;; amdgpu-corpus repo=pytorch/pytorch kind=compiled arch=gfx1250 opt=O3
	.amdgcn_target "amdgcn-amd-amdhsa--gfx1250"
	.amdhsa_code_object_version 6
	.section	.text._ZN2at6native29vectorized_elementwise_kernelILi16EZZZNS0_12_GLOBAL__N_142_validate_compressed_sparse_indices_kernelILNS2_8CDimNameE0ENS2_18CUDAKernelLauncherENS2_14EmptyVecKernelENS2_8DummyVecELm8EEEvRKNS_6TensorESA_lllENKUlvE0_clEvENKUlvE_clEvEUliE_St5arrayIPcLm2EEEEviT0_T1_,"axG",@progbits,_ZN2at6native29vectorized_elementwise_kernelILi16EZZZNS0_12_GLOBAL__N_142_validate_compressed_sparse_indices_kernelILNS2_8CDimNameE0ENS2_18CUDAKernelLauncherENS2_14EmptyVecKernelENS2_8DummyVecELm8EEEvRKNS_6TensorESA_lllENKUlvE0_clEvENKUlvE_clEvEUliE_St5arrayIPcLm2EEEEviT0_T1_,comdat
	.globl	_ZN2at6native29vectorized_elementwise_kernelILi16EZZZNS0_12_GLOBAL__N_142_validate_compressed_sparse_indices_kernelILNS2_8CDimNameE0ENS2_18CUDAKernelLauncherENS2_14EmptyVecKernelENS2_8DummyVecELm8EEEvRKNS_6TensorESA_lllENKUlvE0_clEvENKUlvE_clEvEUliE_St5arrayIPcLm2EEEEviT0_T1_ ; -- Begin function _ZN2at6native29vectorized_elementwise_kernelILi16EZZZNS0_12_GLOBAL__N_142_validate_compressed_sparse_indices_kernelILNS2_8CDimNameE0ENS2_18CUDAKernelLauncherENS2_14EmptyVecKernelENS2_8DummyVecELm8EEEvRKNS_6TensorESA_lllENKUlvE0_clEvENKUlvE_clEvEUliE_St5arrayIPcLm2EEEEviT0_T1_
	.p2align	8
	.type	_ZN2at6native29vectorized_elementwise_kernelILi16EZZZNS0_12_GLOBAL__N_142_validate_compressed_sparse_indices_kernelILNS2_8CDimNameE0ENS2_18CUDAKernelLauncherENS2_14EmptyVecKernelENS2_8DummyVecELm8EEEvRKNS_6TensorESA_lllENKUlvE0_clEvENKUlvE_clEvEUliE_St5arrayIPcLm2EEEEviT0_T1_,@function
_ZN2at6native29vectorized_elementwise_kernelILi16EZZZNS0_12_GLOBAL__N_142_validate_compressed_sparse_indices_kernelILNS2_8CDimNameE0ENS2_18CUDAKernelLauncherENS2_14EmptyVecKernelENS2_8DummyVecELm8EEEvRKNS_6TensorESA_lllENKUlvE0_clEvENKUlvE_clEvEUliE_St5arrayIPcLm2EEEEviT0_T1_: ; @_ZN2at6native29vectorized_elementwise_kernelILi16EZZZNS0_12_GLOBAL__N_142_validate_compressed_sparse_indices_kernelILNS2_8CDimNameE0ENS2_18CUDAKernelLauncherENS2_14EmptyVecKernelENS2_8DummyVecELm8EEEvRKNS_6TensorESA_lllENKUlvE0_clEvENKUlvE_clEvEUliE_St5arrayIPcLm2EEEEviT0_T1_
; %bb.0:
	s_clause 0x3
	s_load_b32 s3, s[0:1], 0x0
	s_load_b32 s16, s[0:1], 0x8
	s_load_b128 s[4:7], s[0:1], 0x10
	s_load_b64 s[10:11], s[0:1], 0x20
	s_wait_xcnt 0x0
	s_bfe_u32 s0, ttmp6, 0x4000c
	s_and_b32 s1, ttmp6, 15
	s_add_co_i32 s0, s0, 1
	s_getreg_b32 s2, hwreg(HW_REG_IB_STS2, 6, 4)
	s_mul_i32 s0, ttmp9, s0
	s_mov_b32 s17, 0
	s_add_co_i32 s1, s1, s0
	s_cmp_eq_u32 s2, 0
	s_get_pc_i64 s[8:9]
	s_add_nc_u64 s[8:9], s[8:9], .str@rel64+4
	s_cselect_b32 s0, ttmp9, s1
	s_mov_b32 s1, 0
	s_lshl_b32 s2, s0, 10
	s_mov_b32 s0, -1
	s_wait_kmcnt 0x0
	s_sub_co_i32 s5, s3, s2
	s_delay_alu instid0(SALU_CYCLE_1)
	s_cmp_gt_i32 s5, 0x3ff
	s_cbranch_scc0 .LBB0_13
; %bb.1:
	s_cmp_eq_u64 s[8:9], 0
	s_cselect_b32 s3, -1, 0
	s_cmp_lg_u64 s[8:9], 0
	s_cbranch_scc0 .LBB0_11
; %bb.2:
	s_ashr_i32 s3, s2, 31
	v_lshlrev_b32_e32 v2, 4, v0
	s_lshl_b64 s[12:13], s[2:3], 2
	s_delay_alu instid0(SALU_CYCLE_1)
	s_add_nc_u64 s[14:15], s[10:11], s[12:13]
	global_load_b32 v1, v2, s[14:15]
	s_wait_loadcnt 0x0
	v_cmp_le_i32_e32 vcc_lo, s16, v1
	v_cmp_gt_i32_e64 s0, s4, v1
	s_and_b32 s0, vcc_lo, s0
	s_delay_alu instid0(SALU_CYCLE_1)
	s_xor_b32 s3, s0, -1
	s_and_saveexec_b32 s1, s0
	s_cbranch_execz .LBB0_10
; %bb.3:
	v_mov_b32_e32 v3, 0
	s_delay_alu instid0(VALU_DEP_1)
	v_add_nc_u64_e32 v[2:3], s[14:15], v[2:3]
	global_load_b96 v[2:4], v[2:3], off offset:4
	s_wait_loadcnt 0x0
	v_cmp_le_i32_e32 vcc_lo, s16, v2
	v_cmp_gt_i32_e64 s0, s4, v2
	s_and_b32 s0, vcc_lo, s0
	s_delay_alu instid0(SALU_CYCLE_1)
	s_xor_b32 s14, s0, -1
	s_and_saveexec_b32 s15, s0
	s_cbranch_execz .LBB0_9
; %bb.4:
	v_cmp_le_i32_e32 vcc_lo, s16, v3
	v_cmp_gt_i32_e64 s0, s4, v3
	s_mov_b32 s20, -1
	s_and_b32 s0, vcc_lo, s0
	s_delay_alu instid0(SALU_CYCLE_1)
	s_xor_b32 s18, s0, -1
	s_and_saveexec_b32 s19, s0
	s_cbranch_execz .LBB0_8
; %bb.5:
	v_cmp_le_i32_e32 vcc_lo, s16, v4
	v_cmp_gt_i32_e64 s0, s4, v4
	s_and_b32 s0, vcc_lo, s0
	s_delay_alu instid0(SALU_CYCLE_1) | instskip(NEXT) | instid1(SALU_CYCLE_1)
	s_and_saveexec_b32 s21, s0
	s_xor_b32 s0, exec_lo, s21
; %bb.6:
	v_mov_b32_e32 v2, 0
	s_add_nc_u64 s[12:13], s[6:7], s[12:13]
	s_xor_b32 s20, exec_lo, -1
	s_delay_alu instid0(VALU_DEP_1)
	v_dual_mov_b32 v3, v2 :: v_dual_mov_b32 v4, v2
	v_mov_b32_e32 v5, v2
	global_store_b128 v0, v[2:5], s[12:13] scale_offset
; %bb.7:
	s_wait_xcnt 0x0
	s_or_b32 exec_lo, exec_lo, s0
	s_delay_alu instid0(SALU_CYCLE_1) | instskip(SKIP_1) | instid1(SALU_CYCLE_1)
	s_and_not1_b32 s0, s18, exec_lo
	s_and_b32 s12, s20, exec_lo
	s_or_b32 s18, s0, s12
.LBB0_8:
	s_or_b32 exec_lo, exec_lo, s19
	s_delay_alu instid0(SALU_CYCLE_1) | instskip(SKIP_1) | instid1(SALU_CYCLE_1)
	s_and_not1_b32 s0, s14, exec_lo
	s_and_b32 s12, s18, exec_lo
	s_or_b32 s14, s0, s12
.LBB0_9:
	s_or_b32 exec_lo, exec_lo, s15
	s_delay_alu instid0(SALU_CYCLE_1) | instskip(SKIP_1) | instid1(SALU_CYCLE_1)
	s_and_not1_b32 s0, s3, exec_lo
	s_and_b32 s3, s14, exec_lo
	s_or_b32 s3, s0, s3
.LBB0_10:
	s_or_b32 exec_lo, exec_lo, s1
.LBB0_11:
	s_mov_b32 s0, 0
	s_mov_b32 s1, 0
	s_and_saveexec_b32 s12, s3
	s_delay_alu instid0(SALU_CYCLE_1)
	s_xor_b32 s3, exec_lo, s12
	s_cbranch_execnz .LBB0_48
.LBB0_12:
	s_or_b32 exec_lo, exec_lo, s3
.LBB0_13:
	s_delay_alu instid0(SALU_CYCLE_1)
	s_and_b32 vcc_lo, exec_lo, s0
	s_cbranch_vccz .LBB0_37
; %bb.14:
	v_cmp_le_i32_e64 s13, s5, v0
	v_cmp_gt_i32_e64 s3, s5, v0
	v_dual_mov_b32 v1, 0 :: v_dual_mov_b32 v3, 0
	v_or_b32_e32 v7, 0x100, v0
	v_dual_mov_b32 v6, 0 :: v_dual_mov_b32 v8, 0
	s_and_saveexec_b32 s0, s3
	s_cbranch_execz .LBB0_22
; %bb.15:
	v_dual_mov_b32 v6, 0 :: v_dual_bitop2_b32 v1, s2, v0 bitop3:0x54
	v_mov_b32_e32 v3, 0
	s_mov_b32 s12, exec_lo
	global_load_b32 v8, v1, s[10:11] scale_offset
	s_wait_xcnt 0x0
	v_mov_b32_e32 v1, 0
	v_cmpx_gt_u32_e64 s5, v7
	s_cbranch_execz .LBB0_21
; %bb.16:
	v_dual_mov_b32 v3, 0 :: v_dual_add_nc_u32 v2, s2, v0
	v_or_b32_e32 v1, 0x200, v0
	global_load_b32 v6, v2, s[10:11] offset:1024 scale_offset
	v_cmp_gt_u32_e32 vcc_lo, s5, v1
	v_mov_b32_e32 v1, 0
	s_wait_xcnt 0x0
	s_and_saveexec_b32 s14, vcc_lo
	s_cbranch_execz .LBB0_20
; %bb.17:
	v_lshl_add_u64 v[4:5], v[2:3], 2, s[10:11]
	v_or_b32_e32 v1, 0x300, v0
	s_mov_b32 s10, exec_lo
	global_load_b32 v2, v[4:5], off offset:2048
	s_wait_xcnt 0x0
	v_cmpx_gt_u32_e64 s5, v1
	s_cbranch_execz .LBB0_19
; %bb.18:
	global_load_b32 v3, v[4:5], off offset:3072
.LBB0_19:
	s_wait_xcnt 0x0
	s_or_b32 exec_lo, exec_lo, s10
	s_wait_loadcnt 0x0
	v_dual_mov_b32 v1, v3 :: v_dual_mov_b32 v3, v2
.LBB0_20:
	s_or_b32 exec_lo, exec_lo, s14
.LBB0_21:
	s_delay_alu instid0(SALU_CYCLE_1)
	s_or_b32 exec_lo, exec_lo, s12
.LBB0_22:
	s_delay_alu instid0(SALU_CYCLE_1)
	s_or_b32 exec_lo, exec_lo, s0
	s_cmp_lg_u64 s[8:9], 0
	s_mov_b32 s10, 0
	s_cselect_b32 s14, -1, 0
	s_and_saveexec_b32 s8, s3
	s_cbranch_execz .LBB0_24
; %bb.23:
	s_wait_loadcnt 0x0
	v_cmp_le_i32_e32 vcc_lo, s16, v8
	v_cmp_gt_i32_e64 s0, s4, v8
	s_and_not1_b32 s9, s13, exec_lo
	s_mov_b32 s10, exec_lo
	s_and_b32 s0, vcc_lo, s0
	s_delay_alu instid0(SALU_CYCLE_1) | instskip(NEXT) | instid1(SALU_CYCLE_1)
	s_and_b32 s0, s14, s0
	s_and_b32 s0, s0, exec_lo
	s_delay_alu instid0(SALU_CYCLE_1)
	s_or_b32 s13, s9, s0
.LBB0_24:
	s_or_b32 exec_lo, exec_lo, s8
                                        ; implicit-def: $sgpr8
                                        ; implicit-def: $sgpr9
                                        ; implicit-def: $sgpr11
	s_and_saveexec_b32 s12, s13
	s_cbranch_execz .LBB0_46
; %bb.25:
	v_cmp_le_i32_e64 s18, s5, v7
	v_cmp_gt_i32_e64 s8, s5, v7
	s_mov_b32 s13, 0
	s_and_saveexec_b32 s9, s8
	s_cbranch_execz .LBB0_27
; %bb.26:
	s_wait_loadcnt 0x0
	v_cmp_le_i32_e32 vcc_lo, s16, v6
	v_cmp_gt_i32_e64 s0, s4, v6
	s_and_not1_b32 s11, s18, exec_lo
	s_mov_b32 s13, exec_lo
	s_and_b32 s0, vcc_lo, s0
	s_delay_alu instid0(SALU_CYCLE_1) | instskip(NEXT) | instid1(SALU_CYCLE_1)
	s_and_b32 s0, s14, s0
	s_and_b32 s0, s0, exec_lo
	s_delay_alu instid0(SALU_CYCLE_1)
	s_or_b32 s18, s11, s0
.LBB0_27:
	s_or_b32 exec_lo, exec_lo, s9
                                        ; implicit-def: $sgpr9
                                        ; implicit-def: $sgpr11
	s_and_saveexec_b32 s15, s18
	s_cbranch_execz .LBB0_35
; %bb.28:
	v_or_b32_e32 v2, 0x200, v0
	s_mov_b32 s18, 0
	s_delay_alu instid0(VALU_DEP_1)
	v_cmp_le_i32_e64 s20, s5, v2
	v_cmp_gt_i32_e64 s9, s5, v2
	s_and_saveexec_b32 s11, s9
; %bb.29:
	v_cmp_le_i32_e32 vcc_lo, s16, v3
	v_cmp_gt_i32_e64 s0, s4, v3
	s_and_not1_b32 s19, s20, exec_lo
	s_mov_b32 s17, exec_lo
	s_and_b32 s0, vcc_lo, s0
	s_delay_alu instid0(SALU_CYCLE_1) | instskip(NEXT) | instid1(SALU_CYCLE_1)
	s_and_b32 s0, s14, s0
	s_and_b32 s0, s0, exec_lo
	s_delay_alu instid0(SALU_CYCLE_1)
	s_or_b32 s20, s19, s0
; %bb.30:
	s_or_b32 exec_lo, exec_lo, s11
                                        ; implicit-def: $sgpr11
	s_and_saveexec_b32 s19, s20
	s_cbranch_execz .LBB0_34
; %bb.31:
	v_or_b32_e32 v2, 0x300, v0
	s_mov_b32 s0, 0
	s_delay_alu instid0(VALU_DEP_1) | instskip(SKIP_2) | instid1(SALU_CYCLE_1)
	v_cmp_le_i32_e64 s18, s5, v2
	v_cmp_gt_i32_e64 s11, s5, v2
	s_and_saveexec_b32 s5, s11
	s_xor_b32 s5, exec_lo, s5
; %bb.32:
	v_cmp_le_i32_e32 vcc_lo, s16, v1
	v_cmp_gt_i32_e64 s0, s4, v1
	s_or_b32 s18, s18, exec_lo
	s_and_b32 s0, vcc_lo, s0
	s_delay_alu instid0(SALU_CYCLE_1) | instskip(NEXT) | instid1(SALU_CYCLE_1)
	s_and_b32 s0, s14, s0
	s_xor_b32 s0, s0, -1
	s_delay_alu instid0(SALU_CYCLE_1)
	s_and_b32 s0, s0, exec_lo
; %bb.33:
	s_or_b32 exec_lo, exec_lo, s5
	s_delay_alu instid0(SALU_CYCLE_1)
	s_and_not1_b32 s4, s17, exec_lo
	s_and_b32 s0, s0, exec_lo
	s_and_b32 s18, s18, exec_lo
	s_or_b32 s17, s4, s0
.LBB0_34:
	s_or_b32 exec_lo, exec_lo, s19
	s_delay_alu instid0(SALU_CYCLE_1)
	s_and_not1_b32 s0, s13, exec_lo
	s_and_b32 s4, s17, exec_lo
	s_and_b32 s17, s18, exec_lo
	s_or_b32 s13, s0, s4
.LBB0_35:
	s_or_b32 exec_lo, exec_lo, s15
	s_delay_alu instid0(SALU_CYCLE_1)
	s_and_not1_b32 s0, s10, exec_lo
	s_and_b32 s4, s13, exec_lo
	s_and_b32 s17, s17, exec_lo
	s_or_b32 s10, s0, s4
	s_or_b32 exec_lo, exec_lo, s12
	s_and_saveexec_b32 s0, s10
	s_cbranch_execz .LBB0_47
.LBB0_36:
	s_and_not1_b32 s17, s17, exec_lo
	s_or_b32 s1, s1, exec_lo
	s_trap 2
	s_or_b32 exec_lo, exec_lo, s0
	s_and_saveexec_b32 s0, s1
	s_cbranch_execnz .LBB0_38
	s_branch .LBB0_39
.LBB0_37:
                                        ; implicit-def: $sgpr3
                                        ; implicit-def: $sgpr8
                                        ; implicit-def: $sgpr9
                                        ; implicit-def: $sgpr11
                                        ; implicit-def: $vgpr0
	s_and_saveexec_b32 s0, s1
.LBB0_38:
	; divergent unreachable
.LBB0_39:
	s_delay_alu instid0(SALU_CYCLE_1)
	s_or_b32 exec_lo, exec_lo, s0
	s_and_saveexec_b32 s0, s17
	s_cbranch_execz .LBB0_45
; %bb.40:
	s_and_b32 exec_lo, exec_lo, s3
	s_cbranch_execz .LBB0_45
; %bb.41:
	v_dual_mov_b32 v1, 0 :: v_dual_bitop2_b32 v2, s2, v0 bitop3:0x54
	global_store_b32 v2, v1, s[6:7] scale_offset
	s_wait_xcnt 0x0
	s_and_b32 exec_lo, exec_lo, s8
	s_cbranch_execz .LBB0_45
; %bb.42:
	v_add_nc_u32_e32 v0, s2, v0
	global_store_b32 v0, v1, s[6:7] offset:1024 scale_offset
	s_wait_xcnt 0x0
	s_and_b32 exec_lo, exec_lo, s9
	s_cbranch_execz .LBB0_45
; %bb.43:
	v_lshl_add_u64 v[0:1], v[0:1], 2, s[6:7]
	v_mov_b32_e32 v2, 0
	global_store_b32 v[0:1], v2, off offset:2048
	s_wait_xcnt 0x0
	s_and_b32 exec_lo, exec_lo, s11
	s_cbranch_execz .LBB0_45
; %bb.44:
	global_store_b32 v[0:1], v2, off offset:3072
.LBB0_45:
	s_endpgm
.LBB0_46:
	s_or_b32 exec_lo, exec_lo, s12
	s_and_saveexec_b32 s0, s10
	s_cbranch_execnz .LBB0_36
.LBB0_47:
	s_or_b32 exec_lo, exec_lo, s0
	s_and_saveexec_b32 s0, s1
	s_cbranch_execnz .LBB0_38
	s_branch .LBB0_39
.LBB0_48:
	s_mov_b32 s1, exec_lo
	s_trap 2
	s_branch .LBB0_12
	.section	.rodata,"a",@progbits
	.p2align	6, 0x0
	.amdhsa_kernel _ZN2at6native29vectorized_elementwise_kernelILi16EZZZNS0_12_GLOBAL__N_142_validate_compressed_sparse_indices_kernelILNS2_8CDimNameE0ENS2_18CUDAKernelLauncherENS2_14EmptyVecKernelENS2_8DummyVecELm8EEEvRKNS_6TensorESA_lllENKUlvE0_clEvENKUlvE_clEvEUliE_St5arrayIPcLm2EEEEviT0_T1_
		.amdhsa_group_segment_fixed_size 0
		.amdhsa_private_segment_fixed_size 0
		.amdhsa_kernarg_size 40
		.amdhsa_user_sgpr_count 2
		.amdhsa_user_sgpr_dispatch_ptr 0
		.amdhsa_user_sgpr_queue_ptr 0
		.amdhsa_user_sgpr_kernarg_segment_ptr 1
		.amdhsa_user_sgpr_dispatch_id 0
		.amdhsa_user_sgpr_kernarg_preload_length 0
		.amdhsa_user_sgpr_kernarg_preload_offset 0
		.amdhsa_user_sgpr_private_segment_size 0
		.amdhsa_wavefront_size32 1
		.amdhsa_uses_dynamic_stack 0
		.amdhsa_enable_private_segment 0
		.amdhsa_system_sgpr_workgroup_id_x 1
		.amdhsa_system_sgpr_workgroup_id_y 0
		.amdhsa_system_sgpr_workgroup_id_z 0
		.amdhsa_system_sgpr_workgroup_info 0
		.amdhsa_system_vgpr_workitem_id 0
		.amdhsa_next_free_vgpr 9
		.amdhsa_next_free_sgpr 22
		.amdhsa_named_barrier_count 0
		.amdhsa_reserve_vcc 1
		.amdhsa_float_round_mode_32 0
		.amdhsa_float_round_mode_16_64 0
		.amdhsa_float_denorm_mode_32 3
		.amdhsa_float_denorm_mode_16_64 3
		.amdhsa_fp16_overflow 0
		.amdhsa_memory_ordered 1
		.amdhsa_forward_progress 1
		.amdhsa_inst_pref_size 11
		.amdhsa_round_robin_scheduling 0
		.amdhsa_exception_fp_ieee_invalid_op 0
		.amdhsa_exception_fp_denorm_src 0
		.amdhsa_exception_fp_ieee_div_zero 0
		.amdhsa_exception_fp_ieee_overflow 0
		.amdhsa_exception_fp_ieee_underflow 0
		.amdhsa_exception_fp_ieee_inexact 0
		.amdhsa_exception_int_div_zero 0
	.end_amdhsa_kernel
	.section	.text._ZN2at6native29vectorized_elementwise_kernelILi16EZZZNS0_12_GLOBAL__N_142_validate_compressed_sparse_indices_kernelILNS2_8CDimNameE0ENS2_18CUDAKernelLauncherENS2_14EmptyVecKernelENS2_8DummyVecELm8EEEvRKNS_6TensorESA_lllENKUlvE0_clEvENKUlvE_clEvEUliE_St5arrayIPcLm2EEEEviT0_T1_,"axG",@progbits,_ZN2at6native29vectorized_elementwise_kernelILi16EZZZNS0_12_GLOBAL__N_142_validate_compressed_sparse_indices_kernelILNS2_8CDimNameE0ENS2_18CUDAKernelLauncherENS2_14EmptyVecKernelENS2_8DummyVecELm8EEEvRKNS_6TensorESA_lllENKUlvE0_clEvENKUlvE_clEvEUliE_St5arrayIPcLm2EEEEviT0_T1_,comdat
.Lfunc_end0:
	.size	_ZN2at6native29vectorized_elementwise_kernelILi16EZZZNS0_12_GLOBAL__N_142_validate_compressed_sparse_indices_kernelILNS2_8CDimNameE0ENS2_18CUDAKernelLauncherENS2_14EmptyVecKernelENS2_8DummyVecELm8EEEvRKNS_6TensorESA_lllENKUlvE0_clEvENKUlvE_clEvEUliE_St5arrayIPcLm2EEEEviT0_T1_, .Lfunc_end0-_ZN2at6native29vectorized_elementwise_kernelILi16EZZZNS0_12_GLOBAL__N_142_validate_compressed_sparse_indices_kernelILNS2_8CDimNameE0ENS2_18CUDAKernelLauncherENS2_14EmptyVecKernelENS2_8DummyVecELm8EEEvRKNS_6TensorESA_lllENKUlvE0_clEvENKUlvE_clEvEUliE_St5arrayIPcLm2EEEEviT0_T1_
                                        ; -- End function
	.set _ZN2at6native29vectorized_elementwise_kernelILi16EZZZNS0_12_GLOBAL__N_142_validate_compressed_sparse_indices_kernelILNS2_8CDimNameE0ENS2_18CUDAKernelLauncherENS2_14EmptyVecKernelENS2_8DummyVecELm8EEEvRKNS_6TensorESA_lllENKUlvE0_clEvENKUlvE_clEvEUliE_St5arrayIPcLm2EEEEviT0_T1_.num_vgpr, 9
	.set _ZN2at6native29vectorized_elementwise_kernelILi16EZZZNS0_12_GLOBAL__N_142_validate_compressed_sparse_indices_kernelILNS2_8CDimNameE0ENS2_18CUDAKernelLauncherENS2_14EmptyVecKernelENS2_8DummyVecELm8EEEvRKNS_6TensorESA_lllENKUlvE0_clEvENKUlvE_clEvEUliE_St5arrayIPcLm2EEEEviT0_T1_.num_agpr, 0
	.set _ZN2at6native29vectorized_elementwise_kernelILi16EZZZNS0_12_GLOBAL__N_142_validate_compressed_sparse_indices_kernelILNS2_8CDimNameE0ENS2_18CUDAKernelLauncherENS2_14EmptyVecKernelENS2_8DummyVecELm8EEEvRKNS_6TensorESA_lllENKUlvE0_clEvENKUlvE_clEvEUliE_St5arrayIPcLm2EEEEviT0_T1_.numbered_sgpr, 22
	.set _ZN2at6native29vectorized_elementwise_kernelILi16EZZZNS0_12_GLOBAL__N_142_validate_compressed_sparse_indices_kernelILNS2_8CDimNameE0ENS2_18CUDAKernelLauncherENS2_14EmptyVecKernelENS2_8DummyVecELm8EEEvRKNS_6TensorESA_lllENKUlvE0_clEvENKUlvE_clEvEUliE_St5arrayIPcLm2EEEEviT0_T1_.num_named_barrier, 0
	.set _ZN2at6native29vectorized_elementwise_kernelILi16EZZZNS0_12_GLOBAL__N_142_validate_compressed_sparse_indices_kernelILNS2_8CDimNameE0ENS2_18CUDAKernelLauncherENS2_14EmptyVecKernelENS2_8DummyVecELm8EEEvRKNS_6TensorESA_lllENKUlvE0_clEvENKUlvE_clEvEUliE_St5arrayIPcLm2EEEEviT0_T1_.private_seg_size, 0
	.set _ZN2at6native29vectorized_elementwise_kernelILi16EZZZNS0_12_GLOBAL__N_142_validate_compressed_sparse_indices_kernelILNS2_8CDimNameE0ENS2_18CUDAKernelLauncherENS2_14EmptyVecKernelENS2_8DummyVecELm8EEEvRKNS_6TensorESA_lllENKUlvE0_clEvENKUlvE_clEvEUliE_St5arrayIPcLm2EEEEviT0_T1_.uses_vcc, 1
	.set _ZN2at6native29vectorized_elementwise_kernelILi16EZZZNS0_12_GLOBAL__N_142_validate_compressed_sparse_indices_kernelILNS2_8CDimNameE0ENS2_18CUDAKernelLauncherENS2_14EmptyVecKernelENS2_8DummyVecELm8EEEvRKNS_6TensorESA_lllENKUlvE0_clEvENKUlvE_clEvEUliE_St5arrayIPcLm2EEEEviT0_T1_.uses_flat_scratch, 0
	.set _ZN2at6native29vectorized_elementwise_kernelILi16EZZZNS0_12_GLOBAL__N_142_validate_compressed_sparse_indices_kernelILNS2_8CDimNameE0ENS2_18CUDAKernelLauncherENS2_14EmptyVecKernelENS2_8DummyVecELm8EEEvRKNS_6TensorESA_lllENKUlvE0_clEvENKUlvE_clEvEUliE_St5arrayIPcLm2EEEEviT0_T1_.has_dyn_sized_stack, 0
	.set _ZN2at6native29vectorized_elementwise_kernelILi16EZZZNS0_12_GLOBAL__N_142_validate_compressed_sparse_indices_kernelILNS2_8CDimNameE0ENS2_18CUDAKernelLauncherENS2_14EmptyVecKernelENS2_8DummyVecELm8EEEvRKNS_6TensorESA_lllENKUlvE0_clEvENKUlvE_clEvEUliE_St5arrayIPcLm2EEEEviT0_T1_.has_recursion, 0
	.set _ZN2at6native29vectorized_elementwise_kernelILi16EZZZNS0_12_GLOBAL__N_142_validate_compressed_sparse_indices_kernelILNS2_8CDimNameE0ENS2_18CUDAKernelLauncherENS2_14EmptyVecKernelENS2_8DummyVecELm8EEEvRKNS_6TensorESA_lllENKUlvE0_clEvENKUlvE_clEvEUliE_St5arrayIPcLm2EEEEviT0_T1_.has_indirect_call, 0
	.section	.AMDGPU.csdata,"",@progbits
; Kernel info:
; codeLenInByte = 1384
; TotalNumSgprs: 24
; NumVgprs: 9
; ScratchSize: 0
; MemoryBound: 0
; FloatMode: 240
; IeeeMode: 1
; LDSByteSize: 0 bytes/workgroup (compile time only)
; SGPRBlocks: 0
; VGPRBlocks: 0
; NumSGPRsForWavesPerEU: 24
; NumVGPRsForWavesPerEU: 9
; NamedBarCnt: 0
; Occupancy: 16
; WaveLimiterHint : 0
; COMPUTE_PGM_RSRC2:SCRATCH_EN: 0
; COMPUTE_PGM_RSRC2:USER_SGPR: 2
; COMPUTE_PGM_RSRC2:TRAP_HANDLER: 0
; COMPUTE_PGM_RSRC2:TGID_X_EN: 1
; COMPUTE_PGM_RSRC2:TGID_Y_EN: 0
; COMPUTE_PGM_RSRC2:TGID_Z_EN: 0
; COMPUTE_PGM_RSRC2:TIDIG_COMP_CNT: 0
	.section	.text._ZN2at6native29vectorized_elementwise_kernelILi8EZZZNS0_12_GLOBAL__N_142_validate_compressed_sparse_indices_kernelILNS2_8CDimNameE0ENS2_18CUDAKernelLauncherENS2_14EmptyVecKernelENS2_8DummyVecELm8EEEvRKNS_6TensorESA_lllENKUlvE0_clEvENKUlvE_clEvEUliE_St5arrayIPcLm2EEEEviT0_T1_,"axG",@progbits,_ZN2at6native29vectorized_elementwise_kernelILi8EZZZNS0_12_GLOBAL__N_142_validate_compressed_sparse_indices_kernelILNS2_8CDimNameE0ENS2_18CUDAKernelLauncherENS2_14EmptyVecKernelENS2_8DummyVecELm8EEEvRKNS_6TensorESA_lllENKUlvE0_clEvENKUlvE_clEvEUliE_St5arrayIPcLm2EEEEviT0_T1_,comdat
	.globl	_ZN2at6native29vectorized_elementwise_kernelILi8EZZZNS0_12_GLOBAL__N_142_validate_compressed_sparse_indices_kernelILNS2_8CDimNameE0ENS2_18CUDAKernelLauncherENS2_14EmptyVecKernelENS2_8DummyVecELm8EEEvRKNS_6TensorESA_lllENKUlvE0_clEvENKUlvE_clEvEUliE_St5arrayIPcLm2EEEEviT0_T1_ ; -- Begin function _ZN2at6native29vectorized_elementwise_kernelILi8EZZZNS0_12_GLOBAL__N_142_validate_compressed_sparse_indices_kernelILNS2_8CDimNameE0ENS2_18CUDAKernelLauncherENS2_14EmptyVecKernelENS2_8DummyVecELm8EEEvRKNS_6TensorESA_lllENKUlvE0_clEvENKUlvE_clEvEUliE_St5arrayIPcLm2EEEEviT0_T1_
	.p2align	8
	.type	_ZN2at6native29vectorized_elementwise_kernelILi8EZZZNS0_12_GLOBAL__N_142_validate_compressed_sparse_indices_kernelILNS2_8CDimNameE0ENS2_18CUDAKernelLauncherENS2_14EmptyVecKernelENS2_8DummyVecELm8EEEvRKNS_6TensorESA_lllENKUlvE0_clEvENKUlvE_clEvEUliE_St5arrayIPcLm2EEEEviT0_T1_,@function
_ZN2at6native29vectorized_elementwise_kernelILi8EZZZNS0_12_GLOBAL__N_142_validate_compressed_sparse_indices_kernelILNS2_8CDimNameE0ENS2_18CUDAKernelLauncherENS2_14EmptyVecKernelENS2_8DummyVecELm8EEEvRKNS_6TensorESA_lllENKUlvE0_clEvENKUlvE_clEvEUliE_St5arrayIPcLm2EEEEviT0_T1_: ; @_ZN2at6native29vectorized_elementwise_kernelILi8EZZZNS0_12_GLOBAL__N_142_validate_compressed_sparse_indices_kernelILNS2_8CDimNameE0ENS2_18CUDAKernelLauncherENS2_14EmptyVecKernelENS2_8DummyVecELm8EEEvRKNS_6TensorESA_lllENKUlvE0_clEvENKUlvE_clEvEUliE_St5arrayIPcLm2EEEEviT0_T1_
; %bb.0:
	s_clause 0x3
	s_load_b32 s3, s[0:1], 0x0
	s_load_b32 s16, s[0:1], 0x8
	s_load_b128 s[4:7], s[0:1], 0x10
	s_load_b64 s[10:11], s[0:1], 0x20
	s_wait_xcnt 0x0
	s_bfe_u32 s0, ttmp6, 0x4000c
	s_and_b32 s1, ttmp6, 15
	s_add_co_i32 s0, s0, 1
	s_getreg_b32 s2, hwreg(HW_REG_IB_STS2, 6, 4)
	s_mul_i32 s0, ttmp9, s0
	s_mov_b32 s17, 0
	s_add_co_i32 s1, s1, s0
	s_cmp_eq_u32 s2, 0
	s_get_pc_i64 s[8:9]
	s_add_nc_u64 s[8:9], s[8:9], .str@rel64+4
	s_cselect_b32 s0, ttmp9, s1
	s_mov_b32 s1, 0
	s_lshl_b32 s2, s0, 10
	s_mov_b32 s0, -1
	s_wait_kmcnt 0x0
	s_sub_co_i32 s5, s3, s2
	s_delay_alu instid0(SALU_CYCLE_1)
	s_cmp_gt_i32 s5, 0x3ff
	s_cbranch_scc0 .LBB1_13
; %bb.1:
	s_cmp_eq_u64 s[8:9], 0
	s_cselect_b32 s3, -1, 0
	s_cmp_lg_u64 s[8:9], 0
	s_cbranch_scc0 .LBB1_11
; %bb.2:
	s_ashr_i32 s3, s2, 31
	v_lshlrev_b32_e32 v2, 4, v0
	s_lshl_b64 s[12:13], s[2:3], 2
	s_delay_alu instid0(SALU_CYCLE_1)
	s_add_nc_u64 s[14:15], s[10:11], s[12:13]
	global_load_b32 v1, v2, s[14:15]
	s_wait_loadcnt 0x0
	v_cmp_le_i32_e32 vcc_lo, s16, v1
	v_cmp_gt_i32_e64 s0, s4, v1
	s_and_b32 s0, vcc_lo, s0
	s_delay_alu instid0(SALU_CYCLE_1)
	s_xor_b32 s3, s0, -1
	s_and_saveexec_b32 s1, s0
	s_cbranch_execz .LBB1_10
; %bb.3:
	v_mov_b32_e32 v3, 0
	s_delay_alu instid0(VALU_DEP_1)
	v_add_nc_u64_e32 v[2:3], s[14:15], v[2:3]
	global_load_b96 v[2:4], v[2:3], off offset:4
	s_wait_loadcnt 0x0
	v_cmp_le_i32_e32 vcc_lo, s16, v2
	v_cmp_gt_i32_e64 s0, s4, v2
	s_and_b32 s0, vcc_lo, s0
	s_delay_alu instid0(SALU_CYCLE_1)
	s_xor_b32 s14, s0, -1
	s_and_saveexec_b32 s15, s0
	s_cbranch_execz .LBB1_9
; %bb.4:
	v_cmp_le_i32_e32 vcc_lo, s16, v3
	v_cmp_gt_i32_e64 s0, s4, v3
	s_mov_b32 s20, -1
	s_and_b32 s0, vcc_lo, s0
	s_delay_alu instid0(SALU_CYCLE_1)
	s_xor_b32 s18, s0, -1
	s_and_saveexec_b32 s19, s0
	s_cbranch_execz .LBB1_8
; %bb.5:
	v_cmp_le_i32_e32 vcc_lo, s16, v4
	v_cmp_gt_i32_e64 s0, s4, v4
	s_and_b32 s0, vcc_lo, s0
	s_delay_alu instid0(SALU_CYCLE_1) | instskip(NEXT) | instid1(SALU_CYCLE_1)
	s_and_saveexec_b32 s21, s0
	s_xor_b32 s0, exec_lo, s21
; %bb.6:
	v_mov_b32_e32 v2, 0
	s_add_nc_u64 s[12:13], s[6:7], s[12:13]
	s_xor_b32 s20, exec_lo, -1
	s_delay_alu instid0(VALU_DEP_1)
	v_dual_mov_b32 v3, v2 :: v_dual_mov_b32 v4, v2
	v_mov_b32_e32 v5, v2
	global_store_b128 v0, v[2:5], s[12:13] scale_offset
; %bb.7:
	s_wait_xcnt 0x0
	s_or_b32 exec_lo, exec_lo, s0
	s_delay_alu instid0(SALU_CYCLE_1) | instskip(SKIP_1) | instid1(SALU_CYCLE_1)
	s_and_not1_b32 s0, s18, exec_lo
	s_and_b32 s12, s20, exec_lo
	s_or_b32 s18, s0, s12
.LBB1_8:
	s_or_b32 exec_lo, exec_lo, s19
	s_delay_alu instid0(SALU_CYCLE_1) | instskip(SKIP_1) | instid1(SALU_CYCLE_1)
	s_and_not1_b32 s0, s14, exec_lo
	s_and_b32 s12, s18, exec_lo
	s_or_b32 s14, s0, s12
.LBB1_9:
	s_or_b32 exec_lo, exec_lo, s15
	s_delay_alu instid0(SALU_CYCLE_1) | instskip(SKIP_1) | instid1(SALU_CYCLE_1)
	s_and_not1_b32 s0, s3, exec_lo
	s_and_b32 s3, s14, exec_lo
	s_or_b32 s3, s0, s3
.LBB1_10:
	s_or_b32 exec_lo, exec_lo, s1
.LBB1_11:
	s_mov_b32 s0, 0
	s_mov_b32 s1, 0
	s_and_saveexec_b32 s12, s3
	s_delay_alu instid0(SALU_CYCLE_1)
	s_xor_b32 s3, exec_lo, s12
	s_cbranch_execnz .LBB1_48
.LBB1_12:
	s_or_b32 exec_lo, exec_lo, s3
.LBB1_13:
	s_delay_alu instid0(SALU_CYCLE_1)
	s_and_b32 vcc_lo, exec_lo, s0
	s_cbranch_vccz .LBB1_37
; %bb.14:
	v_cmp_le_i32_e64 s13, s5, v0
	v_cmp_gt_i32_e64 s3, s5, v0
	v_dual_mov_b32 v1, 0 :: v_dual_mov_b32 v3, 0
	v_or_b32_e32 v7, 0x100, v0
	v_dual_mov_b32 v6, 0 :: v_dual_mov_b32 v8, 0
	s_and_saveexec_b32 s0, s3
	s_cbranch_execz .LBB1_22
; %bb.15:
	v_dual_mov_b32 v6, 0 :: v_dual_bitop2_b32 v1, s2, v0 bitop3:0x54
	v_mov_b32_e32 v3, 0
	s_mov_b32 s12, exec_lo
	global_load_b32 v8, v1, s[10:11] scale_offset
	s_wait_xcnt 0x0
	v_mov_b32_e32 v1, 0
	v_cmpx_gt_u32_e64 s5, v7
	s_cbranch_execz .LBB1_21
; %bb.16:
	v_dual_mov_b32 v3, 0 :: v_dual_add_nc_u32 v2, s2, v0
	v_or_b32_e32 v1, 0x200, v0
	global_load_b32 v6, v2, s[10:11] offset:1024 scale_offset
	v_cmp_gt_u32_e32 vcc_lo, s5, v1
	v_mov_b32_e32 v1, 0
	s_wait_xcnt 0x0
	s_and_saveexec_b32 s14, vcc_lo
	s_cbranch_execz .LBB1_20
; %bb.17:
	v_lshl_add_u64 v[4:5], v[2:3], 2, s[10:11]
	v_or_b32_e32 v1, 0x300, v0
	s_mov_b32 s10, exec_lo
	global_load_b32 v2, v[4:5], off offset:2048
	s_wait_xcnt 0x0
	v_cmpx_gt_u32_e64 s5, v1
	s_cbranch_execz .LBB1_19
; %bb.18:
	global_load_b32 v3, v[4:5], off offset:3072
.LBB1_19:
	s_wait_xcnt 0x0
	s_or_b32 exec_lo, exec_lo, s10
	s_wait_loadcnt 0x0
	v_dual_mov_b32 v1, v3 :: v_dual_mov_b32 v3, v2
.LBB1_20:
	s_or_b32 exec_lo, exec_lo, s14
.LBB1_21:
	s_delay_alu instid0(SALU_CYCLE_1)
	s_or_b32 exec_lo, exec_lo, s12
.LBB1_22:
	s_delay_alu instid0(SALU_CYCLE_1)
	s_or_b32 exec_lo, exec_lo, s0
	s_cmp_lg_u64 s[8:9], 0
	s_mov_b32 s10, 0
	s_cselect_b32 s14, -1, 0
	s_and_saveexec_b32 s8, s3
	s_cbranch_execz .LBB1_24
; %bb.23:
	s_wait_loadcnt 0x0
	v_cmp_le_i32_e32 vcc_lo, s16, v8
	v_cmp_gt_i32_e64 s0, s4, v8
	s_and_not1_b32 s9, s13, exec_lo
	s_mov_b32 s10, exec_lo
	s_and_b32 s0, vcc_lo, s0
	s_delay_alu instid0(SALU_CYCLE_1) | instskip(NEXT) | instid1(SALU_CYCLE_1)
	s_and_b32 s0, s14, s0
	s_and_b32 s0, s0, exec_lo
	s_delay_alu instid0(SALU_CYCLE_1)
	s_or_b32 s13, s9, s0
.LBB1_24:
	s_or_b32 exec_lo, exec_lo, s8
                                        ; implicit-def: $sgpr8
                                        ; implicit-def: $sgpr9
                                        ; implicit-def: $sgpr11
	s_and_saveexec_b32 s12, s13
	s_cbranch_execz .LBB1_46
; %bb.25:
	v_cmp_le_i32_e64 s18, s5, v7
	v_cmp_gt_i32_e64 s8, s5, v7
	s_mov_b32 s13, 0
	s_and_saveexec_b32 s9, s8
	s_cbranch_execz .LBB1_27
; %bb.26:
	s_wait_loadcnt 0x0
	v_cmp_le_i32_e32 vcc_lo, s16, v6
	v_cmp_gt_i32_e64 s0, s4, v6
	s_and_not1_b32 s11, s18, exec_lo
	s_mov_b32 s13, exec_lo
	s_and_b32 s0, vcc_lo, s0
	s_delay_alu instid0(SALU_CYCLE_1) | instskip(NEXT) | instid1(SALU_CYCLE_1)
	s_and_b32 s0, s14, s0
	s_and_b32 s0, s0, exec_lo
	s_delay_alu instid0(SALU_CYCLE_1)
	s_or_b32 s18, s11, s0
.LBB1_27:
	s_or_b32 exec_lo, exec_lo, s9
                                        ; implicit-def: $sgpr9
                                        ; implicit-def: $sgpr11
	s_and_saveexec_b32 s15, s18
	s_cbranch_execz .LBB1_35
; %bb.28:
	v_or_b32_e32 v2, 0x200, v0
	s_mov_b32 s18, 0
	s_delay_alu instid0(VALU_DEP_1)
	v_cmp_le_i32_e64 s20, s5, v2
	v_cmp_gt_i32_e64 s9, s5, v2
	s_and_saveexec_b32 s11, s9
; %bb.29:
	v_cmp_le_i32_e32 vcc_lo, s16, v3
	v_cmp_gt_i32_e64 s0, s4, v3
	s_and_not1_b32 s19, s20, exec_lo
	s_mov_b32 s17, exec_lo
	s_and_b32 s0, vcc_lo, s0
	s_delay_alu instid0(SALU_CYCLE_1) | instskip(NEXT) | instid1(SALU_CYCLE_1)
	s_and_b32 s0, s14, s0
	s_and_b32 s0, s0, exec_lo
	s_delay_alu instid0(SALU_CYCLE_1)
	s_or_b32 s20, s19, s0
; %bb.30:
	s_or_b32 exec_lo, exec_lo, s11
                                        ; implicit-def: $sgpr11
	s_and_saveexec_b32 s19, s20
	s_cbranch_execz .LBB1_34
; %bb.31:
	v_or_b32_e32 v2, 0x300, v0
	s_mov_b32 s0, 0
	s_delay_alu instid0(VALU_DEP_1) | instskip(SKIP_2) | instid1(SALU_CYCLE_1)
	v_cmp_le_i32_e64 s18, s5, v2
	v_cmp_gt_i32_e64 s11, s5, v2
	s_and_saveexec_b32 s5, s11
	s_xor_b32 s5, exec_lo, s5
; %bb.32:
	v_cmp_le_i32_e32 vcc_lo, s16, v1
	v_cmp_gt_i32_e64 s0, s4, v1
	s_or_b32 s18, s18, exec_lo
	s_and_b32 s0, vcc_lo, s0
	s_delay_alu instid0(SALU_CYCLE_1) | instskip(NEXT) | instid1(SALU_CYCLE_1)
	s_and_b32 s0, s14, s0
	s_xor_b32 s0, s0, -1
	s_delay_alu instid0(SALU_CYCLE_1)
	s_and_b32 s0, s0, exec_lo
; %bb.33:
	s_or_b32 exec_lo, exec_lo, s5
	s_delay_alu instid0(SALU_CYCLE_1)
	s_and_not1_b32 s4, s17, exec_lo
	s_and_b32 s0, s0, exec_lo
	s_and_b32 s18, s18, exec_lo
	s_or_b32 s17, s4, s0
.LBB1_34:
	s_or_b32 exec_lo, exec_lo, s19
	s_delay_alu instid0(SALU_CYCLE_1)
	s_and_not1_b32 s0, s13, exec_lo
	s_and_b32 s4, s17, exec_lo
	s_and_b32 s17, s18, exec_lo
	s_or_b32 s13, s0, s4
.LBB1_35:
	s_or_b32 exec_lo, exec_lo, s15
	s_delay_alu instid0(SALU_CYCLE_1)
	s_and_not1_b32 s0, s10, exec_lo
	s_and_b32 s4, s13, exec_lo
	s_and_b32 s17, s17, exec_lo
	s_or_b32 s10, s0, s4
	s_or_b32 exec_lo, exec_lo, s12
	s_and_saveexec_b32 s0, s10
	s_cbranch_execz .LBB1_47
.LBB1_36:
	s_and_not1_b32 s17, s17, exec_lo
	s_or_b32 s1, s1, exec_lo
	s_trap 2
	s_or_b32 exec_lo, exec_lo, s0
	s_and_saveexec_b32 s0, s1
	s_cbranch_execnz .LBB1_38
	s_branch .LBB1_39
.LBB1_37:
                                        ; implicit-def: $sgpr3
                                        ; implicit-def: $sgpr8
                                        ; implicit-def: $sgpr9
                                        ; implicit-def: $sgpr11
                                        ; implicit-def: $vgpr0
	s_and_saveexec_b32 s0, s1
.LBB1_38:
	; divergent unreachable
.LBB1_39:
	s_delay_alu instid0(SALU_CYCLE_1)
	s_or_b32 exec_lo, exec_lo, s0
	s_and_saveexec_b32 s0, s17
	s_cbranch_execz .LBB1_45
; %bb.40:
	s_and_b32 exec_lo, exec_lo, s3
	s_cbranch_execz .LBB1_45
; %bb.41:
	v_dual_mov_b32 v1, 0 :: v_dual_bitop2_b32 v2, s2, v0 bitop3:0x54
	global_store_b32 v2, v1, s[6:7] scale_offset
	s_wait_xcnt 0x0
	s_and_b32 exec_lo, exec_lo, s8
	s_cbranch_execz .LBB1_45
; %bb.42:
	v_add_nc_u32_e32 v0, s2, v0
	global_store_b32 v0, v1, s[6:7] offset:1024 scale_offset
	s_wait_xcnt 0x0
	s_and_b32 exec_lo, exec_lo, s9
	s_cbranch_execz .LBB1_45
; %bb.43:
	v_lshl_add_u64 v[0:1], v[0:1], 2, s[6:7]
	v_mov_b32_e32 v2, 0
	global_store_b32 v[0:1], v2, off offset:2048
	s_wait_xcnt 0x0
	s_and_b32 exec_lo, exec_lo, s11
	s_cbranch_execz .LBB1_45
; %bb.44:
	global_store_b32 v[0:1], v2, off offset:3072
.LBB1_45:
	s_endpgm
.LBB1_46:
	s_or_b32 exec_lo, exec_lo, s12
	s_and_saveexec_b32 s0, s10
	s_cbranch_execnz .LBB1_36
.LBB1_47:
	s_or_b32 exec_lo, exec_lo, s0
	s_and_saveexec_b32 s0, s1
	s_cbranch_execnz .LBB1_38
	s_branch .LBB1_39
.LBB1_48:
	s_mov_b32 s1, exec_lo
	s_trap 2
	s_branch .LBB1_12
	.section	.rodata,"a",@progbits
	.p2align	6, 0x0
	.amdhsa_kernel _ZN2at6native29vectorized_elementwise_kernelILi8EZZZNS0_12_GLOBAL__N_142_validate_compressed_sparse_indices_kernelILNS2_8CDimNameE0ENS2_18CUDAKernelLauncherENS2_14EmptyVecKernelENS2_8DummyVecELm8EEEvRKNS_6TensorESA_lllENKUlvE0_clEvENKUlvE_clEvEUliE_St5arrayIPcLm2EEEEviT0_T1_
		.amdhsa_group_segment_fixed_size 0
		.amdhsa_private_segment_fixed_size 0
		.amdhsa_kernarg_size 40
		.amdhsa_user_sgpr_count 2
		.amdhsa_user_sgpr_dispatch_ptr 0
		.amdhsa_user_sgpr_queue_ptr 0
		.amdhsa_user_sgpr_kernarg_segment_ptr 1
		.amdhsa_user_sgpr_dispatch_id 0
		.amdhsa_user_sgpr_kernarg_preload_length 0
		.amdhsa_user_sgpr_kernarg_preload_offset 0
		.amdhsa_user_sgpr_private_segment_size 0
		.amdhsa_wavefront_size32 1
		.amdhsa_uses_dynamic_stack 0
		.amdhsa_enable_private_segment 0
		.amdhsa_system_sgpr_workgroup_id_x 1
		.amdhsa_system_sgpr_workgroup_id_y 0
		.amdhsa_system_sgpr_workgroup_id_z 0
		.amdhsa_system_sgpr_workgroup_info 0
		.amdhsa_system_vgpr_workitem_id 0
		.amdhsa_next_free_vgpr 9
		.amdhsa_next_free_sgpr 22
		.amdhsa_named_barrier_count 0
		.amdhsa_reserve_vcc 1
		.amdhsa_float_round_mode_32 0
		.amdhsa_float_round_mode_16_64 0
		.amdhsa_float_denorm_mode_32 3
		.amdhsa_float_denorm_mode_16_64 3
		.amdhsa_fp16_overflow 0
		.amdhsa_memory_ordered 1
		.amdhsa_forward_progress 1
		.amdhsa_inst_pref_size 11
		.amdhsa_round_robin_scheduling 0
		.amdhsa_exception_fp_ieee_invalid_op 0
		.amdhsa_exception_fp_denorm_src 0
		.amdhsa_exception_fp_ieee_div_zero 0
		.amdhsa_exception_fp_ieee_overflow 0
		.amdhsa_exception_fp_ieee_underflow 0
		.amdhsa_exception_fp_ieee_inexact 0
		.amdhsa_exception_int_div_zero 0
	.end_amdhsa_kernel
	.section	.text._ZN2at6native29vectorized_elementwise_kernelILi8EZZZNS0_12_GLOBAL__N_142_validate_compressed_sparse_indices_kernelILNS2_8CDimNameE0ENS2_18CUDAKernelLauncherENS2_14EmptyVecKernelENS2_8DummyVecELm8EEEvRKNS_6TensorESA_lllENKUlvE0_clEvENKUlvE_clEvEUliE_St5arrayIPcLm2EEEEviT0_T1_,"axG",@progbits,_ZN2at6native29vectorized_elementwise_kernelILi8EZZZNS0_12_GLOBAL__N_142_validate_compressed_sparse_indices_kernelILNS2_8CDimNameE0ENS2_18CUDAKernelLauncherENS2_14EmptyVecKernelENS2_8DummyVecELm8EEEvRKNS_6TensorESA_lllENKUlvE0_clEvENKUlvE_clEvEUliE_St5arrayIPcLm2EEEEviT0_T1_,comdat
.Lfunc_end1:
	.size	_ZN2at6native29vectorized_elementwise_kernelILi8EZZZNS0_12_GLOBAL__N_142_validate_compressed_sparse_indices_kernelILNS2_8CDimNameE0ENS2_18CUDAKernelLauncherENS2_14EmptyVecKernelENS2_8DummyVecELm8EEEvRKNS_6TensorESA_lllENKUlvE0_clEvENKUlvE_clEvEUliE_St5arrayIPcLm2EEEEviT0_T1_, .Lfunc_end1-_ZN2at6native29vectorized_elementwise_kernelILi8EZZZNS0_12_GLOBAL__N_142_validate_compressed_sparse_indices_kernelILNS2_8CDimNameE0ENS2_18CUDAKernelLauncherENS2_14EmptyVecKernelENS2_8DummyVecELm8EEEvRKNS_6TensorESA_lllENKUlvE0_clEvENKUlvE_clEvEUliE_St5arrayIPcLm2EEEEviT0_T1_
                                        ; -- End function
	.set _ZN2at6native29vectorized_elementwise_kernelILi8EZZZNS0_12_GLOBAL__N_142_validate_compressed_sparse_indices_kernelILNS2_8CDimNameE0ENS2_18CUDAKernelLauncherENS2_14EmptyVecKernelENS2_8DummyVecELm8EEEvRKNS_6TensorESA_lllENKUlvE0_clEvENKUlvE_clEvEUliE_St5arrayIPcLm2EEEEviT0_T1_.num_vgpr, 9
	.set _ZN2at6native29vectorized_elementwise_kernelILi8EZZZNS0_12_GLOBAL__N_142_validate_compressed_sparse_indices_kernelILNS2_8CDimNameE0ENS2_18CUDAKernelLauncherENS2_14EmptyVecKernelENS2_8DummyVecELm8EEEvRKNS_6TensorESA_lllENKUlvE0_clEvENKUlvE_clEvEUliE_St5arrayIPcLm2EEEEviT0_T1_.num_agpr, 0
	.set _ZN2at6native29vectorized_elementwise_kernelILi8EZZZNS0_12_GLOBAL__N_142_validate_compressed_sparse_indices_kernelILNS2_8CDimNameE0ENS2_18CUDAKernelLauncherENS2_14EmptyVecKernelENS2_8DummyVecELm8EEEvRKNS_6TensorESA_lllENKUlvE0_clEvENKUlvE_clEvEUliE_St5arrayIPcLm2EEEEviT0_T1_.numbered_sgpr, 22
	.set _ZN2at6native29vectorized_elementwise_kernelILi8EZZZNS0_12_GLOBAL__N_142_validate_compressed_sparse_indices_kernelILNS2_8CDimNameE0ENS2_18CUDAKernelLauncherENS2_14EmptyVecKernelENS2_8DummyVecELm8EEEvRKNS_6TensorESA_lllENKUlvE0_clEvENKUlvE_clEvEUliE_St5arrayIPcLm2EEEEviT0_T1_.num_named_barrier, 0
	.set _ZN2at6native29vectorized_elementwise_kernelILi8EZZZNS0_12_GLOBAL__N_142_validate_compressed_sparse_indices_kernelILNS2_8CDimNameE0ENS2_18CUDAKernelLauncherENS2_14EmptyVecKernelENS2_8DummyVecELm8EEEvRKNS_6TensorESA_lllENKUlvE0_clEvENKUlvE_clEvEUliE_St5arrayIPcLm2EEEEviT0_T1_.private_seg_size, 0
	.set _ZN2at6native29vectorized_elementwise_kernelILi8EZZZNS0_12_GLOBAL__N_142_validate_compressed_sparse_indices_kernelILNS2_8CDimNameE0ENS2_18CUDAKernelLauncherENS2_14EmptyVecKernelENS2_8DummyVecELm8EEEvRKNS_6TensorESA_lllENKUlvE0_clEvENKUlvE_clEvEUliE_St5arrayIPcLm2EEEEviT0_T1_.uses_vcc, 1
	.set _ZN2at6native29vectorized_elementwise_kernelILi8EZZZNS0_12_GLOBAL__N_142_validate_compressed_sparse_indices_kernelILNS2_8CDimNameE0ENS2_18CUDAKernelLauncherENS2_14EmptyVecKernelENS2_8DummyVecELm8EEEvRKNS_6TensorESA_lllENKUlvE0_clEvENKUlvE_clEvEUliE_St5arrayIPcLm2EEEEviT0_T1_.uses_flat_scratch, 0
	.set _ZN2at6native29vectorized_elementwise_kernelILi8EZZZNS0_12_GLOBAL__N_142_validate_compressed_sparse_indices_kernelILNS2_8CDimNameE0ENS2_18CUDAKernelLauncherENS2_14EmptyVecKernelENS2_8DummyVecELm8EEEvRKNS_6TensorESA_lllENKUlvE0_clEvENKUlvE_clEvEUliE_St5arrayIPcLm2EEEEviT0_T1_.has_dyn_sized_stack, 0
	.set _ZN2at6native29vectorized_elementwise_kernelILi8EZZZNS0_12_GLOBAL__N_142_validate_compressed_sparse_indices_kernelILNS2_8CDimNameE0ENS2_18CUDAKernelLauncherENS2_14EmptyVecKernelENS2_8DummyVecELm8EEEvRKNS_6TensorESA_lllENKUlvE0_clEvENKUlvE_clEvEUliE_St5arrayIPcLm2EEEEviT0_T1_.has_recursion, 0
	.set _ZN2at6native29vectorized_elementwise_kernelILi8EZZZNS0_12_GLOBAL__N_142_validate_compressed_sparse_indices_kernelILNS2_8CDimNameE0ENS2_18CUDAKernelLauncherENS2_14EmptyVecKernelENS2_8DummyVecELm8EEEvRKNS_6TensorESA_lllENKUlvE0_clEvENKUlvE_clEvEUliE_St5arrayIPcLm2EEEEviT0_T1_.has_indirect_call, 0
	.section	.AMDGPU.csdata,"",@progbits
; Kernel info:
; codeLenInByte = 1384
; TotalNumSgprs: 24
; NumVgprs: 9
; ScratchSize: 0
; MemoryBound: 0
; FloatMode: 240
; IeeeMode: 1
; LDSByteSize: 0 bytes/workgroup (compile time only)
; SGPRBlocks: 0
; VGPRBlocks: 0
; NumSGPRsForWavesPerEU: 24
; NumVGPRsForWavesPerEU: 9
; NamedBarCnt: 0
; Occupancy: 16
; WaveLimiterHint : 0
; COMPUTE_PGM_RSRC2:SCRATCH_EN: 0
; COMPUTE_PGM_RSRC2:USER_SGPR: 2
; COMPUTE_PGM_RSRC2:TRAP_HANDLER: 0
; COMPUTE_PGM_RSRC2:TGID_X_EN: 1
; COMPUTE_PGM_RSRC2:TGID_Y_EN: 0
; COMPUTE_PGM_RSRC2:TGID_Z_EN: 0
; COMPUTE_PGM_RSRC2:TIDIG_COMP_CNT: 0
	.section	.text._ZN2at6native29vectorized_elementwise_kernelILi4EZZZNS0_12_GLOBAL__N_142_validate_compressed_sparse_indices_kernelILNS2_8CDimNameE0ENS2_18CUDAKernelLauncherENS2_14EmptyVecKernelENS2_8DummyVecELm8EEEvRKNS_6TensorESA_lllENKUlvE0_clEvENKUlvE_clEvEUliE_St5arrayIPcLm2EEEEviT0_T1_,"axG",@progbits,_ZN2at6native29vectorized_elementwise_kernelILi4EZZZNS0_12_GLOBAL__N_142_validate_compressed_sparse_indices_kernelILNS2_8CDimNameE0ENS2_18CUDAKernelLauncherENS2_14EmptyVecKernelENS2_8DummyVecELm8EEEvRKNS_6TensorESA_lllENKUlvE0_clEvENKUlvE_clEvEUliE_St5arrayIPcLm2EEEEviT0_T1_,comdat
	.globl	_ZN2at6native29vectorized_elementwise_kernelILi4EZZZNS0_12_GLOBAL__N_142_validate_compressed_sparse_indices_kernelILNS2_8CDimNameE0ENS2_18CUDAKernelLauncherENS2_14EmptyVecKernelENS2_8DummyVecELm8EEEvRKNS_6TensorESA_lllENKUlvE0_clEvENKUlvE_clEvEUliE_St5arrayIPcLm2EEEEviT0_T1_ ; -- Begin function _ZN2at6native29vectorized_elementwise_kernelILi4EZZZNS0_12_GLOBAL__N_142_validate_compressed_sparse_indices_kernelILNS2_8CDimNameE0ENS2_18CUDAKernelLauncherENS2_14EmptyVecKernelENS2_8DummyVecELm8EEEvRKNS_6TensorESA_lllENKUlvE0_clEvENKUlvE_clEvEUliE_St5arrayIPcLm2EEEEviT0_T1_
	.p2align	8
	.type	_ZN2at6native29vectorized_elementwise_kernelILi4EZZZNS0_12_GLOBAL__N_142_validate_compressed_sparse_indices_kernelILNS2_8CDimNameE0ENS2_18CUDAKernelLauncherENS2_14EmptyVecKernelENS2_8DummyVecELm8EEEvRKNS_6TensorESA_lllENKUlvE0_clEvENKUlvE_clEvEUliE_St5arrayIPcLm2EEEEviT0_T1_,@function
_ZN2at6native29vectorized_elementwise_kernelILi4EZZZNS0_12_GLOBAL__N_142_validate_compressed_sparse_indices_kernelILNS2_8CDimNameE0ENS2_18CUDAKernelLauncherENS2_14EmptyVecKernelENS2_8DummyVecELm8EEEvRKNS_6TensorESA_lllENKUlvE0_clEvENKUlvE_clEvEUliE_St5arrayIPcLm2EEEEviT0_T1_: ; @_ZN2at6native29vectorized_elementwise_kernelILi4EZZZNS0_12_GLOBAL__N_142_validate_compressed_sparse_indices_kernelILNS2_8CDimNameE0ENS2_18CUDAKernelLauncherENS2_14EmptyVecKernelENS2_8DummyVecELm8EEEvRKNS_6TensorESA_lllENKUlvE0_clEvENKUlvE_clEvEUliE_St5arrayIPcLm2EEEEviT0_T1_
; %bb.0:
	s_clause 0x3
	s_load_b32 s3, s[0:1], 0x0
	s_load_b32 s16, s[0:1], 0x8
	s_load_b128 s[4:7], s[0:1], 0x10
	s_load_b64 s[10:11], s[0:1], 0x20
	s_wait_xcnt 0x0
	s_bfe_u32 s0, ttmp6, 0x4000c
	s_and_b32 s1, ttmp6, 15
	s_add_co_i32 s0, s0, 1
	s_getreg_b32 s2, hwreg(HW_REG_IB_STS2, 6, 4)
	s_mul_i32 s0, ttmp9, s0
	s_mov_b32 s17, 0
	s_add_co_i32 s1, s1, s0
	s_cmp_eq_u32 s2, 0
	s_get_pc_i64 s[8:9]
	s_add_nc_u64 s[8:9], s[8:9], .str@rel64+4
	s_cselect_b32 s0, ttmp9, s1
	s_mov_b32 s1, 0
	s_lshl_b32 s2, s0, 10
	s_mov_b32 s0, -1
	s_wait_kmcnt 0x0
	s_sub_co_i32 s5, s3, s2
	s_delay_alu instid0(SALU_CYCLE_1)
	s_cmp_gt_i32 s5, 0x3ff
	s_cbranch_scc0 .LBB2_13
; %bb.1:
	s_cmp_eq_u64 s[8:9], 0
	s_cselect_b32 s3, -1, 0
	s_cmp_lg_u64 s[8:9], 0
	s_cbranch_scc0 .LBB2_11
; %bb.2:
	s_ashr_i32 s3, s2, 31
	v_lshlrev_b32_e32 v2, 4, v0
	s_lshl_b64 s[12:13], s[2:3], 2
	s_delay_alu instid0(SALU_CYCLE_1)
	s_add_nc_u64 s[14:15], s[10:11], s[12:13]
	global_load_b32 v1, v2, s[14:15]
	s_wait_loadcnt 0x0
	v_cmp_le_i32_e32 vcc_lo, s16, v1
	v_cmp_gt_i32_e64 s0, s4, v1
	s_and_b32 s0, vcc_lo, s0
	s_delay_alu instid0(SALU_CYCLE_1)
	s_xor_b32 s3, s0, -1
	s_and_saveexec_b32 s1, s0
	s_cbranch_execz .LBB2_10
; %bb.3:
	v_mov_b32_e32 v3, 0
	s_delay_alu instid0(VALU_DEP_1)
	v_add_nc_u64_e32 v[2:3], s[14:15], v[2:3]
	global_load_b96 v[2:4], v[2:3], off offset:4
	s_wait_loadcnt 0x0
	v_cmp_le_i32_e32 vcc_lo, s16, v2
	v_cmp_gt_i32_e64 s0, s4, v2
	s_and_b32 s0, vcc_lo, s0
	s_delay_alu instid0(SALU_CYCLE_1)
	s_xor_b32 s14, s0, -1
	s_and_saveexec_b32 s15, s0
	s_cbranch_execz .LBB2_9
; %bb.4:
	v_cmp_le_i32_e32 vcc_lo, s16, v3
	v_cmp_gt_i32_e64 s0, s4, v3
	s_mov_b32 s20, -1
	s_and_b32 s0, vcc_lo, s0
	s_delay_alu instid0(SALU_CYCLE_1)
	s_xor_b32 s18, s0, -1
	s_and_saveexec_b32 s19, s0
	s_cbranch_execz .LBB2_8
; %bb.5:
	v_cmp_le_i32_e32 vcc_lo, s16, v4
	v_cmp_gt_i32_e64 s0, s4, v4
	s_and_b32 s0, vcc_lo, s0
	s_delay_alu instid0(SALU_CYCLE_1) | instskip(NEXT) | instid1(SALU_CYCLE_1)
	s_and_saveexec_b32 s21, s0
	s_xor_b32 s0, exec_lo, s21
; %bb.6:
	v_mov_b32_e32 v2, 0
	s_add_nc_u64 s[12:13], s[6:7], s[12:13]
	s_xor_b32 s20, exec_lo, -1
	s_delay_alu instid0(VALU_DEP_1)
	v_dual_mov_b32 v3, v2 :: v_dual_mov_b32 v4, v2
	v_mov_b32_e32 v5, v2
	global_store_b128 v0, v[2:5], s[12:13] scale_offset
; %bb.7:
	s_wait_xcnt 0x0
	s_or_b32 exec_lo, exec_lo, s0
	s_delay_alu instid0(SALU_CYCLE_1) | instskip(SKIP_1) | instid1(SALU_CYCLE_1)
	s_and_not1_b32 s0, s18, exec_lo
	s_and_b32 s12, s20, exec_lo
	s_or_b32 s18, s0, s12
.LBB2_8:
	s_or_b32 exec_lo, exec_lo, s19
	s_delay_alu instid0(SALU_CYCLE_1) | instskip(SKIP_1) | instid1(SALU_CYCLE_1)
	s_and_not1_b32 s0, s14, exec_lo
	s_and_b32 s12, s18, exec_lo
	s_or_b32 s14, s0, s12
.LBB2_9:
	s_or_b32 exec_lo, exec_lo, s15
	s_delay_alu instid0(SALU_CYCLE_1) | instskip(SKIP_1) | instid1(SALU_CYCLE_1)
	s_and_not1_b32 s0, s3, exec_lo
	s_and_b32 s3, s14, exec_lo
	s_or_b32 s3, s0, s3
.LBB2_10:
	s_or_b32 exec_lo, exec_lo, s1
.LBB2_11:
	s_mov_b32 s0, 0
	s_mov_b32 s1, 0
	s_and_saveexec_b32 s12, s3
	s_delay_alu instid0(SALU_CYCLE_1)
	s_xor_b32 s3, exec_lo, s12
	s_cbranch_execnz .LBB2_48
.LBB2_12:
	s_or_b32 exec_lo, exec_lo, s3
.LBB2_13:
	s_delay_alu instid0(SALU_CYCLE_1)
	s_and_b32 vcc_lo, exec_lo, s0
	s_cbranch_vccz .LBB2_37
; %bb.14:
	v_cmp_le_i32_e64 s13, s5, v0
	v_cmp_gt_i32_e64 s3, s5, v0
	v_dual_mov_b32 v1, 0 :: v_dual_mov_b32 v3, 0
	v_or_b32_e32 v7, 0x100, v0
	v_dual_mov_b32 v6, 0 :: v_dual_mov_b32 v8, 0
	s_and_saveexec_b32 s0, s3
	s_cbranch_execz .LBB2_22
; %bb.15:
	v_dual_mov_b32 v6, 0 :: v_dual_bitop2_b32 v1, s2, v0 bitop3:0x54
	v_mov_b32_e32 v3, 0
	s_mov_b32 s12, exec_lo
	global_load_b32 v8, v1, s[10:11] scale_offset
	s_wait_xcnt 0x0
	v_mov_b32_e32 v1, 0
	v_cmpx_gt_u32_e64 s5, v7
	s_cbranch_execz .LBB2_21
; %bb.16:
	v_dual_mov_b32 v3, 0 :: v_dual_add_nc_u32 v2, s2, v0
	v_or_b32_e32 v1, 0x200, v0
	global_load_b32 v6, v2, s[10:11] offset:1024 scale_offset
	v_cmp_gt_u32_e32 vcc_lo, s5, v1
	v_mov_b32_e32 v1, 0
	s_wait_xcnt 0x0
	s_and_saveexec_b32 s14, vcc_lo
	s_cbranch_execz .LBB2_20
; %bb.17:
	v_lshl_add_u64 v[4:5], v[2:3], 2, s[10:11]
	v_or_b32_e32 v1, 0x300, v0
	s_mov_b32 s10, exec_lo
	global_load_b32 v2, v[4:5], off offset:2048
	s_wait_xcnt 0x0
	v_cmpx_gt_u32_e64 s5, v1
	s_cbranch_execz .LBB2_19
; %bb.18:
	global_load_b32 v3, v[4:5], off offset:3072
.LBB2_19:
	s_wait_xcnt 0x0
	s_or_b32 exec_lo, exec_lo, s10
	s_wait_loadcnt 0x0
	v_dual_mov_b32 v1, v3 :: v_dual_mov_b32 v3, v2
.LBB2_20:
	s_or_b32 exec_lo, exec_lo, s14
.LBB2_21:
	s_delay_alu instid0(SALU_CYCLE_1)
	s_or_b32 exec_lo, exec_lo, s12
.LBB2_22:
	s_delay_alu instid0(SALU_CYCLE_1)
	s_or_b32 exec_lo, exec_lo, s0
	s_cmp_lg_u64 s[8:9], 0
	s_mov_b32 s10, 0
	s_cselect_b32 s14, -1, 0
	s_and_saveexec_b32 s8, s3
	s_cbranch_execz .LBB2_24
; %bb.23:
	s_wait_loadcnt 0x0
	v_cmp_le_i32_e32 vcc_lo, s16, v8
	v_cmp_gt_i32_e64 s0, s4, v8
	s_and_not1_b32 s9, s13, exec_lo
	s_mov_b32 s10, exec_lo
	s_and_b32 s0, vcc_lo, s0
	s_delay_alu instid0(SALU_CYCLE_1) | instskip(NEXT) | instid1(SALU_CYCLE_1)
	s_and_b32 s0, s14, s0
	s_and_b32 s0, s0, exec_lo
	s_delay_alu instid0(SALU_CYCLE_1)
	s_or_b32 s13, s9, s0
.LBB2_24:
	s_or_b32 exec_lo, exec_lo, s8
                                        ; implicit-def: $sgpr8
                                        ; implicit-def: $sgpr9
                                        ; implicit-def: $sgpr11
	s_and_saveexec_b32 s12, s13
	s_cbranch_execz .LBB2_46
; %bb.25:
	v_cmp_le_i32_e64 s18, s5, v7
	v_cmp_gt_i32_e64 s8, s5, v7
	s_mov_b32 s13, 0
	s_and_saveexec_b32 s9, s8
	s_cbranch_execz .LBB2_27
; %bb.26:
	s_wait_loadcnt 0x0
	v_cmp_le_i32_e32 vcc_lo, s16, v6
	v_cmp_gt_i32_e64 s0, s4, v6
	s_and_not1_b32 s11, s18, exec_lo
	s_mov_b32 s13, exec_lo
	s_and_b32 s0, vcc_lo, s0
	s_delay_alu instid0(SALU_CYCLE_1) | instskip(NEXT) | instid1(SALU_CYCLE_1)
	s_and_b32 s0, s14, s0
	s_and_b32 s0, s0, exec_lo
	s_delay_alu instid0(SALU_CYCLE_1)
	s_or_b32 s18, s11, s0
.LBB2_27:
	s_or_b32 exec_lo, exec_lo, s9
                                        ; implicit-def: $sgpr9
                                        ; implicit-def: $sgpr11
	s_and_saveexec_b32 s15, s18
	s_cbranch_execz .LBB2_35
; %bb.28:
	v_or_b32_e32 v2, 0x200, v0
	s_mov_b32 s18, 0
	s_delay_alu instid0(VALU_DEP_1)
	v_cmp_le_i32_e64 s20, s5, v2
	v_cmp_gt_i32_e64 s9, s5, v2
	s_and_saveexec_b32 s11, s9
; %bb.29:
	v_cmp_le_i32_e32 vcc_lo, s16, v3
	v_cmp_gt_i32_e64 s0, s4, v3
	s_and_not1_b32 s19, s20, exec_lo
	s_mov_b32 s17, exec_lo
	s_and_b32 s0, vcc_lo, s0
	s_delay_alu instid0(SALU_CYCLE_1) | instskip(NEXT) | instid1(SALU_CYCLE_1)
	s_and_b32 s0, s14, s0
	s_and_b32 s0, s0, exec_lo
	s_delay_alu instid0(SALU_CYCLE_1)
	s_or_b32 s20, s19, s0
; %bb.30:
	s_or_b32 exec_lo, exec_lo, s11
                                        ; implicit-def: $sgpr11
	s_and_saveexec_b32 s19, s20
	s_cbranch_execz .LBB2_34
; %bb.31:
	v_or_b32_e32 v2, 0x300, v0
	s_mov_b32 s0, 0
	s_delay_alu instid0(VALU_DEP_1) | instskip(SKIP_2) | instid1(SALU_CYCLE_1)
	v_cmp_le_i32_e64 s18, s5, v2
	v_cmp_gt_i32_e64 s11, s5, v2
	s_and_saveexec_b32 s5, s11
	s_xor_b32 s5, exec_lo, s5
; %bb.32:
	v_cmp_le_i32_e32 vcc_lo, s16, v1
	v_cmp_gt_i32_e64 s0, s4, v1
	s_or_b32 s18, s18, exec_lo
	s_and_b32 s0, vcc_lo, s0
	s_delay_alu instid0(SALU_CYCLE_1) | instskip(NEXT) | instid1(SALU_CYCLE_1)
	s_and_b32 s0, s14, s0
	s_xor_b32 s0, s0, -1
	s_delay_alu instid0(SALU_CYCLE_1)
	s_and_b32 s0, s0, exec_lo
; %bb.33:
	s_or_b32 exec_lo, exec_lo, s5
	s_delay_alu instid0(SALU_CYCLE_1)
	s_and_not1_b32 s4, s17, exec_lo
	s_and_b32 s0, s0, exec_lo
	s_and_b32 s18, s18, exec_lo
	s_or_b32 s17, s4, s0
.LBB2_34:
	s_or_b32 exec_lo, exec_lo, s19
	s_delay_alu instid0(SALU_CYCLE_1)
	s_and_not1_b32 s0, s13, exec_lo
	s_and_b32 s4, s17, exec_lo
	s_and_b32 s17, s18, exec_lo
	s_or_b32 s13, s0, s4
.LBB2_35:
	s_or_b32 exec_lo, exec_lo, s15
	s_delay_alu instid0(SALU_CYCLE_1)
	s_and_not1_b32 s0, s10, exec_lo
	s_and_b32 s4, s13, exec_lo
	s_and_b32 s17, s17, exec_lo
	s_or_b32 s10, s0, s4
	s_or_b32 exec_lo, exec_lo, s12
	s_and_saveexec_b32 s0, s10
	s_cbranch_execz .LBB2_47
.LBB2_36:
	s_and_not1_b32 s17, s17, exec_lo
	s_or_b32 s1, s1, exec_lo
	s_trap 2
	s_or_b32 exec_lo, exec_lo, s0
	s_and_saveexec_b32 s0, s1
	s_cbranch_execnz .LBB2_38
	s_branch .LBB2_39
.LBB2_37:
                                        ; implicit-def: $sgpr3
                                        ; implicit-def: $sgpr8
                                        ; implicit-def: $sgpr9
                                        ; implicit-def: $sgpr11
                                        ; implicit-def: $vgpr0
	s_and_saveexec_b32 s0, s1
.LBB2_38:
	; divergent unreachable
.LBB2_39:
	s_delay_alu instid0(SALU_CYCLE_1)
	s_or_b32 exec_lo, exec_lo, s0
	s_and_saveexec_b32 s0, s17
	s_cbranch_execz .LBB2_45
; %bb.40:
	s_and_b32 exec_lo, exec_lo, s3
	s_cbranch_execz .LBB2_45
; %bb.41:
	v_dual_mov_b32 v1, 0 :: v_dual_bitop2_b32 v2, s2, v0 bitop3:0x54
	global_store_b32 v2, v1, s[6:7] scale_offset
	s_wait_xcnt 0x0
	s_and_b32 exec_lo, exec_lo, s8
	s_cbranch_execz .LBB2_45
; %bb.42:
	v_add_nc_u32_e32 v0, s2, v0
	global_store_b32 v0, v1, s[6:7] offset:1024 scale_offset
	s_wait_xcnt 0x0
	s_and_b32 exec_lo, exec_lo, s9
	s_cbranch_execz .LBB2_45
; %bb.43:
	v_lshl_add_u64 v[0:1], v[0:1], 2, s[6:7]
	v_mov_b32_e32 v2, 0
	global_store_b32 v[0:1], v2, off offset:2048
	s_wait_xcnt 0x0
	s_and_b32 exec_lo, exec_lo, s11
	s_cbranch_execz .LBB2_45
; %bb.44:
	global_store_b32 v[0:1], v2, off offset:3072
.LBB2_45:
	s_endpgm
.LBB2_46:
	s_or_b32 exec_lo, exec_lo, s12
	s_and_saveexec_b32 s0, s10
	s_cbranch_execnz .LBB2_36
.LBB2_47:
	s_or_b32 exec_lo, exec_lo, s0
	s_and_saveexec_b32 s0, s1
	s_cbranch_execnz .LBB2_38
	s_branch .LBB2_39
.LBB2_48:
	s_mov_b32 s1, exec_lo
	s_trap 2
	s_branch .LBB2_12
	.section	.rodata,"a",@progbits
	.p2align	6, 0x0
	.amdhsa_kernel _ZN2at6native29vectorized_elementwise_kernelILi4EZZZNS0_12_GLOBAL__N_142_validate_compressed_sparse_indices_kernelILNS2_8CDimNameE0ENS2_18CUDAKernelLauncherENS2_14EmptyVecKernelENS2_8DummyVecELm8EEEvRKNS_6TensorESA_lllENKUlvE0_clEvENKUlvE_clEvEUliE_St5arrayIPcLm2EEEEviT0_T1_
		.amdhsa_group_segment_fixed_size 0
		.amdhsa_private_segment_fixed_size 0
		.amdhsa_kernarg_size 40
		.amdhsa_user_sgpr_count 2
		.amdhsa_user_sgpr_dispatch_ptr 0
		.amdhsa_user_sgpr_queue_ptr 0
		.amdhsa_user_sgpr_kernarg_segment_ptr 1
		.amdhsa_user_sgpr_dispatch_id 0
		.amdhsa_user_sgpr_kernarg_preload_length 0
		.amdhsa_user_sgpr_kernarg_preload_offset 0
		.amdhsa_user_sgpr_private_segment_size 0
		.amdhsa_wavefront_size32 1
		.amdhsa_uses_dynamic_stack 0
		.amdhsa_enable_private_segment 0
		.amdhsa_system_sgpr_workgroup_id_x 1
		.amdhsa_system_sgpr_workgroup_id_y 0
		.amdhsa_system_sgpr_workgroup_id_z 0
		.amdhsa_system_sgpr_workgroup_info 0
		.amdhsa_system_vgpr_workitem_id 0
		.amdhsa_next_free_vgpr 9
		.amdhsa_next_free_sgpr 22
		.amdhsa_named_barrier_count 0
		.amdhsa_reserve_vcc 1
		.amdhsa_float_round_mode_32 0
		.amdhsa_float_round_mode_16_64 0
		.amdhsa_float_denorm_mode_32 3
		.amdhsa_float_denorm_mode_16_64 3
		.amdhsa_fp16_overflow 0
		.amdhsa_memory_ordered 1
		.amdhsa_forward_progress 1
		.amdhsa_inst_pref_size 11
		.amdhsa_round_robin_scheduling 0
		.amdhsa_exception_fp_ieee_invalid_op 0
		.amdhsa_exception_fp_denorm_src 0
		.amdhsa_exception_fp_ieee_div_zero 0
		.amdhsa_exception_fp_ieee_overflow 0
		.amdhsa_exception_fp_ieee_underflow 0
		.amdhsa_exception_fp_ieee_inexact 0
		.amdhsa_exception_int_div_zero 0
	.end_amdhsa_kernel
	.section	.text._ZN2at6native29vectorized_elementwise_kernelILi4EZZZNS0_12_GLOBAL__N_142_validate_compressed_sparse_indices_kernelILNS2_8CDimNameE0ENS2_18CUDAKernelLauncherENS2_14EmptyVecKernelENS2_8DummyVecELm8EEEvRKNS_6TensorESA_lllENKUlvE0_clEvENKUlvE_clEvEUliE_St5arrayIPcLm2EEEEviT0_T1_,"axG",@progbits,_ZN2at6native29vectorized_elementwise_kernelILi4EZZZNS0_12_GLOBAL__N_142_validate_compressed_sparse_indices_kernelILNS2_8CDimNameE0ENS2_18CUDAKernelLauncherENS2_14EmptyVecKernelENS2_8DummyVecELm8EEEvRKNS_6TensorESA_lllENKUlvE0_clEvENKUlvE_clEvEUliE_St5arrayIPcLm2EEEEviT0_T1_,comdat
.Lfunc_end2:
	.size	_ZN2at6native29vectorized_elementwise_kernelILi4EZZZNS0_12_GLOBAL__N_142_validate_compressed_sparse_indices_kernelILNS2_8CDimNameE0ENS2_18CUDAKernelLauncherENS2_14EmptyVecKernelENS2_8DummyVecELm8EEEvRKNS_6TensorESA_lllENKUlvE0_clEvENKUlvE_clEvEUliE_St5arrayIPcLm2EEEEviT0_T1_, .Lfunc_end2-_ZN2at6native29vectorized_elementwise_kernelILi4EZZZNS0_12_GLOBAL__N_142_validate_compressed_sparse_indices_kernelILNS2_8CDimNameE0ENS2_18CUDAKernelLauncherENS2_14EmptyVecKernelENS2_8DummyVecELm8EEEvRKNS_6TensorESA_lllENKUlvE0_clEvENKUlvE_clEvEUliE_St5arrayIPcLm2EEEEviT0_T1_
                                        ; -- End function
	.set _ZN2at6native29vectorized_elementwise_kernelILi4EZZZNS0_12_GLOBAL__N_142_validate_compressed_sparse_indices_kernelILNS2_8CDimNameE0ENS2_18CUDAKernelLauncherENS2_14EmptyVecKernelENS2_8DummyVecELm8EEEvRKNS_6TensorESA_lllENKUlvE0_clEvENKUlvE_clEvEUliE_St5arrayIPcLm2EEEEviT0_T1_.num_vgpr, 9
	.set _ZN2at6native29vectorized_elementwise_kernelILi4EZZZNS0_12_GLOBAL__N_142_validate_compressed_sparse_indices_kernelILNS2_8CDimNameE0ENS2_18CUDAKernelLauncherENS2_14EmptyVecKernelENS2_8DummyVecELm8EEEvRKNS_6TensorESA_lllENKUlvE0_clEvENKUlvE_clEvEUliE_St5arrayIPcLm2EEEEviT0_T1_.num_agpr, 0
	.set _ZN2at6native29vectorized_elementwise_kernelILi4EZZZNS0_12_GLOBAL__N_142_validate_compressed_sparse_indices_kernelILNS2_8CDimNameE0ENS2_18CUDAKernelLauncherENS2_14EmptyVecKernelENS2_8DummyVecELm8EEEvRKNS_6TensorESA_lllENKUlvE0_clEvENKUlvE_clEvEUliE_St5arrayIPcLm2EEEEviT0_T1_.numbered_sgpr, 22
	.set _ZN2at6native29vectorized_elementwise_kernelILi4EZZZNS0_12_GLOBAL__N_142_validate_compressed_sparse_indices_kernelILNS2_8CDimNameE0ENS2_18CUDAKernelLauncherENS2_14EmptyVecKernelENS2_8DummyVecELm8EEEvRKNS_6TensorESA_lllENKUlvE0_clEvENKUlvE_clEvEUliE_St5arrayIPcLm2EEEEviT0_T1_.num_named_barrier, 0
	.set _ZN2at6native29vectorized_elementwise_kernelILi4EZZZNS0_12_GLOBAL__N_142_validate_compressed_sparse_indices_kernelILNS2_8CDimNameE0ENS2_18CUDAKernelLauncherENS2_14EmptyVecKernelENS2_8DummyVecELm8EEEvRKNS_6TensorESA_lllENKUlvE0_clEvENKUlvE_clEvEUliE_St5arrayIPcLm2EEEEviT0_T1_.private_seg_size, 0
	.set _ZN2at6native29vectorized_elementwise_kernelILi4EZZZNS0_12_GLOBAL__N_142_validate_compressed_sparse_indices_kernelILNS2_8CDimNameE0ENS2_18CUDAKernelLauncherENS2_14EmptyVecKernelENS2_8DummyVecELm8EEEvRKNS_6TensorESA_lllENKUlvE0_clEvENKUlvE_clEvEUliE_St5arrayIPcLm2EEEEviT0_T1_.uses_vcc, 1
	.set _ZN2at6native29vectorized_elementwise_kernelILi4EZZZNS0_12_GLOBAL__N_142_validate_compressed_sparse_indices_kernelILNS2_8CDimNameE0ENS2_18CUDAKernelLauncherENS2_14EmptyVecKernelENS2_8DummyVecELm8EEEvRKNS_6TensorESA_lllENKUlvE0_clEvENKUlvE_clEvEUliE_St5arrayIPcLm2EEEEviT0_T1_.uses_flat_scratch, 0
	.set _ZN2at6native29vectorized_elementwise_kernelILi4EZZZNS0_12_GLOBAL__N_142_validate_compressed_sparse_indices_kernelILNS2_8CDimNameE0ENS2_18CUDAKernelLauncherENS2_14EmptyVecKernelENS2_8DummyVecELm8EEEvRKNS_6TensorESA_lllENKUlvE0_clEvENKUlvE_clEvEUliE_St5arrayIPcLm2EEEEviT0_T1_.has_dyn_sized_stack, 0
	.set _ZN2at6native29vectorized_elementwise_kernelILi4EZZZNS0_12_GLOBAL__N_142_validate_compressed_sparse_indices_kernelILNS2_8CDimNameE0ENS2_18CUDAKernelLauncherENS2_14EmptyVecKernelENS2_8DummyVecELm8EEEvRKNS_6TensorESA_lllENKUlvE0_clEvENKUlvE_clEvEUliE_St5arrayIPcLm2EEEEviT0_T1_.has_recursion, 0
	.set _ZN2at6native29vectorized_elementwise_kernelILi4EZZZNS0_12_GLOBAL__N_142_validate_compressed_sparse_indices_kernelILNS2_8CDimNameE0ENS2_18CUDAKernelLauncherENS2_14EmptyVecKernelENS2_8DummyVecELm8EEEvRKNS_6TensorESA_lllENKUlvE0_clEvENKUlvE_clEvEUliE_St5arrayIPcLm2EEEEviT0_T1_.has_indirect_call, 0
	.section	.AMDGPU.csdata,"",@progbits
; Kernel info:
; codeLenInByte = 1384
; TotalNumSgprs: 24
; NumVgprs: 9
; ScratchSize: 0
; MemoryBound: 0
; FloatMode: 240
; IeeeMode: 1
; LDSByteSize: 0 bytes/workgroup (compile time only)
; SGPRBlocks: 0
; VGPRBlocks: 0
; NumSGPRsForWavesPerEU: 24
; NumVGPRsForWavesPerEU: 9
; NamedBarCnt: 0
; Occupancy: 16
; WaveLimiterHint : 0
; COMPUTE_PGM_RSRC2:SCRATCH_EN: 0
; COMPUTE_PGM_RSRC2:USER_SGPR: 2
; COMPUTE_PGM_RSRC2:TRAP_HANDLER: 0
; COMPUTE_PGM_RSRC2:TGID_X_EN: 1
; COMPUTE_PGM_RSRC2:TGID_Y_EN: 0
; COMPUTE_PGM_RSRC2:TGID_Z_EN: 0
; COMPUTE_PGM_RSRC2:TIDIG_COMP_CNT: 0
	.section	.text._ZN2at6native29vectorized_elementwise_kernelILi2EZZZNS0_12_GLOBAL__N_142_validate_compressed_sparse_indices_kernelILNS2_8CDimNameE0ENS2_18CUDAKernelLauncherENS2_14EmptyVecKernelENS2_8DummyVecELm8EEEvRKNS_6TensorESA_lllENKUlvE0_clEvENKUlvE_clEvEUliE_St5arrayIPcLm2EEEEviT0_T1_,"axG",@progbits,_ZN2at6native29vectorized_elementwise_kernelILi2EZZZNS0_12_GLOBAL__N_142_validate_compressed_sparse_indices_kernelILNS2_8CDimNameE0ENS2_18CUDAKernelLauncherENS2_14EmptyVecKernelENS2_8DummyVecELm8EEEvRKNS_6TensorESA_lllENKUlvE0_clEvENKUlvE_clEvEUliE_St5arrayIPcLm2EEEEviT0_T1_,comdat
	.globl	_ZN2at6native29vectorized_elementwise_kernelILi2EZZZNS0_12_GLOBAL__N_142_validate_compressed_sparse_indices_kernelILNS2_8CDimNameE0ENS2_18CUDAKernelLauncherENS2_14EmptyVecKernelENS2_8DummyVecELm8EEEvRKNS_6TensorESA_lllENKUlvE0_clEvENKUlvE_clEvEUliE_St5arrayIPcLm2EEEEviT0_T1_ ; -- Begin function _ZN2at6native29vectorized_elementwise_kernelILi2EZZZNS0_12_GLOBAL__N_142_validate_compressed_sparse_indices_kernelILNS2_8CDimNameE0ENS2_18CUDAKernelLauncherENS2_14EmptyVecKernelENS2_8DummyVecELm8EEEvRKNS_6TensorESA_lllENKUlvE0_clEvENKUlvE_clEvEUliE_St5arrayIPcLm2EEEEviT0_T1_
	.p2align	8
	.type	_ZN2at6native29vectorized_elementwise_kernelILi2EZZZNS0_12_GLOBAL__N_142_validate_compressed_sparse_indices_kernelILNS2_8CDimNameE0ENS2_18CUDAKernelLauncherENS2_14EmptyVecKernelENS2_8DummyVecELm8EEEvRKNS_6TensorESA_lllENKUlvE0_clEvENKUlvE_clEvEUliE_St5arrayIPcLm2EEEEviT0_T1_,@function
_ZN2at6native29vectorized_elementwise_kernelILi2EZZZNS0_12_GLOBAL__N_142_validate_compressed_sparse_indices_kernelILNS2_8CDimNameE0ENS2_18CUDAKernelLauncherENS2_14EmptyVecKernelENS2_8DummyVecELm8EEEvRKNS_6TensorESA_lllENKUlvE0_clEvENKUlvE_clEvEUliE_St5arrayIPcLm2EEEEviT0_T1_: ; @_ZN2at6native29vectorized_elementwise_kernelILi2EZZZNS0_12_GLOBAL__N_142_validate_compressed_sparse_indices_kernelILNS2_8CDimNameE0ENS2_18CUDAKernelLauncherENS2_14EmptyVecKernelENS2_8DummyVecELm8EEEvRKNS_6TensorESA_lllENKUlvE0_clEvENKUlvE_clEvEUliE_St5arrayIPcLm2EEEEviT0_T1_
; %bb.0:
	s_clause 0x3
	s_load_b32 s3, s[0:1], 0x0
	s_load_b32 s16, s[0:1], 0x8
	s_load_b128 s[4:7], s[0:1], 0x10
	s_load_b64 s[10:11], s[0:1], 0x20
	s_wait_xcnt 0x0
	s_bfe_u32 s0, ttmp6, 0x4000c
	s_and_b32 s1, ttmp6, 15
	s_add_co_i32 s0, s0, 1
	s_getreg_b32 s2, hwreg(HW_REG_IB_STS2, 6, 4)
	s_mul_i32 s0, ttmp9, s0
	s_mov_b32 s17, 0
	s_add_co_i32 s1, s1, s0
	s_cmp_eq_u32 s2, 0
	s_get_pc_i64 s[8:9]
	s_add_nc_u64 s[8:9], s[8:9], .str@rel64+4
	s_cselect_b32 s0, ttmp9, s1
	s_mov_b32 s1, 0
	s_lshl_b32 s2, s0, 10
	s_mov_b32 s0, -1
	s_wait_kmcnt 0x0
	s_sub_co_i32 s5, s3, s2
	s_delay_alu instid0(SALU_CYCLE_1)
	s_cmp_gt_i32 s5, 0x3ff
	s_cbranch_scc0 .LBB3_13
; %bb.1:
	s_cmp_eq_u64 s[8:9], 0
	s_cselect_b32 s3, -1, 0
	s_cmp_lg_u64 s[8:9], 0
	s_cbranch_scc0 .LBB3_11
; %bb.2:
	s_ashr_i32 s3, s2, 31
	v_lshlrev_b32_e32 v2, 3, v0
	s_lshl_b64 s[12:13], s[2:3], 2
	s_delay_alu instid0(SALU_CYCLE_1)
	s_add_nc_u64 s[14:15], s[10:11], s[12:13]
	global_load_b32 v1, v2, s[14:15]
	s_wait_loadcnt 0x0
	v_cmp_le_i32_e32 vcc_lo, s16, v1
	v_cmp_gt_i32_e64 s0, s4, v1
	s_and_b32 s0, vcc_lo, s0
	s_delay_alu instid0(SALU_CYCLE_1)
	s_xor_b32 s3, s0, -1
	s_and_saveexec_b32 s1, s0
	s_cbranch_execz .LBB3_10
; %bb.3:
	v_mov_b32_e32 v3, 0
	s_delay_alu instid0(VALU_DEP_1)
	v_add_nc_u64_e32 v[2:3], s[14:15], v[2:3]
	global_load_b32 v1, v[2:3], off offset:4
	s_wait_loadcnt 0x0
	v_cmp_le_i32_e32 vcc_lo, s16, v1
	v_cmp_gt_i32_e64 s0, s4, v1
	s_and_b32 s0, vcc_lo, s0
	s_delay_alu instid0(SALU_CYCLE_1)
	s_xor_b32 s14, s0, -1
	s_and_saveexec_b32 s15, s0
	s_cbranch_execz .LBB3_9
; %bb.4:
	global_load_b64 v[2:3], v[2:3], off offset:2048
	s_mov_b32 s20, -1
	s_wait_loadcnt 0x0
	v_cmp_le_i32_e32 vcc_lo, s16, v2
	v_cmp_gt_i32_e64 s0, s4, v2
	s_and_b32 s0, vcc_lo, s0
	s_delay_alu instid0(SALU_CYCLE_1)
	s_xor_b32 s18, s0, -1
	s_and_saveexec_b32 s19, s0
	s_cbranch_execz .LBB3_8
; %bb.5:
	v_cmp_le_i32_e32 vcc_lo, s16, v3
	v_cmp_gt_i32_e64 s0, s4, v3
	s_and_b32 s0, vcc_lo, s0
	s_delay_alu instid0(SALU_CYCLE_1) | instskip(NEXT) | instid1(SALU_CYCLE_1)
	s_and_saveexec_b32 s21, s0
	s_xor_b32 s0, exec_lo, s21
; %bb.6:
	v_mov_b64_e32 v[2:3], 0
	s_add_nc_u64 s[12:13], s[6:7], s[12:13]
	s_xor_b32 s20, exec_lo, -1
	s_clause 0x1
	global_store_b64 v0, v[2:3], s[12:13] scale_offset
	global_store_b64 v0, v[2:3], s[12:13] offset:2048 scale_offset
; %bb.7:
	s_wait_xcnt 0x0
	s_or_b32 exec_lo, exec_lo, s0
	s_delay_alu instid0(SALU_CYCLE_1) | instskip(SKIP_1) | instid1(SALU_CYCLE_1)
	s_and_not1_b32 s0, s18, exec_lo
	s_and_b32 s12, s20, exec_lo
	s_or_b32 s18, s0, s12
.LBB3_8:
	s_or_b32 exec_lo, exec_lo, s19
	s_delay_alu instid0(SALU_CYCLE_1) | instskip(SKIP_1) | instid1(SALU_CYCLE_1)
	s_and_not1_b32 s0, s14, exec_lo
	s_and_b32 s12, s18, exec_lo
	s_or_b32 s14, s0, s12
.LBB3_9:
	s_or_b32 exec_lo, exec_lo, s15
	s_delay_alu instid0(SALU_CYCLE_1) | instskip(SKIP_1) | instid1(SALU_CYCLE_1)
	s_and_not1_b32 s0, s3, exec_lo
	s_and_b32 s3, s14, exec_lo
	s_or_b32 s3, s0, s3
.LBB3_10:
	s_or_b32 exec_lo, exec_lo, s1
.LBB3_11:
	s_mov_b32 s0, 0
	s_mov_b32 s1, 0
	s_and_saveexec_b32 s12, s3
	s_delay_alu instid0(SALU_CYCLE_1)
	s_xor_b32 s3, exec_lo, s12
	s_cbranch_execnz .LBB3_48
.LBB3_12:
	s_or_b32 exec_lo, exec_lo, s3
.LBB3_13:
	s_delay_alu instid0(SALU_CYCLE_1)
	s_and_b32 vcc_lo, exec_lo, s0
	s_cbranch_vccz .LBB3_37
; %bb.14:
	v_cmp_le_i32_e64 s13, s5, v0
	v_cmp_gt_i32_e64 s3, s5, v0
	v_dual_mov_b32 v1, 0 :: v_dual_mov_b32 v3, 0
	v_or_b32_e32 v7, 0x100, v0
	v_dual_mov_b32 v6, 0 :: v_dual_mov_b32 v8, 0
	s_and_saveexec_b32 s0, s3
	s_cbranch_execz .LBB3_22
; %bb.15:
	v_dual_mov_b32 v6, 0 :: v_dual_bitop2_b32 v1, s2, v0 bitop3:0x54
	v_mov_b32_e32 v3, 0
	s_mov_b32 s12, exec_lo
	global_load_b32 v8, v1, s[10:11] scale_offset
	s_wait_xcnt 0x0
	v_mov_b32_e32 v1, 0
	v_cmpx_gt_u32_e64 s5, v7
	s_cbranch_execz .LBB3_21
; %bb.16:
	v_dual_mov_b32 v3, 0 :: v_dual_add_nc_u32 v2, s2, v0
	v_or_b32_e32 v1, 0x200, v0
	global_load_b32 v6, v2, s[10:11] offset:1024 scale_offset
	v_cmp_gt_u32_e32 vcc_lo, s5, v1
	v_mov_b32_e32 v1, 0
	s_wait_xcnt 0x0
	s_and_saveexec_b32 s14, vcc_lo
	s_cbranch_execz .LBB3_20
; %bb.17:
	v_lshl_add_u64 v[4:5], v[2:3], 2, s[10:11]
	v_or_b32_e32 v1, 0x300, v0
	s_mov_b32 s10, exec_lo
	global_load_b32 v2, v[4:5], off offset:2048
	s_wait_xcnt 0x0
	v_cmpx_gt_u32_e64 s5, v1
	s_cbranch_execz .LBB3_19
; %bb.18:
	global_load_b32 v3, v[4:5], off offset:3072
.LBB3_19:
	s_wait_xcnt 0x0
	s_or_b32 exec_lo, exec_lo, s10
	s_wait_loadcnt 0x0
	v_dual_mov_b32 v1, v3 :: v_dual_mov_b32 v3, v2
.LBB3_20:
	s_or_b32 exec_lo, exec_lo, s14
.LBB3_21:
	s_delay_alu instid0(SALU_CYCLE_1)
	s_or_b32 exec_lo, exec_lo, s12
.LBB3_22:
	s_delay_alu instid0(SALU_CYCLE_1)
	s_or_b32 exec_lo, exec_lo, s0
	s_cmp_lg_u64 s[8:9], 0
	s_mov_b32 s10, 0
	s_cselect_b32 s14, -1, 0
	s_and_saveexec_b32 s8, s3
	s_cbranch_execz .LBB3_24
; %bb.23:
	s_wait_loadcnt 0x0
	v_cmp_le_i32_e32 vcc_lo, s16, v8
	v_cmp_gt_i32_e64 s0, s4, v8
	s_and_not1_b32 s9, s13, exec_lo
	s_mov_b32 s10, exec_lo
	s_and_b32 s0, vcc_lo, s0
	s_delay_alu instid0(SALU_CYCLE_1) | instskip(NEXT) | instid1(SALU_CYCLE_1)
	s_and_b32 s0, s14, s0
	s_and_b32 s0, s0, exec_lo
	s_delay_alu instid0(SALU_CYCLE_1)
	s_or_b32 s13, s9, s0
.LBB3_24:
	s_or_b32 exec_lo, exec_lo, s8
                                        ; implicit-def: $sgpr8
                                        ; implicit-def: $sgpr9
                                        ; implicit-def: $sgpr11
	s_and_saveexec_b32 s12, s13
	s_cbranch_execz .LBB3_46
; %bb.25:
	v_cmp_le_i32_e64 s18, s5, v7
	v_cmp_gt_i32_e64 s8, s5, v7
	s_mov_b32 s13, 0
	s_and_saveexec_b32 s9, s8
	s_cbranch_execz .LBB3_27
; %bb.26:
	s_wait_loadcnt 0x0
	v_cmp_le_i32_e32 vcc_lo, s16, v6
	v_cmp_gt_i32_e64 s0, s4, v6
	s_and_not1_b32 s11, s18, exec_lo
	s_mov_b32 s13, exec_lo
	s_and_b32 s0, vcc_lo, s0
	s_delay_alu instid0(SALU_CYCLE_1) | instskip(NEXT) | instid1(SALU_CYCLE_1)
	s_and_b32 s0, s14, s0
	s_and_b32 s0, s0, exec_lo
	s_delay_alu instid0(SALU_CYCLE_1)
	s_or_b32 s18, s11, s0
.LBB3_27:
	s_or_b32 exec_lo, exec_lo, s9
                                        ; implicit-def: $sgpr9
                                        ; implicit-def: $sgpr11
	s_and_saveexec_b32 s15, s18
	s_cbranch_execz .LBB3_35
; %bb.28:
	v_or_b32_e32 v2, 0x200, v0
	s_mov_b32 s18, 0
	s_delay_alu instid0(VALU_DEP_1)
	v_cmp_le_i32_e64 s20, s5, v2
	v_cmp_gt_i32_e64 s9, s5, v2
	s_and_saveexec_b32 s11, s9
; %bb.29:
	v_cmp_le_i32_e32 vcc_lo, s16, v3
	v_cmp_gt_i32_e64 s0, s4, v3
	s_and_not1_b32 s19, s20, exec_lo
	s_mov_b32 s17, exec_lo
	s_and_b32 s0, vcc_lo, s0
	s_delay_alu instid0(SALU_CYCLE_1) | instskip(NEXT) | instid1(SALU_CYCLE_1)
	s_and_b32 s0, s14, s0
	s_and_b32 s0, s0, exec_lo
	s_delay_alu instid0(SALU_CYCLE_1)
	s_or_b32 s20, s19, s0
; %bb.30:
	s_or_b32 exec_lo, exec_lo, s11
                                        ; implicit-def: $sgpr11
	s_and_saveexec_b32 s19, s20
	s_cbranch_execz .LBB3_34
; %bb.31:
	v_or_b32_e32 v2, 0x300, v0
	s_mov_b32 s0, 0
	s_delay_alu instid0(VALU_DEP_1) | instskip(SKIP_2) | instid1(SALU_CYCLE_1)
	v_cmp_le_i32_e64 s18, s5, v2
	v_cmp_gt_i32_e64 s11, s5, v2
	s_and_saveexec_b32 s5, s11
	s_xor_b32 s5, exec_lo, s5
; %bb.32:
	v_cmp_le_i32_e32 vcc_lo, s16, v1
	v_cmp_gt_i32_e64 s0, s4, v1
	s_or_b32 s18, s18, exec_lo
	s_and_b32 s0, vcc_lo, s0
	s_delay_alu instid0(SALU_CYCLE_1) | instskip(NEXT) | instid1(SALU_CYCLE_1)
	s_and_b32 s0, s14, s0
	s_xor_b32 s0, s0, -1
	s_delay_alu instid0(SALU_CYCLE_1)
	s_and_b32 s0, s0, exec_lo
; %bb.33:
	s_or_b32 exec_lo, exec_lo, s5
	s_delay_alu instid0(SALU_CYCLE_1)
	s_and_not1_b32 s4, s17, exec_lo
	s_and_b32 s0, s0, exec_lo
	s_and_b32 s18, s18, exec_lo
	s_or_b32 s17, s4, s0
.LBB3_34:
	s_or_b32 exec_lo, exec_lo, s19
	s_delay_alu instid0(SALU_CYCLE_1)
	s_and_not1_b32 s0, s13, exec_lo
	s_and_b32 s4, s17, exec_lo
	s_and_b32 s17, s18, exec_lo
	s_or_b32 s13, s0, s4
.LBB3_35:
	s_or_b32 exec_lo, exec_lo, s15
	s_delay_alu instid0(SALU_CYCLE_1)
	s_and_not1_b32 s0, s10, exec_lo
	s_and_b32 s4, s13, exec_lo
	s_and_b32 s17, s17, exec_lo
	s_or_b32 s10, s0, s4
	s_or_b32 exec_lo, exec_lo, s12
	s_and_saveexec_b32 s0, s10
	s_cbranch_execz .LBB3_47
.LBB3_36:
	s_and_not1_b32 s17, s17, exec_lo
	s_or_b32 s1, s1, exec_lo
	s_trap 2
	s_or_b32 exec_lo, exec_lo, s0
	s_and_saveexec_b32 s0, s1
	s_cbranch_execnz .LBB3_38
	s_branch .LBB3_39
.LBB3_37:
                                        ; implicit-def: $sgpr3
                                        ; implicit-def: $sgpr8
                                        ; implicit-def: $sgpr9
                                        ; implicit-def: $sgpr11
                                        ; implicit-def: $vgpr0
	s_and_saveexec_b32 s0, s1
.LBB3_38:
	; divergent unreachable
.LBB3_39:
	s_delay_alu instid0(SALU_CYCLE_1)
	s_or_b32 exec_lo, exec_lo, s0
	s_and_saveexec_b32 s0, s17
	s_cbranch_execz .LBB3_45
; %bb.40:
	s_and_b32 exec_lo, exec_lo, s3
	s_cbranch_execz .LBB3_45
; %bb.41:
	v_dual_mov_b32 v1, 0 :: v_dual_bitop2_b32 v2, s2, v0 bitop3:0x54
	global_store_b32 v2, v1, s[6:7] scale_offset
	s_wait_xcnt 0x0
	s_and_b32 exec_lo, exec_lo, s8
	s_cbranch_execz .LBB3_45
; %bb.42:
	v_add_nc_u32_e32 v0, s2, v0
	global_store_b32 v0, v1, s[6:7] offset:1024 scale_offset
	s_wait_xcnt 0x0
	s_and_b32 exec_lo, exec_lo, s9
	s_cbranch_execz .LBB3_45
; %bb.43:
	v_lshl_add_u64 v[0:1], v[0:1], 2, s[6:7]
	v_mov_b32_e32 v2, 0
	global_store_b32 v[0:1], v2, off offset:2048
	s_wait_xcnt 0x0
	s_and_b32 exec_lo, exec_lo, s11
	s_cbranch_execz .LBB3_45
; %bb.44:
	global_store_b32 v[0:1], v2, off offset:3072
.LBB3_45:
	s_endpgm
.LBB3_46:
	s_or_b32 exec_lo, exec_lo, s12
	s_and_saveexec_b32 s0, s10
	s_cbranch_execnz .LBB3_36
.LBB3_47:
	s_or_b32 exec_lo, exec_lo, s0
	s_and_saveexec_b32 s0, s1
	s_cbranch_execnz .LBB3_38
	s_branch .LBB3_39
.LBB3_48:
	s_mov_b32 s1, exec_lo
	s_trap 2
	s_branch .LBB3_12
	.section	.rodata,"a",@progbits
	.p2align	6, 0x0
	.amdhsa_kernel _ZN2at6native29vectorized_elementwise_kernelILi2EZZZNS0_12_GLOBAL__N_142_validate_compressed_sparse_indices_kernelILNS2_8CDimNameE0ENS2_18CUDAKernelLauncherENS2_14EmptyVecKernelENS2_8DummyVecELm8EEEvRKNS_6TensorESA_lllENKUlvE0_clEvENKUlvE_clEvEUliE_St5arrayIPcLm2EEEEviT0_T1_
		.amdhsa_group_segment_fixed_size 0
		.amdhsa_private_segment_fixed_size 0
		.amdhsa_kernarg_size 40
		.amdhsa_user_sgpr_count 2
		.amdhsa_user_sgpr_dispatch_ptr 0
		.amdhsa_user_sgpr_queue_ptr 0
		.amdhsa_user_sgpr_kernarg_segment_ptr 1
		.amdhsa_user_sgpr_dispatch_id 0
		.amdhsa_user_sgpr_kernarg_preload_length 0
		.amdhsa_user_sgpr_kernarg_preload_offset 0
		.amdhsa_user_sgpr_private_segment_size 0
		.amdhsa_wavefront_size32 1
		.amdhsa_uses_dynamic_stack 0
		.amdhsa_enable_private_segment 0
		.amdhsa_system_sgpr_workgroup_id_x 1
		.amdhsa_system_sgpr_workgroup_id_y 0
		.amdhsa_system_sgpr_workgroup_id_z 0
		.amdhsa_system_sgpr_workgroup_info 0
		.amdhsa_system_vgpr_workitem_id 0
		.amdhsa_next_free_vgpr 9
		.amdhsa_next_free_sgpr 22
		.amdhsa_named_barrier_count 0
		.amdhsa_reserve_vcc 1
		.amdhsa_float_round_mode_32 0
		.amdhsa_float_round_mode_16_64 0
		.amdhsa_float_denorm_mode_32 3
		.amdhsa_float_denorm_mode_16_64 3
		.amdhsa_fp16_overflow 0
		.amdhsa_memory_ordered 1
		.amdhsa_forward_progress 1
		.amdhsa_inst_pref_size 11
		.amdhsa_round_robin_scheduling 0
		.amdhsa_exception_fp_ieee_invalid_op 0
		.amdhsa_exception_fp_denorm_src 0
		.amdhsa_exception_fp_ieee_div_zero 0
		.amdhsa_exception_fp_ieee_overflow 0
		.amdhsa_exception_fp_ieee_underflow 0
		.amdhsa_exception_fp_ieee_inexact 0
		.amdhsa_exception_int_div_zero 0
	.end_amdhsa_kernel
	.section	.text._ZN2at6native29vectorized_elementwise_kernelILi2EZZZNS0_12_GLOBAL__N_142_validate_compressed_sparse_indices_kernelILNS2_8CDimNameE0ENS2_18CUDAKernelLauncherENS2_14EmptyVecKernelENS2_8DummyVecELm8EEEvRKNS_6TensorESA_lllENKUlvE0_clEvENKUlvE_clEvEUliE_St5arrayIPcLm2EEEEviT0_T1_,"axG",@progbits,_ZN2at6native29vectorized_elementwise_kernelILi2EZZZNS0_12_GLOBAL__N_142_validate_compressed_sparse_indices_kernelILNS2_8CDimNameE0ENS2_18CUDAKernelLauncherENS2_14EmptyVecKernelENS2_8DummyVecELm8EEEvRKNS_6TensorESA_lllENKUlvE0_clEvENKUlvE_clEvEUliE_St5arrayIPcLm2EEEEviT0_T1_,comdat
.Lfunc_end3:
	.size	_ZN2at6native29vectorized_elementwise_kernelILi2EZZZNS0_12_GLOBAL__N_142_validate_compressed_sparse_indices_kernelILNS2_8CDimNameE0ENS2_18CUDAKernelLauncherENS2_14EmptyVecKernelENS2_8DummyVecELm8EEEvRKNS_6TensorESA_lllENKUlvE0_clEvENKUlvE_clEvEUliE_St5arrayIPcLm2EEEEviT0_T1_, .Lfunc_end3-_ZN2at6native29vectorized_elementwise_kernelILi2EZZZNS0_12_GLOBAL__N_142_validate_compressed_sparse_indices_kernelILNS2_8CDimNameE0ENS2_18CUDAKernelLauncherENS2_14EmptyVecKernelENS2_8DummyVecELm8EEEvRKNS_6TensorESA_lllENKUlvE0_clEvENKUlvE_clEvEUliE_St5arrayIPcLm2EEEEviT0_T1_
                                        ; -- End function
	.set _ZN2at6native29vectorized_elementwise_kernelILi2EZZZNS0_12_GLOBAL__N_142_validate_compressed_sparse_indices_kernelILNS2_8CDimNameE0ENS2_18CUDAKernelLauncherENS2_14EmptyVecKernelENS2_8DummyVecELm8EEEvRKNS_6TensorESA_lllENKUlvE0_clEvENKUlvE_clEvEUliE_St5arrayIPcLm2EEEEviT0_T1_.num_vgpr, 9
	.set _ZN2at6native29vectorized_elementwise_kernelILi2EZZZNS0_12_GLOBAL__N_142_validate_compressed_sparse_indices_kernelILNS2_8CDimNameE0ENS2_18CUDAKernelLauncherENS2_14EmptyVecKernelENS2_8DummyVecELm8EEEvRKNS_6TensorESA_lllENKUlvE0_clEvENKUlvE_clEvEUliE_St5arrayIPcLm2EEEEviT0_T1_.num_agpr, 0
	.set _ZN2at6native29vectorized_elementwise_kernelILi2EZZZNS0_12_GLOBAL__N_142_validate_compressed_sparse_indices_kernelILNS2_8CDimNameE0ENS2_18CUDAKernelLauncherENS2_14EmptyVecKernelENS2_8DummyVecELm8EEEvRKNS_6TensorESA_lllENKUlvE0_clEvENKUlvE_clEvEUliE_St5arrayIPcLm2EEEEviT0_T1_.numbered_sgpr, 22
	.set _ZN2at6native29vectorized_elementwise_kernelILi2EZZZNS0_12_GLOBAL__N_142_validate_compressed_sparse_indices_kernelILNS2_8CDimNameE0ENS2_18CUDAKernelLauncherENS2_14EmptyVecKernelENS2_8DummyVecELm8EEEvRKNS_6TensorESA_lllENKUlvE0_clEvENKUlvE_clEvEUliE_St5arrayIPcLm2EEEEviT0_T1_.num_named_barrier, 0
	.set _ZN2at6native29vectorized_elementwise_kernelILi2EZZZNS0_12_GLOBAL__N_142_validate_compressed_sparse_indices_kernelILNS2_8CDimNameE0ENS2_18CUDAKernelLauncherENS2_14EmptyVecKernelENS2_8DummyVecELm8EEEvRKNS_6TensorESA_lllENKUlvE0_clEvENKUlvE_clEvEUliE_St5arrayIPcLm2EEEEviT0_T1_.private_seg_size, 0
	.set _ZN2at6native29vectorized_elementwise_kernelILi2EZZZNS0_12_GLOBAL__N_142_validate_compressed_sparse_indices_kernelILNS2_8CDimNameE0ENS2_18CUDAKernelLauncherENS2_14EmptyVecKernelENS2_8DummyVecELm8EEEvRKNS_6TensorESA_lllENKUlvE0_clEvENKUlvE_clEvEUliE_St5arrayIPcLm2EEEEviT0_T1_.uses_vcc, 1
	.set _ZN2at6native29vectorized_elementwise_kernelILi2EZZZNS0_12_GLOBAL__N_142_validate_compressed_sparse_indices_kernelILNS2_8CDimNameE0ENS2_18CUDAKernelLauncherENS2_14EmptyVecKernelENS2_8DummyVecELm8EEEvRKNS_6TensorESA_lllENKUlvE0_clEvENKUlvE_clEvEUliE_St5arrayIPcLm2EEEEviT0_T1_.uses_flat_scratch, 0
	.set _ZN2at6native29vectorized_elementwise_kernelILi2EZZZNS0_12_GLOBAL__N_142_validate_compressed_sparse_indices_kernelILNS2_8CDimNameE0ENS2_18CUDAKernelLauncherENS2_14EmptyVecKernelENS2_8DummyVecELm8EEEvRKNS_6TensorESA_lllENKUlvE0_clEvENKUlvE_clEvEUliE_St5arrayIPcLm2EEEEviT0_T1_.has_dyn_sized_stack, 0
	.set _ZN2at6native29vectorized_elementwise_kernelILi2EZZZNS0_12_GLOBAL__N_142_validate_compressed_sparse_indices_kernelILNS2_8CDimNameE0ENS2_18CUDAKernelLauncherENS2_14EmptyVecKernelENS2_8DummyVecELm8EEEvRKNS_6TensorESA_lllENKUlvE0_clEvENKUlvE_clEvEUliE_St5arrayIPcLm2EEEEviT0_T1_.has_recursion, 0
	.set _ZN2at6native29vectorized_elementwise_kernelILi2EZZZNS0_12_GLOBAL__N_142_validate_compressed_sparse_indices_kernelILNS2_8CDimNameE0ENS2_18CUDAKernelLauncherENS2_14EmptyVecKernelENS2_8DummyVecELm8EEEvRKNS_6TensorESA_lllENKUlvE0_clEvENKUlvE_clEvEUliE_St5arrayIPcLm2EEEEviT0_T1_.has_indirect_call, 0
	.section	.AMDGPU.csdata,"",@progbits
; Kernel info:
; codeLenInByte = 1400
; TotalNumSgprs: 24
; NumVgprs: 9
; ScratchSize: 0
; MemoryBound: 0
; FloatMode: 240
; IeeeMode: 1
; LDSByteSize: 0 bytes/workgroup (compile time only)
; SGPRBlocks: 0
; VGPRBlocks: 0
; NumSGPRsForWavesPerEU: 24
; NumVGPRsForWavesPerEU: 9
; NamedBarCnt: 0
; Occupancy: 16
; WaveLimiterHint : 1
; COMPUTE_PGM_RSRC2:SCRATCH_EN: 0
; COMPUTE_PGM_RSRC2:USER_SGPR: 2
; COMPUTE_PGM_RSRC2:TRAP_HANDLER: 0
; COMPUTE_PGM_RSRC2:TGID_X_EN: 1
; COMPUTE_PGM_RSRC2:TGID_Y_EN: 0
; COMPUTE_PGM_RSRC2:TGID_Z_EN: 0
; COMPUTE_PGM_RSRC2:TIDIG_COMP_CNT: 0
	.section	.text._ZN2at6native27unrolled_elementwise_kernelIZZZNS0_12_GLOBAL__N_142_validate_compressed_sparse_indices_kernelILNS2_8CDimNameE0ENS2_18CUDAKernelLauncherENS2_14EmptyVecKernelENS2_8DummyVecELm8EEEvRKNS_6TensorESA_lllENKUlvE0_clEvENKUlvE_clEvEUliE_St5arrayIPcLm2EELi4E23TrivialOffsetCalculatorILi1EjESI_NS0_6memory15LoadWithoutCastENSJ_16StoreWithoutCastEEEviT_T0_T2_T3_T4_T5_,"axG",@progbits,_ZN2at6native27unrolled_elementwise_kernelIZZZNS0_12_GLOBAL__N_142_validate_compressed_sparse_indices_kernelILNS2_8CDimNameE0ENS2_18CUDAKernelLauncherENS2_14EmptyVecKernelENS2_8DummyVecELm8EEEvRKNS_6TensorESA_lllENKUlvE0_clEvENKUlvE_clEvEUliE_St5arrayIPcLm2EELi4E23TrivialOffsetCalculatorILi1EjESI_NS0_6memory15LoadWithoutCastENSJ_16StoreWithoutCastEEEviT_T0_T2_T3_T4_T5_,comdat
	.globl	_ZN2at6native27unrolled_elementwise_kernelIZZZNS0_12_GLOBAL__N_142_validate_compressed_sparse_indices_kernelILNS2_8CDimNameE0ENS2_18CUDAKernelLauncherENS2_14EmptyVecKernelENS2_8DummyVecELm8EEEvRKNS_6TensorESA_lllENKUlvE0_clEvENKUlvE_clEvEUliE_St5arrayIPcLm2EELi4E23TrivialOffsetCalculatorILi1EjESI_NS0_6memory15LoadWithoutCastENSJ_16StoreWithoutCastEEEviT_T0_T2_T3_T4_T5_ ; -- Begin function _ZN2at6native27unrolled_elementwise_kernelIZZZNS0_12_GLOBAL__N_142_validate_compressed_sparse_indices_kernelILNS2_8CDimNameE0ENS2_18CUDAKernelLauncherENS2_14EmptyVecKernelENS2_8DummyVecELm8EEEvRKNS_6TensorESA_lllENKUlvE0_clEvENKUlvE_clEvEUliE_St5arrayIPcLm2EELi4E23TrivialOffsetCalculatorILi1EjESI_NS0_6memory15LoadWithoutCastENSJ_16StoreWithoutCastEEEviT_T0_T2_T3_T4_T5_
	.p2align	8
	.type	_ZN2at6native27unrolled_elementwise_kernelIZZZNS0_12_GLOBAL__N_142_validate_compressed_sparse_indices_kernelILNS2_8CDimNameE0ENS2_18CUDAKernelLauncherENS2_14EmptyVecKernelENS2_8DummyVecELm8EEEvRKNS_6TensorESA_lllENKUlvE0_clEvENKUlvE_clEvEUliE_St5arrayIPcLm2EELi4E23TrivialOffsetCalculatorILi1EjESI_NS0_6memory15LoadWithoutCastENSJ_16StoreWithoutCastEEEviT_T0_T2_T3_T4_T5_,@function
_ZN2at6native27unrolled_elementwise_kernelIZZZNS0_12_GLOBAL__N_142_validate_compressed_sparse_indices_kernelILNS2_8CDimNameE0ENS2_18CUDAKernelLauncherENS2_14EmptyVecKernelENS2_8DummyVecELm8EEEvRKNS_6TensorESA_lllENKUlvE0_clEvENKUlvE_clEvEUliE_St5arrayIPcLm2EELi4E23TrivialOffsetCalculatorILi1EjESI_NS0_6memory15LoadWithoutCastENSJ_16StoreWithoutCastEEEviT_T0_T2_T3_T4_T5_: ; @_ZN2at6native27unrolled_elementwise_kernelIZZZNS0_12_GLOBAL__N_142_validate_compressed_sparse_indices_kernelILNS2_8CDimNameE0ENS2_18CUDAKernelLauncherENS2_14EmptyVecKernelENS2_8DummyVecELm8EEEvRKNS_6TensorESA_lllENKUlvE0_clEvENKUlvE_clEvEUliE_St5arrayIPcLm2EELi4E23TrivialOffsetCalculatorILi1EjESI_NS0_6memory15LoadWithoutCastENSJ_16StoreWithoutCastEEEviT_T0_T2_T3_T4_T5_
; %bb.0:
	s_load_b32 s2, s[0:1], 0x0
	s_bfe_u32 s3, ttmp6, 0x4000c
	s_clause 0x1
	s_load_b128 s[4:7], s[0:1], 0x10
	s_load_b64 s[8:9], s[0:1], 0x20
	s_add_co_i32 s3, s3, 1
	s_wait_kmcnt 0x0
	s_and_b32 s5, ttmp6, 15
	s_mul_i32 s3, ttmp9, s3
	s_getreg_b32 s10, hwreg(HW_REG_IB_STS2, 6, 4)
	s_add_co_i32 s5, s5, s3
	s_cmp_eq_u32 s10, 0
	v_dual_mov_b32 v2, 0 :: v_dual_mov_b32 v5, 0
	s_cselect_b32 s3, ttmp9, s5
	v_dual_mov_b32 v6, 0 :: v_dual_mov_b32 v3, 0
	s_lshl_b32 s3, s3, 10
	v_or_b32_e32 v1, 0x100, v0
	s_mov_b32 s5, 0
	s_sub_co_i32 s10, s2, s3
	s_delay_alu instid0(SALU_CYCLE_1)
	v_cmp_le_i32_e64 s12, s10, v0
	v_cmp_gt_i32_e32 vcc_lo, s10, v0
	s_and_saveexec_b32 s11, vcc_lo
	s_cbranch_execz .LBB4_8
; %bb.1:
	v_dual_mov_b32 v6, 0 :: v_dual_bitop2_b32 v2, s3, v0 bitop3:0x54
	v_or_b32_e32 v4, 0x100, v0
	v_mov_b32_e32 v5, 0
	s_mov_b32 s13, exec_lo
	global_load_b32 v3, v2, s[8:9] scale_offset
	s_wait_xcnt 0x0
	v_mov_b32_e32 v2, 0
	v_cmpx_gt_u32_e64 s10, v4
	s_cbranch_execz .LBB4_7
; %bb.2:
	v_dual_mov_b32 v5, 0 :: v_dual_add_nc_u32 v2, s3, v4
	v_or_b32_e32 v4, 0x200, v0
	s_mov_b32 s14, exec_lo
	global_load_b32 v6, v2, s[8:9] scale_offset
	s_wait_xcnt 0x0
	v_mov_b32_e32 v2, 0
	v_cmpx_gt_u32_e64 s10, v4
	s_cbranch_execz .LBB4_6
; %bb.3:
	v_add_nc_u32_e32 v2, s3, v4
	v_or_b32_e32 v4, 0x300, v0
	s_mov_b32 s15, exec_lo
	global_load_b32 v5, v2, s[8:9] scale_offset
	s_wait_xcnt 0x0
	v_mov_b32_e32 v2, 0
	v_cmpx_gt_u32_e64 s10, v4
	s_cbranch_execz .LBB4_5
; %bb.4:
	v_add_nc_u32_e32 v2, s3, v4
	global_load_b32 v2, v2, s[8:9] scale_offset
.LBB4_5:
	s_wait_xcnt 0x0
	s_or_b32 exec_lo, exec_lo, s15
.LBB4_6:
	s_delay_alu instid0(SALU_CYCLE_1)
	s_or_b32 exec_lo, exec_lo, s14
.LBB4_7:
	s_delay_alu instid0(SALU_CYCLE_1)
	s_or_b32 exec_lo, exec_lo, s13
.LBB4_8:
	s_delay_alu instid0(SALU_CYCLE_1) | instskip(SKIP_4) | instid1(SALU_CYCLE_1)
	s_or_b32 exec_lo, exec_lo, s11
	s_load_b32 s13, s[0:1], 0x8
	s_wait_xcnt 0x0
	s_get_pc_i64 s[0:1]
	s_add_nc_u64 s[0:1], s[0:1], .str@rel64+4
	s_cmp_lg_u64 s[0:1], 0
	s_cselect_b32 s14, -1, 0
	s_and_saveexec_b32 s2, vcc_lo
	s_cbranch_execz .LBB4_10
; %bb.9:
	s_wait_loadcnt 0x0
	s_wait_kmcnt 0x0
	v_cmp_le_i32_e64 s0, s13, v3
	v_cmp_gt_i32_e64 s1, s4, v3
	s_mov_b32 s5, exec_lo
	s_and_b32 s0, s0, s1
	s_and_not1_b32 s1, s12, exec_lo
	s_and_b32 s0, s14, s0
	s_delay_alu instid0(SALU_CYCLE_1) | instskip(NEXT) | instid1(SALU_CYCLE_1)
	s_and_b32 s0, s0, exec_lo
	s_or_b32 s12, s1, s0
.LBB4_10:
	s_or_b32 exec_lo, exec_lo, s2
	s_mov_b32 s0, 0
                                        ; implicit-def: $sgpr2
                                        ; implicit-def: $sgpr8
                                        ; implicit-def: $sgpr9
                                        ; implicit-def: $vgpr4
                                        ; implicit-def: $vgpr3
	s_and_saveexec_b32 s11, s12
	s_cbranch_execz .LBB4_23
; %bb.11:
	v_cmp_le_i32_e64 s17, s10, v1
	v_cmp_gt_i32_e64 s2, s10, v1
	s_mov_b32 s16, 0
	s_mov_b32 s12, 0
	s_and_saveexec_b32 s8, s2
	s_cbranch_execz .LBB4_13
; %bb.12:
	s_wait_loadcnt 0x0
	s_wait_kmcnt 0x0
	v_cmp_le_i32_e64 s0, s13, v6
	v_cmp_gt_i32_e64 s1, s4, v6
	s_mov_b32 s12, exec_lo
	s_and_b32 s0, s0, s1
	s_and_not1_b32 s1, s17, exec_lo
	s_and_b32 s0, s14, s0
	s_delay_alu instid0(SALU_CYCLE_1) | instskip(NEXT) | instid1(SALU_CYCLE_1)
	s_and_b32 s0, s0, exec_lo
	s_or_b32 s17, s1, s0
.LBB4_13:
	s_or_b32 exec_lo, exec_lo, s8
                                        ; implicit-def: $sgpr8
                                        ; implicit-def: $sgpr9
                                        ; implicit-def: $vgpr4
                                        ; implicit-def: $vgpr3
	s_and_saveexec_b32 s15, s17
	s_cbranch_execz .LBB4_21
; %bb.14:
	s_wait_loadcnt 0x0
	v_or_b32_e32 v3, 0x200, v0
	s_mov_b32 s17, 0
	s_delay_alu instid0(VALU_DEP_1)
	v_cmp_le_i32_e64 s19, s10, v3
	v_cmp_gt_i32_e64 s8, s10, v3
	s_and_saveexec_b32 s9, s8
	s_cbranch_execz .LBB4_16
; %bb.15:
	s_wait_kmcnt 0x0
	v_cmp_le_i32_e64 s0, s13, v5
	v_cmp_gt_i32_e64 s1, s4, v5
	s_mov_b32 s16, exec_lo
	s_and_b32 s0, s0, s1
	s_and_not1_b32 s1, s19, exec_lo
	s_and_b32 s0, s14, s0
	s_delay_alu instid0(SALU_CYCLE_1) | instskip(NEXT) | instid1(SALU_CYCLE_1)
	s_and_b32 s0, s0, exec_lo
	s_or_b32 s19, s1, s0
.LBB4_16:
	s_or_b32 exec_lo, exec_lo, s9
                                        ; implicit-def: $sgpr9
                                        ; implicit-def: $vgpr4
	s_and_saveexec_b32 s18, s19
	s_cbranch_execz .LBB4_20
; %bb.17:
	v_or_b32_e32 v4, 0x300, v0
	s_mov_b32 s0, 0
	s_delay_alu instid0(VALU_DEP_1) | instskip(SKIP_2) | instid1(SALU_CYCLE_1)
	v_cmp_le_i32_e64 s17, s10, v4
	v_cmp_gt_i32_e64 s9, s10, v4
	s_and_saveexec_b32 s1, s9
	s_xor_b32 s10, exec_lo, s1
	s_cbranch_execz .LBB4_19
; %bb.18:
	s_wait_kmcnt 0x0
	v_cmp_le_i32_e64 s0, s13, v2
	v_cmp_gt_i32_e64 s1, s4, v2
	s_or_b32 s17, s17, exec_lo
	s_and_b32 s0, s0, s1
	s_delay_alu instid0(SALU_CYCLE_1) | instskip(NEXT) | instid1(SALU_CYCLE_1)
	s_and_b32 s0, s14, s0
	s_xor_b32 s0, s0, -1
	s_delay_alu instid0(SALU_CYCLE_1)
	s_and_b32 s0, s0, exec_lo
.LBB4_19:
	s_or_b32 exec_lo, exec_lo, s10
	s_delay_alu instid0(SALU_CYCLE_1)
	s_and_not1_b32 s1, s16, exec_lo
	s_and_b32 s0, s0, exec_lo
	s_and_b32 s17, s17, exec_lo
	s_or_b32 s16, s1, s0
.LBB4_20:
	s_or_b32 exec_lo, exec_lo, s18
	s_delay_alu instid0(SALU_CYCLE_1)
	s_and_not1_b32 s0, s12, exec_lo
	s_and_b32 s1, s16, exec_lo
	s_and_b32 s16, s17, exec_lo
	s_or_b32 s12, s0, s1
.LBB4_21:
	s_or_b32 exec_lo, exec_lo, s15
	s_delay_alu instid0(SALU_CYCLE_1)
	s_and_not1_b32 s1, s5, exec_lo
	s_and_b32 s4, s12, exec_lo
	s_and_b32 s0, s16, exec_lo
	s_or_b32 s5, s1, s4
	s_or_b32 exec_lo, exec_lo, s11
	s_and_saveexec_b32 s1, s5
	s_cbranch_execz .LBB4_24
.LBB4_22:
	s_trap 2
	; divergent unreachable
	s_and_not1_b32 s0, s0, exec_lo
	s_or_b32 exec_lo, exec_lo, s1
	s_and_saveexec_b32 s1, s0
	s_cbranch_execnz .LBB4_25
	s_branch .LBB4_30
.LBB4_23:
	s_or_b32 exec_lo, exec_lo, s11
	s_and_saveexec_b32 s1, s5
	s_cbranch_execnz .LBB4_22
.LBB4_24:
	s_or_b32 exec_lo, exec_lo, s1
	s_and_saveexec_b32 s1, s0
	s_cbranch_execz .LBB4_30
.LBB4_25:
	s_and_b32 exec_lo, exec_lo, vcc_lo
	s_cbranch_execz .LBB4_30
; %bb.26:
	s_wait_loadcnt 0x0
	v_dual_mov_b32 v0, 0 :: v_dual_bitop2_b32 v2, s3, v0 bitop3:0x54
	global_store_b32 v2, v0, s[6:7] scale_offset
	s_wait_xcnt 0x0
	s_and_b32 exec_lo, exec_lo, s2
	s_cbranch_execz .LBB4_30
; %bb.27:
	v_add_nc_u32_e32 v1, s3, v1
	global_store_b32 v1, v0, s[6:7] scale_offset
	s_wait_xcnt 0x0
	s_and_b32 exec_lo, exec_lo, s8
	s_cbranch_execz .LBB4_30
; %bb.28:
	v_dual_mov_b32 v0, 0 :: v_dual_add_nc_u32 v1, s3, v3
	global_store_b32 v1, v0, s[6:7] scale_offset
	s_wait_xcnt 0x0
	s_and_b32 exec_lo, exec_lo, s9
	s_cbranch_execz .LBB4_30
; %bb.29:
	v_add_nc_u32_e32 v1, s3, v4
	global_store_b32 v1, v0, s[6:7] scale_offset
	s_endpgm
.LBB4_30:
	s_endpgm
	.section	.rodata,"a",@progbits
	.p2align	6, 0x0
	.amdhsa_kernel _ZN2at6native27unrolled_elementwise_kernelIZZZNS0_12_GLOBAL__N_142_validate_compressed_sparse_indices_kernelILNS2_8CDimNameE0ENS2_18CUDAKernelLauncherENS2_14EmptyVecKernelENS2_8DummyVecELm8EEEvRKNS_6TensorESA_lllENKUlvE0_clEvENKUlvE_clEvEUliE_St5arrayIPcLm2EELi4E23TrivialOffsetCalculatorILi1EjESI_NS0_6memory15LoadWithoutCastENSJ_16StoreWithoutCastEEEviT_T0_T2_T3_T4_T5_
		.amdhsa_group_segment_fixed_size 0
		.amdhsa_private_segment_fixed_size 0
		.amdhsa_kernarg_size 44
		.amdhsa_user_sgpr_count 2
		.amdhsa_user_sgpr_dispatch_ptr 0
		.amdhsa_user_sgpr_queue_ptr 0
		.amdhsa_user_sgpr_kernarg_segment_ptr 1
		.amdhsa_user_sgpr_dispatch_id 0
		.amdhsa_user_sgpr_kernarg_preload_length 0
		.amdhsa_user_sgpr_kernarg_preload_offset 0
		.amdhsa_user_sgpr_private_segment_size 0
		.amdhsa_wavefront_size32 1
		.amdhsa_uses_dynamic_stack 0
		.amdhsa_enable_private_segment 0
		.amdhsa_system_sgpr_workgroup_id_x 1
		.amdhsa_system_sgpr_workgroup_id_y 0
		.amdhsa_system_sgpr_workgroup_id_z 0
		.amdhsa_system_sgpr_workgroup_info 0
		.amdhsa_system_vgpr_workitem_id 0
		.amdhsa_next_free_vgpr 7
		.amdhsa_next_free_sgpr 20
		.amdhsa_named_barrier_count 0
		.amdhsa_reserve_vcc 1
		.amdhsa_float_round_mode_32 0
		.amdhsa_float_round_mode_16_64 0
		.amdhsa_float_denorm_mode_32 3
		.amdhsa_float_denorm_mode_16_64 3
		.amdhsa_fp16_overflow 0
		.amdhsa_memory_ordered 1
		.amdhsa_forward_progress 1
		.amdhsa_inst_pref_size 8
		.amdhsa_round_robin_scheduling 0
		.amdhsa_exception_fp_ieee_invalid_op 0
		.amdhsa_exception_fp_denorm_src 0
		.amdhsa_exception_fp_ieee_div_zero 0
		.amdhsa_exception_fp_ieee_overflow 0
		.amdhsa_exception_fp_ieee_underflow 0
		.amdhsa_exception_fp_ieee_inexact 0
		.amdhsa_exception_int_div_zero 0
	.end_amdhsa_kernel
	.section	.text._ZN2at6native27unrolled_elementwise_kernelIZZZNS0_12_GLOBAL__N_142_validate_compressed_sparse_indices_kernelILNS2_8CDimNameE0ENS2_18CUDAKernelLauncherENS2_14EmptyVecKernelENS2_8DummyVecELm8EEEvRKNS_6TensorESA_lllENKUlvE0_clEvENKUlvE_clEvEUliE_St5arrayIPcLm2EELi4E23TrivialOffsetCalculatorILi1EjESI_NS0_6memory15LoadWithoutCastENSJ_16StoreWithoutCastEEEviT_T0_T2_T3_T4_T5_,"axG",@progbits,_ZN2at6native27unrolled_elementwise_kernelIZZZNS0_12_GLOBAL__N_142_validate_compressed_sparse_indices_kernelILNS2_8CDimNameE0ENS2_18CUDAKernelLauncherENS2_14EmptyVecKernelENS2_8DummyVecELm8EEEvRKNS_6TensorESA_lllENKUlvE0_clEvENKUlvE_clEvEUliE_St5arrayIPcLm2EELi4E23TrivialOffsetCalculatorILi1EjESI_NS0_6memory15LoadWithoutCastENSJ_16StoreWithoutCastEEEviT_T0_T2_T3_T4_T5_,comdat
.Lfunc_end4:
	.size	_ZN2at6native27unrolled_elementwise_kernelIZZZNS0_12_GLOBAL__N_142_validate_compressed_sparse_indices_kernelILNS2_8CDimNameE0ENS2_18CUDAKernelLauncherENS2_14EmptyVecKernelENS2_8DummyVecELm8EEEvRKNS_6TensorESA_lllENKUlvE0_clEvENKUlvE_clEvEUliE_St5arrayIPcLm2EELi4E23TrivialOffsetCalculatorILi1EjESI_NS0_6memory15LoadWithoutCastENSJ_16StoreWithoutCastEEEviT_T0_T2_T3_T4_T5_, .Lfunc_end4-_ZN2at6native27unrolled_elementwise_kernelIZZZNS0_12_GLOBAL__N_142_validate_compressed_sparse_indices_kernelILNS2_8CDimNameE0ENS2_18CUDAKernelLauncherENS2_14EmptyVecKernelENS2_8DummyVecELm8EEEvRKNS_6TensorESA_lllENKUlvE0_clEvENKUlvE_clEvEUliE_St5arrayIPcLm2EELi4E23TrivialOffsetCalculatorILi1EjESI_NS0_6memory15LoadWithoutCastENSJ_16StoreWithoutCastEEEviT_T0_T2_T3_T4_T5_
                                        ; -- End function
	.set _ZN2at6native27unrolled_elementwise_kernelIZZZNS0_12_GLOBAL__N_142_validate_compressed_sparse_indices_kernelILNS2_8CDimNameE0ENS2_18CUDAKernelLauncherENS2_14EmptyVecKernelENS2_8DummyVecELm8EEEvRKNS_6TensorESA_lllENKUlvE0_clEvENKUlvE_clEvEUliE_St5arrayIPcLm2EELi4E23TrivialOffsetCalculatorILi1EjESI_NS0_6memory15LoadWithoutCastENSJ_16StoreWithoutCastEEEviT_T0_T2_T3_T4_T5_.num_vgpr, 7
	.set _ZN2at6native27unrolled_elementwise_kernelIZZZNS0_12_GLOBAL__N_142_validate_compressed_sparse_indices_kernelILNS2_8CDimNameE0ENS2_18CUDAKernelLauncherENS2_14EmptyVecKernelENS2_8DummyVecELm8EEEvRKNS_6TensorESA_lllENKUlvE0_clEvENKUlvE_clEvEUliE_St5arrayIPcLm2EELi4E23TrivialOffsetCalculatorILi1EjESI_NS0_6memory15LoadWithoutCastENSJ_16StoreWithoutCastEEEviT_T0_T2_T3_T4_T5_.num_agpr, 0
	.set _ZN2at6native27unrolled_elementwise_kernelIZZZNS0_12_GLOBAL__N_142_validate_compressed_sparse_indices_kernelILNS2_8CDimNameE0ENS2_18CUDAKernelLauncherENS2_14EmptyVecKernelENS2_8DummyVecELm8EEEvRKNS_6TensorESA_lllENKUlvE0_clEvENKUlvE_clEvEUliE_St5arrayIPcLm2EELi4E23TrivialOffsetCalculatorILi1EjESI_NS0_6memory15LoadWithoutCastENSJ_16StoreWithoutCastEEEviT_T0_T2_T3_T4_T5_.numbered_sgpr, 20
	.set _ZN2at6native27unrolled_elementwise_kernelIZZZNS0_12_GLOBAL__N_142_validate_compressed_sparse_indices_kernelILNS2_8CDimNameE0ENS2_18CUDAKernelLauncherENS2_14EmptyVecKernelENS2_8DummyVecELm8EEEvRKNS_6TensorESA_lllENKUlvE0_clEvENKUlvE_clEvEUliE_St5arrayIPcLm2EELi4E23TrivialOffsetCalculatorILi1EjESI_NS0_6memory15LoadWithoutCastENSJ_16StoreWithoutCastEEEviT_T0_T2_T3_T4_T5_.num_named_barrier, 0
	.set _ZN2at6native27unrolled_elementwise_kernelIZZZNS0_12_GLOBAL__N_142_validate_compressed_sparse_indices_kernelILNS2_8CDimNameE0ENS2_18CUDAKernelLauncherENS2_14EmptyVecKernelENS2_8DummyVecELm8EEEvRKNS_6TensorESA_lllENKUlvE0_clEvENKUlvE_clEvEUliE_St5arrayIPcLm2EELi4E23TrivialOffsetCalculatorILi1EjESI_NS0_6memory15LoadWithoutCastENSJ_16StoreWithoutCastEEEviT_T0_T2_T3_T4_T5_.private_seg_size, 0
	.set _ZN2at6native27unrolled_elementwise_kernelIZZZNS0_12_GLOBAL__N_142_validate_compressed_sparse_indices_kernelILNS2_8CDimNameE0ENS2_18CUDAKernelLauncherENS2_14EmptyVecKernelENS2_8DummyVecELm8EEEvRKNS_6TensorESA_lllENKUlvE0_clEvENKUlvE_clEvEUliE_St5arrayIPcLm2EELi4E23TrivialOffsetCalculatorILi1EjESI_NS0_6memory15LoadWithoutCastENSJ_16StoreWithoutCastEEEviT_T0_T2_T3_T4_T5_.uses_vcc, 1
	.set _ZN2at6native27unrolled_elementwise_kernelIZZZNS0_12_GLOBAL__N_142_validate_compressed_sparse_indices_kernelILNS2_8CDimNameE0ENS2_18CUDAKernelLauncherENS2_14EmptyVecKernelENS2_8DummyVecELm8EEEvRKNS_6TensorESA_lllENKUlvE0_clEvENKUlvE_clEvEUliE_St5arrayIPcLm2EELi4E23TrivialOffsetCalculatorILi1EjESI_NS0_6memory15LoadWithoutCastENSJ_16StoreWithoutCastEEEviT_T0_T2_T3_T4_T5_.uses_flat_scratch, 0
	.set _ZN2at6native27unrolled_elementwise_kernelIZZZNS0_12_GLOBAL__N_142_validate_compressed_sparse_indices_kernelILNS2_8CDimNameE0ENS2_18CUDAKernelLauncherENS2_14EmptyVecKernelENS2_8DummyVecELm8EEEvRKNS_6TensorESA_lllENKUlvE0_clEvENKUlvE_clEvEUliE_St5arrayIPcLm2EELi4E23TrivialOffsetCalculatorILi1EjESI_NS0_6memory15LoadWithoutCastENSJ_16StoreWithoutCastEEEviT_T0_T2_T3_T4_T5_.has_dyn_sized_stack, 0
	.set _ZN2at6native27unrolled_elementwise_kernelIZZZNS0_12_GLOBAL__N_142_validate_compressed_sparse_indices_kernelILNS2_8CDimNameE0ENS2_18CUDAKernelLauncherENS2_14EmptyVecKernelENS2_8DummyVecELm8EEEvRKNS_6TensorESA_lllENKUlvE0_clEvENKUlvE_clEvEUliE_St5arrayIPcLm2EELi4E23TrivialOffsetCalculatorILi1EjESI_NS0_6memory15LoadWithoutCastENSJ_16StoreWithoutCastEEEviT_T0_T2_T3_T4_T5_.has_recursion, 0
	.set _ZN2at6native27unrolled_elementwise_kernelIZZZNS0_12_GLOBAL__N_142_validate_compressed_sparse_indices_kernelILNS2_8CDimNameE0ENS2_18CUDAKernelLauncherENS2_14EmptyVecKernelENS2_8DummyVecELm8EEEvRKNS_6TensorESA_lllENKUlvE0_clEvENKUlvE_clEvEUliE_St5arrayIPcLm2EELi4E23TrivialOffsetCalculatorILi1EjESI_NS0_6memory15LoadWithoutCastENSJ_16StoreWithoutCastEEEviT_T0_T2_T3_T4_T5_.has_indirect_call, 0
	.section	.AMDGPU.csdata,"",@progbits
; Kernel info:
; codeLenInByte = 1004
; TotalNumSgprs: 22
; NumVgprs: 7
; ScratchSize: 0
; MemoryBound: 0
; FloatMode: 240
; IeeeMode: 1
; LDSByteSize: 0 bytes/workgroup (compile time only)
; SGPRBlocks: 0
; VGPRBlocks: 0
; NumSGPRsForWavesPerEU: 22
; NumVGPRsForWavesPerEU: 7
; NamedBarCnt: 0
; Occupancy: 16
; WaveLimiterHint : 0
; COMPUTE_PGM_RSRC2:SCRATCH_EN: 0
; COMPUTE_PGM_RSRC2:USER_SGPR: 2
; COMPUTE_PGM_RSRC2:TRAP_HANDLER: 0
; COMPUTE_PGM_RSRC2:TGID_X_EN: 1
; COMPUTE_PGM_RSRC2:TGID_Y_EN: 0
; COMPUTE_PGM_RSRC2:TGID_Z_EN: 0
; COMPUTE_PGM_RSRC2:TIDIG_COMP_CNT: 0
	.section	.text._ZN2at6native32elementwise_kernel_manual_unrollILi128ELi4EZNS0_22gpu_kernel_impl_nocastIZZZNS0_12_GLOBAL__N_142_validate_compressed_sparse_indices_kernelILNS3_8CDimNameE0ENS3_18CUDAKernelLauncherENS3_14EmptyVecKernelENS3_8DummyVecELm8EEEvRKNS_6TensorESB_lllENKUlvE0_clEvENKUlvE_clEvEUliE_EEvRNS_18TensorIteratorBaseERKT_EUlibE_EEviT1_,"axG",@progbits,_ZN2at6native32elementwise_kernel_manual_unrollILi128ELi4EZNS0_22gpu_kernel_impl_nocastIZZZNS0_12_GLOBAL__N_142_validate_compressed_sparse_indices_kernelILNS3_8CDimNameE0ENS3_18CUDAKernelLauncherENS3_14EmptyVecKernelENS3_8DummyVecELm8EEEvRKNS_6TensorESB_lllENKUlvE0_clEvENKUlvE_clEvEUliE_EEvRNS_18TensorIteratorBaseERKT_EUlibE_EEviT1_,comdat
	.globl	_ZN2at6native32elementwise_kernel_manual_unrollILi128ELi4EZNS0_22gpu_kernel_impl_nocastIZZZNS0_12_GLOBAL__N_142_validate_compressed_sparse_indices_kernelILNS3_8CDimNameE0ENS3_18CUDAKernelLauncherENS3_14EmptyVecKernelENS3_8DummyVecELm8EEEvRKNS_6TensorESB_lllENKUlvE0_clEvENKUlvE_clEvEUliE_EEvRNS_18TensorIteratorBaseERKT_EUlibE_EEviT1_ ; -- Begin function _ZN2at6native32elementwise_kernel_manual_unrollILi128ELi4EZNS0_22gpu_kernel_impl_nocastIZZZNS0_12_GLOBAL__N_142_validate_compressed_sparse_indices_kernelILNS3_8CDimNameE0ENS3_18CUDAKernelLauncherENS3_14EmptyVecKernelENS3_8DummyVecELm8EEEvRKNS_6TensorESB_lllENKUlvE0_clEvENKUlvE_clEvEUliE_EEvRNS_18TensorIteratorBaseERKT_EUlibE_EEviT1_
	.p2align	8
	.type	_ZN2at6native32elementwise_kernel_manual_unrollILi128ELi4EZNS0_22gpu_kernel_impl_nocastIZZZNS0_12_GLOBAL__N_142_validate_compressed_sparse_indices_kernelILNS3_8CDimNameE0ENS3_18CUDAKernelLauncherENS3_14EmptyVecKernelENS3_8DummyVecELm8EEEvRKNS_6TensorESB_lllENKUlvE0_clEvENKUlvE_clEvEUliE_EEvRNS_18TensorIteratorBaseERKT_EUlibE_EEviT1_,@function
_ZN2at6native32elementwise_kernel_manual_unrollILi128ELi4EZNS0_22gpu_kernel_impl_nocastIZZZNS0_12_GLOBAL__N_142_validate_compressed_sparse_indices_kernelILNS3_8CDimNameE0ENS3_18CUDAKernelLauncherENS3_14EmptyVecKernelENS3_8DummyVecELm8EEEvRKNS_6TensorESB_lllENKUlvE0_clEvENKUlvE_clEvEUliE_EEvRNS_18TensorIteratorBaseERKT_EUlibE_EEviT1_: ; @_ZN2at6native32elementwise_kernel_manual_unrollILi128ELi4EZNS0_22gpu_kernel_impl_nocastIZZZNS0_12_GLOBAL__N_142_validate_compressed_sparse_indices_kernelILNS3_8CDimNameE0ENS3_18CUDAKernelLauncherENS3_14EmptyVecKernelENS3_8DummyVecELm8EEEvRKNS_6TensorESB_lllENKUlvE0_clEvENKUlvE_clEvEUliE_EEvRNS_18TensorIteratorBaseERKT_EUlibE_EEviT1_
; %bb.0:
	s_clause 0x1
	s_load_b32 s30, s[0:1], 0x8
	s_load_b32 s40, s[0:1], 0x0
	s_bfe_u32 s2, ttmp6, 0x4000c
	s_and_b32 s3, ttmp6, 15
	s_add_co_i32 s2, s2, 1
	s_getreg_b32 s4, hwreg(HW_REG_IB_STS2, 6, 4)
	s_mul_i32 s2, ttmp9, s2
	s_mov_b32 s33, 0
	s_add_co_i32 s3, s3, s2
	s_cmp_eq_u32 s4, 0
	s_mov_b32 s24, -1
	s_cselect_b32 s2, ttmp9, s3
	s_add_nc_u64 s[16:17], s[0:1], 8
	v_lshl_or_b32 v0, s2, 9, v0
	s_mov_b32 s10, 0
	s_get_pc_i64 s[2:3]
	s_add_nc_u64 s[2:3], s[2:3], .str@rel64+4
	s_wait_xcnt 0x0
	s_mov_b32 s0, exec_lo
	v_or_b32_e32 v1, 0x180, v0
	s_wait_kmcnt 0x0
	s_add_co_i32 s31, s30, -1
	s_delay_alu instid0(SALU_CYCLE_1)
	s_cmp_gt_u32 s31, 1
	s_cselect_b32 s34, -1, 0
	v_cmpx_le_i32_e64 s40, v1
	s_xor_b32 s35, exec_lo, s0
	s_cbranch_execz .LBB5_31
; %bb.1:
	s_clause 0x5
	s_load_b128 s[8:11], s[16:17], 0x4
	s_load_b64 s[0:1], s[16:17], 0x14
	s_load_b32 s36, s[16:17], 0x158
	s_load_b32 s37, s[16:17], 0x160
	s_load_b128 s[12:15], s[16:17], 0xc4
	s_load_b128 s[4:7], s[16:17], 0x148
	s_cmp_lg_u32 s30, 0
	s_mov_b32 s19, 0
	s_cselect_b32 s42, -1, 0
	s_min_u32 s41, s31, 15
	s_cmp_gt_u32 s30, 1
	s_add_nc_u64 s[22:23], s[16:17], 0xc4
	s_cselect_b32 s39, -1, 0
	s_cmp_lg_u64 s[2:3], 0
	s_mov_b32 s21, s19
	s_cselect_b32 s38, -1, 0
	s_mov_b32 s43, exec_lo
	s_wait_kmcnt 0x0
	s_mov_b32 s18, s9
	s_mov_b32 s20, s0
	;; [unrolled: 1-line block ×3, first 2 shown]
	v_cmpx_gt_i32_e64 s40, v0
	s_cbranch_execz .LBB5_7
; %bb.2:
	s_and_not1_b32 vcc_lo, exec_lo, s34
	s_cbranch_vccnz .LBB5_14
; %bb.3:
	s_and_not1_b32 vcc_lo, exec_lo, s42
	s_cbranch_vccnz .LBB5_16
; %bb.4:
	s_add_co_i32 s0, s41, 1
	s_cmp_eq_u32 s31, 2
	s_cbranch_scc1 .LBB5_17
; %bb.5:
	v_dual_mov_b32 v2, 0 :: v_dual_mov_b32 v3, 0
	v_mov_b32_e32 v1, v0
	s_and_b32 s24, s0, 28
	s_mov_b32 s9, 0
	s_mov_b64 s[26:27], s[16:17]
	s_mov_b64 s[28:29], s[22:23]
.LBB5_6:                                ; =>This Inner Loop Header: Depth=1
	s_clause 0x1
	s_load_b256 s[44:51], s[26:27], 0x4
	s_load_b128 s[60:63], s[26:27], 0x24
	s_load_b256 s[52:59], s[28:29], 0x0
	s_add_co_i32 s9, s9, 4
	s_wait_xcnt 0x0
	s_add_nc_u64 s[26:27], s[26:27], 48
	s_cmp_lg_u32 s24, s9
	s_add_nc_u64 s[28:29], s[28:29], 32
	s_wait_kmcnt 0x0
	v_mul_hi_u32 v4, s45, v1
	s_delay_alu instid0(VALU_DEP_1) | instskip(NEXT) | instid1(VALU_DEP_1)
	v_add_nc_u32_e32 v4, v1, v4
	v_lshrrev_b32_e32 v4, s46, v4
	s_delay_alu instid0(VALU_DEP_1) | instskip(NEXT) | instid1(VALU_DEP_1)
	v_mul_hi_u32 v5, s48, v4
	v_add_nc_u32_e32 v5, v4, v5
	s_delay_alu instid0(VALU_DEP_1) | instskip(NEXT) | instid1(VALU_DEP_1)
	v_lshrrev_b32_e32 v5, s49, v5
	v_mul_hi_u32 v6, s51, v5
	s_delay_alu instid0(VALU_DEP_1) | instskip(SKIP_1) | instid1(VALU_DEP_1)
	v_add_nc_u32_e32 v6, v5, v6
	v_mul_lo_u32 v7, v4, s44
	v_sub_nc_u32_e32 v1, v1, v7
	v_mul_lo_u32 v7, v5, s47
	s_delay_alu instid0(VALU_DEP_4) | instskip(NEXT) | instid1(VALU_DEP_3)
	v_lshrrev_b32_e32 v6, s60, v6
	v_mad_u32 v3, v1, s53, v3
	v_mad_u32 v1, v1, s52, v2
	s_delay_alu instid0(VALU_DEP_4) | instskip(NEXT) | instid1(VALU_DEP_4)
	v_sub_nc_u32_e32 v2, v4, v7
	v_mul_hi_u32 v8, s62, v6
	v_mul_lo_u32 v4, v6, s50
	s_delay_alu instid0(VALU_DEP_3) | instskip(SKIP_1) | instid1(VALU_DEP_4)
	v_mad_u32 v3, v2, s55, v3
	v_mad_u32 v2, v2, s54, v1
	v_add_nc_u32_e32 v7, v6, v8
	s_delay_alu instid0(VALU_DEP_1) | instskip(NEXT) | instid1(VALU_DEP_1)
	v_dual_sub_nc_u32 v4, v5, v4 :: v_dual_lshrrev_b32 v1, s63, v7
	v_mad_u32 v3, v4, s57, v3
	s_delay_alu instid0(VALU_DEP_4) | instskip(NEXT) | instid1(VALU_DEP_3)
	v_mad_u32 v2, v4, s56, v2
	v_mul_lo_u32 v5, v1, s61
	s_delay_alu instid0(VALU_DEP_1) | instskip(NEXT) | instid1(VALU_DEP_1)
	v_sub_nc_u32_e32 v4, v6, v5
	v_mad_u32 v3, v4, s59, v3
	s_delay_alu instid0(VALU_DEP_4)
	v_mad_u32 v2, v4, s58, v2
	s_cbranch_scc1 .LBB5_6
	s_branch .LBB5_18
.LBB5_7:
	s_or_b32 exec_lo, exec_lo, s43
                                        ; implicit-def: $vgpr2
	s_and_saveexec_b32 s43, s24
	s_cbranch_execz .LBB5_27
.LBB5_8:
	s_mov_b32 s0, -1
	s_mov_b32 s44, s9
	s_mov_b32 s45, exec_lo
	v_cmpx_gt_i32_e64 s40, v0
	s_cbranch_execz .LBB5_115
; %bb.9:
	s_and_not1_b32 vcc_lo, exec_lo, s34
	s_cbranch_vccnz .LBB5_15
; %bb.10:
	s_and_not1_b32 vcc_lo, exec_lo, s42
	s_cbranch_vccnz .LBB5_104
; %bb.11:
	s_add_co_i32 s0, s41, 1
	s_cmp_eq_u32 s31, 2
	s_cbranch_scc1 .LBB5_105
; %bb.12:
	v_dual_mov_b32 v2, 0 :: v_dual_mov_b32 v3, 0
	v_mov_b32_e32 v1, v0
	s_and_b32 s24, s0, 28
	s_mov_b32 s25, 0
	s_mov_b64 s[26:27], s[16:17]
	s_mov_b64 s[28:29], s[22:23]
.LBB5_13:                               ; =>This Inner Loop Header: Depth=1
	s_clause 0x1
	s_load_b256 s[48:55], s[26:27], 0x4
	s_load_b128 s[64:67], s[26:27], 0x24
	s_load_b256 s[56:63], s[28:29], 0x0
	s_add_co_i32 s25, s25, 4
	s_wait_xcnt 0x0
	s_add_nc_u64 s[26:27], s[26:27], 48
	s_cmp_eq_u32 s24, s25
	s_add_nc_u64 s[28:29], s[28:29], 32
	s_wait_kmcnt 0x0
	v_mul_hi_u32 v4, s49, v1
	s_delay_alu instid0(VALU_DEP_1) | instskip(NEXT) | instid1(VALU_DEP_1)
	v_add_nc_u32_e32 v4, v1, v4
	v_lshrrev_b32_e32 v4, s50, v4
	s_delay_alu instid0(VALU_DEP_1) | instskip(NEXT) | instid1(VALU_DEP_1)
	v_mul_hi_u32 v5, s52, v4
	v_add_nc_u32_e32 v5, v4, v5
	s_delay_alu instid0(VALU_DEP_1) | instskip(NEXT) | instid1(VALU_DEP_1)
	v_lshrrev_b32_e32 v5, s53, v5
	v_mul_hi_u32 v6, s55, v5
	s_delay_alu instid0(VALU_DEP_1) | instskip(SKIP_1) | instid1(VALU_DEP_1)
	v_add_nc_u32_e32 v6, v5, v6
	v_mul_lo_u32 v7, v4, s48
	v_sub_nc_u32_e32 v1, v1, v7
	v_mul_lo_u32 v7, v5, s51
	s_delay_alu instid0(VALU_DEP_4) | instskip(NEXT) | instid1(VALU_DEP_3)
	v_lshrrev_b32_e32 v6, s64, v6
	v_mad_u32 v3, v1, s57, v3
	v_mad_u32 v1, v1, s56, v2
	s_delay_alu instid0(VALU_DEP_4) | instskip(NEXT) | instid1(VALU_DEP_4)
	v_sub_nc_u32_e32 v2, v4, v7
	v_mul_hi_u32 v8, s66, v6
	v_mul_lo_u32 v4, v6, s54
	s_delay_alu instid0(VALU_DEP_3) | instskip(SKIP_1) | instid1(VALU_DEP_4)
	v_mad_u32 v3, v2, s59, v3
	v_mad_u32 v2, v2, s58, v1
	v_add_nc_u32_e32 v7, v6, v8
	s_delay_alu instid0(VALU_DEP_1) | instskip(NEXT) | instid1(VALU_DEP_1)
	v_dual_sub_nc_u32 v4, v5, v4 :: v_dual_lshrrev_b32 v1, s67, v7
	v_mad_u32 v3, v4, s61, v3
	s_delay_alu instid0(VALU_DEP_4) | instskip(NEXT) | instid1(VALU_DEP_3)
	v_mad_u32 v2, v4, s60, v2
	v_mul_lo_u32 v5, v1, s65
	s_delay_alu instid0(VALU_DEP_1) | instskip(NEXT) | instid1(VALU_DEP_1)
	v_sub_nc_u32_e32 v4, v6, v5
	v_mad_u32 v3, v4, s63, v3
	s_delay_alu instid0(VALU_DEP_4)
	v_mad_u32 v2, v4, s62, v2
	s_cbranch_scc0 .LBB5_13
	s_branch .LBB5_106
.LBB5_14:
                                        ; implicit-def: $vgpr3
	s_branch .LBB5_22
.LBB5_15:
                                        ; implicit-def: $vgpr3
	s_and_not1_b32 vcc_lo, exec_lo, s0
	s_cbranch_vccz .LBB5_110
	s_branch .LBB5_112
.LBB5_16:
	v_dual_mov_b32 v3, 0 :: v_dual_mov_b32 v2, 0
	s_branch .LBB5_21
.LBB5_17:
	v_mov_b64_e32 v[2:3], 0
	v_mov_b32_e32 v1, v0
	s_mov_b32 s24, 0
.LBB5_18:
	s_and_b32 s0, s0, 3
	s_mov_b32 s25, 0
	s_cmp_eq_u32 s0, 0
	s_cbranch_scc1 .LBB5_21
; %bb.19:
	s_lshl_b32 s26, s24, 3
	s_mov_b32 s27, s25
	s_mul_u64 s[28:29], s[24:25], 12
	s_add_nc_u64 s[26:27], s[16:17], s[26:27]
	s_delay_alu instid0(SALU_CYCLE_1)
	s_add_nc_u64 s[24:25], s[26:27], 0xc4
	s_add_nc_u64 s[26:27], s[16:17], s[28:29]
.LBB5_20:                               ; =>This Inner Loop Header: Depth=1
	s_load_b96 s[44:46], s[26:27], 0x4
	s_load_b64 s[28:29], s[24:25], 0x0
	s_add_co_i32 s0, s0, -1
	s_wait_xcnt 0x0
	s_add_nc_u64 s[26:27], s[26:27], 12
	s_cmp_lg_u32 s0, 0
	s_add_nc_u64 s[24:25], s[24:25], 8
	s_wait_kmcnt 0x0
	v_mul_hi_u32 v4, s45, v1
	s_delay_alu instid0(VALU_DEP_1) | instskip(NEXT) | instid1(VALU_DEP_1)
	v_add_nc_u32_e32 v4, v1, v4
	v_lshrrev_b32_e32 v4, s46, v4
	s_delay_alu instid0(VALU_DEP_1) | instskip(NEXT) | instid1(VALU_DEP_1)
	v_mul_lo_u32 v5, v4, s44
	v_sub_nc_u32_e32 v1, v1, v5
	s_delay_alu instid0(VALU_DEP_1)
	v_mad_u32 v3, v1, s29, v3
	v_mad_u32 v2, v1, s28, v2
	v_mov_b32_e32 v1, v4
	s_cbranch_scc1 .LBB5_20
.LBB5_21:
	s_cbranch_execnz .LBB5_24
.LBB5_22:
	v_mov_b32_e32 v1, 0
	s_and_not1_b32 vcc_lo, exec_lo, s39
	s_delay_alu instid0(VALU_DEP_1) | instskip(NEXT) | instid1(VALU_DEP_1)
	v_mul_u64_e32 v[2:3], s[18:19], v[0:1]
	v_add_nc_u32_e32 v2, v0, v3
	s_delay_alu instid0(VALU_DEP_1) | instskip(NEXT) | instid1(VALU_DEP_1)
	v_lshrrev_b32_e32 v4, s10, v2
	v_mul_lo_u32 v2, v4, s8
	s_delay_alu instid0(VALU_DEP_1) | instskip(NEXT) | instid1(VALU_DEP_1)
	v_sub_nc_u32_e32 v2, v0, v2
	v_mul_lo_u32 v3, v2, s13
	v_mul_lo_u32 v2, v2, s12
	s_cbranch_vccnz .LBB5_24
; %bb.23:
	v_mov_b32_e32 v5, v1
	s_delay_alu instid0(VALU_DEP_1) | instskip(NEXT) | instid1(VALU_DEP_1)
	v_mul_u64_e32 v[6:7], s[20:21], v[4:5]
	v_add_nc_u32_e32 v1, v4, v7
	s_delay_alu instid0(VALU_DEP_1) | instskip(NEXT) | instid1(VALU_DEP_1)
	v_lshrrev_b32_e32 v1, s1, v1
	v_mul_lo_u32 v1, v1, s11
	s_delay_alu instid0(VALU_DEP_1) | instskip(NEXT) | instid1(VALU_DEP_1)
	v_sub_nc_u32_e32 v1, v4, v1
	v_mad_u32 v2, v1, s14, v2
	v_mad_u32 v3, v1, s15, v3
.LBB5_24:
	global_load_b32 v1, v3, s[6:7]
	s_wait_loadcnt 0x0
	v_cmp_le_i32_e32 vcc_lo, s36, v1
	v_cmp_gt_i32_e64 s0, s37, v1
	s_and_b32 s9, vcc_lo, s0
	s_mov_b32 s0, 0
	s_and_b32 s25, s38, s9
	s_mov_b32 s9, -1
	s_and_saveexec_b32 s24, s25
; %bb.25:
	v_dual_mov_b32 v1, 0 :: v_dual_add_nc_u32 v0, 0x80, v0
	s_mov_b32 s0, exec_lo
	s_xor_b32 s9, exec_lo, -1
	global_store_b32 v2, v1, s[4:5]
; %bb.26:
	s_wait_xcnt 0x0
	s_or_b32 exec_lo, exec_lo, s24
	s_delay_alu instid0(SALU_CYCLE_1)
	s_and_b32 s9, s9, exec_lo
	s_or_not1_b32 s24, s0, exec_lo
	s_or_b32 exec_lo, exec_lo, s43
                                        ; implicit-def: $vgpr2
	s_and_saveexec_b32 s43, s24
	s_cbranch_execnz .LBB5_8
.LBB5_27:
	s_or_b32 exec_lo, exec_lo, s43
	s_mov_b32 s0, 0
	s_and_saveexec_b32 s1, s9
	s_cbranch_execnz .LBB5_156
.LBB5_28:
	s_or_b32 exec_lo, exec_lo, s1
	s_and_saveexec_b32 s1, s19
	s_delay_alu instid0(SALU_CYCLE_1)
	s_xor_b32 s1, exec_lo, s1
	s_cbranch_execz .LBB5_30
.LBB5_29:
	v_mov_b32_e32 v0, 0
	global_store_b32 v2, v0, s[4:5]
.LBB5_30:
	s_wait_xcnt 0x0
	s_or_b32 exec_lo, exec_lo, s1
	s_delay_alu instid0(SALU_CYCLE_1)
	s_and_b32 s10, s0, exec_lo
                                        ; implicit-def: $vgpr1
                                        ; implicit-def: $vgpr0
.LBB5_31:
	s_or_saveexec_b32 s11, s35
                                        ; implicit-def: $sgpr4_sgpr5_sgpr6_sgpr7
                                        ; implicit-def: $vgpr8
                                        ; implicit-def: $vgpr6
                                        ; implicit-def: $vgpr4
                                        ; implicit-def: $vgpr2
	s_delay_alu instid0(SALU_CYCLE_1)
	s_xor_b32 exec_lo, exec_lo, s11
	s_cbranch_execz .LBB5_38
; %bb.32:
	v_cndmask_b32_e64 v8, 0, 1, s34
	s_and_not1_b32 vcc_lo, exec_lo, s34
	s_cbranch_vccnz .LBB5_41
; %bb.33:
	s_cmp_lg_u32 s30, 0
	s_mov_b32 s8, 0
	s_cbranch_scc0 .LBB5_42
; %bb.34:
	s_min_u32 s1, s31, 15
	s_delay_alu instid0(SALU_CYCLE_1)
	s_add_co_i32 s1, s1, 1
	s_cmp_eq_u32 s31, 2
	s_cbranch_scc1 .LBB5_43
; %bb.35:
	v_dual_mov_b32 v2, 0 :: v_dual_mov_b32 v3, 0
	v_mov_b32_e32 v4, v0
	s_and_b32 s0, s1, 28
	s_add_nc_u64 s[4:5], s[16:17], 0xc4
	s_mov_b32 s9, 0
	s_mov_b64 s[6:7], s[16:17]
.LBB5_36:                               ; =>This Inner Loop Header: Depth=1
	s_clause 0x1
	s_load_b256 s[20:27], s[6:7], 0x4
	s_load_b128 s[12:15], s[6:7], 0x24
	s_load_b256 s[36:43], s[4:5], 0x0
	s_add_co_i32 s9, s9, 4
	s_wait_xcnt 0x0
	s_add_nc_u64 s[6:7], s[6:7], 48
	s_cmp_lg_u32 s0, s9
	s_add_nc_u64 s[4:5], s[4:5], 32
	s_wait_kmcnt 0x0
	v_mul_hi_u32 v5, s21, v4
	s_delay_alu instid0(VALU_DEP_1) | instskip(NEXT) | instid1(VALU_DEP_1)
	v_add_nc_u32_e32 v5, v4, v5
	v_lshrrev_b32_e32 v5, s22, v5
	s_delay_alu instid0(VALU_DEP_1) | instskip(NEXT) | instid1(VALU_DEP_1)
	v_mul_hi_u32 v6, s24, v5
	v_add_nc_u32_e32 v6, v5, v6
	s_delay_alu instid0(VALU_DEP_1) | instskip(NEXT) | instid1(VALU_DEP_1)
	v_lshrrev_b32_e32 v6, s25, v6
	v_mul_hi_u32 v7, s27, v6
	s_delay_alu instid0(VALU_DEP_1) | instskip(SKIP_1) | instid1(VALU_DEP_1)
	v_add_nc_u32_e32 v7, v6, v7
	v_mul_lo_u32 v9, v5, s20
	v_sub_nc_u32_e32 v4, v4, v9
	v_mul_lo_u32 v9, v6, s23
	s_delay_alu instid0(VALU_DEP_4) | instskip(NEXT) | instid1(VALU_DEP_3)
	v_lshrrev_b32_e32 v7, s12, v7
	v_mad_u32 v3, v4, s37, v3
	v_mad_u32 v2, v4, s36, v2
	s_delay_alu instid0(VALU_DEP_4) | instskip(NEXT) | instid1(VALU_DEP_4)
	v_sub_nc_u32_e32 v4, v5, v9
	v_mul_hi_u32 v10, s14, v7
	v_mul_lo_u32 v5, v7, s26
	s_delay_alu instid0(VALU_DEP_3) | instskip(SKIP_1) | instid1(VALU_DEP_3)
	v_mad_u32 v3, v4, s39, v3
	v_mad_u32 v2, v4, s38, v2
	v_dual_add_nc_u32 v9, v7, v10 :: v_dual_sub_nc_u32 v5, v6, v5
	s_delay_alu instid0(VALU_DEP_1) | instskip(NEXT) | instid1(VALU_DEP_2)
	v_lshrrev_b32_e32 v4, s15, v9
	v_mad_u32 v3, v5, s41, v3
	s_delay_alu instid0(VALU_DEP_4) | instskip(NEXT) | instid1(VALU_DEP_3)
	v_mad_u32 v2, v5, s40, v2
	v_mul_lo_u32 v6, v4, s13
	s_delay_alu instid0(VALU_DEP_1) | instskip(NEXT) | instid1(VALU_DEP_1)
	v_sub_nc_u32_e32 v5, v7, v6
	v_mad_u32 v3, v5, s43, v3
	s_delay_alu instid0(VALU_DEP_4)
	v_mad_u32 v2, v5, s42, v2
	s_cbranch_scc1 .LBB5_36
; %bb.37:
	s_and_b32 s6, s1, 3
	s_mov_b32 s1, 0
	s_cmp_eq_u32 s6, 0
	s_cbranch_scc0 .LBB5_44
	s_branch .LBB5_46
.LBB5_38:
	s_or_b32 exec_lo, exec_lo, s11
	s_and_saveexec_b32 s0, s10
	s_cbranch_execz .LBB5_102
.LBB5_39:
	; divergent unreachable
	s_or_b32 exec_lo, exec_lo, s0
	s_and_saveexec_b32 s0, s33
	s_cbranch_execnz .LBB5_103
.LBB5_40:
	s_endpgm
.LBB5_41:
	s_mov_b32 s8, -1
                                        ; implicit-def: $vgpr3
	s_branch .LBB5_46
.LBB5_42:
	v_dual_mov_b32 v3, 0 :: v_dual_mov_b32 v2, 0
	s_branch .LBB5_46
.LBB5_43:
	v_mov_b64_e32 v[2:3], 0
	v_mov_b32_e32 v4, v0
	s_mov_b32 s0, 0
	s_and_b32 s6, s1, 3
	s_mov_b32 s1, 0
	s_cmp_eq_u32 s6, 0
	s_cbranch_scc1 .LBB5_46
.LBB5_44:
	s_lshl_b32 s4, s0, 3
	s_mov_b32 s5, s1
	s_mul_u64 s[12:13], s[0:1], 12
	s_add_nc_u64 s[4:5], s[16:17], s[4:5]
	s_delay_alu instid0(SALU_CYCLE_1)
	s_add_nc_u64 s[0:1], s[4:5], 0xc4
	s_add_nc_u64 s[4:5], s[16:17], s[12:13]
.LBB5_45:                               ; =>This Inner Loop Header: Depth=1
	s_load_b96 s[12:14], s[4:5], 0x4
	s_add_co_i32 s6, s6, -1
	s_wait_xcnt 0x0
	s_add_nc_u64 s[4:5], s[4:5], 12
	s_cmp_lg_u32 s6, 0
	s_wait_kmcnt 0x0
	v_mul_hi_u32 v5, s13, v4
	s_delay_alu instid0(VALU_DEP_1) | instskip(NEXT) | instid1(VALU_DEP_1)
	v_add_nc_u32_e32 v5, v4, v5
	v_lshrrev_b32_e32 v5, s14, v5
	s_load_b64 s[14:15], s[0:1], 0x0
	s_wait_xcnt 0x0
	s_add_nc_u64 s[0:1], s[0:1], 8
	s_delay_alu instid0(VALU_DEP_1) | instskip(NEXT) | instid1(VALU_DEP_1)
	v_mul_lo_u32 v6, v5, s12
	v_sub_nc_u32_e32 v4, v4, v6
	s_wait_kmcnt 0x0
	s_delay_alu instid0(VALU_DEP_1)
	v_mad_u32 v3, v4, s15, v3
	v_mad_u32 v2, v4, s14, v2
	v_mov_b32_e32 v4, v5
	s_cbranch_scc1 .LBB5_45
.LBB5_46:
	s_and_not1_b32 vcc_lo, exec_lo, s8
	s_cbranch_vccnz .LBB5_49
; %bb.47:
	s_clause 0x1
	s_load_b96 s[4:6], s[16:17], 0x4
	s_load_b64 s[0:1], s[16:17], 0xc4
	s_cmp_lt_u32 s30, 2
	s_wait_kmcnt 0x0
	v_mul_hi_u32 v2, s5, v0
	s_delay_alu instid0(VALU_DEP_1) | instskip(NEXT) | instid1(VALU_DEP_1)
	v_add_nc_u32_e32 v2, v0, v2
	v_lshrrev_b32_e32 v4, s6, v2
	s_delay_alu instid0(VALU_DEP_1) | instskip(NEXT) | instid1(VALU_DEP_1)
	v_mul_lo_u32 v2, v4, s4
	v_sub_nc_u32_e32 v2, v0, v2
	s_delay_alu instid0(VALU_DEP_1)
	v_mul_lo_u32 v3, v2, s1
	v_mul_lo_u32 v2, v2, s0
	s_cbranch_scc1 .LBB5_49
; %bb.48:
	s_clause 0x1
	s_load_b96 s[4:6], s[16:17], 0x10
	s_load_b64 s[0:1], s[16:17], 0xcc
	s_wait_kmcnt 0x0
	v_mul_hi_u32 v5, s5, v4
	s_delay_alu instid0(VALU_DEP_1) | instskip(NEXT) | instid1(VALU_DEP_1)
	v_add_nc_u32_e32 v5, v4, v5
	v_lshrrev_b32_e32 v5, s6, v5
	s_delay_alu instid0(VALU_DEP_1) | instskip(NEXT) | instid1(VALU_DEP_1)
	v_mul_lo_u32 v5, v5, s4
	v_sub_nc_u32_e32 v4, v4, v5
	s_delay_alu instid0(VALU_DEP_1)
	v_mad_u32 v2, v4, s0, v2
	v_mad_u32 v3, v4, s1, v3
.LBB5_49:
	v_cmp_ne_u32_e32 vcc_lo, 1, v8
	v_add_nc_u32_e32 v6, 0x80, v0
	s_cbranch_vccnz .LBB5_55
; %bb.50:
	s_cmp_lg_u32 s30, 0
	s_mov_b32 s8, 0
	s_cbranch_scc0 .LBB5_56
; %bb.51:
	s_min_u32 s1, s31, 15
	s_delay_alu instid0(SALU_CYCLE_1)
	s_add_co_i32 s1, s1, 1
	s_cmp_eq_u32 s31, 2
	s_cbranch_scc1 .LBB5_57
; %bb.52:
	v_dual_mov_b32 v4, 0 :: v_dual_mov_b32 v5, 0
	v_mov_b32_e32 v7, v6
	s_and_b32 s0, s1, 28
	s_add_nc_u64 s[4:5], s[16:17], 0xc4
	s_mov_b32 s9, 0
	s_mov_b64 s[6:7], s[16:17]
.LBB5_53:                               ; =>This Inner Loop Header: Depth=1
	s_clause 0x1
	s_load_b256 s[20:27], s[6:7], 0x4
	s_load_b128 s[12:15], s[6:7], 0x24
	s_load_b256 s[36:43], s[4:5], 0x0
	s_add_co_i32 s9, s9, 4
	s_wait_xcnt 0x0
	s_add_nc_u64 s[6:7], s[6:7], 48
	s_cmp_lg_u32 s0, s9
	s_add_nc_u64 s[4:5], s[4:5], 32
	s_wait_kmcnt 0x0
	v_mul_hi_u32 v9, s21, v7
	s_delay_alu instid0(VALU_DEP_1) | instskip(NEXT) | instid1(VALU_DEP_1)
	v_add_nc_u32_e32 v9, v7, v9
	v_lshrrev_b32_e32 v9, s22, v9
	s_delay_alu instid0(VALU_DEP_1) | instskip(NEXT) | instid1(VALU_DEP_1)
	v_mul_hi_u32 v10, s24, v9
	v_add_nc_u32_e32 v10, v9, v10
	s_delay_alu instid0(VALU_DEP_1) | instskip(NEXT) | instid1(VALU_DEP_1)
	v_lshrrev_b32_e32 v10, s25, v10
	v_mul_hi_u32 v11, s27, v10
	s_delay_alu instid0(VALU_DEP_1) | instskip(SKIP_1) | instid1(VALU_DEP_1)
	v_add_nc_u32_e32 v11, v10, v11
	v_mul_lo_u32 v12, v9, s20
	v_sub_nc_u32_e32 v7, v7, v12
	v_mul_lo_u32 v12, v10, s23
	s_delay_alu instid0(VALU_DEP_4) | instskip(NEXT) | instid1(VALU_DEP_3)
	v_lshrrev_b32_e32 v11, s12, v11
	v_mad_u32 v5, v7, s37, v5
	v_mad_u32 v4, v7, s36, v4
	s_delay_alu instid0(VALU_DEP_4) | instskip(NEXT) | instid1(VALU_DEP_4)
	v_sub_nc_u32_e32 v7, v9, v12
	v_mul_hi_u32 v13, s14, v11
	v_mul_lo_u32 v9, v11, s26
	s_delay_alu instid0(VALU_DEP_3) | instskip(SKIP_1) | instid1(VALU_DEP_4)
	v_mad_u32 v5, v7, s39, v5
	v_mad_u32 v4, v7, s38, v4
	v_add_nc_u32_e32 v12, v11, v13
	s_delay_alu instid0(VALU_DEP_1) | instskip(NEXT) | instid1(VALU_DEP_1)
	v_dual_sub_nc_u32 v9, v10, v9 :: v_dual_lshrrev_b32 v7, s15, v12
	v_mad_u32 v5, v9, s41, v5
	s_delay_alu instid0(VALU_DEP_4) | instskip(NEXT) | instid1(VALU_DEP_3)
	v_mad_u32 v4, v9, s40, v4
	v_mul_lo_u32 v10, v7, s13
	s_delay_alu instid0(VALU_DEP_1) | instskip(NEXT) | instid1(VALU_DEP_1)
	v_sub_nc_u32_e32 v9, v11, v10
	v_mad_u32 v5, v9, s43, v5
	s_delay_alu instid0(VALU_DEP_4)
	v_mad_u32 v4, v9, s42, v4
	s_cbranch_scc1 .LBB5_53
; %bb.54:
	s_and_b32 s6, s1, 3
	s_mov_b32 s1, 0
	s_cmp_eq_u32 s6, 0
	s_cbranch_scc0 .LBB5_58
	s_branch .LBB5_60
.LBB5_55:
	s_mov_b32 s8, -1
                                        ; implicit-def: $vgpr5
	s_branch .LBB5_60
.LBB5_56:
	v_dual_mov_b32 v5, 0 :: v_dual_mov_b32 v4, 0
	s_branch .LBB5_60
.LBB5_57:
	v_mov_b64_e32 v[4:5], 0
	v_mov_b32_e32 v7, v6
	s_mov_b32 s0, 0
	s_and_b32 s6, s1, 3
	s_mov_b32 s1, 0
	s_cmp_eq_u32 s6, 0
	s_cbranch_scc1 .LBB5_60
.LBB5_58:
	s_lshl_b32 s4, s0, 3
	s_mov_b32 s5, s1
	s_mul_u64 s[12:13], s[0:1], 12
	s_add_nc_u64 s[4:5], s[16:17], s[4:5]
	s_delay_alu instid0(SALU_CYCLE_1)
	s_add_nc_u64 s[0:1], s[4:5], 0xc4
	s_add_nc_u64 s[4:5], s[16:17], s[12:13]
.LBB5_59:                               ; =>This Inner Loop Header: Depth=1
	s_load_b96 s[12:14], s[4:5], 0x4
	s_add_co_i32 s6, s6, -1
	s_wait_xcnt 0x0
	s_add_nc_u64 s[4:5], s[4:5], 12
	s_cmp_lg_u32 s6, 0
	s_wait_kmcnt 0x0
	v_mul_hi_u32 v9, s13, v7
	s_delay_alu instid0(VALU_DEP_1) | instskip(NEXT) | instid1(VALU_DEP_1)
	v_add_nc_u32_e32 v9, v7, v9
	v_lshrrev_b32_e32 v9, s14, v9
	s_load_b64 s[14:15], s[0:1], 0x0
	s_wait_xcnt 0x0
	s_add_nc_u64 s[0:1], s[0:1], 8
	s_delay_alu instid0(VALU_DEP_1) | instskip(NEXT) | instid1(VALU_DEP_1)
	v_mul_lo_u32 v10, v9, s12
	v_sub_nc_u32_e32 v7, v7, v10
	s_wait_kmcnt 0x0
	s_delay_alu instid0(VALU_DEP_1)
	v_mad_u32 v5, v7, s15, v5
	v_mad_u32 v4, v7, s14, v4
	v_mov_b32_e32 v7, v9
	s_cbranch_scc1 .LBB5_59
.LBB5_60:
	s_and_not1_b32 vcc_lo, exec_lo, s8
	s_cbranch_vccnz .LBB5_63
; %bb.61:
	s_clause 0x1
	s_load_b96 s[4:6], s[16:17], 0x4
	s_load_b64 s[0:1], s[16:17], 0xc4
	s_cmp_lt_u32 s30, 2
	s_wait_kmcnt 0x0
	v_mul_hi_u32 v4, s5, v6
	s_delay_alu instid0(VALU_DEP_1) | instskip(NEXT) | instid1(VALU_DEP_1)
	v_add_nc_u32_e32 v4, v6, v4
	v_lshrrev_b32_e32 v7, s6, v4
	s_delay_alu instid0(VALU_DEP_1) | instskip(NEXT) | instid1(VALU_DEP_1)
	v_mul_lo_u32 v4, v7, s4
	v_sub_nc_u32_e32 v4, v6, v4
	s_delay_alu instid0(VALU_DEP_1)
	v_mul_lo_u32 v5, v4, s1
	v_mul_lo_u32 v4, v4, s0
	s_cbranch_scc1 .LBB5_63
; %bb.62:
	s_clause 0x1
	s_load_b96 s[4:6], s[16:17], 0x10
	s_load_b64 s[0:1], s[16:17], 0xcc
	s_wait_kmcnt 0x0
	v_mul_hi_u32 v6, s5, v7
	s_delay_alu instid0(VALU_DEP_1) | instskip(NEXT) | instid1(VALU_DEP_1)
	v_add_nc_u32_e32 v6, v7, v6
	v_lshrrev_b32_e32 v6, s6, v6
	s_delay_alu instid0(VALU_DEP_1) | instskip(NEXT) | instid1(VALU_DEP_1)
	v_mul_lo_u32 v6, v6, s4
	v_sub_nc_u32_e32 v6, v7, v6
	s_delay_alu instid0(VALU_DEP_1)
	v_mad_u32 v4, v6, s0, v4
	v_mad_u32 v5, v6, s1, v5
.LBB5_63:
	v_cmp_ne_u32_e32 vcc_lo, 1, v8
	v_add_nc_u32_e32 v0, 0x100, v0
	s_cbranch_vccnz .LBB5_69
; %bb.64:
	s_cmp_lg_u32 s30, 0
	s_mov_b32 s8, 0
	s_cbranch_scc0 .LBB5_70
; %bb.65:
	s_min_u32 s1, s31, 15
	s_delay_alu instid0(SALU_CYCLE_1)
	s_add_co_i32 s1, s1, 1
	s_cmp_eq_u32 s31, 2
	s_cbranch_scc1 .LBB5_71
; %bb.66:
	v_dual_mov_b32 v6, 0 :: v_dual_mov_b32 v7, 0
	v_mov_b32_e32 v9, v0
	s_and_b32 s0, s1, 28
	s_add_nc_u64 s[4:5], s[16:17], 0xc4
	s_mov_b32 s9, 0
	s_mov_b64 s[6:7], s[16:17]
.LBB5_67:                               ; =>This Inner Loop Header: Depth=1
	s_clause 0x1
	s_load_b256 s[20:27], s[6:7], 0x4
	s_load_b128 s[12:15], s[6:7], 0x24
	s_load_b256 s[36:43], s[4:5], 0x0
	s_add_co_i32 s9, s9, 4
	s_wait_xcnt 0x0
	s_add_nc_u64 s[6:7], s[6:7], 48
	s_cmp_lg_u32 s0, s9
	s_add_nc_u64 s[4:5], s[4:5], 32
	s_wait_kmcnt 0x0
	v_mul_hi_u32 v10, s21, v9
	s_delay_alu instid0(VALU_DEP_1) | instskip(NEXT) | instid1(VALU_DEP_1)
	v_add_nc_u32_e32 v10, v9, v10
	v_lshrrev_b32_e32 v10, s22, v10
	s_delay_alu instid0(VALU_DEP_1) | instskip(NEXT) | instid1(VALU_DEP_1)
	v_mul_hi_u32 v11, s24, v10
	v_add_nc_u32_e32 v11, v10, v11
	s_delay_alu instid0(VALU_DEP_1) | instskip(NEXT) | instid1(VALU_DEP_1)
	v_lshrrev_b32_e32 v11, s25, v11
	v_mul_hi_u32 v12, s27, v11
	s_delay_alu instid0(VALU_DEP_1) | instskip(SKIP_1) | instid1(VALU_DEP_1)
	v_add_nc_u32_e32 v12, v11, v12
	v_mul_lo_u32 v13, v10, s20
	v_sub_nc_u32_e32 v9, v9, v13
	v_mul_lo_u32 v13, v11, s23
	s_delay_alu instid0(VALU_DEP_4) | instskip(NEXT) | instid1(VALU_DEP_3)
	v_lshrrev_b32_e32 v12, s12, v12
	v_mad_u32 v7, v9, s37, v7
	v_mad_u32 v6, v9, s36, v6
	s_delay_alu instid0(VALU_DEP_4) | instskip(NEXT) | instid1(VALU_DEP_4)
	v_sub_nc_u32_e32 v9, v10, v13
	v_mul_hi_u32 v14, s14, v12
	v_mul_lo_u32 v10, v12, s26
	s_delay_alu instid0(VALU_DEP_3) | instskip(SKIP_1) | instid1(VALU_DEP_4)
	v_mad_u32 v7, v9, s39, v7
	v_mad_u32 v6, v9, s38, v6
	v_add_nc_u32_e32 v13, v12, v14
	s_delay_alu instid0(VALU_DEP_1) | instskip(NEXT) | instid1(VALU_DEP_1)
	v_dual_sub_nc_u32 v10, v11, v10 :: v_dual_lshrrev_b32 v9, s15, v13
	v_mad_u32 v7, v10, s41, v7
	s_delay_alu instid0(VALU_DEP_4) | instskip(NEXT) | instid1(VALU_DEP_3)
	v_mad_u32 v6, v10, s40, v6
	v_mul_lo_u32 v11, v9, s13
	s_delay_alu instid0(VALU_DEP_1) | instskip(NEXT) | instid1(VALU_DEP_1)
	v_sub_nc_u32_e32 v10, v12, v11
	v_mad_u32 v7, v10, s43, v7
	s_delay_alu instid0(VALU_DEP_4)
	v_mad_u32 v6, v10, s42, v6
	s_cbranch_scc1 .LBB5_67
; %bb.68:
	s_and_b32 s6, s1, 3
	s_mov_b32 s1, 0
	s_cmp_eq_u32 s6, 0
	s_cbranch_scc0 .LBB5_72
	s_branch .LBB5_74
.LBB5_69:
	s_mov_b32 s8, -1
                                        ; implicit-def: $vgpr7
	s_branch .LBB5_74
.LBB5_70:
	v_dual_mov_b32 v7, 0 :: v_dual_mov_b32 v6, 0
	s_branch .LBB5_74
.LBB5_71:
	v_mov_b64_e32 v[6:7], 0
	v_mov_b32_e32 v9, v0
	s_mov_b32 s0, 0
	s_and_b32 s6, s1, 3
	s_mov_b32 s1, 0
	s_cmp_eq_u32 s6, 0
	s_cbranch_scc1 .LBB5_74
.LBB5_72:
	s_lshl_b32 s4, s0, 3
	s_mov_b32 s5, s1
	s_mul_u64 s[12:13], s[0:1], 12
	s_add_nc_u64 s[4:5], s[16:17], s[4:5]
	s_delay_alu instid0(SALU_CYCLE_1)
	s_add_nc_u64 s[0:1], s[4:5], 0xc4
	s_add_nc_u64 s[4:5], s[16:17], s[12:13]
.LBB5_73:                               ; =>This Inner Loop Header: Depth=1
	s_load_b96 s[12:14], s[4:5], 0x4
	s_add_co_i32 s6, s6, -1
	s_wait_xcnt 0x0
	s_add_nc_u64 s[4:5], s[4:5], 12
	s_cmp_lg_u32 s6, 0
	s_wait_kmcnt 0x0
	v_mul_hi_u32 v10, s13, v9
	s_delay_alu instid0(VALU_DEP_1) | instskip(NEXT) | instid1(VALU_DEP_1)
	v_add_nc_u32_e32 v10, v9, v10
	v_lshrrev_b32_e32 v10, s14, v10
	s_load_b64 s[14:15], s[0:1], 0x0
	s_wait_xcnt 0x0
	s_add_nc_u64 s[0:1], s[0:1], 8
	s_delay_alu instid0(VALU_DEP_1) | instskip(NEXT) | instid1(VALU_DEP_1)
	v_mul_lo_u32 v11, v10, s12
	v_sub_nc_u32_e32 v9, v9, v11
	s_wait_kmcnt 0x0
	s_delay_alu instid0(VALU_DEP_1)
	v_mad_u32 v7, v9, s15, v7
	v_mad_u32 v6, v9, s14, v6
	v_mov_b32_e32 v9, v10
	s_cbranch_scc1 .LBB5_73
.LBB5_74:
	s_and_not1_b32 vcc_lo, exec_lo, s8
	s_cbranch_vccnz .LBB5_77
; %bb.75:
	s_clause 0x1
	s_load_b96 s[4:6], s[16:17], 0x4
	s_load_b64 s[0:1], s[16:17], 0xc4
	s_cmp_lt_u32 s30, 2
	s_wait_kmcnt 0x0
	v_mul_hi_u32 v6, s5, v0
	s_delay_alu instid0(VALU_DEP_1) | instskip(NEXT) | instid1(VALU_DEP_1)
	v_add_nc_u32_e32 v6, v0, v6
	v_lshrrev_b32_e32 v9, s6, v6
	s_delay_alu instid0(VALU_DEP_1) | instskip(NEXT) | instid1(VALU_DEP_1)
	v_mul_lo_u32 v6, v9, s4
	v_sub_nc_u32_e32 v0, v0, v6
	s_delay_alu instid0(VALU_DEP_1)
	v_mul_lo_u32 v7, v0, s1
	v_mul_lo_u32 v6, v0, s0
	s_cbranch_scc1 .LBB5_77
; %bb.76:
	s_clause 0x1
	s_load_b96 s[4:6], s[16:17], 0x10
	s_load_b64 s[0:1], s[16:17], 0xcc
	s_wait_kmcnt 0x0
	v_mul_hi_u32 v0, s5, v9
	s_delay_alu instid0(VALU_DEP_1) | instskip(NEXT) | instid1(VALU_DEP_1)
	v_add_nc_u32_e32 v0, v9, v0
	v_lshrrev_b32_e32 v0, s6, v0
	s_delay_alu instid0(VALU_DEP_1) | instskip(NEXT) | instid1(VALU_DEP_1)
	v_mul_lo_u32 v0, v0, s4
	v_sub_nc_u32_e32 v0, v9, v0
	s_delay_alu instid0(VALU_DEP_1)
	v_mad_u32 v6, v0, s0, v6
	v_mad_u32 v7, v0, s1, v7
.LBB5_77:
	v_cmp_ne_u32_e32 vcc_lo, 1, v8
	s_cbranch_vccnz .LBB5_83
; %bb.78:
	s_cmp_lg_u32 s30, 0
	s_mov_b32 s8, 0
	s_cbranch_scc0 .LBB5_84
; %bb.79:
	s_min_u32 s1, s31, 15
	s_delay_alu instid0(SALU_CYCLE_1)
	s_add_co_i32 s1, s1, 1
	s_cmp_eq_u32 s31, 2
	s_cbranch_scc1 .LBB5_85
; %bb.80:
	v_dual_mov_b32 v8, 0 :: v_dual_mov_b32 v9, 0
	v_mov_b32_e32 v0, v1
	s_and_b32 s0, s1, 28
	s_add_nc_u64 s[4:5], s[16:17], 0xc4
	s_mov_b32 s9, 0
	s_mov_b64 s[6:7], s[16:17]
.LBB5_81:                               ; =>This Inner Loop Header: Depth=1
	s_clause 0x1
	s_load_b256 s[20:27], s[6:7], 0x4
	s_load_b128 s[12:15], s[6:7], 0x24
	s_load_b256 s[36:43], s[4:5], 0x0
	s_add_co_i32 s9, s9, 4
	s_wait_xcnt 0x0
	s_add_nc_u64 s[6:7], s[6:7], 48
	s_cmp_lg_u32 s0, s9
	s_add_nc_u64 s[4:5], s[4:5], 32
	s_wait_kmcnt 0x0
	v_mul_hi_u32 v10, s21, v0
	s_delay_alu instid0(VALU_DEP_1) | instskip(NEXT) | instid1(VALU_DEP_1)
	v_add_nc_u32_e32 v10, v0, v10
	v_lshrrev_b32_e32 v10, s22, v10
	s_delay_alu instid0(VALU_DEP_1) | instskip(NEXT) | instid1(VALU_DEP_1)
	v_mul_hi_u32 v11, s24, v10
	v_add_nc_u32_e32 v11, v10, v11
	s_delay_alu instid0(VALU_DEP_1) | instskip(NEXT) | instid1(VALU_DEP_1)
	v_lshrrev_b32_e32 v11, s25, v11
	v_mul_hi_u32 v12, s27, v11
	s_delay_alu instid0(VALU_DEP_1) | instskip(SKIP_1) | instid1(VALU_DEP_1)
	v_add_nc_u32_e32 v12, v11, v12
	v_mul_lo_u32 v13, v10, s20
	v_sub_nc_u32_e32 v0, v0, v13
	v_mul_lo_u32 v13, v11, s23
	s_delay_alu instid0(VALU_DEP_4) | instskip(NEXT) | instid1(VALU_DEP_3)
	v_lshrrev_b32_e32 v12, s12, v12
	v_mad_u32 v9, v0, s37, v9
	v_mad_u32 v0, v0, s36, v8
	s_delay_alu instid0(VALU_DEP_4) | instskip(NEXT) | instid1(VALU_DEP_4)
	v_sub_nc_u32_e32 v8, v10, v13
	v_mul_hi_u32 v14, s14, v12
	v_mul_lo_u32 v10, v12, s26
	s_delay_alu instid0(VALU_DEP_3) | instskip(SKIP_1) | instid1(VALU_DEP_4)
	v_mad_u32 v9, v8, s39, v9
	v_mad_u32 v8, v8, s38, v0
	v_add_nc_u32_e32 v13, v12, v14
	s_delay_alu instid0(VALU_DEP_1) | instskip(NEXT) | instid1(VALU_DEP_1)
	v_dual_sub_nc_u32 v10, v11, v10 :: v_dual_lshrrev_b32 v0, s15, v13
	v_mad_u32 v9, v10, s41, v9
	s_delay_alu instid0(VALU_DEP_4) | instskip(NEXT) | instid1(VALU_DEP_3)
	v_mad_u32 v8, v10, s40, v8
	v_mul_lo_u32 v11, v0, s13
	s_delay_alu instid0(VALU_DEP_1) | instskip(NEXT) | instid1(VALU_DEP_1)
	v_sub_nc_u32_e32 v10, v12, v11
	v_mad_u32 v9, v10, s43, v9
	s_delay_alu instid0(VALU_DEP_4)
	v_mad_u32 v8, v10, s42, v8
	s_cbranch_scc1 .LBB5_81
; %bb.82:
	s_and_b32 s6, s1, 3
	s_mov_b32 s1, 0
	s_cmp_eq_u32 s6, 0
	s_cbranch_scc0 .LBB5_86
	s_branch .LBB5_88
.LBB5_83:
	s_mov_b32 s8, -1
                                        ; implicit-def: $vgpr9
	s_branch .LBB5_88
.LBB5_84:
	v_dual_mov_b32 v9, 0 :: v_dual_mov_b32 v8, 0
	s_branch .LBB5_88
.LBB5_85:
	v_mov_b64_e32 v[8:9], 0
	v_mov_b32_e32 v0, v1
	s_mov_b32 s0, 0
	s_and_b32 s6, s1, 3
	s_mov_b32 s1, 0
	s_cmp_eq_u32 s6, 0
	s_cbranch_scc1 .LBB5_88
.LBB5_86:
	s_lshl_b32 s4, s0, 3
	s_mov_b32 s5, s1
	s_mul_u64 s[12:13], s[0:1], 12
	s_add_nc_u64 s[4:5], s[16:17], s[4:5]
	s_delay_alu instid0(SALU_CYCLE_1)
	s_add_nc_u64 s[0:1], s[4:5], 0xc4
	s_add_nc_u64 s[4:5], s[16:17], s[12:13]
.LBB5_87:                               ; =>This Inner Loop Header: Depth=1
	s_load_b96 s[12:14], s[4:5], 0x4
	s_add_co_i32 s6, s6, -1
	s_wait_xcnt 0x0
	s_add_nc_u64 s[4:5], s[4:5], 12
	s_cmp_lg_u32 s6, 0
	s_wait_kmcnt 0x0
	v_mul_hi_u32 v10, s13, v0
	s_delay_alu instid0(VALU_DEP_1) | instskip(NEXT) | instid1(VALU_DEP_1)
	v_add_nc_u32_e32 v10, v0, v10
	v_lshrrev_b32_e32 v10, s14, v10
	s_load_b64 s[14:15], s[0:1], 0x0
	s_wait_xcnt 0x0
	s_add_nc_u64 s[0:1], s[0:1], 8
	s_delay_alu instid0(VALU_DEP_1) | instskip(NEXT) | instid1(VALU_DEP_1)
	v_mul_lo_u32 v11, v10, s12
	v_sub_nc_u32_e32 v0, v0, v11
	s_wait_kmcnt 0x0
	s_delay_alu instid0(VALU_DEP_1)
	v_mad_u32 v9, v0, s15, v9
	v_mad_u32 v8, v0, s14, v8
	v_mov_b32_e32 v0, v10
	s_cbranch_scc1 .LBB5_87
.LBB5_88:
	s_and_not1_b32 vcc_lo, exec_lo, s8
	s_cbranch_vccnz .LBB5_91
; %bb.89:
	s_clause 0x1
	s_load_b96 s[4:6], s[16:17], 0x4
	s_load_b64 s[0:1], s[16:17], 0xc4
	s_cmp_lt_u32 s30, 2
	s_wait_kmcnt 0x0
	v_mul_hi_u32 v0, s5, v1
	s_delay_alu instid0(VALU_DEP_1) | instskip(NEXT) | instid1(VALU_DEP_1)
	v_add_nc_u32_e32 v0, v1, v0
	v_lshrrev_b32_e32 v0, s6, v0
	s_delay_alu instid0(VALU_DEP_1) | instskip(NEXT) | instid1(VALU_DEP_1)
	v_mul_lo_u32 v8, v0, s4
	v_sub_nc_u32_e32 v1, v1, v8
	s_delay_alu instid0(VALU_DEP_1)
	v_mul_lo_u32 v9, v1, s1
	v_mul_lo_u32 v8, v1, s0
	s_cbranch_scc1 .LBB5_91
; %bb.90:
	s_clause 0x1
	s_load_b96 s[4:6], s[16:17], 0x10
	s_load_b64 s[0:1], s[16:17], 0xcc
	s_wait_kmcnt 0x0
	v_mul_hi_u32 v1, s5, v0
	s_delay_alu instid0(VALU_DEP_1) | instskip(NEXT) | instid1(VALU_DEP_1)
	v_add_nc_u32_e32 v1, v0, v1
	v_lshrrev_b32_e32 v1, s6, v1
	s_delay_alu instid0(VALU_DEP_1) | instskip(NEXT) | instid1(VALU_DEP_1)
	v_mul_lo_u32 v1, v1, s4
	v_sub_nc_u32_e32 v0, v0, v1
	s_delay_alu instid0(VALU_DEP_1)
	v_mad_u32 v8, v0, s0, v8
	v_mad_u32 v9, v0, s1, v9
.LBB5_91:
	s_clause 0x2
	s_load_b128 s[4:7], s[16:17], 0x148
	s_load_b32 s12, s[16:17], 0x158
	s_load_b64 s[8:9], s[16:17], 0x160
	s_wait_kmcnt 0x0
	global_load_b32 v0, v3, s[6:7]
	s_wait_loadcnt 0x0
	v_cmp_gt_i32_e32 vcc_lo, s12, v0
	v_cmp_le_i32_e64 s0, s8, v0
	s_or_b32 s0, vcc_lo, s0
	s_cmp_eq_u64 s[2:3], 0
	s_cselect_b32 s1, -1, 0
	s_delay_alu instid0(SALU_CYCLE_1) | instskip(SKIP_3) | instid1(SALU_CYCLE_1)
	s_or_b32 s0, s1, s0
	s_mov_b32 s1, s10
	s_wait_xcnt 0x0
	s_and_saveexec_b32 s2, s0
	s_xor_b32 s0, exec_lo, s2
	s_cbranch_execnz .LBB5_157
; %bb.92:
	s_or_saveexec_b32 s2, s0
	s_mov_b32 s0, 0
	s_xor_b32 exec_lo, exec_lo, s2
	s_cbranch_execz .LBB5_101
.LBB5_93:
	global_load_b32 v0, v5, s[6:7]
	s_mov_b32 s3, s1
	s_wait_loadcnt 0x0
	v_cmp_gt_i32_e32 vcc_lo, s12, v0
	v_cmp_le_i32_e64 s0, s8, v0
	s_or_b32 s0, vcc_lo, s0
	s_wait_xcnt 0x0
	s_and_saveexec_b32 s9, s0
	s_delay_alu instid0(SALU_CYCLE_1)
	s_xor_b32 s0, exec_lo, s9
	s_cbranch_execnz .LBB5_158
; %bb.94:
	s_or_saveexec_b32 s9, s0
	s_mov_b32 s0, 0
	s_xor_b32 exec_lo, exec_lo, s9
	s_cbranch_execz .LBB5_100
.LBB5_95:
	global_load_b32 v0, v7, s[6:7]
	s_mov_b32 s13, s3
	s_wait_loadcnt 0x0
	v_cmp_gt_i32_e32 vcc_lo, s12, v0
	v_cmp_le_i32_e64 s0, s8, v0
	s_or_b32 s0, vcc_lo, s0
	s_wait_xcnt 0x0
	s_and_saveexec_b32 s14, s0
	s_delay_alu instid0(SALU_CYCLE_1)
	s_xor_b32 s0, exec_lo, s14
	s_cbranch_execnz .LBB5_159
; %bb.96:
	s_or_saveexec_b32 s14, s0
	s_mov_b32 s0, 0
	s_xor_b32 exec_lo, exec_lo, s14
	s_cbranch_execz .LBB5_99
.LBB5_97:
	global_load_b32 v0, v9, s[6:7]
	s_wait_xcnt 0x0
	s_mov_b32 s6, -1
	s_wait_loadcnt 0x0
	v_cmp_gt_i32_e32 vcc_lo, s12, v0
	v_cmp_le_i32_e64 s0, s8, v0
	s_or_b32 s8, vcc_lo, s0
	s_mov_b32 s0, s13
	s_and_saveexec_b32 s7, s8
	s_cbranch_execnz .LBB5_160
.LBB5_98:
	s_or_b32 exec_lo, exec_lo, s7
	s_delay_alu instid0(SALU_CYCLE_1)
	s_and_not1_b32 s7, s13, exec_lo
	s_and_b32 s8, s0, exec_lo
	s_and_b32 s0, s6, exec_lo
	s_or_b32 s13, s7, s8
.LBB5_99:
	s_or_b32 exec_lo, exec_lo, s14
	s_delay_alu instid0(SALU_CYCLE_1)
	s_and_not1_b32 s3, s3, exec_lo
	s_and_b32 s6, s13, exec_lo
	s_and_b32 s0, s0, exec_lo
	s_or_b32 s3, s3, s6
.LBB5_100:
	s_or_b32 exec_lo, exec_lo, s9
	s_delay_alu instid0(SALU_CYCLE_1)
	s_and_not1_b32 s1, s1, exec_lo
	s_and_b32 s3, s3, exec_lo
	s_and_b32 s0, s0, exec_lo
	s_or_b32 s1, s1, s3
.LBB5_101:
	s_or_b32 exec_lo, exec_lo, s2
	s_delay_alu instid0(SALU_CYCLE_1)
	s_and_not1_b32 s2, s10, exec_lo
	s_and_b32 s1, s1, exec_lo
	s_and_b32 s33, s0, exec_lo
	s_or_b32 s10, s2, s1
	s_or_b32 exec_lo, exec_lo, s11
	s_and_saveexec_b32 s0, s10
	s_cbranch_execnz .LBB5_39
.LBB5_102:
	s_or_b32 exec_lo, exec_lo, s0
	s_and_saveexec_b32 s0, s33
	s_cbranch_execz .LBB5_40
.LBB5_103:
	v_mov_b32_e32 v0, 0
	s_clause 0x3
	global_store_b32 v2, v0, s[4:5]
	global_store_b32 v4, v0, s[4:5]
	;; [unrolled: 1-line block ×4, first 2 shown]
	s_endpgm
.LBB5_104:
	v_dual_mov_b32 v3, 0 :: v_dual_mov_b32 v2, 0
	s_branch .LBB5_109
.LBB5_105:
	v_mov_b64_e32 v[2:3], 0
	v_mov_b32_e32 v1, v0
	s_mov_b32 s24, 0
.LBB5_106:
	s_and_b32 s0, s0, 3
	s_mov_b32 s25, 0
	s_cmp_eq_u32 s0, 0
	s_cbranch_scc1 .LBB5_109
; %bb.107:
	s_lshl_b32 s26, s24, 3
	s_mov_b32 s27, s25
	s_mul_u64 s[28:29], s[24:25], 12
	s_add_nc_u64 s[26:27], s[16:17], s[26:27]
	s_delay_alu instid0(SALU_CYCLE_1)
	s_add_nc_u64 s[24:25], s[26:27], 0xc4
	s_add_nc_u64 s[26:27], s[16:17], s[28:29]
.LBB5_108:                              ; =>This Inner Loop Header: Depth=1
	s_load_b96 s[48:50], s[26:27], 0x4
	s_load_b64 s[28:29], s[24:25], 0x0
	s_add_co_i32 s0, s0, -1
	s_wait_xcnt 0x0
	s_add_nc_u64 s[26:27], s[26:27], 12
	s_cmp_lg_u32 s0, 0
	s_add_nc_u64 s[24:25], s[24:25], 8
	s_wait_kmcnt 0x0
	v_mul_hi_u32 v4, s49, v1
	s_delay_alu instid0(VALU_DEP_1) | instskip(NEXT) | instid1(VALU_DEP_1)
	v_add_nc_u32_e32 v4, v1, v4
	v_lshrrev_b32_e32 v4, s50, v4
	s_delay_alu instid0(VALU_DEP_1) | instskip(NEXT) | instid1(VALU_DEP_1)
	v_mul_lo_u32 v5, v4, s48
	v_sub_nc_u32_e32 v1, v1, v5
	s_delay_alu instid0(VALU_DEP_1)
	v_mad_u32 v3, v1, s29, v3
	v_mad_u32 v2, v1, s28, v2
	v_mov_b32_e32 v1, v4
	s_cbranch_scc1 .LBB5_108
.LBB5_109:
	s_cbranch_execnz .LBB5_112
.LBB5_110:
	v_mov_b32_e32 v1, 0
	s_and_not1_b32 vcc_lo, exec_lo, s39
	s_delay_alu instid0(VALU_DEP_1) | instskip(NEXT) | instid1(VALU_DEP_1)
	v_mul_u64_e32 v[2:3], s[18:19], v[0:1]
	v_add_nc_u32_e32 v2, v0, v3
	s_delay_alu instid0(VALU_DEP_1) | instskip(NEXT) | instid1(VALU_DEP_1)
	v_lshrrev_b32_e32 v4, s10, v2
	v_mul_lo_u32 v2, v4, s8
	s_delay_alu instid0(VALU_DEP_1) | instskip(NEXT) | instid1(VALU_DEP_1)
	v_sub_nc_u32_e32 v2, v0, v2
	v_mul_lo_u32 v3, v2, s13
	v_mul_lo_u32 v2, v2, s12
	s_cbranch_vccnz .LBB5_112
; %bb.111:
	v_mov_b32_e32 v5, v1
	s_delay_alu instid0(VALU_DEP_1) | instskip(NEXT) | instid1(VALU_DEP_1)
	v_mul_u64_e32 v[6:7], s[20:21], v[4:5]
	v_add_nc_u32_e32 v1, v4, v7
	s_delay_alu instid0(VALU_DEP_1) | instskip(NEXT) | instid1(VALU_DEP_1)
	v_lshrrev_b32_e32 v1, s1, v1
	v_mul_lo_u32 v1, v1, s11
	s_delay_alu instid0(VALU_DEP_1) | instskip(NEXT) | instid1(VALU_DEP_1)
	v_sub_nc_u32_e32 v1, v4, v1
	v_mad_u32 v2, v1, s14, v2
	v_mad_u32 v3, v1, s15, v3
.LBB5_112:
	global_load_b32 v1, v3, s[6:7]
	s_wait_loadcnt 0x0
	v_cmp_le_i32_e32 vcc_lo, s36, v1
	v_cmp_gt_i32_e64 s0, s37, v1
	s_and_b32 s24, vcc_lo, s0
	s_mov_b32 s0, 0
	s_and_b32 s26, s38, s24
	s_mov_b32 s24, -1
	s_wait_xcnt 0x0
	s_and_saveexec_b32 s25, s26
; %bb.113:
	v_dual_mov_b32 v1, 0 :: v_dual_add_nc_u32 v0, 0x80, v0
	s_mov_b32 s0, exec_lo
	s_xor_b32 s24, exec_lo, -1
	global_store_b32 v2, v1, s[4:5]
; %bb.114:
	s_wait_xcnt 0x0
	s_or_b32 exec_lo, exec_lo, s25
	s_delay_alu instid0(SALU_CYCLE_1)
	s_and_not1_b32 s25, s9, exec_lo
	s_and_b32 s24, s24, exec_lo
	s_or_not1_b32 s0, s0, exec_lo
	s_or_b32 s44, s25, s24
.LBB5_115:
	s_or_b32 exec_lo, exec_lo, s45
	s_mov_b32 s24, 0
                                        ; implicit-def: $vgpr2
	s_and_saveexec_b32 s45, s0
	s_cbranch_execz .LBB5_155
; %bb.116:
	s_mov_b32 s0, -1
	s_mov_b32 s28, s44
	s_mov_b32 s46, exec_lo
	v_cmpx_gt_i32_e64 s40, v0
	s_cbranch_execz .LBB5_135
; %bb.117:
	s_and_not1_b32 vcc_lo, exec_lo, s34
	s_cbranch_vccnz .LBB5_122
; %bb.118:
	s_and_not1_b32 vcc_lo, exec_lo, s42
	s_cbranch_vccnz .LBB5_123
; %bb.119:
	s_add_co_i32 s0, s41, 1
	s_cmp_eq_u32 s31, 2
	s_cbranch_scc1 .LBB5_124
; %bb.120:
	v_dual_mov_b32 v2, 0 :: v_dual_mov_b32 v3, 0
	v_mov_b32_e32 v1, v0
	s_and_b32 s24, s0, 28
	s_mov_b32 s25, 0
	s_mov_b64 s[26:27], s[16:17]
	s_mov_b64 s[28:29], s[22:23]
.LBB5_121:                              ; =>This Inner Loop Header: Depth=1
	s_clause 0x1
	s_load_b256 s[48:55], s[26:27], 0x4
	s_load_b128 s[64:67], s[26:27], 0x24
	s_load_b256 s[56:63], s[28:29], 0x0
	s_add_co_i32 s25, s25, 4
	s_wait_xcnt 0x0
	s_add_nc_u64 s[26:27], s[26:27], 48
	s_cmp_eq_u32 s24, s25
	s_add_nc_u64 s[28:29], s[28:29], 32
	s_wait_kmcnt 0x0
	v_mul_hi_u32 v4, s49, v1
	s_delay_alu instid0(VALU_DEP_1) | instskip(NEXT) | instid1(VALU_DEP_1)
	v_add_nc_u32_e32 v4, v1, v4
	v_lshrrev_b32_e32 v4, s50, v4
	s_delay_alu instid0(VALU_DEP_1) | instskip(NEXT) | instid1(VALU_DEP_1)
	v_mul_hi_u32 v5, s52, v4
	v_add_nc_u32_e32 v5, v4, v5
	s_delay_alu instid0(VALU_DEP_1) | instskip(NEXT) | instid1(VALU_DEP_1)
	v_lshrrev_b32_e32 v5, s53, v5
	v_mul_hi_u32 v6, s55, v5
	s_delay_alu instid0(VALU_DEP_1) | instskip(SKIP_1) | instid1(VALU_DEP_1)
	v_add_nc_u32_e32 v6, v5, v6
	v_mul_lo_u32 v7, v4, s48
	v_sub_nc_u32_e32 v1, v1, v7
	v_mul_lo_u32 v7, v5, s51
	s_delay_alu instid0(VALU_DEP_4) | instskip(NEXT) | instid1(VALU_DEP_3)
	v_lshrrev_b32_e32 v6, s64, v6
	v_mad_u32 v3, v1, s57, v3
	v_mad_u32 v1, v1, s56, v2
	s_delay_alu instid0(VALU_DEP_4) | instskip(NEXT) | instid1(VALU_DEP_4)
	v_sub_nc_u32_e32 v2, v4, v7
	v_mul_hi_u32 v8, s66, v6
	v_mul_lo_u32 v4, v6, s54
	s_delay_alu instid0(VALU_DEP_3) | instskip(SKIP_1) | instid1(VALU_DEP_4)
	v_mad_u32 v3, v2, s59, v3
	v_mad_u32 v2, v2, s58, v1
	v_add_nc_u32_e32 v7, v6, v8
	s_delay_alu instid0(VALU_DEP_1) | instskip(NEXT) | instid1(VALU_DEP_1)
	v_dual_sub_nc_u32 v4, v5, v4 :: v_dual_lshrrev_b32 v1, s67, v7
	v_mad_u32 v3, v4, s61, v3
	s_delay_alu instid0(VALU_DEP_4) | instskip(NEXT) | instid1(VALU_DEP_3)
	v_mad_u32 v2, v4, s60, v2
	v_mul_lo_u32 v5, v1, s65
	s_delay_alu instid0(VALU_DEP_1) | instskip(NEXT) | instid1(VALU_DEP_1)
	v_sub_nc_u32_e32 v4, v6, v5
	v_mad_u32 v3, v4, s63, v3
	s_delay_alu instid0(VALU_DEP_4)
	v_mad_u32 v2, v4, s62, v2
	s_cbranch_scc0 .LBB5_121
	s_branch .LBB5_125
.LBB5_122:
                                        ; implicit-def: $vgpr3
	s_branch .LBB5_129
.LBB5_123:
	v_dual_mov_b32 v3, 0 :: v_dual_mov_b32 v2, 0
	s_branch .LBB5_128
.LBB5_124:
	v_mov_b64_e32 v[2:3], 0
	v_mov_b32_e32 v1, v0
.LBB5_125:
	s_and_b32 s0, s0, 3
	s_mov_b32 s25, 0
	s_cmp_eq_u32 s0, 0
	s_cbranch_scc1 .LBB5_128
; %bb.126:
	s_lshl_b32 s26, s24, 3
	s_mov_b32 s27, s25
	s_mul_u64 s[28:29], s[24:25], 12
	s_add_nc_u64 s[26:27], s[16:17], s[26:27]
	s_delay_alu instid0(SALU_CYCLE_1)
	s_add_nc_u64 s[24:25], s[26:27], 0xc4
	s_add_nc_u64 s[26:27], s[16:17], s[28:29]
.LBB5_127:                              ; =>This Inner Loop Header: Depth=1
	s_load_b96 s[48:50], s[26:27], 0x4
	s_load_b64 s[28:29], s[24:25], 0x0
	s_add_co_i32 s0, s0, -1
	s_wait_xcnt 0x0
	s_add_nc_u64 s[26:27], s[26:27], 12
	s_cmp_lg_u32 s0, 0
	s_add_nc_u64 s[24:25], s[24:25], 8
	s_wait_kmcnt 0x0
	v_mul_hi_u32 v4, s49, v1
	s_delay_alu instid0(VALU_DEP_1) | instskip(NEXT) | instid1(VALU_DEP_1)
	v_add_nc_u32_e32 v4, v1, v4
	v_lshrrev_b32_e32 v4, s50, v4
	s_delay_alu instid0(VALU_DEP_1) | instskip(NEXT) | instid1(VALU_DEP_1)
	v_mul_lo_u32 v5, v4, s48
	v_sub_nc_u32_e32 v1, v1, v5
	s_delay_alu instid0(VALU_DEP_1)
	v_mad_u32 v3, v1, s29, v3
	v_mad_u32 v2, v1, s28, v2
	v_mov_b32_e32 v1, v4
	s_cbranch_scc1 .LBB5_127
.LBB5_128:
	s_mov_b32 s0, 0
.LBB5_129:
	s_delay_alu instid0(SALU_CYCLE_1)
	s_and_not1_b32 vcc_lo, exec_lo, s0
	s_cbranch_vccnz .LBB5_132
; %bb.130:
	v_mov_b32_e32 v1, 0
	s_and_not1_b32 vcc_lo, exec_lo, s39
	s_delay_alu instid0(VALU_DEP_1) | instskip(NEXT) | instid1(VALU_DEP_1)
	v_mul_u64_e32 v[2:3], s[18:19], v[0:1]
	v_add_nc_u32_e32 v2, v0, v3
	s_delay_alu instid0(VALU_DEP_1) | instskip(NEXT) | instid1(VALU_DEP_1)
	v_lshrrev_b32_e32 v4, s10, v2
	v_mul_lo_u32 v2, v4, s8
	s_delay_alu instid0(VALU_DEP_1) | instskip(NEXT) | instid1(VALU_DEP_1)
	v_sub_nc_u32_e32 v2, v0, v2
	v_mul_lo_u32 v3, v2, s13
	v_mul_lo_u32 v2, v2, s12
	s_cbranch_vccnz .LBB5_132
; %bb.131:
	v_mov_b32_e32 v5, v1
	s_delay_alu instid0(VALU_DEP_1) | instskip(NEXT) | instid1(VALU_DEP_1)
	v_mul_u64_e32 v[6:7], s[20:21], v[4:5]
	v_add_nc_u32_e32 v1, v4, v7
	s_delay_alu instid0(VALU_DEP_1) | instskip(NEXT) | instid1(VALU_DEP_1)
	v_lshrrev_b32_e32 v1, s1, v1
	v_mul_lo_u32 v1, v1, s11
	s_delay_alu instid0(VALU_DEP_1) | instskip(NEXT) | instid1(VALU_DEP_1)
	v_sub_nc_u32_e32 v1, v4, v1
	v_mad_u32 v2, v1, s14, v2
	v_mad_u32 v3, v1, s15, v3
.LBB5_132:
	global_load_b32 v1, v3, s[6:7]
	s_wait_loadcnt 0x0
	v_cmp_le_i32_e32 vcc_lo, s36, v1
	v_cmp_gt_i32_e64 s0, s37, v1
	s_and_b32 s24, vcc_lo, s0
	s_mov_b32 s0, 0
	s_and_b32 s26, s38, s24
	s_mov_b32 s24, -1
	s_wait_xcnt 0x0
	s_and_saveexec_b32 s25, s26
; %bb.133:
	v_dual_mov_b32 v1, 0 :: v_dual_add_nc_u32 v0, 0x80, v0
	s_mov_b32 s0, exec_lo
	s_xor_b32 s24, exec_lo, -1
	global_store_b32 v2, v1, s[4:5]
; %bb.134:
	s_wait_xcnt 0x0
	s_or_b32 exec_lo, exec_lo, s25
	s_delay_alu instid0(SALU_CYCLE_1)
	s_and_not1_b32 s25, s44, exec_lo
	s_and_b32 s24, s24, exec_lo
	s_or_not1_b32 s0, s0, exec_lo
	s_or_b32 s28, s25, s24
.LBB5_135:
	s_or_b32 exec_lo, exec_lo, s46
	s_mov_b32 s24, 0
                                        ; implicit-def: $vgpr2
	s_and_saveexec_b32 s29, s0
	s_cbranch_execz .LBB5_154
; %bb.136:
	v_cmp_gt_i32_e32 vcc_lo, s40, v0
	s_mov_b32 s0, s28
                                        ; implicit-def: $vgpr2
	s_and_saveexec_b32 s40, vcc_lo
	s_cbranch_execz .LBB5_153
; %bb.137:
	s_and_not1_b32 vcc_lo, exec_lo, s34
	s_cbranch_vccnz .LBB5_142
; %bb.138:
	s_and_not1_b32 vcc_lo, exec_lo, s42
	s_cbranch_vccnz .LBB5_143
; %bb.139:
	s_add_co_i32 s41, s41, 1
	s_cmp_eq_u32 s31, 2
	s_cbranch_scc1 .LBB5_144
; %bb.140:
	v_dual_mov_b32 v2, 0 :: v_dual_mov_b32 v3, 0
	v_mov_b32_e32 v1, v0
	s_and_b32 s24, s41, 28
	s_mov_b32 s0, 0
	s_mov_b64 s[26:27], s[16:17]
.LBB5_141:                              ; =>This Inner Loop Header: Depth=1
	s_clause 0x1
	s_load_b256 s[48:55], s[26:27], 0x4
	s_load_b128 s[64:67], s[26:27], 0x24
	s_load_b256 s[56:63], s[22:23], 0x0
	s_add_co_i32 s0, s0, 4
	s_wait_xcnt 0x0
	s_add_nc_u64 s[26:27], s[26:27], 48
	s_cmp_eq_u32 s24, s0
	s_add_nc_u64 s[22:23], s[22:23], 32
	s_wait_kmcnt 0x0
	v_mul_hi_u32 v4, s49, v1
	s_delay_alu instid0(VALU_DEP_1) | instskip(NEXT) | instid1(VALU_DEP_1)
	v_add_nc_u32_e32 v4, v1, v4
	v_lshrrev_b32_e32 v4, s50, v4
	s_delay_alu instid0(VALU_DEP_1) | instskip(NEXT) | instid1(VALU_DEP_1)
	v_mul_hi_u32 v5, s52, v4
	v_add_nc_u32_e32 v5, v4, v5
	s_delay_alu instid0(VALU_DEP_1) | instskip(NEXT) | instid1(VALU_DEP_1)
	v_lshrrev_b32_e32 v5, s53, v5
	v_mul_hi_u32 v6, s55, v5
	s_delay_alu instid0(VALU_DEP_1) | instskip(SKIP_1) | instid1(VALU_DEP_1)
	v_add_nc_u32_e32 v6, v5, v6
	v_mul_lo_u32 v7, v4, s48
	v_sub_nc_u32_e32 v1, v1, v7
	v_mul_lo_u32 v7, v5, s51
	s_delay_alu instid0(VALU_DEP_4) | instskip(NEXT) | instid1(VALU_DEP_3)
	v_lshrrev_b32_e32 v6, s64, v6
	v_mad_u32 v3, v1, s57, v3
	v_mad_u32 v1, v1, s56, v2
	s_delay_alu instid0(VALU_DEP_4) | instskip(NEXT) | instid1(VALU_DEP_4)
	v_sub_nc_u32_e32 v2, v4, v7
	v_mul_hi_u32 v8, s66, v6
	v_mul_lo_u32 v4, v6, s54
	s_delay_alu instid0(VALU_DEP_3) | instskip(SKIP_1) | instid1(VALU_DEP_4)
	v_mad_u32 v3, v2, s59, v3
	v_mad_u32 v2, v2, s58, v1
	v_add_nc_u32_e32 v7, v6, v8
	s_delay_alu instid0(VALU_DEP_1) | instskip(NEXT) | instid1(VALU_DEP_1)
	v_dual_sub_nc_u32 v4, v5, v4 :: v_dual_lshrrev_b32 v1, s67, v7
	v_mad_u32 v3, v4, s61, v3
	s_delay_alu instid0(VALU_DEP_4) | instskip(NEXT) | instid1(VALU_DEP_3)
	v_mad_u32 v2, v4, s60, v2
	v_mul_lo_u32 v5, v1, s65
	s_delay_alu instid0(VALU_DEP_1) | instskip(NEXT) | instid1(VALU_DEP_1)
	v_sub_nc_u32_e32 v4, v6, v5
	v_mad_u32 v3, v4, s63, v3
	s_delay_alu instid0(VALU_DEP_4)
	v_mad_u32 v2, v4, s62, v2
	s_cbranch_scc0 .LBB5_141
	s_branch .LBB5_145
.LBB5_142:
	s_mov_b32 s0, -1
                                        ; implicit-def: $vgpr3
	s_branch .LBB5_149
.LBB5_143:
	v_dual_mov_b32 v3, 0 :: v_dual_mov_b32 v2, 0
	s_branch .LBB5_148
.LBB5_144:
	v_mov_b64_e32 v[2:3], 0
	v_mov_b32_e32 v1, v0
.LBB5_145:
	s_and_b32 s0, s41, 3
	s_mov_b32 s25, 0
	s_cmp_eq_u32 s0, 0
	s_cbranch_scc1 .LBB5_148
; %bb.146:
	s_lshl_b32 s22, s24, 3
	s_mov_b32 s23, s25
	s_mul_u64 s[24:25], s[24:25], 12
	s_add_nc_u64 s[22:23], s[16:17], s[22:23]
	s_add_nc_u64 s[24:25], s[16:17], s[24:25]
	;; [unrolled: 1-line block ×3, first 2 shown]
.LBB5_147:                              ; =>This Inner Loop Header: Depth=1
	s_load_b96 s[48:50], s[24:25], 0x4
	s_load_b64 s[26:27], s[22:23], 0x0
	s_add_co_i32 s0, s0, -1
	s_wait_xcnt 0x0
	s_add_nc_u64 s[24:25], s[24:25], 12
	s_cmp_lg_u32 s0, 0
	s_add_nc_u64 s[22:23], s[22:23], 8
	s_wait_kmcnt 0x0
	v_mul_hi_u32 v4, s49, v1
	s_delay_alu instid0(VALU_DEP_1) | instskip(NEXT) | instid1(VALU_DEP_1)
	v_add_nc_u32_e32 v4, v1, v4
	v_lshrrev_b32_e32 v4, s50, v4
	s_delay_alu instid0(VALU_DEP_1) | instskip(NEXT) | instid1(VALU_DEP_1)
	v_mul_lo_u32 v5, v4, s48
	v_sub_nc_u32_e32 v1, v1, v5
	s_delay_alu instid0(VALU_DEP_1)
	v_mad_u32 v3, v1, s27, v3
	v_mad_u32 v2, v1, s26, v2
	v_mov_b32_e32 v1, v4
	s_cbranch_scc1 .LBB5_147
.LBB5_148:
	s_mov_b32 s0, 0
.LBB5_149:
	s_delay_alu instid0(SALU_CYCLE_1)
	s_and_not1_b32 vcc_lo, exec_lo, s0
	s_cbranch_vccnz .LBB5_152
; %bb.150:
	v_mov_b32_e32 v1, 0
	s_and_not1_b32 vcc_lo, exec_lo, s39
	s_delay_alu instid0(VALU_DEP_1) | instskip(NEXT) | instid1(VALU_DEP_1)
	v_mul_u64_e32 v[2:3], s[18:19], v[0:1]
	v_add_nc_u32_e32 v2, v0, v3
	s_delay_alu instid0(VALU_DEP_1) | instskip(NEXT) | instid1(VALU_DEP_1)
	v_lshrrev_b32_e32 v4, s10, v2
	v_mul_lo_u32 v2, v4, s8
	s_delay_alu instid0(VALU_DEP_1) | instskip(NEXT) | instid1(VALU_DEP_1)
	v_sub_nc_u32_e32 v0, v0, v2
	v_mul_lo_u32 v3, v0, s13
	v_mul_lo_u32 v2, v0, s12
	s_cbranch_vccnz .LBB5_152
; %bb.151:
	v_mov_b32_e32 v5, v1
	s_delay_alu instid0(VALU_DEP_1) | instskip(NEXT) | instid1(VALU_DEP_1)
	v_mul_u64_e32 v[0:1], s[20:21], v[4:5]
	v_add_nc_u32_e32 v0, v4, v1
	s_delay_alu instid0(VALU_DEP_1) | instskip(NEXT) | instid1(VALU_DEP_1)
	v_lshrrev_b32_e32 v0, s1, v0
	v_mul_lo_u32 v0, v0, s11
	s_delay_alu instid0(VALU_DEP_1) | instskip(NEXT) | instid1(VALU_DEP_1)
	v_sub_nc_u32_e32 v0, v4, v0
	v_mad_u32 v2, v0, s14, v2
	v_mad_u32 v3, v0, s15, v3
.LBB5_152:
	global_load_b32 v0, v3, s[6:7]
	s_and_not1_b32 s1, s28, exec_lo
	s_mov_b32 s24, exec_lo
	s_wait_loadcnt 0x0
	v_cmp_le_i32_e32 vcc_lo, s36, v0
	v_cmp_gt_i32_e64 s0, s37, v0
	s_and_b32 s0, vcc_lo, s0
	s_delay_alu instid0(SALU_CYCLE_1) | instskip(NEXT) | instid1(SALU_CYCLE_1)
	s_and_b32 s0, s38, s0
	s_xor_b32 s0, s0, -1
	s_delay_alu instid0(SALU_CYCLE_1) | instskip(NEXT) | instid1(SALU_CYCLE_1)
	s_and_b32 s0, s0, exec_lo
	s_or_b32 s0, s1, s0
.LBB5_153:
	s_wait_xcnt 0x0
	s_or_b32 exec_lo, exec_lo, s40
	s_delay_alu instid0(SALU_CYCLE_1)
	s_and_not1_b32 s1, s28, exec_lo
	s_and_b32 s0, s0, exec_lo
	s_and_b32 s24, s24, exec_lo
	s_or_b32 s28, s1, s0
.LBB5_154:
	s_or_b32 exec_lo, exec_lo, s29
	s_delay_alu instid0(SALU_CYCLE_1)
	s_and_not1_b32 s0, s44, exec_lo
	s_and_b32 s1, s28, exec_lo
	s_and_b32 s24, s24, exec_lo
	s_or_b32 s44, s0, s1
.LBB5_155:
	s_or_b32 exec_lo, exec_lo, s45
	s_delay_alu instid0(SALU_CYCLE_1)
	s_and_not1_b32 s0, s9, exec_lo
	s_and_b32 s1, s44, exec_lo
	s_and_b32 s19, s24, exec_lo
	s_or_b32 s9, s0, s1
	s_or_b32 exec_lo, exec_lo, s43
	s_mov_b32 s0, 0
	s_and_saveexec_b32 s1, s9
	s_cbranch_execz .LBB5_28
.LBB5_156:
	s_mov_b32 s0, exec_lo
	s_and_not1_b32 s19, s19, exec_lo
	s_trap 2
	s_or_b32 exec_lo, exec_lo, s1
	s_and_saveexec_b32 s1, s19
	s_delay_alu instid0(SALU_CYCLE_1)
	s_xor_b32 s1, exec_lo, s1
	s_cbranch_execnz .LBB5_29
	s_branch .LBB5_30
.LBB5_157:
	s_or_b32 s1, s10, exec_lo
	s_trap 2
	s_or_saveexec_b32 s2, s0
	s_mov_b32 s0, 0
	s_xor_b32 exec_lo, exec_lo, s2
	s_cbranch_execnz .LBB5_93
	s_branch .LBB5_101
.LBB5_158:
	s_or_b32 s3, s1, exec_lo
	s_trap 2
	s_or_saveexec_b32 s9, s0
	s_mov_b32 s0, 0
	s_xor_b32 exec_lo, exec_lo, s9
	s_cbranch_execnz .LBB5_95
	s_branch .LBB5_100
.LBB5_159:
	s_or_b32 s13, s3, exec_lo
	s_trap 2
	s_or_saveexec_b32 s14, s0
	s_mov_b32 s0, 0
	s_xor_b32 exec_lo, exec_lo, s14
	s_cbranch_execnz .LBB5_97
	s_branch .LBB5_99
.LBB5_160:
	s_xor_b32 s6, exec_lo, -1
	s_or_b32 s0, s13, exec_lo
	s_trap 2
	s_branch .LBB5_98
	.section	.rodata,"a",@progbits
	.p2align	6, 0x0
	.amdhsa_kernel _ZN2at6native32elementwise_kernel_manual_unrollILi128ELi4EZNS0_22gpu_kernel_impl_nocastIZZZNS0_12_GLOBAL__N_142_validate_compressed_sparse_indices_kernelILNS3_8CDimNameE0ENS3_18CUDAKernelLauncherENS3_14EmptyVecKernelENS3_8DummyVecELm8EEEvRKNS_6TensorESB_lllENKUlvE0_clEvENKUlvE_clEvEUliE_EEvRNS_18TensorIteratorBaseERKT_EUlibE_EEviT1_
		.amdhsa_group_segment_fixed_size 0
		.amdhsa_private_segment_fixed_size 0
		.amdhsa_kernarg_size 368
		.amdhsa_user_sgpr_count 2
		.amdhsa_user_sgpr_dispatch_ptr 0
		.amdhsa_user_sgpr_queue_ptr 0
		.amdhsa_user_sgpr_kernarg_segment_ptr 1
		.amdhsa_user_sgpr_dispatch_id 0
		.amdhsa_user_sgpr_kernarg_preload_length 0
		.amdhsa_user_sgpr_kernarg_preload_offset 0
		.amdhsa_user_sgpr_private_segment_size 0
		.amdhsa_wavefront_size32 1
		.amdhsa_uses_dynamic_stack 0
		.amdhsa_enable_private_segment 0
		.amdhsa_system_sgpr_workgroup_id_x 1
		.amdhsa_system_sgpr_workgroup_id_y 0
		.amdhsa_system_sgpr_workgroup_id_z 0
		.amdhsa_system_sgpr_workgroup_info 0
		.amdhsa_system_vgpr_workitem_id 0
		.amdhsa_next_free_vgpr 15
		.amdhsa_next_free_sgpr 68
		.amdhsa_named_barrier_count 0
		.amdhsa_reserve_vcc 1
		.amdhsa_float_round_mode_32 0
		.amdhsa_float_round_mode_16_64 0
		.amdhsa_float_denorm_mode_32 3
		.amdhsa_float_denorm_mode_16_64 3
		.amdhsa_fp16_overflow 0
		.amdhsa_memory_ordered 1
		.amdhsa_forward_progress 1
		.amdhsa_inst_pref_size 57
		.amdhsa_round_robin_scheduling 0
		.amdhsa_exception_fp_ieee_invalid_op 0
		.amdhsa_exception_fp_denorm_src 0
		.amdhsa_exception_fp_ieee_div_zero 0
		.amdhsa_exception_fp_ieee_overflow 0
		.amdhsa_exception_fp_ieee_underflow 0
		.amdhsa_exception_fp_ieee_inexact 0
		.amdhsa_exception_int_div_zero 0
	.end_amdhsa_kernel
	.section	.text._ZN2at6native32elementwise_kernel_manual_unrollILi128ELi4EZNS0_22gpu_kernel_impl_nocastIZZZNS0_12_GLOBAL__N_142_validate_compressed_sparse_indices_kernelILNS3_8CDimNameE0ENS3_18CUDAKernelLauncherENS3_14EmptyVecKernelENS3_8DummyVecELm8EEEvRKNS_6TensorESB_lllENKUlvE0_clEvENKUlvE_clEvEUliE_EEvRNS_18TensorIteratorBaseERKT_EUlibE_EEviT1_,"axG",@progbits,_ZN2at6native32elementwise_kernel_manual_unrollILi128ELi4EZNS0_22gpu_kernel_impl_nocastIZZZNS0_12_GLOBAL__N_142_validate_compressed_sparse_indices_kernelILNS3_8CDimNameE0ENS3_18CUDAKernelLauncherENS3_14EmptyVecKernelENS3_8DummyVecELm8EEEvRKNS_6TensorESB_lllENKUlvE0_clEvENKUlvE_clEvEUliE_EEvRNS_18TensorIteratorBaseERKT_EUlibE_EEviT1_,comdat
.Lfunc_end5:
	.size	_ZN2at6native32elementwise_kernel_manual_unrollILi128ELi4EZNS0_22gpu_kernel_impl_nocastIZZZNS0_12_GLOBAL__N_142_validate_compressed_sparse_indices_kernelILNS3_8CDimNameE0ENS3_18CUDAKernelLauncherENS3_14EmptyVecKernelENS3_8DummyVecELm8EEEvRKNS_6TensorESB_lllENKUlvE0_clEvENKUlvE_clEvEUliE_EEvRNS_18TensorIteratorBaseERKT_EUlibE_EEviT1_, .Lfunc_end5-_ZN2at6native32elementwise_kernel_manual_unrollILi128ELi4EZNS0_22gpu_kernel_impl_nocastIZZZNS0_12_GLOBAL__N_142_validate_compressed_sparse_indices_kernelILNS3_8CDimNameE0ENS3_18CUDAKernelLauncherENS3_14EmptyVecKernelENS3_8DummyVecELm8EEEvRKNS_6TensorESB_lllENKUlvE0_clEvENKUlvE_clEvEUliE_EEvRNS_18TensorIteratorBaseERKT_EUlibE_EEviT1_
                                        ; -- End function
	.set _ZN2at6native32elementwise_kernel_manual_unrollILi128ELi4EZNS0_22gpu_kernel_impl_nocastIZZZNS0_12_GLOBAL__N_142_validate_compressed_sparse_indices_kernelILNS3_8CDimNameE0ENS3_18CUDAKernelLauncherENS3_14EmptyVecKernelENS3_8DummyVecELm8EEEvRKNS_6TensorESB_lllENKUlvE0_clEvENKUlvE_clEvEUliE_EEvRNS_18TensorIteratorBaseERKT_EUlibE_EEviT1_.num_vgpr, 15
	.set _ZN2at6native32elementwise_kernel_manual_unrollILi128ELi4EZNS0_22gpu_kernel_impl_nocastIZZZNS0_12_GLOBAL__N_142_validate_compressed_sparse_indices_kernelILNS3_8CDimNameE0ENS3_18CUDAKernelLauncherENS3_14EmptyVecKernelENS3_8DummyVecELm8EEEvRKNS_6TensorESB_lllENKUlvE0_clEvENKUlvE_clEvEUliE_EEvRNS_18TensorIteratorBaseERKT_EUlibE_EEviT1_.num_agpr, 0
	.set _ZN2at6native32elementwise_kernel_manual_unrollILi128ELi4EZNS0_22gpu_kernel_impl_nocastIZZZNS0_12_GLOBAL__N_142_validate_compressed_sparse_indices_kernelILNS3_8CDimNameE0ENS3_18CUDAKernelLauncherENS3_14EmptyVecKernelENS3_8DummyVecELm8EEEvRKNS_6TensorESB_lllENKUlvE0_clEvENKUlvE_clEvEUliE_EEvRNS_18TensorIteratorBaseERKT_EUlibE_EEviT1_.numbered_sgpr, 68
	.set _ZN2at6native32elementwise_kernel_manual_unrollILi128ELi4EZNS0_22gpu_kernel_impl_nocastIZZZNS0_12_GLOBAL__N_142_validate_compressed_sparse_indices_kernelILNS3_8CDimNameE0ENS3_18CUDAKernelLauncherENS3_14EmptyVecKernelENS3_8DummyVecELm8EEEvRKNS_6TensorESB_lllENKUlvE0_clEvENKUlvE_clEvEUliE_EEvRNS_18TensorIteratorBaseERKT_EUlibE_EEviT1_.num_named_barrier, 0
	.set _ZN2at6native32elementwise_kernel_manual_unrollILi128ELi4EZNS0_22gpu_kernel_impl_nocastIZZZNS0_12_GLOBAL__N_142_validate_compressed_sparse_indices_kernelILNS3_8CDimNameE0ENS3_18CUDAKernelLauncherENS3_14EmptyVecKernelENS3_8DummyVecELm8EEEvRKNS_6TensorESB_lllENKUlvE0_clEvENKUlvE_clEvEUliE_EEvRNS_18TensorIteratorBaseERKT_EUlibE_EEviT1_.private_seg_size, 0
	.set _ZN2at6native32elementwise_kernel_manual_unrollILi128ELi4EZNS0_22gpu_kernel_impl_nocastIZZZNS0_12_GLOBAL__N_142_validate_compressed_sparse_indices_kernelILNS3_8CDimNameE0ENS3_18CUDAKernelLauncherENS3_14EmptyVecKernelENS3_8DummyVecELm8EEEvRKNS_6TensorESB_lllENKUlvE0_clEvENKUlvE_clEvEUliE_EEvRNS_18TensorIteratorBaseERKT_EUlibE_EEviT1_.uses_vcc, 1
	.set _ZN2at6native32elementwise_kernel_manual_unrollILi128ELi4EZNS0_22gpu_kernel_impl_nocastIZZZNS0_12_GLOBAL__N_142_validate_compressed_sparse_indices_kernelILNS3_8CDimNameE0ENS3_18CUDAKernelLauncherENS3_14EmptyVecKernelENS3_8DummyVecELm8EEEvRKNS_6TensorESB_lllENKUlvE0_clEvENKUlvE_clEvEUliE_EEvRNS_18TensorIteratorBaseERKT_EUlibE_EEviT1_.uses_flat_scratch, 0
	.set _ZN2at6native32elementwise_kernel_manual_unrollILi128ELi4EZNS0_22gpu_kernel_impl_nocastIZZZNS0_12_GLOBAL__N_142_validate_compressed_sparse_indices_kernelILNS3_8CDimNameE0ENS3_18CUDAKernelLauncherENS3_14EmptyVecKernelENS3_8DummyVecELm8EEEvRKNS_6TensorESB_lllENKUlvE0_clEvENKUlvE_clEvEUliE_EEvRNS_18TensorIteratorBaseERKT_EUlibE_EEviT1_.has_dyn_sized_stack, 0
	.set _ZN2at6native32elementwise_kernel_manual_unrollILi128ELi4EZNS0_22gpu_kernel_impl_nocastIZZZNS0_12_GLOBAL__N_142_validate_compressed_sparse_indices_kernelILNS3_8CDimNameE0ENS3_18CUDAKernelLauncherENS3_14EmptyVecKernelENS3_8DummyVecELm8EEEvRKNS_6TensorESB_lllENKUlvE0_clEvENKUlvE_clEvEUliE_EEvRNS_18TensorIteratorBaseERKT_EUlibE_EEviT1_.has_recursion, 0
	.set _ZN2at6native32elementwise_kernel_manual_unrollILi128ELi4EZNS0_22gpu_kernel_impl_nocastIZZZNS0_12_GLOBAL__N_142_validate_compressed_sparse_indices_kernelILNS3_8CDimNameE0ENS3_18CUDAKernelLauncherENS3_14EmptyVecKernelENS3_8DummyVecELm8EEEvRKNS_6TensorESB_lllENKUlvE0_clEvENKUlvE_clEvEUliE_EEvRNS_18TensorIteratorBaseERKT_EUlibE_EEviT1_.has_indirect_call, 0
	.section	.AMDGPU.csdata,"",@progbits
; Kernel info:
; codeLenInByte = 7196
; TotalNumSgprs: 70
; NumVgprs: 15
; ScratchSize: 0
; MemoryBound: 0
; FloatMode: 240
; IeeeMode: 1
; LDSByteSize: 0 bytes/workgroup (compile time only)
; SGPRBlocks: 0
; VGPRBlocks: 0
; NumSGPRsForWavesPerEU: 70
; NumVGPRsForWavesPerEU: 15
; NamedBarCnt: 0
; Occupancy: 16
; WaveLimiterHint : 1
; COMPUTE_PGM_RSRC2:SCRATCH_EN: 0
; COMPUTE_PGM_RSRC2:USER_SGPR: 2
; COMPUTE_PGM_RSRC2:TRAP_HANDLER: 0
; COMPUTE_PGM_RSRC2:TGID_X_EN: 1
; COMPUTE_PGM_RSRC2:TGID_Y_EN: 0
; COMPUTE_PGM_RSRC2:TGID_Z_EN: 0
; COMPUTE_PGM_RSRC2:TIDIG_COMP_CNT: 0
	.section	.text._ZN2at6native32elementwise_kernel_manual_unrollILi128ELi4EZNS0_15gpu_kernel_implIZZZNS0_12_GLOBAL__N_142_validate_compressed_sparse_indices_kernelILNS3_8CDimNameE0ENS3_18CUDAKernelLauncherENS3_14EmptyVecKernelENS3_8DummyVecELm8EEEvRKNS_6TensorESB_lllENKUlvE0_clEvENKUlvE_clEvEUliE_EEvRNS_18TensorIteratorBaseERKT_EUlibE_EEviT1_,"axG",@progbits,_ZN2at6native32elementwise_kernel_manual_unrollILi128ELi4EZNS0_15gpu_kernel_implIZZZNS0_12_GLOBAL__N_142_validate_compressed_sparse_indices_kernelILNS3_8CDimNameE0ENS3_18CUDAKernelLauncherENS3_14EmptyVecKernelENS3_8DummyVecELm8EEEvRKNS_6TensorESB_lllENKUlvE0_clEvENKUlvE_clEvEUliE_EEvRNS_18TensorIteratorBaseERKT_EUlibE_EEviT1_,comdat
	.globl	_ZN2at6native32elementwise_kernel_manual_unrollILi128ELi4EZNS0_15gpu_kernel_implIZZZNS0_12_GLOBAL__N_142_validate_compressed_sparse_indices_kernelILNS3_8CDimNameE0ENS3_18CUDAKernelLauncherENS3_14EmptyVecKernelENS3_8DummyVecELm8EEEvRKNS_6TensorESB_lllENKUlvE0_clEvENKUlvE_clEvEUliE_EEvRNS_18TensorIteratorBaseERKT_EUlibE_EEviT1_ ; -- Begin function _ZN2at6native32elementwise_kernel_manual_unrollILi128ELi4EZNS0_15gpu_kernel_implIZZZNS0_12_GLOBAL__N_142_validate_compressed_sparse_indices_kernelILNS3_8CDimNameE0ENS3_18CUDAKernelLauncherENS3_14EmptyVecKernelENS3_8DummyVecELm8EEEvRKNS_6TensorESB_lllENKUlvE0_clEvENKUlvE_clEvEUliE_EEvRNS_18TensorIteratorBaseERKT_EUlibE_EEviT1_
	.p2align	8
	.type	_ZN2at6native32elementwise_kernel_manual_unrollILi128ELi4EZNS0_15gpu_kernel_implIZZZNS0_12_GLOBAL__N_142_validate_compressed_sparse_indices_kernelILNS3_8CDimNameE0ENS3_18CUDAKernelLauncherENS3_14EmptyVecKernelENS3_8DummyVecELm8EEEvRKNS_6TensorESB_lllENKUlvE0_clEvENKUlvE_clEvEUliE_EEvRNS_18TensorIteratorBaseERKT_EUlibE_EEviT1_,@function
_ZN2at6native32elementwise_kernel_manual_unrollILi128ELi4EZNS0_15gpu_kernel_implIZZZNS0_12_GLOBAL__N_142_validate_compressed_sparse_indices_kernelILNS3_8CDimNameE0ENS3_18CUDAKernelLauncherENS3_14EmptyVecKernelENS3_8DummyVecELm8EEEvRKNS_6TensorESB_lllENKUlvE0_clEvENKUlvE_clEvEUliE_EEvRNS_18TensorIteratorBaseERKT_EUlibE_EEviT1_: ; @_ZN2at6native32elementwise_kernel_manual_unrollILi128ELi4EZNS0_15gpu_kernel_implIZZZNS0_12_GLOBAL__N_142_validate_compressed_sparse_indices_kernelILNS3_8CDimNameE0ENS3_18CUDAKernelLauncherENS3_14EmptyVecKernelENS3_8DummyVecELm8EEEvRKNS_6TensorESB_lllENKUlvE0_clEvENKUlvE_clEvEUliE_EEvRNS_18TensorIteratorBaseERKT_EUlibE_EEviT1_
; %bb.0:
	s_clause 0x1
	s_load_b96 s[12:14], s[0:1], 0x28
	s_load_b96 s[8:10], s[0:1], 0x18
	s_bfe_u32 s2, ttmp6, 0x4000c
	s_wait_kmcnt 0x0
	s_clause 0x1
	s_load_b32 s13, s[0:1], 0x0
	s_load_b128 s[4:7], s[0:1], 0x8
	s_add_co_i32 s2, s2, 1
	s_and_b32 s3, ttmp6, 15
	s_wait_xcnt 0x0
	s_mul_i32 s0, ttmp9, s2
	s_getreg_b32 s11, hwreg(HW_REG_IB_STS2, 6, 4)
	s_add_co_i32 s3, s3, s0
	s_mov_b32 s1, 0
	s_bfe_u32 s2, s14, 0x80008
	s_cmp_eq_u32 s11, 0
	s_mov_b32 s11, 0
	s_cselect_b32 s0, ttmp9, s3
	s_delay_alu instid0(SALU_CYCLE_1) | instskip(SKIP_1) | instid1(VALU_DEP_1)
	v_lshl_or_b32 v4, s0, 9, v0
	s_mov_b32 s0, exec_lo
	v_or_b32_e32 v0, 0x180, v4
	s_wait_kmcnt 0x0
	s_delay_alu instid0(VALU_DEP_1)
	v_cmpx_le_i32_e64 s13, v0
	s_xor_b32 s3, exec_lo, s0
	s_cbranch_execz .LBB6_894
; %bb.1:
	s_get_pc_i64 s[22:23]
	s_add_nc_u64 s[22:23], s[22:23], .str@rel64+4
	s_mov_b32 s21, -1
	s_cmp_lg_u64 s[22:23], 0
	s_mov_b32 s19, 0
	s_mov_b32 s17, 0
	;; [unrolled: 1-line block ×3, first 2 shown]
	s_cselect_b32 s11, -1, 0
	s_mov_b32 s15, 0
	s_mov_b32 s18, exec_lo
	v_cmpx_gt_i32_e64 s13, v4
	s_cbranch_execz .LBB6_221
; %bb.2:
	v_mul_lo_u32 v0, v4, s9
	s_and_b32 s0, 0xffff, s2
	s_delay_alu instid0(SALU_CYCLE_1) | instskip(NEXT) | instid1(VALU_DEP_1)
	s_cmp_lt_i32 s0, 11
	v_ashrrev_i32_e32 v1, 31, v0
	s_delay_alu instid0(VALU_DEP_1)
	v_add_nc_u64_e32 v[0:1], s[6:7], v[0:1]
	s_cbranch_scc1 .LBB6_9
; %bb.3:
	s_cmp_gt_i32 s0, 25
	s_cbranch_scc0 .LBB6_19
; %bb.4:
	s_cmp_gt_i32 s0, 28
	s_cbranch_scc0 .LBB6_23
	;; [unrolled: 3-line block ×4, first 2 shown]
; %bb.7:
	s_cmp_eq_u32 s0, 46
	s_cbranch_scc0 .LBB6_29
; %bb.8:
	global_load_b32 v2, v[0:1], off
	s_mov_b32 s15, -1
	s_wait_loadcnt 0x0
	v_lshlrev_b32_e32 v2, 16, v2
	s_delay_alu instid0(VALU_DEP_1)
	v_cvt_i32_f32_e32 v2, v2
	s_branch .LBB6_31
.LBB6_9:
                                        ; implicit-def: $vgpr2
	s_cbranch_execnz .LBB6_91
.LBB6_10:
	s_and_not1_b32 vcc_lo, exec_lo, s15
	s_cbranch_vccnz .LBB6_138
.LBB6_11:
	s_wait_loadcnt 0x0
	s_delay_alu instid0(VALU_DEP_1)
	v_cmp_le_i32_e32 vcc_lo, s10, v2
	v_cmp_gt_i32_e64 s0, s12, v2
	s_mov_b32 s16, -1
	s_mov_b32 s20, 0
	s_mov_b32 s15, 0
	s_and_b32 s0, vcc_lo, s0
	s_delay_alu instid0(SALU_CYCLE_1) | instskip(NEXT) | instid1(SALU_CYCLE_1)
	s_and_b32 s21, s11, s0
	s_and_saveexec_b32 s0, s21
	s_cbranch_execz .LBB6_219
; %bb.12:
	v_mul_lo_u32 v0, v4, s8
	s_and_b32 s16, s14, 0xff
	s_delay_alu instid0(SALU_CYCLE_1) | instskip(NEXT) | instid1(VALU_DEP_1)
	s_cmp_lt_i32 s16, 11
	v_ashrrev_i32_e32 v1, 31, v0
	s_delay_alu instid0(VALU_DEP_1)
	v_add_nc_u64_e32 v[0:1], s[4:5], v[0:1]
	s_cbranch_scc1 .LBB6_20
; %bb.13:
	s_and_b32 s20, 0xffff, s16
	s_delay_alu instid0(SALU_CYCLE_1)
	s_cmp_gt_i32 s20, 25
	s_cbranch_scc0 .LBB6_24
; %bb.14:
	s_cmp_gt_i32 s20, 28
	s_cbranch_scc0 .LBB6_26
; %bb.15:
	;; [unrolled: 3-line block ×4, first 2 shown]
	s_mov_b32 s22, 0
	s_mov_b32 s15, -1
	s_cmp_eq_u32 s20, 46
	s_mov_b32 s21, 0
	s_cbranch_scc0 .LBB6_140
; %bb.18:
	v_mov_b32_e32 v2, 0
	s_mov_b32 s21, -1
	s_mov_b32 s15, 0
	global_store_b32 v[0:1], v2, off
	s_branch .LBB6_140
.LBB6_19:
                                        ; implicit-def: $vgpr2
	s_cbranch_execnz .LBB6_58
	s_branch .LBB6_90
.LBB6_20:
	s_mov_b32 s21, 0
	s_cbranch_execnz .LBB6_179
.LBB6_21:
	s_and_not1_b32 vcc_lo, exec_lo, s21
	s_cbranch_vccnz .LBB6_217
.LBB6_22:
	v_add_nc_u32_e32 v4, 0x80, v4
	s_mov_b32 s20, -1
	s_branch .LBB6_218
.LBB6_23:
	s_mov_b32 s16, -1
                                        ; implicit-def: $vgpr2
	s_branch .LBB6_41
.LBB6_24:
	s_mov_b32 s22, -1
	s_mov_b32 s21, 0
	s_branch .LBB6_159
.LBB6_25:
	s_mov_b32 s16, -1
                                        ; implicit-def: $vgpr2
	s_branch .LBB6_36
.LBB6_26:
	s_mov_b32 s22, -1
	s_mov_b32 s21, 0
	s_branch .LBB6_148
.LBB6_27:
	s_mov_b32 s16, -1
	s_branch .LBB6_30
.LBB6_28:
	s_mov_b32 s22, -1
	s_mov_b32 s21, 0
	s_branch .LBB6_144
.LBB6_29:
	s_mov_b32 s17, -1
.LBB6_30:
                                        ; implicit-def: $vgpr2
.LBB6_31:
	s_and_b32 vcc_lo, exec_lo, s16
	s_cbranch_vccz .LBB6_35
; %bb.32:
	s_cmp_eq_u32 s0, 44
	s_cbranch_scc0 .LBB6_34
; %bb.33:
	global_load_u8 v2, v[0:1], off
	s_mov_b32 s17, 0
	s_mov_b32 s15, -1
	s_wait_loadcnt 0x0
	v_lshlrev_b32_e32 v3, 23, v2
	v_cmp_ne_u32_e32 vcc_lo, 0, v2
	s_delay_alu instid0(VALU_DEP_2) | instskip(NEXT) | instid1(VALU_DEP_1)
	v_cvt_i32_f32_e32 v3, v3
	v_cndmask_b32_e32 v2, 0, v3, vcc_lo
	s_branch .LBB6_35
.LBB6_34:
	s_mov_b32 s17, -1
                                        ; implicit-def: $vgpr2
.LBB6_35:
	s_mov_b32 s16, 0
.LBB6_36:
	s_delay_alu instid0(SALU_CYCLE_1)
	s_and_b32 vcc_lo, exec_lo, s16
	s_cbranch_vccz .LBB6_40
; %bb.37:
	s_cmp_eq_u32 s0, 29
	s_cbranch_scc0 .LBB6_39
; %bb.38:
	global_load_b32 v2, v[0:1], off
	s_mov_b32 s15, -1
	s_mov_b32 s17, 0
	s_branch .LBB6_40
.LBB6_39:
	s_mov_b32 s17, -1
                                        ; implicit-def: $vgpr2
.LBB6_40:
	s_mov_b32 s16, 0
.LBB6_41:
	s_delay_alu instid0(SALU_CYCLE_1)
	s_and_b32 vcc_lo, exec_lo, s16
	s_cbranch_vccz .LBB6_57
; %bb.42:
	s_cmp_lt_i32 s0, 27
	s_cbranch_scc1 .LBB6_45
; %bb.43:
	s_cmp_gt_i32 s0, 27
	s_cbranch_scc0 .LBB6_46
; %bb.44:
	s_wait_loadcnt 0x0
	global_load_b32 v2, v[0:1], off
	s_mov_b32 s15, 0
	s_branch .LBB6_47
.LBB6_45:
	s_mov_b32 s15, -1
                                        ; implicit-def: $vgpr2
	s_branch .LBB6_50
.LBB6_46:
	s_mov_b32 s15, -1
                                        ; implicit-def: $vgpr2
.LBB6_47:
	s_delay_alu instid0(SALU_CYCLE_1)
	s_and_not1_b32 vcc_lo, exec_lo, s15
	s_cbranch_vccnz .LBB6_49
; %bb.48:
	s_wait_loadcnt 0x0
	global_load_u16 v2, v[0:1], off
.LBB6_49:
	s_mov_b32 s15, 0
.LBB6_50:
	s_delay_alu instid0(SALU_CYCLE_1)
	s_and_not1_b32 vcc_lo, exec_lo, s15
	s_cbranch_vccnz .LBB6_56
; %bb.51:
	global_load_u8 v3, v[0:1], off
	s_mov_b32 s16, 0
	s_mov_b32 s15, exec_lo
	s_wait_loadcnt 0x0
	v_cmpx_lt_i16_e32 0x7f, v3
	s_xor_b32 s15, exec_lo, s15
	s_cbranch_execz .LBB6_67
; %bb.52:
	v_cmp_ne_u16_e32 vcc_lo, 0x80, v3
	s_and_b32 s16, vcc_lo, exec_lo
	s_and_not1_saveexec_b32 s15, s15
	s_cbranch_execnz .LBB6_68
.LBB6_53:
	s_or_b32 exec_lo, exec_lo, s15
	v_mov_b32_e32 v2, 0
	s_and_saveexec_b32 s15, s16
	s_cbranch_execz .LBB6_55
.LBB6_54:
	v_and_b32_e32 v2, 0xffff, v3
	s_delay_alu instid0(VALU_DEP_1) | instskip(SKIP_1) | instid1(VALU_DEP_2)
	v_dual_lshlrev_b32 v3, 24, v3 :: v_dual_bitop2_b32 v5, 7, v2 bitop3:0x40
	v_bfe_u32 v8, v2, 3, 4
	v_and_b32_e32 v3, 0x80000000, v3
	s_delay_alu instid0(VALU_DEP_3) | instskip(NEXT) | instid1(VALU_DEP_3)
	v_clz_i32_u32_e32 v6, v5
	v_cmp_eq_u32_e32 vcc_lo, 0, v8
	s_delay_alu instid0(VALU_DEP_2) | instskip(NEXT) | instid1(VALU_DEP_1)
	v_min_u32_e32 v6, 32, v6
	v_subrev_nc_u32_e32 v7, 28, v6
	v_sub_nc_u32_e32 v6, 29, v6
	s_delay_alu instid0(VALU_DEP_2) | instskip(NEXT) | instid1(VALU_DEP_2)
	v_lshlrev_b32_e32 v2, v7, v2
	v_cndmask_b32_e32 v6, v8, v6, vcc_lo
	s_delay_alu instid0(VALU_DEP_2) | instskip(NEXT) | instid1(VALU_DEP_1)
	v_and_b32_e32 v2, 7, v2
	v_cndmask_b32_e32 v2, v5, v2, vcc_lo
	s_delay_alu instid0(VALU_DEP_3) | instskip(NEXT) | instid1(VALU_DEP_2)
	v_lshl_add_u32 v5, v6, 23, 0x3b800000
	v_lshlrev_b32_e32 v2, 20, v2
	s_delay_alu instid0(VALU_DEP_1) | instskip(NEXT) | instid1(VALU_DEP_1)
	v_or3_b32 v2, v3, v5, v2
	v_cvt_i32_f32_e32 v2, v2
.LBB6_55:
	s_or_b32 exec_lo, exec_lo, s15
.LBB6_56:
	s_mov_b32 s15, -1
.LBB6_57:
	s_branch .LBB6_90
.LBB6_58:
	s_cmp_gt_i32 s0, 22
	s_cbranch_scc0 .LBB6_66
; %bb.59:
	s_cmp_lt_i32 s0, 24
	s_cbranch_scc1 .LBB6_69
; %bb.60:
	s_cmp_gt_i32 s0, 24
	s_cbranch_scc0 .LBB6_70
; %bb.61:
	global_load_u8 v3, v[0:1], off
	s_mov_b32 s16, 0
	s_mov_b32 s15, exec_lo
	s_wait_loadcnt 0x0
	v_cmpx_lt_i16_e32 0x7f, v3
	s_xor_b32 s15, exec_lo, s15
	s_cbranch_execz .LBB6_82
; %bb.62:
	v_cmp_ne_u16_e32 vcc_lo, 0x80, v3
	s_and_b32 s16, vcc_lo, exec_lo
	s_and_not1_saveexec_b32 s15, s15
	s_cbranch_execnz .LBB6_83
.LBB6_63:
	s_or_b32 exec_lo, exec_lo, s15
	v_mov_b32_e32 v2, 0
	s_and_saveexec_b32 s15, s16
	s_cbranch_execz .LBB6_65
.LBB6_64:
	v_and_b32_e32 v2, 0xffff, v3
	s_delay_alu instid0(VALU_DEP_1) | instskip(SKIP_1) | instid1(VALU_DEP_2)
	v_dual_lshlrev_b32 v3, 24, v3 :: v_dual_bitop2_b32 v5, 3, v2 bitop3:0x40
	v_bfe_u32 v8, v2, 2, 5
	v_and_b32_e32 v3, 0x80000000, v3
	s_delay_alu instid0(VALU_DEP_3) | instskip(NEXT) | instid1(VALU_DEP_3)
	v_clz_i32_u32_e32 v6, v5
	v_cmp_eq_u32_e32 vcc_lo, 0, v8
	s_delay_alu instid0(VALU_DEP_2) | instskip(NEXT) | instid1(VALU_DEP_1)
	v_min_u32_e32 v6, 32, v6
	v_subrev_nc_u32_e32 v7, 29, v6
	v_sub_nc_u32_e32 v6, 30, v6
	s_delay_alu instid0(VALU_DEP_2) | instskip(NEXT) | instid1(VALU_DEP_2)
	v_lshlrev_b32_e32 v2, v7, v2
	v_cndmask_b32_e32 v6, v8, v6, vcc_lo
	s_delay_alu instid0(VALU_DEP_2) | instskip(NEXT) | instid1(VALU_DEP_1)
	v_and_b32_e32 v2, 3, v2
	v_cndmask_b32_e32 v2, v5, v2, vcc_lo
	s_delay_alu instid0(VALU_DEP_3) | instskip(NEXT) | instid1(VALU_DEP_2)
	v_lshl_add_u32 v5, v6, 23, 0x37800000
	v_lshlrev_b32_e32 v2, 21, v2
	s_delay_alu instid0(VALU_DEP_1) | instskip(NEXT) | instid1(VALU_DEP_1)
	v_or3_b32 v2, v3, v5, v2
	v_cvt_i32_f32_e32 v2, v2
.LBB6_65:
	s_or_b32 exec_lo, exec_lo, s15
	s_mov_b32 s15, 0
	s_branch .LBB6_71
.LBB6_66:
	s_mov_b32 s16, -1
                                        ; implicit-def: $vgpr2
	s_branch .LBB6_77
.LBB6_67:
	s_and_not1_saveexec_b32 s15, s15
	s_cbranch_execz .LBB6_53
.LBB6_68:
	v_cmp_ne_u16_e32 vcc_lo, 0, v3
	s_and_not1_b32 s16, s16, exec_lo
	s_and_b32 s20, vcc_lo, exec_lo
	s_delay_alu instid0(SALU_CYCLE_1)
	s_or_b32 s16, s16, s20
	s_or_b32 exec_lo, exec_lo, s15
	v_mov_b32_e32 v2, 0
	s_and_saveexec_b32 s15, s16
	s_cbranch_execnz .LBB6_54
	s_branch .LBB6_55
.LBB6_69:
	s_mov_b32 s15, -1
                                        ; implicit-def: $vgpr2
	s_branch .LBB6_74
.LBB6_70:
	s_mov_b32 s15, -1
                                        ; implicit-def: $vgpr2
.LBB6_71:
	s_delay_alu instid0(SALU_CYCLE_1)
	s_and_b32 vcc_lo, exec_lo, s15
	s_cbranch_vccz .LBB6_73
; %bb.72:
	s_wait_loadcnt 0x0
	global_load_u8 v2, v[0:1], off
	s_wait_loadcnt 0x0
	v_lshlrev_b32_e32 v2, 24, v2
	s_delay_alu instid0(VALU_DEP_1) | instskip(NEXT) | instid1(VALU_DEP_1)
	v_and_b32_e32 v3, 0x7f000000, v2
	v_clz_i32_u32_e32 v5, v3
	v_add_nc_u32_e32 v7, 0x1000000, v3
	v_cmp_ne_u32_e32 vcc_lo, 0, v3
	s_delay_alu instid0(VALU_DEP_3) | instskip(NEXT) | instid1(VALU_DEP_1)
	v_min_u32_e32 v5, 32, v5
	v_sub_nc_u32_e64 v5, v5, 4 clamp
	s_delay_alu instid0(VALU_DEP_1) | instskip(NEXT) | instid1(VALU_DEP_1)
	v_dual_lshlrev_b32 v6, v5, v3 :: v_dual_lshlrev_b32 v5, 23, v5
	v_lshrrev_b32_e32 v6, 4, v6
	s_delay_alu instid0(VALU_DEP_1) | instskip(NEXT) | instid1(VALU_DEP_1)
	v_dual_sub_nc_u32 v5, v6, v5 :: v_dual_ashrrev_i32 v6, 8, v7
	v_add_nc_u32_e32 v5, 0x3c000000, v5
	s_delay_alu instid0(VALU_DEP_1) | instskip(NEXT) | instid1(VALU_DEP_1)
	v_and_or_b32 v5, 0x7f800000, v6, v5
	v_cndmask_b32_e32 v3, 0, v5, vcc_lo
	s_delay_alu instid0(VALU_DEP_1) | instskip(NEXT) | instid1(VALU_DEP_1)
	v_and_or_b32 v2, 0x80000000, v2, v3
	v_cvt_i32_f32_e32 v2, v2
.LBB6_73:
	s_mov_b32 s15, 0
.LBB6_74:
	s_delay_alu instid0(SALU_CYCLE_1)
	s_and_not1_b32 vcc_lo, exec_lo, s15
	s_cbranch_vccnz .LBB6_76
; %bb.75:
	s_wait_loadcnt 0x0
	global_load_u8 v2, v[0:1], off
	s_wait_loadcnt 0x0
	v_lshlrev_b32_e32 v3, 25, v2
	v_lshlrev_b16 v2, 8, v2
	s_delay_alu instid0(VALU_DEP_2) | instskip(NEXT) | instid1(VALU_DEP_2)
	v_cmp_gt_u32_e32 vcc_lo, 0x8000000, v3
	v_and_or_b32 v6, 0x7f00, v2, 0.5
	v_lshrrev_b32_e32 v5, 4, v3
	v_bfe_i32 v2, v2, 0, 16
	s_delay_alu instid0(VALU_DEP_3) | instskip(NEXT) | instid1(VALU_DEP_3)
	v_add_f32_e32 v6, -0.5, v6
	v_or_b32_e32 v5, 0x70000000, v5
	s_delay_alu instid0(VALU_DEP_1) | instskip(NEXT) | instid1(VALU_DEP_1)
	v_mul_f32_e32 v5, 0x7800000, v5
	v_cndmask_b32_e32 v3, v5, v6, vcc_lo
	s_delay_alu instid0(VALU_DEP_1) | instskip(NEXT) | instid1(VALU_DEP_1)
	v_and_or_b32 v2, 0x80000000, v2, v3
	v_cvt_i32_f32_e32 v2, v2
.LBB6_76:
	s_mov_b32 s16, 0
	s_mov_b32 s15, -1
.LBB6_77:
	s_and_not1_b32 vcc_lo, exec_lo, s16
	s_cbranch_vccnz .LBB6_90
; %bb.78:
	s_cmp_gt_i32 s0, 14
	s_cbranch_scc0 .LBB6_81
; %bb.79:
	s_cmp_eq_u32 s0, 15
	s_cbranch_scc0 .LBB6_84
; %bb.80:
	s_wait_loadcnt 0x0
	global_load_u16 v2, v[0:1], off
	s_mov_b32 s15, -1
	s_mov_b32 s17, 0
	s_wait_loadcnt 0x0
	v_lshlrev_b32_e32 v2, 16, v2
	s_delay_alu instid0(VALU_DEP_1)
	v_cvt_i32_f32_e32 v2, v2
	s_branch .LBB6_85
.LBB6_81:
	s_mov_b32 s16, -1
                                        ; implicit-def: $vgpr2
	s_branch .LBB6_86
.LBB6_82:
	s_and_not1_saveexec_b32 s15, s15
	s_cbranch_execz .LBB6_63
.LBB6_83:
	v_cmp_ne_u16_e32 vcc_lo, 0, v3
	s_and_not1_b32 s16, s16, exec_lo
	s_and_b32 s20, vcc_lo, exec_lo
	s_delay_alu instid0(SALU_CYCLE_1)
	s_or_b32 s16, s16, s20
	s_or_b32 exec_lo, exec_lo, s15
	v_mov_b32_e32 v2, 0
	s_and_saveexec_b32 s15, s16
	s_cbranch_execnz .LBB6_64
	s_branch .LBB6_65
.LBB6_84:
	s_mov_b32 s17, -1
                                        ; implicit-def: $vgpr2
.LBB6_85:
	s_mov_b32 s16, 0
.LBB6_86:
	s_delay_alu instid0(SALU_CYCLE_1)
	s_and_b32 vcc_lo, exec_lo, s16
	s_cbranch_vccz .LBB6_90
; %bb.87:
	s_cmp_eq_u32 s0, 11
	s_cbranch_scc0 .LBB6_89
; %bb.88:
	s_wait_loadcnt 0x0
	global_load_u8 v2, v[0:1], off
	s_mov_b32 s17, 0
	s_mov_b32 s15, -1
	s_wait_loadcnt 0x0
	v_cmp_ne_u16_e32 vcc_lo, 0, v2
	v_cndmask_b32_e64 v2, 0, 1, vcc_lo
	s_branch .LBB6_90
.LBB6_89:
	s_mov_b32 s17, -1
                                        ; implicit-def: $vgpr2
.LBB6_90:
	s_branch .LBB6_10
.LBB6_91:
	s_cmp_lt_i32 s0, 5
	s_cbranch_scc1 .LBB6_96
; %bb.92:
	s_cmp_lt_i32 s0, 8
	s_cbranch_scc1 .LBB6_97
; %bb.93:
	;; [unrolled: 3-line block ×3, first 2 shown]
	s_cmp_gt_i32 s0, 9
	s_cbranch_scc0 .LBB6_99
; %bb.95:
	s_wait_loadcnt 0x0
	global_load_b64 v[2:3], v[0:1], off
	s_mov_b32 s15, 0
	s_wait_loadcnt 0x0
	v_cvt_i32_f64_e32 v2, v[2:3]
	s_branch .LBB6_100
.LBB6_96:
                                        ; implicit-def: $vgpr2
	s_branch .LBB6_118
.LBB6_97:
	s_mov_b32 s15, -1
                                        ; implicit-def: $vgpr2
	s_branch .LBB6_106
.LBB6_98:
	s_mov_b32 s15, -1
                                        ; implicit-def: $vgpr2
	s_branch .LBB6_103
.LBB6_99:
	s_mov_b32 s15, -1
                                        ; implicit-def: $vgpr2
.LBB6_100:
	s_delay_alu instid0(SALU_CYCLE_1)
	s_and_not1_b32 vcc_lo, exec_lo, s15
	s_cbranch_vccnz .LBB6_102
; %bb.101:
	s_wait_loadcnt 0x0
	global_load_b32 v2, v[0:1], off
	s_wait_loadcnt 0x0
	v_cvt_i32_f32_e32 v2, v2
.LBB6_102:
	s_mov_b32 s15, 0
.LBB6_103:
	s_delay_alu instid0(SALU_CYCLE_1)
	s_and_not1_b32 vcc_lo, exec_lo, s15
	s_cbranch_vccnz .LBB6_105
; %bb.104:
	s_wait_loadcnt 0x0
	global_load_b32 v2, v[0:1], off
	s_wait_loadcnt 0x0
	v_cvt_f32_f16_e32 v2, v2
	s_delay_alu instid0(VALU_DEP_1)
	v_cvt_i32_f32_e32 v2, v2
.LBB6_105:
	s_mov_b32 s15, 0
.LBB6_106:
	s_delay_alu instid0(SALU_CYCLE_1)
	s_and_not1_b32 vcc_lo, exec_lo, s15
	s_cbranch_vccnz .LBB6_117
; %bb.107:
	s_cmp_lt_i32 s0, 6
	s_cbranch_scc1 .LBB6_110
; %bb.108:
	s_cmp_gt_i32 s0, 6
	s_cbranch_scc0 .LBB6_111
; %bb.109:
	s_wait_loadcnt 0x0
	global_load_b64 v[2:3], v[0:1], off
	s_mov_b32 s15, 0
	s_wait_loadcnt 0x0
	v_cvt_i32_f64_e32 v2, v[2:3]
	s_branch .LBB6_112
.LBB6_110:
	s_mov_b32 s15, -1
                                        ; implicit-def: $vgpr2
	s_branch .LBB6_115
.LBB6_111:
	s_mov_b32 s15, -1
                                        ; implicit-def: $vgpr2
.LBB6_112:
	s_delay_alu instid0(SALU_CYCLE_1)
	s_and_not1_b32 vcc_lo, exec_lo, s15
	s_cbranch_vccnz .LBB6_114
; %bb.113:
	s_wait_loadcnt 0x0
	global_load_b32 v2, v[0:1], off
	s_wait_loadcnt 0x0
	v_cvt_i32_f32_e32 v2, v2
.LBB6_114:
	s_mov_b32 s15, 0
.LBB6_115:
	s_delay_alu instid0(SALU_CYCLE_1)
	s_and_not1_b32 vcc_lo, exec_lo, s15
	s_cbranch_vccnz .LBB6_117
; %bb.116:
	s_wait_loadcnt 0x0
	global_load_u16 v2, v[0:1], off
	s_wait_loadcnt 0x0
	v_cvt_f32_f16_e32 v2, v2
	s_delay_alu instid0(VALU_DEP_1)
	v_cvt_i32_f32_e32 v2, v2
.LBB6_117:
	s_cbranch_execnz .LBB6_137
.LBB6_118:
	s_cmp_lt_i32 s0, 2
	s_cbranch_scc1 .LBB6_122
; %bb.119:
	s_cmp_lt_i32 s0, 3
	s_cbranch_scc1 .LBB6_123
; %bb.120:
	s_cmp_gt_i32 s0, 3
	s_cbranch_scc0 .LBB6_124
; %bb.121:
	s_wait_loadcnt 0x0
	global_load_b32 v2, v[0:1], off
	s_mov_b32 s15, 0
	s_branch .LBB6_125
.LBB6_122:
	s_mov_b32 s15, -1
                                        ; implicit-def: $vgpr2
	s_branch .LBB6_131
.LBB6_123:
	s_mov_b32 s15, -1
                                        ; implicit-def: $vgpr2
	s_branch .LBB6_128
.LBB6_124:
	s_mov_b32 s15, -1
                                        ; implicit-def: $vgpr2
.LBB6_125:
	s_delay_alu instid0(SALU_CYCLE_1)
	s_and_not1_b32 vcc_lo, exec_lo, s15
	s_cbranch_vccnz .LBB6_127
; %bb.126:
	s_wait_loadcnt 0x0
	global_load_b32 v2, v[0:1], off
.LBB6_127:
	s_mov_b32 s15, 0
.LBB6_128:
	s_delay_alu instid0(SALU_CYCLE_1)
	s_and_not1_b32 vcc_lo, exec_lo, s15
	s_cbranch_vccnz .LBB6_130
; %bb.129:
	s_wait_loadcnt 0x0
	global_load_i16 v2, v[0:1], off
.LBB6_130:
	s_mov_b32 s15, 0
.LBB6_131:
	s_delay_alu instid0(SALU_CYCLE_1)
	s_and_not1_b32 vcc_lo, exec_lo, s15
	s_cbranch_vccnz .LBB6_137
; %bb.132:
	s_cmp_gt_i32 s0, 0
	s_mov_b32 s0, 0
	s_cbranch_scc0 .LBB6_134
; %bb.133:
	s_wait_loadcnt 0x0
	global_load_i8 v2, v[0:1], off
	s_branch .LBB6_135
.LBB6_134:
	s_mov_b32 s0, -1
                                        ; implicit-def: $vgpr2
.LBB6_135:
	s_delay_alu instid0(SALU_CYCLE_1)
	s_and_not1_b32 vcc_lo, exec_lo, s0
	s_cbranch_vccnz .LBB6_137
; %bb.136:
	s_wait_loadcnt 0x0
	global_load_u8 v2, v[0:1], off
.LBB6_137:
	s_branch .LBB6_11
.LBB6_138:
	s_mov_b32 s20, 0
	s_mov_b32 s16, 0
	;; [unrolled: 1-line block ×3, first 2 shown]
                                        ; implicit-def: $vgpr4
	s_branch .LBB6_220
.LBB6_139:
	s_mov_b32 s22, -1
	s_mov_b32 s21, 0
.LBB6_140:
	s_and_b32 vcc_lo, exec_lo, s22
	s_cbranch_vccz .LBB6_143
; %bb.141:
	s_cmp_eq_u32 s20, 44
	s_mov_b32 s15, -1
	s_cbranch_scc0 .LBB6_143
; %bb.142:
	s_wait_xcnt 0x0
	v_mov_b32_e32 v2, 0
	s_mov_b32 s21, -1
	s_mov_b32 s15, 0
	s_mov_b32 s22, 0
	global_store_b8 v[0:1], v2, off
	s_branch .LBB6_144
.LBB6_143:
	s_mov_b32 s22, 0
.LBB6_144:
	s_delay_alu instid0(SALU_CYCLE_1)
	s_and_b32 vcc_lo, exec_lo, s22
	s_cbranch_vccz .LBB6_147
; %bb.145:
	s_cmp_eq_u32 s20, 29
	s_mov_b32 s15, -1
	s_cbranch_scc0 .LBB6_147
; %bb.146:
	s_wait_xcnt 0x0
	v_mov_b64_e32 v[2:3], 0
	s_mov_b32 s21, -1
	s_mov_b32 s15, 0
	s_mov_b32 s22, 0
	global_store_b64 v[0:1], v[2:3], off
	s_branch .LBB6_148
.LBB6_147:
	s_mov_b32 s22, 0
.LBB6_148:
	s_delay_alu instid0(SALU_CYCLE_1)
	s_and_b32 vcc_lo, exec_lo, s22
	s_cbranch_vccz .LBB6_158
; %bb.149:
	s_cmp_lt_i32 s20, 27
	s_mov_b32 s21, -1
	s_cbranch_scc1 .LBB6_155
; %bb.150:
	s_cmp_gt_i32 s20, 27
	s_cbranch_scc0 .LBB6_152
; %bb.151:
	s_wait_xcnt 0x0
	v_mov_b32_e32 v2, 0
	s_mov_b32 s21, 0
	global_store_b32 v[0:1], v2, off
.LBB6_152:
	s_and_not1_b32 vcc_lo, exec_lo, s21
	s_cbranch_vccnz .LBB6_154
; %bb.153:
	s_wait_xcnt 0x0
	v_mov_b32_e32 v2, 0
	global_store_b16 v[0:1], v2, off
.LBB6_154:
	s_mov_b32 s21, 0
.LBB6_155:
	s_delay_alu instid0(SALU_CYCLE_1)
	s_and_not1_b32 vcc_lo, exec_lo, s21
	s_cbranch_vccnz .LBB6_157
; %bb.156:
	s_wait_xcnt 0x0
	v_mov_b32_e32 v2, 0
	global_store_b8 v[0:1], v2, off
.LBB6_157:
	s_mov_b32 s21, -1
.LBB6_158:
	s_mov_b32 s22, 0
.LBB6_159:
	s_delay_alu instid0(SALU_CYCLE_1)
	s_and_b32 vcc_lo, exec_lo, s22
	s_cbranch_vccz .LBB6_178
; %bb.160:
	s_cmp_gt_i32 s20, 22
	s_mov_b32 s22, -1
	s_cbranch_scc0 .LBB6_170
; %bb.161:
	s_cmp_lt_i32 s20, 24
	s_mov_b32 s21, -1
	s_cbranch_scc1 .LBB6_167
; %bb.162:
	s_cmp_gt_i32 s20, 24
	s_cbranch_scc0 .LBB6_164
; %bb.163:
	s_wait_xcnt 0x0
	v_mov_b32_e32 v2, 0
	s_mov_b32 s21, 0
	global_store_b8 v[0:1], v2, off
.LBB6_164:
	s_and_not1_b32 vcc_lo, exec_lo, s21
	s_cbranch_vccnz .LBB6_166
; %bb.165:
	s_wait_xcnt 0x0
	v_mov_b32_e32 v2, 0
	global_store_b8 v[0:1], v2, off
.LBB6_166:
	s_mov_b32 s21, 0
.LBB6_167:
	s_delay_alu instid0(SALU_CYCLE_1)
	s_and_not1_b32 vcc_lo, exec_lo, s21
	s_cbranch_vccnz .LBB6_169
; %bb.168:
	s_wait_xcnt 0x0
	v_mov_b32_e32 v2, 0
	global_store_b8 v[0:1], v2, off
.LBB6_169:
	s_mov_b32 s22, 0
	s_mov_b32 s21, -1
.LBB6_170:
	s_and_not1_b32 vcc_lo, exec_lo, s22
	s_cbranch_vccnz .LBB6_178
; %bb.171:
	s_cmp_gt_i32 s20, 14
	s_mov_b32 s22, -1
	s_cbranch_scc0 .LBB6_175
; %bb.172:
	s_cmp_eq_u32 s20, 15
	s_mov_b32 s15, -1
	s_cbranch_scc0 .LBB6_174
; %bb.173:
	s_wait_xcnt 0x0
	v_mov_b32_e32 v2, 0
	s_mov_b32 s21, -1
	s_mov_b32 s15, 0
	global_store_b16 v[0:1], v2, off
.LBB6_174:
	s_mov_b32 s22, 0
.LBB6_175:
	s_delay_alu instid0(SALU_CYCLE_1)
	s_and_b32 vcc_lo, exec_lo, s22
	s_cbranch_vccz .LBB6_178
; %bb.176:
	s_cmp_eq_u32 s20, 11
	s_mov_b32 s15, -1
	s_cbranch_scc0 .LBB6_178
; %bb.177:
	s_wait_xcnt 0x0
	v_mov_b32_e32 v2, 0
	s_mov_b32 s21, -1
	s_mov_b32 s15, 0
	global_store_b8 v[0:1], v2, off
.LBB6_178:
	s_branch .LBB6_21
.LBB6_179:
	s_and_b32 s16, 0xffff, s16
	s_mov_b32 s20, -1
	s_cmp_lt_i32 s16, 5
	s_cbranch_scc1 .LBB6_200
; %bb.180:
	s_cmp_lt_i32 s16, 8
	s_cbranch_scc1 .LBB6_190
; %bb.181:
	;; [unrolled: 3-line block ×3, first 2 shown]
	s_cmp_gt_i32 s16, 9
	s_cbranch_scc0 .LBB6_184
; %bb.183:
	v_mov_b32_e32 v6, 0
	s_mov_b32 s20, 0
	s_delay_alu instid0(VALU_DEP_1)
	v_dual_mov_b32 v7, v6 :: v_dual_mov_b32 v8, v6
	v_mov_b32_e32 v9, v6
	global_store_b128 v[0:1], v[6:9], off
.LBB6_184:
	s_and_not1_b32 vcc_lo, exec_lo, s20
	s_cbranch_vccnz .LBB6_186
; %bb.185:
	s_wait_xcnt 0x0
	v_mov_b64_e32 v[2:3], 0
	global_store_b64 v[0:1], v[2:3], off
.LBB6_186:
	s_mov_b32 s20, 0
.LBB6_187:
	s_delay_alu instid0(SALU_CYCLE_1)
	s_and_not1_b32 vcc_lo, exec_lo, s20
	s_cbranch_vccnz .LBB6_189
; %bb.188:
	s_wait_xcnt 0x0
	v_mov_b32_e32 v2, 0
	global_store_b32 v[0:1], v2, off
.LBB6_189:
	s_mov_b32 s20, 0
.LBB6_190:
	s_delay_alu instid0(SALU_CYCLE_1)
	s_and_not1_b32 vcc_lo, exec_lo, s20
	s_cbranch_vccnz .LBB6_199
; %bb.191:
	s_cmp_lt_i32 s16, 6
	s_mov_b32 s20, -1
	s_cbranch_scc1 .LBB6_197
; %bb.192:
	s_cmp_gt_i32 s16, 6
	s_cbranch_scc0 .LBB6_194
; %bb.193:
	s_wait_xcnt 0x0
	v_mov_b64_e32 v[2:3], 0
	s_mov_b32 s20, 0
	global_store_b64 v[0:1], v[2:3], off
.LBB6_194:
	s_and_not1_b32 vcc_lo, exec_lo, s20
	s_cbranch_vccnz .LBB6_196
; %bb.195:
	s_wait_xcnt 0x0
	v_mov_b32_e32 v2, 0
	global_store_b32 v[0:1], v2, off
.LBB6_196:
	s_mov_b32 s20, 0
.LBB6_197:
	s_delay_alu instid0(SALU_CYCLE_1)
	s_and_not1_b32 vcc_lo, exec_lo, s20
	s_cbranch_vccnz .LBB6_199
; %bb.198:
	s_wait_xcnt 0x0
	v_mov_b32_e32 v2, 0
	global_store_b16 v[0:1], v2, off
.LBB6_199:
	s_mov_b32 s20, 0
.LBB6_200:
	s_delay_alu instid0(SALU_CYCLE_1)
	s_and_not1_b32 vcc_lo, exec_lo, s20
	s_cbranch_vccnz .LBB6_216
; %bb.201:
	s_cmp_lt_i32 s16, 2
	s_mov_b32 s20, -1
	s_cbranch_scc1 .LBB6_211
; %bb.202:
	s_cmp_lt_i32 s16, 3
	s_cbranch_scc1 .LBB6_208
; %bb.203:
	s_cmp_gt_i32 s16, 3
	s_cbranch_scc0 .LBB6_205
; %bb.204:
	s_wait_xcnt 0x0
	v_mov_b64_e32 v[2:3], 0
	s_mov_b32 s20, 0
	global_store_b64 v[0:1], v[2:3], off
.LBB6_205:
	s_and_not1_b32 vcc_lo, exec_lo, s20
	s_cbranch_vccnz .LBB6_207
; %bb.206:
	s_wait_xcnt 0x0
	v_mov_b32_e32 v2, 0
	global_store_b32 v[0:1], v2, off
.LBB6_207:
	s_mov_b32 s20, 0
.LBB6_208:
	s_delay_alu instid0(SALU_CYCLE_1)
	s_and_not1_b32 vcc_lo, exec_lo, s20
	s_cbranch_vccnz .LBB6_210
; %bb.209:
	s_wait_xcnt 0x0
	v_mov_b32_e32 v2, 0
	global_store_b16 v[0:1], v2, off
.LBB6_210:
	s_mov_b32 s20, 0
.LBB6_211:
	s_delay_alu instid0(SALU_CYCLE_1)
	s_and_not1_b32 vcc_lo, exec_lo, s20
	s_cbranch_vccnz .LBB6_216
; %bb.212:
	s_cmp_gt_i32 s16, 0
	s_mov_b32 s16, -1
	s_cbranch_scc0 .LBB6_214
; %bb.213:
	s_wait_xcnt 0x0
	v_mov_b32_e32 v2, 0
	s_mov_b32 s16, 0
	global_store_b8 v[0:1], v2, off
.LBB6_214:
	s_and_not1_b32 vcc_lo, exec_lo, s16
	s_cbranch_vccnz .LBB6_216
; %bb.215:
	s_wait_xcnt 0x0
	v_mov_b32_e32 v2, 0
	global_store_b8 v[0:1], v2, off
.LBB6_216:
	s_branch .LBB6_22
.LBB6_217:
	s_mov_b32 s20, 0
                                        ; implicit-def: $vgpr4
.LBB6_218:
	s_and_b32 s15, s15, exec_lo
	s_xor_b32 s16, exec_lo, -1
	s_and_b32 s20, s20, exec_lo
.LBB6_219:
	s_wait_xcnt 0x0
	s_or_b32 exec_lo, exec_lo, s0
.LBB6_220:
	s_delay_alu instid0(SALU_CYCLE_1)
	s_and_b32 s15, s15, exec_lo
	s_and_b32 s16, s16, exec_lo
	s_and_b32 s17, s17, exec_lo
	s_or_not1_b32 s21, s20, exec_lo
.LBB6_221:
	s_wait_xcnt 0x0
	s_or_b32 exec_lo, exec_lo, s18
	s_mov_b32 s20, 0
	s_mov_b32 s0, 0
                                        ; implicit-def: $vgpr0_vgpr1
                                        ; implicit-def: $vgpr2
	s_and_saveexec_b32 s18, s21
	s_cbranch_execz .LBB6_230
; %bb.222:
	s_mov_b32 s0, -1
	s_mov_b32 s19, s17
	s_mov_b32 s21, s16
	;; [unrolled: 1-line block ×3, first 2 shown]
	s_mov_b32 s22, exec_lo
	v_cmpx_gt_i32_e64 s13, v4
	s_cbranch_execz .LBB6_448
; %bb.223:
	v_mul_lo_u32 v0, v4, s9
	s_and_b32 s0, 0xffff, s2
	s_delay_alu instid0(SALU_CYCLE_1) | instskip(NEXT) | instid1(VALU_DEP_1)
	s_cmp_lt_i32 s0, 11
	v_ashrrev_i32_e32 v1, 31, v0
	s_delay_alu instid0(VALU_DEP_1)
	v_add_nc_u64_e32 v[0:1], s[6:7], v[0:1]
	s_cbranch_scc1 .LBB6_233
; %bb.224:
	s_cmp_gt_i32 s0, 25
	s_cbranch_scc0 .LBB6_243
; %bb.225:
	s_cmp_gt_i32 s0, 28
	s_cbranch_scc0 .LBB6_245
	;; [unrolled: 3-line block ×4, first 2 shown]
; %bb.228:
	s_cmp_eq_u32 s0, 46
	s_mov_b32 s21, 0
	s_cbranch_scc0 .LBB6_251
; %bb.229:
	s_wait_loadcnt 0x0
	global_load_b32 v2, v[0:1], off
	s_mov_b32 s20, -1
	s_mov_b32 s19, 0
	s_wait_loadcnt 0x0
	v_lshlrev_b32_e32 v2, 16, v2
	s_delay_alu instid0(VALU_DEP_1)
	v_cvt_i32_f32_e32 v2, v2
	s_branch .LBB6_253
.LBB6_230:
	s_or_b32 exec_lo, exec_lo, s18
	s_mov_b32 s13, 0
	s_and_saveexec_b32 s18, s17
	s_cbranch_execnz .LBB6_752
.LBB6_231:
	s_or_b32 exec_lo, exec_lo, s18
	s_and_saveexec_b32 s17, s19
	s_delay_alu instid0(SALU_CYCLE_1)
	s_xor_b32 s17, exec_lo, s17
	s_cbranch_execz .LBB6_753
.LBB6_232:
	s_wait_loadcnt 0x0
	global_load_u8 v2, v[0:1], off
	s_or_b32 s0, s0, exec_lo
	s_wait_loadcnt 0x0
	v_cmp_ne_u16_e32 vcc_lo, 0, v2
	v_cndmask_b32_e64 v2, 0, 1, vcc_lo
	s_wait_xcnt 0x0
	s_or_b32 exec_lo, exec_lo, s17
	s_and_saveexec_b32 s17, s20
	s_cbranch_execz .LBB6_799
	s_branch .LBB6_754
.LBB6_233:
	s_mov_b32 s20, 0
	s_mov_b32 s19, s17
                                        ; implicit-def: $vgpr2
	s_cbranch_execnz .LBB6_314
.LBB6_234:
	s_and_not1_b32 vcc_lo, exec_lo, s20
	s_cbranch_vccnz .LBB6_362
.LBB6_235:
	s_wait_loadcnt 0x0
	s_delay_alu instid0(VALU_DEP_1)
	v_cmp_le_i32_e32 vcc_lo, s10, v2
	v_cmp_gt_i32_e64 s0, s12, v2
	s_mov_b32 s23, 0
	s_mov_b32 s21, -1
	s_mov_b32 s20, s15
	s_and_b32 s0, vcc_lo, s0
	s_delay_alu instid0(SALU_CYCLE_1)
	s_and_b32 s24, s11, s0
	s_wait_xcnt 0x0
	s_and_saveexec_b32 s0, s24
	s_cbranch_execz .LBB6_446
; %bb.236:
	v_mul_lo_u32 v0, v4, s8
	s_and_b32 s21, s14, 0xff
	s_delay_alu instid0(SALU_CYCLE_1) | instskip(NEXT) | instid1(VALU_DEP_1)
	s_cmp_lt_i32 s21, 11
	v_ashrrev_i32_e32 v1, 31, v0
	s_delay_alu instid0(VALU_DEP_1)
	v_add_nc_u64_e32 v[0:1], s[4:5], v[0:1]
	s_cbranch_scc1 .LBB6_244
; %bb.237:
	s_and_b32 s23, 0xffff, s21
	s_delay_alu instid0(SALU_CYCLE_1)
	s_cmp_gt_i32 s23, 25
	s_cbranch_scc0 .LBB6_246
; %bb.238:
	s_cmp_gt_i32 s23, 28
	s_cbranch_scc0 .LBB6_248
; %bb.239:
	;; [unrolled: 3-line block ×4, first 2 shown]
	s_mov_b32 s25, 0
	s_mov_b32 s20, -1
	s_cmp_eq_u32 s23, 46
	s_mov_b32 s24, 0
	s_cbranch_scc0 .LBB6_364
; %bb.242:
	v_mov_b32_e32 v2, 0
	s_mov_b32 s24, -1
	s_mov_b32 s20, 0
	global_store_b32 v[0:1], v2, off
	s_branch .LBB6_364
.LBB6_243:
	s_mov_b32 s21, -1
	s_mov_b32 s20, 0
	s_mov_b32 s19, s17
                                        ; implicit-def: $vgpr2
	s_branch .LBB6_280
.LBB6_244:
	s_mov_b32 s23, -1
	s_mov_b32 s24, 0
	s_mov_b32 s20, s15
	s_branch .LBB6_403
.LBB6_245:
	s_mov_b32 s21, -1
	s_mov_b32 s20, 0
	s_mov_b32 s19, s17
                                        ; implicit-def: $vgpr2
	s_branch .LBB6_263
.LBB6_246:
	s_mov_b32 s25, -1
	s_mov_b32 s24, 0
	s_mov_b32 s20, s15
	s_branch .LBB6_383
.LBB6_247:
	s_mov_b32 s21, -1
	s_mov_b32 s20, 0
	s_mov_b32 s19, s17
                                        ; implicit-def: $vgpr2
	s_branch .LBB6_258
.LBB6_248:
	s_mov_b32 s25, -1
	s_mov_b32 s24, 0
	s_mov_b32 s20, s15
	s_branch .LBB6_372
.LBB6_249:
	s_mov_b32 s21, -1
	s_mov_b32 s20, 0
	s_mov_b32 s19, s17
	s_branch .LBB6_252
.LBB6_250:
	s_mov_b32 s25, -1
	s_mov_b32 s24, 0
	s_mov_b32 s20, s15
	s_branch .LBB6_368
.LBB6_251:
	s_mov_b32 s19, -1
	s_mov_b32 s20, 0
.LBB6_252:
                                        ; implicit-def: $vgpr2
.LBB6_253:
	s_and_b32 vcc_lo, exec_lo, s21
	s_cbranch_vccz .LBB6_257
; %bb.254:
	s_cmp_eq_u32 s0, 44
	s_cbranch_scc0 .LBB6_256
; %bb.255:
	s_wait_loadcnt 0x0
	global_load_u8 v2, v[0:1], off
	s_mov_b32 s19, 0
	s_mov_b32 s20, -1
	s_wait_loadcnt 0x0
	v_lshlrev_b32_e32 v3, 23, v2
	v_cmp_ne_u32_e32 vcc_lo, 0, v2
	s_delay_alu instid0(VALU_DEP_2) | instskip(NEXT) | instid1(VALU_DEP_1)
	v_cvt_i32_f32_e32 v3, v3
	v_cndmask_b32_e32 v2, 0, v3, vcc_lo
	s_branch .LBB6_257
.LBB6_256:
	s_mov_b32 s19, -1
                                        ; implicit-def: $vgpr2
.LBB6_257:
	s_mov_b32 s21, 0
.LBB6_258:
	s_delay_alu instid0(SALU_CYCLE_1)
	s_and_b32 vcc_lo, exec_lo, s21
	s_cbranch_vccz .LBB6_262
; %bb.259:
	s_cmp_eq_u32 s0, 29
	s_cbranch_scc0 .LBB6_261
; %bb.260:
	s_wait_loadcnt 0x0
	global_load_b32 v2, v[0:1], off
	s_mov_b32 s20, -1
	s_mov_b32 s19, 0
	s_branch .LBB6_262
.LBB6_261:
	s_mov_b32 s19, -1
                                        ; implicit-def: $vgpr2
.LBB6_262:
	s_mov_b32 s21, 0
.LBB6_263:
	s_delay_alu instid0(SALU_CYCLE_1)
	s_and_b32 vcc_lo, exec_lo, s21
	s_cbranch_vccz .LBB6_279
; %bb.264:
	s_cmp_lt_i32 s0, 27
	s_cbranch_scc1 .LBB6_267
; %bb.265:
	s_cmp_gt_i32 s0, 27
	s_cbranch_scc0 .LBB6_268
; %bb.266:
	s_wait_loadcnt 0x0
	global_load_b32 v2, v[0:1], off
	s_mov_b32 s20, 0
	s_branch .LBB6_269
.LBB6_267:
	s_mov_b32 s20, -1
                                        ; implicit-def: $vgpr2
	s_branch .LBB6_272
.LBB6_268:
	s_mov_b32 s20, -1
                                        ; implicit-def: $vgpr2
.LBB6_269:
	s_delay_alu instid0(SALU_CYCLE_1)
	s_and_not1_b32 vcc_lo, exec_lo, s20
	s_cbranch_vccnz .LBB6_271
; %bb.270:
	s_wait_loadcnt 0x0
	global_load_u16 v2, v[0:1], off
.LBB6_271:
	s_mov_b32 s20, 0
.LBB6_272:
	s_delay_alu instid0(SALU_CYCLE_1)
	s_and_not1_b32 vcc_lo, exec_lo, s20
	s_cbranch_vccnz .LBB6_278
; %bb.273:
	global_load_u8 v3, v[0:1], off
	s_mov_b32 s21, 0
	s_mov_b32 s20, exec_lo
	s_wait_loadcnt 0x0
	v_cmpx_lt_i16_e32 0x7f, v3
	s_xor_b32 s20, exec_lo, s20
	s_cbranch_execz .LBB6_290
; %bb.274:
	v_cmp_ne_u16_e32 vcc_lo, 0x80, v3
	s_and_b32 s21, vcc_lo, exec_lo
	s_and_not1_saveexec_b32 s20, s20
	s_cbranch_execnz .LBB6_291
.LBB6_275:
	s_or_b32 exec_lo, exec_lo, s20
	v_mov_b32_e32 v2, 0
	s_and_saveexec_b32 s20, s21
	s_cbranch_execz .LBB6_277
.LBB6_276:
	v_and_b32_e32 v2, 0xffff, v3
	s_delay_alu instid0(VALU_DEP_1) | instskip(SKIP_1) | instid1(VALU_DEP_2)
	v_dual_lshlrev_b32 v3, 24, v3 :: v_dual_bitop2_b32 v5, 7, v2 bitop3:0x40
	v_bfe_u32 v8, v2, 3, 4
	v_and_b32_e32 v3, 0x80000000, v3
	s_delay_alu instid0(VALU_DEP_3) | instskip(NEXT) | instid1(VALU_DEP_3)
	v_clz_i32_u32_e32 v6, v5
	v_cmp_eq_u32_e32 vcc_lo, 0, v8
	s_delay_alu instid0(VALU_DEP_2) | instskip(NEXT) | instid1(VALU_DEP_1)
	v_min_u32_e32 v6, 32, v6
	v_subrev_nc_u32_e32 v7, 28, v6
	v_sub_nc_u32_e32 v6, 29, v6
	s_delay_alu instid0(VALU_DEP_2) | instskip(NEXT) | instid1(VALU_DEP_2)
	v_lshlrev_b32_e32 v2, v7, v2
	v_cndmask_b32_e32 v6, v8, v6, vcc_lo
	s_delay_alu instid0(VALU_DEP_2) | instskip(NEXT) | instid1(VALU_DEP_1)
	v_and_b32_e32 v2, 7, v2
	v_cndmask_b32_e32 v2, v5, v2, vcc_lo
	s_delay_alu instid0(VALU_DEP_3) | instskip(NEXT) | instid1(VALU_DEP_2)
	v_lshl_add_u32 v5, v6, 23, 0x3b800000
	v_lshlrev_b32_e32 v2, 20, v2
	s_delay_alu instid0(VALU_DEP_1) | instskip(NEXT) | instid1(VALU_DEP_1)
	v_or3_b32 v2, v3, v5, v2
	v_cvt_i32_f32_e32 v2, v2
.LBB6_277:
	s_or_b32 exec_lo, exec_lo, s20
.LBB6_278:
	s_mov_b32 s20, -1
.LBB6_279:
	s_mov_b32 s21, 0
.LBB6_280:
	s_delay_alu instid0(SALU_CYCLE_1)
	s_and_b32 vcc_lo, exec_lo, s21
	s_cbranch_vccz .LBB6_313
; %bb.281:
	s_cmp_gt_i32 s0, 22
	s_cbranch_scc0 .LBB6_289
; %bb.282:
	s_cmp_lt_i32 s0, 24
	s_cbranch_scc1 .LBB6_292
; %bb.283:
	s_cmp_gt_i32 s0, 24
	s_cbranch_scc0 .LBB6_293
; %bb.284:
	global_load_u8 v3, v[0:1], off
	s_mov_b32 s21, 0
	s_mov_b32 s20, exec_lo
	s_wait_loadcnt 0x0
	v_cmpx_lt_i16_e32 0x7f, v3
	s_xor_b32 s20, exec_lo, s20
	s_cbranch_execz .LBB6_305
; %bb.285:
	v_cmp_ne_u16_e32 vcc_lo, 0x80, v3
	s_and_b32 s21, vcc_lo, exec_lo
	s_and_not1_saveexec_b32 s20, s20
	s_cbranch_execnz .LBB6_306
.LBB6_286:
	s_or_b32 exec_lo, exec_lo, s20
	v_mov_b32_e32 v2, 0
	s_and_saveexec_b32 s20, s21
	s_cbranch_execz .LBB6_288
.LBB6_287:
	v_and_b32_e32 v2, 0xffff, v3
	s_delay_alu instid0(VALU_DEP_1) | instskip(SKIP_1) | instid1(VALU_DEP_2)
	v_dual_lshlrev_b32 v3, 24, v3 :: v_dual_bitop2_b32 v5, 3, v2 bitop3:0x40
	v_bfe_u32 v8, v2, 2, 5
	v_and_b32_e32 v3, 0x80000000, v3
	s_delay_alu instid0(VALU_DEP_3) | instskip(NEXT) | instid1(VALU_DEP_3)
	v_clz_i32_u32_e32 v6, v5
	v_cmp_eq_u32_e32 vcc_lo, 0, v8
	s_delay_alu instid0(VALU_DEP_2) | instskip(NEXT) | instid1(VALU_DEP_1)
	v_min_u32_e32 v6, 32, v6
	v_subrev_nc_u32_e32 v7, 29, v6
	v_sub_nc_u32_e32 v6, 30, v6
	s_delay_alu instid0(VALU_DEP_2) | instskip(NEXT) | instid1(VALU_DEP_2)
	v_lshlrev_b32_e32 v2, v7, v2
	v_cndmask_b32_e32 v6, v8, v6, vcc_lo
	s_delay_alu instid0(VALU_DEP_2) | instskip(NEXT) | instid1(VALU_DEP_1)
	v_and_b32_e32 v2, 3, v2
	v_cndmask_b32_e32 v2, v5, v2, vcc_lo
	s_delay_alu instid0(VALU_DEP_3) | instskip(NEXT) | instid1(VALU_DEP_2)
	v_lshl_add_u32 v5, v6, 23, 0x37800000
	v_lshlrev_b32_e32 v2, 21, v2
	s_delay_alu instid0(VALU_DEP_1) | instskip(NEXT) | instid1(VALU_DEP_1)
	v_or3_b32 v2, v3, v5, v2
	v_cvt_i32_f32_e32 v2, v2
.LBB6_288:
	s_or_b32 exec_lo, exec_lo, s20
	s_mov_b32 s20, 0
	s_branch .LBB6_294
.LBB6_289:
	s_mov_b32 s21, -1
                                        ; implicit-def: $vgpr2
	s_branch .LBB6_300
.LBB6_290:
	s_and_not1_saveexec_b32 s20, s20
	s_cbranch_execz .LBB6_275
.LBB6_291:
	v_cmp_ne_u16_e32 vcc_lo, 0, v3
	s_and_not1_b32 s21, s21, exec_lo
	s_and_b32 s23, vcc_lo, exec_lo
	s_delay_alu instid0(SALU_CYCLE_1)
	s_or_b32 s21, s21, s23
	s_or_b32 exec_lo, exec_lo, s20
	v_mov_b32_e32 v2, 0
	s_and_saveexec_b32 s20, s21
	s_cbranch_execnz .LBB6_276
	s_branch .LBB6_277
.LBB6_292:
	s_mov_b32 s20, -1
                                        ; implicit-def: $vgpr2
	s_branch .LBB6_297
.LBB6_293:
	s_mov_b32 s20, -1
                                        ; implicit-def: $vgpr2
.LBB6_294:
	s_delay_alu instid0(SALU_CYCLE_1)
	s_and_b32 vcc_lo, exec_lo, s20
	s_cbranch_vccz .LBB6_296
; %bb.295:
	s_wait_loadcnt 0x0
	global_load_u8 v2, v[0:1], off
	s_wait_loadcnt 0x0
	v_lshlrev_b32_e32 v2, 24, v2
	s_delay_alu instid0(VALU_DEP_1) | instskip(NEXT) | instid1(VALU_DEP_1)
	v_and_b32_e32 v3, 0x7f000000, v2
	v_clz_i32_u32_e32 v5, v3
	v_add_nc_u32_e32 v7, 0x1000000, v3
	v_cmp_ne_u32_e32 vcc_lo, 0, v3
	s_delay_alu instid0(VALU_DEP_3) | instskip(NEXT) | instid1(VALU_DEP_1)
	v_min_u32_e32 v5, 32, v5
	v_sub_nc_u32_e64 v5, v5, 4 clamp
	s_delay_alu instid0(VALU_DEP_1) | instskip(NEXT) | instid1(VALU_DEP_1)
	v_dual_lshlrev_b32 v6, v5, v3 :: v_dual_lshlrev_b32 v5, 23, v5
	v_lshrrev_b32_e32 v6, 4, v6
	s_delay_alu instid0(VALU_DEP_1) | instskip(NEXT) | instid1(VALU_DEP_1)
	v_dual_sub_nc_u32 v5, v6, v5 :: v_dual_ashrrev_i32 v6, 8, v7
	v_add_nc_u32_e32 v5, 0x3c000000, v5
	s_delay_alu instid0(VALU_DEP_1) | instskip(NEXT) | instid1(VALU_DEP_1)
	v_and_or_b32 v5, 0x7f800000, v6, v5
	v_cndmask_b32_e32 v3, 0, v5, vcc_lo
	s_delay_alu instid0(VALU_DEP_1) | instskip(NEXT) | instid1(VALU_DEP_1)
	v_and_or_b32 v2, 0x80000000, v2, v3
	v_cvt_i32_f32_e32 v2, v2
.LBB6_296:
	s_mov_b32 s20, 0
.LBB6_297:
	s_delay_alu instid0(SALU_CYCLE_1)
	s_and_not1_b32 vcc_lo, exec_lo, s20
	s_cbranch_vccnz .LBB6_299
; %bb.298:
	s_wait_loadcnt 0x0
	global_load_u8 v2, v[0:1], off
	s_wait_loadcnt 0x0
	v_lshlrev_b32_e32 v3, 25, v2
	v_lshlrev_b16 v2, 8, v2
	s_delay_alu instid0(VALU_DEP_2) | instskip(NEXT) | instid1(VALU_DEP_2)
	v_cmp_gt_u32_e32 vcc_lo, 0x8000000, v3
	v_and_or_b32 v6, 0x7f00, v2, 0.5
	v_lshrrev_b32_e32 v5, 4, v3
	v_bfe_i32 v2, v2, 0, 16
	s_delay_alu instid0(VALU_DEP_3) | instskip(NEXT) | instid1(VALU_DEP_3)
	v_add_f32_e32 v6, -0.5, v6
	v_or_b32_e32 v5, 0x70000000, v5
	s_delay_alu instid0(VALU_DEP_1) | instskip(NEXT) | instid1(VALU_DEP_1)
	v_mul_f32_e32 v5, 0x7800000, v5
	v_cndmask_b32_e32 v3, v5, v6, vcc_lo
	s_delay_alu instid0(VALU_DEP_1) | instskip(NEXT) | instid1(VALU_DEP_1)
	v_and_or_b32 v2, 0x80000000, v2, v3
	v_cvt_i32_f32_e32 v2, v2
.LBB6_299:
	s_mov_b32 s21, 0
	s_mov_b32 s20, -1
.LBB6_300:
	s_and_not1_b32 vcc_lo, exec_lo, s21
	s_cbranch_vccnz .LBB6_313
; %bb.301:
	s_cmp_gt_i32 s0, 14
	s_cbranch_scc0 .LBB6_304
; %bb.302:
	s_cmp_eq_u32 s0, 15
	s_cbranch_scc0 .LBB6_307
; %bb.303:
	s_wait_loadcnt 0x0
	global_load_u16 v2, v[0:1], off
	s_mov_b32 s20, -1
	s_mov_b32 s19, 0
	s_wait_loadcnt 0x0
	v_lshlrev_b32_e32 v2, 16, v2
	s_delay_alu instid0(VALU_DEP_1)
	v_cvt_i32_f32_e32 v2, v2
	s_branch .LBB6_308
.LBB6_304:
	s_mov_b32 s21, -1
                                        ; implicit-def: $vgpr2
	s_branch .LBB6_309
.LBB6_305:
	s_and_not1_saveexec_b32 s20, s20
	s_cbranch_execz .LBB6_286
.LBB6_306:
	v_cmp_ne_u16_e32 vcc_lo, 0, v3
	s_and_not1_b32 s21, s21, exec_lo
	s_and_b32 s23, vcc_lo, exec_lo
	s_delay_alu instid0(SALU_CYCLE_1)
	s_or_b32 s21, s21, s23
	s_or_b32 exec_lo, exec_lo, s20
	v_mov_b32_e32 v2, 0
	s_and_saveexec_b32 s20, s21
	s_cbranch_execnz .LBB6_287
	s_branch .LBB6_288
.LBB6_307:
	s_mov_b32 s19, -1
                                        ; implicit-def: $vgpr2
.LBB6_308:
	s_mov_b32 s21, 0
.LBB6_309:
	s_delay_alu instid0(SALU_CYCLE_1)
	s_and_b32 vcc_lo, exec_lo, s21
	s_cbranch_vccz .LBB6_313
; %bb.310:
	s_cmp_eq_u32 s0, 11
	s_cbranch_scc0 .LBB6_312
; %bb.311:
	s_wait_loadcnt 0x0
	global_load_u8 v2, v[0:1], off
	s_mov_b32 s19, 0
	s_mov_b32 s20, -1
	s_wait_loadcnt 0x0
	v_cmp_ne_u16_e32 vcc_lo, 0, v2
	v_cndmask_b32_e64 v2, 0, 1, vcc_lo
	s_branch .LBB6_313
.LBB6_312:
	s_mov_b32 s19, -1
                                        ; implicit-def: $vgpr2
.LBB6_313:
	s_branch .LBB6_234
.LBB6_314:
	s_cmp_lt_i32 s0, 5
	s_cbranch_scc1 .LBB6_319
; %bb.315:
	s_cmp_lt_i32 s0, 8
	s_cbranch_scc1 .LBB6_320
; %bb.316:
	s_cmp_lt_i32 s0, 9
	s_cbranch_scc1 .LBB6_321
; %bb.317:
	s_cmp_gt_i32 s0, 9
	s_cbranch_scc0 .LBB6_322
; %bb.318:
	s_wait_loadcnt 0x0
	global_load_b64 v[2:3], v[0:1], off
	s_mov_b32 s20, 0
	s_wait_loadcnt 0x0
	v_cvt_i32_f64_e32 v2, v[2:3]
	s_branch .LBB6_323
.LBB6_319:
	s_mov_b32 s20, -1
                                        ; implicit-def: $vgpr2
	s_branch .LBB6_341
.LBB6_320:
	s_mov_b32 s20, -1
                                        ; implicit-def: $vgpr2
	s_branch .LBB6_329
.LBB6_321:
	s_mov_b32 s20, -1
                                        ; implicit-def: $vgpr2
	s_branch .LBB6_326
.LBB6_322:
	s_mov_b32 s20, -1
                                        ; implicit-def: $vgpr2
.LBB6_323:
	s_delay_alu instid0(SALU_CYCLE_1)
	s_and_not1_b32 vcc_lo, exec_lo, s20
	s_cbranch_vccnz .LBB6_325
; %bb.324:
	s_wait_loadcnt 0x0
	global_load_b32 v2, v[0:1], off
	s_wait_loadcnt 0x0
	v_cvt_i32_f32_e32 v2, v2
.LBB6_325:
	s_mov_b32 s20, 0
.LBB6_326:
	s_delay_alu instid0(SALU_CYCLE_1)
	s_and_not1_b32 vcc_lo, exec_lo, s20
	s_cbranch_vccnz .LBB6_328
; %bb.327:
	s_wait_loadcnt 0x0
	global_load_b32 v2, v[0:1], off
	s_wait_loadcnt 0x0
	v_cvt_f32_f16_e32 v2, v2
	s_delay_alu instid0(VALU_DEP_1)
	v_cvt_i32_f32_e32 v2, v2
.LBB6_328:
	s_mov_b32 s20, 0
.LBB6_329:
	s_delay_alu instid0(SALU_CYCLE_1)
	s_and_not1_b32 vcc_lo, exec_lo, s20
	s_cbranch_vccnz .LBB6_340
; %bb.330:
	s_cmp_lt_i32 s0, 6
	s_cbranch_scc1 .LBB6_333
; %bb.331:
	s_cmp_gt_i32 s0, 6
	s_cbranch_scc0 .LBB6_334
; %bb.332:
	s_wait_loadcnt 0x0
	global_load_b64 v[2:3], v[0:1], off
	s_mov_b32 s20, 0
	s_wait_loadcnt 0x0
	v_cvt_i32_f64_e32 v2, v[2:3]
	s_branch .LBB6_335
.LBB6_333:
	s_mov_b32 s20, -1
                                        ; implicit-def: $vgpr2
	s_branch .LBB6_338
.LBB6_334:
	s_mov_b32 s20, -1
                                        ; implicit-def: $vgpr2
.LBB6_335:
	s_delay_alu instid0(SALU_CYCLE_1)
	s_and_not1_b32 vcc_lo, exec_lo, s20
	s_cbranch_vccnz .LBB6_337
; %bb.336:
	s_wait_loadcnt 0x0
	global_load_b32 v2, v[0:1], off
	s_wait_loadcnt 0x0
	v_cvt_i32_f32_e32 v2, v2
.LBB6_337:
	s_mov_b32 s20, 0
.LBB6_338:
	s_delay_alu instid0(SALU_CYCLE_1)
	s_and_not1_b32 vcc_lo, exec_lo, s20
	s_cbranch_vccnz .LBB6_340
; %bb.339:
	s_wait_loadcnt 0x0
	global_load_u16 v2, v[0:1], off
	s_wait_loadcnt 0x0
	v_cvt_f32_f16_e32 v2, v2
	s_delay_alu instid0(VALU_DEP_1)
	v_cvt_i32_f32_e32 v2, v2
.LBB6_340:
	s_mov_b32 s20, 0
.LBB6_341:
	s_delay_alu instid0(SALU_CYCLE_1)
	s_and_not1_b32 vcc_lo, exec_lo, s20
	s_cbranch_vccnz .LBB6_361
; %bb.342:
	s_cmp_lt_i32 s0, 2
	s_cbranch_scc1 .LBB6_346
; %bb.343:
	s_cmp_lt_i32 s0, 3
	s_cbranch_scc1 .LBB6_347
; %bb.344:
	s_cmp_gt_i32 s0, 3
	s_cbranch_scc0 .LBB6_348
; %bb.345:
	s_wait_loadcnt 0x0
	global_load_b32 v2, v[0:1], off
	s_mov_b32 s20, 0
	s_branch .LBB6_349
.LBB6_346:
	s_mov_b32 s20, -1
                                        ; implicit-def: $vgpr2
	s_branch .LBB6_355
.LBB6_347:
	s_mov_b32 s20, -1
                                        ; implicit-def: $vgpr2
	s_branch .LBB6_352
.LBB6_348:
	s_mov_b32 s20, -1
                                        ; implicit-def: $vgpr2
.LBB6_349:
	s_delay_alu instid0(SALU_CYCLE_1)
	s_and_not1_b32 vcc_lo, exec_lo, s20
	s_cbranch_vccnz .LBB6_351
; %bb.350:
	s_wait_loadcnt 0x0
	global_load_b32 v2, v[0:1], off
.LBB6_351:
	s_mov_b32 s20, 0
.LBB6_352:
	s_delay_alu instid0(SALU_CYCLE_1)
	s_and_not1_b32 vcc_lo, exec_lo, s20
	s_cbranch_vccnz .LBB6_354
; %bb.353:
	s_wait_loadcnt 0x0
	global_load_i16 v2, v[0:1], off
.LBB6_354:
	s_mov_b32 s20, 0
.LBB6_355:
	s_delay_alu instid0(SALU_CYCLE_1)
	s_and_not1_b32 vcc_lo, exec_lo, s20
	s_cbranch_vccnz .LBB6_361
; %bb.356:
	s_cmp_gt_i32 s0, 0
	s_mov_b32 s0, 0
	s_cbranch_scc0 .LBB6_358
; %bb.357:
	s_wait_loadcnt 0x0
	global_load_i8 v2, v[0:1], off
	s_branch .LBB6_359
.LBB6_358:
	s_mov_b32 s0, -1
                                        ; implicit-def: $vgpr2
.LBB6_359:
	s_delay_alu instid0(SALU_CYCLE_1)
	s_and_not1_b32 vcc_lo, exec_lo, s0
	s_cbranch_vccnz .LBB6_361
; %bb.360:
	s_wait_loadcnt 0x0
	global_load_u8 v2, v[0:1], off
.LBB6_361:
	s_branch .LBB6_235
.LBB6_362:
	s_mov_b32 s23, 0
	s_mov_b32 s20, s15
	;; [unrolled: 1-line block ×3, first 2 shown]
                                        ; implicit-def: $vgpr4
	s_branch .LBB6_447
.LBB6_363:
	s_mov_b32 s25, -1
	s_mov_b32 s24, 0
	s_mov_b32 s20, s15
.LBB6_364:
	s_and_b32 vcc_lo, exec_lo, s25
	s_cbranch_vccz .LBB6_367
; %bb.365:
	s_cmp_eq_u32 s23, 44
	s_mov_b32 s20, -1
	s_cbranch_scc0 .LBB6_367
; %bb.366:
	s_wait_xcnt 0x0
	v_mov_b32_e32 v2, 0
	s_mov_b32 s24, -1
	s_mov_b32 s20, 0
	global_store_b8 v[0:1], v2, off
.LBB6_367:
	s_mov_b32 s25, 0
.LBB6_368:
	s_delay_alu instid0(SALU_CYCLE_1)
	s_and_b32 vcc_lo, exec_lo, s25
	s_cbranch_vccz .LBB6_371
; %bb.369:
	s_cmp_eq_u32 s23, 29
	s_mov_b32 s20, -1
	s_cbranch_scc0 .LBB6_371
; %bb.370:
	s_wait_xcnt 0x0
	v_mov_b64_e32 v[2:3], 0
	s_mov_b32 s24, -1
	s_mov_b32 s20, 0
	s_mov_b32 s25, 0
	global_store_b64 v[0:1], v[2:3], off
	s_branch .LBB6_372
.LBB6_371:
	s_mov_b32 s25, 0
.LBB6_372:
	s_delay_alu instid0(SALU_CYCLE_1)
	s_and_b32 vcc_lo, exec_lo, s25
	s_cbranch_vccz .LBB6_382
; %bb.373:
	s_cmp_lt_i32 s23, 27
	s_mov_b32 s24, -1
	s_cbranch_scc1 .LBB6_379
; %bb.374:
	s_cmp_gt_i32 s23, 27
	s_cbranch_scc0 .LBB6_376
; %bb.375:
	s_wait_xcnt 0x0
	v_mov_b32_e32 v2, 0
	s_mov_b32 s24, 0
	global_store_b32 v[0:1], v2, off
.LBB6_376:
	s_and_not1_b32 vcc_lo, exec_lo, s24
	s_cbranch_vccnz .LBB6_378
; %bb.377:
	s_wait_xcnt 0x0
	v_mov_b32_e32 v2, 0
	global_store_b16 v[0:1], v2, off
.LBB6_378:
	s_mov_b32 s24, 0
.LBB6_379:
	s_delay_alu instid0(SALU_CYCLE_1)
	s_and_not1_b32 vcc_lo, exec_lo, s24
	s_cbranch_vccnz .LBB6_381
; %bb.380:
	s_wait_xcnt 0x0
	v_mov_b32_e32 v2, 0
	global_store_b8 v[0:1], v2, off
.LBB6_381:
	s_mov_b32 s24, -1
.LBB6_382:
	s_mov_b32 s25, 0
.LBB6_383:
	s_delay_alu instid0(SALU_CYCLE_1)
	s_and_b32 vcc_lo, exec_lo, s25
	s_cbranch_vccz .LBB6_402
; %bb.384:
	s_cmp_gt_i32 s23, 22
	s_mov_b32 s25, -1
	s_cbranch_scc0 .LBB6_394
; %bb.385:
	s_cmp_lt_i32 s23, 24
	s_mov_b32 s24, -1
	s_cbranch_scc1 .LBB6_391
; %bb.386:
	s_cmp_gt_i32 s23, 24
	s_cbranch_scc0 .LBB6_388
; %bb.387:
	s_wait_xcnt 0x0
	v_mov_b32_e32 v2, 0
	s_mov_b32 s24, 0
	global_store_b8 v[0:1], v2, off
.LBB6_388:
	s_and_not1_b32 vcc_lo, exec_lo, s24
	s_cbranch_vccnz .LBB6_390
; %bb.389:
	s_wait_xcnt 0x0
	v_mov_b32_e32 v2, 0
	global_store_b8 v[0:1], v2, off
.LBB6_390:
	s_mov_b32 s24, 0
.LBB6_391:
	s_delay_alu instid0(SALU_CYCLE_1)
	s_and_not1_b32 vcc_lo, exec_lo, s24
	s_cbranch_vccnz .LBB6_393
; %bb.392:
	s_wait_xcnt 0x0
	v_mov_b32_e32 v2, 0
	global_store_b8 v[0:1], v2, off
.LBB6_393:
	s_mov_b32 s25, 0
	s_mov_b32 s24, -1
.LBB6_394:
	s_and_not1_b32 vcc_lo, exec_lo, s25
	s_cbranch_vccnz .LBB6_402
; %bb.395:
	s_cmp_gt_i32 s23, 14
	s_mov_b32 s25, -1
	s_cbranch_scc0 .LBB6_399
; %bb.396:
	s_cmp_eq_u32 s23, 15
	s_mov_b32 s20, -1
	s_cbranch_scc0 .LBB6_398
; %bb.397:
	s_wait_xcnt 0x0
	v_mov_b32_e32 v2, 0
	s_mov_b32 s24, -1
	s_mov_b32 s20, 0
	global_store_b16 v[0:1], v2, off
.LBB6_398:
	s_mov_b32 s25, 0
.LBB6_399:
	s_delay_alu instid0(SALU_CYCLE_1)
	s_and_b32 vcc_lo, exec_lo, s25
	s_cbranch_vccz .LBB6_402
; %bb.400:
	s_cmp_eq_u32 s23, 11
	s_mov_b32 s20, -1
	s_cbranch_scc0 .LBB6_402
; %bb.401:
	s_wait_xcnt 0x0
	v_mov_b32_e32 v2, 0
	s_mov_b32 s24, -1
	s_mov_b32 s20, 0
	global_store_b8 v[0:1], v2, off
.LBB6_402:
	s_mov_b32 s23, 0
.LBB6_403:
	s_delay_alu instid0(SALU_CYCLE_1)
	s_and_b32 vcc_lo, exec_lo, s23
	s_cbranch_vccz .LBB6_442
; %bb.404:
	s_and_b32 s21, 0xffff, s21
	s_mov_b32 s23, -1
	s_cmp_lt_i32 s21, 5
	s_cbranch_scc1 .LBB6_425
; %bb.405:
	s_cmp_lt_i32 s21, 8
	s_cbranch_scc1 .LBB6_415
; %bb.406:
	;; [unrolled: 3-line block ×3, first 2 shown]
	s_cmp_gt_i32 s21, 9
	s_cbranch_scc0 .LBB6_409
; %bb.408:
	v_mov_b32_e32 v6, 0
	s_mov_b32 s23, 0
	s_delay_alu instid0(VALU_DEP_1)
	v_dual_mov_b32 v7, v6 :: v_dual_mov_b32 v8, v6
	v_mov_b32_e32 v9, v6
	global_store_b128 v[0:1], v[6:9], off
.LBB6_409:
	s_and_not1_b32 vcc_lo, exec_lo, s23
	s_cbranch_vccnz .LBB6_411
; %bb.410:
	s_wait_xcnt 0x0
	v_mov_b64_e32 v[2:3], 0
	global_store_b64 v[0:1], v[2:3], off
.LBB6_411:
	s_mov_b32 s23, 0
.LBB6_412:
	s_delay_alu instid0(SALU_CYCLE_1)
	s_and_not1_b32 vcc_lo, exec_lo, s23
	s_cbranch_vccnz .LBB6_414
; %bb.413:
	s_wait_xcnt 0x0
	v_mov_b32_e32 v2, 0
	global_store_b32 v[0:1], v2, off
.LBB6_414:
	s_mov_b32 s23, 0
.LBB6_415:
	s_delay_alu instid0(SALU_CYCLE_1)
	s_and_not1_b32 vcc_lo, exec_lo, s23
	s_cbranch_vccnz .LBB6_424
; %bb.416:
	s_cmp_lt_i32 s21, 6
	s_mov_b32 s23, -1
	s_cbranch_scc1 .LBB6_422
; %bb.417:
	s_cmp_gt_i32 s21, 6
	s_cbranch_scc0 .LBB6_419
; %bb.418:
	s_wait_xcnt 0x0
	v_mov_b64_e32 v[2:3], 0
	s_mov_b32 s23, 0
	global_store_b64 v[0:1], v[2:3], off
.LBB6_419:
	s_and_not1_b32 vcc_lo, exec_lo, s23
	s_cbranch_vccnz .LBB6_421
; %bb.420:
	s_wait_xcnt 0x0
	v_mov_b32_e32 v2, 0
	global_store_b32 v[0:1], v2, off
.LBB6_421:
	s_mov_b32 s23, 0
.LBB6_422:
	s_delay_alu instid0(SALU_CYCLE_1)
	s_and_not1_b32 vcc_lo, exec_lo, s23
	s_cbranch_vccnz .LBB6_424
; %bb.423:
	s_wait_xcnt 0x0
	v_mov_b32_e32 v2, 0
	global_store_b16 v[0:1], v2, off
.LBB6_424:
	s_mov_b32 s23, 0
.LBB6_425:
	s_delay_alu instid0(SALU_CYCLE_1)
	s_and_not1_b32 vcc_lo, exec_lo, s23
	s_cbranch_vccnz .LBB6_441
; %bb.426:
	s_cmp_lt_i32 s21, 2
	s_mov_b32 s23, -1
	s_cbranch_scc1 .LBB6_436
; %bb.427:
	s_cmp_lt_i32 s21, 3
	s_cbranch_scc1 .LBB6_433
; %bb.428:
	s_cmp_gt_i32 s21, 3
	s_cbranch_scc0 .LBB6_430
; %bb.429:
	s_wait_xcnt 0x0
	v_mov_b64_e32 v[2:3], 0
	s_mov_b32 s23, 0
	global_store_b64 v[0:1], v[2:3], off
.LBB6_430:
	s_and_not1_b32 vcc_lo, exec_lo, s23
	s_cbranch_vccnz .LBB6_432
; %bb.431:
	s_wait_xcnt 0x0
	v_mov_b32_e32 v2, 0
	global_store_b32 v[0:1], v2, off
.LBB6_432:
	s_mov_b32 s23, 0
.LBB6_433:
	s_delay_alu instid0(SALU_CYCLE_1)
	s_and_not1_b32 vcc_lo, exec_lo, s23
	s_cbranch_vccnz .LBB6_435
; %bb.434:
	s_wait_xcnt 0x0
	v_mov_b32_e32 v2, 0
	global_store_b16 v[0:1], v2, off
.LBB6_435:
	s_mov_b32 s23, 0
.LBB6_436:
	s_delay_alu instid0(SALU_CYCLE_1)
	s_and_not1_b32 vcc_lo, exec_lo, s23
	s_cbranch_vccnz .LBB6_441
; %bb.437:
	s_cmp_gt_i32 s21, 0
	s_mov_b32 s21, -1
	s_cbranch_scc0 .LBB6_439
; %bb.438:
	s_wait_xcnt 0x0
	v_mov_b32_e32 v2, 0
	s_mov_b32 s21, 0
	global_store_b8 v[0:1], v2, off
.LBB6_439:
	s_and_not1_b32 vcc_lo, exec_lo, s21
	s_cbranch_vccnz .LBB6_441
; %bb.440:
	s_wait_xcnt 0x0
	v_mov_b32_e32 v2, 0
	global_store_b8 v[0:1], v2, off
.LBB6_441:
	s_mov_b32 s24, -1
.LBB6_442:
	s_delay_alu instid0(SALU_CYCLE_1)
	s_and_not1_b32 vcc_lo, exec_lo, s24
	s_cbranch_vccnz .LBB6_444
; %bb.443:
	v_add_nc_u32_e32 v4, 0x80, v4
	s_mov_b32 s23, -1
	s_branch .LBB6_445
.LBB6_444:
	s_mov_b32 s23, 0
                                        ; implicit-def: $vgpr4
.LBB6_445:
	s_and_not1_b32 s21, s15, exec_lo
	s_and_b32 s20, s20, exec_lo
	s_and_b32 s23, s23, exec_lo
	s_or_b32 s20, s21, s20
	s_xor_b32 s21, exec_lo, -1
.LBB6_446:
	s_wait_xcnt 0x0
	s_or_b32 exec_lo, exec_lo, s0
.LBB6_447:
	s_delay_alu instid0(SALU_CYCLE_1)
	s_and_not1_b32 s0, s15, exec_lo
	s_and_b32 s20, s20, exec_lo
	s_and_b32 s21, s21, exec_lo
	s_or_b32 s20, s0, s20
	s_and_not1_b32 s0, s16, exec_lo
	s_and_not1_b32 s24, s17, exec_lo
	s_and_b32 s19, s19, exec_lo
	s_or_b32 s21, s0, s21
	s_or_b32 s19, s24, s19
	s_or_not1_b32 s0, s23, exec_lo
.LBB6_448:
	s_wait_xcnt 0x0
	s_or_b32 exec_lo, exec_lo, s22
	s_mov_b32 s23, 0
	s_mov_b32 s24, 0
	;; [unrolled: 1-line block ×3, first 2 shown]
                                        ; implicit-def: $vgpr0_vgpr1
                                        ; implicit-def: $vgpr2
	s_and_saveexec_b32 s22, s0
	s_cbranch_execz .LBB6_751
; %bb.449:
	s_mov_b32 s29, -1
	s_mov_b32 s0, s19
	s_mov_b32 s24, s21
	;; [unrolled: 1-line block ×3, first 2 shown]
	s_mov_b32 s23, exec_lo
	v_cmpx_gt_i32_e64 s13, v4
	s_cbranch_execz .LBB6_673
; %bb.450:
	v_mul_lo_u32 v0, v4, s9
	s_and_b32 s0, 0xffff, s2
	s_delay_alu instid0(SALU_CYCLE_1) | instskip(NEXT) | instid1(VALU_DEP_1)
	s_cmp_lt_i32 s0, 11
	v_ashrrev_i32_e32 v1, 31, v0
	s_delay_alu instid0(VALU_DEP_1)
	v_add_nc_u64_e32 v[0:1], s[6:7], v[0:1]
	s_cbranch_scc1 .LBB6_457
; %bb.451:
	s_cmp_gt_i32 s0, 25
	s_cbranch_scc0 .LBB6_458
; %bb.452:
	s_cmp_gt_i32 s0, 28
	s_cbranch_scc0 .LBB6_459
	;; [unrolled: 3-line block ×4, first 2 shown]
; %bb.455:
	s_cmp_eq_u32 s0, 46
	s_mov_b32 s26, 0
	s_cbranch_scc0 .LBB6_462
; %bb.456:
	s_wait_loadcnt 0x0
	global_load_b32 v2, v[0:1], off
	s_mov_b32 s25, -1
	s_mov_b32 s24, 0
	s_wait_loadcnt 0x0
	v_lshlrev_b32_e32 v2, 16, v2
	s_delay_alu instid0(VALU_DEP_1)
	v_cvt_i32_f32_e32 v2, v2
	s_branch .LBB6_464
.LBB6_457:
	s_mov_b32 s26, -1
	s_mov_b32 s25, 0
	s_mov_b32 s24, s19
                                        ; implicit-def: $vgpr2
	s_branch .LBB6_525
.LBB6_458:
	s_mov_b32 s26, -1
	s_mov_b32 s25, 0
	s_mov_b32 s24, s19
                                        ; implicit-def: $vgpr2
	s_branch .LBB6_491
.LBB6_459:
	s_mov_b32 s26, -1
	s_mov_b32 s25, 0
	s_mov_b32 s24, s19
                                        ; implicit-def: $vgpr2
	s_branch .LBB6_474
.LBB6_460:
	s_mov_b32 s26, -1
	s_mov_b32 s25, 0
	s_mov_b32 s24, s19
                                        ; implicit-def: $vgpr2
	s_branch .LBB6_469
.LBB6_461:
	s_mov_b32 s26, -1
	s_mov_b32 s25, 0
	s_mov_b32 s24, s19
	s_branch .LBB6_463
.LBB6_462:
	s_mov_b32 s24, -1
	s_mov_b32 s25, 0
.LBB6_463:
                                        ; implicit-def: $vgpr2
.LBB6_464:
	s_and_b32 vcc_lo, exec_lo, s26
	s_cbranch_vccz .LBB6_468
; %bb.465:
	s_cmp_eq_u32 s0, 44
	s_cbranch_scc0 .LBB6_467
; %bb.466:
	s_wait_loadcnt 0x0
	global_load_u8 v2, v[0:1], off
	s_mov_b32 s24, 0
	s_mov_b32 s25, -1
	s_wait_loadcnt 0x0
	v_lshlrev_b32_e32 v3, 23, v2
	v_cmp_ne_u32_e32 vcc_lo, 0, v2
	s_delay_alu instid0(VALU_DEP_2) | instskip(NEXT) | instid1(VALU_DEP_1)
	v_cvt_i32_f32_e32 v3, v3
	v_cndmask_b32_e32 v2, 0, v3, vcc_lo
	s_branch .LBB6_468
.LBB6_467:
	s_mov_b32 s24, -1
                                        ; implicit-def: $vgpr2
.LBB6_468:
	s_mov_b32 s26, 0
.LBB6_469:
	s_delay_alu instid0(SALU_CYCLE_1)
	s_and_b32 vcc_lo, exec_lo, s26
	s_cbranch_vccz .LBB6_473
; %bb.470:
	s_cmp_eq_u32 s0, 29
	s_cbranch_scc0 .LBB6_472
; %bb.471:
	s_wait_loadcnt 0x0
	global_load_b32 v2, v[0:1], off
	s_mov_b32 s25, -1
	s_mov_b32 s24, 0
	s_branch .LBB6_473
.LBB6_472:
	s_mov_b32 s24, -1
                                        ; implicit-def: $vgpr2
.LBB6_473:
	s_mov_b32 s26, 0
.LBB6_474:
	s_delay_alu instid0(SALU_CYCLE_1)
	s_and_b32 vcc_lo, exec_lo, s26
	s_cbranch_vccz .LBB6_490
; %bb.475:
	s_cmp_lt_i32 s0, 27
	s_cbranch_scc1 .LBB6_478
; %bb.476:
	s_cmp_gt_i32 s0, 27
	s_cbranch_scc0 .LBB6_479
; %bb.477:
	s_wait_loadcnt 0x0
	global_load_b32 v2, v[0:1], off
	s_mov_b32 s25, 0
	s_branch .LBB6_480
.LBB6_478:
	s_mov_b32 s25, -1
                                        ; implicit-def: $vgpr2
	s_branch .LBB6_483
.LBB6_479:
	s_mov_b32 s25, -1
                                        ; implicit-def: $vgpr2
.LBB6_480:
	s_delay_alu instid0(SALU_CYCLE_1)
	s_and_not1_b32 vcc_lo, exec_lo, s25
	s_cbranch_vccnz .LBB6_482
; %bb.481:
	s_wait_loadcnt 0x0
	global_load_u16 v2, v[0:1], off
.LBB6_482:
	s_mov_b32 s25, 0
.LBB6_483:
	s_delay_alu instid0(SALU_CYCLE_1)
	s_and_not1_b32 vcc_lo, exec_lo, s25
	s_cbranch_vccnz .LBB6_489
; %bb.484:
	global_load_u8 v3, v[0:1], off
	s_mov_b32 s26, 0
	s_mov_b32 s25, exec_lo
	s_wait_loadcnt 0x0
	v_cmpx_lt_i16_e32 0x7f, v3
	s_xor_b32 s25, exec_lo, s25
	s_cbranch_execz .LBB6_501
; %bb.485:
	v_cmp_ne_u16_e32 vcc_lo, 0x80, v3
	s_and_b32 s26, vcc_lo, exec_lo
	s_and_not1_saveexec_b32 s25, s25
	s_cbranch_execnz .LBB6_502
.LBB6_486:
	s_or_b32 exec_lo, exec_lo, s25
	v_mov_b32_e32 v2, 0
	s_and_saveexec_b32 s25, s26
	s_cbranch_execz .LBB6_488
.LBB6_487:
	v_and_b32_e32 v2, 0xffff, v3
	s_delay_alu instid0(VALU_DEP_1) | instskip(SKIP_1) | instid1(VALU_DEP_2)
	v_dual_lshlrev_b32 v3, 24, v3 :: v_dual_bitop2_b32 v5, 7, v2 bitop3:0x40
	v_bfe_u32 v8, v2, 3, 4
	v_and_b32_e32 v3, 0x80000000, v3
	s_delay_alu instid0(VALU_DEP_3) | instskip(NEXT) | instid1(VALU_DEP_3)
	v_clz_i32_u32_e32 v6, v5
	v_cmp_eq_u32_e32 vcc_lo, 0, v8
	s_delay_alu instid0(VALU_DEP_2) | instskip(NEXT) | instid1(VALU_DEP_1)
	v_min_u32_e32 v6, 32, v6
	v_subrev_nc_u32_e32 v7, 28, v6
	v_sub_nc_u32_e32 v6, 29, v6
	s_delay_alu instid0(VALU_DEP_2) | instskip(NEXT) | instid1(VALU_DEP_2)
	v_lshlrev_b32_e32 v2, v7, v2
	v_cndmask_b32_e32 v6, v8, v6, vcc_lo
	s_delay_alu instid0(VALU_DEP_2) | instskip(NEXT) | instid1(VALU_DEP_1)
	v_and_b32_e32 v2, 7, v2
	v_cndmask_b32_e32 v2, v5, v2, vcc_lo
	s_delay_alu instid0(VALU_DEP_3) | instskip(NEXT) | instid1(VALU_DEP_2)
	v_lshl_add_u32 v5, v6, 23, 0x3b800000
	v_lshlrev_b32_e32 v2, 20, v2
	s_delay_alu instid0(VALU_DEP_1) | instskip(NEXT) | instid1(VALU_DEP_1)
	v_or3_b32 v2, v3, v5, v2
	v_cvt_i32_f32_e32 v2, v2
.LBB6_488:
	s_or_b32 exec_lo, exec_lo, s25
.LBB6_489:
	s_mov_b32 s25, -1
.LBB6_490:
	s_mov_b32 s26, 0
.LBB6_491:
	s_delay_alu instid0(SALU_CYCLE_1)
	s_and_b32 vcc_lo, exec_lo, s26
	s_cbranch_vccz .LBB6_524
; %bb.492:
	s_cmp_gt_i32 s0, 22
	s_cbranch_scc0 .LBB6_500
; %bb.493:
	s_cmp_lt_i32 s0, 24
	s_cbranch_scc1 .LBB6_503
; %bb.494:
	s_cmp_gt_i32 s0, 24
	s_cbranch_scc0 .LBB6_504
; %bb.495:
	global_load_u8 v3, v[0:1], off
	s_mov_b32 s26, 0
	s_mov_b32 s25, exec_lo
	s_wait_loadcnt 0x0
	v_cmpx_lt_i16_e32 0x7f, v3
	s_xor_b32 s25, exec_lo, s25
	s_cbranch_execz .LBB6_516
; %bb.496:
	v_cmp_ne_u16_e32 vcc_lo, 0x80, v3
	s_and_b32 s26, vcc_lo, exec_lo
	s_and_not1_saveexec_b32 s25, s25
	s_cbranch_execnz .LBB6_517
.LBB6_497:
	s_or_b32 exec_lo, exec_lo, s25
	v_mov_b32_e32 v2, 0
	s_and_saveexec_b32 s25, s26
	s_cbranch_execz .LBB6_499
.LBB6_498:
	v_and_b32_e32 v2, 0xffff, v3
	s_delay_alu instid0(VALU_DEP_1) | instskip(SKIP_1) | instid1(VALU_DEP_2)
	v_dual_lshlrev_b32 v3, 24, v3 :: v_dual_bitop2_b32 v5, 3, v2 bitop3:0x40
	v_bfe_u32 v8, v2, 2, 5
	v_and_b32_e32 v3, 0x80000000, v3
	s_delay_alu instid0(VALU_DEP_3) | instskip(NEXT) | instid1(VALU_DEP_3)
	v_clz_i32_u32_e32 v6, v5
	v_cmp_eq_u32_e32 vcc_lo, 0, v8
	s_delay_alu instid0(VALU_DEP_2) | instskip(NEXT) | instid1(VALU_DEP_1)
	v_min_u32_e32 v6, 32, v6
	v_subrev_nc_u32_e32 v7, 29, v6
	v_sub_nc_u32_e32 v6, 30, v6
	s_delay_alu instid0(VALU_DEP_2) | instskip(NEXT) | instid1(VALU_DEP_2)
	v_lshlrev_b32_e32 v2, v7, v2
	v_cndmask_b32_e32 v6, v8, v6, vcc_lo
	s_delay_alu instid0(VALU_DEP_2) | instskip(NEXT) | instid1(VALU_DEP_1)
	v_and_b32_e32 v2, 3, v2
	v_cndmask_b32_e32 v2, v5, v2, vcc_lo
	s_delay_alu instid0(VALU_DEP_3) | instskip(NEXT) | instid1(VALU_DEP_2)
	v_lshl_add_u32 v5, v6, 23, 0x37800000
	v_lshlrev_b32_e32 v2, 21, v2
	s_delay_alu instid0(VALU_DEP_1) | instskip(NEXT) | instid1(VALU_DEP_1)
	v_or3_b32 v2, v3, v5, v2
	v_cvt_i32_f32_e32 v2, v2
.LBB6_499:
	s_or_b32 exec_lo, exec_lo, s25
	s_mov_b32 s25, 0
	s_branch .LBB6_505
.LBB6_500:
	s_mov_b32 s26, -1
                                        ; implicit-def: $vgpr2
	s_branch .LBB6_511
.LBB6_501:
	s_and_not1_saveexec_b32 s25, s25
	s_cbranch_execz .LBB6_486
.LBB6_502:
	v_cmp_ne_u16_e32 vcc_lo, 0, v3
	s_and_not1_b32 s26, s26, exec_lo
	s_and_b32 s27, vcc_lo, exec_lo
	s_delay_alu instid0(SALU_CYCLE_1)
	s_or_b32 s26, s26, s27
	s_or_b32 exec_lo, exec_lo, s25
	v_mov_b32_e32 v2, 0
	s_and_saveexec_b32 s25, s26
	s_cbranch_execnz .LBB6_487
	s_branch .LBB6_488
.LBB6_503:
	s_mov_b32 s25, -1
                                        ; implicit-def: $vgpr2
	s_branch .LBB6_508
.LBB6_504:
	s_mov_b32 s25, -1
                                        ; implicit-def: $vgpr2
.LBB6_505:
	s_delay_alu instid0(SALU_CYCLE_1)
	s_and_b32 vcc_lo, exec_lo, s25
	s_cbranch_vccz .LBB6_507
; %bb.506:
	s_wait_loadcnt 0x0
	global_load_u8 v2, v[0:1], off
	s_wait_loadcnt 0x0
	v_lshlrev_b32_e32 v2, 24, v2
	s_delay_alu instid0(VALU_DEP_1) | instskip(NEXT) | instid1(VALU_DEP_1)
	v_and_b32_e32 v3, 0x7f000000, v2
	v_clz_i32_u32_e32 v5, v3
	v_add_nc_u32_e32 v7, 0x1000000, v3
	v_cmp_ne_u32_e32 vcc_lo, 0, v3
	s_delay_alu instid0(VALU_DEP_3) | instskip(NEXT) | instid1(VALU_DEP_1)
	v_min_u32_e32 v5, 32, v5
	v_sub_nc_u32_e64 v5, v5, 4 clamp
	s_delay_alu instid0(VALU_DEP_1) | instskip(NEXT) | instid1(VALU_DEP_1)
	v_dual_lshlrev_b32 v6, v5, v3 :: v_dual_lshlrev_b32 v5, 23, v5
	v_lshrrev_b32_e32 v6, 4, v6
	s_delay_alu instid0(VALU_DEP_1) | instskip(NEXT) | instid1(VALU_DEP_1)
	v_dual_sub_nc_u32 v5, v6, v5 :: v_dual_ashrrev_i32 v6, 8, v7
	v_add_nc_u32_e32 v5, 0x3c000000, v5
	s_delay_alu instid0(VALU_DEP_1) | instskip(NEXT) | instid1(VALU_DEP_1)
	v_and_or_b32 v5, 0x7f800000, v6, v5
	v_cndmask_b32_e32 v3, 0, v5, vcc_lo
	s_delay_alu instid0(VALU_DEP_1) | instskip(NEXT) | instid1(VALU_DEP_1)
	v_and_or_b32 v2, 0x80000000, v2, v3
	v_cvt_i32_f32_e32 v2, v2
.LBB6_507:
	s_mov_b32 s25, 0
.LBB6_508:
	s_delay_alu instid0(SALU_CYCLE_1)
	s_and_not1_b32 vcc_lo, exec_lo, s25
	s_cbranch_vccnz .LBB6_510
; %bb.509:
	s_wait_loadcnt 0x0
	global_load_u8 v2, v[0:1], off
	s_wait_loadcnt 0x0
	v_lshlrev_b32_e32 v3, 25, v2
	v_lshlrev_b16 v2, 8, v2
	s_delay_alu instid0(VALU_DEP_2) | instskip(NEXT) | instid1(VALU_DEP_2)
	v_cmp_gt_u32_e32 vcc_lo, 0x8000000, v3
	v_and_or_b32 v6, 0x7f00, v2, 0.5
	v_lshrrev_b32_e32 v5, 4, v3
	v_bfe_i32 v2, v2, 0, 16
	s_delay_alu instid0(VALU_DEP_3) | instskip(NEXT) | instid1(VALU_DEP_3)
	v_add_f32_e32 v6, -0.5, v6
	v_or_b32_e32 v5, 0x70000000, v5
	s_delay_alu instid0(VALU_DEP_1) | instskip(NEXT) | instid1(VALU_DEP_1)
	v_mul_f32_e32 v5, 0x7800000, v5
	v_cndmask_b32_e32 v3, v5, v6, vcc_lo
	s_delay_alu instid0(VALU_DEP_1) | instskip(NEXT) | instid1(VALU_DEP_1)
	v_and_or_b32 v2, 0x80000000, v2, v3
	v_cvt_i32_f32_e32 v2, v2
.LBB6_510:
	s_mov_b32 s26, 0
	s_mov_b32 s25, -1
.LBB6_511:
	s_and_not1_b32 vcc_lo, exec_lo, s26
	s_cbranch_vccnz .LBB6_524
; %bb.512:
	s_cmp_gt_i32 s0, 14
	s_cbranch_scc0 .LBB6_515
; %bb.513:
	s_cmp_eq_u32 s0, 15
	s_cbranch_scc0 .LBB6_518
; %bb.514:
	s_wait_loadcnt 0x0
	global_load_u16 v2, v[0:1], off
	s_mov_b32 s25, -1
	s_mov_b32 s24, 0
	s_wait_loadcnt 0x0
	v_lshlrev_b32_e32 v2, 16, v2
	s_delay_alu instid0(VALU_DEP_1)
	v_cvt_i32_f32_e32 v2, v2
	s_branch .LBB6_519
.LBB6_515:
	s_mov_b32 s26, -1
                                        ; implicit-def: $vgpr2
	s_branch .LBB6_520
.LBB6_516:
	s_and_not1_saveexec_b32 s25, s25
	s_cbranch_execz .LBB6_497
.LBB6_517:
	v_cmp_ne_u16_e32 vcc_lo, 0, v3
	s_and_not1_b32 s26, s26, exec_lo
	s_and_b32 s27, vcc_lo, exec_lo
	s_delay_alu instid0(SALU_CYCLE_1)
	s_or_b32 s26, s26, s27
	s_or_b32 exec_lo, exec_lo, s25
	v_mov_b32_e32 v2, 0
	s_and_saveexec_b32 s25, s26
	s_cbranch_execnz .LBB6_498
	s_branch .LBB6_499
.LBB6_518:
	s_mov_b32 s24, -1
                                        ; implicit-def: $vgpr2
.LBB6_519:
	s_mov_b32 s26, 0
.LBB6_520:
	s_delay_alu instid0(SALU_CYCLE_1)
	s_and_b32 vcc_lo, exec_lo, s26
	s_cbranch_vccz .LBB6_524
; %bb.521:
	s_cmp_eq_u32 s0, 11
	s_cbranch_scc0 .LBB6_523
; %bb.522:
	s_wait_loadcnt 0x0
	global_load_u8 v2, v[0:1], off
	s_mov_b32 s24, 0
	s_mov_b32 s25, -1
	s_wait_loadcnt 0x0
	v_cmp_ne_u16_e32 vcc_lo, 0, v2
	v_cndmask_b32_e64 v2, 0, 1, vcc_lo
	s_branch .LBB6_524
.LBB6_523:
	s_mov_b32 s24, -1
                                        ; implicit-def: $vgpr2
.LBB6_524:
	s_mov_b32 s26, 0
.LBB6_525:
	s_delay_alu instid0(SALU_CYCLE_1)
	s_and_b32 vcc_lo, exec_lo, s26
	s_cbranch_vccz .LBB6_574
; %bb.526:
	s_cmp_lt_i32 s0, 5
	s_cbranch_scc1 .LBB6_531
; %bb.527:
	s_cmp_lt_i32 s0, 8
	s_cbranch_scc1 .LBB6_532
	;; [unrolled: 3-line block ×3, first 2 shown]
; %bb.529:
	s_cmp_gt_i32 s0, 9
	s_cbranch_scc0 .LBB6_534
; %bb.530:
	s_wait_loadcnt 0x0
	global_load_b64 v[2:3], v[0:1], off
	s_mov_b32 s25, 0
	s_wait_loadcnt 0x0
	v_cvt_i32_f64_e32 v2, v[2:3]
	s_branch .LBB6_535
.LBB6_531:
	s_mov_b32 s25, -1
                                        ; implicit-def: $vgpr2
	s_branch .LBB6_553
.LBB6_532:
	s_mov_b32 s25, -1
                                        ; implicit-def: $vgpr2
	s_branch .LBB6_541
.LBB6_533:
	s_mov_b32 s25, -1
                                        ; implicit-def: $vgpr2
	s_branch .LBB6_538
.LBB6_534:
	s_mov_b32 s25, -1
                                        ; implicit-def: $vgpr2
.LBB6_535:
	s_delay_alu instid0(SALU_CYCLE_1)
	s_and_not1_b32 vcc_lo, exec_lo, s25
	s_cbranch_vccnz .LBB6_537
; %bb.536:
	s_wait_loadcnt 0x0
	global_load_b32 v2, v[0:1], off
	s_wait_loadcnt 0x0
	v_cvt_i32_f32_e32 v2, v2
.LBB6_537:
	s_mov_b32 s25, 0
.LBB6_538:
	s_delay_alu instid0(SALU_CYCLE_1)
	s_and_not1_b32 vcc_lo, exec_lo, s25
	s_cbranch_vccnz .LBB6_540
; %bb.539:
	s_wait_loadcnt 0x0
	global_load_b32 v2, v[0:1], off
	s_wait_loadcnt 0x0
	v_cvt_f32_f16_e32 v2, v2
	s_delay_alu instid0(VALU_DEP_1)
	v_cvt_i32_f32_e32 v2, v2
.LBB6_540:
	s_mov_b32 s25, 0
.LBB6_541:
	s_delay_alu instid0(SALU_CYCLE_1)
	s_and_not1_b32 vcc_lo, exec_lo, s25
	s_cbranch_vccnz .LBB6_552
; %bb.542:
	s_cmp_lt_i32 s0, 6
	s_cbranch_scc1 .LBB6_545
; %bb.543:
	s_cmp_gt_i32 s0, 6
	s_cbranch_scc0 .LBB6_546
; %bb.544:
	s_wait_loadcnt 0x0
	global_load_b64 v[2:3], v[0:1], off
	s_mov_b32 s25, 0
	s_wait_loadcnt 0x0
	v_cvt_i32_f64_e32 v2, v[2:3]
	s_branch .LBB6_547
.LBB6_545:
	s_mov_b32 s25, -1
                                        ; implicit-def: $vgpr2
	s_branch .LBB6_550
.LBB6_546:
	s_mov_b32 s25, -1
                                        ; implicit-def: $vgpr2
.LBB6_547:
	s_delay_alu instid0(SALU_CYCLE_1)
	s_and_not1_b32 vcc_lo, exec_lo, s25
	s_cbranch_vccnz .LBB6_549
; %bb.548:
	s_wait_loadcnt 0x0
	global_load_b32 v2, v[0:1], off
	s_wait_loadcnt 0x0
	v_cvt_i32_f32_e32 v2, v2
.LBB6_549:
	s_mov_b32 s25, 0
.LBB6_550:
	s_delay_alu instid0(SALU_CYCLE_1)
	s_and_not1_b32 vcc_lo, exec_lo, s25
	s_cbranch_vccnz .LBB6_552
; %bb.551:
	s_wait_loadcnt 0x0
	global_load_u16 v2, v[0:1], off
	s_wait_loadcnt 0x0
	v_cvt_f32_f16_e32 v2, v2
	s_delay_alu instid0(VALU_DEP_1)
	v_cvt_i32_f32_e32 v2, v2
.LBB6_552:
	s_mov_b32 s25, 0
.LBB6_553:
	s_delay_alu instid0(SALU_CYCLE_1)
	s_and_not1_b32 vcc_lo, exec_lo, s25
	s_cbranch_vccnz .LBB6_573
; %bb.554:
	s_cmp_lt_i32 s0, 2
	s_cbranch_scc1 .LBB6_558
; %bb.555:
	s_cmp_lt_i32 s0, 3
	s_cbranch_scc1 .LBB6_559
; %bb.556:
	s_cmp_gt_i32 s0, 3
	s_cbranch_scc0 .LBB6_560
; %bb.557:
	s_wait_loadcnt 0x0
	global_load_b32 v2, v[0:1], off
	s_mov_b32 s25, 0
	s_branch .LBB6_561
.LBB6_558:
	s_mov_b32 s25, -1
                                        ; implicit-def: $vgpr2
	s_branch .LBB6_567
.LBB6_559:
	s_mov_b32 s25, -1
                                        ; implicit-def: $vgpr2
	s_branch .LBB6_564
.LBB6_560:
	s_mov_b32 s25, -1
                                        ; implicit-def: $vgpr2
.LBB6_561:
	s_delay_alu instid0(SALU_CYCLE_1)
	s_and_not1_b32 vcc_lo, exec_lo, s25
	s_cbranch_vccnz .LBB6_563
; %bb.562:
	s_wait_loadcnt 0x0
	global_load_b32 v2, v[0:1], off
.LBB6_563:
	s_mov_b32 s25, 0
.LBB6_564:
	s_delay_alu instid0(SALU_CYCLE_1)
	s_and_not1_b32 vcc_lo, exec_lo, s25
	s_cbranch_vccnz .LBB6_566
; %bb.565:
	s_wait_loadcnt 0x0
	global_load_i16 v2, v[0:1], off
.LBB6_566:
	s_mov_b32 s25, 0
.LBB6_567:
	s_delay_alu instid0(SALU_CYCLE_1)
	s_and_not1_b32 vcc_lo, exec_lo, s25
	s_cbranch_vccnz .LBB6_573
; %bb.568:
	s_cmp_gt_i32 s0, 0
	s_mov_b32 s0, 0
	s_cbranch_scc0 .LBB6_570
; %bb.569:
	s_wait_loadcnt 0x0
	global_load_i8 v2, v[0:1], off
	s_branch .LBB6_571
.LBB6_570:
	s_mov_b32 s0, -1
                                        ; implicit-def: $vgpr2
.LBB6_571:
	s_delay_alu instid0(SALU_CYCLE_1)
	s_and_not1_b32 vcc_lo, exec_lo, s0
	s_cbranch_vccnz .LBB6_573
; %bb.572:
	s_wait_loadcnt 0x0
	global_load_u8 v2, v[0:1], off
.LBB6_573:
	s_mov_b32 s25, -1
.LBB6_574:
	s_delay_alu instid0(SALU_CYCLE_1)
	s_and_not1_b32 vcc_lo, exec_lo, s25
	s_cbranch_vccnz .LBB6_583
; %bb.575:
	s_wait_loadcnt 0x0
	s_delay_alu instid0(VALU_DEP_1)
	v_cmp_le_i32_e32 vcc_lo, s10, v2
	v_cmp_gt_i32_e64 s0, s12, v2
	s_mov_b32 s26, 0
	s_mov_b32 s27, -1
	s_mov_b32 s25, s20
	s_and_b32 s0, vcc_lo, s0
	s_delay_alu instid0(SALU_CYCLE_1)
	s_and_b32 s28, s11, s0
	s_wait_xcnt 0x0
	s_and_saveexec_b32 s0, s28
	s_cbranch_execz .LBB6_671
; %bb.576:
	v_mul_lo_u32 v0, v4, s8
	s_and_b32 s26, s14, 0xff
	s_delay_alu instid0(SALU_CYCLE_1) | instskip(NEXT) | instid1(VALU_DEP_1)
	s_cmp_lt_i32 s26, 11
	v_ashrrev_i32_e32 v1, 31, v0
	s_delay_alu instid0(VALU_DEP_1)
	v_add_nc_u64_e32 v[0:1], s[4:5], v[0:1]
	s_cbranch_scc1 .LBB6_584
; %bb.577:
	s_and_b32 s27, 0xffff, s26
	s_delay_alu instid0(SALU_CYCLE_1)
	s_cmp_gt_i32 s27, 25
	s_cbranch_scc0 .LBB6_585
; %bb.578:
	s_cmp_gt_i32 s27, 28
	s_cbranch_scc0 .LBB6_586
; %bb.579:
	;; [unrolled: 3-line block ×4, first 2 shown]
	s_mov_b32 s29, 0
	s_mov_b32 s25, -1
	s_cmp_eq_u32 s27, 46
	s_mov_b32 s28, 0
	s_cbranch_scc0 .LBB6_589
; %bb.582:
	v_mov_b32_e32 v2, 0
	s_mov_b32 s28, -1
	s_mov_b32 s25, 0
	global_store_b32 v[0:1], v2, off
	s_branch .LBB6_589
.LBB6_583:
	s_mov_b32 s26, 0
	s_mov_b32 s25, s20
	;; [unrolled: 1-line block ×3, first 2 shown]
                                        ; implicit-def: $vgpr4
	s_branch .LBB6_672
.LBB6_584:
	s_mov_b32 s28, 0
	s_mov_b32 s25, s20
	s_branch .LBB6_628
.LBB6_585:
	s_mov_b32 s28, 0
	s_mov_b32 s25, s20
	s_branch .LBB6_608
.LBB6_586:
	s_mov_b32 s28, 0
	s_mov_b32 s25, s20
	s_branch .LBB6_597
.LBB6_587:
	s_mov_b32 s28, 0
	s_mov_b32 s25, s20
	s_branch .LBB6_593
.LBB6_588:
	s_mov_b32 s28, 0
	s_mov_b32 s25, s20
.LBB6_589:
	s_and_b32 vcc_lo, exec_lo, s29
	s_cbranch_vccz .LBB6_592
; %bb.590:
	s_cmp_eq_u32 s27, 44
	s_mov_b32 s25, -1
	s_cbranch_scc0 .LBB6_592
; %bb.591:
	s_wait_xcnt 0x0
	v_mov_b32_e32 v2, 0
	s_mov_b32 s28, -1
	s_mov_b32 s25, 0
	global_store_b8 v[0:1], v2, off
.LBB6_592:
	s_mov_b32 s29, 0
.LBB6_593:
	s_delay_alu instid0(SALU_CYCLE_1)
	s_and_b32 vcc_lo, exec_lo, s29
	s_cbranch_vccz .LBB6_596
; %bb.594:
	s_cmp_eq_u32 s27, 29
	s_mov_b32 s25, -1
	s_cbranch_scc0 .LBB6_596
; %bb.595:
	s_wait_xcnt 0x0
	v_mov_b64_e32 v[2:3], 0
	s_mov_b32 s28, -1
	s_mov_b32 s25, 0
	s_mov_b32 s29, 0
	global_store_b64 v[0:1], v[2:3], off
	s_branch .LBB6_597
.LBB6_596:
	s_mov_b32 s29, 0
.LBB6_597:
	s_delay_alu instid0(SALU_CYCLE_1)
	s_and_b32 vcc_lo, exec_lo, s29
	s_cbranch_vccz .LBB6_607
; %bb.598:
	s_cmp_lt_i32 s27, 27
	s_mov_b32 s28, -1
	s_cbranch_scc1 .LBB6_604
; %bb.599:
	s_cmp_gt_i32 s27, 27
	s_cbranch_scc0 .LBB6_601
; %bb.600:
	s_wait_xcnt 0x0
	v_mov_b32_e32 v2, 0
	s_mov_b32 s28, 0
	global_store_b32 v[0:1], v2, off
.LBB6_601:
	s_and_not1_b32 vcc_lo, exec_lo, s28
	s_cbranch_vccnz .LBB6_603
; %bb.602:
	s_wait_xcnt 0x0
	v_mov_b32_e32 v2, 0
	global_store_b16 v[0:1], v2, off
.LBB6_603:
	s_mov_b32 s28, 0
.LBB6_604:
	s_delay_alu instid0(SALU_CYCLE_1)
	s_and_not1_b32 vcc_lo, exec_lo, s28
	s_cbranch_vccnz .LBB6_606
; %bb.605:
	s_wait_xcnt 0x0
	v_mov_b32_e32 v2, 0
	global_store_b8 v[0:1], v2, off
.LBB6_606:
	s_mov_b32 s28, -1
.LBB6_607:
	s_mov_b32 s29, 0
.LBB6_608:
	s_delay_alu instid0(SALU_CYCLE_1)
	s_and_b32 vcc_lo, exec_lo, s29
	s_cbranch_vccz .LBB6_627
; %bb.609:
	s_cmp_gt_i32 s27, 22
	s_mov_b32 s29, -1
	s_cbranch_scc0 .LBB6_619
; %bb.610:
	s_cmp_lt_i32 s27, 24
	s_mov_b32 s28, -1
	s_cbranch_scc1 .LBB6_616
; %bb.611:
	s_cmp_gt_i32 s27, 24
	s_cbranch_scc0 .LBB6_613
; %bb.612:
	s_wait_xcnt 0x0
	v_mov_b32_e32 v2, 0
	s_mov_b32 s28, 0
	global_store_b8 v[0:1], v2, off
.LBB6_613:
	s_and_not1_b32 vcc_lo, exec_lo, s28
	s_cbranch_vccnz .LBB6_615
; %bb.614:
	s_wait_xcnt 0x0
	v_mov_b32_e32 v2, 0
	global_store_b8 v[0:1], v2, off
.LBB6_615:
	s_mov_b32 s28, 0
.LBB6_616:
	s_delay_alu instid0(SALU_CYCLE_1)
	s_and_not1_b32 vcc_lo, exec_lo, s28
	s_cbranch_vccnz .LBB6_618
; %bb.617:
	s_wait_xcnt 0x0
	v_mov_b32_e32 v2, 0
	global_store_b8 v[0:1], v2, off
.LBB6_618:
	s_mov_b32 s29, 0
	s_mov_b32 s28, -1
.LBB6_619:
	s_and_not1_b32 vcc_lo, exec_lo, s29
	s_cbranch_vccnz .LBB6_627
; %bb.620:
	s_cmp_gt_i32 s27, 14
	s_mov_b32 s29, -1
	s_cbranch_scc0 .LBB6_624
; %bb.621:
	s_cmp_eq_u32 s27, 15
	s_mov_b32 s25, -1
	s_cbranch_scc0 .LBB6_623
; %bb.622:
	s_wait_xcnt 0x0
	v_mov_b32_e32 v2, 0
	s_mov_b32 s28, -1
	s_mov_b32 s25, 0
	global_store_b16 v[0:1], v2, off
.LBB6_623:
	s_mov_b32 s29, 0
.LBB6_624:
	s_delay_alu instid0(SALU_CYCLE_1)
	s_and_b32 vcc_lo, exec_lo, s29
	s_cbranch_vccz .LBB6_627
; %bb.625:
	s_cmp_eq_u32 s27, 11
	s_mov_b32 s25, -1
	s_cbranch_scc0 .LBB6_627
; %bb.626:
	s_wait_xcnt 0x0
	v_mov_b32_e32 v2, 0
	s_mov_b32 s28, -1
	s_mov_b32 s25, 0
	global_store_b8 v[0:1], v2, off
.LBB6_627:
	s_mov_b32 s27, 0
.LBB6_628:
	s_delay_alu instid0(SALU_CYCLE_1)
	s_and_b32 vcc_lo, exec_lo, s27
	s_cbranch_vccz .LBB6_667
; %bb.629:
	s_and_b32 s26, 0xffff, s26
	s_mov_b32 s27, -1
	s_cmp_lt_i32 s26, 5
	s_cbranch_scc1 .LBB6_650
; %bb.630:
	s_cmp_lt_i32 s26, 8
	s_cbranch_scc1 .LBB6_640
; %bb.631:
	;; [unrolled: 3-line block ×3, first 2 shown]
	s_cmp_gt_i32 s26, 9
	s_cbranch_scc0 .LBB6_634
; %bb.633:
	v_mov_b32_e32 v6, 0
	s_mov_b32 s27, 0
	s_delay_alu instid0(VALU_DEP_1)
	v_dual_mov_b32 v7, v6 :: v_dual_mov_b32 v8, v6
	v_mov_b32_e32 v9, v6
	global_store_b128 v[0:1], v[6:9], off
.LBB6_634:
	s_and_not1_b32 vcc_lo, exec_lo, s27
	s_cbranch_vccnz .LBB6_636
; %bb.635:
	s_wait_xcnt 0x0
	v_mov_b64_e32 v[2:3], 0
	global_store_b64 v[0:1], v[2:3], off
.LBB6_636:
	s_mov_b32 s27, 0
.LBB6_637:
	s_delay_alu instid0(SALU_CYCLE_1)
	s_and_not1_b32 vcc_lo, exec_lo, s27
	s_cbranch_vccnz .LBB6_639
; %bb.638:
	s_wait_xcnt 0x0
	v_mov_b32_e32 v2, 0
	global_store_b32 v[0:1], v2, off
.LBB6_639:
	s_mov_b32 s27, 0
.LBB6_640:
	s_delay_alu instid0(SALU_CYCLE_1)
	s_and_not1_b32 vcc_lo, exec_lo, s27
	s_cbranch_vccnz .LBB6_649
; %bb.641:
	s_cmp_lt_i32 s26, 6
	s_mov_b32 s27, -1
	s_cbranch_scc1 .LBB6_647
; %bb.642:
	s_cmp_gt_i32 s26, 6
	s_cbranch_scc0 .LBB6_644
; %bb.643:
	s_wait_xcnt 0x0
	v_mov_b64_e32 v[2:3], 0
	s_mov_b32 s27, 0
	global_store_b64 v[0:1], v[2:3], off
.LBB6_644:
	s_and_not1_b32 vcc_lo, exec_lo, s27
	s_cbranch_vccnz .LBB6_646
; %bb.645:
	s_wait_xcnt 0x0
	v_mov_b32_e32 v2, 0
	global_store_b32 v[0:1], v2, off
.LBB6_646:
	s_mov_b32 s27, 0
.LBB6_647:
	s_delay_alu instid0(SALU_CYCLE_1)
	s_and_not1_b32 vcc_lo, exec_lo, s27
	s_cbranch_vccnz .LBB6_649
; %bb.648:
	s_wait_xcnt 0x0
	v_mov_b32_e32 v2, 0
	global_store_b16 v[0:1], v2, off
.LBB6_649:
	s_mov_b32 s27, 0
.LBB6_650:
	s_delay_alu instid0(SALU_CYCLE_1)
	s_and_not1_b32 vcc_lo, exec_lo, s27
	s_cbranch_vccnz .LBB6_666
; %bb.651:
	s_cmp_lt_i32 s26, 2
	s_mov_b32 s27, -1
	s_cbranch_scc1 .LBB6_661
; %bb.652:
	s_cmp_lt_i32 s26, 3
	s_cbranch_scc1 .LBB6_658
; %bb.653:
	s_cmp_gt_i32 s26, 3
	s_cbranch_scc0 .LBB6_655
; %bb.654:
	s_wait_xcnt 0x0
	v_mov_b64_e32 v[2:3], 0
	s_mov_b32 s27, 0
	global_store_b64 v[0:1], v[2:3], off
.LBB6_655:
	s_and_not1_b32 vcc_lo, exec_lo, s27
	s_cbranch_vccnz .LBB6_657
; %bb.656:
	s_wait_xcnt 0x0
	v_mov_b32_e32 v2, 0
	global_store_b32 v[0:1], v2, off
.LBB6_657:
	s_mov_b32 s27, 0
.LBB6_658:
	s_delay_alu instid0(SALU_CYCLE_1)
	s_and_not1_b32 vcc_lo, exec_lo, s27
	s_cbranch_vccnz .LBB6_660
; %bb.659:
	s_wait_xcnt 0x0
	v_mov_b32_e32 v2, 0
	global_store_b16 v[0:1], v2, off
.LBB6_660:
	s_mov_b32 s27, 0
.LBB6_661:
	s_delay_alu instid0(SALU_CYCLE_1)
	s_and_not1_b32 vcc_lo, exec_lo, s27
	s_cbranch_vccnz .LBB6_666
; %bb.662:
	s_cmp_gt_i32 s26, 0
	s_mov_b32 s26, -1
	s_cbranch_scc0 .LBB6_664
; %bb.663:
	s_wait_xcnt 0x0
	v_mov_b32_e32 v2, 0
	s_mov_b32 s26, 0
	global_store_b8 v[0:1], v2, off
.LBB6_664:
	s_and_not1_b32 vcc_lo, exec_lo, s26
	s_cbranch_vccnz .LBB6_666
; %bb.665:
	s_wait_xcnt 0x0
	v_mov_b32_e32 v2, 0
	global_store_b8 v[0:1], v2, off
.LBB6_666:
	s_mov_b32 s28, -1
.LBB6_667:
	s_delay_alu instid0(SALU_CYCLE_1)
	s_and_not1_b32 vcc_lo, exec_lo, s28
	s_cbranch_vccnz .LBB6_669
; %bb.668:
	v_add_nc_u32_e32 v4, 0x80, v4
	s_mov_b32 s26, -1
	s_branch .LBB6_670
.LBB6_669:
	s_mov_b32 s26, 0
                                        ; implicit-def: $vgpr4
.LBB6_670:
	s_and_not1_b32 s27, s20, exec_lo
	s_and_b32 s25, s25, exec_lo
	s_and_b32 s26, s26, exec_lo
	s_or_b32 s25, s27, s25
	s_xor_b32 s27, exec_lo, -1
.LBB6_671:
	s_wait_xcnt 0x0
	s_or_b32 exec_lo, exec_lo, s0
.LBB6_672:
	s_delay_alu instid0(SALU_CYCLE_1)
	s_and_not1_b32 s0, s20, exec_lo
	s_and_b32 s25, s25, exec_lo
	s_and_b32 s27, s27, exec_lo
	s_or_b32 s25, s0, s25
	s_and_not1_b32 s0, s21, exec_lo
	s_and_not1_b32 s28, s19, exec_lo
	s_and_b32 s29, s24, exec_lo
	s_or_b32 s24, s0, s27
	s_or_b32 s0, s28, s29
	s_or_not1_b32 s29, s26, exec_lo
.LBB6_673:
	s_wait_xcnt 0x0
	s_or_b32 exec_lo, exec_lo, s23
	s_mov_b32 s26, 0
	s_mov_b32 s27, 0
	;; [unrolled: 1-line block ×3, first 2 shown]
                                        ; implicit-def: $vgpr0_vgpr1
                                        ; implicit-def: $vgpr2
	s_and_saveexec_b32 s23, s29
	s_cbranch_execz .LBB6_750
; %bb.674:
	v_cmp_gt_i32_e32 vcc_lo, s13, v4
	s_mov_b32 s30, s0
	s_mov_b32 s29, 0
	;; [unrolled: 1-line block ×3, first 2 shown]
                                        ; implicit-def: $vgpr0_vgpr1
                                        ; implicit-def: $vgpr2
	s_and_saveexec_b32 s13, vcc_lo
	s_cbranch_execz .LBB6_749
; %bb.675:
	v_mul_lo_u32 v0, v4, s9
	s_and_b32 s26, 0xffff, s2
	s_delay_alu instid0(SALU_CYCLE_1) | instskip(NEXT) | instid1(VALU_DEP_1)
	s_cmp_lt_i32 s26, 11
	v_ashrrev_i32_e32 v1, 31, v0
	s_delay_alu instid0(VALU_DEP_1)
	v_add_nc_u64_e32 v[0:1], s[6:7], v[0:1]
	s_cbranch_scc1 .LBB6_682
; %bb.676:
	s_cmp_gt_i32 s26, 25
	s_cbranch_scc0 .LBB6_683
; %bb.677:
	s_cmp_gt_i32 s26, 28
	s_cbranch_scc0 .LBB6_684
	;; [unrolled: 3-line block ×4, first 2 shown]
; %bb.680:
	s_cmp_eq_u32 s26, 46
	s_mov_b32 s30, 0
	s_cbranch_scc0 .LBB6_687
; %bb.681:
	s_wait_loadcnt 0x0
	global_load_b32 v2, v[0:1], off
	s_mov_b32 s29, -1
	s_wait_loadcnt 0x0
	v_lshlrev_b32_e32 v2, 16, v2
	s_delay_alu instid0(VALU_DEP_1)
	v_cvt_i32_f32_e32 v2, v2
	s_branch .LBB6_689
.LBB6_682:
	s_mov_b32 s26, -1
	s_mov_b32 s27, s0
                                        ; implicit-def: $vgpr2
	s_branch .LBB6_748
.LBB6_683:
	s_mov_b32 s30, -1
	s_mov_b32 s27, s0
                                        ; implicit-def: $vgpr2
	s_branch .LBB6_716
.LBB6_684:
	s_mov_b32 s30, -1
	s_mov_b32 s27, s0
                                        ; implicit-def: $vgpr2
	s_branch .LBB6_699
.LBB6_685:
	s_mov_b32 s30, -1
	s_mov_b32 s27, s0
                                        ; implicit-def: $vgpr2
	s_branch .LBB6_694
.LBB6_686:
	s_mov_b32 s30, -1
	s_mov_b32 s27, s0
	s_branch .LBB6_688
.LBB6_687:
	s_mov_b32 s27, -1
.LBB6_688:
                                        ; implicit-def: $vgpr2
.LBB6_689:
	s_and_b32 vcc_lo, exec_lo, s30
	s_cbranch_vccz .LBB6_693
; %bb.690:
	s_cmp_eq_u32 s26, 44
	s_cbranch_scc0 .LBB6_692
; %bb.691:
	s_wait_loadcnt 0x0
	global_load_u8 v2, v[0:1], off
	s_mov_b32 s27, 0
	s_mov_b32 s29, -1
	s_wait_loadcnt 0x0
	v_lshlrev_b32_e32 v3, 23, v2
	v_cmp_ne_u32_e32 vcc_lo, 0, v2
	s_delay_alu instid0(VALU_DEP_2) | instskip(NEXT) | instid1(VALU_DEP_1)
	v_cvt_i32_f32_e32 v3, v3
	v_cndmask_b32_e32 v2, 0, v3, vcc_lo
	s_branch .LBB6_693
.LBB6_692:
	s_mov_b32 s27, -1
                                        ; implicit-def: $vgpr2
.LBB6_693:
	s_mov_b32 s30, 0
.LBB6_694:
	s_delay_alu instid0(SALU_CYCLE_1)
	s_and_b32 vcc_lo, exec_lo, s30
	s_cbranch_vccz .LBB6_698
; %bb.695:
	s_cmp_eq_u32 s26, 29
	s_cbranch_scc0 .LBB6_697
; %bb.696:
	s_wait_loadcnt 0x0
	global_load_b32 v2, v[0:1], off
	s_mov_b32 s27, 0
	s_mov_b32 s29, -1
	s_branch .LBB6_698
.LBB6_697:
	s_mov_b32 s27, -1
                                        ; implicit-def: $vgpr2
.LBB6_698:
	s_mov_b32 s30, 0
.LBB6_699:
	s_delay_alu instid0(SALU_CYCLE_1)
	s_and_b32 vcc_lo, exec_lo, s30
	s_cbranch_vccz .LBB6_715
; %bb.700:
	s_cmp_lt_i32 s26, 27
	s_cbranch_scc1 .LBB6_703
; %bb.701:
	s_cmp_gt_i32 s26, 27
	s_cbranch_scc0 .LBB6_704
; %bb.702:
	s_wait_loadcnt 0x0
	global_load_b32 v2, v[0:1], off
	s_mov_b32 s29, 0
	s_branch .LBB6_705
.LBB6_703:
	s_mov_b32 s29, -1
                                        ; implicit-def: $vgpr2
	s_branch .LBB6_708
.LBB6_704:
	s_mov_b32 s29, -1
                                        ; implicit-def: $vgpr2
.LBB6_705:
	s_delay_alu instid0(SALU_CYCLE_1)
	s_and_not1_b32 vcc_lo, exec_lo, s29
	s_cbranch_vccnz .LBB6_707
; %bb.706:
	s_wait_loadcnt 0x0
	global_load_u16 v2, v[0:1], off
.LBB6_707:
	s_mov_b32 s29, 0
.LBB6_708:
	s_delay_alu instid0(SALU_CYCLE_1)
	s_and_not1_b32 vcc_lo, exec_lo, s29
	s_cbranch_vccnz .LBB6_714
; %bb.709:
	global_load_u8 v3, v[0:1], off
	s_mov_b32 s30, 0
	s_mov_b32 s29, exec_lo
	s_wait_loadcnt 0x0
	v_cmpx_lt_i16_e32 0x7f, v3
	s_xor_b32 s29, exec_lo, s29
	s_cbranch_execz .LBB6_726
; %bb.710:
	v_cmp_ne_u16_e32 vcc_lo, 0x80, v3
	s_and_b32 s30, vcc_lo, exec_lo
	s_and_not1_saveexec_b32 s29, s29
	s_cbranch_execnz .LBB6_727
.LBB6_711:
	s_or_b32 exec_lo, exec_lo, s29
	v_mov_b32_e32 v2, 0
	s_and_saveexec_b32 s29, s30
	s_cbranch_execz .LBB6_713
.LBB6_712:
	v_and_b32_e32 v2, 0xffff, v3
	s_delay_alu instid0(VALU_DEP_1) | instskip(SKIP_1) | instid1(VALU_DEP_2)
	v_dual_lshlrev_b32 v3, 24, v3 :: v_dual_bitop2_b32 v5, 7, v2 bitop3:0x40
	v_bfe_u32 v8, v2, 3, 4
	v_and_b32_e32 v3, 0x80000000, v3
	s_delay_alu instid0(VALU_DEP_3) | instskip(NEXT) | instid1(VALU_DEP_3)
	v_clz_i32_u32_e32 v6, v5
	v_cmp_eq_u32_e32 vcc_lo, 0, v8
	s_delay_alu instid0(VALU_DEP_2) | instskip(NEXT) | instid1(VALU_DEP_1)
	v_min_u32_e32 v6, 32, v6
	v_subrev_nc_u32_e32 v7, 28, v6
	v_sub_nc_u32_e32 v6, 29, v6
	s_delay_alu instid0(VALU_DEP_2) | instskip(NEXT) | instid1(VALU_DEP_2)
	v_lshlrev_b32_e32 v2, v7, v2
	v_cndmask_b32_e32 v6, v8, v6, vcc_lo
	s_delay_alu instid0(VALU_DEP_2) | instskip(NEXT) | instid1(VALU_DEP_1)
	v_and_b32_e32 v2, 7, v2
	v_cndmask_b32_e32 v2, v5, v2, vcc_lo
	s_delay_alu instid0(VALU_DEP_3) | instskip(NEXT) | instid1(VALU_DEP_2)
	v_lshl_add_u32 v5, v6, 23, 0x3b800000
	v_lshlrev_b32_e32 v2, 20, v2
	s_delay_alu instid0(VALU_DEP_1) | instskip(NEXT) | instid1(VALU_DEP_1)
	v_or3_b32 v2, v3, v5, v2
	v_cvt_i32_f32_e32 v2, v2
.LBB6_713:
	s_or_b32 exec_lo, exec_lo, s29
.LBB6_714:
	s_mov_b32 s29, -1
.LBB6_715:
	s_mov_b32 s30, 0
.LBB6_716:
	s_delay_alu instid0(SALU_CYCLE_1)
	s_and_b32 vcc_lo, exec_lo, s30
	s_cbranch_vccz .LBB6_747
; %bb.717:
	s_cmp_gt_i32 s26, 22
	s_cbranch_scc0 .LBB6_725
; %bb.718:
	s_cmp_lt_i32 s26, 24
	s_cbranch_scc1 .LBB6_728
; %bb.719:
	s_cmp_gt_i32 s26, 24
	s_cbranch_scc0 .LBB6_729
; %bb.720:
	global_load_u8 v3, v[0:1], off
	s_mov_b32 s29, 0
	s_mov_b32 s28, exec_lo
	s_wait_loadcnt 0x0
	v_cmpx_lt_i16_e32 0x7f, v3
	s_xor_b32 s28, exec_lo, s28
	s_cbranch_execz .LBB6_741
; %bb.721:
	v_cmp_ne_u16_e32 vcc_lo, 0x80, v3
	s_and_b32 s29, vcc_lo, exec_lo
	s_and_not1_saveexec_b32 s28, s28
	s_cbranch_execnz .LBB6_742
.LBB6_722:
	s_or_b32 exec_lo, exec_lo, s28
	v_mov_b32_e32 v2, 0
	s_and_saveexec_b32 s28, s29
	s_cbranch_execz .LBB6_724
.LBB6_723:
	v_and_b32_e32 v2, 0xffff, v3
	s_delay_alu instid0(VALU_DEP_1) | instskip(SKIP_1) | instid1(VALU_DEP_2)
	v_dual_lshlrev_b32 v3, 24, v3 :: v_dual_bitop2_b32 v5, 3, v2 bitop3:0x40
	v_bfe_u32 v8, v2, 2, 5
	v_and_b32_e32 v3, 0x80000000, v3
	s_delay_alu instid0(VALU_DEP_3) | instskip(NEXT) | instid1(VALU_DEP_3)
	v_clz_i32_u32_e32 v6, v5
	v_cmp_eq_u32_e32 vcc_lo, 0, v8
	s_delay_alu instid0(VALU_DEP_2) | instskip(NEXT) | instid1(VALU_DEP_1)
	v_min_u32_e32 v6, 32, v6
	v_subrev_nc_u32_e32 v7, 29, v6
	v_sub_nc_u32_e32 v6, 30, v6
	s_delay_alu instid0(VALU_DEP_2) | instskip(NEXT) | instid1(VALU_DEP_2)
	v_lshlrev_b32_e32 v2, v7, v2
	v_cndmask_b32_e32 v6, v8, v6, vcc_lo
	s_delay_alu instid0(VALU_DEP_2) | instskip(NEXT) | instid1(VALU_DEP_1)
	v_and_b32_e32 v2, 3, v2
	v_cndmask_b32_e32 v2, v5, v2, vcc_lo
	s_delay_alu instid0(VALU_DEP_3) | instskip(NEXT) | instid1(VALU_DEP_2)
	v_lshl_add_u32 v5, v6, 23, 0x37800000
	v_lshlrev_b32_e32 v2, 21, v2
	s_delay_alu instid0(VALU_DEP_1) | instskip(NEXT) | instid1(VALU_DEP_1)
	v_or3_b32 v2, v3, v5, v2
	v_cvt_i32_f32_e32 v2, v2
.LBB6_724:
	s_or_b32 exec_lo, exec_lo, s28
	s_mov_b32 s28, 0
	s_branch .LBB6_730
.LBB6_725:
	s_mov_b32 s28, -1
                                        ; implicit-def: $vgpr2
	s_branch .LBB6_736
.LBB6_726:
	s_and_not1_saveexec_b32 s29, s29
	s_cbranch_execz .LBB6_711
.LBB6_727:
	v_cmp_ne_u16_e32 vcc_lo, 0, v3
	s_and_not1_b32 s30, s30, exec_lo
	s_and_b32 s31, vcc_lo, exec_lo
	s_delay_alu instid0(SALU_CYCLE_1)
	s_or_b32 s30, s30, s31
	s_or_b32 exec_lo, exec_lo, s29
	v_mov_b32_e32 v2, 0
	s_and_saveexec_b32 s29, s30
	s_cbranch_execnz .LBB6_712
	s_branch .LBB6_713
.LBB6_728:
	s_mov_b32 s28, -1
                                        ; implicit-def: $vgpr2
	s_branch .LBB6_733
.LBB6_729:
	s_mov_b32 s28, -1
                                        ; implicit-def: $vgpr2
.LBB6_730:
	s_delay_alu instid0(SALU_CYCLE_1)
	s_and_b32 vcc_lo, exec_lo, s28
	s_cbranch_vccz .LBB6_732
; %bb.731:
	s_wait_loadcnt 0x0
	global_load_u8 v2, v[0:1], off
	s_wait_loadcnt 0x0
	v_lshlrev_b32_e32 v2, 24, v2
	s_delay_alu instid0(VALU_DEP_1) | instskip(NEXT) | instid1(VALU_DEP_1)
	v_and_b32_e32 v3, 0x7f000000, v2
	v_clz_i32_u32_e32 v5, v3
	v_add_nc_u32_e32 v7, 0x1000000, v3
	v_cmp_ne_u32_e32 vcc_lo, 0, v3
	s_delay_alu instid0(VALU_DEP_3) | instskip(NEXT) | instid1(VALU_DEP_1)
	v_min_u32_e32 v5, 32, v5
	v_sub_nc_u32_e64 v5, v5, 4 clamp
	s_delay_alu instid0(VALU_DEP_1) | instskip(NEXT) | instid1(VALU_DEP_1)
	v_dual_lshlrev_b32 v6, v5, v3 :: v_dual_lshlrev_b32 v5, 23, v5
	v_lshrrev_b32_e32 v6, 4, v6
	s_delay_alu instid0(VALU_DEP_1) | instskip(NEXT) | instid1(VALU_DEP_1)
	v_dual_sub_nc_u32 v5, v6, v5 :: v_dual_ashrrev_i32 v6, 8, v7
	v_add_nc_u32_e32 v5, 0x3c000000, v5
	s_delay_alu instid0(VALU_DEP_1) | instskip(NEXT) | instid1(VALU_DEP_1)
	v_and_or_b32 v5, 0x7f800000, v6, v5
	v_cndmask_b32_e32 v3, 0, v5, vcc_lo
	s_delay_alu instid0(VALU_DEP_1) | instskip(NEXT) | instid1(VALU_DEP_1)
	v_and_or_b32 v2, 0x80000000, v2, v3
	v_cvt_i32_f32_e32 v2, v2
.LBB6_732:
	s_mov_b32 s28, 0
.LBB6_733:
	s_delay_alu instid0(SALU_CYCLE_1)
	s_and_not1_b32 vcc_lo, exec_lo, s28
	s_cbranch_vccnz .LBB6_735
; %bb.734:
	s_wait_loadcnt 0x0
	global_load_u8 v2, v[0:1], off
	s_wait_loadcnt 0x0
	v_lshlrev_b32_e32 v3, 25, v2
	v_lshlrev_b16 v2, 8, v2
	s_delay_alu instid0(VALU_DEP_2) | instskip(NEXT) | instid1(VALU_DEP_2)
	v_cmp_gt_u32_e32 vcc_lo, 0x8000000, v3
	v_and_or_b32 v6, 0x7f00, v2, 0.5
	v_lshrrev_b32_e32 v5, 4, v3
	v_bfe_i32 v2, v2, 0, 16
	s_delay_alu instid0(VALU_DEP_3) | instskip(NEXT) | instid1(VALU_DEP_3)
	v_add_f32_e32 v6, -0.5, v6
	v_or_b32_e32 v5, 0x70000000, v5
	s_delay_alu instid0(VALU_DEP_1) | instskip(NEXT) | instid1(VALU_DEP_1)
	v_mul_f32_e32 v5, 0x7800000, v5
	v_cndmask_b32_e32 v3, v5, v6, vcc_lo
	s_delay_alu instid0(VALU_DEP_1) | instskip(NEXT) | instid1(VALU_DEP_1)
	v_and_or_b32 v2, 0x80000000, v2, v3
	v_cvt_i32_f32_e32 v2, v2
.LBB6_735:
	s_mov_b32 s28, 0
	s_mov_b32 s29, -1
.LBB6_736:
	s_and_not1_b32 vcc_lo, exec_lo, s28
	s_mov_b32 s28, 0
	s_cbranch_vccnz .LBB6_747
; %bb.737:
	s_cmp_gt_i32 s26, 14
	s_cbranch_scc0 .LBB6_740
; %bb.738:
	s_cmp_eq_u32 s26, 15
	s_cbranch_scc0 .LBB6_743
; %bb.739:
	s_wait_loadcnt 0x0
	global_load_u16 v2, v[0:1], off
	s_mov_b32 s27, 0
	s_mov_b32 s29, -1
	s_wait_loadcnt 0x0
	v_lshlrev_b32_e32 v2, 16, v2
	s_delay_alu instid0(VALU_DEP_1)
	v_cvt_i32_f32_e32 v2, v2
	s_branch .LBB6_745
.LBB6_740:
	s_mov_b32 s28, -1
	s_branch .LBB6_744
.LBB6_741:
	s_and_not1_saveexec_b32 s28, s28
	s_cbranch_execz .LBB6_722
.LBB6_742:
	v_cmp_ne_u16_e32 vcc_lo, 0, v3
	s_and_not1_b32 s29, s29, exec_lo
	s_and_b32 s30, vcc_lo, exec_lo
	s_delay_alu instid0(SALU_CYCLE_1)
	s_or_b32 s29, s29, s30
	s_or_b32 exec_lo, exec_lo, s28
	v_mov_b32_e32 v2, 0
	s_and_saveexec_b32 s28, s29
	s_cbranch_execnz .LBB6_723
	s_branch .LBB6_724
.LBB6_743:
	s_mov_b32 s27, -1
.LBB6_744:
                                        ; implicit-def: $vgpr2
.LBB6_745:
	s_and_b32 vcc_lo, exec_lo, s28
	s_mov_b32 s28, 0
	s_cbranch_vccz .LBB6_747
; %bb.746:
	s_cmp_lg_u32 s26, 11
	s_mov_b32 s28, -1
	s_cselect_b32 s26, -1, 0
	s_and_not1_b32 s27, s27, exec_lo
	s_and_b32 s26, s26, exec_lo
	s_delay_alu instid0(SALU_CYCLE_1)
	s_or_b32 s27, s27, s26
.LBB6_747:
	s_mov_b32 s26, 0
.LBB6_748:
	s_and_not1_b32 s30, s0, exec_lo
	s_and_b32 s27, s27, exec_lo
	s_and_b32 s31, s29, exec_lo
	;; [unrolled: 1-line block ×4, first 2 shown]
	s_or_b32 s30, s30, s27
.LBB6_749:
	s_wait_xcnt 0x0
	s_or_b32 exec_lo, exec_lo, s13
	s_delay_alu instid0(SALU_CYCLE_1)
	s_and_not1_b32 s0, s0, exec_lo
	s_and_b32 s13, s30, exec_lo
	s_and_b32 s28, s31, exec_lo
	;; [unrolled: 1-line block ×4, first 2 shown]
	s_or_b32 s0, s0, s13
.LBB6_750:
	s_or_b32 exec_lo, exec_lo, s23
	s_delay_alu instid0(SALU_CYCLE_1)
	s_and_not1_b32 s13, s20, exec_lo
	s_and_b32 s20, s25, exec_lo
	s_and_not1_b32 s21, s21, exec_lo
	s_and_b32 s23, s24, exec_lo
	s_or_b32 s20, s13, s20
	s_and_not1_b32 s13, s19, exec_lo
	s_and_b32 s0, s0, exec_lo
	s_or_b32 s21, s21, s23
	s_and_b32 s25, s28, exec_lo
	s_and_b32 s24, s27, exec_lo
	;; [unrolled: 1-line block ×3, first 2 shown]
	s_or_b32 s19, s13, s0
.LBB6_751:
	s_or_b32 exec_lo, exec_lo, s22
	s_delay_alu instid0(SALU_CYCLE_1)
	s_and_not1_b32 s0, s15, exec_lo
	s_and_b32 s13, s20, exec_lo
	s_and_not1_b32 s16, s16, exec_lo
	s_and_b32 s20, s21, exec_lo
	s_or_b32 s15, s0, s13
	s_and_not1_b32 s13, s17, exec_lo
	s_and_b32 s17, s19, exec_lo
	s_or_b32 s16, s16, s20
	s_and_b32 s0, s25, exec_lo
	s_and_b32 s20, s24, exec_lo
	;; [unrolled: 1-line block ×3, first 2 shown]
	s_or_b32 s17, s13, s17
	s_or_b32 exec_lo, exec_lo, s18
	s_mov_b32 s13, 0
	s_and_saveexec_b32 s18, s17
	s_cbranch_execz .LBB6_231
.LBB6_752:
	s_mov_b32 s13, exec_lo
	s_and_not1_b32 s19, s19, exec_lo
	s_trap 2
	s_or_b32 exec_lo, exec_lo, s18
	s_and_saveexec_b32 s17, s19
	s_delay_alu instid0(SALU_CYCLE_1)
	s_xor_b32 s17, exec_lo, s17
	s_cbranch_execnz .LBB6_232
.LBB6_753:
	s_or_b32 exec_lo, exec_lo, s17
	s_and_saveexec_b32 s17, s20
	s_cbranch_execz .LBB6_799
.LBB6_754:
	s_sext_i32_i16 s18, s2
	s_delay_alu instid0(SALU_CYCLE_1)
	s_cmp_lt_i32 s18, 5
	s_cbranch_scc1 .LBB6_759
; %bb.755:
	s_cmp_lt_i32 s18, 8
	s_cbranch_scc1 .LBB6_760
; %bb.756:
	;; [unrolled: 3-line block ×3, first 2 shown]
	s_cmp_gt_i32 s18, 9
	s_cbranch_scc0 .LBB6_762
; %bb.758:
	s_wait_loadcnt 0x0
	global_load_b64 v[2:3], v[0:1], off
	s_mov_b32 s18, 0
	s_wait_loadcnt 0x0
	v_cvt_i32_f64_e32 v2, v[2:3]
	s_branch .LBB6_763
.LBB6_759:
                                        ; implicit-def: $vgpr2
	s_branch .LBB6_780
.LBB6_760:
                                        ; implicit-def: $vgpr2
	s_branch .LBB6_769
.LBB6_761:
	s_mov_b32 s18, -1
                                        ; implicit-def: $vgpr2
	s_branch .LBB6_766
.LBB6_762:
	s_mov_b32 s18, -1
                                        ; implicit-def: $vgpr2
.LBB6_763:
	s_delay_alu instid0(SALU_CYCLE_1)
	s_and_not1_b32 vcc_lo, exec_lo, s18
	s_cbranch_vccnz .LBB6_765
; %bb.764:
	s_wait_loadcnt 0x0
	global_load_b32 v2, v[0:1], off
	s_wait_loadcnt 0x0
	v_cvt_i32_f32_e32 v2, v2
.LBB6_765:
	s_mov_b32 s18, 0
.LBB6_766:
	s_delay_alu instid0(SALU_CYCLE_1)
	s_and_not1_b32 vcc_lo, exec_lo, s18
	s_cbranch_vccnz .LBB6_768
; %bb.767:
	s_wait_loadcnt 0x0
	global_load_b32 v2, v[0:1], off
	s_wait_loadcnt 0x0
	v_cvt_f32_f16_e32 v2, v2
	s_delay_alu instid0(VALU_DEP_1)
	v_cvt_i32_f32_e32 v2, v2
.LBB6_768:
	s_cbranch_execnz .LBB6_779
.LBB6_769:
	s_sext_i32_i16 s18, s2
	s_delay_alu instid0(SALU_CYCLE_1)
	s_cmp_lt_i32 s18, 6
	s_cbranch_scc1 .LBB6_772
; %bb.770:
	s_cmp_gt_i32 s18, 6
	s_cbranch_scc0 .LBB6_773
; %bb.771:
	s_wait_loadcnt 0x0
	global_load_b64 v[2:3], v[0:1], off
	s_mov_b32 s18, 0
	s_wait_loadcnt 0x0
	v_cvt_i32_f64_e32 v2, v[2:3]
	s_branch .LBB6_774
.LBB6_772:
	s_mov_b32 s18, -1
                                        ; implicit-def: $vgpr2
	s_branch .LBB6_777
.LBB6_773:
	s_mov_b32 s18, -1
                                        ; implicit-def: $vgpr2
.LBB6_774:
	s_delay_alu instid0(SALU_CYCLE_1)
	s_and_not1_b32 vcc_lo, exec_lo, s18
	s_cbranch_vccnz .LBB6_776
; %bb.775:
	s_wait_loadcnt 0x0
	global_load_b32 v2, v[0:1], off
	s_wait_loadcnt 0x0
	v_cvt_i32_f32_e32 v2, v2
.LBB6_776:
	s_mov_b32 s18, 0
.LBB6_777:
	s_delay_alu instid0(SALU_CYCLE_1)
	s_and_not1_b32 vcc_lo, exec_lo, s18
	s_cbranch_vccnz .LBB6_779
; %bb.778:
	s_wait_loadcnt 0x0
	global_load_u16 v2, v[0:1], off
	s_wait_loadcnt 0x0
	v_cvt_f32_f16_e32 v2, v2
	s_delay_alu instid0(VALU_DEP_1)
	v_cvt_i32_f32_e32 v2, v2
.LBB6_779:
	s_cbranch_execnz .LBB6_798
.LBB6_780:
	s_sext_i32_i16 s18, s2
	s_delay_alu instid0(SALU_CYCLE_1)
	s_cmp_lt_i32 s18, 2
	s_cbranch_scc1 .LBB6_784
; %bb.781:
	s_cmp_lt_i32 s18, 3
	s_cbranch_scc1 .LBB6_785
; %bb.782:
	s_cmp_gt_i32 s18, 3
	s_cbranch_scc0 .LBB6_786
; %bb.783:
	s_wait_loadcnt 0x0
	global_load_b32 v2, v[0:1], off
	s_mov_b32 s18, 0
	s_branch .LBB6_787
.LBB6_784:
                                        ; implicit-def: $vgpr2
	s_branch .LBB6_793
.LBB6_785:
	s_mov_b32 s18, -1
                                        ; implicit-def: $vgpr2
	s_branch .LBB6_790
.LBB6_786:
	s_mov_b32 s18, -1
                                        ; implicit-def: $vgpr2
.LBB6_787:
	s_delay_alu instid0(SALU_CYCLE_1)
	s_and_not1_b32 vcc_lo, exec_lo, s18
	s_cbranch_vccnz .LBB6_789
; %bb.788:
	s_wait_loadcnt 0x0
	global_load_b32 v2, v[0:1], off
.LBB6_789:
	s_mov_b32 s18, 0
.LBB6_790:
	s_delay_alu instid0(SALU_CYCLE_1)
	s_and_not1_b32 vcc_lo, exec_lo, s18
	s_cbranch_vccnz .LBB6_792
; %bb.791:
	s_wait_loadcnt 0x0
	global_load_i16 v2, v[0:1], off
.LBB6_792:
	s_cbranch_execnz .LBB6_798
.LBB6_793:
	s_sext_i32_i16 s18, s2
	s_delay_alu instid0(SALU_CYCLE_1)
	s_cmp_gt_i32 s18, 0
	s_mov_b32 s18, 0
	s_cbranch_scc0 .LBB6_795
; %bb.794:
	s_wait_loadcnt 0x0
	global_load_i8 v2, v[0:1], off
	s_branch .LBB6_796
.LBB6_795:
	s_mov_b32 s18, -1
                                        ; implicit-def: $vgpr2
.LBB6_796:
	s_delay_alu instid0(SALU_CYCLE_1)
	s_and_not1_b32 vcc_lo, exec_lo, s18
	s_cbranch_vccnz .LBB6_798
; %bb.797:
	s_wait_loadcnt 0x0
	global_load_u8 v2, v[0:1], off
.LBB6_798:
	s_or_b32 s0, s0, exec_lo
.LBB6_799:
	s_wait_xcnt 0x0
	s_or_b32 exec_lo, exec_lo, s17
	s_mov_b32 s18, 0
	s_and_saveexec_b32 s17, s0
	s_delay_alu instid0(SALU_CYCLE_1)
	s_xor_b32 s17, exec_lo, s17
	s_cbranch_execz .LBB6_801
; %bb.800:
	s_wait_loadcnt 0x0
	s_delay_alu instid0(VALU_DEP_1) | instskip(SKIP_3) | instid1(SALU_CYCLE_1)
	v_cmp_le_i32_e32 vcc_lo, s10, v2
	v_cmp_gt_i32_e64 s0, s12, v2
	s_mov_b32 s18, exec_lo
	s_and_b32 s0, vcc_lo, s0
	s_and_b32 s0, s11, s0
	s_and_not1_b32 s11, s16, exec_lo
	s_xor_b32 s0, s0, -1
	s_delay_alu instid0(SALU_CYCLE_1) | instskip(NEXT) | instid1(SALU_CYCLE_1)
	s_and_b32 s0, s0, exec_lo
	s_or_b32 s16, s11, s0
.LBB6_801:
	s_or_b32 exec_lo, exec_lo, s17
	s_and_saveexec_b32 s0, s16
	s_cbranch_execnz .LBB6_814
.LBB6_802:
	s_or_b32 exec_lo, exec_lo, s0
	s_mov_b32 s16, 0
	s_mov_b32 s17, 0
                                        ; implicit-def: $sgpr0
                                        ; implicit-def: $vgpr0_vgpr1
	s_and_saveexec_b32 s11, s18
	s_cbranch_execz .LBB6_810
; %bb.803:
	v_mul_lo_u32 v0, v4, s8
	s_and_b32 s0, s14, 0xff
	s_delay_alu instid0(SALU_CYCLE_1) | instskip(NEXT) | instid1(VALU_DEP_1)
	s_cmp_lt_i32 s0, 11
	v_ashrrev_i32_e32 v1, 31, v0
	s_delay_alu instid0(VALU_DEP_1)
	v_add_nc_u64_e32 v[0:1], s[4:5], v[0:1]
	s_cbranch_scc1 .LBB6_813
; %bb.804:
	s_and_b32 s17, 0xffff, s0
	s_mov_b32 s18, -1
	s_cmp_gt_i32 s17, 25
	s_mov_b32 s16, s15
	s_cbranch_scc0 .LBB6_834
; %bb.805:
	s_cmp_gt_i32 s17, 28
	s_mov_b32 s16, s15
	s_cbranch_scc0 .LBB6_824
; %bb.806:
	;; [unrolled: 4-line block ×4, first 2 shown]
	s_cmp_eq_u32 s17, 46
	s_mov_b32 s16, -1
	s_cbranch_scc0 .LBB6_815
; %bb.809:
	s_wait_loadcnt 0x0
	v_mov_b32_e32 v2, 0
	s_mov_b32 s16, 0
	s_mov_b32 s18, 0
	global_store_b32 v[0:1], v2, off
	s_branch .LBB6_816
.LBB6_810:
	s_or_b32 exec_lo, exec_lo, s11
	s_and_saveexec_b32 s11, s15
	s_cbranch_execnz .LBB6_854
.LBB6_811:
	s_or_b32 exec_lo, exec_lo, s11
	s_and_saveexec_b32 s11, s16
	s_delay_alu instid0(SALU_CYCLE_1)
	s_xor_b32 s11, exec_lo, s11
	s_cbranch_execz .LBB6_855
.LBB6_812:
	s_wait_loadcnt 0x0
	v_mov_b32_e32 v2, 0
	global_store_b8 v[0:1], v2, off
	s_wait_xcnt 0x0
	s_or_b32 exec_lo, exec_lo, s11
	s_and_saveexec_b32 s11, s17
	s_delay_alu instid0(SALU_CYCLE_1)
	s_xor_b32 s11, exec_lo, s11
	s_cbranch_execz .LBB6_893
	s_branch .LBB6_856
.LBB6_813:
	s_mov_b32 s19, 0
	s_mov_b32 s18, -1
	s_mov_b32 s16, s15
	s_branch .LBB6_853
.LBB6_814:
	s_or_b32 s13, s13, exec_lo
	s_and_not1_b32 s18, s18, exec_lo
	s_trap 2
	s_branch .LBB6_802
.LBB6_815:
	s_mov_b32 s18, 0
.LBB6_816:
	s_delay_alu instid0(SALU_CYCLE_1)
	s_and_b32 vcc_lo, exec_lo, s18
	s_cbranch_vccz .LBB6_819
; %bb.817:
	s_cmp_eq_u32 s17, 44
	s_mov_b32 s16, -1
	s_cbranch_scc0 .LBB6_819
; %bb.818:
	s_wait_loadcnt 0x0
	v_mov_b32_e32 v2, 0
	s_mov_b32 s16, 0
	s_mov_b32 s18, 0
	global_store_b8 v[0:1], v2, off
	s_branch .LBB6_820
.LBB6_819:
	s_mov_b32 s18, 0
.LBB6_820:
	s_delay_alu instid0(SALU_CYCLE_1)
	s_and_b32 vcc_lo, exec_lo, s18
	s_cbranch_vccz .LBB6_823
; %bb.821:
	s_cmp_eq_u32 s17, 29
	s_mov_b32 s16, -1
	s_cbranch_scc0 .LBB6_823
; %bb.822:
	s_wait_loadcnt 0x0
	v_mov_b64_e32 v[2:3], 0
	s_mov_b32 s16, 0
	s_mov_b32 s18, 0
	global_store_b64 v[0:1], v[2:3], off
	s_branch .LBB6_824
.LBB6_823:
	s_mov_b32 s18, 0
.LBB6_824:
	s_delay_alu instid0(SALU_CYCLE_1)
	s_and_b32 vcc_lo, exec_lo, s18
	s_cbranch_vccz .LBB6_833
; %bb.825:
	s_cmp_lt_i32 s17, 27
	s_mov_b32 s18, -1
	s_cbranch_scc1 .LBB6_831
; %bb.826:
	s_cmp_gt_i32 s17, 27
	s_cbranch_scc0 .LBB6_828
; %bb.827:
	s_wait_loadcnt 0x0
	v_mov_b32_e32 v2, 0
	s_mov_b32 s18, 0
	global_store_b32 v[0:1], v2, off
.LBB6_828:
	s_and_not1_b32 vcc_lo, exec_lo, s18
	s_cbranch_vccnz .LBB6_830
; %bb.829:
	s_wait_loadcnt 0x0
	v_mov_b32_e32 v2, 0
	global_store_b16 v[0:1], v2, off
.LBB6_830:
	s_mov_b32 s18, 0
.LBB6_831:
	s_delay_alu instid0(SALU_CYCLE_1)
	s_and_not1_b32 vcc_lo, exec_lo, s18
	s_cbranch_vccnz .LBB6_833
; %bb.832:
	s_wait_loadcnt 0x0
	v_mov_b32_e32 v2, 0
	global_store_b8 v[0:1], v2, off
.LBB6_833:
	s_mov_b32 s18, 0
.LBB6_834:
	s_delay_alu instid0(SALU_CYCLE_1)
	s_and_b32 vcc_lo, exec_lo, s18
	s_mov_b32 s18, 0
	s_cbranch_vccz .LBB6_852
; %bb.835:
	s_cmp_gt_i32 s17, 22
	s_mov_b32 s19, -1
	s_cbranch_scc0 .LBB6_845
; %bb.836:
	s_cmp_lt_i32 s17, 24
	s_cbranch_scc1 .LBB6_842
; %bb.837:
	s_cmp_gt_i32 s17, 24
	s_cbranch_scc0 .LBB6_839
; %bb.838:
	s_wait_loadcnt 0x0
	v_mov_b32_e32 v2, 0
	s_mov_b32 s19, 0
	global_store_b8 v[0:1], v2, off
.LBB6_839:
	s_and_not1_b32 vcc_lo, exec_lo, s19
	s_cbranch_vccnz .LBB6_841
; %bb.840:
	s_wait_loadcnt 0x0
	v_mov_b32_e32 v2, 0
	global_store_b8 v[0:1], v2, off
.LBB6_841:
	s_mov_b32 s19, 0
.LBB6_842:
	s_delay_alu instid0(SALU_CYCLE_1)
	s_and_not1_b32 vcc_lo, exec_lo, s19
	s_cbranch_vccnz .LBB6_844
; %bb.843:
	s_wait_loadcnt 0x0
	v_mov_b32_e32 v2, 0
	global_store_b8 v[0:1], v2, off
.LBB6_844:
	s_mov_b32 s19, 0
.LBB6_845:
	s_delay_alu instid0(SALU_CYCLE_1)
	s_and_not1_b32 vcc_lo, exec_lo, s19
	s_mov_b32 s19, 0
	s_cbranch_vccnz .LBB6_853
; %bb.846:
	s_cmp_gt_i32 s17, 14
	s_mov_b32 s19, -1
	s_cbranch_scc0 .LBB6_850
; %bb.847:
	s_cmp_eq_u32 s17, 15
	s_mov_b32 s16, -1
	s_cbranch_scc0 .LBB6_849
; %bb.848:
	s_wait_loadcnt 0x0
	v_mov_b32_e32 v2, 0
	s_mov_b32 s16, 0
	global_store_b16 v[0:1], v2, off
.LBB6_849:
	s_mov_b32 s19, 0
.LBB6_850:
	s_delay_alu instid0(SALU_CYCLE_1)
	s_and_b32 vcc_lo, exec_lo, s19
	s_mov_b32 s19, 0
	s_cbranch_vccz .LBB6_853
; %bb.851:
	s_cmp_lg_u32 s17, 11
	s_mov_b32 s19, -1
	s_cselect_b32 s17, -1, 0
	s_and_not1_b32 s16, s16, exec_lo
	s_and_b32 s17, s17, exec_lo
	s_delay_alu instid0(SALU_CYCLE_1)
	s_or_b32 s16, s16, s17
	s_branch .LBB6_853
.LBB6_852:
	s_mov_b32 s19, 0
.LBB6_853:
	s_and_b32 s17, s18, exec_lo
	s_and_not1_b32 s15, s15, exec_lo
	s_and_b32 s18, s16, exec_lo
	s_and_b32 s16, s19, exec_lo
	s_or_b32 s15, s15, s18
	s_wait_xcnt 0x0
	s_or_b32 exec_lo, exec_lo, s11
	s_and_saveexec_b32 s11, s15
	s_cbranch_execz .LBB6_811
.LBB6_854:
	s_or_b32 s13, s13, exec_lo
	s_and_not1_b32 s16, s16, exec_lo
	s_trap 2
	s_or_b32 exec_lo, exec_lo, s11
	s_and_saveexec_b32 s11, s16
	s_delay_alu instid0(SALU_CYCLE_1)
	s_xor_b32 s11, exec_lo, s11
	s_cbranch_execnz .LBB6_812
.LBB6_855:
	s_or_b32 exec_lo, exec_lo, s11
	s_and_saveexec_b32 s11, s17
	s_delay_alu instid0(SALU_CYCLE_1)
	s_xor_b32 s11, exec_lo, s11
	s_cbranch_execz .LBB6_893
.LBB6_856:
	s_sext_i32_i16 s16, s0
	s_mov_b32 s15, -1
	s_cmp_lt_i32 s16, 5
	s_cbranch_scc1 .LBB6_877
; %bb.857:
	s_cmp_lt_i32 s16, 8
	s_cbranch_scc1 .LBB6_867
; %bb.858:
	;; [unrolled: 3-line block ×3, first 2 shown]
	s_cmp_gt_i32 s16, 9
	s_cbranch_scc0 .LBB6_861
; %bb.860:
	s_wait_loadcnt 0x0
	v_mov_b32_e32 v2, 0
	s_mov_b32 s15, 0
	s_delay_alu instid0(VALU_DEP_1)
	v_dual_mov_b32 v3, v2 :: v_dual_mov_b32 v4, v2
	v_mov_b32_e32 v5, v2
	global_store_b128 v[0:1], v[2:5], off
.LBB6_861:
	s_and_not1_b32 vcc_lo, exec_lo, s15
	s_cbranch_vccnz .LBB6_863
; %bb.862:
	s_wait_loadcnt 0x0
	v_mov_b64_e32 v[2:3], 0
	global_store_b64 v[0:1], v[2:3], off
.LBB6_863:
	s_mov_b32 s15, 0
.LBB6_864:
	s_delay_alu instid0(SALU_CYCLE_1)
	s_and_not1_b32 vcc_lo, exec_lo, s15
	s_cbranch_vccnz .LBB6_866
; %bb.865:
	s_wait_loadcnt 0x0
	v_mov_b32_e32 v2, 0
	global_store_b32 v[0:1], v2, off
.LBB6_866:
	s_mov_b32 s15, 0
.LBB6_867:
	s_delay_alu instid0(SALU_CYCLE_1)
	s_and_not1_b32 vcc_lo, exec_lo, s15
	s_cbranch_vccnz .LBB6_876
; %bb.868:
	s_sext_i32_i16 s16, s0
	s_mov_b32 s15, -1
	s_cmp_lt_i32 s16, 6
	s_cbranch_scc1 .LBB6_874
; %bb.869:
	s_cmp_gt_i32 s16, 6
	s_cbranch_scc0 .LBB6_871
; %bb.870:
	s_wait_loadcnt 0x0
	v_mov_b64_e32 v[2:3], 0
	s_mov_b32 s15, 0
	global_store_b64 v[0:1], v[2:3], off
.LBB6_871:
	s_and_not1_b32 vcc_lo, exec_lo, s15
	s_cbranch_vccnz .LBB6_873
; %bb.872:
	s_wait_loadcnt 0x0
	v_mov_b32_e32 v2, 0
	global_store_b32 v[0:1], v2, off
.LBB6_873:
	s_mov_b32 s15, 0
.LBB6_874:
	s_delay_alu instid0(SALU_CYCLE_1)
	s_and_not1_b32 vcc_lo, exec_lo, s15
	s_cbranch_vccnz .LBB6_876
; %bb.875:
	s_wait_loadcnt 0x0
	v_mov_b32_e32 v2, 0
	global_store_b16 v[0:1], v2, off
.LBB6_876:
	s_mov_b32 s15, 0
.LBB6_877:
	s_delay_alu instid0(SALU_CYCLE_1)
	s_and_not1_b32 vcc_lo, exec_lo, s15
	s_cbranch_vccnz .LBB6_893
; %bb.878:
	s_sext_i32_i16 s16, s0
	s_mov_b32 s15, -1
	s_cmp_lt_i32 s16, 2
	s_cbranch_scc1 .LBB6_888
; %bb.879:
	s_cmp_lt_i32 s16, 3
	s_cbranch_scc1 .LBB6_885
; %bb.880:
	s_cmp_gt_i32 s16, 3
	s_cbranch_scc0 .LBB6_882
; %bb.881:
	s_wait_loadcnt 0x0
	v_mov_b64_e32 v[2:3], 0
	s_mov_b32 s15, 0
	global_store_b64 v[0:1], v[2:3], off
.LBB6_882:
	s_and_not1_b32 vcc_lo, exec_lo, s15
	s_cbranch_vccnz .LBB6_884
; %bb.883:
	s_wait_loadcnt 0x0
	v_mov_b32_e32 v2, 0
	global_store_b32 v[0:1], v2, off
.LBB6_884:
	s_mov_b32 s15, 0
.LBB6_885:
	s_delay_alu instid0(SALU_CYCLE_1)
	s_and_not1_b32 vcc_lo, exec_lo, s15
	s_cbranch_vccnz .LBB6_887
; %bb.886:
	s_wait_loadcnt 0x0
	v_mov_b32_e32 v2, 0
	global_store_b16 v[0:1], v2, off
.LBB6_887:
	s_mov_b32 s15, 0
.LBB6_888:
	s_delay_alu instid0(SALU_CYCLE_1)
	s_and_not1_b32 vcc_lo, exec_lo, s15
	s_cbranch_vccnz .LBB6_893
; %bb.889:
	s_sext_i32_i16 s0, s0
	s_delay_alu instid0(SALU_CYCLE_1)
	s_cmp_gt_i32 s0, 0
	s_mov_b32 s0, -1
	s_cbranch_scc0 .LBB6_891
; %bb.890:
	s_wait_loadcnt 0x0
	v_mov_b32_e32 v2, 0
	s_mov_b32 s0, 0
	global_store_b8 v[0:1], v2, off
.LBB6_891:
	s_and_not1_b32 vcc_lo, exec_lo, s0
	s_cbranch_vccnz .LBB6_893
; %bb.892:
	s_wait_loadcnt 0x0
	v_mov_b32_e32 v2, 0
	global_store_b8 v[0:1], v2, off
.LBB6_893:
	s_wait_xcnt 0x0
	s_or_b32 exec_lo, exec_lo, s11
	s_delay_alu instid0(SALU_CYCLE_1)
	s_and_b32 s11, s13, exec_lo
                                        ; implicit-def: $vgpr4
.LBB6_894:
	s_or_saveexec_b32 s3, s3
	s_mov_b32 s15, 0
                                        ; implicit-def: $sgpr0
                                        ; implicit-def: $vgpr2_vgpr3
	s_xor_b32 exec_lo, exec_lo, s3
	s_cbranch_execz .LBB6_1729
; %bb.895:
	v_mul_lo_u32 v0, s9, v4
	s_and_b32 s15, 0xffff, s2
	s_delay_alu instid0(SALU_CYCLE_1) | instskip(NEXT) | instid1(VALU_DEP_1)
	s_cmp_lt_i32 s15, 11
	v_ashrrev_i32_e32 v1, 31, v0
	s_wait_loadcnt 0x0
	s_delay_alu instid0(VALU_DEP_1)
	v_add_nc_u64_e32 v[2:3], s[6:7], v[0:1]
	s_cbranch_scc1 .LBB6_902
; %bb.896:
	s_cmp_gt_i32 s15, 25
	s_mov_b32 s2, 0
	s_cbranch_scc0 .LBB6_913
; %bb.897:
	s_cmp_gt_i32 s15, 28
	s_cbranch_scc0 .LBB6_914
; %bb.898:
	s_cmp_gt_i32 s15, 43
	;; [unrolled: 3-line block ×3, first 2 shown]
	s_cbranch_scc0 .LBB6_928
; %bb.900:
	s_cmp_eq_u32 s15, 46
	s_cbranch_scc0 .LBB6_931
; %bb.901:
	global_load_b32 v1, v[2:3], off
	s_mov_b32 s0, 0
	s_mov_b32 s13, -1
	s_wait_loadcnt 0x0
	v_lshlrev_b32_e32 v1, 16, v1
	s_delay_alu instid0(VALU_DEP_1)
	v_cvt_i32_f32_e32 v1, v1
	s_branch .LBB6_933
.LBB6_902:
	s_mov_b32 s13, 0
	s_mov_b32 s1, s11
                                        ; implicit-def: $vgpr1
	s_cbranch_execnz .LBB6_993
.LBB6_903:
	s_and_not1_b32 vcc_lo, exec_lo, s13
	s_cbranch_vccnz .LBB6_1038
.LBB6_904:
	s_wait_loadcnt 0x0
	s_delay_alu instid0(VALU_DEP_1)
	v_cmp_gt_i32_e32 vcc_lo, s10, v1
	v_cmp_le_i32_e64 s0, s12, v1
	s_get_pc_i64 s[16:17]
	s_add_nc_u64 s[16:17], s[16:17], .str@rel64+4
	s_or_b32 s0, vcc_lo, s0
	s_cmp_eq_u64 s[16:17], 0
	s_cselect_b32 s2, -1, 0
	s_delay_alu instid0(SALU_CYCLE_1) | instskip(SKIP_2) | instid1(SALU_CYCLE_1)
	s_or_b32 s0, s2, s0
	s_wait_xcnt 0x0
	s_and_saveexec_b32 s2, s0
	s_xor_b32 s0, exec_lo, s2
	s_cbranch_execnz .LBB6_1288
.LBB6_905:
	s_or_saveexec_b32 s2, s0
	s_mov_b32 s13, 0
	s_mov_b32 s17, 0
                                        ; implicit-def: $sgpr0
                                        ; implicit-def: $vgpr2_vgpr3
	s_xor_b32 exec_lo, exec_lo, s2
	s_cbranch_execz .LBB6_1727
; %bb.906:
	s_lshl_b32 s18, s9, 7
	s_cmp_lt_i32 s15, 11
	v_add_nc_u32_e32 v0, s18, v0
	s_delay_alu instid0(VALU_DEP_1) | instskip(NEXT) | instid1(VALU_DEP_1)
	v_ashrrev_i32_e32 v1, 31, v0
	v_add_nc_u64_e32 v[2:3], s[6:7], v[0:1]
	s_cbranch_scc1 .LBB6_915
; %bb.907:
	s_cmp_gt_i32 s15, 25
	s_cbranch_scc0 .LBB6_927
; %bb.908:
	s_cmp_gt_i32 s15, 28
	s_cbranch_scc0 .LBB6_929
	;; [unrolled: 3-line block ×4, first 2 shown]
; %bb.911:
	s_cmp_eq_u32 s15, 46
	s_mov_b32 s9, 0
	s_cbranch_scc0 .LBB6_1042
; %bb.912:
	global_load_b32 v1, v[2:3], off
	s_mov_b32 s0, 0
	s_mov_b32 s16, -1
	s_wait_loadcnt 0x0
	v_lshlrev_b32_e32 v1, 16, v1
	s_delay_alu instid0(VALU_DEP_1)
	v_cvt_i32_f32_e32 v1, v1
	s_branch .LBB6_1044
.LBB6_913:
	s_mov_b32 s13, 0
	s_mov_b32 s0, 0
                                        ; implicit-def: $vgpr1
	s_cbranch_execnz .LBB6_960
	s_branch .LBB6_989
.LBB6_914:
	s_mov_b32 s13, 0
	s_mov_b32 s0, 0
                                        ; implicit-def: $vgpr1
	s_cbranch_execz .LBB6_959
	s_branch .LBB6_944
.LBB6_915:
	s_mov_b32 s16, 0
	s_mov_b32 s9, s1
                                        ; implicit-def: $vgpr1
	s_cbranch_execnz .LBB6_1107
.LBB6_916:
	s_and_not1_b32 vcc_lo, exec_lo, s16
	s_cbranch_vccnz .LBB6_1155
.LBB6_917:
	s_wait_loadcnt 0x0
	s_delay_alu instid0(VALU_DEP_1) | instskip(SKIP_4) | instid1(SALU_CYCLE_1)
	v_cmp_gt_i32_e32 vcc_lo, s10, v1
	v_cmp_le_i32_e64 s0, s12, v1
	s_or_b32 s0, vcc_lo, s0
	s_wait_xcnt 0x0
	s_and_saveexec_b32 s13, s0
	s_xor_b32 s0, exec_lo, s13
	s_cbranch_execnz .LBB6_1775
.LBB6_918:
	s_or_saveexec_b32 s13, s0
	s_mov_b32 s16, 0
	s_mov_b32 s17, 0
                                        ; implicit-def: $sgpr0
                                        ; implicit-def: $vgpr2_vgpr3
	s_xor_b32 exec_lo, exec_lo, s13
	s_cbranch_execz .LBB6_1725
; %bb.919:
	v_add_nc_u32_e32 v0, s18, v0
	s_cmp_lt_i32 s15, 11
	s_delay_alu instid0(VALU_DEP_1) | instskip(NEXT) | instid1(VALU_DEP_1)
	v_ashrrev_i32_e32 v1, 31, v0
	v_add_nc_u64_e32 v[2:3], s[6:7], v[0:1]
	s_cbranch_scc1 .LBB6_930
; %bb.920:
	s_cmp_gt_i32 s15, 25
	s_cbranch_scc0 .LBB6_938
; %bb.921:
	s_cmp_gt_i32 s15, 28
	s_cbranch_scc0 .LBB6_1041
	;; [unrolled: 3-line block ×4, first 2 shown]
; %bb.924:
	s_cmp_eq_u32 s15, 46
	s_cbranch_scc0 .LBB6_1158
; %bb.925:
	global_load_b32 v1, v[2:3], off
	s_mov_b32 s0, 0
	s_mov_b32 s19, -1
	s_wait_loadcnt 0x0
	v_lshlrev_b32_e32 v1, 16, v1
	s_delay_alu instid0(VALU_DEP_1)
	v_cvt_i32_f32_e32 v1, v1
	s_branch .LBB6_1160
.LBB6_926:
	s_mov_b32 s13, 0
	s_mov_b32 s0, 0
                                        ; implicit-def: $vgpr1
	s_cbranch_execnz .LBB6_940
	s_branch .LBB6_943
.LBB6_927:
	s_mov_b32 s9, -1
	s_mov_b32 s16, 0
	s_mov_b32 s0, 0
                                        ; implicit-def: $vgpr1
	s_branch .LBB6_1072
.LBB6_928:
	s_mov_b32 s1, -1
	s_mov_b32 s13, 0
	s_mov_b32 s0, 0
	s_branch .LBB6_932
.LBB6_929:
	s_mov_b32 s9, -1
	s_mov_b32 s16, 0
	s_mov_b32 s0, 0
                                        ; implicit-def: $vgpr1
	s_branch .LBB6_1055
.LBB6_930:
	s_mov_b32 s0, -1
	s_mov_b32 s19, 0
	s_mov_b32 s16, s9
                                        ; implicit-def: $vgpr1
	s_branch .LBB6_1222
.LBB6_931:
	s_mov_b32 s0, -1
	s_mov_b32 s13, 0
.LBB6_932:
                                        ; implicit-def: $vgpr1
.LBB6_933:
	s_and_b32 vcc_lo, exec_lo, s1
	s_cbranch_vccz .LBB6_936
; %bb.934:
	s_cmp_eq_u32 s15, 44
	s_cbranch_scc0 .LBB6_939
; %bb.935:
	global_load_u8 v1, v[2:3], off
	s_mov_b32 s0, 0
	s_mov_b32 s13, -1
	s_wait_loadcnt 0x0
	v_lshlrev_b32_e32 v5, 23, v1
	v_cmp_ne_u32_e32 vcc_lo, 0, v1
	s_delay_alu instid0(VALU_DEP_2) | instskip(NEXT) | instid1(VALU_DEP_1)
	v_cvt_i32_f32_e32 v5, v5
	v_cndmask_b32_e32 v1, 0, v5, vcc_lo
.LBB6_936:
	s_branch .LBB6_943
.LBB6_937:
	s_mov_b32 s9, -1
	s_mov_b32 s16, 0
	s_mov_b32 s0, 0
                                        ; implicit-def: $vgpr1
	s_branch .LBB6_1050
.LBB6_938:
	s_mov_b32 s16, -1
	s_mov_b32 s19, 0
	s_mov_b32 s0, 0
                                        ; implicit-def: $vgpr1
	s_branch .LBB6_1187
.LBB6_939:
	s_mov_b32 s0, -1
                                        ; implicit-def: $vgpr1
	s_branch .LBB6_943
.LBB6_940:
	s_cmp_eq_u32 s15, 29
	s_cbranch_scc0 .LBB6_942
; %bb.941:
	global_load_b32 v1, v[2:3], off
	s_mov_b32 s0, 0
	s_mov_b32 s13, -1
	s_branch .LBB6_943
.LBB6_942:
	s_mov_b32 s0, -1
                                        ; implicit-def: $vgpr1
.LBB6_943:
	s_branch .LBB6_959
.LBB6_944:
	s_cmp_lt_i32 s15, 27
	s_cbranch_scc1 .LBB6_947
; %bb.945:
	s_cmp_gt_i32 s15, 27
	s_cbranch_scc0 .LBB6_948
; %bb.946:
	s_wait_loadcnt 0x0
	global_load_b32 v1, v[2:3], off
	s_mov_b32 s1, 0
	s_branch .LBB6_949
.LBB6_947:
	s_mov_b32 s1, -1
                                        ; implicit-def: $vgpr1
	s_branch .LBB6_952
.LBB6_948:
	s_mov_b32 s1, -1
                                        ; implicit-def: $vgpr1
.LBB6_949:
	s_delay_alu instid0(SALU_CYCLE_1)
	s_and_not1_b32 vcc_lo, exec_lo, s1
	s_cbranch_vccnz .LBB6_951
; %bb.950:
	s_wait_loadcnt 0x0
	global_load_u16 v1, v[2:3], off
.LBB6_951:
	s_mov_b32 s1, 0
.LBB6_952:
	s_delay_alu instid0(SALU_CYCLE_1)
	s_and_not1_b32 vcc_lo, exec_lo, s1
	s_cbranch_vccnz .LBB6_958
; %bb.953:
	global_load_u8 v5, v[2:3], off
	s_mov_b32 s13, 0
	s_mov_b32 s1, exec_lo
	s_wait_loadcnt 0x0
	v_cmpx_lt_i16_e32 0x7f, v5
	s_xor_b32 s1, exec_lo, s1
	s_cbranch_execz .LBB6_969
; %bb.954:
	v_cmp_ne_u16_e32 vcc_lo, 0x80, v5
	s_and_b32 s13, vcc_lo, exec_lo
	s_and_not1_saveexec_b32 s1, s1
	s_cbranch_execnz .LBB6_970
.LBB6_955:
	s_or_b32 exec_lo, exec_lo, s1
	v_mov_b32_e32 v1, 0
	s_and_saveexec_b32 s1, s13
	s_cbranch_execz .LBB6_957
.LBB6_956:
	v_and_b32_e32 v1, 0xffff, v5
	s_delay_alu instid0(VALU_DEP_1) | instskip(SKIP_1) | instid1(VALU_DEP_2)
	v_and_b32_e32 v6, 7, v1
	v_bfe_u32 v9, v1, 3, 4
	v_clz_i32_u32_e32 v7, v6
	s_delay_alu instid0(VALU_DEP_2) | instskip(NEXT) | instid1(VALU_DEP_2)
	v_cmp_eq_u32_e32 vcc_lo, 0, v9
	v_min_u32_e32 v7, 32, v7
	s_delay_alu instid0(VALU_DEP_1) | instskip(NEXT) | instid1(VALU_DEP_1)
	v_subrev_nc_u32_e32 v8, 28, v7
	v_dual_lshlrev_b32 v1, v8, v1 :: v_dual_sub_nc_u32 v7, 29, v7
	s_delay_alu instid0(VALU_DEP_1) | instskip(NEXT) | instid1(VALU_DEP_2)
	v_and_b32_e32 v1, 7, v1
	v_dual_lshlrev_b32 v5, 24, v5 :: v_dual_cndmask_b32 v7, v9, v7, vcc_lo
	s_delay_alu instid0(VALU_DEP_2) | instskip(NEXT) | instid1(VALU_DEP_2)
	v_cndmask_b32_e32 v1, v6, v1, vcc_lo
	v_and_b32_e32 v5, 0x80000000, v5
	s_delay_alu instid0(VALU_DEP_3) | instskip(NEXT) | instid1(VALU_DEP_3)
	v_lshl_add_u32 v6, v7, 23, 0x3b800000
	v_lshlrev_b32_e32 v1, 20, v1
	s_delay_alu instid0(VALU_DEP_1) | instskip(NEXT) | instid1(VALU_DEP_1)
	v_or3_b32 v1, v5, v6, v1
	v_cvt_i32_f32_e32 v1, v1
.LBB6_957:
	s_or_b32 exec_lo, exec_lo, s1
.LBB6_958:
	s_mov_b32 s13, -1
.LBB6_959:
	s_branch .LBB6_989
.LBB6_960:
	s_cmp_gt_i32 s15, 22
	s_cbranch_scc0 .LBB6_968
; %bb.961:
	s_cmp_lt_i32 s15, 24
	s_cbranch_scc1 .LBB6_971
; %bb.962:
	s_cmp_gt_i32 s15, 24
	s_cbranch_scc0 .LBB6_972
; %bb.963:
	global_load_u8 v5, v[2:3], off
	s_mov_b32 s1, exec_lo
	s_wait_loadcnt 0x0
	v_cmpx_lt_i16_e32 0x7f, v5
	s_xor_b32 s1, exec_lo, s1
	s_cbranch_execz .LBB6_983
; %bb.964:
	v_cmp_ne_u16_e32 vcc_lo, 0x80, v5
	s_and_b32 s2, vcc_lo, exec_lo
	s_and_not1_saveexec_b32 s1, s1
	s_cbranch_execnz .LBB6_984
.LBB6_965:
	s_or_b32 exec_lo, exec_lo, s1
	v_mov_b32_e32 v1, 0
	s_and_saveexec_b32 s1, s2
	s_cbranch_execz .LBB6_967
.LBB6_966:
	v_and_b32_e32 v1, 0xffff, v5
	s_delay_alu instid0(VALU_DEP_1) | instskip(SKIP_1) | instid1(VALU_DEP_2)
	v_and_b32_e32 v6, 3, v1
	v_bfe_u32 v9, v1, 2, 5
	v_clz_i32_u32_e32 v7, v6
	s_delay_alu instid0(VALU_DEP_2) | instskip(NEXT) | instid1(VALU_DEP_2)
	v_cmp_eq_u32_e32 vcc_lo, 0, v9
	v_min_u32_e32 v7, 32, v7
	s_delay_alu instid0(VALU_DEP_1) | instskip(NEXT) | instid1(VALU_DEP_1)
	v_subrev_nc_u32_e32 v8, 29, v7
	v_dual_lshlrev_b32 v1, v8, v1 :: v_dual_sub_nc_u32 v7, 30, v7
	s_delay_alu instid0(VALU_DEP_1) | instskip(NEXT) | instid1(VALU_DEP_2)
	v_and_b32_e32 v1, 3, v1
	v_dual_lshlrev_b32 v5, 24, v5 :: v_dual_cndmask_b32 v7, v9, v7, vcc_lo
	s_delay_alu instid0(VALU_DEP_2) | instskip(NEXT) | instid1(VALU_DEP_2)
	v_cndmask_b32_e32 v1, v6, v1, vcc_lo
	v_and_b32_e32 v5, 0x80000000, v5
	s_delay_alu instid0(VALU_DEP_3) | instskip(NEXT) | instid1(VALU_DEP_3)
	v_lshl_add_u32 v6, v7, 23, 0x37800000
	v_lshlrev_b32_e32 v1, 21, v1
	s_delay_alu instid0(VALU_DEP_1) | instskip(NEXT) | instid1(VALU_DEP_1)
	v_or3_b32 v1, v5, v6, v1
	v_cvt_i32_f32_e32 v1, v1
.LBB6_967:
	s_or_b32 exec_lo, exec_lo, s1
	s_mov_b32 s1, 0
	s_branch .LBB6_973
.LBB6_968:
                                        ; implicit-def: $vgpr1
	s_mov_b32 s2, 0
	s_branch .LBB6_979
.LBB6_969:
	s_and_not1_saveexec_b32 s1, s1
	s_cbranch_execz .LBB6_955
.LBB6_970:
	v_cmp_ne_u16_e32 vcc_lo, 0, v5
	s_and_not1_b32 s13, s13, exec_lo
	s_and_b32 s16, vcc_lo, exec_lo
	s_delay_alu instid0(SALU_CYCLE_1)
	s_or_b32 s13, s13, s16
	s_or_b32 exec_lo, exec_lo, s1
	v_mov_b32_e32 v1, 0
	s_and_saveexec_b32 s1, s13
	s_cbranch_execnz .LBB6_956
	s_branch .LBB6_957
.LBB6_971:
	s_mov_b32 s1, -1
                                        ; implicit-def: $vgpr1
	s_branch .LBB6_976
.LBB6_972:
	s_mov_b32 s1, -1
                                        ; implicit-def: $vgpr1
.LBB6_973:
	s_delay_alu instid0(SALU_CYCLE_1)
	s_and_b32 vcc_lo, exec_lo, s1
	s_cbranch_vccz .LBB6_975
; %bb.974:
	s_wait_loadcnt 0x0
	global_load_u8 v1, v[2:3], off
	s_wait_loadcnt 0x0
	v_lshlrev_b32_e32 v1, 24, v1
	s_delay_alu instid0(VALU_DEP_1) | instskip(NEXT) | instid1(VALU_DEP_1)
	v_and_b32_e32 v5, 0x7f000000, v1
	v_clz_i32_u32_e32 v6, v5
	v_cmp_ne_u32_e32 vcc_lo, 0, v5
	v_add_nc_u32_e32 v8, 0x1000000, v5
	s_delay_alu instid0(VALU_DEP_3) | instskip(NEXT) | instid1(VALU_DEP_1)
	v_min_u32_e32 v6, 32, v6
	v_sub_nc_u32_e64 v6, v6, 4 clamp
	s_delay_alu instid0(VALU_DEP_1) | instskip(NEXT) | instid1(VALU_DEP_1)
	v_dual_lshlrev_b32 v7, v6, v5 :: v_dual_lshlrev_b32 v6, 23, v6
	v_lshrrev_b32_e32 v7, 4, v7
	s_delay_alu instid0(VALU_DEP_1) | instskip(NEXT) | instid1(VALU_DEP_1)
	v_dual_sub_nc_u32 v6, v7, v6 :: v_dual_ashrrev_i32 v7, 8, v8
	v_add_nc_u32_e32 v6, 0x3c000000, v6
	s_delay_alu instid0(VALU_DEP_1) | instskip(NEXT) | instid1(VALU_DEP_1)
	v_and_or_b32 v6, 0x7f800000, v7, v6
	v_cndmask_b32_e32 v5, 0, v6, vcc_lo
	s_delay_alu instid0(VALU_DEP_1) | instskip(NEXT) | instid1(VALU_DEP_1)
	v_and_or_b32 v1, 0x80000000, v1, v5
	v_cvt_i32_f32_e32 v1, v1
.LBB6_975:
	s_mov_b32 s1, 0
.LBB6_976:
	s_delay_alu instid0(SALU_CYCLE_1)
	s_and_not1_b32 vcc_lo, exec_lo, s1
	s_cbranch_vccnz .LBB6_978
; %bb.977:
	s_wait_loadcnt 0x0
	global_load_u8 v1, v[2:3], off
	s_wait_loadcnt 0x0
	v_lshlrev_b32_e32 v5, 25, v1
	v_lshlrev_b16 v1, 8, v1
	s_delay_alu instid0(VALU_DEP_1) | instskip(SKIP_1) | instid1(VALU_DEP_2)
	v_and_or_b32 v7, 0x7f00, v1, 0.5
	v_bfe_i32 v1, v1, 0, 16
	v_dual_add_f32 v7, -0.5, v7 :: v_dual_lshrrev_b32 v6, 4, v5
	v_cmp_gt_u32_e32 vcc_lo, 0x8000000, v5
	s_delay_alu instid0(VALU_DEP_2) | instskip(NEXT) | instid1(VALU_DEP_1)
	v_or_b32_e32 v6, 0x70000000, v6
	v_mul_f32_e32 v6, 0x7800000, v6
	s_delay_alu instid0(VALU_DEP_1) | instskip(NEXT) | instid1(VALU_DEP_1)
	v_cndmask_b32_e32 v5, v6, v7, vcc_lo
	v_and_or_b32 v1, 0x80000000, v1, v5
	s_delay_alu instid0(VALU_DEP_1)
	v_cvt_i32_f32_e32 v1, v1
.LBB6_978:
	s_mov_b32 s13, -1
	s_mov_b32 s2, 0
	s_cbranch_execnz .LBB6_989
.LBB6_979:
	s_cmp_gt_i32 s15, 14
	s_cbranch_scc0 .LBB6_982
; %bb.980:
	s_cmp_eq_u32 s15, 15
	s_cbranch_scc0 .LBB6_985
; %bb.981:
	s_wait_loadcnt 0x0
	global_load_u16 v1, v[2:3], off
	s_mov_b32 s0, 0
	s_mov_b32 s13, -1
	s_wait_loadcnt 0x0
	v_lshlrev_b32_e32 v1, 16, v1
	s_delay_alu instid0(VALU_DEP_1)
	v_cvt_i32_f32_e32 v1, v1
	s_branch .LBB6_986
.LBB6_982:
	s_mov_b32 s1, -1
                                        ; implicit-def: $vgpr1
	s_branch .LBB6_987
.LBB6_983:
	s_and_not1_saveexec_b32 s1, s1
	s_cbranch_execz .LBB6_965
.LBB6_984:
	v_cmp_ne_u16_e32 vcc_lo, 0, v5
	s_and_not1_b32 s2, s2, exec_lo
	s_and_b32 s13, vcc_lo, exec_lo
	s_delay_alu instid0(SALU_CYCLE_1)
	s_or_b32 s2, s2, s13
	s_or_b32 exec_lo, exec_lo, s1
	v_mov_b32_e32 v1, 0
	s_and_saveexec_b32 s1, s2
	s_cbranch_execnz .LBB6_966
	s_branch .LBB6_967
.LBB6_985:
	s_mov_b32 s0, -1
                                        ; implicit-def: $vgpr1
.LBB6_986:
	s_mov_b32 s1, 0
.LBB6_987:
	s_delay_alu instid0(SALU_CYCLE_1)
	s_and_b32 vcc_lo, exec_lo, s1
	s_cbranch_vccz .LBB6_989
; %bb.988:
	s_cmp_lg_u32 s15, 11
	s_mov_b32 s2, -1
	s_cselect_b32 s0, -1, 0
.LBB6_989:
	s_delay_alu instid0(SALU_CYCLE_1)
	s_and_b32 vcc_lo, exec_lo, s0
	s_mov_b32 s1, s11
	s_cbranch_vccnz .LBB6_1039
; %bb.990:
	s_and_not1_b32 vcc_lo, exec_lo, s2
	s_cbranch_vccnz .LBB6_992
.LBB6_991:
	s_wait_loadcnt 0x0
	global_load_u8 v1, v[2:3], off
	s_mov_b32 s13, -1
	s_wait_loadcnt 0x0
	v_cmp_ne_u16_e32 vcc_lo, 0, v1
	v_cndmask_b32_e64 v1, 0, 1, vcc_lo
.LBB6_992:
	s_branch .LBB6_903
.LBB6_993:
	s_cmp_lt_i32 s15, 5
	s_cbranch_scc1 .LBB6_998
; %bb.994:
	s_cmp_lt_i32 s15, 8
	s_cbranch_scc1 .LBB6_999
; %bb.995:
	;; [unrolled: 3-line block ×3, first 2 shown]
	s_cmp_gt_i32 s15, 9
	s_cbranch_scc0 .LBB6_1001
; %bb.997:
	global_load_b64 v[6:7], v[2:3], off
	s_mov_b32 s0, 0
	s_wait_loadcnt 0x0
	v_cvt_i32_f64_e32 v1, v[6:7]
	s_branch .LBB6_1002
.LBB6_998:
                                        ; implicit-def: $vgpr1
	s_branch .LBB6_1019
.LBB6_999:
                                        ; implicit-def: $vgpr1
	s_branch .LBB6_1008
.LBB6_1000:
	s_mov_b32 s0, -1
                                        ; implicit-def: $vgpr1
	s_branch .LBB6_1005
.LBB6_1001:
	s_mov_b32 s0, -1
                                        ; implicit-def: $vgpr1
.LBB6_1002:
	s_delay_alu instid0(SALU_CYCLE_1)
	s_and_not1_b32 vcc_lo, exec_lo, s0
	s_cbranch_vccnz .LBB6_1004
; %bb.1003:
	s_wait_loadcnt 0x0
	global_load_b32 v1, v[2:3], off
	s_wait_loadcnt 0x0
	v_cvt_i32_f32_e32 v1, v1
.LBB6_1004:
	s_mov_b32 s0, 0
.LBB6_1005:
	s_delay_alu instid0(SALU_CYCLE_1)
	s_and_not1_b32 vcc_lo, exec_lo, s0
	s_cbranch_vccnz .LBB6_1007
; %bb.1006:
	s_wait_loadcnt 0x0
	global_load_b32 v1, v[2:3], off
	s_wait_loadcnt 0x0
	v_cvt_f32_f16_e32 v1, v1
	s_delay_alu instid0(VALU_DEP_1)
	v_cvt_i32_f32_e32 v1, v1
.LBB6_1007:
	s_cbranch_execnz .LBB6_1018
.LBB6_1008:
	s_cmp_lt_i32 s15, 6
	s_cbranch_scc1 .LBB6_1011
; %bb.1009:
	s_cmp_gt_i32 s15, 6
	s_cbranch_scc0 .LBB6_1012
; %bb.1010:
	global_load_b64 v[6:7], v[2:3], off
	s_mov_b32 s0, 0
	s_wait_loadcnt 0x0
	v_cvt_i32_f64_e32 v1, v[6:7]
	s_branch .LBB6_1013
.LBB6_1011:
	s_mov_b32 s0, -1
                                        ; implicit-def: $vgpr1
	s_branch .LBB6_1016
.LBB6_1012:
	s_mov_b32 s0, -1
                                        ; implicit-def: $vgpr1
.LBB6_1013:
	s_delay_alu instid0(SALU_CYCLE_1)
	s_and_not1_b32 vcc_lo, exec_lo, s0
	s_cbranch_vccnz .LBB6_1015
; %bb.1014:
	s_wait_loadcnt 0x0
	global_load_b32 v1, v[2:3], off
	s_wait_loadcnt 0x0
	v_cvt_i32_f32_e32 v1, v1
.LBB6_1015:
	s_mov_b32 s0, 0
.LBB6_1016:
	s_delay_alu instid0(SALU_CYCLE_1)
	s_and_not1_b32 vcc_lo, exec_lo, s0
	s_cbranch_vccnz .LBB6_1018
; %bb.1017:
	s_wait_loadcnt 0x0
	global_load_u16 v1, v[2:3], off
	s_wait_loadcnt 0x0
	v_cvt_f32_f16_e32 v1, v1
	s_delay_alu instid0(VALU_DEP_1)
	v_cvt_i32_f32_e32 v1, v1
.LBB6_1018:
	s_cbranch_execnz .LBB6_1037
.LBB6_1019:
	s_cmp_lt_i32 s15, 2
	s_cbranch_scc1 .LBB6_1023
; %bb.1020:
	s_cmp_lt_i32 s15, 3
	s_cbranch_scc1 .LBB6_1024
; %bb.1021:
	s_cmp_gt_i32 s15, 3
	s_cbranch_scc0 .LBB6_1025
; %bb.1022:
	s_wait_loadcnt 0x0
	global_load_b32 v1, v[2:3], off
	s_mov_b32 s0, 0
	s_branch .LBB6_1026
.LBB6_1023:
                                        ; implicit-def: $vgpr1
	s_branch .LBB6_1032
.LBB6_1024:
	s_mov_b32 s0, -1
                                        ; implicit-def: $vgpr1
	s_branch .LBB6_1029
.LBB6_1025:
	s_mov_b32 s0, -1
                                        ; implicit-def: $vgpr1
.LBB6_1026:
	s_delay_alu instid0(SALU_CYCLE_1)
	s_and_not1_b32 vcc_lo, exec_lo, s0
	s_cbranch_vccnz .LBB6_1028
; %bb.1027:
	s_wait_loadcnt 0x0
	global_load_b32 v1, v[2:3], off
.LBB6_1028:
	s_mov_b32 s0, 0
.LBB6_1029:
	s_delay_alu instid0(SALU_CYCLE_1)
	s_and_not1_b32 vcc_lo, exec_lo, s0
	s_cbranch_vccnz .LBB6_1031
; %bb.1030:
	s_wait_loadcnt 0x0
	global_load_i16 v1, v[2:3], off
.LBB6_1031:
	s_cbranch_execnz .LBB6_1037
.LBB6_1032:
	s_cmp_gt_i32 s15, 0
	s_mov_b32 s0, 0
	s_cbranch_scc0 .LBB6_1034
; %bb.1033:
	s_wait_loadcnt 0x0
	global_load_i8 v1, v[2:3], off
	s_branch .LBB6_1035
.LBB6_1034:
	s_mov_b32 s0, -1
                                        ; implicit-def: $vgpr1
.LBB6_1035:
	s_delay_alu instid0(SALU_CYCLE_1)
	s_and_not1_b32 vcc_lo, exec_lo, s0
	s_cbranch_vccnz .LBB6_1037
; %bb.1036:
	s_wait_loadcnt 0x0
	global_load_u8 v1, v[2:3], off
.LBB6_1037:
	s_branch .LBB6_904
.LBB6_1038:
	s_mov_b32 s13, 0
	s_mov_b32 s17, 0
                                        ; implicit-def: $sgpr0
                                        ; implicit-def: $vgpr2_vgpr3
	s_branch .LBB6_1728
.LBB6_1039:
	s_or_b32 s1, s11, exec_lo
	s_trap 2
	s_cbranch_execz .LBB6_991
	s_branch .LBB6_992
.LBB6_1040:
	s_mov_b32 s9, -1
	s_mov_b32 s16, 0
	s_mov_b32 s0, 0
	s_branch .LBB6_1043
.LBB6_1041:
	s_mov_b32 s16, -1
	s_mov_b32 s19, 0
	s_mov_b32 s0, 0
                                        ; implicit-def: $vgpr1
	s_branch .LBB6_1170
.LBB6_1042:
	s_mov_b32 s0, -1
	s_mov_b32 s16, 0
.LBB6_1043:
                                        ; implicit-def: $vgpr1
.LBB6_1044:
	s_and_b32 vcc_lo, exec_lo, s9
	s_cbranch_vccz .LBB6_1049
; %bb.1045:
	s_cmp_eq_u32 s15, 44
	s_cbranch_scc0 .LBB6_1048
; %bb.1046:
	global_load_u8 v1, v[2:3], off
	s_mov_b32 s0, 0
	s_mov_b32 s16, -1
	s_wait_loadcnt 0x0
	v_lshlrev_b32_e32 v5, 23, v1
	v_cmp_ne_u32_e32 vcc_lo, 0, v1
	s_delay_alu instid0(VALU_DEP_2) | instskip(NEXT) | instid1(VALU_DEP_1)
	v_cvt_i32_f32_e32 v5, v5
	v_cndmask_b32_e32 v1, 0, v5, vcc_lo
	s_branch .LBB6_1049
.LBB6_1047:
	s_mov_b32 s16, -1
	s_mov_b32 s19, 0
	s_mov_b32 s0, 0
                                        ; implicit-def: $vgpr1
	s_branch .LBB6_1165
.LBB6_1048:
	s_mov_b32 s0, -1
                                        ; implicit-def: $vgpr1
.LBB6_1049:
	s_mov_b32 s9, 0
.LBB6_1050:
	s_delay_alu instid0(SALU_CYCLE_1)
	s_and_b32 vcc_lo, exec_lo, s9
	s_cbranch_vccz .LBB6_1054
; %bb.1051:
	s_cmp_eq_u32 s15, 29
	s_cbranch_scc0 .LBB6_1053
; %bb.1052:
	global_load_b32 v1, v[2:3], off
	s_mov_b32 s0, 0
	s_mov_b32 s16, -1
	s_branch .LBB6_1054
.LBB6_1053:
	s_mov_b32 s0, -1
                                        ; implicit-def: $vgpr1
.LBB6_1054:
	s_mov_b32 s9, 0
.LBB6_1055:
	s_delay_alu instid0(SALU_CYCLE_1)
	s_and_b32 vcc_lo, exec_lo, s9
	s_cbranch_vccz .LBB6_1071
; %bb.1056:
	s_cmp_lt_i32 s15, 27
	s_cbranch_scc1 .LBB6_1059
; %bb.1057:
	s_cmp_gt_i32 s15, 27
	s_cbranch_scc0 .LBB6_1060
; %bb.1058:
	s_wait_loadcnt 0x0
	global_load_b32 v1, v[2:3], off
	s_mov_b32 s9, 0
	s_branch .LBB6_1061
.LBB6_1059:
	s_mov_b32 s9, -1
                                        ; implicit-def: $vgpr1
	s_branch .LBB6_1064
.LBB6_1060:
	s_mov_b32 s9, -1
                                        ; implicit-def: $vgpr1
.LBB6_1061:
	s_delay_alu instid0(SALU_CYCLE_1)
	s_and_not1_b32 vcc_lo, exec_lo, s9
	s_cbranch_vccnz .LBB6_1063
; %bb.1062:
	s_wait_loadcnt 0x0
	global_load_u16 v1, v[2:3], off
.LBB6_1063:
	s_mov_b32 s9, 0
.LBB6_1064:
	s_delay_alu instid0(SALU_CYCLE_1)
	s_and_not1_b32 vcc_lo, exec_lo, s9
	s_cbranch_vccnz .LBB6_1070
; %bb.1065:
	global_load_u8 v5, v[2:3], off
	s_mov_b32 s16, 0
	s_mov_b32 s9, exec_lo
	s_wait_loadcnt 0x0
	v_cmpx_lt_i16_e32 0x7f, v5
	s_xor_b32 s9, exec_lo, s9
	s_cbranch_execz .LBB6_1082
; %bb.1066:
	v_cmp_ne_u16_e32 vcc_lo, 0x80, v5
	s_and_b32 s16, vcc_lo, exec_lo
	s_and_not1_saveexec_b32 s9, s9
	s_cbranch_execnz .LBB6_1083
.LBB6_1067:
	s_or_b32 exec_lo, exec_lo, s9
	v_mov_b32_e32 v1, 0
	s_and_saveexec_b32 s9, s16
	s_cbranch_execz .LBB6_1069
.LBB6_1068:
	v_and_b32_e32 v1, 0xffff, v5
	s_delay_alu instid0(VALU_DEP_1) | instskip(SKIP_1) | instid1(VALU_DEP_2)
	v_and_b32_e32 v6, 7, v1
	v_bfe_u32 v9, v1, 3, 4
	v_clz_i32_u32_e32 v7, v6
	s_delay_alu instid0(VALU_DEP_2) | instskip(NEXT) | instid1(VALU_DEP_2)
	v_cmp_eq_u32_e32 vcc_lo, 0, v9
	v_min_u32_e32 v7, 32, v7
	s_delay_alu instid0(VALU_DEP_1) | instskip(NEXT) | instid1(VALU_DEP_1)
	v_subrev_nc_u32_e32 v8, 28, v7
	v_dual_lshlrev_b32 v1, v8, v1 :: v_dual_sub_nc_u32 v7, 29, v7
	s_delay_alu instid0(VALU_DEP_1) | instskip(NEXT) | instid1(VALU_DEP_2)
	v_and_b32_e32 v1, 7, v1
	v_dual_lshlrev_b32 v5, 24, v5 :: v_dual_cndmask_b32 v7, v9, v7, vcc_lo
	s_delay_alu instid0(VALU_DEP_2) | instskip(NEXT) | instid1(VALU_DEP_2)
	v_cndmask_b32_e32 v1, v6, v1, vcc_lo
	v_and_b32_e32 v5, 0x80000000, v5
	s_delay_alu instid0(VALU_DEP_3) | instskip(NEXT) | instid1(VALU_DEP_3)
	v_lshl_add_u32 v6, v7, 23, 0x3b800000
	v_lshlrev_b32_e32 v1, 20, v1
	s_delay_alu instid0(VALU_DEP_1) | instskip(NEXT) | instid1(VALU_DEP_1)
	v_or3_b32 v1, v5, v6, v1
	v_cvt_i32_f32_e32 v1, v1
.LBB6_1069:
	s_or_b32 exec_lo, exec_lo, s9
.LBB6_1070:
	s_mov_b32 s16, -1
.LBB6_1071:
	s_mov_b32 s9, 0
.LBB6_1072:
	s_delay_alu instid0(SALU_CYCLE_1)
	s_and_b32 vcc_lo, exec_lo, s9
	s_cbranch_vccz .LBB6_1103
; %bb.1073:
	s_cmp_gt_i32 s15, 22
	s_cbranch_scc0 .LBB6_1081
; %bb.1074:
	s_cmp_lt_i32 s15, 24
	s_cbranch_scc1 .LBB6_1084
; %bb.1075:
	s_cmp_gt_i32 s15, 24
	s_cbranch_scc0 .LBB6_1085
; %bb.1076:
	global_load_u8 v5, v[2:3], off
	s_mov_b32 s9, exec_lo
	s_wait_loadcnt 0x0
	v_cmpx_lt_i16_e32 0x7f, v5
	s_xor_b32 s9, exec_lo, s9
	s_cbranch_execz .LBB6_1097
; %bb.1077:
	v_cmp_ne_u16_e32 vcc_lo, 0x80, v5
	s_and_b32 s13, vcc_lo, exec_lo
	s_and_not1_saveexec_b32 s9, s9
	s_cbranch_execnz .LBB6_1098
.LBB6_1078:
	s_or_b32 exec_lo, exec_lo, s9
	v_mov_b32_e32 v1, 0
	s_and_saveexec_b32 s9, s13
	s_cbranch_execz .LBB6_1080
.LBB6_1079:
	v_and_b32_e32 v1, 0xffff, v5
	s_delay_alu instid0(VALU_DEP_1) | instskip(SKIP_1) | instid1(VALU_DEP_2)
	v_and_b32_e32 v6, 3, v1
	v_bfe_u32 v9, v1, 2, 5
	v_clz_i32_u32_e32 v7, v6
	s_delay_alu instid0(VALU_DEP_2) | instskip(NEXT) | instid1(VALU_DEP_2)
	v_cmp_eq_u32_e32 vcc_lo, 0, v9
	v_min_u32_e32 v7, 32, v7
	s_delay_alu instid0(VALU_DEP_1) | instskip(NEXT) | instid1(VALU_DEP_1)
	v_subrev_nc_u32_e32 v8, 29, v7
	v_dual_lshlrev_b32 v1, v8, v1 :: v_dual_sub_nc_u32 v7, 30, v7
	s_delay_alu instid0(VALU_DEP_1) | instskip(NEXT) | instid1(VALU_DEP_2)
	v_and_b32_e32 v1, 3, v1
	v_dual_lshlrev_b32 v5, 24, v5 :: v_dual_cndmask_b32 v7, v9, v7, vcc_lo
	s_delay_alu instid0(VALU_DEP_2) | instskip(NEXT) | instid1(VALU_DEP_2)
	v_cndmask_b32_e32 v1, v6, v1, vcc_lo
	v_and_b32_e32 v5, 0x80000000, v5
	s_delay_alu instid0(VALU_DEP_3) | instskip(NEXT) | instid1(VALU_DEP_3)
	v_lshl_add_u32 v6, v7, 23, 0x37800000
	v_lshlrev_b32_e32 v1, 21, v1
	s_delay_alu instid0(VALU_DEP_1) | instskip(NEXT) | instid1(VALU_DEP_1)
	v_or3_b32 v1, v5, v6, v1
	v_cvt_i32_f32_e32 v1, v1
.LBB6_1080:
	s_or_b32 exec_lo, exec_lo, s9
	s_mov_b32 s9, 0
	s_branch .LBB6_1086
.LBB6_1081:
	s_mov_b32 s9, -1
                                        ; implicit-def: $vgpr1
	s_branch .LBB6_1092
.LBB6_1082:
	s_and_not1_saveexec_b32 s9, s9
	s_cbranch_execz .LBB6_1067
.LBB6_1083:
	v_cmp_ne_u16_e32 vcc_lo, 0, v5
	s_and_not1_b32 s16, s16, exec_lo
	s_and_b32 s17, vcc_lo, exec_lo
	s_delay_alu instid0(SALU_CYCLE_1)
	s_or_b32 s16, s16, s17
	s_or_b32 exec_lo, exec_lo, s9
	v_mov_b32_e32 v1, 0
	s_and_saveexec_b32 s9, s16
	s_cbranch_execnz .LBB6_1068
	s_branch .LBB6_1069
.LBB6_1084:
	s_mov_b32 s9, -1
                                        ; implicit-def: $vgpr1
	s_branch .LBB6_1089
.LBB6_1085:
	s_mov_b32 s9, -1
                                        ; implicit-def: $vgpr1
.LBB6_1086:
	s_delay_alu instid0(SALU_CYCLE_1)
	s_and_b32 vcc_lo, exec_lo, s9
	s_cbranch_vccz .LBB6_1088
; %bb.1087:
	s_wait_loadcnt 0x0
	global_load_u8 v1, v[2:3], off
	s_wait_loadcnt 0x0
	v_lshlrev_b32_e32 v1, 24, v1
	s_delay_alu instid0(VALU_DEP_1) | instskip(NEXT) | instid1(VALU_DEP_1)
	v_and_b32_e32 v5, 0x7f000000, v1
	v_clz_i32_u32_e32 v6, v5
	v_cmp_ne_u32_e32 vcc_lo, 0, v5
	v_add_nc_u32_e32 v8, 0x1000000, v5
	s_delay_alu instid0(VALU_DEP_3) | instskip(NEXT) | instid1(VALU_DEP_1)
	v_min_u32_e32 v6, 32, v6
	v_sub_nc_u32_e64 v6, v6, 4 clamp
	s_delay_alu instid0(VALU_DEP_1) | instskip(NEXT) | instid1(VALU_DEP_1)
	v_dual_lshlrev_b32 v7, v6, v5 :: v_dual_lshlrev_b32 v6, 23, v6
	v_lshrrev_b32_e32 v7, 4, v7
	s_delay_alu instid0(VALU_DEP_1) | instskip(NEXT) | instid1(VALU_DEP_1)
	v_dual_sub_nc_u32 v6, v7, v6 :: v_dual_ashrrev_i32 v7, 8, v8
	v_add_nc_u32_e32 v6, 0x3c000000, v6
	s_delay_alu instid0(VALU_DEP_1) | instskip(NEXT) | instid1(VALU_DEP_1)
	v_and_or_b32 v6, 0x7f800000, v7, v6
	v_cndmask_b32_e32 v5, 0, v6, vcc_lo
	s_delay_alu instid0(VALU_DEP_1) | instskip(NEXT) | instid1(VALU_DEP_1)
	v_and_or_b32 v1, 0x80000000, v1, v5
	v_cvt_i32_f32_e32 v1, v1
.LBB6_1088:
	s_mov_b32 s9, 0
.LBB6_1089:
	s_delay_alu instid0(SALU_CYCLE_1)
	s_and_not1_b32 vcc_lo, exec_lo, s9
	s_cbranch_vccnz .LBB6_1091
; %bb.1090:
	s_wait_loadcnt 0x0
	global_load_u8 v1, v[2:3], off
	s_wait_loadcnt 0x0
	v_lshlrev_b32_e32 v5, 25, v1
	v_lshlrev_b16 v1, 8, v1
	s_delay_alu instid0(VALU_DEP_1) | instskip(SKIP_1) | instid1(VALU_DEP_2)
	v_and_or_b32 v7, 0x7f00, v1, 0.5
	v_bfe_i32 v1, v1, 0, 16
	v_dual_add_f32 v7, -0.5, v7 :: v_dual_lshrrev_b32 v6, 4, v5
	v_cmp_gt_u32_e32 vcc_lo, 0x8000000, v5
	s_delay_alu instid0(VALU_DEP_2) | instskip(NEXT) | instid1(VALU_DEP_1)
	v_or_b32_e32 v6, 0x70000000, v6
	v_mul_f32_e32 v6, 0x7800000, v6
	s_delay_alu instid0(VALU_DEP_1) | instskip(NEXT) | instid1(VALU_DEP_1)
	v_cndmask_b32_e32 v5, v6, v7, vcc_lo
	v_and_or_b32 v1, 0x80000000, v1, v5
	s_delay_alu instid0(VALU_DEP_1)
	v_cvt_i32_f32_e32 v1, v1
.LBB6_1091:
	s_mov_b32 s9, 0
	s_mov_b32 s16, -1
.LBB6_1092:
	s_and_not1_b32 vcc_lo, exec_lo, s9
	s_mov_b32 s13, 0
	s_cbranch_vccnz .LBB6_1103
; %bb.1093:
	s_cmp_gt_i32 s15, 14
	s_cbranch_scc0 .LBB6_1096
; %bb.1094:
	s_cmp_eq_u32 s15, 15
	s_cbranch_scc0 .LBB6_1099
; %bb.1095:
	s_wait_loadcnt 0x0
	global_load_u16 v1, v[2:3], off
	s_mov_b32 s0, 0
	s_mov_b32 s16, -1
	s_wait_loadcnt 0x0
	v_lshlrev_b32_e32 v1, 16, v1
	s_delay_alu instid0(VALU_DEP_1)
	v_cvt_i32_f32_e32 v1, v1
	s_branch .LBB6_1100
.LBB6_1096:
	s_mov_b32 s9, -1
                                        ; implicit-def: $vgpr1
	s_branch .LBB6_1101
.LBB6_1097:
	s_and_not1_saveexec_b32 s9, s9
	s_cbranch_execz .LBB6_1078
.LBB6_1098:
	v_cmp_ne_u16_e32 vcc_lo, 0, v5
	s_and_not1_b32 s13, s13, exec_lo
	s_and_b32 s16, vcc_lo, exec_lo
	s_delay_alu instid0(SALU_CYCLE_1)
	s_or_b32 s13, s13, s16
	s_or_b32 exec_lo, exec_lo, s9
	v_mov_b32_e32 v1, 0
	s_and_saveexec_b32 s9, s13
	s_cbranch_execnz .LBB6_1079
	s_branch .LBB6_1080
.LBB6_1099:
	s_mov_b32 s0, -1
                                        ; implicit-def: $vgpr1
.LBB6_1100:
	s_mov_b32 s9, 0
.LBB6_1101:
	s_delay_alu instid0(SALU_CYCLE_1)
	s_and_b32 vcc_lo, exec_lo, s9
	s_cbranch_vccz .LBB6_1103
; %bb.1102:
	s_cmp_lg_u32 s15, 11
	s_mov_b32 s13, -1
	s_cselect_b32 s0, -1, 0
.LBB6_1103:
	s_delay_alu instid0(SALU_CYCLE_1)
	s_and_b32 vcc_lo, exec_lo, s0
	s_mov_b32 s9, s1
	s_cbranch_vccnz .LBB6_1156
; %bb.1104:
	s_and_not1_b32 vcc_lo, exec_lo, s13
	s_cbranch_vccnz .LBB6_1106
.LBB6_1105:
	s_wait_loadcnt 0x0
	global_load_u8 v1, v[2:3], off
	s_mov_b32 s16, -1
	s_wait_loadcnt 0x0
	v_cmp_ne_u16_e32 vcc_lo, 0, v1
	v_cndmask_b32_e64 v1, 0, 1, vcc_lo
.LBB6_1106:
	s_branch .LBB6_916
.LBB6_1107:
	s_cmp_lt_i32 s15, 5
	s_cbranch_scc1 .LBB6_1112
; %bb.1108:
	s_cmp_lt_i32 s15, 8
	s_cbranch_scc1 .LBB6_1113
; %bb.1109:
	;; [unrolled: 3-line block ×3, first 2 shown]
	s_cmp_gt_i32 s15, 9
	s_cbranch_scc0 .LBB6_1115
; %bb.1111:
	global_load_b64 v[6:7], v[2:3], off
	s_mov_b32 s0, 0
	s_wait_loadcnt 0x0
	v_cvt_i32_f64_e32 v1, v[6:7]
	s_branch .LBB6_1116
.LBB6_1112:
	s_mov_b32 s0, -1
                                        ; implicit-def: $vgpr1
	s_branch .LBB6_1134
.LBB6_1113:
	s_mov_b32 s0, -1
                                        ; implicit-def: $vgpr1
	s_branch .LBB6_1122
.LBB6_1114:
	s_mov_b32 s0, -1
                                        ; implicit-def: $vgpr1
	s_branch .LBB6_1119
.LBB6_1115:
	s_mov_b32 s0, -1
                                        ; implicit-def: $vgpr1
.LBB6_1116:
	s_delay_alu instid0(SALU_CYCLE_1)
	s_and_not1_b32 vcc_lo, exec_lo, s0
	s_cbranch_vccnz .LBB6_1118
; %bb.1117:
	s_wait_loadcnt 0x0
	global_load_b32 v1, v[2:3], off
	s_wait_loadcnt 0x0
	v_cvt_i32_f32_e32 v1, v1
.LBB6_1118:
	s_mov_b32 s0, 0
.LBB6_1119:
	s_delay_alu instid0(SALU_CYCLE_1)
	s_and_not1_b32 vcc_lo, exec_lo, s0
	s_cbranch_vccnz .LBB6_1121
; %bb.1120:
	s_wait_loadcnt 0x0
	global_load_b32 v1, v[2:3], off
	s_wait_loadcnt 0x0
	v_cvt_f32_f16_e32 v1, v1
	s_delay_alu instid0(VALU_DEP_1)
	v_cvt_i32_f32_e32 v1, v1
.LBB6_1121:
	s_mov_b32 s0, 0
.LBB6_1122:
	s_delay_alu instid0(SALU_CYCLE_1)
	s_and_not1_b32 vcc_lo, exec_lo, s0
	s_cbranch_vccnz .LBB6_1133
; %bb.1123:
	s_cmp_lt_i32 s15, 6
	s_cbranch_scc1 .LBB6_1126
; %bb.1124:
	s_cmp_gt_i32 s15, 6
	s_cbranch_scc0 .LBB6_1127
; %bb.1125:
	global_load_b64 v[6:7], v[2:3], off
	s_mov_b32 s0, 0
	s_wait_loadcnt 0x0
	v_cvt_i32_f64_e32 v1, v[6:7]
	s_branch .LBB6_1128
.LBB6_1126:
	s_mov_b32 s0, -1
                                        ; implicit-def: $vgpr1
	s_branch .LBB6_1131
.LBB6_1127:
	s_mov_b32 s0, -1
                                        ; implicit-def: $vgpr1
.LBB6_1128:
	s_delay_alu instid0(SALU_CYCLE_1)
	s_and_not1_b32 vcc_lo, exec_lo, s0
	s_cbranch_vccnz .LBB6_1130
; %bb.1129:
	s_wait_loadcnt 0x0
	global_load_b32 v1, v[2:3], off
	s_wait_loadcnt 0x0
	v_cvt_i32_f32_e32 v1, v1
.LBB6_1130:
	s_mov_b32 s0, 0
.LBB6_1131:
	s_delay_alu instid0(SALU_CYCLE_1)
	s_and_not1_b32 vcc_lo, exec_lo, s0
	s_cbranch_vccnz .LBB6_1133
; %bb.1132:
	s_wait_loadcnt 0x0
	global_load_u16 v1, v[2:3], off
	s_wait_loadcnt 0x0
	v_cvt_f32_f16_e32 v1, v1
	s_delay_alu instid0(VALU_DEP_1)
	v_cvt_i32_f32_e32 v1, v1
.LBB6_1133:
	s_mov_b32 s0, 0
.LBB6_1134:
	s_delay_alu instid0(SALU_CYCLE_1)
	s_and_not1_b32 vcc_lo, exec_lo, s0
	s_cbranch_vccnz .LBB6_1154
; %bb.1135:
	s_cmp_lt_i32 s15, 2
	s_cbranch_scc1 .LBB6_1139
; %bb.1136:
	s_cmp_lt_i32 s15, 3
	s_cbranch_scc1 .LBB6_1140
; %bb.1137:
	s_cmp_gt_i32 s15, 3
	s_cbranch_scc0 .LBB6_1141
; %bb.1138:
	s_wait_loadcnt 0x0
	global_load_b32 v1, v[2:3], off
	s_mov_b32 s0, 0
	s_branch .LBB6_1142
.LBB6_1139:
	s_mov_b32 s0, -1
                                        ; implicit-def: $vgpr1
	s_branch .LBB6_1148
.LBB6_1140:
	s_mov_b32 s0, -1
                                        ; implicit-def: $vgpr1
	s_branch .LBB6_1145
.LBB6_1141:
	s_mov_b32 s0, -1
                                        ; implicit-def: $vgpr1
.LBB6_1142:
	s_delay_alu instid0(SALU_CYCLE_1)
	s_and_not1_b32 vcc_lo, exec_lo, s0
	s_cbranch_vccnz .LBB6_1144
; %bb.1143:
	s_wait_loadcnt 0x0
	global_load_b32 v1, v[2:3], off
.LBB6_1144:
	s_mov_b32 s0, 0
.LBB6_1145:
	s_delay_alu instid0(SALU_CYCLE_1)
	s_and_not1_b32 vcc_lo, exec_lo, s0
	s_cbranch_vccnz .LBB6_1147
; %bb.1146:
	s_wait_loadcnt 0x0
	global_load_i16 v1, v[2:3], off
.LBB6_1147:
	s_mov_b32 s0, 0
.LBB6_1148:
	s_delay_alu instid0(SALU_CYCLE_1)
	s_and_not1_b32 vcc_lo, exec_lo, s0
	s_cbranch_vccnz .LBB6_1154
; %bb.1149:
	s_cmp_gt_i32 s15, 0
	s_mov_b32 s0, 0
	s_cbranch_scc0 .LBB6_1151
; %bb.1150:
	s_wait_loadcnt 0x0
	global_load_i8 v1, v[2:3], off
	s_branch .LBB6_1152
.LBB6_1151:
	s_mov_b32 s0, -1
                                        ; implicit-def: $vgpr1
.LBB6_1152:
	s_delay_alu instid0(SALU_CYCLE_1)
	s_and_not1_b32 vcc_lo, exec_lo, s0
	s_cbranch_vccnz .LBB6_1154
; %bb.1153:
	s_wait_loadcnt 0x0
	global_load_u8 v1, v[2:3], off
.LBB6_1154:
	s_branch .LBB6_917
.LBB6_1155:
	s_mov_b32 s16, 0
	s_mov_b32 s17, 0
                                        ; implicit-def: $sgpr0
                                        ; implicit-def: $vgpr2_vgpr3
	s_branch .LBB6_1726
.LBB6_1156:
	s_or_b32 s9, s1, exec_lo
	s_trap 2
	s_cbranch_execz .LBB6_1105
	s_branch .LBB6_1106
.LBB6_1157:
	s_mov_b32 s16, -1
	s_mov_b32 s19, 0
	s_mov_b32 s0, 0
	s_branch .LBB6_1159
.LBB6_1158:
	s_mov_b32 s0, -1
	s_mov_b32 s19, 0
.LBB6_1159:
                                        ; implicit-def: $vgpr1
.LBB6_1160:
	s_and_b32 vcc_lo, exec_lo, s16
	s_cbranch_vccz .LBB6_1164
; %bb.1161:
	s_cmp_eq_u32 s15, 44
	s_cbranch_scc0 .LBB6_1163
; %bb.1162:
	global_load_u8 v1, v[2:3], off
	s_mov_b32 s0, 0
	s_mov_b32 s19, -1
	s_wait_loadcnt 0x0
	v_lshlrev_b32_e32 v5, 23, v1
	v_cmp_ne_u32_e32 vcc_lo, 0, v1
	s_delay_alu instid0(VALU_DEP_2) | instskip(NEXT) | instid1(VALU_DEP_1)
	v_cvt_i32_f32_e32 v5, v5
	v_cndmask_b32_e32 v1, 0, v5, vcc_lo
	s_branch .LBB6_1164
.LBB6_1163:
	s_mov_b32 s0, -1
                                        ; implicit-def: $vgpr1
.LBB6_1164:
	s_mov_b32 s16, 0
.LBB6_1165:
	s_delay_alu instid0(SALU_CYCLE_1)
	s_and_b32 vcc_lo, exec_lo, s16
	s_cbranch_vccz .LBB6_1169
; %bb.1166:
	s_cmp_eq_u32 s15, 29
	s_cbranch_scc0 .LBB6_1168
; %bb.1167:
	global_load_b32 v1, v[2:3], off
	s_mov_b32 s0, 0
	s_mov_b32 s19, -1
	s_branch .LBB6_1169
.LBB6_1168:
	s_mov_b32 s0, -1
                                        ; implicit-def: $vgpr1
.LBB6_1169:
	s_mov_b32 s16, 0
.LBB6_1170:
	s_delay_alu instid0(SALU_CYCLE_1)
	s_and_b32 vcc_lo, exec_lo, s16
	s_cbranch_vccz .LBB6_1186
; %bb.1171:
	s_cmp_lt_i32 s15, 27
	s_cbranch_scc1 .LBB6_1174
; %bb.1172:
	s_cmp_gt_i32 s15, 27
	s_cbranch_scc0 .LBB6_1175
; %bb.1173:
	s_wait_loadcnt 0x0
	global_load_b32 v1, v[2:3], off
	s_mov_b32 s16, 0
	s_branch .LBB6_1176
.LBB6_1174:
	s_mov_b32 s16, -1
                                        ; implicit-def: $vgpr1
	s_branch .LBB6_1179
.LBB6_1175:
	s_mov_b32 s16, -1
                                        ; implicit-def: $vgpr1
.LBB6_1176:
	s_delay_alu instid0(SALU_CYCLE_1)
	s_and_not1_b32 vcc_lo, exec_lo, s16
	s_cbranch_vccnz .LBB6_1178
; %bb.1177:
	s_wait_loadcnt 0x0
	global_load_u16 v1, v[2:3], off
.LBB6_1178:
	s_mov_b32 s16, 0
.LBB6_1179:
	s_delay_alu instid0(SALU_CYCLE_1)
	s_and_not1_b32 vcc_lo, exec_lo, s16
	s_cbranch_vccnz .LBB6_1185
; %bb.1180:
	global_load_u8 v5, v[2:3], off
	s_mov_b32 s19, 0
	s_mov_b32 s16, exec_lo
	s_wait_loadcnt 0x0
	v_cmpx_lt_i16_e32 0x7f, v5
	s_xor_b32 s16, exec_lo, s16
	s_cbranch_execz .LBB6_1197
; %bb.1181:
	v_cmp_ne_u16_e32 vcc_lo, 0x80, v5
	s_and_b32 s19, vcc_lo, exec_lo
	s_and_not1_saveexec_b32 s16, s16
	s_cbranch_execnz .LBB6_1198
.LBB6_1182:
	s_or_b32 exec_lo, exec_lo, s16
	v_mov_b32_e32 v1, 0
	s_and_saveexec_b32 s16, s19
	s_cbranch_execz .LBB6_1184
.LBB6_1183:
	v_and_b32_e32 v1, 0xffff, v5
	s_delay_alu instid0(VALU_DEP_1) | instskip(SKIP_1) | instid1(VALU_DEP_2)
	v_and_b32_e32 v6, 7, v1
	v_bfe_u32 v9, v1, 3, 4
	v_clz_i32_u32_e32 v7, v6
	s_delay_alu instid0(VALU_DEP_2) | instskip(NEXT) | instid1(VALU_DEP_2)
	v_cmp_eq_u32_e32 vcc_lo, 0, v9
	v_min_u32_e32 v7, 32, v7
	s_delay_alu instid0(VALU_DEP_1) | instskip(NEXT) | instid1(VALU_DEP_1)
	v_subrev_nc_u32_e32 v8, 28, v7
	v_dual_lshlrev_b32 v1, v8, v1 :: v_dual_sub_nc_u32 v7, 29, v7
	s_delay_alu instid0(VALU_DEP_1) | instskip(NEXT) | instid1(VALU_DEP_2)
	v_and_b32_e32 v1, 7, v1
	v_dual_lshlrev_b32 v5, 24, v5 :: v_dual_cndmask_b32 v7, v9, v7, vcc_lo
	s_delay_alu instid0(VALU_DEP_2) | instskip(NEXT) | instid1(VALU_DEP_2)
	v_cndmask_b32_e32 v1, v6, v1, vcc_lo
	v_and_b32_e32 v5, 0x80000000, v5
	s_delay_alu instid0(VALU_DEP_3) | instskip(NEXT) | instid1(VALU_DEP_3)
	v_lshl_add_u32 v6, v7, 23, 0x3b800000
	v_lshlrev_b32_e32 v1, 20, v1
	s_delay_alu instid0(VALU_DEP_1) | instskip(NEXT) | instid1(VALU_DEP_1)
	v_or3_b32 v1, v5, v6, v1
	v_cvt_i32_f32_e32 v1, v1
.LBB6_1184:
	s_or_b32 exec_lo, exec_lo, s16
.LBB6_1185:
	s_mov_b32 s19, -1
.LBB6_1186:
	s_mov_b32 s16, 0
.LBB6_1187:
	s_delay_alu instid0(SALU_CYCLE_1)
	s_and_b32 vcc_lo, exec_lo, s16
	s_cbranch_vccz .LBB6_1218
; %bb.1188:
	s_cmp_gt_i32 s15, 22
	s_cbranch_scc0 .LBB6_1196
; %bb.1189:
	s_cmp_lt_i32 s15, 24
	s_cbranch_scc1 .LBB6_1199
; %bb.1190:
	s_cmp_gt_i32 s15, 24
	s_cbranch_scc0 .LBB6_1200
; %bb.1191:
	global_load_u8 v5, v[2:3], off
	s_mov_b32 s16, exec_lo
	s_wait_loadcnt 0x0
	v_cmpx_lt_i16_e32 0x7f, v5
	s_xor_b32 s16, exec_lo, s16
	s_cbranch_execz .LBB6_1212
; %bb.1192:
	v_cmp_ne_u16_e32 vcc_lo, 0x80, v5
	s_and_b32 s17, vcc_lo, exec_lo
	s_and_not1_saveexec_b32 s16, s16
	s_cbranch_execnz .LBB6_1213
.LBB6_1193:
	s_or_b32 exec_lo, exec_lo, s16
	v_mov_b32_e32 v1, 0
	s_and_saveexec_b32 s16, s17
	s_cbranch_execz .LBB6_1195
.LBB6_1194:
	v_and_b32_e32 v1, 0xffff, v5
	s_delay_alu instid0(VALU_DEP_1) | instskip(SKIP_1) | instid1(VALU_DEP_2)
	v_and_b32_e32 v6, 3, v1
	v_bfe_u32 v9, v1, 2, 5
	v_clz_i32_u32_e32 v7, v6
	s_delay_alu instid0(VALU_DEP_2) | instskip(NEXT) | instid1(VALU_DEP_2)
	v_cmp_eq_u32_e32 vcc_lo, 0, v9
	v_min_u32_e32 v7, 32, v7
	s_delay_alu instid0(VALU_DEP_1) | instskip(NEXT) | instid1(VALU_DEP_1)
	v_subrev_nc_u32_e32 v8, 29, v7
	v_dual_lshlrev_b32 v1, v8, v1 :: v_dual_sub_nc_u32 v7, 30, v7
	s_delay_alu instid0(VALU_DEP_1) | instskip(NEXT) | instid1(VALU_DEP_2)
	v_and_b32_e32 v1, 3, v1
	v_dual_lshlrev_b32 v5, 24, v5 :: v_dual_cndmask_b32 v7, v9, v7, vcc_lo
	s_delay_alu instid0(VALU_DEP_2) | instskip(NEXT) | instid1(VALU_DEP_2)
	v_cndmask_b32_e32 v1, v6, v1, vcc_lo
	v_and_b32_e32 v5, 0x80000000, v5
	s_delay_alu instid0(VALU_DEP_3) | instskip(NEXT) | instid1(VALU_DEP_3)
	v_lshl_add_u32 v6, v7, 23, 0x37800000
	v_lshlrev_b32_e32 v1, 21, v1
	s_delay_alu instid0(VALU_DEP_1) | instskip(NEXT) | instid1(VALU_DEP_1)
	v_or3_b32 v1, v5, v6, v1
	v_cvt_i32_f32_e32 v1, v1
.LBB6_1195:
	s_or_b32 exec_lo, exec_lo, s16
	s_mov_b32 s16, 0
	s_branch .LBB6_1201
.LBB6_1196:
	s_mov_b32 s16, -1
                                        ; implicit-def: $vgpr1
	s_branch .LBB6_1207
.LBB6_1197:
	s_and_not1_saveexec_b32 s16, s16
	s_cbranch_execz .LBB6_1182
.LBB6_1198:
	v_cmp_ne_u16_e32 vcc_lo, 0, v5
	s_and_not1_b32 s19, s19, exec_lo
	s_and_b32 s20, vcc_lo, exec_lo
	s_delay_alu instid0(SALU_CYCLE_1)
	s_or_b32 s19, s19, s20
	s_or_b32 exec_lo, exec_lo, s16
	v_mov_b32_e32 v1, 0
	s_and_saveexec_b32 s16, s19
	s_cbranch_execnz .LBB6_1183
	s_branch .LBB6_1184
.LBB6_1199:
	s_mov_b32 s16, -1
                                        ; implicit-def: $vgpr1
	s_branch .LBB6_1204
.LBB6_1200:
	s_mov_b32 s16, -1
                                        ; implicit-def: $vgpr1
.LBB6_1201:
	s_delay_alu instid0(SALU_CYCLE_1)
	s_and_b32 vcc_lo, exec_lo, s16
	s_cbranch_vccz .LBB6_1203
; %bb.1202:
	s_wait_loadcnt 0x0
	global_load_u8 v1, v[2:3], off
	s_wait_loadcnt 0x0
	v_lshlrev_b32_e32 v1, 24, v1
	s_delay_alu instid0(VALU_DEP_1) | instskip(NEXT) | instid1(VALU_DEP_1)
	v_and_b32_e32 v5, 0x7f000000, v1
	v_clz_i32_u32_e32 v6, v5
	v_cmp_ne_u32_e32 vcc_lo, 0, v5
	v_add_nc_u32_e32 v8, 0x1000000, v5
	s_delay_alu instid0(VALU_DEP_3) | instskip(NEXT) | instid1(VALU_DEP_1)
	v_min_u32_e32 v6, 32, v6
	v_sub_nc_u32_e64 v6, v6, 4 clamp
	s_delay_alu instid0(VALU_DEP_1) | instskip(NEXT) | instid1(VALU_DEP_1)
	v_dual_lshlrev_b32 v7, v6, v5 :: v_dual_lshlrev_b32 v6, 23, v6
	v_lshrrev_b32_e32 v7, 4, v7
	s_delay_alu instid0(VALU_DEP_1) | instskip(NEXT) | instid1(VALU_DEP_1)
	v_dual_sub_nc_u32 v6, v7, v6 :: v_dual_ashrrev_i32 v7, 8, v8
	v_add_nc_u32_e32 v6, 0x3c000000, v6
	s_delay_alu instid0(VALU_DEP_1) | instskip(NEXT) | instid1(VALU_DEP_1)
	v_and_or_b32 v6, 0x7f800000, v7, v6
	v_cndmask_b32_e32 v5, 0, v6, vcc_lo
	s_delay_alu instid0(VALU_DEP_1) | instskip(NEXT) | instid1(VALU_DEP_1)
	v_and_or_b32 v1, 0x80000000, v1, v5
	v_cvt_i32_f32_e32 v1, v1
.LBB6_1203:
	s_mov_b32 s16, 0
.LBB6_1204:
	s_delay_alu instid0(SALU_CYCLE_1)
	s_and_not1_b32 vcc_lo, exec_lo, s16
	s_cbranch_vccnz .LBB6_1206
; %bb.1205:
	s_wait_loadcnt 0x0
	global_load_u8 v1, v[2:3], off
	s_wait_loadcnt 0x0
	v_lshlrev_b32_e32 v5, 25, v1
	v_lshlrev_b16 v1, 8, v1
	s_delay_alu instid0(VALU_DEP_1) | instskip(SKIP_1) | instid1(VALU_DEP_2)
	v_and_or_b32 v7, 0x7f00, v1, 0.5
	v_bfe_i32 v1, v1, 0, 16
	v_dual_add_f32 v7, -0.5, v7 :: v_dual_lshrrev_b32 v6, 4, v5
	v_cmp_gt_u32_e32 vcc_lo, 0x8000000, v5
	s_delay_alu instid0(VALU_DEP_2) | instskip(NEXT) | instid1(VALU_DEP_1)
	v_or_b32_e32 v6, 0x70000000, v6
	v_mul_f32_e32 v6, 0x7800000, v6
	s_delay_alu instid0(VALU_DEP_1) | instskip(NEXT) | instid1(VALU_DEP_1)
	v_cndmask_b32_e32 v5, v6, v7, vcc_lo
	v_and_or_b32 v1, 0x80000000, v1, v5
	s_delay_alu instid0(VALU_DEP_1)
	v_cvt_i32_f32_e32 v1, v1
.LBB6_1206:
	s_mov_b32 s16, 0
	s_mov_b32 s19, -1
.LBB6_1207:
	s_and_not1_b32 vcc_lo, exec_lo, s16
	s_mov_b32 s17, 0
	s_cbranch_vccnz .LBB6_1218
; %bb.1208:
	s_cmp_gt_i32 s15, 14
	s_cbranch_scc0 .LBB6_1211
; %bb.1209:
	s_cmp_eq_u32 s15, 15
	s_cbranch_scc0 .LBB6_1214
; %bb.1210:
	s_wait_loadcnt 0x0
	global_load_u16 v1, v[2:3], off
	s_mov_b32 s0, 0
	s_mov_b32 s19, -1
	s_wait_loadcnt 0x0
	v_lshlrev_b32_e32 v1, 16, v1
	s_delay_alu instid0(VALU_DEP_1)
	v_cvt_i32_f32_e32 v1, v1
	s_branch .LBB6_1215
.LBB6_1211:
	s_mov_b32 s16, -1
                                        ; implicit-def: $vgpr1
	s_branch .LBB6_1216
.LBB6_1212:
	s_and_not1_saveexec_b32 s16, s16
	s_cbranch_execz .LBB6_1193
.LBB6_1213:
	v_cmp_ne_u16_e32 vcc_lo, 0, v5
	s_and_not1_b32 s17, s17, exec_lo
	s_and_b32 s19, vcc_lo, exec_lo
	s_delay_alu instid0(SALU_CYCLE_1)
	s_or_b32 s17, s17, s19
	s_or_b32 exec_lo, exec_lo, s16
	v_mov_b32_e32 v1, 0
	s_and_saveexec_b32 s16, s17
	s_cbranch_execnz .LBB6_1194
	s_branch .LBB6_1195
.LBB6_1214:
	s_mov_b32 s0, -1
                                        ; implicit-def: $vgpr1
.LBB6_1215:
	s_mov_b32 s16, 0
.LBB6_1216:
	s_delay_alu instid0(SALU_CYCLE_1)
	s_and_b32 vcc_lo, exec_lo, s16
	s_cbranch_vccz .LBB6_1218
; %bb.1217:
	s_cmp_lg_u32 s15, 11
	s_mov_b32 s17, -1
	s_cselect_b32 s0, -1, 0
.LBB6_1218:
	s_delay_alu instid0(SALU_CYCLE_1)
	s_and_b32 vcc_lo, exec_lo, s0
	s_mov_b32 s16, s9
	s_cbranch_vccnz .LBB6_1285
; %bb.1219:
	s_and_not1_b32 vcc_lo, exec_lo, s17
	s_cbranch_vccnz .LBB6_1221
.LBB6_1220:
	s_wait_loadcnt 0x0
	global_load_u8 v1, v[2:3], off
	s_mov_b32 s19, -1
	s_wait_loadcnt 0x0
	v_cmp_ne_u16_e32 vcc_lo, 0, v1
	v_cndmask_b32_e64 v1, 0, 1, vcc_lo
.LBB6_1221:
	s_mov_b32 s0, 0
.LBB6_1222:
	s_delay_alu instid0(SALU_CYCLE_1)
	s_and_b32 vcc_lo, exec_lo, s0
	s_cbranch_vccz .LBB6_1271
; %bb.1223:
	s_cmp_lt_i32 s15, 5
	s_cbranch_scc1 .LBB6_1228
; %bb.1224:
	s_cmp_lt_i32 s15, 8
	s_cbranch_scc1 .LBB6_1229
	;; [unrolled: 3-line block ×3, first 2 shown]
; %bb.1226:
	s_cmp_gt_i32 s15, 9
	s_cbranch_scc0 .LBB6_1231
; %bb.1227:
	global_load_b64 v[6:7], v[2:3], off
	s_mov_b32 s0, 0
	s_wait_loadcnt 0x0
	v_cvt_i32_f64_e32 v1, v[6:7]
	s_branch .LBB6_1232
.LBB6_1228:
	s_mov_b32 s0, -1
                                        ; implicit-def: $vgpr1
	s_branch .LBB6_1250
.LBB6_1229:
	s_mov_b32 s0, -1
                                        ; implicit-def: $vgpr1
	s_branch .LBB6_1238
.LBB6_1230:
	s_mov_b32 s0, -1
                                        ; implicit-def: $vgpr1
	s_branch .LBB6_1235
.LBB6_1231:
	s_mov_b32 s0, -1
                                        ; implicit-def: $vgpr1
.LBB6_1232:
	s_delay_alu instid0(SALU_CYCLE_1)
	s_and_not1_b32 vcc_lo, exec_lo, s0
	s_cbranch_vccnz .LBB6_1234
; %bb.1233:
	s_wait_loadcnt 0x0
	global_load_b32 v1, v[2:3], off
	s_wait_loadcnt 0x0
	v_cvt_i32_f32_e32 v1, v1
.LBB6_1234:
	s_mov_b32 s0, 0
.LBB6_1235:
	s_delay_alu instid0(SALU_CYCLE_1)
	s_and_not1_b32 vcc_lo, exec_lo, s0
	s_cbranch_vccnz .LBB6_1237
; %bb.1236:
	s_wait_loadcnt 0x0
	global_load_b32 v1, v[2:3], off
	s_wait_loadcnt 0x0
	v_cvt_f32_f16_e32 v1, v1
	s_delay_alu instid0(VALU_DEP_1)
	v_cvt_i32_f32_e32 v1, v1
.LBB6_1237:
	s_mov_b32 s0, 0
.LBB6_1238:
	s_delay_alu instid0(SALU_CYCLE_1)
	s_and_not1_b32 vcc_lo, exec_lo, s0
	s_cbranch_vccnz .LBB6_1249
; %bb.1239:
	s_cmp_lt_i32 s15, 6
	s_cbranch_scc1 .LBB6_1242
; %bb.1240:
	s_cmp_gt_i32 s15, 6
	s_cbranch_scc0 .LBB6_1243
; %bb.1241:
	global_load_b64 v[6:7], v[2:3], off
	s_mov_b32 s0, 0
	s_wait_loadcnt 0x0
	v_cvt_i32_f64_e32 v1, v[6:7]
	s_branch .LBB6_1244
.LBB6_1242:
	s_mov_b32 s0, -1
                                        ; implicit-def: $vgpr1
	s_branch .LBB6_1247
.LBB6_1243:
	s_mov_b32 s0, -1
                                        ; implicit-def: $vgpr1
.LBB6_1244:
	s_delay_alu instid0(SALU_CYCLE_1)
	s_and_not1_b32 vcc_lo, exec_lo, s0
	s_cbranch_vccnz .LBB6_1246
; %bb.1245:
	s_wait_loadcnt 0x0
	global_load_b32 v1, v[2:3], off
	s_wait_loadcnt 0x0
	v_cvt_i32_f32_e32 v1, v1
.LBB6_1246:
	s_mov_b32 s0, 0
.LBB6_1247:
	s_delay_alu instid0(SALU_CYCLE_1)
	s_and_not1_b32 vcc_lo, exec_lo, s0
	s_cbranch_vccnz .LBB6_1249
; %bb.1248:
	s_wait_loadcnt 0x0
	global_load_u16 v1, v[2:3], off
	s_wait_loadcnt 0x0
	v_cvt_f32_f16_e32 v1, v1
	s_delay_alu instid0(VALU_DEP_1)
	v_cvt_i32_f32_e32 v1, v1
.LBB6_1249:
	s_mov_b32 s0, 0
.LBB6_1250:
	s_delay_alu instid0(SALU_CYCLE_1)
	s_and_not1_b32 vcc_lo, exec_lo, s0
	s_cbranch_vccnz .LBB6_1270
; %bb.1251:
	s_cmp_lt_i32 s15, 2
	s_cbranch_scc1 .LBB6_1255
; %bb.1252:
	s_cmp_lt_i32 s15, 3
	s_cbranch_scc1 .LBB6_1256
; %bb.1253:
	s_cmp_gt_i32 s15, 3
	s_cbranch_scc0 .LBB6_1257
; %bb.1254:
	s_wait_loadcnt 0x0
	global_load_b32 v1, v[2:3], off
	s_mov_b32 s0, 0
	s_branch .LBB6_1258
.LBB6_1255:
	s_mov_b32 s0, -1
                                        ; implicit-def: $vgpr1
	s_branch .LBB6_1264
.LBB6_1256:
	s_mov_b32 s0, -1
                                        ; implicit-def: $vgpr1
	s_branch .LBB6_1261
.LBB6_1257:
	s_mov_b32 s0, -1
                                        ; implicit-def: $vgpr1
.LBB6_1258:
	s_delay_alu instid0(SALU_CYCLE_1)
	s_and_not1_b32 vcc_lo, exec_lo, s0
	s_cbranch_vccnz .LBB6_1260
; %bb.1259:
	s_wait_loadcnt 0x0
	global_load_b32 v1, v[2:3], off
.LBB6_1260:
	s_mov_b32 s0, 0
.LBB6_1261:
	s_delay_alu instid0(SALU_CYCLE_1)
	s_and_not1_b32 vcc_lo, exec_lo, s0
	s_cbranch_vccnz .LBB6_1263
; %bb.1262:
	s_wait_loadcnt 0x0
	global_load_i16 v1, v[2:3], off
.LBB6_1263:
	s_mov_b32 s0, 0
.LBB6_1264:
	s_delay_alu instid0(SALU_CYCLE_1)
	s_and_not1_b32 vcc_lo, exec_lo, s0
	s_cbranch_vccnz .LBB6_1270
; %bb.1265:
	s_cmp_gt_i32 s15, 0
	s_mov_b32 s0, 0
	s_cbranch_scc0 .LBB6_1267
; %bb.1266:
	s_wait_loadcnt 0x0
	global_load_i8 v1, v[2:3], off
	s_branch .LBB6_1268
.LBB6_1267:
	s_mov_b32 s0, -1
                                        ; implicit-def: $vgpr1
.LBB6_1268:
	s_delay_alu instid0(SALU_CYCLE_1)
	s_and_not1_b32 vcc_lo, exec_lo, s0
	s_cbranch_vccnz .LBB6_1270
; %bb.1269:
	s_wait_loadcnt 0x0
	global_load_u8 v1, v[2:3], off
.LBB6_1270:
	s_mov_b32 s19, -1
.LBB6_1271:
	s_delay_alu instid0(SALU_CYCLE_1)
	s_and_not1_b32 vcc_lo, exec_lo, s19
	s_cbranch_vccnz .LBB6_1281
; %bb.1272:
	s_wait_loadcnt 0x0
	s_delay_alu instid0(VALU_DEP_1) | instskip(SKIP_4) | instid1(SALU_CYCLE_1)
	v_cmp_gt_i32_e32 vcc_lo, s10, v1
	v_cmp_le_i32_e64 s0, s12, v1
	s_or_b32 s0, vcc_lo, s0
	s_wait_xcnt 0x0
	s_and_saveexec_b32 s17, s0
	s_xor_b32 s0, exec_lo, s17
	s_cbranch_execnz .LBB6_1778
.LBB6_1273:
	s_or_saveexec_b32 s17, s0
	s_mov_b32 s19, 0
	s_mov_b32 s20, 0
                                        ; implicit-def: $sgpr0
                                        ; implicit-def: $vgpr2_vgpr3
	s_xor_b32 exec_lo, exec_lo, s17
	s_cbranch_execz .LBB6_1723
; %bb.1274:
	v_add_nc_u32_e32 v0, s18, v0
	s_cmp_lt_i32 s15, 11
	s_delay_alu instid0(VALU_DEP_1) | instskip(NEXT) | instid1(VALU_DEP_1)
	v_ashrrev_i32_e32 v1, 31, v0
	v_add_nc_u64_e32 v[0:1], s[6:7], v[0:1]
	s_cbranch_scc1 .LBB6_1282
; %bb.1275:
	s_cmp_gt_i32 s15, 25
	s_mov_b32 s7, 0
	s_cbranch_scc0 .LBB6_1283
; %bb.1276:
	s_cmp_gt_i32 s15, 28
	s_cbranch_scc0 .LBB6_1284
; %bb.1277:
	s_cmp_gt_i32 s15, 43
	;; [unrolled: 3-line block ×3, first 2 shown]
	s_cbranch_scc0 .LBB6_1287
; %bb.1279:
	s_cmp_eq_u32 s15, 46
	s_mov_b32 s6, 0
	s_cbranch_scc0 .LBB6_1289
; %bb.1280:
	global_load_b32 v2, v[0:1], off
	s_mov_b32 s0, 0
	s_mov_b32 s18, -1
	s_wait_loadcnt 0x0
	v_lshlrev_b32_e32 v2, 16, v2
	s_delay_alu instid0(VALU_DEP_1)
	v_cvt_i32_f32_e32 v2, v2
	s_branch .LBB6_1291
.LBB6_1281:
	s_mov_b32 s19, 0
	s_mov_b32 s20, 0
                                        ; implicit-def: $sgpr0
                                        ; implicit-def: $vgpr2_vgpr3
	s_branch .LBB6_1724
.LBB6_1282:
	s_mov_b32 s0, -1
	s_mov_b32 s18, 0
	s_mov_b32 s6, s16
                                        ; implicit-def: $vgpr2
	s_branch .LBB6_1353
.LBB6_1283:
	s_mov_b32 s6, -1
	s_mov_b32 s18, 0
	s_mov_b32 s0, 0
                                        ; implicit-def: $vgpr2
	s_branch .LBB6_1318
.LBB6_1284:
	s_mov_b32 s6, -1
	s_mov_b32 s18, 0
	s_mov_b32 s0, 0
                                        ; implicit-def: $vgpr2
	s_branch .LBB6_1301
.LBB6_1285:
	s_or_b32 s16, s9, exec_lo
	s_trap 2
	s_cbranch_execz .LBB6_1220
	s_branch .LBB6_1221
.LBB6_1286:
	s_mov_b32 s6, -1
	s_mov_b32 s18, 0
	s_mov_b32 s0, 0
                                        ; implicit-def: $vgpr2
	s_branch .LBB6_1296
.LBB6_1287:
	s_mov_b32 s6, -1
	s_mov_b32 s18, 0
	s_mov_b32 s0, 0
	s_branch .LBB6_1290
.LBB6_1288:
	s_or_b32 s1, s1, exec_lo
	s_trap 2
                                        ; implicit-def: $vgpr0
                                        ; implicit-def: $vgpr4
	s_branch .LBB6_905
.LBB6_1289:
	s_mov_b32 s0, -1
	s_mov_b32 s18, 0
.LBB6_1290:
                                        ; implicit-def: $vgpr2
.LBB6_1291:
	s_and_b32 vcc_lo, exec_lo, s6
	s_cbranch_vccz .LBB6_1295
; %bb.1292:
	s_cmp_eq_u32 s15, 44
	s_cbranch_scc0 .LBB6_1294
; %bb.1293:
	global_load_u8 v2, v[0:1], off
	s_mov_b32 s0, 0
	s_mov_b32 s18, -1
	s_wait_loadcnt 0x0
	v_lshlrev_b32_e32 v3, 23, v2
	v_cmp_ne_u32_e32 vcc_lo, 0, v2
	s_delay_alu instid0(VALU_DEP_2) | instskip(NEXT) | instid1(VALU_DEP_1)
	v_cvt_i32_f32_e32 v3, v3
	v_cndmask_b32_e32 v2, 0, v3, vcc_lo
	s_branch .LBB6_1295
.LBB6_1294:
	s_mov_b32 s0, -1
                                        ; implicit-def: $vgpr2
.LBB6_1295:
	s_mov_b32 s6, 0
.LBB6_1296:
	s_delay_alu instid0(SALU_CYCLE_1)
	s_and_b32 vcc_lo, exec_lo, s6
	s_cbranch_vccz .LBB6_1300
; %bb.1297:
	s_cmp_eq_u32 s15, 29
	s_cbranch_scc0 .LBB6_1299
; %bb.1298:
	global_load_b32 v2, v[0:1], off
	s_mov_b32 s0, 0
	s_mov_b32 s18, -1
	s_branch .LBB6_1300
.LBB6_1299:
	s_mov_b32 s0, -1
                                        ; implicit-def: $vgpr2
.LBB6_1300:
	s_mov_b32 s6, 0
.LBB6_1301:
	s_delay_alu instid0(SALU_CYCLE_1)
	s_and_b32 vcc_lo, exec_lo, s6
	s_cbranch_vccz .LBB6_1317
; %bb.1302:
	s_cmp_lt_i32 s15, 27
	s_cbranch_scc1 .LBB6_1305
; %bb.1303:
	s_cmp_gt_i32 s15, 27
	s_cbranch_scc0 .LBB6_1306
; %bb.1304:
	s_wait_loadcnt 0x0
	global_load_b32 v2, v[0:1], off
	s_mov_b32 s6, 0
	s_branch .LBB6_1307
.LBB6_1305:
	s_mov_b32 s6, -1
                                        ; implicit-def: $vgpr2
	s_branch .LBB6_1310
.LBB6_1306:
	s_mov_b32 s6, -1
                                        ; implicit-def: $vgpr2
.LBB6_1307:
	s_delay_alu instid0(SALU_CYCLE_1)
	s_and_not1_b32 vcc_lo, exec_lo, s6
	s_cbranch_vccnz .LBB6_1309
; %bb.1308:
	s_wait_loadcnt 0x0
	global_load_u16 v2, v[0:1], off
.LBB6_1309:
	s_mov_b32 s6, 0
.LBB6_1310:
	s_delay_alu instid0(SALU_CYCLE_1)
	s_and_not1_b32 vcc_lo, exec_lo, s6
	s_cbranch_vccnz .LBB6_1316
; %bb.1311:
	global_load_u8 v3, v[0:1], off
	s_mov_b32 s18, 0
	s_mov_b32 s6, exec_lo
	s_wait_loadcnt 0x0
	v_cmpx_lt_i16_e32 0x7f, v3
	s_xor_b32 s6, exec_lo, s6
	s_cbranch_execz .LBB6_1328
; %bb.1312:
	v_cmp_ne_u16_e32 vcc_lo, 0x80, v3
	s_and_b32 s18, vcc_lo, exec_lo
	s_and_not1_saveexec_b32 s6, s6
	s_cbranch_execnz .LBB6_1329
.LBB6_1313:
	s_or_b32 exec_lo, exec_lo, s6
	v_mov_b32_e32 v2, 0
	s_and_saveexec_b32 s6, s18
	s_cbranch_execz .LBB6_1315
.LBB6_1314:
	v_and_b32_e32 v2, 0xffff, v3
	s_delay_alu instid0(VALU_DEP_1) | instskip(SKIP_1) | instid1(VALU_DEP_2)
	v_dual_lshlrev_b32 v3, 24, v3 :: v_dual_bitop2_b32 v5, 7, v2 bitop3:0x40
	v_bfe_u32 v8, v2, 3, 4
	v_and_b32_e32 v3, 0x80000000, v3
	s_delay_alu instid0(VALU_DEP_3) | instskip(NEXT) | instid1(VALU_DEP_3)
	v_clz_i32_u32_e32 v6, v5
	v_cmp_eq_u32_e32 vcc_lo, 0, v8
	s_delay_alu instid0(VALU_DEP_2) | instskip(NEXT) | instid1(VALU_DEP_1)
	v_min_u32_e32 v6, 32, v6
	v_subrev_nc_u32_e32 v7, 28, v6
	v_sub_nc_u32_e32 v6, 29, v6
	s_delay_alu instid0(VALU_DEP_2) | instskip(NEXT) | instid1(VALU_DEP_2)
	v_lshlrev_b32_e32 v2, v7, v2
	v_cndmask_b32_e32 v6, v8, v6, vcc_lo
	s_delay_alu instid0(VALU_DEP_2) | instskip(NEXT) | instid1(VALU_DEP_1)
	v_and_b32_e32 v2, 7, v2
	v_cndmask_b32_e32 v2, v5, v2, vcc_lo
	s_delay_alu instid0(VALU_DEP_3) | instskip(NEXT) | instid1(VALU_DEP_2)
	v_lshl_add_u32 v5, v6, 23, 0x3b800000
	v_lshlrev_b32_e32 v2, 20, v2
	s_delay_alu instid0(VALU_DEP_1) | instskip(NEXT) | instid1(VALU_DEP_1)
	v_or3_b32 v2, v3, v5, v2
	v_cvt_i32_f32_e32 v2, v2
.LBB6_1315:
	s_or_b32 exec_lo, exec_lo, s6
.LBB6_1316:
	s_mov_b32 s18, -1
.LBB6_1317:
	s_mov_b32 s6, 0
.LBB6_1318:
	s_delay_alu instid0(SALU_CYCLE_1)
	s_and_b32 vcc_lo, exec_lo, s6
	s_cbranch_vccz .LBB6_1349
; %bb.1319:
	s_cmp_gt_i32 s15, 22
	s_cbranch_scc0 .LBB6_1327
; %bb.1320:
	s_cmp_lt_i32 s15, 24
	s_cbranch_scc1 .LBB6_1330
; %bb.1321:
	s_cmp_gt_i32 s15, 24
	s_cbranch_scc0 .LBB6_1331
; %bb.1322:
	global_load_u8 v3, v[0:1], off
	s_mov_b32 s6, exec_lo
	s_wait_loadcnt 0x0
	v_cmpx_lt_i16_e32 0x7f, v3
	s_xor_b32 s6, exec_lo, s6
	s_cbranch_execz .LBB6_1343
; %bb.1323:
	v_cmp_ne_u16_e32 vcc_lo, 0x80, v3
	s_and_b32 s7, vcc_lo, exec_lo
	s_and_not1_saveexec_b32 s6, s6
	s_cbranch_execnz .LBB6_1344
.LBB6_1324:
	s_or_b32 exec_lo, exec_lo, s6
	v_mov_b32_e32 v2, 0
	s_and_saveexec_b32 s6, s7
	s_cbranch_execz .LBB6_1326
.LBB6_1325:
	v_and_b32_e32 v2, 0xffff, v3
	s_delay_alu instid0(VALU_DEP_1) | instskip(SKIP_1) | instid1(VALU_DEP_2)
	v_dual_lshlrev_b32 v3, 24, v3 :: v_dual_bitop2_b32 v5, 3, v2 bitop3:0x40
	v_bfe_u32 v8, v2, 2, 5
	v_and_b32_e32 v3, 0x80000000, v3
	s_delay_alu instid0(VALU_DEP_3) | instskip(NEXT) | instid1(VALU_DEP_3)
	v_clz_i32_u32_e32 v6, v5
	v_cmp_eq_u32_e32 vcc_lo, 0, v8
	s_delay_alu instid0(VALU_DEP_2) | instskip(NEXT) | instid1(VALU_DEP_1)
	v_min_u32_e32 v6, 32, v6
	v_subrev_nc_u32_e32 v7, 29, v6
	v_sub_nc_u32_e32 v6, 30, v6
	s_delay_alu instid0(VALU_DEP_2) | instskip(NEXT) | instid1(VALU_DEP_2)
	v_lshlrev_b32_e32 v2, v7, v2
	v_cndmask_b32_e32 v6, v8, v6, vcc_lo
	s_delay_alu instid0(VALU_DEP_2) | instskip(NEXT) | instid1(VALU_DEP_1)
	v_and_b32_e32 v2, 3, v2
	v_cndmask_b32_e32 v2, v5, v2, vcc_lo
	s_delay_alu instid0(VALU_DEP_3) | instskip(NEXT) | instid1(VALU_DEP_2)
	v_lshl_add_u32 v5, v6, 23, 0x37800000
	v_lshlrev_b32_e32 v2, 21, v2
	s_delay_alu instid0(VALU_DEP_1) | instskip(NEXT) | instid1(VALU_DEP_1)
	v_or3_b32 v2, v3, v5, v2
	v_cvt_i32_f32_e32 v2, v2
.LBB6_1326:
	s_or_b32 exec_lo, exec_lo, s6
	s_mov_b32 s6, 0
	s_branch .LBB6_1332
.LBB6_1327:
	s_mov_b32 s6, -1
                                        ; implicit-def: $vgpr2
	s_branch .LBB6_1338
.LBB6_1328:
	s_and_not1_saveexec_b32 s6, s6
	s_cbranch_execz .LBB6_1313
.LBB6_1329:
	v_cmp_ne_u16_e32 vcc_lo, 0, v3
	s_and_not1_b32 s18, s18, exec_lo
	s_and_b32 s19, vcc_lo, exec_lo
	s_delay_alu instid0(SALU_CYCLE_1)
	s_or_b32 s18, s18, s19
	s_or_b32 exec_lo, exec_lo, s6
	v_mov_b32_e32 v2, 0
	s_and_saveexec_b32 s6, s18
	s_cbranch_execnz .LBB6_1314
	s_branch .LBB6_1315
.LBB6_1330:
	s_mov_b32 s6, -1
                                        ; implicit-def: $vgpr2
	s_branch .LBB6_1335
.LBB6_1331:
	s_mov_b32 s6, -1
                                        ; implicit-def: $vgpr2
.LBB6_1332:
	s_delay_alu instid0(SALU_CYCLE_1)
	s_and_b32 vcc_lo, exec_lo, s6
	s_cbranch_vccz .LBB6_1334
; %bb.1333:
	s_wait_loadcnt 0x0
	global_load_u8 v2, v[0:1], off
	s_wait_loadcnt 0x0
	v_lshlrev_b32_e32 v2, 24, v2
	s_delay_alu instid0(VALU_DEP_1) | instskip(NEXT) | instid1(VALU_DEP_1)
	v_and_b32_e32 v3, 0x7f000000, v2
	v_clz_i32_u32_e32 v5, v3
	v_add_nc_u32_e32 v7, 0x1000000, v3
	v_cmp_ne_u32_e32 vcc_lo, 0, v3
	s_delay_alu instid0(VALU_DEP_3) | instskip(NEXT) | instid1(VALU_DEP_1)
	v_min_u32_e32 v5, 32, v5
	v_sub_nc_u32_e64 v5, v5, 4 clamp
	s_delay_alu instid0(VALU_DEP_1) | instskip(NEXT) | instid1(VALU_DEP_1)
	v_dual_lshlrev_b32 v6, v5, v3 :: v_dual_lshlrev_b32 v5, 23, v5
	v_lshrrev_b32_e32 v6, 4, v6
	s_delay_alu instid0(VALU_DEP_1) | instskip(NEXT) | instid1(VALU_DEP_1)
	v_dual_sub_nc_u32 v5, v6, v5 :: v_dual_ashrrev_i32 v6, 8, v7
	v_add_nc_u32_e32 v5, 0x3c000000, v5
	s_delay_alu instid0(VALU_DEP_1) | instskip(NEXT) | instid1(VALU_DEP_1)
	v_and_or_b32 v5, 0x7f800000, v6, v5
	v_cndmask_b32_e32 v3, 0, v5, vcc_lo
	s_delay_alu instid0(VALU_DEP_1) | instskip(NEXT) | instid1(VALU_DEP_1)
	v_and_or_b32 v2, 0x80000000, v2, v3
	v_cvt_i32_f32_e32 v2, v2
.LBB6_1334:
	s_mov_b32 s6, 0
.LBB6_1335:
	s_delay_alu instid0(SALU_CYCLE_1)
	s_and_not1_b32 vcc_lo, exec_lo, s6
	s_cbranch_vccnz .LBB6_1337
; %bb.1336:
	s_wait_loadcnt 0x0
	global_load_u8 v2, v[0:1], off
	s_wait_loadcnt 0x0
	v_lshlrev_b32_e32 v3, 25, v2
	v_lshlrev_b16 v2, 8, v2
	s_delay_alu instid0(VALU_DEP_2) | instskip(NEXT) | instid1(VALU_DEP_2)
	v_cmp_gt_u32_e32 vcc_lo, 0x8000000, v3
	v_and_or_b32 v6, 0x7f00, v2, 0.5
	v_lshrrev_b32_e32 v5, 4, v3
	v_bfe_i32 v2, v2, 0, 16
	s_delay_alu instid0(VALU_DEP_3) | instskip(NEXT) | instid1(VALU_DEP_3)
	v_add_f32_e32 v6, -0.5, v6
	v_or_b32_e32 v5, 0x70000000, v5
	s_delay_alu instid0(VALU_DEP_1) | instskip(NEXT) | instid1(VALU_DEP_1)
	v_mul_f32_e32 v5, 0x7800000, v5
	v_cndmask_b32_e32 v3, v5, v6, vcc_lo
	s_delay_alu instid0(VALU_DEP_1) | instskip(NEXT) | instid1(VALU_DEP_1)
	v_and_or_b32 v2, 0x80000000, v2, v3
	v_cvt_i32_f32_e32 v2, v2
.LBB6_1337:
	s_mov_b32 s6, 0
	s_mov_b32 s18, -1
.LBB6_1338:
	s_and_not1_b32 vcc_lo, exec_lo, s6
	s_mov_b32 s7, 0
	s_cbranch_vccnz .LBB6_1349
; %bb.1339:
	s_cmp_gt_i32 s15, 14
	s_cbranch_scc0 .LBB6_1342
; %bb.1340:
	s_cmp_eq_u32 s15, 15
	s_cbranch_scc0 .LBB6_1345
; %bb.1341:
	s_wait_loadcnt 0x0
	global_load_u16 v2, v[0:1], off
	s_mov_b32 s0, 0
	s_mov_b32 s18, -1
	s_wait_loadcnt 0x0
	v_lshlrev_b32_e32 v2, 16, v2
	s_delay_alu instid0(VALU_DEP_1)
	v_cvt_i32_f32_e32 v2, v2
	s_branch .LBB6_1346
.LBB6_1342:
	s_mov_b32 s6, -1
                                        ; implicit-def: $vgpr2
	s_branch .LBB6_1347
.LBB6_1343:
	s_and_not1_saveexec_b32 s6, s6
	s_cbranch_execz .LBB6_1324
.LBB6_1344:
	v_cmp_ne_u16_e32 vcc_lo, 0, v3
	s_and_not1_b32 s7, s7, exec_lo
	s_and_b32 s18, vcc_lo, exec_lo
	s_delay_alu instid0(SALU_CYCLE_1)
	s_or_b32 s7, s7, s18
	s_or_b32 exec_lo, exec_lo, s6
	v_mov_b32_e32 v2, 0
	s_and_saveexec_b32 s6, s7
	s_cbranch_execnz .LBB6_1325
	s_branch .LBB6_1326
.LBB6_1345:
	s_mov_b32 s0, -1
                                        ; implicit-def: $vgpr2
.LBB6_1346:
	s_mov_b32 s6, 0
.LBB6_1347:
	s_delay_alu instid0(SALU_CYCLE_1)
	s_and_b32 vcc_lo, exec_lo, s6
	s_cbranch_vccz .LBB6_1349
; %bb.1348:
	s_cmp_lg_u32 s15, 11
	s_mov_b32 s7, -1
	s_cselect_b32 s0, -1, 0
.LBB6_1349:
	s_delay_alu instid0(SALU_CYCLE_1)
	s_and_b32 vcc_lo, exec_lo, s0
	s_mov_b32 s6, s16
	s_cbranch_vccnz .LBB6_1772
; %bb.1350:
	s_and_not1_b32 vcc_lo, exec_lo, s7
	s_cbranch_vccnz .LBB6_1352
.LBB6_1351:
	s_wait_loadcnt 0x0
	global_load_u8 v2, v[0:1], off
	s_mov_b32 s18, -1
	s_wait_loadcnt 0x0
	v_cmp_ne_u16_e32 vcc_lo, 0, v2
	v_cndmask_b32_e64 v2, 0, 1, vcc_lo
.LBB6_1352:
	s_mov_b32 s0, 0
.LBB6_1353:
	s_delay_alu instid0(SALU_CYCLE_1)
	s_and_b32 vcc_lo, exec_lo, s0
	s_cbranch_vccz .LBB6_1402
; %bb.1354:
	s_cmp_lt_i32 s15, 5
	s_cbranch_scc1 .LBB6_1359
; %bb.1355:
	s_cmp_lt_i32 s15, 8
	s_cbranch_scc1 .LBB6_1360
	;; [unrolled: 3-line block ×3, first 2 shown]
; %bb.1357:
	s_cmp_gt_i32 s15, 9
	s_cbranch_scc0 .LBB6_1362
; %bb.1358:
	s_wait_loadcnt 0x0
	global_load_b64 v[2:3], v[0:1], off
	s_mov_b32 s0, 0
	s_wait_loadcnt 0x0
	v_cvt_i32_f64_e32 v2, v[2:3]
	s_branch .LBB6_1363
.LBB6_1359:
	s_mov_b32 s0, -1
                                        ; implicit-def: $vgpr2
	s_branch .LBB6_1381
.LBB6_1360:
	s_mov_b32 s0, -1
                                        ; implicit-def: $vgpr2
	s_branch .LBB6_1369
.LBB6_1361:
	s_mov_b32 s0, -1
                                        ; implicit-def: $vgpr2
	s_branch .LBB6_1366
.LBB6_1362:
	s_mov_b32 s0, -1
                                        ; implicit-def: $vgpr2
.LBB6_1363:
	s_delay_alu instid0(SALU_CYCLE_1)
	s_and_not1_b32 vcc_lo, exec_lo, s0
	s_cbranch_vccnz .LBB6_1365
; %bb.1364:
	s_wait_loadcnt 0x0
	global_load_b32 v2, v[0:1], off
	s_wait_loadcnt 0x0
	v_cvt_i32_f32_e32 v2, v2
.LBB6_1365:
	s_mov_b32 s0, 0
.LBB6_1366:
	s_delay_alu instid0(SALU_CYCLE_1)
	s_and_not1_b32 vcc_lo, exec_lo, s0
	s_cbranch_vccnz .LBB6_1368
; %bb.1367:
	s_wait_loadcnt 0x0
	global_load_b32 v2, v[0:1], off
	s_wait_loadcnt 0x0
	v_cvt_f32_f16_e32 v2, v2
	s_delay_alu instid0(VALU_DEP_1)
	v_cvt_i32_f32_e32 v2, v2
.LBB6_1368:
	s_mov_b32 s0, 0
.LBB6_1369:
	s_delay_alu instid0(SALU_CYCLE_1)
	s_and_not1_b32 vcc_lo, exec_lo, s0
	s_cbranch_vccnz .LBB6_1380
; %bb.1370:
	s_cmp_lt_i32 s15, 6
	s_cbranch_scc1 .LBB6_1373
; %bb.1371:
	s_cmp_gt_i32 s15, 6
	s_cbranch_scc0 .LBB6_1374
; %bb.1372:
	s_wait_loadcnt 0x0
	global_load_b64 v[2:3], v[0:1], off
	s_mov_b32 s0, 0
	s_wait_loadcnt 0x0
	v_cvt_i32_f64_e32 v2, v[2:3]
	s_branch .LBB6_1375
.LBB6_1373:
	s_mov_b32 s0, -1
                                        ; implicit-def: $vgpr2
	s_branch .LBB6_1378
.LBB6_1374:
	s_mov_b32 s0, -1
                                        ; implicit-def: $vgpr2
.LBB6_1375:
	s_delay_alu instid0(SALU_CYCLE_1)
	s_and_not1_b32 vcc_lo, exec_lo, s0
	s_cbranch_vccnz .LBB6_1377
; %bb.1376:
	s_wait_loadcnt 0x0
	global_load_b32 v2, v[0:1], off
	s_wait_loadcnt 0x0
	v_cvt_i32_f32_e32 v2, v2
.LBB6_1377:
	s_mov_b32 s0, 0
.LBB6_1378:
	s_delay_alu instid0(SALU_CYCLE_1)
	s_and_not1_b32 vcc_lo, exec_lo, s0
	s_cbranch_vccnz .LBB6_1380
; %bb.1379:
	s_wait_loadcnt 0x0
	global_load_u16 v2, v[0:1], off
	s_wait_loadcnt 0x0
	v_cvt_f32_f16_e32 v2, v2
	s_delay_alu instid0(VALU_DEP_1)
	v_cvt_i32_f32_e32 v2, v2
.LBB6_1380:
	s_mov_b32 s0, 0
.LBB6_1381:
	s_delay_alu instid0(SALU_CYCLE_1)
	s_and_not1_b32 vcc_lo, exec_lo, s0
	s_cbranch_vccnz .LBB6_1401
; %bb.1382:
	s_cmp_lt_i32 s15, 2
	s_cbranch_scc1 .LBB6_1386
; %bb.1383:
	s_cmp_lt_i32 s15, 3
	s_cbranch_scc1 .LBB6_1387
; %bb.1384:
	s_cmp_gt_i32 s15, 3
	s_cbranch_scc0 .LBB6_1388
; %bb.1385:
	s_wait_loadcnt 0x0
	global_load_b32 v2, v[0:1], off
	s_mov_b32 s0, 0
	s_branch .LBB6_1389
.LBB6_1386:
	s_mov_b32 s0, -1
                                        ; implicit-def: $vgpr2
	s_branch .LBB6_1395
.LBB6_1387:
	s_mov_b32 s0, -1
                                        ; implicit-def: $vgpr2
	s_branch .LBB6_1392
.LBB6_1388:
	s_mov_b32 s0, -1
                                        ; implicit-def: $vgpr2
.LBB6_1389:
	s_delay_alu instid0(SALU_CYCLE_1)
	s_and_not1_b32 vcc_lo, exec_lo, s0
	s_cbranch_vccnz .LBB6_1391
; %bb.1390:
	s_wait_loadcnt 0x0
	global_load_b32 v2, v[0:1], off
.LBB6_1391:
	s_mov_b32 s0, 0
.LBB6_1392:
	s_delay_alu instid0(SALU_CYCLE_1)
	s_and_not1_b32 vcc_lo, exec_lo, s0
	s_cbranch_vccnz .LBB6_1394
; %bb.1393:
	s_wait_loadcnt 0x0
	global_load_i16 v2, v[0:1], off
.LBB6_1394:
	s_mov_b32 s0, 0
.LBB6_1395:
	s_delay_alu instid0(SALU_CYCLE_1)
	s_and_not1_b32 vcc_lo, exec_lo, s0
	s_cbranch_vccnz .LBB6_1401
; %bb.1396:
	s_cmp_gt_i32 s15, 0
	s_mov_b32 s0, 0
	s_cbranch_scc0 .LBB6_1398
; %bb.1397:
	s_wait_loadcnt 0x0
	global_load_i8 v2, v[0:1], off
	s_branch .LBB6_1399
.LBB6_1398:
	s_mov_b32 s0, -1
                                        ; implicit-def: $vgpr2
.LBB6_1399:
	s_delay_alu instid0(SALU_CYCLE_1)
	s_and_not1_b32 vcc_lo, exec_lo, s0
	s_cbranch_vccnz .LBB6_1401
; %bb.1400:
	s_wait_loadcnt 0x0
	global_load_u8 v2, v[0:1], off
.LBB6_1401:
	s_mov_b32 s18, -1
.LBB6_1402:
	s_delay_alu instid0(SALU_CYCLE_1)
	s_and_not1_b32 vcc_lo, exec_lo, s18
	s_cbranch_vccnz .LBB6_1453
; %bb.1403:
	s_wait_loadcnt 0x0
	s_delay_alu instid0(VALU_DEP_1) | instskip(SKIP_4) | instid1(SALU_CYCLE_1)
	v_cmp_gt_i32_e32 vcc_lo, s10, v2
	v_cmp_le_i32_e64 s0, s12, v2
	s_or_b32 s0, vcc_lo, s0
	s_wait_xcnt 0x0
	s_and_saveexec_b32 s7, s0
	s_xor_b32 s0, exec_lo, s7
	s_cbranch_execnz .LBB6_1780
.LBB6_1404:
	s_or_saveexec_b32 s7, s0
	s_mov_b32 s10, 0
	s_mov_b32 s12, 0
                                        ; implicit-def: $sgpr0
                                        ; implicit-def: $vgpr2_vgpr3
	s_xor_b32 exec_lo, exec_lo, s7
	s_cbranch_execz .LBB6_1721
; %bb.1405:
	v_mul_lo_u32 v0, s8, v4
	s_and_b32 s0, s14, 0xff
	s_delay_alu instid0(SALU_CYCLE_1) | instskip(NEXT) | instid1(VALU_DEP_1)
	s_cmp_lt_i32 s0, 11
	v_ashrrev_i32_e32 v1, 31, v0
	s_delay_alu instid0(VALU_DEP_1)
	v_add_nc_u64_e32 v[2:3], s[4:5], v[0:1]
	s_cbranch_scc1 .LBB6_1454
; %bb.1406:
	s_and_b32 s10, 0xffff, s0
	s_mov_b32 s18, -1
	s_mov_b32 s15, 0
	s_cmp_gt_i32 s10, 25
	s_mov_b32 s14, 0
	s_cbranch_scc0 .LBB6_1431
; %bb.1407:
	s_cmp_gt_i32 s10, 28
	s_cbranch_scc0 .LBB6_1420
; %bb.1408:
	s_cmp_gt_i32 s10, 43
	;; [unrolled: 3-line block ×3, first 2 shown]
	s_cbranch_scc0 .LBB6_1412
; %bb.1410:
	s_mov_b32 s12, -1
	s_mov_b32 s18, 0
	s_cmp_eq_u32 s10, 46
	s_cbranch_scc0 .LBB6_1412
; %bb.1411:
	v_mov_b32_e32 v1, 0
	s_mov_b32 s12, 0
	s_mov_b32 s14, -1
	global_store_b32 v[2:3], v1, off
.LBB6_1412:
	s_and_b32 vcc_lo, exec_lo, s18
	s_cbranch_vccz .LBB6_1415
; %bb.1413:
	s_cmp_eq_u32 s10, 44
	s_mov_b32 s12, -1
	s_cbranch_scc0 .LBB6_1415
; %bb.1414:
	s_wait_xcnt 0x0
	v_mov_b32_e32 v1, 0
	s_mov_b32 s12, 0
	s_mov_b32 s14, -1
	global_store_b8 v[2:3], v1, off
.LBB6_1415:
	s_mov_b32 s18, 0
.LBB6_1416:
	s_delay_alu instid0(SALU_CYCLE_1)
	s_and_b32 vcc_lo, exec_lo, s18
	s_cbranch_vccz .LBB6_1419
; %bb.1417:
	s_cmp_eq_u32 s10, 29
	s_mov_b32 s12, -1
	s_cbranch_scc0 .LBB6_1419
; %bb.1418:
	v_mov_b64_e32 v[4:5], 0
	s_mov_b32 s12, 0
	s_mov_b32 s14, -1
	global_store_b64 v[2:3], v[4:5], off
.LBB6_1419:
	s_mov_b32 s18, 0
.LBB6_1420:
	s_delay_alu instid0(SALU_CYCLE_1)
	s_and_b32 vcc_lo, exec_lo, s18
	s_cbranch_vccz .LBB6_1430
; %bb.1421:
	s_cmp_lt_i32 s10, 27
	s_mov_b32 s14, -1
	s_cbranch_scc1 .LBB6_1427
; %bb.1422:
	s_cmp_gt_i32 s10, 27
	s_cbranch_scc0 .LBB6_1424
; %bb.1423:
	s_wait_xcnt 0x0
	v_mov_b32_e32 v1, 0
	s_mov_b32 s14, 0
	global_store_b32 v[2:3], v1, off
.LBB6_1424:
	s_and_not1_b32 vcc_lo, exec_lo, s14
	s_cbranch_vccnz .LBB6_1426
; %bb.1425:
	s_wait_xcnt 0x0
	v_mov_b32_e32 v1, 0
	global_store_b16 v[2:3], v1, off
.LBB6_1426:
	s_mov_b32 s14, 0
.LBB6_1427:
	s_delay_alu instid0(SALU_CYCLE_1)
	s_and_not1_b32 vcc_lo, exec_lo, s14
	s_cbranch_vccnz .LBB6_1429
; %bb.1428:
	s_wait_xcnt 0x0
	v_mov_b32_e32 v1, 0
	global_store_b8 v[2:3], v1, off
.LBB6_1429:
	s_mov_b32 s14, -1
.LBB6_1430:
	s_mov_b32 s18, 0
.LBB6_1431:
	s_delay_alu instid0(SALU_CYCLE_1)
	s_and_b32 vcc_lo, exec_lo, s18
	s_cbranch_vccz .LBB6_1449
; %bb.1432:
	s_cmp_gt_i32 s10, 22
	s_mov_b32 s15, -1
	s_cbranch_scc0 .LBB6_1442
; %bb.1433:
	s_cmp_lt_i32 s10, 24
	s_mov_b32 s14, -1
	s_cbranch_scc1 .LBB6_1439
; %bb.1434:
	s_cmp_gt_i32 s10, 24
	s_cbranch_scc0 .LBB6_1436
; %bb.1435:
	s_wait_xcnt 0x0
	v_mov_b32_e32 v1, 0
	s_mov_b32 s14, 0
	global_store_b8 v[2:3], v1, off
.LBB6_1436:
	s_and_not1_b32 vcc_lo, exec_lo, s14
	s_cbranch_vccnz .LBB6_1438
; %bb.1437:
	s_wait_xcnt 0x0
	v_mov_b32_e32 v1, 0
	global_store_b8 v[2:3], v1, off
.LBB6_1438:
	s_mov_b32 s14, 0
.LBB6_1439:
	s_delay_alu instid0(SALU_CYCLE_1)
	s_and_not1_b32 vcc_lo, exec_lo, s14
	s_cbranch_vccnz .LBB6_1441
; %bb.1440:
	s_wait_xcnt 0x0
	v_mov_b32_e32 v1, 0
	global_store_b8 v[2:3], v1, off
.LBB6_1441:
	s_mov_b32 s15, 0
	s_mov_b32 s14, -1
.LBB6_1442:
	s_and_not1_b32 vcc_lo, exec_lo, s15
	s_mov_b32 s15, 0
	s_cbranch_vccnz .LBB6_1449
; %bb.1443:
	s_cmp_gt_i32 s10, 14
	s_mov_b32 s15, -1
	s_cbranch_scc0 .LBB6_1447
; %bb.1444:
	s_cmp_eq_u32 s10, 15
	s_mov_b32 s12, -1
	s_cbranch_scc0 .LBB6_1446
; %bb.1445:
	s_wait_xcnt 0x0
	v_mov_b32_e32 v1, 0
	s_mov_b32 s12, 0
	s_mov_b32 s14, -1
	global_store_b16 v[2:3], v1, off
.LBB6_1446:
	s_mov_b32 s15, 0
.LBB6_1447:
	s_delay_alu instid0(SALU_CYCLE_1)
	s_and_b32 vcc_lo, exec_lo, s15
	s_mov_b32 s15, 0
	s_cbranch_vccz .LBB6_1449
; %bb.1448:
	s_cmp_lg_u32 s10, 11
	s_mov_b32 s15, -1
	s_cselect_b32 s12, -1, 0
.LBB6_1449:
	s_delay_alu instid0(SALU_CYCLE_1)
	s_and_b32 vcc_lo, exec_lo, s12
	s_mov_b32 s10, s6
	s_cbranch_vccnz .LBB6_1774
; %bb.1450:
	s_and_not1_b32 vcc_lo, exec_lo, s15
	s_cbranch_vccnz .LBB6_1452
.LBB6_1451:
	s_wait_xcnt 0x0
	v_mov_b32_e32 v1, 0
	s_mov_b32 s14, -1
	global_store_b8 v[2:3], v1, off
.LBB6_1452:
	s_mov_b32 s12, 0
	s_branch .LBB6_1455
.LBB6_1453:
	s_mov_b32 s10, 0
	s_mov_b32 s12, 0
                                        ; implicit-def: $sgpr0
                                        ; implicit-def: $vgpr2_vgpr3
	s_branch .LBB6_1722
.LBB6_1454:
	s_mov_b32 s12, -1
	s_mov_b32 s14, 0
	s_mov_b32 s10, s6
.LBB6_1455:
	s_and_b32 vcc_lo, exec_lo, s12
	s_cbranch_vccz .LBB6_1494
; %bb.1456:
	s_and_b32 s12, 0xffff, s0
	s_mov_b32 s14, -1
	s_cmp_lt_i32 s12, 5
	s_cbranch_scc1 .LBB6_1477
; %bb.1457:
	s_cmp_lt_i32 s12, 8
	s_cbranch_scc1 .LBB6_1467
; %bb.1458:
	;; [unrolled: 3-line block ×3, first 2 shown]
	s_cmp_gt_i32 s12, 9
	s_cbranch_scc0 .LBB6_1461
; %bb.1460:
	s_wait_xcnt 0x0
	v_mov_b32_e32 v4, 0
	s_mov_b32 s14, 0
	s_delay_alu instid0(VALU_DEP_1)
	v_dual_mov_b32 v5, v4 :: v_dual_mov_b32 v6, v4
	v_mov_b32_e32 v7, v4
	global_store_b128 v[2:3], v[4:7], off
.LBB6_1461:
	s_and_not1_b32 vcc_lo, exec_lo, s14
	s_cbranch_vccnz .LBB6_1463
; %bb.1462:
	s_wait_xcnt 0x0
	v_mov_b64_e32 v[4:5], 0
	global_store_b64 v[2:3], v[4:5], off
.LBB6_1463:
	s_mov_b32 s14, 0
.LBB6_1464:
	s_delay_alu instid0(SALU_CYCLE_1)
	s_and_not1_b32 vcc_lo, exec_lo, s14
	s_cbranch_vccnz .LBB6_1466
; %bb.1465:
	s_wait_xcnt 0x0
	v_mov_b32_e32 v1, 0
	global_store_b32 v[2:3], v1, off
.LBB6_1466:
	s_mov_b32 s14, 0
.LBB6_1467:
	s_delay_alu instid0(SALU_CYCLE_1)
	s_and_not1_b32 vcc_lo, exec_lo, s14
	s_cbranch_vccnz .LBB6_1476
; %bb.1468:
	s_cmp_lt_i32 s12, 6
	s_mov_b32 s14, -1
	s_cbranch_scc1 .LBB6_1474
; %bb.1469:
	s_cmp_gt_i32 s12, 6
	s_cbranch_scc0 .LBB6_1471
; %bb.1470:
	s_wait_xcnt 0x0
	v_mov_b64_e32 v[4:5], 0
	s_mov_b32 s14, 0
	global_store_b64 v[2:3], v[4:5], off
.LBB6_1471:
	s_and_not1_b32 vcc_lo, exec_lo, s14
	s_cbranch_vccnz .LBB6_1473
; %bb.1472:
	s_wait_xcnt 0x0
	v_mov_b32_e32 v1, 0
	global_store_b32 v[2:3], v1, off
.LBB6_1473:
	s_mov_b32 s14, 0
.LBB6_1474:
	s_delay_alu instid0(SALU_CYCLE_1)
	s_and_not1_b32 vcc_lo, exec_lo, s14
	s_cbranch_vccnz .LBB6_1476
; %bb.1475:
	s_wait_xcnt 0x0
	v_mov_b32_e32 v1, 0
	global_store_b16 v[2:3], v1, off
.LBB6_1476:
	s_mov_b32 s14, 0
.LBB6_1477:
	s_delay_alu instid0(SALU_CYCLE_1)
	s_and_not1_b32 vcc_lo, exec_lo, s14
	s_cbranch_vccnz .LBB6_1493
; %bb.1478:
	s_cmp_lt_i32 s12, 2
	s_mov_b32 s14, -1
	s_cbranch_scc1 .LBB6_1488
; %bb.1479:
	s_cmp_lt_i32 s12, 3
	s_cbranch_scc1 .LBB6_1485
; %bb.1480:
	s_cmp_gt_i32 s12, 3
	s_cbranch_scc0 .LBB6_1482
; %bb.1481:
	s_wait_xcnt 0x0
	v_mov_b64_e32 v[4:5], 0
	s_mov_b32 s14, 0
	global_store_b64 v[2:3], v[4:5], off
.LBB6_1482:
	s_and_not1_b32 vcc_lo, exec_lo, s14
	s_cbranch_vccnz .LBB6_1484
; %bb.1483:
	s_wait_xcnt 0x0
	v_mov_b32_e32 v1, 0
	global_store_b32 v[2:3], v1, off
.LBB6_1484:
	s_mov_b32 s14, 0
.LBB6_1485:
	s_delay_alu instid0(SALU_CYCLE_1)
	s_and_not1_b32 vcc_lo, exec_lo, s14
	s_cbranch_vccnz .LBB6_1487
; %bb.1486:
	s_wait_xcnt 0x0
	v_mov_b32_e32 v1, 0
	global_store_b16 v[2:3], v1, off
.LBB6_1487:
	s_mov_b32 s14, 0
.LBB6_1488:
	s_delay_alu instid0(SALU_CYCLE_1)
	s_and_not1_b32 vcc_lo, exec_lo, s14
	s_cbranch_vccnz .LBB6_1493
; %bb.1489:
	s_cmp_gt_i32 s12, 0
	s_mov_b32 s12, -1
	s_cbranch_scc0 .LBB6_1491
; %bb.1490:
	s_wait_xcnt 0x0
	v_mov_b32_e32 v1, 0
	s_mov_b32 s12, 0
	global_store_b8 v[2:3], v1, off
.LBB6_1491:
	s_and_not1_b32 vcc_lo, exec_lo, s12
	s_cbranch_vccnz .LBB6_1493
; %bb.1492:
	s_wait_xcnt 0x0
	v_mov_b32_e32 v1, 0
	global_store_b8 v[2:3], v1, off
.LBB6_1493:
	s_mov_b32 s14, -1
.LBB6_1494:
	s_delay_alu instid0(SALU_CYCLE_1)
	s_and_not1_b32 vcc_lo, exec_lo, s14
	s_cbranch_vccnz .LBB6_1719
; %bb.1495:
	s_lshl_b32 s8, s8, 7
	s_cmp_lt_i32 s0, 11
	v_add_nc_u32_e32 v0, s8, v0
	s_wait_xcnt 0x0
	s_delay_alu instid0(VALU_DEP_1) | instskip(NEXT) | instid1(VALU_DEP_1)
	v_ashrrev_i32_e32 v1, 31, v0
	v_add_nc_u64_e32 v[2:3], s[4:5], v[0:1]
	s_cbranch_scc1 .LBB6_1543
; %bb.1496:
	s_and_b32 s12, 0xffff, s0
	s_mov_b32 s19, -1
	s_mov_b32 s18, 0
	s_cmp_gt_i32 s12, 25
	s_mov_b32 s15, 0
	s_mov_b32 s14, 0
	s_cbranch_scc0 .LBB6_1521
; %bb.1497:
	s_cmp_gt_i32 s12, 28
	s_cbranch_scc0 .LBB6_1510
; %bb.1498:
	s_cmp_gt_i32 s12, 43
	;; [unrolled: 3-line block ×3, first 2 shown]
	s_cbranch_scc0 .LBB6_1502
; %bb.1500:
	s_mov_b32 s14, -1
	s_mov_b32 s19, 0
	s_cmp_eq_u32 s12, 46
	s_cbranch_scc0 .LBB6_1502
; %bb.1501:
	v_mov_b32_e32 v1, 0
	s_mov_b32 s14, 0
	s_mov_b32 s15, -1
	global_store_b32 v[2:3], v1, off
.LBB6_1502:
	s_and_b32 vcc_lo, exec_lo, s19
	s_cbranch_vccz .LBB6_1505
; %bb.1503:
	s_cmp_eq_u32 s12, 44
	s_mov_b32 s14, -1
	s_cbranch_scc0 .LBB6_1505
; %bb.1504:
	s_wait_xcnt 0x0
	v_mov_b32_e32 v1, 0
	s_mov_b32 s14, 0
	s_mov_b32 s15, -1
	global_store_b8 v[2:3], v1, off
.LBB6_1505:
	s_mov_b32 s19, 0
.LBB6_1506:
	s_delay_alu instid0(SALU_CYCLE_1)
	s_and_b32 vcc_lo, exec_lo, s19
	s_cbranch_vccz .LBB6_1509
; %bb.1507:
	s_cmp_eq_u32 s12, 29
	s_mov_b32 s14, -1
	s_cbranch_scc0 .LBB6_1509
; %bb.1508:
	v_mov_b64_e32 v[4:5], 0
	s_mov_b32 s14, 0
	s_mov_b32 s15, -1
	global_store_b64 v[2:3], v[4:5], off
.LBB6_1509:
	s_mov_b32 s19, 0
.LBB6_1510:
	s_delay_alu instid0(SALU_CYCLE_1)
	s_and_b32 vcc_lo, exec_lo, s19
	s_cbranch_vccz .LBB6_1520
; %bb.1511:
	s_cmp_lt_i32 s12, 27
	s_mov_b32 s15, -1
	s_cbranch_scc1 .LBB6_1517
; %bb.1512:
	s_cmp_gt_i32 s12, 27
	s_cbranch_scc0 .LBB6_1514
; %bb.1513:
	s_wait_xcnt 0x0
	v_mov_b32_e32 v1, 0
	s_mov_b32 s15, 0
	global_store_b32 v[2:3], v1, off
.LBB6_1514:
	s_and_not1_b32 vcc_lo, exec_lo, s15
	s_cbranch_vccnz .LBB6_1516
; %bb.1515:
	s_wait_xcnt 0x0
	v_mov_b32_e32 v1, 0
	global_store_b16 v[2:3], v1, off
.LBB6_1516:
	s_mov_b32 s15, 0
.LBB6_1517:
	s_delay_alu instid0(SALU_CYCLE_1)
	s_and_not1_b32 vcc_lo, exec_lo, s15
	s_cbranch_vccnz .LBB6_1519
; %bb.1518:
	s_wait_xcnt 0x0
	v_mov_b32_e32 v1, 0
	global_store_b8 v[2:3], v1, off
.LBB6_1519:
	s_mov_b32 s15, -1
.LBB6_1520:
	s_mov_b32 s19, 0
.LBB6_1521:
	s_delay_alu instid0(SALU_CYCLE_1)
	s_and_b32 vcc_lo, exec_lo, s19
	s_cbranch_vccz .LBB6_1539
; %bb.1522:
	s_cmp_gt_i32 s12, 22
	s_mov_b32 s18, -1
	s_cbranch_scc0 .LBB6_1532
; %bb.1523:
	s_cmp_lt_i32 s12, 24
	s_mov_b32 s15, -1
	s_cbranch_scc1 .LBB6_1529
; %bb.1524:
	s_cmp_gt_i32 s12, 24
	s_cbranch_scc0 .LBB6_1526
; %bb.1525:
	s_wait_xcnt 0x0
	v_mov_b32_e32 v1, 0
	s_mov_b32 s15, 0
	global_store_b8 v[2:3], v1, off
.LBB6_1526:
	s_and_not1_b32 vcc_lo, exec_lo, s15
	s_cbranch_vccnz .LBB6_1528
; %bb.1527:
	s_wait_xcnt 0x0
	v_mov_b32_e32 v1, 0
	global_store_b8 v[2:3], v1, off
.LBB6_1528:
	s_mov_b32 s15, 0
.LBB6_1529:
	s_delay_alu instid0(SALU_CYCLE_1)
	s_and_not1_b32 vcc_lo, exec_lo, s15
	s_cbranch_vccnz .LBB6_1531
; %bb.1530:
	s_wait_xcnt 0x0
	v_mov_b32_e32 v1, 0
	global_store_b8 v[2:3], v1, off
.LBB6_1531:
	s_mov_b32 s18, 0
	s_mov_b32 s15, -1
.LBB6_1532:
	s_and_not1_b32 vcc_lo, exec_lo, s18
	s_mov_b32 s18, 0
	s_cbranch_vccnz .LBB6_1539
; %bb.1533:
	s_cmp_gt_i32 s12, 14
	s_mov_b32 s18, -1
	s_cbranch_scc0 .LBB6_1537
; %bb.1534:
	s_cmp_eq_u32 s12, 15
	s_mov_b32 s14, -1
	s_cbranch_scc0 .LBB6_1536
; %bb.1535:
	s_wait_xcnt 0x0
	v_mov_b32_e32 v1, 0
	s_mov_b32 s14, 0
	s_mov_b32 s15, -1
	global_store_b16 v[2:3], v1, off
.LBB6_1536:
	s_mov_b32 s18, 0
.LBB6_1537:
	s_delay_alu instid0(SALU_CYCLE_1)
	s_and_b32 vcc_lo, exec_lo, s18
	s_mov_b32 s18, 0
	s_cbranch_vccz .LBB6_1539
; %bb.1538:
	s_cmp_lg_u32 s12, 11
	s_mov_b32 s18, -1
	s_cselect_b32 s14, -1, 0
.LBB6_1539:
	s_delay_alu instid0(SALU_CYCLE_1)
	s_and_b32 vcc_lo, exec_lo, s14
	s_cbranch_vccnz .LBB6_1776
; %bb.1540:
	s_and_not1_b32 vcc_lo, exec_lo, s18
	s_cbranch_vccnz .LBB6_1542
.LBB6_1541:
	s_wait_xcnt 0x0
	v_mov_b32_e32 v1, 0
	s_mov_b32 s15, -1
	global_store_b8 v[2:3], v1, off
.LBB6_1542:
	s_mov_b32 s12, 0
	s_branch .LBB6_1544
.LBB6_1543:
	s_mov_b32 s12, -1
	s_mov_b32 s15, 0
.LBB6_1544:
	s_and_b32 vcc_lo, exec_lo, s12
	s_cbranch_vccz .LBB6_1583
; %bb.1545:
	s_and_b32 s12, 0xffff, s0
	s_mov_b32 s14, -1
	s_cmp_lt_i32 s12, 5
	s_cbranch_scc1 .LBB6_1566
; %bb.1546:
	s_cmp_lt_i32 s12, 8
	s_cbranch_scc1 .LBB6_1556
; %bb.1547:
	;; [unrolled: 3-line block ×3, first 2 shown]
	s_cmp_gt_i32 s12, 9
	s_cbranch_scc0 .LBB6_1550
; %bb.1549:
	s_wait_xcnt 0x0
	v_mov_b32_e32 v4, 0
	s_mov_b32 s14, 0
	s_delay_alu instid0(VALU_DEP_1)
	v_dual_mov_b32 v5, v4 :: v_dual_mov_b32 v6, v4
	v_mov_b32_e32 v7, v4
	global_store_b128 v[2:3], v[4:7], off
.LBB6_1550:
	s_and_not1_b32 vcc_lo, exec_lo, s14
	s_cbranch_vccnz .LBB6_1552
; %bb.1551:
	s_wait_xcnt 0x0
	v_mov_b64_e32 v[4:5], 0
	global_store_b64 v[2:3], v[4:5], off
.LBB6_1552:
	s_mov_b32 s14, 0
.LBB6_1553:
	s_delay_alu instid0(SALU_CYCLE_1)
	s_and_not1_b32 vcc_lo, exec_lo, s14
	s_cbranch_vccnz .LBB6_1555
; %bb.1554:
	s_wait_xcnt 0x0
	v_mov_b32_e32 v1, 0
	global_store_b32 v[2:3], v1, off
.LBB6_1555:
	s_mov_b32 s14, 0
.LBB6_1556:
	s_delay_alu instid0(SALU_CYCLE_1)
	s_and_not1_b32 vcc_lo, exec_lo, s14
	s_cbranch_vccnz .LBB6_1565
; %bb.1557:
	s_cmp_lt_i32 s12, 6
	s_mov_b32 s14, -1
	s_cbranch_scc1 .LBB6_1563
; %bb.1558:
	s_cmp_gt_i32 s12, 6
	s_cbranch_scc0 .LBB6_1560
; %bb.1559:
	s_wait_xcnt 0x0
	v_mov_b64_e32 v[4:5], 0
	s_mov_b32 s14, 0
	global_store_b64 v[2:3], v[4:5], off
.LBB6_1560:
	s_and_not1_b32 vcc_lo, exec_lo, s14
	s_cbranch_vccnz .LBB6_1562
; %bb.1561:
	s_wait_xcnt 0x0
	v_mov_b32_e32 v1, 0
	global_store_b32 v[2:3], v1, off
.LBB6_1562:
	s_mov_b32 s14, 0
.LBB6_1563:
	s_delay_alu instid0(SALU_CYCLE_1)
	s_and_not1_b32 vcc_lo, exec_lo, s14
	s_cbranch_vccnz .LBB6_1565
; %bb.1564:
	s_wait_xcnt 0x0
	v_mov_b32_e32 v1, 0
	global_store_b16 v[2:3], v1, off
.LBB6_1565:
	s_mov_b32 s14, 0
.LBB6_1566:
	s_delay_alu instid0(SALU_CYCLE_1)
	s_and_not1_b32 vcc_lo, exec_lo, s14
	s_cbranch_vccnz .LBB6_1582
; %bb.1567:
	s_cmp_lt_i32 s12, 2
	s_mov_b32 s14, -1
	s_cbranch_scc1 .LBB6_1577
; %bb.1568:
	s_cmp_lt_i32 s12, 3
	s_cbranch_scc1 .LBB6_1574
; %bb.1569:
	s_cmp_gt_i32 s12, 3
	s_cbranch_scc0 .LBB6_1571
; %bb.1570:
	s_wait_xcnt 0x0
	v_mov_b64_e32 v[4:5], 0
	s_mov_b32 s14, 0
	global_store_b64 v[2:3], v[4:5], off
.LBB6_1571:
	s_and_not1_b32 vcc_lo, exec_lo, s14
	s_cbranch_vccnz .LBB6_1573
; %bb.1572:
	s_wait_xcnt 0x0
	v_mov_b32_e32 v1, 0
	global_store_b32 v[2:3], v1, off
.LBB6_1573:
	s_mov_b32 s14, 0
.LBB6_1574:
	s_delay_alu instid0(SALU_CYCLE_1)
	s_and_not1_b32 vcc_lo, exec_lo, s14
	s_cbranch_vccnz .LBB6_1576
; %bb.1575:
	s_wait_xcnt 0x0
	v_mov_b32_e32 v1, 0
	global_store_b16 v[2:3], v1, off
.LBB6_1576:
	s_mov_b32 s14, 0
.LBB6_1577:
	s_delay_alu instid0(SALU_CYCLE_1)
	s_and_not1_b32 vcc_lo, exec_lo, s14
	s_cbranch_vccnz .LBB6_1582
; %bb.1578:
	s_cmp_gt_i32 s12, 0
	s_mov_b32 s12, -1
	s_cbranch_scc0 .LBB6_1580
; %bb.1579:
	s_wait_xcnt 0x0
	v_mov_b32_e32 v1, 0
	s_mov_b32 s12, 0
	global_store_b8 v[2:3], v1, off
.LBB6_1580:
	s_and_not1_b32 vcc_lo, exec_lo, s12
	s_cbranch_vccnz .LBB6_1582
; %bb.1581:
	s_wait_xcnt 0x0
	v_mov_b32_e32 v1, 0
	global_store_b8 v[2:3], v1, off
.LBB6_1582:
	s_mov_b32 s15, -1
.LBB6_1583:
	s_delay_alu instid0(SALU_CYCLE_1)
	s_and_not1_b32 vcc_lo, exec_lo, s15
	s_cbranch_vccnz .LBB6_1719
; %bb.1584:
	v_add_nc_u32_e32 v0, s8, v0
	s_cmp_lt_i32 s0, 11
	s_wait_xcnt 0x0
	s_delay_alu instid0(VALU_DEP_1) | instskip(NEXT) | instid1(VALU_DEP_1)
	v_ashrrev_i32_e32 v1, 31, v0
	v_add_nc_u64_e32 v[2:3], s[4:5], v[0:1]
	s_cbranch_scc1 .LBB6_1632
; %bb.1585:
	s_and_b32 s12, 0xffff, s0
	s_mov_b32 s19, -1
	s_mov_b32 s18, 0
	s_cmp_gt_i32 s12, 25
	s_mov_b32 s15, 0
	s_mov_b32 s14, 0
	s_cbranch_scc0 .LBB6_1610
; %bb.1586:
	s_cmp_gt_i32 s12, 28
	s_cbranch_scc0 .LBB6_1599
; %bb.1587:
	s_cmp_gt_i32 s12, 43
	;; [unrolled: 3-line block ×3, first 2 shown]
	s_cbranch_scc0 .LBB6_1591
; %bb.1589:
	s_mov_b32 s14, -1
	s_mov_b32 s19, 0
	s_cmp_eq_u32 s12, 46
	s_cbranch_scc0 .LBB6_1591
; %bb.1590:
	v_mov_b32_e32 v1, 0
	s_mov_b32 s14, 0
	s_mov_b32 s15, -1
	global_store_b32 v[2:3], v1, off
.LBB6_1591:
	s_and_b32 vcc_lo, exec_lo, s19
	s_cbranch_vccz .LBB6_1594
; %bb.1592:
	s_cmp_eq_u32 s12, 44
	s_mov_b32 s14, -1
	s_cbranch_scc0 .LBB6_1594
; %bb.1593:
	s_wait_xcnt 0x0
	v_mov_b32_e32 v1, 0
	s_mov_b32 s14, 0
	s_mov_b32 s15, -1
	global_store_b8 v[2:3], v1, off
.LBB6_1594:
	s_mov_b32 s19, 0
.LBB6_1595:
	s_delay_alu instid0(SALU_CYCLE_1)
	s_and_b32 vcc_lo, exec_lo, s19
	s_cbranch_vccz .LBB6_1598
; %bb.1596:
	s_cmp_eq_u32 s12, 29
	s_mov_b32 s14, -1
	s_cbranch_scc0 .LBB6_1598
; %bb.1597:
	v_mov_b64_e32 v[4:5], 0
	s_mov_b32 s14, 0
	s_mov_b32 s15, -1
	global_store_b64 v[2:3], v[4:5], off
.LBB6_1598:
	s_mov_b32 s19, 0
.LBB6_1599:
	s_delay_alu instid0(SALU_CYCLE_1)
	s_and_b32 vcc_lo, exec_lo, s19
	s_cbranch_vccz .LBB6_1609
; %bb.1600:
	s_cmp_lt_i32 s12, 27
	s_mov_b32 s15, -1
	s_cbranch_scc1 .LBB6_1606
; %bb.1601:
	s_cmp_gt_i32 s12, 27
	s_cbranch_scc0 .LBB6_1603
; %bb.1602:
	s_wait_xcnt 0x0
	v_mov_b32_e32 v1, 0
	s_mov_b32 s15, 0
	global_store_b32 v[2:3], v1, off
.LBB6_1603:
	s_and_not1_b32 vcc_lo, exec_lo, s15
	s_cbranch_vccnz .LBB6_1605
; %bb.1604:
	s_wait_xcnt 0x0
	v_mov_b32_e32 v1, 0
	global_store_b16 v[2:3], v1, off
.LBB6_1605:
	s_mov_b32 s15, 0
.LBB6_1606:
	s_delay_alu instid0(SALU_CYCLE_1)
	s_and_not1_b32 vcc_lo, exec_lo, s15
	s_cbranch_vccnz .LBB6_1608
; %bb.1607:
	s_wait_xcnt 0x0
	v_mov_b32_e32 v1, 0
	global_store_b8 v[2:3], v1, off
.LBB6_1608:
	s_mov_b32 s15, -1
.LBB6_1609:
	s_mov_b32 s19, 0
.LBB6_1610:
	s_delay_alu instid0(SALU_CYCLE_1)
	s_and_b32 vcc_lo, exec_lo, s19
	s_cbranch_vccz .LBB6_1628
; %bb.1611:
	s_cmp_gt_i32 s12, 22
	s_mov_b32 s18, -1
	s_cbranch_scc0 .LBB6_1621
; %bb.1612:
	s_cmp_lt_i32 s12, 24
	s_mov_b32 s15, -1
	s_cbranch_scc1 .LBB6_1618
; %bb.1613:
	s_cmp_gt_i32 s12, 24
	s_cbranch_scc0 .LBB6_1615
; %bb.1614:
	s_wait_xcnt 0x0
	v_mov_b32_e32 v1, 0
	s_mov_b32 s15, 0
	global_store_b8 v[2:3], v1, off
.LBB6_1615:
	s_and_not1_b32 vcc_lo, exec_lo, s15
	s_cbranch_vccnz .LBB6_1617
; %bb.1616:
	s_wait_xcnt 0x0
	v_mov_b32_e32 v1, 0
	global_store_b8 v[2:3], v1, off
.LBB6_1617:
	s_mov_b32 s15, 0
.LBB6_1618:
	s_delay_alu instid0(SALU_CYCLE_1)
	s_and_not1_b32 vcc_lo, exec_lo, s15
	s_cbranch_vccnz .LBB6_1620
; %bb.1619:
	s_wait_xcnt 0x0
	v_mov_b32_e32 v1, 0
	global_store_b8 v[2:3], v1, off
.LBB6_1620:
	s_mov_b32 s18, 0
	s_mov_b32 s15, -1
.LBB6_1621:
	s_and_not1_b32 vcc_lo, exec_lo, s18
	s_mov_b32 s18, 0
	s_cbranch_vccnz .LBB6_1628
; %bb.1622:
	s_cmp_gt_i32 s12, 14
	s_mov_b32 s18, -1
	s_cbranch_scc0 .LBB6_1626
; %bb.1623:
	s_cmp_eq_u32 s12, 15
	s_mov_b32 s14, -1
	s_cbranch_scc0 .LBB6_1625
; %bb.1624:
	s_wait_xcnt 0x0
	v_mov_b32_e32 v1, 0
	s_mov_b32 s14, 0
	s_mov_b32 s15, -1
	global_store_b16 v[2:3], v1, off
.LBB6_1625:
	s_mov_b32 s18, 0
.LBB6_1626:
	s_delay_alu instid0(SALU_CYCLE_1)
	s_and_b32 vcc_lo, exec_lo, s18
	s_mov_b32 s18, 0
	s_cbranch_vccz .LBB6_1628
; %bb.1627:
	s_cmp_lg_u32 s12, 11
	s_mov_b32 s18, -1
	s_cselect_b32 s14, -1, 0
.LBB6_1628:
	s_delay_alu instid0(SALU_CYCLE_1)
	s_and_b32 vcc_lo, exec_lo, s14
	s_cbranch_vccnz .LBB6_1777
; %bb.1629:
	s_and_not1_b32 vcc_lo, exec_lo, s18
	s_cbranch_vccnz .LBB6_1631
.LBB6_1630:
	s_wait_xcnt 0x0
	v_mov_b32_e32 v1, 0
	s_mov_b32 s15, -1
	global_store_b8 v[2:3], v1, off
.LBB6_1631:
	s_mov_b32 s12, 0
	s_branch .LBB6_1633
.LBB6_1632:
	s_mov_b32 s12, -1
	s_mov_b32 s15, 0
.LBB6_1633:
	s_and_b32 vcc_lo, exec_lo, s12
	s_cbranch_vccz .LBB6_1672
; %bb.1634:
	s_and_b32 s12, 0xffff, s0
	s_mov_b32 s14, -1
	s_cmp_lt_i32 s12, 5
	s_cbranch_scc1 .LBB6_1655
; %bb.1635:
	s_cmp_lt_i32 s12, 8
	s_cbranch_scc1 .LBB6_1645
; %bb.1636:
	;; [unrolled: 3-line block ×3, first 2 shown]
	s_cmp_gt_i32 s12, 9
	s_cbranch_scc0 .LBB6_1639
; %bb.1638:
	s_wait_xcnt 0x0
	v_mov_b32_e32 v4, 0
	s_mov_b32 s14, 0
	s_delay_alu instid0(VALU_DEP_1)
	v_dual_mov_b32 v5, v4 :: v_dual_mov_b32 v6, v4
	v_mov_b32_e32 v7, v4
	global_store_b128 v[2:3], v[4:7], off
.LBB6_1639:
	s_and_not1_b32 vcc_lo, exec_lo, s14
	s_cbranch_vccnz .LBB6_1641
; %bb.1640:
	s_wait_xcnt 0x0
	v_mov_b64_e32 v[4:5], 0
	global_store_b64 v[2:3], v[4:5], off
.LBB6_1641:
	s_mov_b32 s14, 0
.LBB6_1642:
	s_delay_alu instid0(SALU_CYCLE_1)
	s_and_not1_b32 vcc_lo, exec_lo, s14
	s_cbranch_vccnz .LBB6_1644
; %bb.1643:
	s_wait_xcnt 0x0
	v_mov_b32_e32 v1, 0
	global_store_b32 v[2:3], v1, off
.LBB6_1644:
	s_mov_b32 s14, 0
.LBB6_1645:
	s_delay_alu instid0(SALU_CYCLE_1)
	s_and_not1_b32 vcc_lo, exec_lo, s14
	s_cbranch_vccnz .LBB6_1654
; %bb.1646:
	s_cmp_lt_i32 s12, 6
	s_mov_b32 s14, -1
	s_cbranch_scc1 .LBB6_1652
; %bb.1647:
	s_cmp_gt_i32 s12, 6
	s_cbranch_scc0 .LBB6_1649
; %bb.1648:
	s_wait_xcnt 0x0
	v_mov_b64_e32 v[4:5], 0
	s_mov_b32 s14, 0
	global_store_b64 v[2:3], v[4:5], off
.LBB6_1649:
	s_and_not1_b32 vcc_lo, exec_lo, s14
	s_cbranch_vccnz .LBB6_1651
; %bb.1650:
	s_wait_xcnt 0x0
	v_mov_b32_e32 v1, 0
	global_store_b32 v[2:3], v1, off
.LBB6_1651:
	s_mov_b32 s14, 0
.LBB6_1652:
	s_delay_alu instid0(SALU_CYCLE_1)
	s_and_not1_b32 vcc_lo, exec_lo, s14
	s_cbranch_vccnz .LBB6_1654
; %bb.1653:
	s_wait_xcnt 0x0
	v_mov_b32_e32 v1, 0
	global_store_b16 v[2:3], v1, off
.LBB6_1654:
	s_mov_b32 s14, 0
.LBB6_1655:
	s_delay_alu instid0(SALU_CYCLE_1)
	s_and_not1_b32 vcc_lo, exec_lo, s14
	s_cbranch_vccnz .LBB6_1671
; %bb.1656:
	s_cmp_lt_i32 s12, 2
	s_mov_b32 s14, -1
	s_cbranch_scc1 .LBB6_1666
; %bb.1657:
	s_cmp_lt_i32 s12, 3
	s_cbranch_scc1 .LBB6_1663
; %bb.1658:
	s_cmp_gt_i32 s12, 3
	s_cbranch_scc0 .LBB6_1660
; %bb.1659:
	s_wait_xcnt 0x0
	v_mov_b64_e32 v[4:5], 0
	s_mov_b32 s14, 0
	global_store_b64 v[2:3], v[4:5], off
.LBB6_1660:
	s_and_not1_b32 vcc_lo, exec_lo, s14
	s_cbranch_vccnz .LBB6_1662
; %bb.1661:
	s_wait_xcnt 0x0
	v_mov_b32_e32 v1, 0
	global_store_b32 v[2:3], v1, off
.LBB6_1662:
	s_mov_b32 s14, 0
.LBB6_1663:
	s_delay_alu instid0(SALU_CYCLE_1)
	s_and_not1_b32 vcc_lo, exec_lo, s14
	s_cbranch_vccnz .LBB6_1665
; %bb.1664:
	s_wait_xcnt 0x0
	v_mov_b32_e32 v1, 0
	global_store_b16 v[2:3], v1, off
.LBB6_1665:
	s_mov_b32 s14, 0
.LBB6_1666:
	s_delay_alu instid0(SALU_CYCLE_1)
	s_and_not1_b32 vcc_lo, exec_lo, s14
	s_cbranch_vccnz .LBB6_1671
; %bb.1667:
	s_cmp_gt_i32 s12, 0
	s_mov_b32 s12, -1
	s_cbranch_scc0 .LBB6_1669
; %bb.1668:
	s_wait_xcnt 0x0
	v_mov_b32_e32 v1, 0
	s_mov_b32 s12, 0
	global_store_b8 v[2:3], v1, off
.LBB6_1669:
	s_and_not1_b32 vcc_lo, exec_lo, s12
	s_cbranch_vccnz .LBB6_1671
; %bb.1670:
	s_wait_xcnt 0x0
	v_mov_b32_e32 v1, 0
	global_store_b8 v[2:3], v1, off
.LBB6_1671:
	s_mov_b32 s15, -1
.LBB6_1672:
	s_delay_alu instid0(SALU_CYCLE_1)
	s_and_not1_b32 vcc_lo, exec_lo, s15
	s_cbranch_vccnz .LBB6_1719
; %bb.1673:
	v_add_nc_u32_e32 v0, s8, v0
	s_cmp_lt_i32 s0, 11
	s_wait_xcnt 0x0
	s_delay_alu instid0(VALU_DEP_1) | instskip(NEXT) | instid1(VALU_DEP_1)
	v_ashrrev_i32_e32 v1, 31, v0
	v_add_nc_u64_e32 v[2:3], s[4:5], v[0:1]
	s_cbranch_scc1 .LBB6_1773
; %bb.1674:
	s_and_b32 s5, 0xffff, s0
	s_mov_b32 s12, -1
	s_mov_b32 s4, 0
	s_cmp_gt_i32 s5, 25
	s_mov_b32 s8, 0
	s_cbranch_scc0 .LBB6_1699
; %bb.1675:
	s_cmp_gt_i32 s5, 28
	s_cbranch_scc0 .LBB6_1689
; %bb.1676:
	s_cmp_gt_i32 s5, 43
	;; [unrolled: 3-line block ×3, first 2 shown]
	s_cbranch_scc0 .LBB6_1681
; %bb.1678:
	s_cmp_eq_u32 s5, 46
	s_mov_b32 s8, -1
	s_cbranch_scc0 .LBB6_1680
; %bb.1679:
	v_mov_b32_e32 v0, 0
	s_mov_b32 s8, 0
	global_store_b32 v[2:3], v0, off
.LBB6_1680:
	s_mov_b32 s12, 0
.LBB6_1681:
	s_delay_alu instid0(SALU_CYCLE_1)
	s_and_b32 vcc_lo, exec_lo, s12
	s_cbranch_vccz .LBB6_1684
; %bb.1682:
	s_cmp_eq_u32 s5, 44
	s_mov_b32 s8, -1
	s_cbranch_scc0 .LBB6_1684
; %bb.1683:
	s_wait_xcnt 0x0
	v_mov_b32_e32 v0, 0
	s_mov_b32 s8, 0
	global_store_b8 v[2:3], v0, off
.LBB6_1684:
	s_mov_b32 s12, 0
.LBB6_1685:
	s_delay_alu instid0(SALU_CYCLE_1)
	s_and_b32 vcc_lo, exec_lo, s12
	s_cbranch_vccz .LBB6_1688
; %bb.1686:
	s_cmp_eq_u32 s5, 29
	s_mov_b32 s8, -1
	s_cbranch_scc0 .LBB6_1688
; %bb.1687:
	s_wait_xcnt 0x0
	v_mov_b64_e32 v[0:1], 0
	s_mov_b32 s8, 0
	global_store_b64 v[2:3], v[0:1], off
.LBB6_1688:
	s_mov_b32 s12, 0
.LBB6_1689:
	s_delay_alu instid0(SALU_CYCLE_1)
	s_and_b32 vcc_lo, exec_lo, s12
	s_cbranch_vccz .LBB6_1698
; %bb.1690:
	s_cmp_lt_i32 s5, 27
	s_mov_b32 s12, -1
	s_cbranch_scc1 .LBB6_1696
; %bb.1691:
	s_cmp_gt_i32 s5, 27
	s_cbranch_scc0 .LBB6_1693
; %bb.1692:
	s_wait_xcnt 0x0
	v_mov_b32_e32 v0, 0
	s_mov_b32 s12, 0
	global_store_b32 v[2:3], v0, off
.LBB6_1693:
	s_and_not1_b32 vcc_lo, exec_lo, s12
	s_cbranch_vccnz .LBB6_1695
; %bb.1694:
	s_wait_xcnt 0x0
	v_mov_b32_e32 v0, 0
	global_store_b16 v[2:3], v0, off
.LBB6_1695:
	s_mov_b32 s12, 0
.LBB6_1696:
	s_delay_alu instid0(SALU_CYCLE_1)
	s_and_not1_b32 vcc_lo, exec_lo, s12
	s_cbranch_vccnz .LBB6_1698
; %bb.1697:
	s_wait_xcnt 0x0
	v_mov_b32_e32 v0, 0
	global_store_b8 v[2:3], v0, off
.LBB6_1698:
	s_mov_b32 s12, 0
.LBB6_1699:
	s_delay_alu instid0(SALU_CYCLE_1)
	s_and_b32 vcc_lo, exec_lo, s12
	s_cbranch_vccz .LBB6_1717
; %bb.1700:
	s_cmp_gt_i32 s5, 22
	s_mov_b32 s4, -1
	s_cbranch_scc0 .LBB6_1710
; %bb.1701:
	s_cmp_lt_i32 s5, 24
	s_cbranch_scc1 .LBB6_1707
; %bb.1702:
	s_cmp_gt_i32 s5, 24
	s_cbranch_scc0 .LBB6_1704
; %bb.1703:
	s_wait_xcnt 0x0
	v_mov_b32_e32 v0, 0
	s_mov_b32 s4, 0
	global_store_b8 v[2:3], v0, off
.LBB6_1704:
	s_and_not1_b32 vcc_lo, exec_lo, s4
	s_cbranch_vccnz .LBB6_1706
; %bb.1705:
	s_wait_xcnt 0x0
	v_mov_b32_e32 v0, 0
	global_store_b8 v[2:3], v0, off
.LBB6_1706:
	s_mov_b32 s4, 0
.LBB6_1707:
	s_delay_alu instid0(SALU_CYCLE_1)
	s_and_not1_b32 vcc_lo, exec_lo, s4
	s_cbranch_vccnz .LBB6_1709
; %bb.1708:
	s_wait_xcnt 0x0
	v_mov_b32_e32 v0, 0
	global_store_b8 v[2:3], v0, off
.LBB6_1709:
	s_mov_b32 s4, 0
.LBB6_1710:
	s_delay_alu instid0(SALU_CYCLE_1)
	s_and_not1_b32 vcc_lo, exec_lo, s4
	s_mov_b32 s4, 0
	s_cbranch_vccnz .LBB6_1717
; %bb.1711:
	s_cmp_gt_i32 s5, 14
	s_mov_b32 s4, -1
	s_cbranch_scc0 .LBB6_1715
; %bb.1712:
	s_cmp_eq_u32 s5, 15
	s_mov_b32 s8, -1
	s_cbranch_scc0 .LBB6_1714
; %bb.1713:
	s_wait_xcnt 0x0
	v_mov_b32_e32 v0, 0
	s_mov_b32 s8, 0
	global_store_b16 v[2:3], v0, off
.LBB6_1714:
	s_mov_b32 s4, 0
.LBB6_1715:
	s_delay_alu instid0(SALU_CYCLE_1)
	s_and_b32 vcc_lo, exec_lo, s4
	s_mov_b32 s4, 0
	s_cbranch_vccz .LBB6_1717
; %bb.1716:
	s_cmp_lg_u32 s5, 11
	s_mov_b32 s4, -1
	s_cselect_b32 s8, -1, 0
.LBB6_1717:
	s_delay_alu instid0(SALU_CYCLE_1)
	s_and_b32 vcc_lo, exec_lo, s8
	s_cbranch_vccnz .LBB6_1779
.LBB6_1718:
	s_mov_b32 s5, 0
	s_branch .LBB6_1720
.LBB6_1719:
	s_mov_b32 s5, 0
	s_mov_b32 s4, 0
                                        ; implicit-def: $sgpr0
                                        ; implicit-def: $vgpr2_vgpr3
.LBB6_1720:
	s_and_b32 s12, s5, exec_lo
	s_and_not1_b32 s5, s6, exec_lo
	s_and_b32 s6, s10, exec_lo
	s_and_b32 s10, s4, exec_lo
	s_or_b32 s6, s5, s6
.LBB6_1721:
	s_wait_xcnt 0x0
	s_or_b32 exec_lo, exec_lo, s7
.LBB6_1722:
	s_delay_alu instid0(SALU_CYCLE_1)
	s_and_not1_b32 s4, s16, exec_lo
	s_and_b32 s5, s6, exec_lo
	s_and_b32 s20, s12, exec_lo
	;; [unrolled: 1-line block ×3, first 2 shown]
	s_or_b32 s16, s4, s5
.LBB6_1723:
	s_wait_xcnt 0x0
	s_or_b32 exec_lo, exec_lo, s17
.LBB6_1724:
	s_delay_alu instid0(SALU_CYCLE_1)
	s_and_not1_b32 s4, s9, exec_lo
	s_and_b32 s5, s16, exec_lo
	s_and_b32 s17, s20, exec_lo
	;; [unrolled: 1-line block ×3, first 2 shown]
	s_or_b32 s9, s4, s5
.LBB6_1725:
	s_wait_xcnt 0x0
	s_or_b32 exec_lo, exec_lo, s13
.LBB6_1726:
	s_delay_alu instid0(SALU_CYCLE_1)
	s_and_not1_b32 s1, s1, exec_lo
	s_and_b32 s4, s9, exec_lo
	s_and_b32 s17, s17, exec_lo
	;; [unrolled: 1-line block ×3, first 2 shown]
	s_or_b32 s1, s1, s4
.LBB6_1727:
	s_wait_xcnt 0x0
	s_or_b32 exec_lo, exec_lo, s2
.LBB6_1728:
	s_delay_alu instid0(SALU_CYCLE_1)
	s_and_not1_b32 s2, s11, exec_lo
	s_and_b32 s4, s1, exec_lo
	s_and_b32 s15, s17, exec_lo
	;; [unrolled: 1-line block ×3, first 2 shown]
	s_or_b32 s11, s2, s4
.LBB6_1729:
	s_wait_xcnt 0x0
	s_or_b32 exec_lo, exec_lo, s3
	s_and_saveexec_b32 s2, s11
	s_cbranch_execz .LBB6_1732
; %bb.1730:
	; divergent unreachable
	s_or_b32 exec_lo, exec_lo, s2
	s_and_saveexec_b32 s2, s1
	s_delay_alu instid0(SALU_CYCLE_1)
	s_xor_b32 s1, exec_lo, s2
	s_cbranch_execnz .LBB6_1733
.LBB6_1731:
	s_or_b32 exec_lo, exec_lo, s1
	s_and_saveexec_b32 s1, s15
	s_cbranch_execnz .LBB6_1734
	s_branch .LBB6_1771
.LBB6_1732:
	s_or_b32 exec_lo, exec_lo, s2
	s_and_saveexec_b32 s2, s1
	s_delay_alu instid0(SALU_CYCLE_1)
	s_xor_b32 s1, exec_lo, s2
	s_cbranch_execz .LBB6_1731
.LBB6_1733:
	v_mov_b32_e32 v0, 0
	s_wait_loadcnt 0x0
	global_store_b8 v[2:3], v0, off
	s_wait_xcnt 0x0
	s_or_b32 exec_lo, exec_lo, s1
	s_and_saveexec_b32 s1, s15
	s_cbranch_execz .LBB6_1771
.LBB6_1734:
	s_sext_i32_i16 s2, s0
	s_mov_b32 s1, -1
	s_cmp_lt_i32 s2, 5
	s_cbranch_scc1 .LBB6_1755
; %bb.1735:
	s_cmp_lt_i32 s2, 8
	s_cbranch_scc1 .LBB6_1745
; %bb.1736:
	;; [unrolled: 3-line block ×3, first 2 shown]
	s_cmp_gt_i32 s2, 9
	s_cbranch_scc0 .LBB6_1739
; %bb.1738:
	v_mov_b32_e32 v4, 0
	s_mov_b32 s1, 0
	s_delay_alu instid0(VALU_DEP_1)
	v_dual_mov_b32 v5, v4 :: v_dual_mov_b32 v6, v4
	v_mov_b32_e32 v7, v4
	s_wait_loadcnt 0x0
	global_store_b128 v[2:3], v[4:7], off
.LBB6_1739:
	s_and_not1_b32 vcc_lo, exec_lo, s1
	s_cbranch_vccnz .LBB6_1741
; %bb.1740:
	s_wait_loadcnt 0x0
	v_mov_b64_e32 v[0:1], 0
	global_store_b64 v[2:3], v[0:1], off
.LBB6_1741:
	s_mov_b32 s1, 0
.LBB6_1742:
	s_delay_alu instid0(SALU_CYCLE_1)
	s_and_not1_b32 vcc_lo, exec_lo, s1
	s_cbranch_vccnz .LBB6_1744
; %bb.1743:
	s_wait_xcnt 0x0
	v_mov_b32_e32 v0, 0
	s_wait_loadcnt 0x0
	global_store_b32 v[2:3], v0, off
.LBB6_1744:
	s_mov_b32 s1, 0
.LBB6_1745:
	s_delay_alu instid0(SALU_CYCLE_1)
	s_and_not1_b32 vcc_lo, exec_lo, s1
	s_cbranch_vccnz .LBB6_1754
; %bb.1746:
	s_sext_i32_i16 s2, s0
	s_mov_b32 s1, -1
	s_cmp_lt_i32 s2, 6
	s_cbranch_scc1 .LBB6_1752
; %bb.1747:
	s_cmp_gt_i32 s2, 6
	s_cbranch_scc0 .LBB6_1749
; %bb.1748:
	s_wait_loadcnt 0x0
	v_mov_b64_e32 v[0:1], 0
	s_mov_b32 s1, 0
	global_store_b64 v[2:3], v[0:1], off
.LBB6_1749:
	s_and_not1_b32 vcc_lo, exec_lo, s1
	s_cbranch_vccnz .LBB6_1751
; %bb.1750:
	s_wait_xcnt 0x0
	v_mov_b32_e32 v0, 0
	s_wait_loadcnt 0x0
	global_store_b32 v[2:3], v0, off
.LBB6_1751:
	s_mov_b32 s1, 0
.LBB6_1752:
	s_delay_alu instid0(SALU_CYCLE_1)
	s_and_not1_b32 vcc_lo, exec_lo, s1
	s_cbranch_vccnz .LBB6_1754
; %bb.1753:
	s_wait_xcnt 0x0
	v_mov_b32_e32 v0, 0
	s_wait_loadcnt 0x0
	global_store_b16 v[2:3], v0, off
.LBB6_1754:
	s_mov_b32 s1, 0
.LBB6_1755:
	s_delay_alu instid0(SALU_CYCLE_1)
	s_and_not1_b32 vcc_lo, exec_lo, s1
	s_cbranch_vccnz .LBB6_1771
; %bb.1756:
	s_sext_i32_i16 s2, s0
	s_mov_b32 s1, -1
	s_cmp_lt_i32 s2, 2
	s_cbranch_scc1 .LBB6_1766
; %bb.1757:
	s_cmp_lt_i32 s2, 3
	s_cbranch_scc1 .LBB6_1763
; %bb.1758:
	s_cmp_gt_i32 s2, 3
	s_cbranch_scc0 .LBB6_1760
; %bb.1759:
	s_wait_loadcnt 0x0
	v_mov_b64_e32 v[0:1], 0
	s_mov_b32 s1, 0
	global_store_b64 v[2:3], v[0:1], off
.LBB6_1760:
	s_and_not1_b32 vcc_lo, exec_lo, s1
	s_cbranch_vccnz .LBB6_1762
; %bb.1761:
	s_wait_xcnt 0x0
	v_mov_b32_e32 v0, 0
	s_wait_loadcnt 0x0
	global_store_b32 v[2:3], v0, off
.LBB6_1762:
	s_mov_b32 s1, 0
.LBB6_1763:
	s_delay_alu instid0(SALU_CYCLE_1)
	s_and_not1_b32 vcc_lo, exec_lo, s1
	s_cbranch_vccnz .LBB6_1765
; %bb.1764:
	s_wait_xcnt 0x0
	v_mov_b32_e32 v0, 0
	s_wait_loadcnt 0x0
	global_store_b16 v[2:3], v0, off
.LBB6_1765:
	s_mov_b32 s1, 0
.LBB6_1766:
	s_delay_alu instid0(SALU_CYCLE_1)
	s_and_not1_b32 vcc_lo, exec_lo, s1
	s_cbranch_vccnz .LBB6_1771
; %bb.1767:
	s_sext_i32_i16 s0, s0
	s_delay_alu instid0(SALU_CYCLE_1)
	s_cmp_gt_i32 s0, 0
	s_mov_b32 s0, -1
	s_cbranch_scc0 .LBB6_1769
; %bb.1768:
	s_wait_xcnt 0x0
	v_mov_b32_e32 v0, 0
	s_mov_b32 s0, 0
	s_wait_loadcnt 0x0
	global_store_b8 v[2:3], v0, off
.LBB6_1769:
	s_and_not1_b32 vcc_lo, exec_lo, s0
	s_cbranch_vccnz .LBB6_1771
; %bb.1770:
	s_wait_xcnt 0x0
	v_mov_b32_e32 v0, 0
	s_wait_loadcnt 0x0
	global_store_b8 v[2:3], v0, off
	s_endpgm
.LBB6_1771:
	s_endpgm
.LBB6_1772:
	s_or_b32 s6, s16, exec_lo
	s_trap 2
	s_cbranch_execz .LBB6_1351
	s_branch .LBB6_1352
.LBB6_1773:
	s_mov_b32 s4, 0
	s_mov_b32 s5, -1
	s_branch .LBB6_1720
.LBB6_1774:
	s_or_b32 s10, s6, exec_lo
	s_trap 2
	s_cbranch_execz .LBB6_1451
	s_branch .LBB6_1452
.LBB6_1775:
	s_or_b32 s9, s9, exec_lo
	s_trap 2
                                        ; implicit-def: $vgpr0
                                        ; implicit-def: $vgpr4
	s_branch .LBB6_918
.LBB6_1776:
	s_or_b32 s10, s10, exec_lo
	s_trap 2
	s_cbranch_execz .LBB6_1541
	s_branch .LBB6_1542
.LBB6_1777:
	s_or_b32 s10, s10, exec_lo
	s_trap 2
	s_cbranch_execz .LBB6_1630
	s_branch .LBB6_1631
.LBB6_1778:
	s_or_b32 s16, s16, exec_lo
	s_trap 2
                                        ; implicit-def: $vgpr0
                                        ; implicit-def: $vgpr4
	s_branch .LBB6_1273
.LBB6_1779:
	s_mov_b32 s4, 0
	s_or_b32 s10, s10, exec_lo
	s_trap 2
	s_branch .LBB6_1718
.LBB6_1780:
	s_or_b32 s6, s6, exec_lo
	s_trap 2
                                        ; implicit-def: $vgpr4
	s_branch .LBB6_1404
	.section	.rodata,"a",@progbits
	.p2align	6, 0x0
	.amdhsa_kernel _ZN2at6native32elementwise_kernel_manual_unrollILi128ELi4EZNS0_15gpu_kernel_implIZZZNS0_12_GLOBAL__N_142_validate_compressed_sparse_indices_kernelILNS3_8CDimNameE0ENS3_18CUDAKernelLauncherENS3_14EmptyVecKernelENS3_8DummyVecELm8EEEvRKNS_6TensorESB_lllENKUlvE0_clEvENKUlvE_clEvEUliE_EEvRNS_18TensorIteratorBaseERKT_EUlibE_EEviT1_
		.amdhsa_group_segment_fixed_size 0
		.amdhsa_private_segment_fixed_size 0
		.amdhsa_kernarg_size 56
		.amdhsa_user_sgpr_count 2
		.amdhsa_user_sgpr_dispatch_ptr 0
		.amdhsa_user_sgpr_queue_ptr 0
		.amdhsa_user_sgpr_kernarg_segment_ptr 1
		.amdhsa_user_sgpr_dispatch_id 0
		.amdhsa_user_sgpr_kernarg_preload_length 0
		.amdhsa_user_sgpr_kernarg_preload_offset 0
		.amdhsa_user_sgpr_private_segment_size 0
		.amdhsa_wavefront_size32 1
		.amdhsa_uses_dynamic_stack 0
		.amdhsa_enable_private_segment 0
		.amdhsa_system_sgpr_workgroup_id_x 1
		.amdhsa_system_sgpr_workgroup_id_y 0
		.amdhsa_system_sgpr_workgroup_id_z 0
		.amdhsa_system_sgpr_workgroup_info 0
		.amdhsa_system_vgpr_workitem_id 0
		.amdhsa_next_free_vgpr 10
		.amdhsa_next_free_sgpr 32
		.amdhsa_named_barrier_count 0
		.amdhsa_reserve_vcc 1
		.amdhsa_float_round_mode_32 0
		.amdhsa_float_round_mode_16_64 0
		.amdhsa_float_denorm_mode_32 3
		.amdhsa_float_denorm_mode_16_64 3
		.amdhsa_fp16_overflow 0
		.amdhsa_memory_ordered 1
		.amdhsa_forward_progress 1
		.amdhsa_inst_pref_size 219
		.amdhsa_round_robin_scheduling 0
		.amdhsa_exception_fp_ieee_invalid_op 0
		.amdhsa_exception_fp_denorm_src 0
		.amdhsa_exception_fp_ieee_div_zero 0
		.amdhsa_exception_fp_ieee_overflow 0
		.amdhsa_exception_fp_ieee_underflow 0
		.amdhsa_exception_fp_ieee_inexact 0
		.amdhsa_exception_int_div_zero 0
	.end_amdhsa_kernel
	.section	.text._ZN2at6native32elementwise_kernel_manual_unrollILi128ELi4EZNS0_15gpu_kernel_implIZZZNS0_12_GLOBAL__N_142_validate_compressed_sparse_indices_kernelILNS3_8CDimNameE0ENS3_18CUDAKernelLauncherENS3_14EmptyVecKernelENS3_8DummyVecELm8EEEvRKNS_6TensorESB_lllENKUlvE0_clEvENKUlvE_clEvEUliE_EEvRNS_18TensorIteratorBaseERKT_EUlibE_EEviT1_,"axG",@progbits,_ZN2at6native32elementwise_kernel_manual_unrollILi128ELi4EZNS0_15gpu_kernel_implIZZZNS0_12_GLOBAL__N_142_validate_compressed_sparse_indices_kernelILNS3_8CDimNameE0ENS3_18CUDAKernelLauncherENS3_14EmptyVecKernelENS3_8DummyVecELm8EEEvRKNS_6TensorESB_lllENKUlvE0_clEvENKUlvE_clEvEUliE_EEvRNS_18TensorIteratorBaseERKT_EUlibE_EEviT1_,comdat
.Lfunc_end6:
	.size	_ZN2at6native32elementwise_kernel_manual_unrollILi128ELi4EZNS0_15gpu_kernel_implIZZZNS0_12_GLOBAL__N_142_validate_compressed_sparse_indices_kernelILNS3_8CDimNameE0ENS3_18CUDAKernelLauncherENS3_14EmptyVecKernelENS3_8DummyVecELm8EEEvRKNS_6TensorESB_lllENKUlvE0_clEvENKUlvE_clEvEUliE_EEvRNS_18TensorIteratorBaseERKT_EUlibE_EEviT1_, .Lfunc_end6-_ZN2at6native32elementwise_kernel_manual_unrollILi128ELi4EZNS0_15gpu_kernel_implIZZZNS0_12_GLOBAL__N_142_validate_compressed_sparse_indices_kernelILNS3_8CDimNameE0ENS3_18CUDAKernelLauncherENS3_14EmptyVecKernelENS3_8DummyVecELm8EEEvRKNS_6TensorESB_lllENKUlvE0_clEvENKUlvE_clEvEUliE_EEvRNS_18TensorIteratorBaseERKT_EUlibE_EEviT1_
                                        ; -- End function
	.set _ZN2at6native32elementwise_kernel_manual_unrollILi128ELi4EZNS0_15gpu_kernel_implIZZZNS0_12_GLOBAL__N_142_validate_compressed_sparse_indices_kernelILNS3_8CDimNameE0ENS3_18CUDAKernelLauncherENS3_14EmptyVecKernelENS3_8DummyVecELm8EEEvRKNS_6TensorESB_lllENKUlvE0_clEvENKUlvE_clEvEUliE_EEvRNS_18TensorIteratorBaseERKT_EUlibE_EEviT1_.num_vgpr, 10
	.set _ZN2at6native32elementwise_kernel_manual_unrollILi128ELi4EZNS0_15gpu_kernel_implIZZZNS0_12_GLOBAL__N_142_validate_compressed_sparse_indices_kernelILNS3_8CDimNameE0ENS3_18CUDAKernelLauncherENS3_14EmptyVecKernelENS3_8DummyVecELm8EEEvRKNS_6TensorESB_lllENKUlvE0_clEvENKUlvE_clEvEUliE_EEvRNS_18TensorIteratorBaseERKT_EUlibE_EEviT1_.num_agpr, 0
	.set _ZN2at6native32elementwise_kernel_manual_unrollILi128ELi4EZNS0_15gpu_kernel_implIZZZNS0_12_GLOBAL__N_142_validate_compressed_sparse_indices_kernelILNS3_8CDimNameE0ENS3_18CUDAKernelLauncherENS3_14EmptyVecKernelENS3_8DummyVecELm8EEEvRKNS_6TensorESB_lllENKUlvE0_clEvENKUlvE_clEvEUliE_EEvRNS_18TensorIteratorBaseERKT_EUlibE_EEviT1_.numbered_sgpr, 32
	.set _ZN2at6native32elementwise_kernel_manual_unrollILi128ELi4EZNS0_15gpu_kernel_implIZZZNS0_12_GLOBAL__N_142_validate_compressed_sparse_indices_kernelILNS3_8CDimNameE0ENS3_18CUDAKernelLauncherENS3_14EmptyVecKernelENS3_8DummyVecELm8EEEvRKNS_6TensorESB_lllENKUlvE0_clEvENKUlvE_clEvEUliE_EEvRNS_18TensorIteratorBaseERKT_EUlibE_EEviT1_.num_named_barrier, 0
	.set _ZN2at6native32elementwise_kernel_manual_unrollILi128ELi4EZNS0_15gpu_kernel_implIZZZNS0_12_GLOBAL__N_142_validate_compressed_sparse_indices_kernelILNS3_8CDimNameE0ENS3_18CUDAKernelLauncherENS3_14EmptyVecKernelENS3_8DummyVecELm8EEEvRKNS_6TensorESB_lllENKUlvE0_clEvENKUlvE_clEvEUliE_EEvRNS_18TensorIteratorBaseERKT_EUlibE_EEviT1_.private_seg_size, 0
	.set _ZN2at6native32elementwise_kernel_manual_unrollILi128ELi4EZNS0_15gpu_kernel_implIZZZNS0_12_GLOBAL__N_142_validate_compressed_sparse_indices_kernelILNS3_8CDimNameE0ENS3_18CUDAKernelLauncherENS3_14EmptyVecKernelENS3_8DummyVecELm8EEEvRKNS_6TensorESB_lllENKUlvE0_clEvENKUlvE_clEvEUliE_EEvRNS_18TensorIteratorBaseERKT_EUlibE_EEviT1_.uses_vcc, 1
	.set _ZN2at6native32elementwise_kernel_manual_unrollILi128ELi4EZNS0_15gpu_kernel_implIZZZNS0_12_GLOBAL__N_142_validate_compressed_sparse_indices_kernelILNS3_8CDimNameE0ENS3_18CUDAKernelLauncherENS3_14EmptyVecKernelENS3_8DummyVecELm8EEEvRKNS_6TensorESB_lllENKUlvE0_clEvENKUlvE_clEvEUliE_EEvRNS_18TensorIteratorBaseERKT_EUlibE_EEviT1_.uses_flat_scratch, 0
	.set _ZN2at6native32elementwise_kernel_manual_unrollILi128ELi4EZNS0_15gpu_kernel_implIZZZNS0_12_GLOBAL__N_142_validate_compressed_sparse_indices_kernelILNS3_8CDimNameE0ENS3_18CUDAKernelLauncherENS3_14EmptyVecKernelENS3_8DummyVecELm8EEEvRKNS_6TensorESB_lllENKUlvE0_clEvENKUlvE_clEvEUliE_EEvRNS_18TensorIteratorBaseERKT_EUlibE_EEviT1_.has_dyn_sized_stack, 0
	.set _ZN2at6native32elementwise_kernel_manual_unrollILi128ELi4EZNS0_15gpu_kernel_implIZZZNS0_12_GLOBAL__N_142_validate_compressed_sparse_indices_kernelILNS3_8CDimNameE0ENS3_18CUDAKernelLauncherENS3_14EmptyVecKernelENS3_8DummyVecELm8EEEvRKNS_6TensorESB_lllENKUlvE0_clEvENKUlvE_clEvEUliE_EEvRNS_18TensorIteratorBaseERKT_EUlibE_EEviT1_.has_recursion, 0
	.set _ZN2at6native32elementwise_kernel_manual_unrollILi128ELi4EZNS0_15gpu_kernel_implIZZZNS0_12_GLOBAL__N_142_validate_compressed_sparse_indices_kernelILNS3_8CDimNameE0ENS3_18CUDAKernelLauncherENS3_14EmptyVecKernelENS3_8DummyVecELm8EEEvRKNS_6TensorESB_lllENKUlvE0_clEvENKUlvE_clEvEUliE_EEvRNS_18TensorIteratorBaseERKT_EUlibE_EEviT1_.has_indirect_call, 0
	.section	.AMDGPU.csdata,"",@progbits
; Kernel info:
; codeLenInByte = 28000
; TotalNumSgprs: 34
; NumVgprs: 10
; ScratchSize: 0
; MemoryBound: 1
; FloatMode: 240
; IeeeMode: 1
; LDSByteSize: 0 bytes/workgroup (compile time only)
; SGPRBlocks: 0
; VGPRBlocks: 0
; NumSGPRsForWavesPerEU: 34
; NumVGPRsForWavesPerEU: 10
; NamedBarCnt: 0
; Occupancy: 16
; WaveLimiterHint : 0
; COMPUTE_PGM_RSRC2:SCRATCH_EN: 0
; COMPUTE_PGM_RSRC2:USER_SGPR: 2
; COMPUTE_PGM_RSRC2:TRAP_HANDLER: 0
; COMPUTE_PGM_RSRC2:TGID_X_EN: 1
; COMPUTE_PGM_RSRC2:TGID_Y_EN: 0
; COMPUTE_PGM_RSRC2:TGID_Z_EN: 0
; COMPUTE_PGM_RSRC2:TIDIG_COMP_CNT: 0
	.section	.text._ZN2at6native32elementwise_kernel_manual_unrollILi128ELi4EZNS0_15gpu_kernel_implIZZZNS0_12_GLOBAL__N_142_validate_compressed_sparse_indices_kernelILNS3_8CDimNameE0ENS3_18CUDAKernelLauncherENS3_14EmptyVecKernelENS3_8DummyVecELm8EEEvRKNS_6TensorESB_lllENKUlvE0_clEvENKUlvE_clEvEUliE_EEvRNS_18TensorIteratorBaseERKT_EUlibE0_EEviT1_,"axG",@progbits,_ZN2at6native32elementwise_kernel_manual_unrollILi128ELi4EZNS0_15gpu_kernel_implIZZZNS0_12_GLOBAL__N_142_validate_compressed_sparse_indices_kernelILNS3_8CDimNameE0ENS3_18CUDAKernelLauncherENS3_14EmptyVecKernelENS3_8DummyVecELm8EEEvRKNS_6TensorESB_lllENKUlvE0_clEvENKUlvE_clEvEUliE_EEvRNS_18TensorIteratorBaseERKT_EUlibE0_EEviT1_,comdat
	.globl	_ZN2at6native32elementwise_kernel_manual_unrollILi128ELi4EZNS0_15gpu_kernel_implIZZZNS0_12_GLOBAL__N_142_validate_compressed_sparse_indices_kernelILNS3_8CDimNameE0ENS3_18CUDAKernelLauncherENS3_14EmptyVecKernelENS3_8DummyVecELm8EEEvRKNS_6TensorESB_lllENKUlvE0_clEvENKUlvE_clEvEUliE_EEvRNS_18TensorIteratorBaseERKT_EUlibE0_EEviT1_ ; -- Begin function _ZN2at6native32elementwise_kernel_manual_unrollILi128ELi4EZNS0_15gpu_kernel_implIZZZNS0_12_GLOBAL__N_142_validate_compressed_sparse_indices_kernelILNS3_8CDimNameE0ENS3_18CUDAKernelLauncherENS3_14EmptyVecKernelENS3_8DummyVecELm8EEEvRKNS_6TensorESB_lllENKUlvE0_clEvENKUlvE_clEvEUliE_EEvRNS_18TensorIteratorBaseERKT_EUlibE0_EEviT1_
	.p2align	8
	.type	_ZN2at6native32elementwise_kernel_manual_unrollILi128ELi4EZNS0_15gpu_kernel_implIZZZNS0_12_GLOBAL__N_142_validate_compressed_sparse_indices_kernelILNS3_8CDimNameE0ENS3_18CUDAKernelLauncherENS3_14EmptyVecKernelENS3_8DummyVecELm8EEEvRKNS_6TensorESB_lllENKUlvE0_clEvENKUlvE_clEvEUliE_EEvRNS_18TensorIteratorBaseERKT_EUlibE0_EEviT1_,@function
_ZN2at6native32elementwise_kernel_manual_unrollILi128ELi4EZNS0_15gpu_kernel_implIZZZNS0_12_GLOBAL__N_142_validate_compressed_sparse_indices_kernelILNS3_8CDimNameE0ENS3_18CUDAKernelLauncherENS3_14EmptyVecKernelENS3_8DummyVecELm8EEEvRKNS_6TensorESB_lllENKUlvE0_clEvENKUlvE_clEvEUliE_EEvRNS_18TensorIteratorBaseERKT_EUlibE0_EEviT1_: ; @_ZN2at6native32elementwise_kernel_manual_unrollILi128ELi4EZNS0_15gpu_kernel_implIZZZNS0_12_GLOBAL__N_142_validate_compressed_sparse_indices_kernelILNS3_8CDimNameE0ENS3_18CUDAKernelLauncherENS3_14EmptyVecKernelENS3_8DummyVecELm8EEEvRKNS_6TensorESB_lllENKUlvE0_clEvENKUlvE_clEvEUliE_EEvRNS_18TensorIteratorBaseERKT_EUlibE0_EEviT1_
; %bb.0:
	s_clause 0x1
	s_load_b32 s28, s[0:1], 0x8
	s_load_b32 s39, s[0:1], 0x0
	s_bfe_u32 s2, ttmp6, 0x4000c
	s_and_b32 s3, ttmp6, 15
	s_add_co_i32 s2, s2, 1
	s_getreg_b32 s4, hwreg(HW_REG_IB_STS2, 6, 4)
	s_mul_i32 s2, ttmp9, s2
	s_mov_b32 s30, 0
	s_add_co_i32 s3, s3, s2
	s_cmp_eq_u32 s4, 0
	s_mov_b32 s22, -1
	s_cselect_b32 s2, ttmp9, s3
	s_mov_b32 s10, 0
	v_lshl_or_b32 v0, s2, 9, v0
	s_add_nc_u64 s[2:3], s[0:1], 8
	s_wait_xcnt 0x0
	s_mov_b32 s0, exec_lo
	s_delay_alu instid0(VALU_DEP_1) | instskip(SKIP_2) | instid1(SALU_CYCLE_1)
	v_or_b32_e32 v9, 0x180, v0
	s_wait_kmcnt 0x0
	s_add_co_i32 s29, s28, -1
	s_cmp_gt_u32 s29, 1
	s_cselect_b32 s31, -1, 0
	v_cmpx_le_i32_e64 s39, v9
	s_xor_b32 s33, exec_lo, s0
	s_cbranch_execz .LBB7_959
; %bb.1:
	s_clause 0x6
	s_load_b128 s[8:11], s[2:3], 0x4
	s_load_b32 s34, s[2:3], 0x168
	s_load_b64 s[0:1], s[2:3], 0x14
	s_load_b32 s35, s[2:3], 0x158
	s_load_b32 s36, s[2:3], 0x160
	s_load_b128 s[12:15], s[2:3], 0xc4
	s_load_b128 s[4:7], s[2:3], 0x148
	s_cmp_lg_u32 s28, 0
	s_get_pc_i64 s[24:25]
	s_add_nc_u64 s[24:25], s[24:25], .str@rel64+4
	s_cselect_b32 s41, -1, 0
	s_min_u32 s40, s29, 15
	s_cmp_gt_u32 s28, 1
	s_mov_b32 s17, 0
	s_cselect_b32 s38, -1, 0
	s_add_nc_u64 s[20:21], s[2:3], 0xc4
	s_mov_b32 s19, s17
	s_mov_b32 s44, s17
	;; [unrolled: 1-line block ×4, first 2 shown]
	s_mov_b32 s45, exec_lo
	s_wait_kmcnt 0x0
	s_mov_b32 s16, s9
	s_bfe_u32 s37, s34, 0x80008
	s_cmp_lg_u64 s[24:25], 0
	s_mov_b32 s18, s0
	s_cselect_b32 s9, -1, 0
	v_cmpx_gt_i32_e64 s39, v0
	s_cbranch_execz .LBB7_236
; %bb.2:
	s_and_not1_b32 vcc_lo, exec_lo, s31
	s_cbranch_vccnz .LBB7_8
; %bb.3:
	s_and_not1_b32 vcc_lo, exec_lo, s41
	s_cbranch_vccnz .LBB7_9
; %bb.4:
	s_add_co_i32 s0, s40, 1
	s_cmp_eq_u32 s29, 2
	s_cbranch_scc1 .LBB7_10
; %bb.5:
	v_dual_mov_b32 v2, 0 :: v_dual_mov_b32 v4, 0
	v_mov_b32_e32 v1, v0
	s_and_b32 s22, s0, 28
	s_mov_b32 s23, 0
	s_mov_b64 s[24:25], s[2:3]
	s_mov_b64 s[26:27], s[20:21]
.LBB7_6:                                ; =>This Inner Loop Header: Depth=1
	s_clause 0x1
	s_load_b256 s[48:55], s[24:25], 0x4
	s_load_b128 s[64:67], s[24:25], 0x24
	s_load_b256 s[56:63], s[26:27], 0x0
	s_add_co_i32 s23, s23, 4
	s_wait_xcnt 0x0
	s_add_nc_u64 s[24:25], s[24:25], 48
	s_cmp_lg_u32 s22, s23
	s_add_nc_u64 s[26:27], s[26:27], 32
	s_wait_kmcnt 0x0
	v_mul_hi_u32 v3, s49, v1
	s_delay_alu instid0(VALU_DEP_1) | instskip(NEXT) | instid1(VALU_DEP_1)
	v_add_nc_u32_e32 v3, v1, v3
	v_lshrrev_b32_e32 v3, s50, v3
	s_delay_alu instid0(VALU_DEP_1) | instskip(NEXT) | instid1(VALU_DEP_1)
	v_mul_hi_u32 v5, s52, v3
	v_add_nc_u32_e32 v5, v3, v5
	s_delay_alu instid0(VALU_DEP_1) | instskip(NEXT) | instid1(VALU_DEP_1)
	v_lshrrev_b32_e32 v5, s53, v5
	v_mul_hi_u32 v6, s55, v5
	s_delay_alu instid0(VALU_DEP_1) | instskip(SKIP_1) | instid1(VALU_DEP_1)
	v_add_nc_u32_e32 v6, v5, v6
	v_mul_lo_u32 v7, v3, s48
	v_sub_nc_u32_e32 v1, v1, v7
	v_mul_lo_u32 v7, v5, s51
	s_delay_alu instid0(VALU_DEP_4) | instskip(NEXT) | instid1(VALU_DEP_3)
	v_lshrrev_b32_e32 v6, s64, v6
	v_mad_u32 v4, v1, s57, v4
	v_mad_u32 v1, v1, s56, v2
	s_delay_alu instid0(VALU_DEP_4) | instskip(NEXT) | instid1(VALU_DEP_4)
	v_sub_nc_u32_e32 v2, v3, v7
	v_mul_hi_u32 v8, s66, v6
	v_mul_lo_u32 v3, v6, s54
	s_delay_alu instid0(VALU_DEP_3) | instskip(SKIP_1) | instid1(VALU_DEP_3)
	v_mad_u32 v4, v2, s59, v4
	v_mad_u32 v2, v2, s58, v1
	v_dual_add_nc_u32 v7, v6, v8 :: v_dual_sub_nc_u32 v3, v5, v3
	s_delay_alu instid0(VALU_DEP_1) | instskip(NEXT) | instid1(VALU_DEP_2)
	v_lshrrev_b32_e32 v1, s67, v7
	v_mad_u32 v4, v3, s61, v4
	s_delay_alu instid0(VALU_DEP_4) | instskip(NEXT) | instid1(VALU_DEP_3)
	v_mad_u32 v2, v3, s60, v2
	v_mul_lo_u32 v5, v1, s65
	s_delay_alu instid0(VALU_DEP_1) | instskip(NEXT) | instid1(VALU_DEP_1)
	v_sub_nc_u32_e32 v3, v6, v5
	v_mad_u32 v4, v3, s63, v4
	s_delay_alu instid0(VALU_DEP_4)
	v_mad_u32 v2, v3, s62, v2
	s_cbranch_scc1 .LBB7_6
; %bb.7:
	s_delay_alu instid0(VALU_DEP_2)
	v_mov_b32_e32 v3, v4
	s_and_b32 s0, s0, 3
	s_mov_b32 s23, 0
	s_cmp_eq_u32 s0, 0
	s_cbranch_scc0 .LBB7_11
	s_branch .LBB7_14
.LBB7_8:
                                        ; implicit-def: $vgpr4
                                        ; implicit-def: $vgpr2
	s_branch .LBB7_15
.LBB7_9:
	v_dual_mov_b32 v4, 0 :: v_dual_mov_b32 v2, 0
	s_branch .LBB7_14
.LBB7_10:
	v_mov_b64_e32 v[2:3], 0
	v_mov_b32_e32 v1, v0
	s_mov_b32 s22, 0
                                        ; implicit-def: $vgpr4
	s_and_b32 s0, s0, 3
	s_mov_b32 s23, 0
	s_cmp_eq_u32 s0, 0
	s_cbranch_scc1 .LBB7_14
.LBB7_11:
	s_lshl_b32 s24, s22, 3
	s_mov_b32 s25, s23
	s_mul_u64 s[26:27], s[22:23], 12
	s_add_nc_u64 s[24:25], s[2:3], s[24:25]
	s_delay_alu instid0(SALU_CYCLE_1)
	s_add_nc_u64 s[22:23], s[24:25], 0xc4
	s_add_nc_u64 s[24:25], s[2:3], s[26:27]
.LBB7_12:                               ; =>This Inner Loop Header: Depth=1
	s_load_b96 s[48:50], s[24:25], 0x4
	s_load_b64 s[26:27], s[22:23], 0x0
	s_add_co_i32 s0, s0, -1
	s_wait_xcnt 0x0
	s_add_nc_u64 s[24:25], s[24:25], 12
	s_cmp_lg_u32 s0, 0
	s_add_nc_u64 s[22:23], s[22:23], 8
	s_wait_kmcnt 0x0
	v_mul_hi_u32 v4, s49, v1
	s_delay_alu instid0(VALU_DEP_1) | instskip(NEXT) | instid1(VALU_DEP_1)
	v_add_nc_u32_e32 v4, v1, v4
	v_lshrrev_b32_e32 v4, s50, v4
	s_delay_alu instid0(VALU_DEP_1) | instskip(NEXT) | instid1(VALU_DEP_1)
	v_mul_lo_u32 v5, v4, s48
	v_sub_nc_u32_e32 v1, v1, v5
	s_delay_alu instid0(VALU_DEP_1)
	v_mad_u32 v3, v1, s27, v3
	v_mad_u32 v2, v1, s26, v2
	v_mov_b32_e32 v1, v4
	s_cbranch_scc1 .LBB7_12
; %bb.13:
	s_delay_alu instid0(VALU_DEP_3)
	v_mov_b32_e32 v4, v3
.LBB7_14:
	s_cbranch_execnz .LBB7_17
.LBB7_15:
	v_mov_b32_e32 v1, 0
	s_and_not1_b32 vcc_lo, exec_lo, s38
	s_delay_alu instid0(VALU_DEP_1) | instskip(NEXT) | instid1(VALU_DEP_1)
	v_mul_u64_e32 v[2:3], s[16:17], v[0:1]
	v_add_nc_u32_e32 v2, v0, v3
	s_delay_alu instid0(VALU_DEP_1) | instskip(NEXT) | instid1(VALU_DEP_1)
	v_lshrrev_b32_e32 v6, s10, v2
	v_mul_lo_u32 v2, v6, s8
	s_delay_alu instid0(VALU_DEP_1) | instskip(NEXT) | instid1(VALU_DEP_1)
	v_sub_nc_u32_e32 v2, v0, v2
	v_mul_lo_u32 v4, v2, s13
	v_mul_lo_u32 v2, v2, s12
	s_cbranch_vccnz .LBB7_17
; %bb.16:
	v_mov_b32_e32 v7, v1
	s_delay_alu instid0(VALU_DEP_1) | instskip(NEXT) | instid1(VALU_DEP_1)
	v_mul_u64_e32 v[8:9], s[18:19], v[6:7]
	v_add_nc_u32_e32 v1, v6, v9
	s_delay_alu instid0(VALU_DEP_1) | instskip(NEXT) | instid1(VALU_DEP_1)
	v_lshrrev_b32_e32 v1, s1, v1
	v_mul_lo_u32 v1, v1, s11
	s_delay_alu instid0(VALU_DEP_1) | instskip(NEXT) | instid1(VALU_DEP_1)
	v_sub_nc_u32_e32 v1, v6, v1
	v_mad_u32 v2, v1, s14, v2
	v_mad_u32 v4, v1, s15, v4
.LBB7_17:
	v_mov_b32_e32 v5, 0
	s_and_b32 s0, 0xffff, s37
	s_delay_alu instid0(SALU_CYCLE_1) | instskip(NEXT) | instid1(VALU_DEP_1)
	s_cmp_lt_i32 s0, 11
	v_add_nc_u64_e32 v[4:5], s[6:7], v[4:5]
	s_cbranch_scc1 .LBB7_24
; %bb.18:
	s_cmp_gt_i32 s0, 25
	s_cbranch_scc0 .LBB7_34
; %bb.19:
	s_cmp_gt_i32 s0, 28
	s_cbranch_scc0 .LBB7_38
	;; [unrolled: 3-line block ×4, first 2 shown]
; %bb.22:
	s_cmp_eq_u32 s0, 46
	s_mov_b32 s24, 0
	s_cbranch_scc0 .LBB7_44
; %bb.23:
	global_load_b32 v1, v[4:5], off
	s_mov_b32 s23, -1
	s_mov_b32 s22, 0
	s_wait_loadcnt 0x0
	v_lshlrev_b32_e32 v1, 16, v1
	s_delay_alu instid0(VALU_DEP_1)
	v_cvt_i32_f32_e32 v1, v1
	s_branch .LBB7_46
.LBB7_24:
	s_mov_b32 s22, 0
	s_mov_b32 s23, 0
                                        ; implicit-def: $vgpr1
	s_cbranch_execnz .LBB7_106
.LBB7_25:
	s_and_not1_b32 vcc_lo, exec_lo, s23
	s_cbranch_vccnz .LBB7_153
.LBB7_26:
	s_wait_loadcnt 0x0
	s_delay_alu instid0(VALU_DEP_1)
	v_cmp_le_i32_e32 vcc_lo, s35, v1
	v_cmp_gt_i32_e64 s0, s36, v1
	s_mov_b32 s24, -1
	s_mov_b32 s23, 0
	s_mov_b32 s25, 0
	s_and_b32 s0, vcc_lo, s0
	s_delay_alu instid0(SALU_CYCLE_1) | instskip(NEXT) | instid1(SALU_CYCLE_1)
	s_and_b32 s26, s9, s0
	s_and_saveexec_b32 s0, s26
	s_cbranch_execz .LBB7_234
; %bb.27:
	v_mov_b32_e32 v3, 0
	s_and_b32 s24, s34, 0xff
	s_delay_alu instid0(SALU_CYCLE_1) | instskip(NEXT) | instid1(VALU_DEP_1)
	s_cmp_lt_i32 s24, 11
	v_add_nc_u64_e32 v[2:3], s[4:5], v[2:3]
	s_cbranch_scc1 .LBB7_35
; %bb.28:
	s_and_b32 s25, 0xffff, s24
	s_delay_alu instid0(SALU_CYCLE_1)
	s_cmp_gt_i32 s25, 25
	s_cbranch_scc0 .LBB7_39
; %bb.29:
	s_cmp_gt_i32 s25, 28
	s_cbranch_scc0 .LBB7_41
; %bb.30:
	;; [unrolled: 3-line block ×4, first 2 shown]
	s_mov_b32 s27, 0
	s_mov_b32 s23, -1
	s_cmp_eq_u32 s25, 46
	s_mov_b32 s26, 0
	s_cbranch_scc0 .LBB7_155
; %bb.33:
	v_mov_b32_e32 v1, 0
	s_mov_b32 s26, -1
	s_mov_b32 s23, 0
	global_store_b32 v[2:3], v1, off
	s_branch .LBB7_155
.LBB7_34:
	s_mov_b32 s22, 0
	s_mov_b32 s23, 0
                                        ; implicit-def: $vgpr1
	s_cbranch_execnz .LBB7_73
	s_branch .LBB7_105
.LBB7_35:
	s_mov_b32 s26, 0
	s_cbranch_execnz .LBB7_194
.LBB7_36:
	s_and_not1_b32 vcc_lo, exec_lo, s26
	s_cbranch_vccnz .LBB7_232
.LBB7_37:
	v_add_nc_u32_e32 v0, 0x80, v0
	s_mov_b32 s26, -1
	s_branch .LBB7_233
.LBB7_38:
	s_mov_b32 s24, -1
	s_mov_b32 s22, 0
	s_mov_b32 s23, 0
                                        ; implicit-def: $vgpr1
	s_branch .LBB7_56
.LBB7_39:
	s_mov_b32 s27, -1
	s_mov_b32 s26, 0
	s_branch .LBB7_174
.LBB7_40:
	s_mov_b32 s24, -1
	s_mov_b32 s22, 0
	s_mov_b32 s23, 0
                                        ; implicit-def: $vgpr1
	s_branch .LBB7_51
.LBB7_41:
	s_mov_b32 s27, -1
	s_mov_b32 s26, 0
	s_branch .LBB7_163
.LBB7_42:
	s_mov_b32 s24, -1
	s_mov_b32 s22, 0
	s_branch .LBB7_45
.LBB7_43:
	s_mov_b32 s27, -1
	s_mov_b32 s26, 0
	s_branch .LBB7_159
.LBB7_44:
	s_mov_b32 s22, -1
.LBB7_45:
	s_mov_b32 s23, 0
                                        ; implicit-def: $vgpr1
.LBB7_46:
	s_and_b32 vcc_lo, exec_lo, s24
	s_cbranch_vccz .LBB7_50
; %bb.47:
	s_cmp_eq_u32 s0, 44
	s_cbranch_scc0 .LBB7_49
; %bb.48:
	global_load_u8 v1, v[4:5], off
	s_mov_b32 s22, 0
	s_mov_b32 s23, -1
	s_wait_loadcnt 0x0
	v_lshlrev_b32_e32 v3, 23, v1
	v_cmp_ne_u32_e32 vcc_lo, 0, v1
	s_delay_alu instid0(VALU_DEP_2) | instskip(NEXT) | instid1(VALU_DEP_1)
	v_cvt_i32_f32_e32 v3, v3
	v_cndmask_b32_e32 v1, 0, v3, vcc_lo
	s_branch .LBB7_50
.LBB7_49:
	s_mov_b32 s22, -1
                                        ; implicit-def: $vgpr1
.LBB7_50:
	s_mov_b32 s24, 0
.LBB7_51:
	s_delay_alu instid0(SALU_CYCLE_1)
	s_and_b32 vcc_lo, exec_lo, s24
	s_cbranch_vccz .LBB7_55
; %bb.52:
	s_cmp_eq_u32 s0, 29
	s_cbranch_scc0 .LBB7_54
; %bb.53:
	global_load_b32 v1, v[4:5], off
	s_mov_b32 s23, -1
	s_mov_b32 s22, 0
	s_branch .LBB7_55
.LBB7_54:
	s_mov_b32 s22, -1
                                        ; implicit-def: $vgpr1
.LBB7_55:
	s_mov_b32 s24, 0
.LBB7_56:
	s_delay_alu instid0(SALU_CYCLE_1)
	s_and_b32 vcc_lo, exec_lo, s24
	s_cbranch_vccz .LBB7_72
; %bb.57:
	s_cmp_lt_i32 s0, 27
	s_cbranch_scc1 .LBB7_60
; %bb.58:
	s_cmp_gt_i32 s0, 27
	s_cbranch_scc0 .LBB7_61
; %bb.59:
	s_wait_loadcnt 0x0
	global_load_b32 v1, v[4:5], off
	s_mov_b32 s23, 0
	s_branch .LBB7_62
.LBB7_60:
	s_mov_b32 s23, -1
                                        ; implicit-def: $vgpr1
	s_branch .LBB7_65
.LBB7_61:
	s_mov_b32 s23, -1
                                        ; implicit-def: $vgpr1
.LBB7_62:
	s_delay_alu instid0(SALU_CYCLE_1)
	s_and_not1_b32 vcc_lo, exec_lo, s23
	s_cbranch_vccnz .LBB7_64
; %bb.63:
	s_wait_loadcnt 0x0
	global_load_u16 v1, v[4:5], off
.LBB7_64:
	s_mov_b32 s23, 0
.LBB7_65:
	s_delay_alu instid0(SALU_CYCLE_1)
	s_and_not1_b32 vcc_lo, exec_lo, s23
	s_cbranch_vccnz .LBB7_71
; %bb.66:
	global_load_u8 v3, v[4:5], off
	s_mov_b32 s24, 0
	s_mov_b32 s23, exec_lo
	s_wait_loadcnt 0x0
	v_cmpx_lt_i16_e32 0x7f, v3
	s_xor_b32 s23, exec_lo, s23
	s_cbranch_execz .LBB7_82
; %bb.67:
	v_cmp_ne_u16_e32 vcc_lo, 0x80, v3
	s_and_b32 s24, vcc_lo, exec_lo
	s_and_not1_saveexec_b32 s23, s23
	s_cbranch_execnz .LBB7_83
.LBB7_68:
	s_or_b32 exec_lo, exec_lo, s23
	v_mov_b32_e32 v1, 0
	s_and_saveexec_b32 s23, s24
	s_cbranch_execz .LBB7_70
.LBB7_69:
	v_and_b32_e32 v1, 0xffff, v3
	s_delay_alu instid0(VALU_DEP_1) | instskip(SKIP_1) | instid1(VALU_DEP_2)
	v_and_b32_e32 v6, 7, v1
	v_bfe_u32 v9, v1, 3, 4
	v_clz_i32_u32_e32 v7, v6
	s_delay_alu instid0(VALU_DEP_2) | instskip(NEXT) | instid1(VALU_DEP_2)
	v_cmp_eq_u32_e32 vcc_lo, 0, v9
	v_min_u32_e32 v7, 32, v7
	s_delay_alu instid0(VALU_DEP_1) | instskip(NEXT) | instid1(VALU_DEP_1)
	v_subrev_nc_u32_e32 v8, 28, v7
	v_dual_lshlrev_b32 v1, v8, v1 :: v_dual_sub_nc_u32 v7, 29, v7
	s_delay_alu instid0(VALU_DEP_1) | instskip(NEXT) | instid1(VALU_DEP_1)
	v_dual_lshlrev_b32 v3, 24, v3 :: v_dual_bitop2_b32 v1, 7, v1 bitop3:0x40
	v_dual_cndmask_b32 v1, v6, v1, vcc_lo :: v_dual_cndmask_b32 v7, v9, v7, vcc_lo
	s_delay_alu instid0(VALU_DEP_2) | instskip(NEXT) | instid1(VALU_DEP_2)
	v_and_b32_e32 v3, 0x80000000, v3
	v_lshlrev_b32_e32 v1, 20, v1
	s_delay_alu instid0(VALU_DEP_3) | instskip(NEXT) | instid1(VALU_DEP_1)
	v_lshl_add_u32 v6, v7, 23, 0x3b800000
	v_or3_b32 v1, v3, v6, v1
	s_delay_alu instid0(VALU_DEP_1)
	v_cvt_i32_f32_e32 v1, v1
.LBB7_70:
	s_or_b32 exec_lo, exec_lo, s23
.LBB7_71:
	s_mov_b32 s23, -1
.LBB7_72:
	s_branch .LBB7_105
.LBB7_73:
	s_cmp_gt_i32 s0, 22
	s_cbranch_scc0 .LBB7_81
; %bb.74:
	s_cmp_lt_i32 s0, 24
	s_cbranch_scc1 .LBB7_84
; %bb.75:
	s_cmp_gt_i32 s0, 24
	s_cbranch_scc0 .LBB7_85
; %bb.76:
	global_load_u8 v3, v[4:5], off
	s_mov_b32 s24, 0
	s_mov_b32 s23, exec_lo
	s_wait_loadcnt 0x0
	v_cmpx_lt_i16_e32 0x7f, v3
	s_xor_b32 s23, exec_lo, s23
	s_cbranch_execz .LBB7_97
; %bb.77:
	v_cmp_ne_u16_e32 vcc_lo, 0x80, v3
	s_and_b32 s24, vcc_lo, exec_lo
	s_and_not1_saveexec_b32 s23, s23
	s_cbranch_execnz .LBB7_98
.LBB7_78:
	s_or_b32 exec_lo, exec_lo, s23
	v_mov_b32_e32 v1, 0
	s_and_saveexec_b32 s23, s24
	s_cbranch_execz .LBB7_80
.LBB7_79:
	v_and_b32_e32 v1, 0xffff, v3
	s_delay_alu instid0(VALU_DEP_1) | instskip(SKIP_1) | instid1(VALU_DEP_2)
	v_and_b32_e32 v6, 3, v1
	v_bfe_u32 v9, v1, 2, 5
	v_clz_i32_u32_e32 v7, v6
	s_delay_alu instid0(VALU_DEP_2) | instskip(NEXT) | instid1(VALU_DEP_2)
	v_cmp_eq_u32_e32 vcc_lo, 0, v9
	v_min_u32_e32 v7, 32, v7
	s_delay_alu instid0(VALU_DEP_1) | instskip(NEXT) | instid1(VALU_DEP_1)
	v_subrev_nc_u32_e32 v8, 29, v7
	v_dual_lshlrev_b32 v1, v8, v1 :: v_dual_sub_nc_u32 v7, 30, v7
	s_delay_alu instid0(VALU_DEP_1) | instskip(NEXT) | instid1(VALU_DEP_1)
	v_dual_lshlrev_b32 v3, 24, v3 :: v_dual_bitop2_b32 v1, 3, v1 bitop3:0x40
	v_dual_cndmask_b32 v1, v6, v1, vcc_lo :: v_dual_cndmask_b32 v7, v9, v7, vcc_lo
	s_delay_alu instid0(VALU_DEP_2) | instskip(NEXT) | instid1(VALU_DEP_2)
	v_and_b32_e32 v3, 0x80000000, v3
	v_lshlrev_b32_e32 v1, 21, v1
	s_delay_alu instid0(VALU_DEP_3) | instskip(NEXT) | instid1(VALU_DEP_1)
	v_lshl_add_u32 v6, v7, 23, 0x37800000
	v_or3_b32 v1, v3, v6, v1
	s_delay_alu instid0(VALU_DEP_1)
	v_cvt_i32_f32_e32 v1, v1
.LBB7_80:
	s_or_b32 exec_lo, exec_lo, s23
	s_mov_b32 s23, 0
	s_branch .LBB7_86
.LBB7_81:
	s_mov_b32 s24, -1
                                        ; implicit-def: $vgpr1
	s_branch .LBB7_92
.LBB7_82:
	s_and_not1_saveexec_b32 s23, s23
	s_cbranch_execz .LBB7_68
.LBB7_83:
	v_cmp_ne_u16_e32 vcc_lo, 0, v3
	s_and_not1_b32 s24, s24, exec_lo
	s_and_b32 s25, vcc_lo, exec_lo
	s_delay_alu instid0(SALU_CYCLE_1)
	s_or_b32 s24, s24, s25
	s_or_b32 exec_lo, exec_lo, s23
	v_mov_b32_e32 v1, 0
	s_and_saveexec_b32 s23, s24
	s_cbranch_execnz .LBB7_69
	s_branch .LBB7_70
.LBB7_84:
	s_mov_b32 s23, -1
                                        ; implicit-def: $vgpr1
	s_branch .LBB7_89
.LBB7_85:
	s_mov_b32 s23, -1
                                        ; implicit-def: $vgpr1
.LBB7_86:
	s_delay_alu instid0(SALU_CYCLE_1)
	s_and_b32 vcc_lo, exec_lo, s23
	s_cbranch_vccz .LBB7_88
; %bb.87:
	s_wait_loadcnt 0x0
	global_load_u8 v1, v[4:5], off
	s_wait_loadcnt 0x0
	v_lshlrev_b32_e32 v1, 24, v1
	s_delay_alu instid0(VALU_DEP_1) | instskip(NEXT) | instid1(VALU_DEP_1)
	v_and_b32_e32 v3, 0x7f000000, v1
	v_clz_i32_u32_e32 v6, v3
	v_cmp_ne_u32_e32 vcc_lo, 0, v3
	v_add_nc_u32_e32 v8, 0x1000000, v3
	s_delay_alu instid0(VALU_DEP_3) | instskip(NEXT) | instid1(VALU_DEP_1)
	v_min_u32_e32 v6, 32, v6
	v_sub_nc_u32_e64 v6, v6, 4 clamp
	s_delay_alu instid0(VALU_DEP_1) | instskip(NEXT) | instid1(VALU_DEP_1)
	v_dual_lshlrev_b32 v7, v6, v3 :: v_dual_lshlrev_b32 v6, 23, v6
	v_lshrrev_b32_e32 v7, 4, v7
	s_delay_alu instid0(VALU_DEP_1) | instskip(NEXT) | instid1(VALU_DEP_1)
	v_dual_sub_nc_u32 v6, v7, v6 :: v_dual_ashrrev_i32 v7, 8, v8
	v_add_nc_u32_e32 v6, 0x3c000000, v6
	s_delay_alu instid0(VALU_DEP_1) | instskip(NEXT) | instid1(VALU_DEP_1)
	v_and_or_b32 v6, 0x7f800000, v7, v6
	v_cndmask_b32_e32 v3, 0, v6, vcc_lo
	s_delay_alu instid0(VALU_DEP_1) | instskip(NEXT) | instid1(VALU_DEP_1)
	v_and_or_b32 v1, 0x80000000, v1, v3
	v_cvt_i32_f32_e32 v1, v1
.LBB7_88:
	s_mov_b32 s23, 0
.LBB7_89:
	s_delay_alu instid0(SALU_CYCLE_1)
	s_and_not1_b32 vcc_lo, exec_lo, s23
	s_cbranch_vccnz .LBB7_91
; %bb.90:
	s_wait_loadcnt 0x0
	global_load_u8 v1, v[4:5], off
	s_wait_loadcnt 0x0
	v_lshlrev_b32_e32 v3, 25, v1
	v_lshlrev_b16 v1, 8, v1
	s_delay_alu instid0(VALU_DEP_1) | instskip(SKIP_1) | instid1(VALU_DEP_2)
	v_and_or_b32 v7, 0x7f00, v1, 0.5
	v_bfe_i32 v1, v1, 0, 16
	v_add_f32_e32 v7, -0.5, v7
	v_lshrrev_b32_e32 v6, 4, v3
	v_cmp_gt_u32_e32 vcc_lo, 0x8000000, v3
	s_delay_alu instid0(VALU_DEP_2) | instskip(NEXT) | instid1(VALU_DEP_1)
	v_or_b32_e32 v6, 0x70000000, v6
	v_mul_f32_e32 v6, 0x7800000, v6
	s_delay_alu instid0(VALU_DEP_1) | instskip(NEXT) | instid1(VALU_DEP_1)
	v_cndmask_b32_e32 v3, v6, v7, vcc_lo
	v_and_or_b32 v1, 0x80000000, v1, v3
	s_delay_alu instid0(VALU_DEP_1)
	v_cvt_i32_f32_e32 v1, v1
.LBB7_91:
	s_mov_b32 s24, 0
	s_mov_b32 s23, -1
.LBB7_92:
	s_and_not1_b32 vcc_lo, exec_lo, s24
	s_cbranch_vccnz .LBB7_105
; %bb.93:
	s_cmp_gt_i32 s0, 14
	s_cbranch_scc0 .LBB7_96
; %bb.94:
	s_cmp_eq_u32 s0, 15
	s_cbranch_scc0 .LBB7_99
; %bb.95:
	s_wait_loadcnt 0x0
	global_load_u16 v1, v[4:5], off
	s_mov_b32 s23, -1
	s_mov_b32 s22, 0
	s_wait_loadcnt 0x0
	v_lshlrev_b32_e32 v1, 16, v1
	s_delay_alu instid0(VALU_DEP_1)
	v_cvt_i32_f32_e32 v1, v1
	s_branch .LBB7_100
.LBB7_96:
	s_mov_b32 s24, -1
                                        ; implicit-def: $vgpr1
	s_branch .LBB7_101
.LBB7_97:
	s_and_not1_saveexec_b32 s23, s23
	s_cbranch_execz .LBB7_78
.LBB7_98:
	v_cmp_ne_u16_e32 vcc_lo, 0, v3
	s_and_not1_b32 s24, s24, exec_lo
	s_and_b32 s25, vcc_lo, exec_lo
	s_delay_alu instid0(SALU_CYCLE_1)
	s_or_b32 s24, s24, s25
	s_or_b32 exec_lo, exec_lo, s23
	v_mov_b32_e32 v1, 0
	s_and_saveexec_b32 s23, s24
	s_cbranch_execnz .LBB7_79
	s_branch .LBB7_80
.LBB7_99:
	s_mov_b32 s22, -1
                                        ; implicit-def: $vgpr1
.LBB7_100:
	s_mov_b32 s24, 0
.LBB7_101:
	s_delay_alu instid0(SALU_CYCLE_1)
	s_and_b32 vcc_lo, exec_lo, s24
	s_cbranch_vccz .LBB7_105
; %bb.102:
	s_cmp_eq_u32 s0, 11
	s_cbranch_scc0 .LBB7_104
; %bb.103:
	s_wait_loadcnt 0x0
	global_load_u8 v1, v[4:5], off
	s_mov_b32 s22, 0
	s_mov_b32 s23, -1
	s_wait_loadcnt 0x0
	v_cmp_ne_u16_e32 vcc_lo, 0, v1
	v_cndmask_b32_e64 v1, 0, 1, vcc_lo
	s_branch .LBB7_105
.LBB7_104:
	s_mov_b32 s22, -1
                                        ; implicit-def: $vgpr1
.LBB7_105:
	s_branch .LBB7_25
.LBB7_106:
	s_cmp_lt_i32 s0, 5
	s_cbranch_scc1 .LBB7_111
; %bb.107:
	s_cmp_lt_i32 s0, 8
	s_cbranch_scc1 .LBB7_112
; %bb.108:
	;; [unrolled: 3-line block ×3, first 2 shown]
	s_cmp_gt_i32 s0, 9
	s_cbranch_scc0 .LBB7_114
; %bb.110:
	global_load_b64 v[6:7], v[4:5], off
	s_mov_b32 s23, 0
	s_wait_loadcnt 0x0
	v_cvt_i32_f64_e32 v1, v[6:7]
	s_branch .LBB7_115
.LBB7_111:
                                        ; implicit-def: $vgpr1
	s_branch .LBB7_133
.LBB7_112:
	s_mov_b32 s23, -1
                                        ; implicit-def: $vgpr1
	s_branch .LBB7_121
.LBB7_113:
	s_mov_b32 s23, -1
                                        ; implicit-def: $vgpr1
	s_branch .LBB7_118
.LBB7_114:
	s_mov_b32 s23, -1
                                        ; implicit-def: $vgpr1
.LBB7_115:
	s_delay_alu instid0(SALU_CYCLE_1)
	s_and_not1_b32 vcc_lo, exec_lo, s23
	s_cbranch_vccnz .LBB7_117
; %bb.116:
	s_wait_loadcnt 0x0
	global_load_b32 v1, v[4:5], off
	s_wait_loadcnt 0x0
	v_cvt_i32_f32_e32 v1, v1
.LBB7_117:
	s_mov_b32 s23, 0
.LBB7_118:
	s_delay_alu instid0(SALU_CYCLE_1)
	s_and_not1_b32 vcc_lo, exec_lo, s23
	s_cbranch_vccnz .LBB7_120
; %bb.119:
	s_wait_loadcnt 0x0
	global_load_b32 v1, v[4:5], off
	s_wait_loadcnt 0x0
	v_cvt_f32_f16_e32 v1, v1
	s_delay_alu instid0(VALU_DEP_1)
	v_cvt_i32_f32_e32 v1, v1
.LBB7_120:
	s_mov_b32 s23, 0
.LBB7_121:
	s_delay_alu instid0(SALU_CYCLE_1)
	s_and_not1_b32 vcc_lo, exec_lo, s23
	s_cbranch_vccnz .LBB7_132
; %bb.122:
	s_cmp_lt_i32 s0, 6
	s_cbranch_scc1 .LBB7_125
; %bb.123:
	s_cmp_gt_i32 s0, 6
	s_cbranch_scc0 .LBB7_126
; %bb.124:
	global_load_b64 v[6:7], v[4:5], off
	s_mov_b32 s23, 0
	s_wait_loadcnt 0x0
	v_cvt_i32_f64_e32 v1, v[6:7]
	s_branch .LBB7_127
.LBB7_125:
	s_mov_b32 s23, -1
                                        ; implicit-def: $vgpr1
	s_branch .LBB7_130
.LBB7_126:
	s_mov_b32 s23, -1
                                        ; implicit-def: $vgpr1
.LBB7_127:
	s_delay_alu instid0(SALU_CYCLE_1)
	s_and_not1_b32 vcc_lo, exec_lo, s23
	s_cbranch_vccnz .LBB7_129
; %bb.128:
	s_wait_loadcnt 0x0
	global_load_b32 v1, v[4:5], off
	s_wait_loadcnt 0x0
	v_cvt_i32_f32_e32 v1, v1
.LBB7_129:
	s_mov_b32 s23, 0
.LBB7_130:
	s_delay_alu instid0(SALU_CYCLE_1)
	s_and_not1_b32 vcc_lo, exec_lo, s23
	s_cbranch_vccnz .LBB7_132
; %bb.131:
	s_wait_loadcnt 0x0
	global_load_u16 v1, v[4:5], off
	s_wait_loadcnt 0x0
	v_cvt_f32_f16_e32 v1, v1
	s_delay_alu instid0(VALU_DEP_1)
	v_cvt_i32_f32_e32 v1, v1
.LBB7_132:
	s_cbranch_execnz .LBB7_152
.LBB7_133:
	s_cmp_lt_i32 s0, 2
	s_cbranch_scc1 .LBB7_137
; %bb.134:
	s_cmp_lt_i32 s0, 3
	s_cbranch_scc1 .LBB7_138
; %bb.135:
	s_cmp_gt_i32 s0, 3
	s_cbranch_scc0 .LBB7_139
; %bb.136:
	s_wait_loadcnt 0x0
	global_load_b32 v1, v[4:5], off
	s_mov_b32 s23, 0
	s_branch .LBB7_140
.LBB7_137:
	s_mov_b32 s23, -1
                                        ; implicit-def: $vgpr1
	s_branch .LBB7_146
.LBB7_138:
	s_mov_b32 s23, -1
                                        ; implicit-def: $vgpr1
	s_branch .LBB7_143
.LBB7_139:
	s_mov_b32 s23, -1
                                        ; implicit-def: $vgpr1
.LBB7_140:
	s_delay_alu instid0(SALU_CYCLE_1)
	s_and_not1_b32 vcc_lo, exec_lo, s23
	s_cbranch_vccnz .LBB7_142
; %bb.141:
	s_wait_loadcnt 0x0
	global_load_b32 v1, v[4:5], off
.LBB7_142:
	s_mov_b32 s23, 0
.LBB7_143:
	s_delay_alu instid0(SALU_CYCLE_1)
	s_and_not1_b32 vcc_lo, exec_lo, s23
	s_cbranch_vccnz .LBB7_145
; %bb.144:
	s_wait_loadcnt 0x0
	global_load_i16 v1, v[4:5], off
.LBB7_145:
	s_mov_b32 s23, 0
.LBB7_146:
	s_delay_alu instid0(SALU_CYCLE_1)
	s_and_not1_b32 vcc_lo, exec_lo, s23
	s_cbranch_vccnz .LBB7_152
; %bb.147:
	s_cmp_gt_i32 s0, 0
	s_mov_b32 s0, 0
	s_cbranch_scc0 .LBB7_149
; %bb.148:
	s_wait_loadcnt 0x0
	global_load_i8 v1, v[4:5], off
	s_branch .LBB7_150
.LBB7_149:
	s_mov_b32 s0, -1
                                        ; implicit-def: $vgpr1
.LBB7_150:
	s_delay_alu instid0(SALU_CYCLE_1)
	s_and_not1_b32 vcc_lo, exec_lo, s0
	s_cbranch_vccnz .LBB7_152
; %bb.151:
	s_wait_loadcnt 0x0
	global_load_u8 v1, v[4:5], off
.LBB7_152:
	s_branch .LBB7_26
.LBB7_153:
	s_mov_b32 s23, 0
	s_mov_b32 s24, 0
	;; [unrolled: 1-line block ×3, first 2 shown]
                                        ; implicit-def: $vgpr0
	s_branch .LBB7_235
.LBB7_154:
	s_mov_b32 s27, -1
	s_mov_b32 s26, 0
.LBB7_155:
	s_and_b32 vcc_lo, exec_lo, s27
	s_cbranch_vccz .LBB7_158
; %bb.156:
	s_cmp_eq_u32 s25, 44
	s_mov_b32 s23, -1
	s_cbranch_scc0 .LBB7_158
; %bb.157:
	s_wait_xcnt 0x0
	v_mov_b32_e32 v1, 0
	s_mov_b32 s26, -1
	s_mov_b32 s23, 0
	s_mov_b32 s27, 0
	global_store_b8 v[2:3], v1, off
	s_branch .LBB7_159
.LBB7_158:
	s_mov_b32 s27, 0
.LBB7_159:
	s_delay_alu instid0(SALU_CYCLE_1)
	s_and_b32 vcc_lo, exec_lo, s27
	s_cbranch_vccz .LBB7_162
; %bb.160:
	s_cmp_eq_u32 s25, 29
	s_mov_b32 s23, -1
	s_cbranch_scc0 .LBB7_162
; %bb.161:
	v_mov_b64_e32 v[4:5], 0
	s_mov_b32 s26, -1
	s_mov_b32 s23, 0
	s_mov_b32 s27, 0
	global_store_b64 v[2:3], v[4:5], off
	s_branch .LBB7_163
.LBB7_162:
	s_mov_b32 s27, 0
.LBB7_163:
	s_delay_alu instid0(SALU_CYCLE_1)
	s_and_b32 vcc_lo, exec_lo, s27
	s_cbranch_vccz .LBB7_173
; %bb.164:
	s_cmp_lt_i32 s25, 27
	s_mov_b32 s26, -1
	s_cbranch_scc1 .LBB7_170
; %bb.165:
	s_cmp_gt_i32 s25, 27
	s_cbranch_scc0 .LBB7_167
; %bb.166:
	s_wait_xcnt 0x0
	v_mov_b32_e32 v1, 0
	s_mov_b32 s26, 0
	global_store_b32 v[2:3], v1, off
.LBB7_167:
	s_and_not1_b32 vcc_lo, exec_lo, s26
	s_cbranch_vccnz .LBB7_169
; %bb.168:
	s_wait_xcnt 0x0
	v_mov_b32_e32 v1, 0
	global_store_b16 v[2:3], v1, off
.LBB7_169:
	s_mov_b32 s26, 0
.LBB7_170:
	s_delay_alu instid0(SALU_CYCLE_1)
	s_and_not1_b32 vcc_lo, exec_lo, s26
	s_cbranch_vccnz .LBB7_172
; %bb.171:
	s_wait_xcnt 0x0
	v_mov_b32_e32 v1, 0
	global_store_b8 v[2:3], v1, off
.LBB7_172:
	s_mov_b32 s26, -1
.LBB7_173:
	s_mov_b32 s27, 0
.LBB7_174:
	s_delay_alu instid0(SALU_CYCLE_1)
	s_and_b32 vcc_lo, exec_lo, s27
	s_cbranch_vccz .LBB7_193
; %bb.175:
	s_cmp_gt_i32 s25, 22
	s_mov_b32 s27, -1
	s_cbranch_scc0 .LBB7_185
; %bb.176:
	s_cmp_lt_i32 s25, 24
	s_mov_b32 s26, -1
	s_cbranch_scc1 .LBB7_182
; %bb.177:
	s_cmp_gt_i32 s25, 24
	s_cbranch_scc0 .LBB7_179
; %bb.178:
	s_wait_xcnt 0x0
	v_mov_b32_e32 v1, 0
	s_mov_b32 s26, 0
	global_store_b8 v[2:3], v1, off
.LBB7_179:
	s_and_not1_b32 vcc_lo, exec_lo, s26
	s_cbranch_vccnz .LBB7_181
; %bb.180:
	s_wait_xcnt 0x0
	v_mov_b32_e32 v1, 0
	global_store_b8 v[2:3], v1, off
.LBB7_181:
	s_mov_b32 s26, 0
.LBB7_182:
	s_delay_alu instid0(SALU_CYCLE_1)
	s_and_not1_b32 vcc_lo, exec_lo, s26
	s_cbranch_vccnz .LBB7_184
; %bb.183:
	s_wait_xcnt 0x0
	v_mov_b32_e32 v1, 0
	global_store_b8 v[2:3], v1, off
.LBB7_184:
	s_mov_b32 s27, 0
	s_mov_b32 s26, -1
.LBB7_185:
	s_and_not1_b32 vcc_lo, exec_lo, s27
	s_cbranch_vccnz .LBB7_193
; %bb.186:
	s_cmp_gt_i32 s25, 14
	s_mov_b32 s27, -1
	s_cbranch_scc0 .LBB7_190
; %bb.187:
	s_cmp_eq_u32 s25, 15
	s_mov_b32 s23, -1
	s_cbranch_scc0 .LBB7_189
; %bb.188:
	s_wait_xcnt 0x0
	v_mov_b32_e32 v1, 0
	s_mov_b32 s26, -1
	s_mov_b32 s23, 0
	global_store_b16 v[2:3], v1, off
.LBB7_189:
	s_mov_b32 s27, 0
.LBB7_190:
	s_delay_alu instid0(SALU_CYCLE_1)
	s_and_b32 vcc_lo, exec_lo, s27
	s_cbranch_vccz .LBB7_193
; %bb.191:
	s_cmp_eq_u32 s25, 11
	s_mov_b32 s23, -1
	s_cbranch_scc0 .LBB7_193
; %bb.192:
	s_wait_xcnt 0x0
	v_mov_b32_e32 v1, 0
	s_mov_b32 s26, -1
	s_mov_b32 s23, 0
	global_store_b8 v[2:3], v1, off
.LBB7_193:
	s_branch .LBB7_36
.LBB7_194:
	s_and_b32 s24, 0xffff, s24
	s_mov_b32 s25, -1
	s_cmp_lt_i32 s24, 5
	s_cbranch_scc1 .LBB7_215
; %bb.195:
	s_cmp_lt_i32 s24, 8
	s_cbranch_scc1 .LBB7_205
; %bb.196:
	;; [unrolled: 3-line block ×3, first 2 shown]
	s_cmp_gt_i32 s24, 9
	s_cbranch_scc0 .LBB7_199
; %bb.198:
	s_wait_xcnt 0x0
	v_mov_b32_e32 v4, 0
	s_mov_b32 s25, 0
	s_delay_alu instid0(VALU_DEP_1)
	v_dual_mov_b32 v5, v4 :: v_dual_mov_b32 v6, v4
	v_mov_b32_e32 v7, v4
	global_store_b128 v[2:3], v[4:7], off
.LBB7_199:
	s_and_not1_b32 vcc_lo, exec_lo, s25
	s_cbranch_vccnz .LBB7_201
; %bb.200:
	s_wait_xcnt 0x0
	v_mov_b64_e32 v[4:5], 0
	global_store_b64 v[2:3], v[4:5], off
.LBB7_201:
	s_mov_b32 s25, 0
.LBB7_202:
	s_delay_alu instid0(SALU_CYCLE_1)
	s_and_not1_b32 vcc_lo, exec_lo, s25
	s_cbranch_vccnz .LBB7_204
; %bb.203:
	s_wait_xcnt 0x0
	v_mov_b32_e32 v1, 0
	global_store_b32 v[2:3], v1, off
.LBB7_204:
	s_mov_b32 s25, 0
.LBB7_205:
	s_delay_alu instid0(SALU_CYCLE_1)
	s_and_not1_b32 vcc_lo, exec_lo, s25
	s_cbranch_vccnz .LBB7_214
; %bb.206:
	s_cmp_lt_i32 s24, 6
	s_mov_b32 s25, -1
	s_cbranch_scc1 .LBB7_212
; %bb.207:
	s_cmp_gt_i32 s24, 6
	s_cbranch_scc0 .LBB7_209
; %bb.208:
	s_wait_xcnt 0x0
	v_mov_b64_e32 v[4:5], 0
	s_mov_b32 s25, 0
	global_store_b64 v[2:3], v[4:5], off
.LBB7_209:
	s_and_not1_b32 vcc_lo, exec_lo, s25
	s_cbranch_vccnz .LBB7_211
; %bb.210:
	s_wait_xcnt 0x0
	v_mov_b32_e32 v1, 0
	global_store_b32 v[2:3], v1, off
.LBB7_211:
	s_mov_b32 s25, 0
.LBB7_212:
	s_delay_alu instid0(SALU_CYCLE_1)
	s_and_not1_b32 vcc_lo, exec_lo, s25
	s_cbranch_vccnz .LBB7_214
; %bb.213:
	s_wait_xcnt 0x0
	v_mov_b32_e32 v1, 0
	global_store_b16 v[2:3], v1, off
.LBB7_214:
	s_mov_b32 s25, 0
.LBB7_215:
	s_delay_alu instid0(SALU_CYCLE_1)
	s_and_not1_b32 vcc_lo, exec_lo, s25
	s_cbranch_vccnz .LBB7_231
; %bb.216:
	s_cmp_lt_i32 s24, 2
	s_mov_b32 s25, -1
	s_cbranch_scc1 .LBB7_226
; %bb.217:
	s_cmp_lt_i32 s24, 3
	s_cbranch_scc1 .LBB7_223
; %bb.218:
	s_cmp_gt_i32 s24, 3
	s_cbranch_scc0 .LBB7_220
; %bb.219:
	s_wait_xcnt 0x0
	v_mov_b64_e32 v[4:5], 0
	s_mov_b32 s25, 0
	global_store_b64 v[2:3], v[4:5], off
.LBB7_220:
	s_and_not1_b32 vcc_lo, exec_lo, s25
	s_cbranch_vccnz .LBB7_222
; %bb.221:
	s_wait_xcnt 0x0
	v_mov_b32_e32 v1, 0
	global_store_b32 v[2:3], v1, off
.LBB7_222:
	s_mov_b32 s25, 0
.LBB7_223:
	s_delay_alu instid0(SALU_CYCLE_1)
	s_and_not1_b32 vcc_lo, exec_lo, s25
	s_cbranch_vccnz .LBB7_225
; %bb.224:
	s_wait_xcnt 0x0
	v_mov_b32_e32 v1, 0
	global_store_b16 v[2:3], v1, off
.LBB7_225:
	s_mov_b32 s25, 0
.LBB7_226:
	s_delay_alu instid0(SALU_CYCLE_1)
	s_and_not1_b32 vcc_lo, exec_lo, s25
	s_cbranch_vccnz .LBB7_231
; %bb.227:
	s_cmp_gt_i32 s24, 0
	s_mov_b32 s24, -1
	s_cbranch_scc0 .LBB7_229
; %bb.228:
	s_wait_xcnt 0x0
	v_mov_b32_e32 v1, 0
	s_mov_b32 s24, 0
	global_store_b8 v[2:3], v1, off
.LBB7_229:
	s_and_not1_b32 vcc_lo, exec_lo, s24
	s_cbranch_vccnz .LBB7_231
; %bb.230:
	s_wait_xcnt 0x0
	v_mov_b32_e32 v1, 0
	global_store_b8 v[2:3], v1, off
.LBB7_231:
	s_branch .LBB7_37
.LBB7_232:
	s_mov_b32 s26, 0
                                        ; implicit-def: $vgpr0
.LBB7_233:
	s_and_b32 s25, s23, exec_lo
	s_xor_b32 s24, exec_lo, -1
	s_and_b32 s23, s26, exec_lo
.LBB7_234:
	s_wait_xcnt 0x0
	s_or_b32 exec_lo, exec_lo, s0
.LBB7_235:
	s_delay_alu instid0(SALU_CYCLE_1)
	s_and_b32 s42, s25, exec_lo
	s_and_b32 s43, s24, exec_lo
	s_and_b32 s44, s22, exec_lo
	s_or_not1_b32 s22, s23, exec_lo
.LBB7_236:
	s_wait_xcnt 0x0
	s_or_b32 exec_lo, exec_lo, s45
	s_mov_b32 s23, 0
	s_mov_b32 s0, 0
                                        ; implicit-def: $vgpr4_vgpr5
                                        ; implicit-def: $vgpr2
                                        ; implicit-def: $vgpr1
	s_and_saveexec_b32 s45, s22
	s_cbranch_execz .LBB7_244
; %bb.237:
	s_mov_b32 s0, -1
	s_mov_b32 s46, s44
	s_mov_b32 s48, s43
	;; [unrolled: 1-line block ×3, first 2 shown]
	s_mov_b32 s49, exec_lo
	v_cmpx_gt_i32_e64 s39, v0
	s_cbranch_execz .LBB7_479
; %bb.238:
	s_and_not1_b32 vcc_lo, exec_lo, s31
	s_cbranch_vccnz .LBB7_247
; %bb.239:
	s_and_not1_b32 vcc_lo, exec_lo, s41
	s_cbranch_vccnz .LBB7_248
; %bb.240:
	s_add_co_i32 s0, s40, 1
	s_cmp_eq_u32 s29, 2
	s_cbranch_scc1 .LBB7_249
; %bb.241:
	v_dual_mov_b32 v2, 0 :: v_dual_mov_b32 v4, 0
	s_wait_loadcnt 0x0
	v_mov_b32_e32 v1, v0
	s_and_b32 s22, s0, 28
	s_mov_b64 s[24:25], s[2:3]
	s_mov_b64 s[26:27], s[20:21]
.LBB7_242:                              ; =>This Inner Loop Header: Depth=1
	s_clause 0x1
	s_load_b256 s[52:59], s[24:25], 0x4
	s_load_b128 s[68:71], s[24:25], 0x24
	s_load_b256 s[60:67], s[26:27], 0x0
	s_add_co_i32 s23, s23, 4
	s_wait_xcnt 0x0
	s_add_nc_u64 s[24:25], s[24:25], 48
	s_cmp_eq_u32 s22, s23
	s_add_nc_u64 s[26:27], s[26:27], 32
	s_wait_kmcnt 0x0
	v_mul_hi_u32 v3, s53, v1
	s_delay_alu instid0(VALU_DEP_1) | instskip(NEXT) | instid1(VALU_DEP_1)
	v_add_nc_u32_e32 v3, v1, v3
	v_lshrrev_b32_e32 v3, s54, v3
	s_delay_alu instid0(VALU_DEP_1) | instskip(NEXT) | instid1(VALU_DEP_1)
	v_mul_hi_u32 v5, s56, v3
	v_add_nc_u32_e32 v5, v3, v5
	s_delay_alu instid0(VALU_DEP_1) | instskip(NEXT) | instid1(VALU_DEP_1)
	v_lshrrev_b32_e32 v5, s57, v5
	v_mul_hi_u32 v6, s59, v5
	s_delay_alu instid0(VALU_DEP_1) | instskip(SKIP_1) | instid1(VALU_DEP_1)
	v_add_nc_u32_e32 v6, v5, v6
	v_mul_lo_u32 v7, v3, s52
	v_sub_nc_u32_e32 v1, v1, v7
	v_mul_lo_u32 v7, v5, s55
	s_delay_alu instid0(VALU_DEP_4) | instskip(NEXT) | instid1(VALU_DEP_3)
	v_lshrrev_b32_e32 v6, s68, v6
	v_mad_u32 v4, v1, s61, v4
	v_mad_u32 v1, v1, s60, v2
	s_delay_alu instid0(VALU_DEP_4) | instskip(NEXT) | instid1(VALU_DEP_4)
	v_sub_nc_u32_e32 v2, v3, v7
	v_mul_hi_u32 v8, s70, v6
	v_mul_lo_u32 v3, v6, s58
	s_delay_alu instid0(VALU_DEP_3) | instskip(SKIP_1) | instid1(VALU_DEP_3)
	v_mad_u32 v4, v2, s63, v4
	v_mad_u32 v2, v2, s62, v1
	v_dual_add_nc_u32 v7, v6, v8 :: v_dual_sub_nc_u32 v3, v5, v3
	s_delay_alu instid0(VALU_DEP_1) | instskip(NEXT) | instid1(VALU_DEP_2)
	v_lshrrev_b32_e32 v1, s71, v7
	v_mad_u32 v4, v3, s65, v4
	s_delay_alu instid0(VALU_DEP_4) | instskip(NEXT) | instid1(VALU_DEP_3)
	v_mad_u32 v2, v3, s64, v2
	v_mul_lo_u32 v5, v1, s69
	s_delay_alu instid0(VALU_DEP_1) | instskip(NEXT) | instid1(VALU_DEP_1)
	v_sub_nc_u32_e32 v3, v6, v5
	v_mad_u32 v4, v3, s67, v4
	s_delay_alu instid0(VALU_DEP_4)
	v_mad_u32 v2, v3, s66, v2
	s_cbranch_scc0 .LBB7_242
; %bb.243:
	s_delay_alu instid0(VALU_DEP_2)
	v_mov_b32_e32 v3, v4
	s_branch .LBB7_250
.LBB7_244:
	s_or_b32 exec_lo, exec_lo, s45
	s_mov_b32 s1, 0
	s_and_saveexec_b32 s6, s44
	s_cbranch_execnz .LBB7_817
.LBB7_245:
	s_or_b32 exec_lo, exec_lo, s6
	s_and_saveexec_b32 s6, s17
	s_delay_alu instid0(SALU_CYCLE_1)
	s_xor_b32 s6, exec_lo, s6
	s_cbranch_execz .LBB7_818
.LBB7_246:
	global_load_u8 v0, v[4:5], off
	s_or_b32 s0, s0, exec_lo
	s_wait_loadcnt 0x0
	v_cmp_ne_u16_e32 vcc_lo, 0, v0
	v_cndmask_b32_e64 v1, 0, 1, vcc_lo
	s_wait_xcnt 0x0
	s_or_b32 exec_lo, exec_lo, s6
	s_and_saveexec_b32 s6, s23
	s_cbranch_execz .LBB7_864
	s_branch .LBB7_819
.LBB7_247:
                                        ; implicit-def: $vgpr4
                                        ; implicit-def: $vgpr2
	s_and_not1_b32 vcc_lo, exec_lo, s0
	s_cbranch_vccnz .LBB7_257
	s_branch .LBB7_255
.LBB7_248:
	v_dual_mov_b32 v4, 0 :: v_dual_mov_b32 v2, 0
	s_branch .LBB7_254
.LBB7_249:
	v_mov_b64_e32 v[2:3], 0
	s_wait_loadcnt 0x0
	v_mov_b32_e32 v1, v0
	s_mov_b32 s22, 0
                                        ; implicit-def: $vgpr4
.LBB7_250:
	s_and_b32 s0, s0, 3
	s_mov_b32 s23, 0
	s_cmp_eq_u32 s0, 0
	s_cbranch_scc1 .LBB7_254
; %bb.251:
	s_lshl_b32 s24, s22, 3
	s_mov_b32 s25, s23
	s_mul_u64 s[26:27], s[22:23], 12
	s_add_nc_u64 s[24:25], s[2:3], s[24:25]
	s_delay_alu instid0(SALU_CYCLE_1)
	s_add_nc_u64 s[22:23], s[24:25], 0xc4
	s_add_nc_u64 s[24:25], s[2:3], s[26:27]
.LBB7_252:                              ; =>This Inner Loop Header: Depth=1
	s_load_b96 s[52:54], s[24:25], 0x4
	s_load_b64 s[26:27], s[22:23], 0x0
	s_add_co_i32 s0, s0, -1
	s_wait_xcnt 0x0
	s_add_nc_u64 s[24:25], s[24:25], 12
	s_cmp_lg_u32 s0, 0
	s_add_nc_u64 s[22:23], s[22:23], 8
	s_wait_kmcnt 0x0
	v_mul_hi_u32 v4, s53, v1
	s_delay_alu instid0(VALU_DEP_1) | instskip(NEXT) | instid1(VALU_DEP_1)
	v_add_nc_u32_e32 v4, v1, v4
	v_lshrrev_b32_e32 v4, s54, v4
	s_delay_alu instid0(VALU_DEP_1) | instskip(NEXT) | instid1(VALU_DEP_1)
	v_mul_lo_u32 v5, v4, s52
	v_sub_nc_u32_e32 v1, v1, v5
	s_delay_alu instid0(VALU_DEP_1)
	v_mad_u32 v3, v1, s27, v3
	v_mad_u32 v2, v1, s26, v2
	v_mov_b32_e32 v1, v4
	s_cbranch_scc1 .LBB7_252
; %bb.253:
	s_delay_alu instid0(VALU_DEP_3)
	v_mov_b32_e32 v4, v3
.LBB7_254:
	s_cbranch_execnz .LBB7_257
.LBB7_255:
	s_wait_loadcnt 0x0
	v_mov_b32_e32 v1, 0
	s_and_not1_b32 vcc_lo, exec_lo, s38
	s_delay_alu instid0(VALU_DEP_1) | instskip(NEXT) | instid1(VALU_DEP_1)
	v_mul_u64_e32 v[2:3], s[16:17], v[0:1]
	v_add_nc_u32_e32 v2, v0, v3
	s_delay_alu instid0(VALU_DEP_1) | instskip(NEXT) | instid1(VALU_DEP_1)
	v_lshrrev_b32_e32 v6, s10, v2
	v_mul_lo_u32 v2, v6, s8
	s_delay_alu instid0(VALU_DEP_1) | instskip(NEXT) | instid1(VALU_DEP_1)
	v_sub_nc_u32_e32 v2, v0, v2
	v_mul_lo_u32 v4, v2, s13
	v_mul_lo_u32 v2, v2, s12
	s_cbranch_vccnz .LBB7_257
; %bb.256:
	v_mov_b32_e32 v7, v1
	s_delay_alu instid0(VALU_DEP_1) | instskip(NEXT) | instid1(VALU_DEP_1)
	v_mul_u64_e32 v[8:9], s[18:19], v[6:7]
	v_add_nc_u32_e32 v1, v6, v9
	s_delay_alu instid0(VALU_DEP_1) | instskip(NEXT) | instid1(VALU_DEP_1)
	v_lshrrev_b32_e32 v1, s1, v1
	v_mul_lo_u32 v1, v1, s11
	s_delay_alu instid0(VALU_DEP_1) | instskip(NEXT) | instid1(VALU_DEP_1)
	v_sub_nc_u32_e32 v1, v6, v1
	v_mad_u32 v2, v1, s14, v2
	v_mad_u32 v4, v1, s15, v4
.LBB7_257:
	v_mov_b32_e32 v5, 0
	s_and_b32 s0, 0xffff, s37
	s_delay_alu instid0(SALU_CYCLE_1) | instskip(NEXT) | instid1(VALU_DEP_1)
	s_cmp_lt_i32 s0, 11
	v_add_nc_u64_e32 v[4:5], s[6:7], v[4:5]
	s_cbranch_scc1 .LBB7_264
; %bb.258:
	s_cmp_gt_i32 s0, 25
	s_cbranch_scc0 .LBB7_274
; %bb.259:
	s_cmp_gt_i32 s0, 28
	s_cbranch_scc0 .LBB7_276
; %bb.260:
	s_cmp_gt_i32 s0, 43
	s_cbranch_scc0 .LBB7_278
; %bb.261:
	s_cmp_gt_i32 s0, 45
	s_cbranch_scc0 .LBB7_280
; %bb.262:
	s_cmp_eq_u32 s0, 46
	s_mov_b32 s24, 0
	s_cbranch_scc0 .LBB7_282
; %bb.263:
	s_wait_loadcnt 0x0
	global_load_b32 v1, v[4:5], off
	s_mov_b32 s23, -1
	s_mov_b32 s22, 0
	s_wait_loadcnt 0x0
	v_lshlrev_b32_e32 v1, 16, v1
	s_delay_alu instid0(VALU_DEP_1)
	v_cvt_i32_f32_e32 v1, v1
	s_branch .LBB7_284
.LBB7_264:
	s_mov_b32 s23, 0
	s_mov_b32 s22, s44
                                        ; implicit-def: $vgpr1
	s_cbranch_execnz .LBB7_345
.LBB7_265:
	s_and_not1_b32 vcc_lo, exec_lo, s23
	s_cbranch_vccnz .LBB7_393
.LBB7_266:
	s_wait_loadcnt 0x0
	s_delay_alu instid0(VALU_DEP_1)
	v_cmp_le_i32_e32 vcc_lo, s35, v1
	v_cmp_gt_i32_e64 s0, s36, v1
	s_mov_b32 s23, 0
	s_mov_b32 s24, -1
	s_mov_b32 s25, s42
	s_and_b32 s0, vcc_lo, s0
	s_delay_alu instid0(SALU_CYCLE_1)
	s_and_b32 s26, s9, s0
	s_wait_xcnt 0x0
	s_and_saveexec_b32 s0, s26
	s_cbranch_execz .LBB7_477
; %bb.267:
	v_mov_b32_e32 v3, 0
	s_and_b32 s24, s34, 0xff
	s_delay_alu instid0(SALU_CYCLE_1) | instskip(NEXT) | instid1(VALU_DEP_1)
	s_cmp_lt_i32 s24, 11
	v_add_nc_u64_e32 v[2:3], s[4:5], v[2:3]
	s_cbranch_scc1 .LBB7_275
; %bb.268:
	s_and_b32 s25, 0xffff, s24
	s_delay_alu instid0(SALU_CYCLE_1)
	s_cmp_gt_i32 s25, 25
	s_cbranch_scc0 .LBB7_277
; %bb.269:
	s_cmp_gt_i32 s25, 28
	s_cbranch_scc0 .LBB7_279
; %bb.270:
	;; [unrolled: 3-line block ×4, first 2 shown]
	s_mov_b32 s27, 0
	s_mov_b32 s23, -1
	s_cmp_eq_u32 s25, 46
	s_mov_b32 s26, 0
	s_cbranch_scc0 .LBB7_395
; %bb.273:
	v_mov_b32_e32 v1, 0
	s_mov_b32 s26, -1
	s_mov_b32 s23, 0
	global_store_b32 v[2:3], v1, off
	s_branch .LBB7_395
.LBB7_274:
	s_mov_b32 s24, -1
	s_mov_b32 s23, 0
	s_mov_b32 s22, s44
                                        ; implicit-def: $vgpr1
	s_branch .LBB7_311
.LBB7_275:
	s_mov_b32 s25, -1
	s_mov_b32 s26, 0
	s_mov_b32 s23, s42
	s_branch .LBB7_434
.LBB7_276:
	s_mov_b32 s24, -1
	s_mov_b32 s23, 0
	s_mov_b32 s22, s44
                                        ; implicit-def: $vgpr1
	s_branch .LBB7_294
.LBB7_277:
	s_mov_b32 s27, -1
	s_mov_b32 s26, 0
	s_mov_b32 s23, s42
	s_branch .LBB7_414
.LBB7_278:
	s_mov_b32 s24, -1
	s_mov_b32 s23, 0
	s_mov_b32 s22, s44
                                        ; implicit-def: $vgpr1
	s_branch .LBB7_289
.LBB7_279:
	s_mov_b32 s27, -1
	s_mov_b32 s26, 0
	s_mov_b32 s23, s42
	s_branch .LBB7_403
.LBB7_280:
	s_mov_b32 s24, -1
	s_mov_b32 s23, 0
	s_mov_b32 s22, s44
	s_branch .LBB7_283
.LBB7_281:
	s_mov_b32 s27, -1
	s_mov_b32 s26, 0
	s_mov_b32 s23, s42
	s_branch .LBB7_399
.LBB7_282:
	s_mov_b32 s22, -1
	s_mov_b32 s23, 0
.LBB7_283:
                                        ; implicit-def: $vgpr1
.LBB7_284:
	s_and_b32 vcc_lo, exec_lo, s24
	s_cbranch_vccz .LBB7_288
; %bb.285:
	s_cmp_eq_u32 s0, 44
	s_cbranch_scc0 .LBB7_287
; %bb.286:
	s_wait_loadcnt 0x0
	global_load_u8 v1, v[4:5], off
	s_mov_b32 s22, 0
	s_mov_b32 s23, -1
	s_wait_loadcnt 0x0
	v_lshlrev_b32_e32 v3, 23, v1
	v_cmp_ne_u32_e32 vcc_lo, 0, v1
	s_delay_alu instid0(VALU_DEP_2) | instskip(NEXT) | instid1(VALU_DEP_1)
	v_cvt_i32_f32_e32 v3, v3
	v_cndmask_b32_e32 v1, 0, v3, vcc_lo
	s_branch .LBB7_288
.LBB7_287:
	s_mov_b32 s22, -1
                                        ; implicit-def: $vgpr1
.LBB7_288:
	s_mov_b32 s24, 0
.LBB7_289:
	s_delay_alu instid0(SALU_CYCLE_1)
	s_and_b32 vcc_lo, exec_lo, s24
	s_cbranch_vccz .LBB7_293
; %bb.290:
	s_cmp_eq_u32 s0, 29
	s_cbranch_scc0 .LBB7_292
; %bb.291:
	s_wait_loadcnt 0x0
	global_load_b32 v1, v[4:5], off
	s_mov_b32 s23, -1
	s_mov_b32 s22, 0
	s_branch .LBB7_293
.LBB7_292:
	s_mov_b32 s22, -1
                                        ; implicit-def: $vgpr1
.LBB7_293:
	s_mov_b32 s24, 0
.LBB7_294:
	s_delay_alu instid0(SALU_CYCLE_1)
	s_and_b32 vcc_lo, exec_lo, s24
	s_cbranch_vccz .LBB7_310
; %bb.295:
	s_cmp_lt_i32 s0, 27
	s_cbranch_scc1 .LBB7_298
; %bb.296:
	s_cmp_gt_i32 s0, 27
	s_cbranch_scc0 .LBB7_299
; %bb.297:
	s_wait_loadcnt 0x0
	global_load_b32 v1, v[4:5], off
	s_mov_b32 s23, 0
	s_branch .LBB7_300
.LBB7_298:
	s_mov_b32 s23, -1
                                        ; implicit-def: $vgpr1
	s_branch .LBB7_303
.LBB7_299:
	s_mov_b32 s23, -1
                                        ; implicit-def: $vgpr1
.LBB7_300:
	s_delay_alu instid0(SALU_CYCLE_1)
	s_and_not1_b32 vcc_lo, exec_lo, s23
	s_cbranch_vccnz .LBB7_302
; %bb.301:
	s_wait_loadcnt 0x0
	global_load_u16 v1, v[4:5], off
.LBB7_302:
	s_mov_b32 s23, 0
.LBB7_303:
	s_delay_alu instid0(SALU_CYCLE_1)
	s_and_not1_b32 vcc_lo, exec_lo, s23
	s_cbranch_vccnz .LBB7_309
; %bb.304:
	global_load_u8 v3, v[4:5], off
	s_mov_b32 s24, 0
	s_mov_b32 s23, exec_lo
	s_wait_loadcnt 0x0
	v_cmpx_lt_i16_e32 0x7f, v3
	s_xor_b32 s23, exec_lo, s23
	s_cbranch_execz .LBB7_321
; %bb.305:
	v_cmp_ne_u16_e32 vcc_lo, 0x80, v3
	s_and_b32 s24, vcc_lo, exec_lo
	s_and_not1_saveexec_b32 s23, s23
	s_cbranch_execnz .LBB7_322
.LBB7_306:
	s_or_b32 exec_lo, exec_lo, s23
	v_mov_b32_e32 v1, 0
	s_and_saveexec_b32 s23, s24
	s_cbranch_execz .LBB7_308
.LBB7_307:
	v_and_b32_e32 v1, 0xffff, v3
	s_delay_alu instid0(VALU_DEP_1) | instskip(SKIP_1) | instid1(VALU_DEP_2)
	v_and_b32_e32 v6, 7, v1
	v_bfe_u32 v9, v1, 3, 4
	v_clz_i32_u32_e32 v7, v6
	s_delay_alu instid0(VALU_DEP_2) | instskip(NEXT) | instid1(VALU_DEP_2)
	v_cmp_eq_u32_e32 vcc_lo, 0, v9
	v_min_u32_e32 v7, 32, v7
	s_delay_alu instid0(VALU_DEP_1) | instskip(NEXT) | instid1(VALU_DEP_1)
	v_subrev_nc_u32_e32 v8, 28, v7
	v_dual_lshlrev_b32 v1, v8, v1 :: v_dual_sub_nc_u32 v7, 29, v7
	s_delay_alu instid0(VALU_DEP_1) | instskip(NEXT) | instid1(VALU_DEP_1)
	v_dual_lshlrev_b32 v3, 24, v3 :: v_dual_bitop2_b32 v1, 7, v1 bitop3:0x40
	v_dual_cndmask_b32 v1, v6, v1, vcc_lo :: v_dual_cndmask_b32 v7, v9, v7, vcc_lo
	s_delay_alu instid0(VALU_DEP_2) | instskip(NEXT) | instid1(VALU_DEP_2)
	v_and_b32_e32 v3, 0x80000000, v3
	v_lshlrev_b32_e32 v1, 20, v1
	s_delay_alu instid0(VALU_DEP_3) | instskip(NEXT) | instid1(VALU_DEP_1)
	v_lshl_add_u32 v6, v7, 23, 0x3b800000
	v_or3_b32 v1, v3, v6, v1
	s_delay_alu instid0(VALU_DEP_1)
	v_cvt_i32_f32_e32 v1, v1
.LBB7_308:
	s_or_b32 exec_lo, exec_lo, s23
.LBB7_309:
	s_mov_b32 s23, -1
.LBB7_310:
	s_mov_b32 s24, 0
.LBB7_311:
	s_delay_alu instid0(SALU_CYCLE_1)
	s_and_b32 vcc_lo, exec_lo, s24
	s_cbranch_vccz .LBB7_344
; %bb.312:
	s_cmp_gt_i32 s0, 22
	s_cbranch_scc0 .LBB7_320
; %bb.313:
	s_cmp_lt_i32 s0, 24
	s_cbranch_scc1 .LBB7_323
; %bb.314:
	s_cmp_gt_i32 s0, 24
	s_cbranch_scc0 .LBB7_324
; %bb.315:
	global_load_u8 v3, v[4:5], off
	s_mov_b32 s24, 0
	s_mov_b32 s23, exec_lo
	s_wait_loadcnt 0x0
	v_cmpx_lt_i16_e32 0x7f, v3
	s_xor_b32 s23, exec_lo, s23
	s_cbranch_execz .LBB7_336
; %bb.316:
	v_cmp_ne_u16_e32 vcc_lo, 0x80, v3
	s_and_b32 s24, vcc_lo, exec_lo
	s_and_not1_saveexec_b32 s23, s23
	s_cbranch_execnz .LBB7_337
.LBB7_317:
	s_or_b32 exec_lo, exec_lo, s23
	v_mov_b32_e32 v1, 0
	s_and_saveexec_b32 s23, s24
	s_cbranch_execz .LBB7_319
.LBB7_318:
	v_and_b32_e32 v1, 0xffff, v3
	s_delay_alu instid0(VALU_DEP_1) | instskip(SKIP_1) | instid1(VALU_DEP_2)
	v_and_b32_e32 v6, 3, v1
	v_bfe_u32 v9, v1, 2, 5
	v_clz_i32_u32_e32 v7, v6
	s_delay_alu instid0(VALU_DEP_2) | instskip(NEXT) | instid1(VALU_DEP_2)
	v_cmp_eq_u32_e32 vcc_lo, 0, v9
	v_min_u32_e32 v7, 32, v7
	s_delay_alu instid0(VALU_DEP_1) | instskip(NEXT) | instid1(VALU_DEP_1)
	v_subrev_nc_u32_e32 v8, 29, v7
	v_dual_lshlrev_b32 v1, v8, v1 :: v_dual_sub_nc_u32 v7, 30, v7
	s_delay_alu instid0(VALU_DEP_1) | instskip(NEXT) | instid1(VALU_DEP_1)
	v_dual_lshlrev_b32 v3, 24, v3 :: v_dual_bitop2_b32 v1, 3, v1 bitop3:0x40
	v_dual_cndmask_b32 v1, v6, v1, vcc_lo :: v_dual_cndmask_b32 v7, v9, v7, vcc_lo
	s_delay_alu instid0(VALU_DEP_2) | instskip(NEXT) | instid1(VALU_DEP_2)
	v_and_b32_e32 v3, 0x80000000, v3
	v_lshlrev_b32_e32 v1, 21, v1
	s_delay_alu instid0(VALU_DEP_3) | instskip(NEXT) | instid1(VALU_DEP_1)
	v_lshl_add_u32 v6, v7, 23, 0x37800000
	v_or3_b32 v1, v3, v6, v1
	s_delay_alu instid0(VALU_DEP_1)
	v_cvt_i32_f32_e32 v1, v1
.LBB7_319:
	s_or_b32 exec_lo, exec_lo, s23
	s_mov_b32 s23, 0
	s_branch .LBB7_325
.LBB7_320:
	s_mov_b32 s24, -1
                                        ; implicit-def: $vgpr1
	s_branch .LBB7_331
.LBB7_321:
	s_and_not1_saveexec_b32 s23, s23
	s_cbranch_execz .LBB7_306
.LBB7_322:
	v_cmp_ne_u16_e32 vcc_lo, 0, v3
	s_and_not1_b32 s24, s24, exec_lo
	s_and_b32 s25, vcc_lo, exec_lo
	s_delay_alu instid0(SALU_CYCLE_1)
	s_or_b32 s24, s24, s25
	s_or_b32 exec_lo, exec_lo, s23
	v_mov_b32_e32 v1, 0
	s_and_saveexec_b32 s23, s24
	s_cbranch_execnz .LBB7_307
	s_branch .LBB7_308
.LBB7_323:
	s_mov_b32 s23, -1
                                        ; implicit-def: $vgpr1
	s_branch .LBB7_328
.LBB7_324:
	s_mov_b32 s23, -1
                                        ; implicit-def: $vgpr1
.LBB7_325:
	s_delay_alu instid0(SALU_CYCLE_1)
	s_and_b32 vcc_lo, exec_lo, s23
	s_cbranch_vccz .LBB7_327
; %bb.326:
	s_wait_loadcnt 0x0
	global_load_u8 v1, v[4:5], off
	s_wait_loadcnt 0x0
	v_lshlrev_b32_e32 v1, 24, v1
	s_delay_alu instid0(VALU_DEP_1) | instskip(NEXT) | instid1(VALU_DEP_1)
	v_and_b32_e32 v3, 0x7f000000, v1
	v_clz_i32_u32_e32 v6, v3
	v_cmp_ne_u32_e32 vcc_lo, 0, v3
	v_add_nc_u32_e32 v8, 0x1000000, v3
	s_delay_alu instid0(VALU_DEP_3) | instskip(NEXT) | instid1(VALU_DEP_1)
	v_min_u32_e32 v6, 32, v6
	v_sub_nc_u32_e64 v6, v6, 4 clamp
	s_delay_alu instid0(VALU_DEP_1) | instskip(NEXT) | instid1(VALU_DEP_1)
	v_dual_lshlrev_b32 v7, v6, v3 :: v_dual_lshlrev_b32 v6, 23, v6
	v_lshrrev_b32_e32 v7, 4, v7
	s_delay_alu instid0(VALU_DEP_1) | instskip(NEXT) | instid1(VALU_DEP_1)
	v_dual_sub_nc_u32 v6, v7, v6 :: v_dual_ashrrev_i32 v7, 8, v8
	v_add_nc_u32_e32 v6, 0x3c000000, v6
	s_delay_alu instid0(VALU_DEP_1) | instskip(NEXT) | instid1(VALU_DEP_1)
	v_and_or_b32 v6, 0x7f800000, v7, v6
	v_cndmask_b32_e32 v3, 0, v6, vcc_lo
	s_delay_alu instid0(VALU_DEP_1) | instskip(NEXT) | instid1(VALU_DEP_1)
	v_and_or_b32 v1, 0x80000000, v1, v3
	v_cvt_i32_f32_e32 v1, v1
.LBB7_327:
	s_mov_b32 s23, 0
.LBB7_328:
	s_delay_alu instid0(SALU_CYCLE_1)
	s_and_not1_b32 vcc_lo, exec_lo, s23
	s_cbranch_vccnz .LBB7_330
; %bb.329:
	s_wait_loadcnt 0x0
	global_load_u8 v1, v[4:5], off
	s_wait_loadcnt 0x0
	v_lshlrev_b32_e32 v3, 25, v1
	v_lshlrev_b16 v1, 8, v1
	s_delay_alu instid0(VALU_DEP_1) | instskip(SKIP_1) | instid1(VALU_DEP_2)
	v_and_or_b32 v7, 0x7f00, v1, 0.5
	v_bfe_i32 v1, v1, 0, 16
	v_add_f32_e32 v7, -0.5, v7
	v_lshrrev_b32_e32 v6, 4, v3
	v_cmp_gt_u32_e32 vcc_lo, 0x8000000, v3
	s_delay_alu instid0(VALU_DEP_2) | instskip(NEXT) | instid1(VALU_DEP_1)
	v_or_b32_e32 v6, 0x70000000, v6
	v_mul_f32_e32 v6, 0x7800000, v6
	s_delay_alu instid0(VALU_DEP_1) | instskip(NEXT) | instid1(VALU_DEP_1)
	v_cndmask_b32_e32 v3, v6, v7, vcc_lo
	v_and_or_b32 v1, 0x80000000, v1, v3
	s_delay_alu instid0(VALU_DEP_1)
	v_cvt_i32_f32_e32 v1, v1
.LBB7_330:
	s_mov_b32 s24, 0
	s_mov_b32 s23, -1
.LBB7_331:
	s_and_not1_b32 vcc_lo, exec_lo, s24
	s_cbranch_vccnz .LBB7_344
; %bb.332:
	s_cmp_gt_i32 s0, 14
	s_cbranch_scc0 .LBB7_335
; %bb.333:
	s_cmp_eq_u32 s0, 15
	s_cbranch_scc0 .LBB7_338
; %bb.334:
	s_wait_loadcnt 0x0
	global_load_u16 v1, v[4:5], off
	s_mov_b32 s23, -1
	s_mov_b32 s22, 0
	s_wait_loadcnt 0x0
	v_lshlrev_b32_e32 v1, 16, v1
	s_delay_alu instid0(VALU_DEP_1)
	v_cvt_i32_f32_e32 v1, v1
	s_branch .LBB7_339
.LBB7_335:
	s_mov_b32 s24, -1
                                        ; implicit-def: $vgpr1
	s_branch .LBB7_340
.LBB7_336:
	s_and_not1_saveexec_b32 s23, s23
	s_cbranch_execz .LBB7_317
.LBB7_337:
	v_cmp_ne_u16_e32 vcc_lo, 0, v3
	s_and_not1_b32 s24, s24, exec_lo
	s_and_b32 s25, vcc_lo, exec_lo
	s_delay_alu instid0(SALU_CYCLE_1)
	s_or_b32 s24, s24, s25
	s_or_b32 exec_lo, exec_lo, s23
	v_mov_b32_e32 v1, 0
	s_and_saveexec_b32 s23, s24
	s_cbranch_execnz .LBB7_318
	s_branch .LBB7_319
.LBB7_338:
	s_mov_b32 s22, -1
                                        ; implicit-def: $vgpr1
.LBB7_339:
	s_mov_b32 s24, 0
.LBB7_340:
	s_delay_alu instid0(SALU_CYCLE_1)
	s_and_b32 vcc_lo, exec_lo, s24
	s_cbranch_vccz .LBB7_344
; %bb.341:
	s_cmp_eq_u32 s0, 11
	s_cbranch_scc0 .LBB7_343
; %bb.342:
	s_wait_loadcnt 0x0
	global_load_u8 v1, v[4:5], off
	s_mov_b32 s22, 0
	s_mov_b32 s23, -1
	s_wait_loadcnt 0x0
	v_cmp_ne_u16_e32 vcc_lo, 0, v1
	v_cndmask_b32_e64 v1, 0, 1, vcc_lo
	s_branch .LBB7_344
.LBB7_343:
	s_mov_b32 s22, -1
                                        ; implicit-def: $vgpr1
.LBB7_344:
	s_branch .LBB7_265
.LBB7_345:
	s_cmp_lt_i32 s0, 5
	s_cbranch_scc1 .LBB7_350
; %bb.346:
	s_cmp_lt_i32 s0, 8
	s_cbranch_scc1 .LBB7_351
; %bb.347:
	;; [unrolled: 3-line block ×3, first 2 shown]
	s_cmp_gt_i32 s0, 9
	s_cbranch_scc0 .LBB7_353
; %bb.349:
	global_load_b64 v[6:7], v[4:5], off
	s_mov_b32 s23, 0
	s_wait_loadcnt 0x0
	v_cvt_i32_f64_e32 v1, v[6:7]
	s_branch .LBB7_354
.LBB7_350:
	s_mov_b32 s23, -1
                                        ; implicit-def: $vgpr1
	s_branch .LBB7_372
.LBB7_351:
	s_mov_b32 s23, -1
                                        ; implicit-def: $vgpr1
	s_branch .LBB7_360
.LBB7_352:
	s_mov_b32 s23, -1
                                        ; implicit-def: $vgpr1
	s_branch .LBB7_357
.LBB7_353:
	s_mov_b32 s23, -1
                                        ; implicit-def: $vgpr1
.LBB7_354:
	s_delay_alu instid0(SALU_CYCLE_1)
	s_and_not1_b32 vcc_lo, exec_lo, s23
	s_cbranch_vccnz .LBB7_356
; %bb.355:
	s_wait_loadcnt 0x0
	global_load_b32 v1, v[4:5], off
	s_wait_loadcnt 0x0
	v_cvt_i32_f32_e32 v1, v1
.LBB7_356:
	s_mov_b32 s23, 0
.LBB7_357:
	s_delay_alu instid0(SALU_CYCLE_1)
	s_and_not1_b32 vcc_lo, exec_lo, s23
	s_cbranch_vccnz .LBB7_359
; %bb.358:
	s_wait_loadcnt 0x0
	global_load_b32 v1, v[4:5], off
	s_wait_loadcnt 0x0
	v_cvt_f32_f16_e32 v1, v1
	s_delay_alu instid0(VALU_DEP_1)
	v_cvt_i32_f32_e32 v1, v1
.LBB7_359:
	s_mov_b32 s23, 0
.LBB7_360:
	s_delay_alu instid0(SALU_CYCLE_1)
	s_and_not1_b32 vcc_lo, exec_lo, s23
	s_cbranch_vccnz .LBB7_371
; %bb.361:
	s_cmp_lt_i32 s0, 6
	s_cbranch_scc1 .LBB7_364
; %bb.362:
	s_cmp_gt_i32 s0, 6
	s_cbranch_scc0 .LBB7_365
; %bb.363:
	global_load_b64 v[6:7], v[4:5], off
	s_mov_b32 s23, 0
	s_wait_loadcnt 0x0
	v_cvt_i32_f64_e32 v1, v[6:7]
	s_branch .LBB7_366
.LBB7_364:
	s_mov_b32 s23, -1
                                        ; implicit-def: $vgpr1
	s_branch .LBB7_369
.LBB7_365:
	s_mov_b32 s23, -1
                                        ; implicit-def: $vgpr1
.LBB7_366:
	s_delay_alu instid0(SALU_CYCLE_1)
	s_and_not1_b32 vcc_lo, exec_lo, s23
	s_cbranch_vccnz .LBB7_368
; %bb.367:
	s_wait_loadcnt 0x0
	global_load_b32 v1, v[4:5], off
	s_wait_loadcnt 0x0
	v_cvt_i32_f32_e32 v1, v1
.LBB7_368:
	s_mov_b32 s23, 0
.LBB7_369:
	s_delay_alu instid0(SALU_CYCLE_1)
	s_and_not1_b32 vcc_lo, exec_lo, s23
	s_cbranch_vccnz .LBB7_371
; %bb.370:
	s_wait_loadcnt 0x0
	global_load_u16 v1, v[4:5], off
	s_wait_loadcnt 0x0
	v_cvt_f32_f16_e32 v1, v1
	s_delay_alu instid0(VALU_DEP_1)
	v_cvt_i32_f32_e32 v1, v1
.LBB7_371:
	s_mov_b32 s23, 0
.LBB7_372:
	s_delay_alu instid0(SALU_CYCLE_1)
	s_and_not1_b32 vcc_lo, exec_lo, s23
	s_cbranch_vccnz .LBB7_392
; %bb.373:
	s_cmp_lt_i32 s0, 2
	s_cbranch_scc1 .LBB7_377
; %bb.374:
	s_cmp_lt_i32 s0, 3
	s_cbranch_scc1 .LBB7_378
; %bb.375:
	s_cmp_gt_i32 s0, 3
	s_cbranch_scc0 .LBB7_379
; %bb.376:
	s_wait_loadcnt 0x0
	global_load_b32 v1, v[4:5], off
	s_mov_b32 s23, 0
	s_branch .LBB7_380
.LBB7_377:
	s_mov_b32 s23, -1
                                        ; implicit-def: $vgpr1
	s_branch .LBB7_386
.LBB7_378:
	s_mov_b32 s23, -1
                                        ; implicit-def: $vgpr1
	s_branch .LBB7_383
.LBB7_379:
	s_mov_b32 s23, -1
                                        ; implicit-def: $vgpr1
.LBB7_380:
	s_delay_alu instid0(SALU_CYCLE_1)
	s_and_not1_b32 vcc_lo, exec_lo, s23
	s_cbranch_vccnz .LBB7_382
; %bb.381:
	s_wait_loadcnt 0x0
	global_load_b32 v1, v[4:5], off
.LBB7_382:
	s_mov_b32 s23, 0
.LBB7_383:
	s_delay_alu instid0(SALU_CYCLE_1)
	s_and_not1_b32 vcc_lo, exec_lo, s23
	s_cbranch_vccnz .LBB7_385
; %bb.384:
	s_wait_loadcnt 0x0
	global_load_i16 v1, v[4:5], off
.LBB7_385:
	s_mov_b32 s23, 0
.LBB7_386:
	s_delay_alu instid0(SALU_CYCLE_1)
	s_and_not1_b32 vcc_lo, exec_lo, s23
	s_cbranch_vccnz .LBB7_392
; %bb.387:
	s_cmp_gt_i32 s0, 0
	s_mov_b32 s0, 0
	s_cbranch_scc0 .LBB7_389
; %bb.388:
	s_wait_loadcnt 0x0
	global_load_i8 v1, v[4:5], off
	s_branch .LBB7_390
.LBB7_389:
	s_mov_b32 s0, -1
                                        ; implicit-def: $vgpr1
.LBB7_390:
	s_delay_alu instid0(SALU_CYCLE_1)
	s_and_not1_b32 vcc_lo, exec_lo, s0
	s_cbranch_vccnz .LBB7_392
; %bb.391:
	s_wait_loadcnt 0x0
	global_load_u8 v1, v[4:5], off
.LBB7_392:
	s_branch .LBB7_266
.LBB7_393:
	s_mov_b32 s23, 0
	s_mov_b32 s25, s42
	s_mov_b32 s24, s43
                                        ; implicit-def: $vgpr0
	s_branch .LBB7_478
.LBB7_394:
	s_mov_b32 s27, -1
	s_mov_b32 s26, 0
	s_mov_b32 s23, s42
.LBB7_395:
	s_and_b32 vcc_lo, exec_lo, s27
	s_cbranch_vccz .LBB7_398
; %bb.396:
	s_cmp_eq_u32 s25, 44
	s_mov_b32 s23, -1
	s_cbranch_scc0 .LBB7_398
; %bb.397:
	s_wait_xcnt 0x0
	v_mov_b32_e32 v1, 0
	s_mov_b32 s26, -1
	s_mov_b32 s23, 0
	global_store_b8 v[2:3], v1, off
.LBB7_398:
	s_mov_b32 s27, 0
.LBB7_399:
	s_delay_alu instid0(SALU_CYCLE_1)
	s_and_b32 vcc_lo, exec_lo, s27
	s_cbranch_vccz .LBB7_402
; %bb.400:
	s_cmp_eq_u32 s25, 29
	s_mov_b32 s23, -1
	s_cbranch_scc0 .LBB7_402
; %bb.401:
	v_mov_b64_e32 v[4:5], 0
	s_mov_b32 s26, -1
	s_mov_b32 s23, 0
	s_mov_b32 s27, 0
	global_store_b64 v[2:3], v[4:5], off
	s_branch .LBB7_403
.LBB7_402:
	s_mov_b32 s27, 0
.LBB7_403:
	s_delay_alu instid0(SALU_CYCLE_1)
	s_and_b32 vcc_lo, exec_lo, s27
	s_cbranch_vccz .LBB7_413
; %bb.404:
	s_cmp_lt_i32 s25, 27
	s_mov_b32 s26, -1
	s_cbranch_scc1 .LBB7_410
; %bb.405:
	s_cmp_gt_i32 s25, 27
	s_cbranch_scc0 .LBB7_407
; %bb.406:
	s_wait_xcnt 0x0
	v_mov_b32_e32 v1, 0
	s_mov_b32 s26, 0
	global_store_b32 v[2:3], v1, off
.LBB7_407:
	s_and_not1_b32 vcc_lo, exec_lo, s26
	s_cbranch_vccnz .LBB7_409
; %bb.408:
	s_wait_xcnt 0x0
	v_mov_b32_e32 v1, 0
	global_store_b16 v[2:3], v1, off
.LBB7_409:
	s_mov_b32 s26, 0
.LBB7_410:
	s_delay_alu instid0(SALU_CYCLE_1)
	s_and_not1_b32 vcc_lo, exec_lo, s26
	s_cbranch_vccnz .LBB7_412
; %bb.411:
	s_wait_xcnt 0x0
	v_mov_b32_e32 v1, 0
	global_store_b8 v[2:3], v1, off
.LBB7_412:
	s_mov_b32 s26, -1
.LBB7_413:
	s_mov_b32 s27, 0
.LBB7_414:
	s_delay_alu instid0(SALU_CYCLE_1)
	s_and_b32 vcc_lo, exec_lo, s27
	s_cbranch_vccz .LBB7_433
; %bb.415:
	s_cmp_gt_i32 s25, 22
	s_mov_b32 s27, -1
	s_cbranch_scc0 .LBB7_425
; %bb.416:
	s_cmp_lt_i32 s25, 24
	s_mov_b32 s26, -1
	s_cbranch_scc1 .LBB7_422
; %bb.417:
	s_cmp_gt_i32 s25, 24
	s_cbranch_scc0 .LBB7_419
; %bb.418:
	s_wait_xcnt 0x0
	v_mov_b32_e32 v1, 0
	s_mov_b32 s26, 0
	global_store_b8 v[2:3], v1, off
.LBB7_419:
	s_and_not1_b32 vcc_lo, exec_lo, s26
	s_cbranch_vccnz .LBB7_421
; %bb.420:
	s_wait_xcnt 0x0
	v_mov_b32_e32 v1, 0
	global_store_b8 v[2:3], v1, off
.LBB7_421:
	s_mov_b32 s26, 0
.LBB7_422:
	s_delay_alu instid0(SALU_CYCLE_1)
	s_and_not1_b32 vcc_lo, exec_lo, s26
	s_cbranch_vccnz .LBB7_424
; %bb.423:
	s_wait_xcnt 0x0
	v_mov_b32_e32 v1, 0
	global_store_b8 v[2:3], v1, off
.LBB7_424:
	s_mov_b32 s27, 0
	s_mov_b32 s26, -1
.LBB7_425:
	s_and_not1_b32 vcc_lo, exec_lo, s27
	s_cbranch_vccnz .LBB7_433
; %bb.426:
	s_cmp_gt_i32 s25, 14
	s_mov_b32 s27, -1
	s_cbranch_scc0 .LBB7_430
; %bb.427:
	s_cmp_eq_u32 s25, 15
	s_mov_b32 s23, -1
	s_cbranch_scc0 .LBB7_429
; %bb.428:
	s_wait_xcnt 0x0
	v_mov_b32_e32 v1, 0
	s_mov_b32 s26, -1
	s_mov_b32 s23, 0
	global_store_b16 v[2:3], v1, off
.LBB7_429:
	s_mov_b32 s27, 0
.LBB7_430:
	s_delay_alu instid0(SALU_CYCLE_1)
	s_and_b32 vcc_lo, exec_lo, s27
	s_cbranch_vccz .LBB7_433
; %bb.431:
	s_cmp_eq_u32 s25, 11
	s_mov_b32 s23, -1
	s_cbranch_scc0 .LBB7_433
; %bb.432:
	s_wait_xcnt 0x0
	v_mov_b32_e32 v1, 0
	s_mov_b32 s26, -1
	s_mov_b32 s23, 0
	global_store_b8 v[2:3], v1, off
.LBB7_433:
	s_mov_b32 s25, 0
.LBB7_434:
	s_delay_alu instid0(SALU_CYCLE_1)
	s_and_b32 vcc_lo, exec_lo, s25
	s_cbranch_vccz .LBB7_473
; %bb.435:
	s_and_b32 s24, 0xffff, s24
	s_mov_b32 s25, -1
	s_cmp_lt_i32 s24, 5
	s_cbranch_scc1 .LBB7_456
; %bb.436:
	s_cmp_lt_i32 s24, 8
	s_cbranch_scc1 .LBB7_446
; %bb.437:
	;; [unrolled: 3-line block ×3, first 2 shown]
	s_cmp_gt_i32 s24, 9
	s_cbranch_scc0 .LBB7_440
; %bb.439:
	s_wait_xcnt 0x0
	v_mov_b32_e32 v4, 0
	s_mov_b32 s25, 0
	s_delay_alu instid0(VALU_DEP_1)
	v_dual_mov_b32 v5, v4 :: v_dual_mov_b32 v6, v4
	v_mov_b32_e32 v7, v4
	global_store_b128 v[2:3], v[4:7], off
.LBB7_440:
	s_and_not1_b32 vcc_lo, exec_lo, s25
	s_cbranch_vccnz .LBB7_442
; %bb.441:
	s_wait_xcnt 0x0
	v_mov_b64_e32 v[4:5], 0
	global_store_b64 v[2:3], v[4:5], off
.LBB7_442:
	s_mov_b32 s25, 0
.LBB7_443:
	s_delay_alu instid0(SALU_CYCLE_1)
	s_and_not1_b32 vcc_lo, exec_lo, s25
	s_cbranch_vccnz .LBB7_445
; %bb.444:
	s_wait_xcnt 0x0
	v_mov_b32_e32 v1, 0
	global_store_b32 v[2:3], v1, off
.LBB7_445:
	s_mov_b32 s25, 0
.LBB7_446:
	s_delay_alu instid0(SALU_CYCLE_1)
	s_and_not1_b32 vcc_lo, exec_lo, s25
	s_cbranch_vccnz .LBB7_455
; %bb.447:
	s_cmp_lt_i32 s24, 6
	s_mov_b32 s25, -1
	s_cbranch_scc1 .LBB7_453
; %bb.448:
	s_cmp_gt_i32 s24, 6
	s_cbranch_scc0 .LBB7_450
; %bb.449:
	s_wait_xcnt 0x0
	v_mov_b64_e32 v[4:5], 0
	s_mov_b32 s25, 0
	global_store_b64 v[2:3], v[4:5], off
.LBB7_450:
	s_and_not1_b32 vcc_lo, exec_lo, s25
	s_cbranch_vccnz .LBB7_452
; %bb.451:
	s_wait_xcnt 0x0
	v_mov_b32_e32 v1, 0
	global_store_b32 v[2:3], v1, off
.LBB7_452:
	s_mov_b32 s25, 0
.LBB7_453:
	s_delay_alu instid0(SALU_CYCLE_1)
	s_and_not1_b32 vcc_lo, exec_lo, s25
	s_cbranch_vccnz .LBB7_455
; %bb.454:
	s_wait_xcnt 0x0
	v_mov_b32_e32 v1, 0
	global_store_b16 v[2:3], v1, off
.LBB7_455:
	s_mov_b32 s25, 0
.LBB7_456:
	s_delay_alu instid0(SALU_CYCLE_1)
	s_and_not1_b32 vcc_lo, exec_lo, s25
	s_cbranch_vccnz .LBB7_472
; %bb.457:
	s_cmp_lt_i32 s24, 2
	s_mov_b32 s25, -1
	s_cbranch_scc1 .LBB7_467
; %bb.458:
	s_cmp_lt_i32 s24, 3
	s_cbranch_scc1 .LBB7_464
; %bb.459:
	s_cmp_gt_i32 s24, 3
	s_cbranch_scc0 .LBB7_461
; %bb.460:
	s_wait_xcnt 0x0
	v_mov_b64_e32 v[4:5], 0
	s_mov_b32 s25, 0
	global_store_b64 v[2:3], v[4:5], off
.LBB7_461:
	s_and_not1_b32 vcc_lo, exec_lo, s25
	s_cbranch_vccnz .LBB7_463
; %bb.462:
	s_wait_xcnt 0x0
	v_mov_b32_e32 v1, 0
	global_store_b32 v[2:3], v1, off
.LBB7_463:
	s_mov_b32 s25, 0
.LBB7_464:
	s_delay_alu instid0(SALU_CYCLE_1)
	s_and_not1_b32 vcc_lo, exec_lo, s25
	s_cbranch_vccnz .LBB7_466
; %bb.465:
	s_wait_xcnt 0x0
	v_mov_b32_e32 v1, 0
	global_store_b16 v[2:3], v1, off
.LBB7_466:
	s_mov_b32 s25, 0
.LBB7_467:
	s_delay_alu instid0(SALU_CYCLE_1)
	s_and_not1_b32 vcc_lo, exec_lo, s25
	s_cbranch_vccnz .LBB7_472
; %bb.468:
	s_cmp_gt_i32 s24, 0
	s_mov_b32 s24, -1
	s_cbranch_scc0 .LBB7_470
; %bb.469:
	s_wait_xcnt 0x0
	v_mov_b32_e32 v1, 0
	s_mov_b32 s24, 0
	global_store_b8 v[2:3], v1, off
.LBB7_470:
	s_and_not1_b32 vcc_lo, exec_lo, s24
	s_cbranch_vccnz .LBB7_472
; %bb.471:
	s_wait_xcnt 0x0
	v_mov_b32_e32 v1, 0
	global_store_b8 v[2:3], v1, off
.LBB7_472:
	s_mov_b32 s26, -1
.LBB7_473:
	s_delay_alu instid0(SALU_CYCLE_1)
	s_and_not1_b32 vcc_lo, exec_lo, s26
	s_cbranch_vccnz .LBB7_475
; %bb.474:
	v_add_nc_u32_e32 v0, 0x80, v0
	s_mov_b32 s26, -1
	s_branch .LBB7_476
.LBB7_475:
	s_mov_b32 s26, 0
                                        ; implicit-def: $vgpr0
.LBB7_476:
	s_and_not1_b32 s24, s42, exec_lo
	s_and_b32 s23, s23, exec_lo
	s_delay_alu instid0(SALU_CYCLE_1)
	s_or_b32 s25, s24, s23
	s_xor_b32 s24, exec_lo, -1
	s_and_b32 s23, s26, exec_lo
.LBB7_477:
	s_wait_xcnt 0x0
	s_or_b32 exec_lo, exec_lo, s0
.LBB7_478:
	s_delay_alu instid0(SALU_CYCLE_1)
	s_and_not1_b32 s0, s42, exec_lo
	s_and_b32 s25, s25, exec_lo
	s_and_b32 s24, s24, exec_lo
	s_or_b32 s47, s0, s25
	s_and_not1_b32 s0, s43, exec_lo
	s_and_not1_b32 s25, s44, exec_lo
	s_and_b32 s22, s22, exec_lo
	s_or_b32 s48, s0, s24
	s_or_b32 s46, s25, s22
	s_or_not1_b32 s0, s23, exec_lo
.LBB7_479:
	s_wait_xcnt 0x0
	s_or_b32 exec_lo, exec_lo, s49
	s_mov_b32 s22, 0
	s_mov_b32 s23, 0
	;; [unrolled: 1-line block ×3, first 2 shown]
                                        ; implicit-def: $vgpr4_vgpr5
                                        ; implicit-def: $vgpr2
                                        ; implicit-def: $vgpr1
	s_and_saveexec_b32 s49, s0
	s_cbranch_execz .LBB7_816
; %bb.480:
	s_mov_b32 s25, -1
	s_mov_b32 s0, s46
	s_mov_b32 s27, s48
	;; [unrolled: 1-line block ×3, first 2 shown]
	s_mov_b32 s50, exec_lo
	v_cmpx_gt_i32_e64 s39, v0
	s_cbranch_execz .LBB7_721
; %bb.481:
	s_and_not1_b32 vcc_lo, exec_lo, s31
	s_cbranch_vccnz .LBB7_487
; %bb.482:
	s_and_not1_b32 vcc_lo, exec_lo, s41
	s_cbranch_vccnz .LBB7_488
; %bb.483:
	s_add_co_i32 s0, s40, 1
	s_cmp_eq_u32 s29, 2
	s_cbranch_scc1 .LBB7_489
; %bb.484:
	v_dual_mov_b32 v2, 0 :: v_dual_mov_b32 v4, 0
	s_wait_loadcnt 0x0
	v_mov_b32_e32 v1, v0
	s_and_b32 s22, s0, 28
	s_mov_b64 s[24:25], s[2:3]
	s_mov_b64 s[26:27], s[20:21]
.LBB7_485:                              ; =>This Inner Loop Header: Depth=1
	s_clause 0x1
	s_load_b256 s[52:59], s[24:25], 0x4
	s_load_b128 s[68:71], s[24:25], 0x24
	s_load_b256 s[60:67], s[26:27], 0x0
	s_add_co_i32 s23, s23, 4
	s_wait_xcnt 0x0
	s_add_nc_u64 s[24:25], s[24:25], 48
	s_cmp_eq_u32 s22, s23
	s_add_nc_u64 s[26:27], s[26:27], 32
	s_wait_kmcnt 0x0
	v_mul_hi_u32 v3, s53, v1
	s_delay_alu instid0(VALU_DEP_1) | instskip(NEXT) | instid1(VALU_DEP_1)
	v_add_nc_u32_e32 v3, v1, v3
	v_lshrrev_b32_e32 v3, s54, v3
	s_delay_alu instid0(VALU_DEP_1) | instskip(NEXT) | instid1(VALU_DEP_1)
	v_mul_hi_u32 v5, s56, v3
	v_add_nc_u32_e32 v5, v3, v5
	s_delay_alu instid0(VALU_DEP_1) | instskip(NEXT) | instid1(VALU_DEP_1)
	v_lshrrev_b32_e32 v5, s57, v5
	v_mul_hi_u32 v6, s59, v5
	s_delay_alu instid0(VALU_DEP_1) | instskip(SKIP_1) | instid1(VALU_DEP_1)
	v_add_nc_u32_e32 v6, v5, v6
	v_mul_lo_u32 v7, v3, s52
	v_sub_nc_u32_e32 v1, v1, v7
	v_mul_lo_u32 v7, v5, s55
	s_delay_alu instid0(VALU_DEP_4) | instskip(NEXT) | instid1(VALU_DEP_3)
	v_lshrrev_b32_e32 v6, s68, v6
	v_mad_u32 v4, v1, s61, v4
	v_mad_u32 v1, v1, s60, v2
	s_delay_alu instid0(VALU_DEP_4) | instskip(NEXT) | instid1(VALU_DEP_4)
	v_sub_nc_u32_e32 v2, v3, v7
	v_mul_hi_u32 v8, s70, v6
	v_mul_lo_u32 v3, v6, s58
	s_delay_alu instid0(VALU_DEP_3) | instskip(SKIP_1) | instid1(VALU_DEP_3)
	v_mad_u32 v4, v2, s63, v4
	v_mad_u32 v2, v2, s62, v1
	v_dual_add_nc_u32 v7, v6, v8 :: v_dual_sub_nc_u32 v3, v5, v3
	s_delay_alu instid0(VALU_DEP_1) | instskip(NEXT) | instid1(VALU_DEP_2)
	v_lshrrev_b32_e32 v1, s71, v7
	v_mad_u32 v4, v3, s65, v4
	s_delay_alu instid0(VALU_DEP_4) | instskip(NEXT) | instid1(VALU_DEP_3)
	v_mad_u32 v2, v3, s64, v2
	v_mul_lo_u32 v5, v1, s69
	s_delay_alu instid0(VALU_DEP_1) | instskip(NEXT) | instid1(VALU_DEP_1)
	v_sub_nc_u32_e32 v3, v6, v5
	v_mad_u32 v4, v3, s67, v4
	s_delay_alu instid0(VALU_DEP_4)
	v_mad_u32 v2, v3, s66, v2
	s_cbranch_scc0 .LBB7_485
; %bb.486:
	s_delay_alu instid0(VALU_DEP_2)
	v_mov_b32_e32 v3, v4
	s_branch .LBB7_490
.LBB7_487:
	s_mov_b32 s0, -1
                                        ; implicit-def: $vgpr4
                                        ; implicit-def: $vgpr2
	s_branch .LBB7_495
.LBB7_488:
	v_dual_mov_b32 v4, 0 :: v_dual_mov_b32 v2, 0
	s_branch .LBB7_494
.LBB7_489:
	v_mov_b64_e32 v[2:3], 0
	s_wait_loadcnt 0x0
	v_mov_b32_e32 v1, v0
                                        ; implicit-def: $vgpr4
.LBB7_490:
	s_and_b32 s0, s0, 3
	s_mov_b32 s23, 0
	s_cmp_eq_u32 s0, 0
	s_cbranch_scc1 .LBB7_494
; %bb.491:
	s_lshl_b32 s24, s22, 3
	s_mov_b32 s25, s23
	s_mul_u64 s[26:27], s[22:23], 12
	s_add_nc_u64 s[24:25], s[2:3], s[24:25]
	s_delay_alu instid0(SALU_CYCLE_1)
	s_add_nc_u64 s[22:23], s[24:25], 0xc4
	s_add_nc_u64 s[24:25], s[2:3], s[26:27]
.LBB7_492:                              ; =>This Inner Loop Header: Depth=1
	s_load_b96 s[52:54], s[24:25], 0x4
	s_load_b64 s[26:27], s[22:23], 0x0
	s_add_co_i32 s0, s0, -1
	s_wait_xcnt 0x0
	s_add_nc_u64 s[24:25], s[24:25], 12
	s_cmp_lg_u32 s0, 0
	s_add_nc_u64 s[22:23], s[22:23], 8
	s_wait_kmcnt 0x0
	v_mul_hi_u32 v4, s53, v1
	s_delay_alu instid0(VALU_DEP_1) | instskip(NEXT) | instid1(VALU_DEP_1)
	v_add_nc_u32_e32 v4, v1, v4
	v_lshrrev_b32_e32 v4, s54, v4
	s_delay_alu instid0(VALU_DEP_1) | instskip(NEXT) | instid1(VALU_DEP_1)
	v_mul_lo_u32 v5, v4, s52
	v_sub_nc_u32_e32 v1, v1, v5
	s_delay_alu instid0(VALU_DEP_1)
	v_mad_u32 v3, v1, s27, v3
	v_mad_u32 v2, v1, s26, v2
	v_mov_b32_e32 v1, v4
	s_cbranch_scc1 .LBB7_492
; %bb.493:
	s_delay_alu instid0(VALU_DEP_3)
	v_mov_b32_e32 v4, v3
.LBB7_494:
	s_mov_b32 s0, 0
.LBB7_495:
	s_delay_alu instid0(SALU_CYCLE_1)
	s_and_not1_b32 vcc_lo, exec_lo, s0
	s_cbranch_vccnz .LBB7_498
; %bb.496:
	s_wait_loadcnt 0x0
	v_mov_b32_e32 v1, 0
	s_and_not1_b32 vcc_lo, exec_lo, s38
	s_delay_alu instid0(VALU_DEP_1) | instskip(NEXT) | instid1(VALU_DEP_1)
	v_mul_u64_e32 v[2:3], s[16:17], v[0:1]
	v_add_nc_u32_e32 v2, v0, v3
	s_delay_alu instid0(VALU_DEP_1) | instskip(NEXT) | instid1(VALU_DEP_1)
	v_lshrrev_b32_e32 v6, s10, v2
	v_mul_lo_u32 v2, v6, s8
	s_delay_alu instid0(VALU_DEP_1) | instskip(NEXT) | instid1(VALU_DEP_1)
	v_sub_nc_u32_e32 v2, v0, v2
	v_mul_lo_u32 v4, v2, s13
	v_mul_lo_u32 v2, v2, s12
	s_cbranch_vccnz .LBB7_498
; %bb.497:
	v_mov_b32_e32 v7, v1
	s_delay_alu instid0(VALU_DEP_1) | instskip(NEXT) | instid1(VALU_DEP_1)
	v_mul_u64_e32 v[8:9], s[18:19], v[6:7]
	v_add_nc_u32_e32 v1, v6, v9
	s_delay_alu instid0(VALU_DEP_1) | instskip(NEXT) | instid1(VALU_DEP_1)
	v_lshrrev_b32_e32 v1, s1, v1
	v_mul_lo_u32 v1, v1, s11
	s_delay_alu instid0(VALU_DEP_1) | instskip(NEXT) | instid1(VALU_DEP_1)
	v_sub_nc_u32_e32 v1, v6, v1
	v_mad_u32 v2, v1, s14, v2
	v_mad_u32 v4, v1, s15, v4
.LBB7_498:
	v_mov_b32_e32 v5, 0
	s_and_b32 s0, 0xffff, s37
	s_delay_alu instid0(SALU_CYCLE_1) | instskip(NEXT) | instid1(VALU_DEP_1)
	s_cmp_lt_i32 s0, 11
	v_add_nc_u64_e32 v[4:5], s[6:7], v[4:5]
	s_cbranch_scc1 .LBB7_505
; %bb.499:
	s_cmp_gt_i32 s0, 25
	s_cbranch_scc0 .LBB7_506
; %bb.500:
	s_cmp_gt_i32 s0, 28
	s_cbranch_scc0 .LBB7_507
; %bb.501:
	s_cmp_gt_i32 s0, 43
	s_cbranch_scc0 .LBB7_508
; %bb.502:
	s_cmp_gt_i32 s0, 45
	s_cbranch_scc0 .LBB7_509
; %bb.503:
	s_cmp_eq_u32 s0, 46
	s_mov_b32 s24, 0
	s_cbranch_scc0 .LBB7_510
; %bb.504:
	s_wait_loadcnt 0x0
	global_load_b32 v1, v[4:5], off
	s_mov_b32 s23, -1
	s_mov_b32 s22, 0
	s_wait_loadcnt 0x0
	v_lshlrev_b32_e32 v1, 16, v1
	s_delay_alu instid0(VALU_DEP_1)
	v_cvt_i32_f32_e32 v1, v1
	s_branch .LBB7_512
.LBB7_505:
	s_mov_b32 s24, -1
	s_mov_b32 s23, 0
	s_mov_b32 s22, s46
                                        ; implicit-def: $vgpr1
	s_branch .LBB7_573
.LBB7_506:
	s_mov_b32 s24, -1
	s_mov_b32 s23, 0
	s_mov_b32 s22, s46
                                        ; implicit-def: $vgpr1
	s_branch .LBB7_539
.LBB7_507:
	s_mov_b32 s24, -1
	s_mov_b32 s23, 0
	s_mov_b32 s22, s46
                                        ; implicit-def: $vgpr1
	s_branch .LBB7_522
.LBB7_508:
	s_mov_b32 s24, -1
	s_mov_b32 s23, 0
	s_mov_b32 s22, s46
                                        ; implicit-def: $vgpr1
	s_branch .LBB7_517
.LBB7_509:
	s_mov_b32 s24, -1
	s_mov_b32 s23, 0
	s_mov_b32 s22, s46
	s_branch .LBB7_511
.LBB7_510:
	s_mov_b32 s22, -1
	s_mov_b32 s23, 0
.LBB7_511:
                                        ; implicit-def: $vgpr1
.LBB7_512:
	s_and_b32 vcc_lo, exec_lo, s24
	s_cbranch_vccz .LBB7_516
; %bb.513:
	s_cmp_eq_u32 s0, 44
	s_cbranch_scc0 .LBB7_515
; %bb.514:
	s_wait_loadcnt 0x0
	global_load_u8 v1, v[4:5], off
	s_mov_b32 s22, 0
	s_mov_b32 s23, -1
	s_wait_loadcnt 0x0
	v_lshlrev_b32_e32 v3, 23, v1
	v_cmp_ne_u32_e32 vcc_lo, 0, v1
	s_delay_alu instid0(VALU_DEP_2) | instskip(NEXT) | instid1(VALU_DEP_1)
	v_cvt_i32_f32_e32 v3, v3
	v_cndmask_b32_e32 v1, 0, v3, vcc_lo
	s_branch .LBB7_516
.LBB7_515:
	s_mov_b32 s22, -1
                                        ; implicit-def: $vgpr1
.LBB7_516:
	s_mov_b32 s24, 0
.LBB7_517:
	s_delay_alu instid0(SALU_CYCLE_1)
	s_and_b32 vcc_lo, exec_lo, s24
	s_cbranch_vccz .LBB7_521
; %bb.518:
	s_cmp_eq_u32 s0, 29
	s_cbranch_scc0 .LBB7_520
; %bb.519:
	s_wait_loadcnt 0x0
	global_load_b32 v1, v[4:5], off
	s_mov_b32 s23, -1
	s_mov_b32 s22, 0
	s_branch .LBB7_521
.LBB7_520:
	s_mov_b32 s22, -1
                                        ; implicit-def: $vgpr1
.LBB7_521:
	s_mov_b32 s24, 0
.LBB7_522:
	s_delay_alu instid0(SALU_CYCLE_1)
	s_and_b32 vcc_lo, exec_lo, s24
	s_cbranch_vccz .LBB7_538
; %bb.523:
	s_cmp_lt_i32 s0, 27
	s_cbranch_scc1 .LBB7_526
; %bb.524:
	s_cmp_gt_i32 s0, 27
	s_cbranch_scc0 .LBB7_527
; %bb.525:
	s_wait_loadcnt 0x0
	global_load_b32 v1, v[4:5], off
	s_mov_b32 s23, 0
	s_branch .LBB7_528
.LBB7_526:
	s_mov_b32 s23, -1
                                        ; implicit-def: $vgpr1
	s_branch .LBB7_531
.LBB7_527:
	s_mov_b32 s23, -1
                                        ; implicit-def: $vgpr1
.LBB7_528:
	s_delay_alu instid0(SALU_CYCLE_1)
	s_and_not1_b32 vcc_lo, exec_lo, s23
	s_cbranch_vccnz .LBB7_530
; %bb.529:
	s_wait_loadcnt 0x0
	global_load_u16 v1, v[4:5], off
.LBB7_530:
	s_mov_b32 s23, 0
.LBB7_531:
	s_delay_alu instid0(SALU_CYCLE_1)
	s_and_not1_b32 vcc_lo, exec_lo, s23
	s_cbranch_vccnz .LBB7_537
; %bb.532:
	global_load_u8 v3, v[4:5], off
	s_mov_b32 s24, 0
	s_mov_b32 s23, exec_lo
	s_wait_loadcnt 0x0
	v_cmpx_lt_i16_e32 0x7f, v3
	s_xor_b32 s23, exec_lo, s23
	s_cbranch_execz .LBB7_549
; %bb.533:
	v_cmp_ne_u16_e32 vcc_lo, 0x80, v3
	s_and_b32 s24, vcc_lo, exec_lo
	s_and_not1_saveexec_b32 s23, s23
	s_cbranch_execnz .LBB7_550
.LBB7_534:
	s_or_b32 exec_lo, exec_lo, s23
	v_mov_b32_e32 v1, 0
	s_and_saveexec_b32 s23, s24
	s_cbranch_execz .LBB7_536
.LBB7_535:
	v_and_b32_e32 v1, 0xffff, v3
	s_delay_alu instid0(VALU_DEP_1) | instskip(SKIP_1) | instid1(VALU_DEP_2)
	v_and_b32_e32 v6, 7, v1
	v_bfe_u32 v9, v1, 3, 4
	v_clz_i32_u32_e32 v7, v6
	s_delay_alu instid0(VALU_DEP_2) | instskip(NEXT) | instid1(VALU_DEP_2)
	v_cmp_eq_u32_e32 vcc_lo, 0, v9
	v_min_u32_e32 v7, 32, v7
	s_delay_alu instid0(VALU_DEP_1) | instskip(NEXT) | instid1(VALU_DEP_1)
	v_subrev_nc_u32_e32 v8, 28, v7
	v_dual_lshlrev_b32 v1, v8, v1 :: v_dual_sub_nc_u32 v7, 29, v7
	s_delay_alu instid0(VALU_DEP_1) | instskip(NEXT) | instid1(VALU_DEP_1)
	v_dual_lshlrev_b32 v3, 24, v3 :: v_dual_bitop2_b32 v1, 7, v1 bitop3:0x40
	v_dual_cndmask_b32 v1, v6, v1, vcc_lo :: v_dual_cndmask_b32 v7, v9, v7, vcc_lo
	s_delay_alu instid0(VALU_DEP_2) | instskip(NEXT) | instid1(VALU_DEP_2)
	v_and_b32_e32 v3, 0x80000000, v3
	v_lshlrev_b32_e32 v1, 20, v1
	s_delay_alu instid0(VALU_DEP_3) | instskip(NEXT) | instid1(VALU_DEP_1)
	v_lshl_add_u32 v6, v7, 23, 0x3b800000
	v_or3_b32 v1, v3, v6, v1
	s_delay_alu instid0(VALU_DEP_1)
	v_cvt_i32_f32_e32 v1, v1
.LBB7_536:
	s_or_b32 exec_lo, exec_lo, s23
.LBB7_537:
	s_mov_b32 s23, -1
.LBB7_538:
	s_mov_b32 s24, 0
.LBB7_539:
	s_delay_alu instid0(SALU_CYCLE_1)
	s_and_b32 vcc_lo, exec_lo, s24
	s_cbranch_vccz .LBB7_572
; %bb.540:
	s_cmp_gt_i32 s0, 22
	s_cbranch_scc0 .LBB7_548
; %bb.541:
	s_cmp_lt_i32 s0, 24
	s_cbranch_scc1 .LBB7_551
; %bb.542:
	s_cmp_gt_i32 s0, 24
	s_cbranch_scc0 .LBB7_552
; %bb.543:
	global_load_u8 v3, v[4:5], off
	s_mov_b32 s24, 0
	s_mov_b32 s23, exec_lo
	s_wait_loadcnt 0x0
	v_cmpx_lt_i16_e32 0x7f, v3
	s_xor_b32 s23, exec_lo, s23
	s_cbranch_execz .LBB7_564
; %bb.544:
	v_cmp_ne_u16_e32 vcc_lo, 0x80, v3
	s_and_b32 s24, vcc_lo, exec_lo
	s_and_not1_saveexec_b32 s23, s23
	s_cbranch_execnz .LBB7_565
.LBB7_545:
	s_or_b32 exec_lo, exec_lo, s23
	v_mov_b32_e32 v1, 0
	s_and_saveexec_b32 s23, s24
	s_cbranch_execz .LBB7_547
.LBB7_546:
	v_and_b32_e32 v1, 0xffff, v3
	s_delay_alu instid0(VALU_DEP_1) | instskip(SKIP_1) | instid1(VALU_DEP_2)
	v_and_b32_e32 v6, 3, v1
	v_bfe_u32 v9, v1, 2, 5
	v_clz_i32_u32_e32 v7, v6
	s_delay_alu instid0(VALU_DEP_2) | instskip(NEXT) | instid1(VALU_DEP_2)
	v_cmp_eq_u32_e32 vcc_lo, 0, v9
	v_min_u32_e32 v7, 32, v7
	s_delay_alu instid0(VALU_DEP_1) | instskip(NEXT) | instid1(VALU_DEP_1)
	v_subrev_nc_u32_e32 v8, 29, v7
	v_dual_lshlrev_b32 v1, v8, v1 :: v_dual_sub_nc_u32 v7, 30, v7
	s_delay_alu instid0(VALU_DEP_1) | instskip(NEXT) | instid1(VALU_DEP_1)
	v_dual_lshlrev_b32 v3, 24, v3 :: v_dual_bitop2_b32 v1, 3, v1 bitop3:0x40
	v_dual_cndmask_b32 v1, v6, v1, vcc_lo :: v_dual_cndmask_b32 v7, v9, v7, vcc_lo
	s_delay_alu instid0(VALU_DEP_2) | instskip(NEXT) | instid1(VALU_DEP_2)
	v_and_b32_e32 v3, 0x80000000, v3
	v_lshlrev_b32_e32 v1, 21, v1
	s_delay_alu instid0(VALU_DEP_3) | instskip(NEXT) | instid1(VALU_DEP_1)
	v_lshl_add_u32 v6, v7, 23, 0x37800000
	v_or3_b32 v1, v3, v6, v1
	s_delay_alu instid0(VALU_DEP_1)
	v_cvt_i32_f32_e32 v1, v1
.LBB7_547:
	s_or_b32 exec_lo, exec_lo, s23
	s_mov_b32 s23, 0
	s_branch .LBB7_553
.LBB7_548:
	s_mov_b32 s24, -1
                                        ; implicit-def: $vgpr1
	s_branch .LBB7_559
.LBB7_549:
	s_and_not1_saveexec_b32 s23, s23
	s_cbranch_execz .LBB7_534
.LBB7_550:
	v_cmp_ne_u16_e32 vcc_lo, 0, v3
	s_and_not1_b32 s24, s24, exec_lo
	s_and_b32 s25, vcc_lo, exec_lo
	s_delay_alu instid0(SALU_CYCLE_1)
	s_or_b32 s24, s24, s25
	s_or_b32 exec_lo, exec_lo, s23
	v_mov_b32_e32 v1, 0
	s_and_saveexec_b32 s23, s24
	s_cbranch_execnz .LBB7_535
	s_branch .LBB7_536
.LBB7_551:
	s_mov_b32 s23, -1
                                        ; implicit-def: $vgpr1
	s_branch .LBB7_556
.LBB7_552:
	s_mov_b32 s23, -1
                                        ; implicit-def: $vgpr1
.LBB7_553:
	s_delay_alu instid0(SALU_CYCLE_1)
	s_and_b32 vcc_lo, exec_lo, s23
	s_cbranch_vccz .LBB7_555
; %bb.554:
	s_wait_loadcnt 0x0
	global_load_u8 v1, v[4:5], off
	s_wait_loadcnt 0x0
	v_lshlrev_b32_e32 v1, 24, v1
	s_delay_alu instid0(VALU_DEP_1) | instskip(NEXT) | instid1(VALU_DEP_1)
	v_and_b32_e32 v3, 0x7f000000, v1
	v_clz_i32_u32_e32 v6, v3
	v_cmp_ne_u32_e32 vcc_lo, 0, v3
	v_add_nc_u32_e32 v8, 0x1000000, v3
	s_delay_alu instid0(VALU_DEP_3) | instskip(NEXT) | instid1(VALU_DEP_1)
	v_min_u32_e32 v6, 32, v6
	v_sub_nc_u32_e64 v6, v6, 4 clamp
	s_delay_alu instid0(VALU_DEP_1) | instskip(NEXT) | instid1(VALU_DEP_1)
	v_dual_lshlrev_b32 v7, v6, v3 :: v_dual_lshlrev_b32 v6, 23, v6
	v_lshrrev_b32_e32 v7, 4, v7
	s_delay_alu instid0(VALU_DEP_1) | instskip(NEXT) | instid1(VALU_DEP_1)
	v_dual_sub_nc_u32 v6, v7, v6 :: v_dual_ashrrev_i32 v7, 8, v8
	v_add_nc_u32_e32 v6, 0x3c000000, v6
	s_delay_alu instid0(VALU_DEP_1) | instskip(NEXT) | instid1(VALU_DEP_1)
	v_and_or_b32 v6, 0x7f800000, v7, v6
	v_cndmask_b32_e32 v3, 0, v6, vcc_lo
	s_delay_alu instid0(VALU_DEP_1) | instskip(NEXT) | instid1(VALU_DEP_1)
	v_and_or_b32 v1, 0x80000000, v1, v3
	v_cvt_i32_f32_e32 v1, v1
.LBB7_555:
	s_mov_b32 s23, 0
.LBB7_556:
	s_delay_alu instid0(SALU_CYCLE_1)
	s_and_not1_b32 vcc_lo, exec_lo, s23
	s_cbranch_vccnz .LBB7_558
; %bb.557:
	s_wait_loadcnt 0x0
	global_load_u8 v1, v[4:5], off
	s_wait_loadcnt 0x0
	v_lshlrev_b32_e32 v3, 25, v1
	v_lshlrev_b16 v1, 8, v1
	s_delay_alu instid0(VALU_DEP_1) | instskip(SKIP_1) | instid1(VALU_DEP_2)
	v_and_or_b32 v7, 0x7f00, v1, 0.5
	v_bfe_i32 v1, v1, 0, 16
	v_add_f32_e32 v7, -0.5, v7
	v_lshrrev_b32_e32 v6, 4, v3
	v_cmp_gt_u32_e32 vcc_lo, 0x8000000, v3
	s_delay_alu instid0(VALU_DEP_2) | instskip(NEXT) | instid1(VALU_DEP_1)
	v_or_b32_e32 v6, 0x70000000, v6
	v_mul_f32_e32 v6, 0x7800000, v6
	s_delay_alu instid0(VALU_DEP_1) | instskip(NEXT) | instid1(VALU_DEP_1)
	v_cndmask_b32_e32 v3, v6, v7, vcc_lo
	v_and_or_b32 v1, 0x80000000, v1, v3
	s_delay_alu instid0(VALU_DEP_1)
	v_cvt_i32_f32_e32 v1, v1
.LBB7_558:
	s_mov_b32 s24, 0
	s_mov_b32 s23, -1
.LBB7_559:
	s_and_not1_b32 vcc_lo, exec_lo, s24
	s_cbranch_vccnz .LBB7_572
; %bb.560:
	s_cmp_gt_i32 s0, 14
	s_cbranch_scc0 .LBB7_563
; %bb.561:
	s_cmp_eq_u32 s0, 15
	s_cbranch_scc0 .LBB7_566
; %bb.562:
	s_wait_loadcnt 0x0
	global_load_u16 v1, v[4:5], off
	s_mov_b32 s23, -1
	s_mov_b32 s22, 0
	s_wait_loadcnt 0x0
	v_lshlrev_b32_e32 v1, 16, v1
	s_delay_alu instid0(VALU_DEP_1)
	v_cvt_i32_f32_e32 v1, v1
	s_branch .LBB7_567
.LBB7_563:
	s_mov_b32 s24, -1
                                        ; implicit-def: $vgpr1
	s_branch .LBB7_568
.LBB7_564:
	s_and_not1_saveexec_b32 s23, s23
	s_cbranch_execz .LBB7_545
.LBB7_565:
	v_cmp_ne_u16_e32 vcc_lo, 0, v3
	s_and_not1_b32 s24, s24, exec_lo
	s_and_b32 s25, vcc_lo, exec_lo
	s_delay_alu instid0(SALU_CYCLE_1)
	s_or_b32 s24, s24, s25
	s_or_b32 exec_lo, exec_lo, s23
	v_mov_b32_e32 v1, 0
	s_and_saveexec_b32 s23, s24
	s_cbranch_execnz .LBB7_546
	s_branch .LBB7_547
.LBB7_566:
	s_mov_b32 s22, -1
                                        ; implicit-def: $vgpr1
.LBB7_567:
	s_mov_b32 s24, 0
.LBB7_568:
	s_delay_alu instid0(SALU_CYCLE_1)
	s_and_b32 vcc_lo, exec_lo, s24
	s_cbranch_vccz .LBB7_572
; %bb.569:
	s_cmp_eq_u32 s0, 11
	s_cbranch_scc0 .LBB7_571
; %bb.570:
	s_wait_loadcnt 0x0
	global_load_u8 v1, v[4:5], off
	s_mov_b32 s22, 0
	s_mov_b32 s23, -1
	s_wait_loadcnt 0x0
	v_cmp_ne_u16_e32 vcc_lo, 0, v1
	v_cndmask_b32_e64 v1, 0, 1, vcc_lo
	s_branch .LBB7_572
.LBB7_571:
	s_mov_b32 s22, -1
                                        ; implicit-def: $vgpr1
.LBB7_572:
	s_mov_b32 s24, 0
.LBB7_573:
	s_delay_alu instid0(SALU_CYCLE_1)
	s_and_b32 vcc_lo, exec_lo, s24
	s_cbranch_vccz .LBB7_622
; %bb.574:
	s_cmp_lt_i32 s0, 5
	s_cbranch_scc1 .LBB7_579
; %bb.575:
	s_cmp_lt_i32 s0, 8
	s_cbranch_scc1 .LBB7_580
	;; [unrolled: 3-line block ×3, first 2 shown]
; %bb.577:
	s_cmp_gt_i32 s0, 9
	s_cbranch_scc0 .LBB7_582
; %bb.578:
	global_load_b64 v[6:7], v[4:5], off
	s_mov_b32 s23, 0
	s_wait_loadcnt 0x0
	v_cvt_i32_f64_e32 v1, v[6:7]
	s_branch .LBB7_583
.LBB7_579:
	s_mov_b32 s23, -1
                                        ; implicit-def: $vgpr1
	s_branch .LBB7_601
.LBB7_580:
	s_mov_b32 s23, -1
                                        ; implicit-def: $vgpr1
	s_branch .LBB7_589
.LBB7_581:
	s_mov_b32 s23, -1
                                        ; implicit-def: $vgpr1
	s_branch .LBB7_586
.LBB7_582:
	s_mov_b32 s23, -1
                                        ; implicit-def: $vgpr1
.LBB7_583:
	s_delay_alu instid0(SALU_CYCLE_1)
	s_and_not1_b32 vcc_lo, exec_lo, s23
	s_cbranch_vccnz .LBB7_585
; %bb.584:
	s_wait_loadcnt 0x0
	global_load_b32 v1, v[4:5], off
	s_wait_loadcnt 0x0
	v_cvt_i32_f32_e32 v1, v1
.LBB7_585:
	s_mov_b32 s23, 0
.LBB7_586:
	s_delay_alu instid0(SALU_CYCLE_1)
	s_and_not1_b32 vcc_lo, exec_lo, s23
	s_cbranch_vccnz .LBB7_588
; %bb.587:
	s_wait_loadcnt 0x0
	global_load_b32 v1, v[4:5], off
	s_wait_loadcnt 0x0
	v_cvt_f32_f16_e32 v1, v1
	s_delay_alu instid0(VALU_DEP_1)
	v_cvt_i32_f32_e32 v1, v1
.LBB7_588:
	s_mov_b32 s23, 0
.LBB7_589:
	s_delay_alu instid0(SALU_CYCLE_1)
	s_and_not1_b32 vcc_lo, exec_lo, s23
	s_cbranch_vccnz .LBB7_600
; %bb.590:
	s_cmp_lt_i32 s0, 6
	s_cbranch_scc1 .LBB7_593
; %bb.591:
	s_cmp_gt_i32 s0, 6
	s_cbranch_scc0 .LBB7_594
; %bb.592:
	global_load_b64 v[6:7], v[4:5], off
	s_mov_b32 s23, 0
	s_wait_loadcnt 0x0
	v_cvt_i32_f64_e32 v1, v[6:7]
	s_branch .LBB7_595
.LBB7_593:
	s_mov_b32 s23, -1
                                        ; implicit-def: $vgpr1
	s_branch .LBB7_598
.LBB7_594:
	s_mov_b32 s23, -1
                                        ; implicit-def: $vgpr1
.LBB7_595:
	s_delay_alu instid0(SALU_CYCLE_1)
	s_and_not1_b32 vcc_lo, exec_lo, s23
	s_cbranch_vccnz .LBB7_597
; %bb.596:
	s_wait_loadcnt 0x0
	global_load_b32 v1, v[4:5], off
	s_wait_loadcnt 0x0
	v_cvt_i32_f32_e32 v1, v1
.LBB7_597:
	s_mov_b32 s23, 0
.LBB7_598:
	s_delay_alu instid0(SALU_CYCLE_1)
	s_and_not1_b32 vcc_lo, exec_lo, s23
	s_cbranch_vccnz .LBB7_600
; %bb.599:
	s_wait_loadcnt 0x0
	global_load_u16 v1, v[4:5], off
	s_wait_loadcnt 0x0
	v_cvt_f32_f16_e32 v1, v1
	s_delay_alu instid0(VALU_DEP_1)
	v_cvt_i32_f32_e32 v1, v1
.LBB7_600:
	s_mov_b32 s23, 0
.LBB7_601:
	s_delay_alu instid0(SALU_CYCLE_1)
	s_and_not1_b32 vcc_lo, exec_lo, s23
	s_cbranch_vccnz .LBB7_621
; %bb.602:
	s_cmp_lt_i32 s0, 2
	s_cbranch_scc1 .LBB7_606
; %bb.603:
	s_cmp_lt_i32 s0, 3
	s_cbranch_scc1 .LBB7_607
; %bb.604:
	s_cmp_gt_i32 s0, 3
	s_cbranch_scc0 .LBB7_608
; %bb.605:
	s_wait_loadcnt 0x0
	global_load_b32 v1, v[4:5], off
	s_mov_b32 s23, 0
	s_branch .LBB7_609
.LBB7_606:
	s_mov_b32 s23, -1
                                        ; implicit-def: $vgpr1
	s_branch .LBB7_615
.LBB7_607:
	s_mov_b32 s23, -1
                                        ; implicit-def: $vgpr1
	s_branch .LBB7_612
.LBB7_608:
	s_mov_b32 s23, -1
                                        ; implicit-def: $vgpr1
.LBB7_609:
	s_delay_alu instid0(SALU_CYCLE_1)
	s_and_not1_b32 vcc_lo, exec_lo, s23
	s_cbranch_vccnz .LBB7_611
; %bb.610:
	s_wait_loadcnt 0x0
	global_load_b32 v1, v[4:5], off
.LBB7_611:
	s_mov_b32 s23, 0
.LBB7_612:
	s_delay_alu instid0(SALU_CYCLE_1)
	s_and_not1_b32 vcc_lo, exec_lo, s23
	s_cbranch_vccnz .LBB7_614
; %bb.613:
	s_wait_loadcnt 0x0
	global_load_i16 v1, v[4:5], off
.LBB7_614:
	s_mov_b32 s23, 0
.LBB7_615:
	s_delay_alu instid0(SALU_CYCLE_1)
	s_and_not1_b32 vcc_lo, exec_lo, s23
	s_cbranch_vccnz .LBB7_621
; %bb.616:
	s_cmp_gt_i32 s0, 0
	s_mov_b32 s0, 0
	s_cbranch_scc0 .LBB7_618
; %bb.617:
	s_wait_loadcnt 0x0
	global_load_i8 v1, v[4:5], off
	s_branch .LBB7_619
.LBB7_618:
	s_mov_b32 s0, -1
                                        ; implicit-def: $vgpr1
.LBB7_619:
	s_delay_alu instid0(SALU_CYCLE_1)
	s_and_not1_b32 vcc_lo, exec_lo, s0
	s_cbranch_vccnz .LBB7_621
; %bb.620:
	s_wait_loadcnt 0x0
	global_load_u8 v1, v[4:5], off
.LBB7_621:
	s_mov_b32 s23, -1
.LBB7_622:
	s_delay_alu instid0(SALU_CYCLE_1)
	s_and_not1_b32 vcc_lo, exec_lo, s23
	s_cbranch_vccnz .LBB7_631
; %bb.623:
	s_wait_loadcnt 0x0
	s_delay_alu instid0(VALU_DEP_1)
	v_cmp_le_i32_e32 vcc_lo, s35, v1
	v_cmp_gt_i32_e64 s0, s36, v1
	s_mov_b32 s23, 0
	s_mov_b32 s24, -1
	s_mov_b32 s25, s47
	s_and_b32 s0, vcc_lo, s0
	s_delay_alu instid0(SALU_CYCLE_1)
	s_and_b32 s26, s9, s0
	s_wait_xcnt 0x0
	s_and_saveexec_b32 s0, s26
	s_cbranch_execz .LBB7_719
; %bb.624:
	v_mov_b32_e32 v3, 0
	s_and_b32 s24, s34, 0xff
	s_delay_alu instid0(SALU_CYCLE_1) | instskip(NEXT) | instid1(VALU_DEP_1)
	s_cmp_lt_i32 s24, 11
	v_add_nc_u64_e32 v[2:3], s[4:5], v[2:3]
	s_cbranch_scc1 .LBB7_632
; %bb.625:
	s_and_b32 s25, 0xffff, s24
	s_delay_alu instid0(SALU_CYCLE_1)
	s_cmp_gt_i32 s25, 25
	s_cbranch_scc0 .LBB7_633
; %bb.626:
	s_cmp_gt_i32 s25, 28
	s_cbranch_scc0 .LBB7_634
; %bb.627:
	;; [unrolled: 3-line block ×4, first 2 shown]
	s_mov_b32 s27, 0
	s_mov_b32 s23, -1
	s_cmp_eq_u32 s25, 46
	s_mov_b32 s26, 0
	s_cbranch_scc0 .LBB7_637
; %bb.630:
	v_mov_b32_e32 v1, 0
	s_mov_b32 s26, -1
	s_mov_b32 s23, 0
	global_store_b32 v[2:3], v1, off
	s_branch .LBB7_637
.LBB7_631:
	s_mov_b32 s23, 0
	s_mov_b32 s25, s47
	;; [unrolled: 1-line block ×3, first 2 shown]
                                        ; implicit-def: $vgpr0
	s_branch .LBB7_720
.LBB7_632:
	s_mov_b32 s25, -1
	s_mov_b32 s26, 0
	s_mov_b32 s23, s47
	s_branch .LBB7_676
.LBB7_633:
	s_mov_b32 s27, -1
	s_mov_b32 s26, 0
	s_mov_b32 s23, s47
	s_branch .LBB7_656
.LBB7_634:
	s_mov_b32 s27, -1
	s_mov_b32 s26, 0
	s_mov_b32 s23, s47
	s_branch .LBB7_645
.LBB7_635:
	s_mov_b32 s27, -1
	s_mov_b32 s26, 0
	s_mov_b32 s23, s47
	s_branch .LBB7_641
.LBB7_636:
	s_mov_b32 s27, -1
	s_mov_b32 s26, 0
	s_mov_b32 s23, s47
.LBB7_637:
	s_and_b32 vcc_lo, exec_lo, s27
	s_cbranch_vccz .LBB7_640
; %bb.638:
	s_cmp_eq_u32 s25, 44
	s_mov_b32 s23, -1
	s_cbranch_scc0 .LBB7_640
; %bb.639:
	s_wait_xcnt 0x0
	v_mov_b32_e32 v1, 0
	s_mov_b32 s26, -1
	s_mov_b32 s23, 0
	global_store_b8 v[2:3], v1, off
.LBB7_640:
	s_mov_b32 s27, 0
.LBB7_641:
	s_delay_alu instid0(SALU_CYCLE_1)
	s_and_b32 vcc_lo, exec_lo, s27
	s_cbranch_vccz .LBB7_644
; %bb.642:
	s_cmp_eq_u32 s25, 29
	s_mov_b32 s23, -1
	s_cbranch_scc0 .LBB7_644
; %bb.643:
	v_mov_b64_e32 v[4:5], 0
	s_mov_b32 s26, -1
	s_mov_b32 s23, 0
	s_mov_b32 s27, 0
	global_store_b64 v[2:3], v[4:5], off
	s_branch .LBB7_645
.LBB7_644:
	s_mov_b32 s27, 0
.LBB7_645:
	s_delay_alu instid0(SALU_CYCLE_1)
	s_and_b32 vcc_lo, exec_lo, s27
	s_cbranch_vccz .LBB7_655
; %bb.646:
	s_cmp_lt_i32 s25, 27
	s_mov_b32 s26, -1
	s_cbranch_scc1 .LBB7_652
; %bb.647:
	s_cmp_gt_i32 s25, 27
	s_cbranch_scc0 .LBB7_649
; %bb.648:
	s_wait_xcnt 0x0
	v_mov_b32_e32 v1, 0
	s_mov_b32 s26, 0
	global_store_b32 v[2:3], v1, off
.LBB7_649:
	s_and_not1_b32 vcc_lo, exec_lo, s26
	s_cbranch_vccnz .LBB7_651
; %bb.650:
	s_wait_xcnt 0x0
	v_mov_b32_e32 v1, 0
	global_store_b16 v[2:3], v1, off
.LBB7_651:
	s_mov_b32 s26, 0
.LBB7_652:
	s_delay_alu instid0(SALU_CYCLE_1)
	s_and_not1_b32 vcc_lo, exec_lo, s26
	s_cbranch_vccnz .LBB7_654
; %bb.653:
	s_wait_xcnt 0x0
	v_mov_b32_e32 v1, 0
	global_store_b8 v[2:3], v1, off
.LBB7_654:
	s_mov_b32 s26, -1
.LBB7_655:
	s_mov_b32 s27, 0
.LBB7_656:
	s_delay_alu instid0(SALU_CYCLE_1)
	s_and_b32 vcc_lo, exec_lo, s27
	s_cbranch_vccz .LBB7_675
; %bb.657:
	s_cmp_gt_i32 s25, 22
	s_mov_b32 s27, -1
	s_cbranch_scc0 .LBB7_667
; %bb.658:
	s_cmp_lt_i32 s25, 24
	s_mov_b32 s26, -1
	s_cbranch_scc1 .LBB7_664
; %bb.659:
	s_cmp_gt_i32 s25, 24
	s_cbranch_scc0 .LBB7_661
; %bb.660:
	s_wait_xcnt 0x0
	v_mov_b32_e32 v1, 0
	s_mov_b32 s26, 0
	global_store_b8 v[2:3], v1, off
.LBB7_661:
	s_and_not1_b32 vcc_lo, exec_lo, s26
	s_cbranch_vccnz .LBB7_663
; %bb.662:
	s_wait_xcnt 0x0
	v_mov_b32_e32 v1, 0
	global_store_b8 v[2:3], v1, off
.LBB7_663:
	s_mov_b32 s26, 0
.LBB7_664:
	s_delay_alu instid0(SALU_CYCLE_1)
	s_and_not1_b32 vcc_lo, exec_lo, s26
	s_cbranch_vccnz .LBB7_666
; %bb.665:
	s_wait_xcnt 0x0
	v_mov_b32_e32 v1, 0
	global_store_b8 v[2:3], v1, off
.LBB7_666:
	s_mov_b32 s27, 0
	s_mov_b32 s26, -1
.LBB7_667:
	s_and_not1_b32 vcc_lo, exec_lo, s27
	s_cbranch_vccnz .LBB7_675
; %bb.668:
	s_cmp_gt_i32 s25, 14
	s_mov_b32 s27, -1
	s_cbranch_scc0 .LBB7_672
; %bb.669:
	s_cmp_eq_u32 s25, 15
	s_mov_b32 s23, -1
	s_cbranch_scc0 .LBB7_671
; %bb.670:
	s_wait_xcnt 0x0
	v_mov_b32_e32 v1, 0
	s_mov_b32 s26, -1
	s_mov_b32 s23, 0
	global_store_b16 v[2:3], v1, off
.LBB7_671:
	s_mov_b32 s27, 0
.LBB7_672:
	s_delay_alu instid0(SALU_CYCLE_1)
	s_and_b32 vcc_lo, exec_lo, s27
	s_cbranch_vccz .LBB7_675
; %bb.673:
	s_cmp_eq_u32 s25, 11
	s_mov_b32 s23, -1
	s_cbranch_scc0 .LBB7_675
; %bb.674:
	s_wait_xcnt 0x0
	v_mov_b32_e32 v1, 0
	s_mov_b32 s26, -1
	s_mov_b32 s23, 0
	global_store_b8 v[2:3], v1, off
.LBB7_675:
	s_mov_b32 s25, 0
.LBB7_676:
	s_delay_alu instid0(SALU_CYCLE_1)
	s_and_b32 vcc_lo, exec_lo, s25
	s_cbranch_vccz .LBB7_715
; %bb.677:
	s_and_b32 s24, 0xffff, s24
	s_mov_b32 s25, -1
	s_cmp_lt_i32 s24, 5
	s_cbranch_scc1 .LBB7_698
; %bb.678:
	s_cmp_lt_i32 s24, 8
	s_cbranch_scc1 .LBB7_688
; %bb.679:
	;; [unrolled: 3-line block ×3, first 2 shown]
	s_cmp_gt_i32 s24, 9
	s_cbranch_scc0 .LBB7_682
; %bb.681:
	s_wait_xcnt 0x0
	v_mov_b32_e32 v4, 0
	s_mov_b32 s25, 0
	s_delay_alu instid0(VALU_DEP_1)
	v_dual_mov_b32 v5, v4 :: v_dual_mov_b32 v6, v4
	v_mov_b32_e32 v7, v4
	global_store_b128 v[2:3], v[4:7], off
.LBB7_682:
	s_and_not1_b32 vcc_lo, exec_lo, s25
	s_cbranch_vccnz .LBB7_684
; %bb.683:
	s_wait_xcnt 0x0
	v_mov_b64_e32 v[4:5], 0
	global_store_b64 v[2:3], v[4:5], off
.LBB7_684:
	s_mov_b32 s25, 0
.LBB7_685:
	s_delay_alu instid0(SALU_CYCLE_1)
	s_and_not1_b32 vcc_lo, exec_lo, s25
	s_cbranch_vccnz .LBB7_687
; %bb.686:
	s_wait_xcnt 0x0
	v_mov_b32_e32 v1, 0
	global_store_b32 v[2:3], v1, off
.LBB7_687:
	s_mov_b32 s25, 0
.LBB7_688:
	s_delay_alu instid0(SALU_CYCLE_1)
	s_and_not1_b32 vcc_lo, exec_lo, s25
	s_cbranch_vccnz .LBB7_697
; %bb.689:
	s_cmp_lt_i32 s24, 6
	s_mov_b32 s25, -1
	s_cbranch_scc1 .LBB7_695
; %bb.690:
	s_cmp_gt_i32 s24, 6
	s_cbranch_scc0 .LBB7_692
; %bb.691:
	s_wait_xcnt 0x0
	v_mov_b64_e32 v[4:5], 0
	s_mov_b32 s25, 0
	global_store_b64 v[2:3], v[4:5], off
.LBB7_692:
	s_and_not1_b32 vcc_lo, exec_lo, s25
	s_cbranch_vccnz .LBB7_694
; %bb.693:
	s_wait_xcnt 0x0
	v_mov_b32_e32 v1, 0
	global_store_b32 v[2:3], v1, off
.LBB7_694:
	s_mov_b32 s25, 0
.LBB7_695:
	s_delay_alu instid0(SALU_CYCLE_1)
	s_and_not1_b32 vcc_lo, exec_lo, s25
	s_cbranch_vccnz .LBB7_697
; %bb.696:
	s_wait_xcnt 0x0
	v_mov_b32_e32 v1, 0
	global_store_b16 v[2:3], v1, off
.LBB7_697:
	s_mov_b32 s25, 0
.LBB7_698:
	s_delay_alu instid0(SALU_CYCLE_1)
	s_and_not1_b32 vcc_lo, exec_lo, s25
	s_cbranch_vccnz .LBB7_714
; %bb.699:
	s_cmp_lt_i32 s24, 2
	s_mov_b32 s25, -1
	s_cbranch_scc1 .LBB7_709
; %bb.700:
	s_cmp_lt_i32 s24, 3
	s_cbranch_scc1 .LBB7_706
; %bb.701:
	s_cmp_gt_i32 s24, 3
	s_cbranch_scc0 .LBB7_703
; %bb.702:
	s_wait_xcnt 0x0
	v_mov_b64_e32 v[4:5], 0
	s_mov_b32 s25, 0
	global_store_b64 v[2:3], v[4:5], off
.LBB7_703:
	s_and_not1_b32 vcc_lo, exec_lo, s25
	s_cbranch_vccnz .LBB7_705
; %bb.704:
	s_wait_xcnt 0x0
	v_mov_b32_e32 v1, 0
	global_store_b32 v[2:3], v1, off
.LBB7_705:
	s_mov_b32 s25, 0
.LBB7_706:
	s_delay_alu instid0(SALU_CYCLE_1)
	s_and_not1_b32 vcc_lo, exec_lo, s25
	s_cbranch_vccnz .LBB7_708
; %bb.707:
	s_wait_xcnt 0x0
	v_mov_b32_e32 v1, 0
	global_store_b16 v[2:3], v1, off
.LBB7_708:
	s_mov_b32 s25, 0
.LBB7_709:
	s_delay_alu instid0(SALU_CYCLE_1)
	s_and_not1_b32 vcc_lo, exec_lo, s25
	s_cbranch_vccnz .LBB7_714
; %bb.710:
	s_cmp_gt_i32 s24, 0
	s_mov_b32 s24, -1
	s_cbranch_scc0 .LBB7_712
; %bb.711:
	s_wait_xcnt 0x0
	v_mov_b32_e32 v1, 0
	s_mov_b32 s24, 0
	global_store_b8 v[2:3], v1, off
.LBB7_712:
	s_and_not1_b32 vcc_lo, exec_lo, s24
	s_cbranch_vccnz .LBB7_714
; %bb.713:
	s_wait_xcnt 0x0
	v_mov_b32_e32 v1, 0
	global_store_b8 v[2:3], v1, off
.LBB7_714:
	s_mov_b32 s26, -1
.LBB7_715:
	s_delay_alu instid0(SALU_CYCLE_1)
	s_and_not1_b32 vcc_lo, exec_lo, s26
	s_cbranch_vccnz .LBB7_717
; %bb.716:
	v_add_nc_u32_e32 v0, 0x80, v0
	s_mov_b32 s26, -1
	s_branch .LBB7_718
.LBB7_717:
	s_mov_b32 s26, 0
                                        ; implicit-def: $vgpr0
.LBB7_718:
	s_and_not1_b32 s24, s47, exec_lo
	s_and_b32 s23, s23, exec_lo
	s_delay_alu instid0(SALU_CYCLE_1)
	s_or_b32 s25, s24, s23
	s_xor_b32 s24, exec_lo, -1
	s_and_b32 s23, s26, exec_lo
.LBB7_719:
	s_wait_xcnt 0x0
	s_or_b32 exec_lo, exec_lo, s0
.LBB7_720:
	s_delay_alu instid0(SALU_CYCLE_1)
	s_and_not1_b32 s0, s47, exec_lo
	s_and_b32 s25, s25, exec_lo
	s_and_b32 s24, s24, exec_lo
	s_or_b32 s26, s0, s25
	s_and_not1_b32 s0, s48, exec_lo
	s_and_not1_b32 s25, s46, exec_lo
	s_and_b32 s22, s22, exec_lo
	s_or_b32 s27, s0, s24
	s_or_b32 s0, s25, s22
	s_or_not1_b32 s25, s23, exec_lo
.LBB7_721:
	s_wait_xcnt 0x0
	s_or_b32 exec_lo, exec_lo, s50
	s_mov_b32 s22, 0
	s_mov_b32 s23, 0
	;; [unrolled: 1-line block ×3, first 2 shown]
                                        ; implicit-def: $vgpr4_vgpr5
                                        ; implicit-def: $vgpr2
                                        ; implicit-def: $vgpr1
	s_and_saveexec_b32 s50, s25
	s_cbranch_execz .LBB7_815
; %bb.722:
	v_cmp_gt_i32_e32 vcc_lo, s39, v0
	s_mov_b32 s25, s0
                                        ; implicit-def: $vgpr4_vgpr5
                                        ; implicit-def: $vgpr2
                                        ; implicit-def: $vgpr1
	s_and_saveexec_b32 s39, vcc_lo
	s_cbranch_execz .LBB7_814
; %bb.723:
	s_and_not1_b32 vcc_lo, exec_lo, s31
	s_cbranch_vccnz .LBB7_729
; %bb.724:
	s_and_not1_b32 vcc_lo, exec_lo, s41
	s_cbranch_vccnz .LBB7_730
; %bb.725:
	s_add_co_i32 s40, s40, 1
	s_cmp_eq_u32 s29, 2
	s_cbranch_scc1 .LBB7_731
; %bb.726:
	v_dual_mov_b32 v2, 0 :: v_dual_mov_b32 v4, 0
	s_wait_loadcnt 0x0
	v_mov_b32_e32 v1, v0
	s_and_b32 s22, s40, 28
	s_mov_b64 s[24:25], s[2:3]
.LBB7_727:                              ; =>This Inner Loop Header: Depth=1
	s_clause 0x1
	s_load_b256 s[52:59], s[24:25], 0x4
	s_load_b128 s[68:71], s[24:25], 0x24
	s_load_b256 s[60:67], s[20:21], 0x0
	s_add_co_i32 s23, s23, 4
	s_wait_xcnt 0x0
	s_add_nc_u64 s[24:25], s[24:25], 48
	s_cmp_eq_u32 s22, s23
	s_add_nc_u64 s[20:21], s[20:21], 32
	s_wait_kmcnt 0x0
	v_mul_hi_u32 v3, s53, v1
	s_delay_alu instid0(VALU_DEP_1) | instskip(NEXT) | instid1(VALU_DEP_1)
	v_add_nc_u32_e32 v3, v1, v3
	v_lshrrev_b32_e32 v3, s54, v3
	s_delay_alu instid0(VALU_DEP_1) | instskip(NEXT) | instid1(VALU_DEP_1)
	v_mul_hi_u32 v5, s56, v3
	v_add_nc_u32_e32 v5, v3, v5
	s_delay_alu instid0(VALU_DEP_1) | instskip(NEXT) | instid1(VALU_DEP_1)
	v_lshrrev_b32_e32 v5, s57, v5
	v_mul_hi_u32 v6, s59, v5
	s_delay_alu instid0(VALU_DEP_1) | instskip(SKIP_1) | instid1(VALU_DEP_1)
	v_add_nc_u32_e32 v6, v5, v6
	v_mul_lo_u32 v7, v3, s52
	v_sub_nc_u32_e32 v1, v1, v7
	v_mul_lo_u32 v7, v5, s55
	s_delay_alu instid0(VALU_DEP_4) | instskip(NEXT) | instid1(VALU_DEP_3)
	v_lshrrev_b32_e32 v6, s68, v6
	v_mad_u32 v4, v1, s61, v4
	v_mad_u32 v1, v1, s60, v2
	s_delay_alu instid0(VALU_DEP_4) | instskip(NEXT) | instid1(VALU_DEP_4)
	v_sub_nc_u32_e32 v2, v3, v7
	v_mul_hi_u32 v8, s70, v6
	v_mul_lo_u32 v3, v6, s58
	s_delay_alu instid0(VALU_DEP_3) | instskip(SKIP_1) | instid1(VALU_DEP_3)
	v_mad_u32 v4, v2, s63, v4
	v_mad_u32 v2, v2, s62, v1
	v_dual_add_nc_u32 v7, v6, v8 :: v_dual_sub_nc_u32 v3, v5, v3
	s_delay_alu instid0(VALU_DEP_1) | instskip(NEXT) | instid1(VALU_DEP_2)
	v_lshrrev_b32_e32 v1, s71, v7
	v_mad_u32 v4, v3, s65, v4
	s_delay_alu instid0(VALU_DEP_4) | instskip(NEXT) | instid1(VALU_DEP_3)
	v_mad_u32 v2, v3, s64, v2
	v_mul_lo_u32 v5, v1, s69
	s_delay_alu instid0(VALU_DEP_1) | instskip(NEXT) | instid1(VALU_DEP_1)
	v_sub_nc_u32_e32 v3, v6, v5
	v_mad_u32 v4, v3, s67, v4
	s_delay_alu instid0(VALU_DEP_4)
	v_mad_u32 v2, v3, s66, v2
	s_cbranch_scc0 .LBB7_727
; %bb.728:
	s_delay_alu instid0(VALU_DEP_2)
	v_mov_b32_e32 v3, v4
	s_branch .LBB7_732
.LBB7_729:
	s_mov_b32 s20, -1
                                        ; implicit-def: $vgpr4
                                        ; implicit-def: $vgpr2
	s_branch .LBB7_737
.LBB7_730:
	v_dual_mov_b32 v4, 0 :: v_dual_mov_b32 v2, 0
	s_branch .LBB7_736
.LBB7_731:
	v_mov_b64_e32 v[2:3], 0
	s_wait_loadcnt 0x0
	v_mov_b32_e32 v1, v0
                                        ; implicit-def: $vgpr4
.LBB7_732:
	s_and_b32 s24, s40, 3
	s_mov_b32 s23, 0
	s_cmp_eq_u32 s24, 0
	s_cbranch_scc1 .LBB7_736
; %bb.733:
	s_lshl_b32 s20, s22, 3
	s_mov_b32 s21, s23
	s_mul_u64 s[22:23], s[22:23], 12
	s_add_nc_u64 s[20:21], s[2:3], s[20:21]
	s_add_nc_u64 s[22:23], s[2:3], s[22:23]
	;; [unrolled: 1-line block ×3, first 2 shown]
.LBB7_734:                              ; =>This Inner Loop Header: Depth=1
	s_load_b96 s[52:54], s[22:23], 0x4
	s_load_b64 s[40:41], s[20:21], 0x0
	s_add_co_i32 s24, s24, -1
	s_wait_xcnt 0x0
	s_add_nc_u64 s[22:23], s[22:23], 12
	s_cmp_lg_u32 s24, 0
	s_add_nc_u64 s[20:21], s[20:21], 8
	s_wait_kmcnt 0x0
	v_mul_hi_u32 v4, s53, v1
	s_delay_alu instid0(VALU_DEP_1) | instskip(NEXT) | instid1(VALU_DEP_1)
	v_add_nc_u32_e32 v4, v1, v4
	v_lshrrev_b32_e32 v4, s54, v4
	s_delay_alu instid0(VALU_DEP_1) | instskip(NEXT) | instid1(VALU_DEP_1)
	v_mul_lo_u32 v5, v4, s52
	v_sub_nc_u32_e32 v1, v1, v5
	s_delay_alu instid0(VALU_DEP_1)
	v_mad_u32 v3, v1, s41, v3
	v_mad_u32 v2, v1, s40, v2
	v_mov_b32_e32 v1, v4
	s_cbranch_scc1 .LBB7_734
; %bb.735:
	s_delay_alu instid0(VALU_DEP_3)
	v_mov_b32_e32 v4, v3
.LBB7_736:
	s_mov_b32 s20, 0
.LBB7_737:
	s_delay_alu instid0(SALU_CYCLE_1)
	s_and_not1_b32 vcc_lo, exec_lo, s20
	s_cbranch_vccnz .LBB7_740
; %bb.738:
	s_wait_loadcnt 0x0
	v_mov_b32_e32 v1, 0
	s_and_not1_b32 vcc_lo, exec_lo, s38
	s_delay_alu instid0(VALU_DEP_1) | instskip(NEXT) | instid1(VALU_DEP_1)
	v_mul_u64_e32 v[2:3], s[16:17], v[0:1]
	v_add_nc_u32_e32 v2, v0, v3
	s_delay_alu instid0(VALU_DEP_1) | instskip(NEXT) | instid1(VALU_DEP_1)
	v_lshrrev_b32_e32 v6, s10, v2
	v_mul_lo_u32 v2, v6, s8
	s_delay_alu instid0(VALU_DEP_1) | instskip(NEXT) | instid1(VALU_DEP_1)
	v_sub_nc_u32_e32 v0, v0, v2
	v_mul_lo_u32 v4, v0, s13
	v_mul_lo_u32 v2, v0, s12
	s_cbranch_vccnz .LBB7_740
; %bb.739:
	v_mov_b32_e32 v7, v1
	s_delay_alu instid0(VALU_DEP_1) | instskip(NEXT) | instid1(VALU_DEP_1)
	v_mul_u64_e32 v[0:1], s[18:19], v[6:7]
	v_add_nc_u32_e32 v0, v6, v1
	s_delay_alu instid0(VALU_DEP_1) | instskip(NEXT) | instid1(VALU_DEP_1)
	v_lshrrev_b32_e32 v0, s1, v0
	v_mul_lo_u32 v0, v0, s11
	s_delay_alu instid0(VALU_DEP_1) | instskip(NEXT) | instid1(VALU_DEP_1)
	v_sub_nc_u32_e32 v0, v6, v0
	v_mad_u32 v2, v0, s14, v2
	v_mad_u32 v4, v0, s15, v4
.LBB7_740:
	v_mov_b32_e32 v5, 0
	s_and_b32 s1, 0xffff, s37
	s_delay_alu instid0(SALU_CYCLE_1) | instskip(NEXT) | instid1(VALU_DEP_1)
	s_cmp_lt_i32 s1, 11
	v_add_nc_u64_e32 v[4:5], s[6:7], v[4:5]
	s_cbranch_scc1 .LBB7_747
; %bb.741:
	s_cmp_gt_i32 s1, 25
	s_mov_b32 s7, 0
	s_cbranch_scc0 .LBB7_748
; %bb.742:
	s_cmp_gt_i32 s1, 28
	s_cbranch_scc0 .LBB7_749
; %bb.743:
	s_cmp_gt_i32 s1, 43
	;; [unrolled: 3-line block ×3, first 2 shown]
	s_cbranch_scc0 .LBB7_751
; %bb.745:
	s_cmp_eq_u32 s1, 46
	s_mov_b32 s10, 0
	s_cbranch_scc0 .LBB7_752
; %bb.746:
	global_load_b32 v0, v[4:5], off
	s_mov_b32 s6, 0
	s_mov_b32 s8, -1
	s_wait_loadcnt 0x0
	v_lshlrev_b32_e32 v0, 16, v0
	s_delay_alu instid0(VALU_DEP_1)
	v_cvt_i32_f32_e32 v1, v0
	s_branch .LBB7_754
.LBB7_747:
	s_mov_b32 s1, -1
	s_mov_b32 s8, 0
	s_mov_b32 s7, 0
	;; [unrolled: 1-line block ×3, first 2 shown]
                                        ; implicit-def: $vgpr1
	s_branch .LBB7_813
.LBB7_748:
	s_mov_b32 s10, -1
	s_mov_b32 s8, 0
	s_mov_b32 s6, s0
                                        ; implicit-def: $vgpr1
	s_branch .LBB7_781
.LBB7_749:
	s_mov_b32 s10, -1
	s_mov_b32 s8, 0
	s_mov_b32 s6, s0
                                        ; implicit-def: $vgpr1
	s_branch .LBB7_764
.LBB7_750:
	s_mov_b32 s10, -1
	s_mov_b32 s8, 0
	s_mov_b32 s6, s0
                                        ; implicit-def: $vgpr1
	s_branch .LBB7_759
.LBB7_751:
	s_mov_b32 s10, -1
	s_mov_b32 s8, 0
	s_mov_b32 s6, s0
	s_branch .LBB7_753
.LBB7_752:
	s_mov_b32 s6, -1
	s_mov_b32 s8, 0
.LBB7_753:
                                        ; implicit-def: $vgpr1
.LBB7_754:
	s_and_b32 vcc_lo, exec_lo, s10
	s_cbranch_vccz .LBB7_758
; %bb.755:
	s_cmp_eq_u32 s1, 44
	s_cbranch_scc0 .LBB7_757
; %bb.756:
	global_load_u8 v0, v[4:5], off
	s_mov_b32 s6, 0
	s_mov_b32 s8, -1
	s_wait_loadcnt 0x0
	v_lshlrev_b32_e32 v1, 23, v0
	v_cmp_ne_u32_e32 vcc_lo, 0, v0
	s_delay_alu instid0(VALU_DEP_2) | instskip(NEXT) | instid1(VALU_DEP_1)
	v_cvt_i32_f32_e32 v1, v1
	v_cndmask_b32_e32 v1, 0, v1, vcc_lo
	s_branch .LBB7_758
.LBB7_757:
	s_mov_b32 s6, -1
                                        ; implicit-def: $vgpr1
.LBB7_758:
	s_mov_b32 s10, 0
.LBB7_759:
	s_delay_alu instid0(SALU_CYCLE_1)
	s_and_b32 vcc_lo, exec_lo, s10
	s_cbranch_vccz .LBB7_763
; %bb.760:
	s_cmp_eq_u32 s1, 29
	s_cbranch_scc0 .LBB7_762
; %bb.761:
	s_wait_loadcnt 0x0
	global_load_b32 v1, v[4:5], off
	s_mov_b32 s6, 0
	s_mov_b32 s8, -1
	s_branch .LBB7_763
.LBB7_762:
	s_mov_b32 s6, -1
                                        ; implicit-def: $vgpr1
.LBB7_763:
	s_mov_b32 s10, 0
.LBB7_764:
	s_delay_alu instid0(SALU_CYCLE_1)
	s_and_b32 vcc_lo, exec_lo, s10
	s_cbranch_vccz .LBB7_780
; %bb.765:
	s_cmp_lt_i32 s1, 27
	s_cbranch_scc1 .LBB7_768
; %bb.766:
	s_cmp_gt_i32 s1, 27
	s_cbranch_scc0 .LBB7_769
; %bb.767:
	s_wait_loadcnt 0x0
	global_load_b32 v1, v[4:5], off
	s_mov_b32 s8, 0
	s_branch .LBB7_770
.LBB7_768:
	s_mov_b32 s8, -1
                                        ; implicit-def: $vgpr1
	s_branch .LBB7_773
.LBB7_769:
	s_mov_b32 s8, -1
                                        ; implicit-def: $vgpr1
.LBB7_770:
	s_delay_alu instid0(SALU_CYCLE_1)
	s_and_not1_b32 vcc_lo, exec_lo, s8
	s_cbranch_vccnz .LBB7_772
; %bb.771:
	s_wait_loadcnt 0x0
	global_load_u16 v1, v[4:5], off
.LBB7_772:
	s_mov_b32 s8, 0
.LBB7_773:
	s_delay_alu instid0(SALU_CYCLE_1)
	s_and_not1_b32 vcc_lo, exec_lo, s8
	s_cbranch_vccnz .LBB7_779
; %bb.774:
	global_load_u8 v0, v[4:5], off
	s_mov_b32 s10, 0
	s_mov_b32 s8, exec_lo
	s_wait_loadcnt 0x0
	v_cmpx_lt_i16_e32 0x7f, v0
	s_xor_b32 s8, exec_lo, s8
	s_cbranch_execz .LBB7_791
; %bb.775:
	v_cmp_ne_u16_e32 vcc_lo, 0x80, v0
	s_and_b32 s10, vcc_lo, exec_lo
	s_and_not1_saveexec_b32 s8, s8
	s_cbranch_execnz .LBB7_792
.LBB7_776:
	s_or_b32 exec_lo, exec_lo, s8
	v_mov_b32_e32 v1, 0
	s_and_saveexec_b32 s8, s10
	s_cbranch_execz .LBB7_778
.LBB7_777:
	v_and_b32_e32 v1, 0xffff, v0
	s_delay_alu instid0(VALU_DEP_1) | instskip(SKIP_1) | instid1(VALU_DEP_2)
	v_and_b32_e32 v3, 7, v1
	v_bfe_u32 v8, v1, 3, 4
	v_clz_i32_u32_e32 v6, v3
	s_delay_alu instid0(VALU_DEP_2) | instskip(NEXT) | instid1(VALU_DEP_2)
	v_cmp_eq_u32_e32 vcc_lo, 0, v8
	v_min_u32_e32 v6, 32, v6
	s_delay_alu instid0(VALU_DEP_1) | instskip(NEXT) | instid1(VALU_DEP_1)
	v_subrev_nc_u32_e32 v7, 28, v6
	v_dual_lshlrev_b32 v1, v7, v1 :: v_dual_sub_nc_u32 v6, 29, v6
	s_delay_alu instid0(VALU_DEP_1) | instskip(NEXT) | instid1(VALU_DEP_1)
	v_dual_lshlrev_b32 v0, 24, v0 :: v_dual_bitop2_b32 v1, 7, v1 bitop3:0x40
	v_dual_cndmask_b32 v6, v8, v6 :: v_dual_cndmask_b32 v1, v3, v1
	s_delay_alu instid0(VALU_DEP_2) | instskip(NEXT) | instid1(VALU_DEP_2)
	v_and_b32_e32 v0, 0x80000000, v0
	v_lshl_add_u32 v3, v6, 23, 0x3b800000
	s_delay_alu instid0(VALU_DEP_3) | instskip(NEXT) | instid1(VALU_DEP_1)
	v_lshlrev_b32_e32 v1, 20, v1
	v_or3_b32 v0, v0, v3, v1
	s_delay_alu instid0(VALU_DEP_1)
	v_cvt_i32_f32_e32 v1, v0
.LBB7_778:
	s_or_b32 exec_lo, exec_lo, s8
.LBB7_779:
	s_mov_b32 s8, -1
.LBB7_780:
	s_mov_b32 s10, 0
.LBB7_781:
	s_delay_alu instid0(SALU_CYCLE_1)
	s_and_b32 vcc_lo, exec_lo, s10
	s_cbranch_vccz .LBB7_812
; %bb.782:
	s_cmp_gt_i32 s1, 22
	s_cbranch_scc0 .LBB7_790
; %bb.783:
	s_cmp_lt_i32 s1, 24
	s_cbranch_scc1 .LBB7_793
; %bb.784:
	s_cmp_gt_i32 s1, 24
	s_cbranch_scc0 .LBB7_794
; %bb.785:
	global_load_u8 v0, v[4:5], off
	s_mov_b32 s8, 0
	s_mov_b32 s7, exec_lo
	s_wait_loadcnt 0x0
	v_cmpx_lt_i16_e32 0x7f, v0
	s_xor_b32 s7, exec_lo, s7
	s_cbranch_execz .LBB7_806
; %bb.786:
	v_cmp_ne_u16_e32 vcc_lo, 0x80, v0
	s_and_b32 s8, vcc_lo, exec_lo
	s_and_not1_saveexec_b32 s7, s7
	s_cbranch_execnz .LBB7_807
.LBB7_787:
	s_or_b32 exec_lo, exec_lo, s7
	v_mov_b32_e32 v1, 0
	s_and_saveexec_b32 s7, s8
	s_cbranch_execz .LBB7_789
.LBB7_788:
	v_and_b32_e32 v1, 0xffff, v0
	s_delay_alu instid0(VALU_DEP_1) | instskip(SKIP_1) | instid1(VALU_DEP_2)
	v_and_b32_e32 v3, 3, v1
	v_bfe_u32 v8, v1, 2, 5
	v_clz_i32_u32_e32 v6, v3
	s_delay_alu instid0(VALU_DEP_2) | instskip(NEXT) | instid1(VALU_DEP_2)
	v_cmp_eq_u32_e32 vcc_lo, 0, v8
	v_min_u32_e32 v6, 32, v6
	s_delay_alu instid0(VALU_DEP_1) | instskip(NEXT) | instid1(VALU_DEP_1)
	v_subrev_nc_u32_e32 v7, 29, v6
	v_dual_lshlrev_b32 v1, v7, v1 :: v_dual_sub_nc_u32 v6, 30, v6
	s_delay_alu instid0(VALU_DEP_1) | instskip(NEXT) | instid1(VALU_DEP_1)
	v_dual_lshlrev_b32 v0, 24, v0 :: v_dual_bitop2_b32 v1, 3, v1 bitop3:0x40
	v_dual_cndmask_b32 v6, v8, v6 :: v_dual_cndmask_b32 v1, v3, v1
	s_delay_alu instid0(VALU_DEP_2) | instskip(NEXT) | instid1(VALU_DEP_2)
	v_and_b32_e32 v0, 0x80000000, v0
	v_lshl_add_u32 v3, v6, 23, 0x37800000
	s_delay_alu instid0(VALU_DEP_3) | instskip(NEXT) | instid1(VALU_DEP_1)
	v_lshlrev_b32_e32 v1, 21, v1
	v_or3_b32 v0, v0, v3, v1
	s_delay_alu instid0(VALU_DEP_1)
	v_cvt_i32_f32_e32 v1, v0
.LBB7_789:
	s_or_b32 exec_lo, exec_lo, s7
	s_mov_b32 s7, 0
	s_branch .LBB7_795
.LBB7_790:
	s_mov_b32 s7, -1
                                        ; implicit-def: $vgpr1
	s_branch .LBB7_801
.LBB7_791:
	s_and_not1_saveexec_b32 s8, s8
	s_cbranch_execz .LBB7_776
.LBB7_792:
	v_cmp_ne_u16_e32 vcc_lo, 0, v0
	s_and_not1_b32 s10, s10, exec_lo
	s_and_b32 s11, vcc_lo, exec_lo
	s_delay_alu instid0(SALU_CYCLE_1)
	s_or_b32 s10, s10, s11
	s_or_b32 exec_lo, exec_lo, s8
	v_mov_b32_e32 v1, 0
	s_and_saveexec_b32 s8, s10
	s_cbranch_execnz .LBB7_777
	s_branch .LBB7_778
.LBB7_793:
	s_mov_b32 s7, -1
                                        ; implicit-def: $vgpr1
	s_branch .LBB7_798
.LBB7_794:
	s_mov_b32 s7, -1
                                        ; implicit-def: $vgpr1
.LBB7_795:
	s_delay_alu instid0(SALU_CYCLE_1)
	s_and_b32 vcc_lo, exec_lo, s7
	s_cbranch_vccz .LBB7_797
; %bb.796:
	global_load_u8 v0, v[4:5], off
	s_wait_loadcnt 0x0
	v_lshlrev_b32_e32 v0, 24, v0
	s_delay_alu instid0(VALU_DEP_1) | instskip(NEXT) | instid1(VALU_DEP_1)
	v_and_b32_e32 v1, 0x7f000000, v0
	v_clz_i32_u32_e32 v3, v1
	v_add_nc_u32_e32 v7, 0x1000000, v1
	v_cmp_ne_u32_e32 vcc_lo, 0, v1
	s_delay_alu instid0(VALU_DEP_3) | instskip(NEXT) | instid1(VALU_DEP_1)
	v_min_u32_e32 v3, 32, v3
	v_sub_nc_u32_e64 v3, v3, 4 clamp
	s_delay_alu instid0(VALU_DEP_1) | instskip(NEXT) | instid1(VALU_DEP_1)
	v_dual_lshlrev_b32 v6, v3, v1 :: v_dual_lshlrev_b32 v3, 23, v3
	v_lshrrev_b32_e32 v6, 4, v6
	s_delay_alu instid0(VALU_DEP_1) | instskip(SKIP_1) | instid1(VALU_DEP_2)
	v_sub_nc_u32_e32 v3, v6, v3
	v_ashrrev_i32_e32 v6, 8, v7
	v_add_nc_u32_e32 v3, 0x3c000000, v3
	s_delay_alu instid0(VALU_DEP_1) | instskip(NEXT) | instid1(VALU_DEP_1)
	v_and_or_b32 v3, 0x7f800000, v6, v3
	v_cndmask_b32_e32 v1, 0, v3, vcc_lo
	s_delay_alu instid0(VALU_DEP_1) | instskip(NEXT) | instid1(VALU_DEP_1)
	v_and_or_b32 v0, 0x80000000, v0, v1
	v_cvt_i32_f32_e32 v1, v0
.LBB7_797:
	s_mov_b32 s7, 0
.LBB7_798:
	s_delay_alu instid0(SALU_CYCLE_1)
	s_and_not1_b32 vcc_lo, exec_lo, s7
	s_cbranch_vccnz .LBB7_800
; %bb.799:
	global_load_u8 v0, v[4:5], off
	s_wait_loadcnt 0x0
	v_lshlrev_b32_e32 v1, 25, v0
	v_lshlrev_b16 v0, 8, v0
	s_delay_alu instid0(VALU_DEP_1) | instskip(SKIP_1) | instid1(VALU_DEP_2)
	v_and_or_b32 v6, 0x7f00, v0, 0.5
	v_bfe_i32 v0, v0, 0, 16
	v_dual_add_f32 v6, -0.5, v6 :: v_dual_lshrrev_b32 v3, 4, v1
	v_cmp_gt_u32_e32 vcc_lo, 0x8000000, v1
	s_delay_alu instid0(VALU_DEP_2) | instskip(NEXT) | instid1(VALU_DEP_1)
	v_or_b32_e32 v3, 0x70000000, v3
	v_mul_f32_e32 v3, 0x7800000, v3
	s_delay_alu instid0(VALU_DEP_1) | instskip(NEXT) | instid1(VALU_DEP_1)
	v_cndmask_b32_e32 v1, v3, v6, vcc_lo
	v_and_or_b32 v0, 0x80000000, v0, v1
	s_delay_alu instid0(VALU_DEP_1)
	v_cvt_i32_f32_e32 v1, v0
.LBB7_800:
	s_mov_b32 s7, 0
	s_mov_b32 s8, -1
.LBB7_801:
	s_and_not1_b32 vcc_lo, exec_lo, s7
	s_mov_b32 s7, 0
	s_cbranch_vccnz .LBB7_812
; %bb.802:
	s_cmp_gt_i32 s1, 14
	s_cbranch_scc0 .LBB7_805
; %bb.803:
	s_cmp_eq_u32 s1, 15
	s_cbranch_scc0 .LBB7_808
; %bb.804:
	global_load_u16 v0, v[4:5], off
	s_mov_b32 s6, 0
	s_mov_b32 s8, -1
	s_wait_loadcnt 0x0
	v_lshlrev_b32_e32 v0, 16, v0
	s_delay_alu instid0(VALU_DEP_1)
	v_cvt_i32_f32_e32 v1, v0
	s_branch .LBB7_810
.LBB7_805:
	s_mov_b32 s7, -1
	s_branch .LBB7_809
.LBB7_806:
	s_and_not1_saveexec_b32 s7, s7
	s_cbranch_execz .LBB7_787
.LBB7_807:
	v_cmp_ne_u16_e32 vcc_lo, 0, v0
	s_and_not1_b32 s8, s8, exec_lo
	s_and_b32 s10, vcc_lo, exec_lo
	s_delay_alu instid0(SALU_CYCLE_1)
	s_or_b32 s8, s8, s10
	s_or_b32 exec_lo, exec_lo, s7
	v_mov_b32_e32 v1, 0
	s_and_saveexec_b32 s7, s8
	s_cbranch_execnz .LBB7_788
	s_branch .LBB7_789
.LBB7_808:
	s_mov_b32 s6, -1
.LBB7_809:
                                        ; implicit-def: $vgpr1
.LBB7_810:
	s_and_b32 vcc_lo, exec_lo, s7
	s_mov_b32 s7, 0
	s_cbranch_vccz .LBB7_812
; %bb.811:
	s_cmp_lg_u32 s1, 11
	s_mov_b32 s7, -1
	s_cselect_b32 s1, -1, 0
	s_and_not1_b32 s6, s6, exec_lo
	s_and_b32 s1, s1, exec_lo
	s_delay_alu instid0(SALU_CYCLE_1)
	s_or_b32 s6, s6, s1
.LBB7_812:
	s_mov_b32 s1, 0
.LBB7_813:
	s_delay_alu instid0(SALU_CYCLE_1)
	s_and_b32 s23, s1, exec_lo
	s_and_not1_b32 s1, s0, exec_lo
	s_and_b32 s6, s6, exec_lo
	s_and_b32 s24, s8, exec_lo
	;; [unrolled: 1-line block ×3, first 2 shown]
	s_or_b32 s25, s1, s6
.LBB7_814:
	s_wait_xcnt 0x0
	s_or_b32 exec_lo, exec_lo, s39
	s_delay_alu instid0(SALU_CYCLE_1)
	s_and_not1_b32 s0, s0, exec_lo
	s_and_b32 s1, s25, exec_lo
	s_and_b32 s24, s24, exec_lo
	;; [unrolled: 1-line block ×4, first 2 shown]
	s_or_b32 s0, s0, s1
.LBB7_815:
	s_or_b32 exec_lo, exec_lo, s50
	s_delay_alu instid0(SALU_CYCLE_1)
	s_and_not1_b32 s1, s47, exec_lo
	s_and_b32 s6, s26, exec_lo
	s_and_not1_b32 s7, s48, exec_lo
	s_and_b32 s8, s27, exec_lo
	s_or_b32 s47, s1, s6
	s_and_not1_b32 s1, s46, exec_lo
	s_and_b32 s0, s0, exec_lo
	s_or_b32 s48, s7, s8
	s_and_b32 s24, s24, exec_lo
	s_and_b32 s23, s23, exec_lo
	;; [unrolled: 1-line block ×3, first 2 shown]
	s_or_b32 s46, s1, s0
.LBB7_816:
	s_or_b32 exec_lo, exec_lo, s49
	s_delay_alu instid0(SALU_CYCLE_1)
	s_and_not1_b32 s0, s42, exec_lo
	s_and_b32 s1, s47, exec_lo
	s_and_not1_b32 s6, s43, exec_lo
	s_and_b32 s7, s48, exec_lo
	s_or_b32 s42, s0, s1
	s_or_b32 s43, s6, s7
	s_and_not1_b32 s1, s44, exec_lo
	s_and_b32 s6, s46, exec_lo
	s_and_b32 s0, s24, exec_lo
	;; [unrolled: 1-line block ×4, first 2 shown]
	s_or_b32 s44, s1, s6
	s_or_b32 exec_lo, exec_lo, s45
	s_mov_b32 s1, 0
	s_and_saveexec_b32 s6, s44
	s_cbranch_execz .LBB7_245
.LBB7_817:
	s_mov_b32 s1, exec_lo
	s_and_not1_b32 s17, s17, exec_lo
	s_trap 2
	s_or_b32 exec_lo, exec_lo, s6
	s_and_saveexec_b32 s6, s17
	s_delay_alu instid0(SALU_CYCLE_1)
	s_xor_b32 s6, exec_lo, s6
	s_cbranch_execnz .LBB7_246
.LBB7_818:
	s_or_b32 exec_lo, exec_lo, s6
	s_and_saveexec_b32 s6, s23
	s_cbranch_execz .LBB7_864
.LBB7_819:
	s_sext_i32_i16 s7, s37
	s_delay_alu instid0(SALU_CYCLE_1)
	s_cmp_lt_i32 s7, 5
	s_cbranch_scc1 .LBB7_824
; %bb.820:
	s_cmp_lt_i32 s7, 8
	s_cbranch_scc1 .LBB7_825
; %bb.821:
	;; [unrolled: 3-line block ×3, first 2 shown]
	s_cmp_gt_i32 s7, 9
	s_cbranch_scc0 .LBB7_827
; %bb.823:
	s_wait_loadcnt 0x0
	global_load_b64 v[0:1], v[4:5], off
	s_mov_b32 s7, 0
	s_wait_loadcnt 0x0
	v_cvt_i32_f64_e32 v1, v[0:1]
	s_branch .LBB7_828
.LBB7_824:
                                        ; implicit-def: $vgpr1
	s_branch .LBB7_845
.LBB7_825:
                                        ; implicit-def: $vgpr1
	s_branch .LBB7_834
.LBB7_826:
	s_mov_b32 s7, -1
                                        ; implicit-def: $vgpr1
	s_branch .LBB7_831
.LBB7_827:
	s_mov_b32 s7, -1
                                        ; implicit-def: $vgpr1
.LBB7_828:
	s_delay_alu instid0(SALU_CYCLE_1)
	s_and_not1_b32 vcc_lo, exec_lo, s7
	s_cbranch_vccnz .LBB7_830
; %bb.829:
	global_load_b32 v0, v[4:5], off
	s_wait_loadcnt 0x0
	v_cvt_i32_f32_e32 v1, v0
.LBB7_830:
	s_mov_b32 s7, 0
.LBB7_831:
	s_delay_alu instid0(SALU_CYCLE_1)
	s_and_not1_b32 vcc_lo, exec_lo, s7
	s_cbranch_vccnz .LBB7_833
; %bb.832:
	global_load_b32 v0, v[4:5], off
	s_wait_loadcnt 0x0
	v_cvt_f32_f16_e32 v0, v0
	s_delay_alu instid0(VALU_DEP_1)
	v_cvt_i32_f32_e32 v1, v0
.LBB7_833:
	s_cbranch_execnz .LBB7_844
.LBB7_834:
	s_sext_i32_i16 s7, s37
	s_delay_alu instid0(SALU_CYCLE_1)
	s_cmp_lt_i32 s7, 6
	s_cbranch_scc1 .LBB7_837
; %bb.835:
	s_cmp_gt_i32 s7, 6
	s_cbranch_scc0 .LBB7_838
; %bb.836:
	s_wait_loadcnt 0x0
	global_load_b64 v[0:1], v[4:5], off
	s_mov_b32 s7, 0
	s_wait_loadcnt 0x0
	v_cvt_i32_f64_e32 v1, v[0:1]
	s_branch .LBB7_839
.LBB7_837:
	s_mov_b32 s7, -1
                                        ; implicit-def: $vgpr1
	s_branch .LBB7_842
.LBB7_838:
	s_mov_b32 s7, -1
                                        ; implicit-def: $vgpr1
.LBB7_839:
	s_delay_alu instid0(SALU_CYCLE_1)
	s_and_not1_b32 vcc_lo, exec_lo, s7
	s_cbranch_vccnz .LBB7_841
; %bb.840:
	global_load_b32 v0, v[4:5], off
	s_wait_loadcnt 0x0
	v_cvt_i32_f32_e32 v1, v0
.LBB7_841:
	s_mov_b32 s7, 0
.LBB7_842:
	s_delay_alu instid0(SALU_CYCLE_1)
	s_and_not1_b32 vcc_lo, exec_lo, s7
	s_cbranch_vccnz .LBB7_844
; %bb.843:
	global_load_u16 v0, v[4:5], off
	s_wait_loadcnt 0x0
	v_cvt_f32_f16_e32 v0, v0
	s_delay_alu instid0(VALU_DEP_1)
	v_cvt_i32_f32_e32 v1, v0
.LBB7_844:
	s_cbranch_execnz .LBB7_863
.LBB7_845:
	s_sext_i32_i16 s7, s37
	s_delay_alu instid0(SALU_CYCLE_1)
	s_cmp_lt_i32 s7, 2
	s_cbranch_scc1 .LBB7_849
; %bb.846:
	s_cmp_lt_i32 s7, 3
	s_cbranch_scc1 .LBB7_850
; %bb.847:
	s_cmp_gt_i32 s7, 3
	s_cbranch_scc0 .LBB7_851
; %bb.848:
	s_wait_loadcnt 0x0
	global_load_b32 v1, v[4:5], off
	s_mov_b32 s7, 0
	s_branch .LBB7_852
.LBB7_849:
                                        ; implicit-def: $vgpr1
	s_branch .LBB7_858
.LBB7_850:
	s_mov_b32 s7, -1
                                        ; implicit-def: $vgpr1
	s_branch .LBB7_855
.LBB7_851:
	s_mov_b32 s7, -1
                                        ; implicit-def: $vgpr1
.LBB7_852:
	s_delay_alu instid0(SALU_CYCLE_1)
	s_and_not1_b32 vcc_lo, exec_lo, s7
	s_cbranch_vccnz .LBB7_854
; %bb.853:
	s_wait_loadcnt 0x0
	global_load_b32 v1, v[4:5], off
.LBB7_854:
	s_mov_b32 s7, 0
.LBB7_855:
	s_delay_alu instid0(SALU_CYCLE_1)
	s_and_not1_b32 vcc_lo, exec_lo, s7
	s_cbranch_vccnz .LBB7_857
; %bb.856:
	s_wait_loadcnt 0x0
	global_load_i16 v1, v[4:5], off
.LBB7_857:
	s_cbranch_execnz .LBB7_863
.LBB7_858:
	s_sext_i32_i16 s7, s37
	s_delay_alu instid0(SALU_CYCLE_1)
	s_cmp_gt_i32 s7, 0
	s_mov_b32 s7, 0
	s_cbranch_scc0 .LBB7_860
; %bb.859:
	s_wait_loadcnt 0x0
	global_load_i8 v1, v[4:5], off
	s_branch .LBB7_861
.LBB7_860:
	s_mov_b32 s7, -1
                                        ; implicit-def: $vgpr1
.LBB7_861:
	s_delay_alu instid0(SALU_CYCLE_1)
	s_and_not1_b32 vcc_lo, exec_lo, s7
	s_cbranch_vccnz .LBB7_863
; %bb.862:
	s_wait_loadcnt 0x0
	global_load_u8 v1, v[4:5], off
.LBB7_863:
	s_or_b32 s0, s0, exec_lo
.LBB7_864:
	s_wait_xcnt 0x0
	s_or_b32 exec_lo, exec_lo, s6
	s_mov_b32 s8, 0
	s_and_saveexec_b32 s6, s0
	s_delay_alu instid0(SALU_CYCLE_1)
	s_xor_b32 s6, exec_lo, s6
	s_cbranch_execz .LBB7_866
; %bb.865:
	s_wait_loadcnt 0x0
	s_delay_alu instid0(VALU_DEP_1) | instskip(SKIP_4) | instid1(SALU_CYCLE_1)
	v_cmp_le_i32_e32 vcc_lo, s35, v1
	v_cmp_gt_i32_e64 s0, s36, v1
	s_and_not1_b32 s7, s43, exec_lo
	s_mov_b32 s8, exec_lo
	s_and_b32 s0, vcc_lo, s0
	s_and_b32 s0, s9, s0
	s_delay_alu instid0(SALU_CYCLE_1) | instskip(NEXT) | instid1(SALU_CYCLE_1)
	s_xor_b32 s0, s0, -1
	s_and_b32 s0, s0, exec_lo
	s_delay_alu instid0(SALU_CYCLE_1)
	s_or_b32 s43, s7, s0
.LBB7_866:
	s_or_b32 exec_lo, exec_lo, s6
	s_and_saveexec_b32 s0, s43
	s_cbranch_execnz .LBB7_879
.LBB7_867:
	s_or_b32 exec_lo, exec_lo, s0
	s_mov_b32 s9, 0
	s_mov_b32 s7, 0
                                        ; implicit-def: $sgpr0
                                        ; implicit-def: $vgpr0_vgpr1
	s_and_saveexec_b32 s6, s8
	s_cbranch_execz .LBB7_875
; %bb.868:
	v_mov_b32_e32 v3, 0
	s_and_b32 s0, s34, 0xff
	s_delay_alu instid0(SALU_CYCLE_1) | instskip(SKIP_1) | instid1(VALU_DEP_1)
	s_cmp_lt_i32 s0, 11
	s_wait_loadcnt 0x0
	v_add_nc_u64_e32 v[0:1], s[4:5], v[2:3]
	s_cbranch_scc1 .LBB7_878
; %bb.869:
	s_and_b32 s5, 0xffff, s0
	s_mov_b32 s7, -1
	s_cmp_gt_i32 s5, 25
	s_mov_b32 s4, s42
	s_cbranch_scc0 .LBB7_899
; %bb.870:
	s_cmp_gt_i32 s5, 28
	s_mov_b32 s4, s42
	s_cbranch_scc0 .LBB7_889
; %bb.871:
	;; [unrolled: 4-line block ×4, first 2 shown]
	s_cmp_eq_u32 s5, 46
	s_mov_b32 s4, -1
	s_cbranch_scc0 .LBB7_880
; %bb.874:
	v_mov_b32_e32 v2, 0
	s_mov_b32 s4, 0
	s_mov_b32 s7, 0
	global_store_b32 v[0:1], v2, off
	s_branch .LBB7_881
.LBB7_875:
	s_or_b32 exec_lo, exec_lo, s6
	s_and_saveexec_b32 s4, s42
	s_cbranch_execnz .LBB7_919
.LBB7_876:
	s_or_b32 exec_lo, exec_lo, s4
	s_and_saveexec_b32 s4, s9
	s_delay_alu instid0(SALU_CYCLE_1)
	s_xor_b32 s4, exec_lo, s4
	s_cbranch_execz .LBB7_920
.LBB7_877:
	v_mov_b32_e32 v2, 0
	s_wait_loadcnt 0x0
	global_store_b8 v[0:1], v2, off
	s_wait_xcnt 0x0
	s_or_b32 exec_lo, exec_lo, s4
	s_and_saveexec_b32 s4, s7
	s_delay_alu instid0(SALU_CYCLE_1)
	s_xor_b32 s4, exec_lo, s4
	s_cbranch_execz .LBB7_958
	s_branch .LBB7_921
.LBB7_878:
	s_mov_b32 s8, 0
	s_mov_b32 s7, -1
	s_mov_b32 s4, s42
	s_branch .LBB7_918
.LBB7_879:
	s_or_b32 s1, s1, exec_lo
	s_and_not1_b32 s8, s8, exec_lo
	s_trap 2
	s_branch .LBB7_867
.LBB7_880:
	s_mov_b32 s7, 0
.LBB7_881:
	s_delay_alu instid0(SALU_CYCLE_1)
	s_and_b32 vcc_lo, exec_lo, s7
	s_cbranch_vccz .LBB7_884
; %bb.882:
	s_cmp_eq_u32 s5, 44
	s_mov_b32 s4, -1
	s_cbranch_scc0 .LBB7_884
; %bb.883:
	s_wait_xcnt 0x0
	v_mov_b32_e32 v2, 0
	s_mov_b32 s4, 0
	s_mov_b32 s7, 0
	global_store_b8 v[0:1], v2, off
	s_branch .LBB7_885
.LBB7_884:
	s_mov_b32 s7, 0
.LBB7_885:
	s_delay_alu instid0(SALU_CYCLE_1)
	s_and_b32 vcc_lo, exec_lo, s7
	s_cbranch_vccz .LBB7_888
; %bb.886:
	s_cmp_eq_u32 s5, 29
	s_mov_b32 s4, -1
	s_cbranch_scc0 .LBB7_888
; %bb.887:
	s_wait_xcnt 0x0
	v_mov_b64_e32 v[2:3], 0
	s_mov_b32 s4, 0
	s_mov_b32 s7, 0
	global_store_b64 v[0:1], v[2:3], off
	s_branch .LBB7_889
.LBB7_888:
	s_mov_b32 s7, 0
.LBB7_889:
	s_delay_alu instid0(SALU_CYCLE_1)
	s_and_b32 vcc_lo, exec_lo, s7
	s_cbranch_vccz .LBB7_898
; %bb.890:
	s_cmp_lt_i32 s5, 27
	s_mov_b32 s7, -1
	s_cbranch_scc1 .LBB7_896
; %bb.891:
	s_cmp_gt_i32 s5, 27
	s_cbranch_scc0 .LBB7_893
; %bb.892:
	s_wait_xcnt 0x0
	v_mov_b32_e32 v2, 0
	s_mov_b32 s7, 0
	global_store_b32 v[0:1], v2, off
.LBB7_893:
	s_and_not1_b32 vcc_lo, exec_lo, s7
	s_cbranch_vccnz .LBB7_895
; %bb.894:
	s_wait_xcnt 0x0
	v_mov_b32_e32 v2, 0
	global_store_b16 v[0:1], v2, off
.LBB7_895:
	s_mov_b32 s7, 0
.LBB7_896:
	s_delay_alu instid0(SALU_CYCLE_1)
	s_and_not1_b32 vcc_lo, exec_lo, s7
	s_cbranch_vccnz .LBB7_898
; %bb.897:
	s_wait_xcnt 0x0
	v_mov_b32_e32 v2, 0
	global_store_b8 v[0:1], v2, off
.LBB7_898:
	s_mov_b32 s7, 0
.LBB7_899:
	s_delay_alu instid0(SALU_CYCLE_1)
	s_and_b32 vcc_lo, exec_lo, s7
	s_mov_b32 s7, 0
	s_cbranch_vccz .LBB7_917
; %bb.900:
	s_cmp_gt_i32 s5, 22
	s_mov_b32 s8, -1
	s_cbranch_scc0 .LBB7_910
; %bb.901:
	s_cmp_lt_i32 s5, 24
	s_cbranch_scc1 .LBB7_907
; %bb.902:
	s_cmp_gt_i32 s5, 24
	s_cbranch_scc0 .LBB7_904
; %bb.903:
	s_wait_xcnt 0x0
	v_mov_b32_e32 v2, 0
	s_mov_b32 s8, 0
	global_store_b8 v[0:1], v2, off
.LBB7_904:
	s_and_not1_b32 vcc_lo, exec_lo, s8
	s_cbranch_vccnz .LBB7_906
; %bb.905:
	s_wait_xcnt 0x0
	v_mov_b32_e32 v2, 0
	global_store_b8 v[0:1], v2, off
.LBB7_906:
	s_mov_b32 s8, 0
.LBB7_907:
	s_delay_alu instid0(SALU_CYCLE_1)
	s_and_not1_b32 vcc_lo, exec_lo, s8
	s_cbranch_vccnz .LBB7_909
; %bb.908:
	s_wait_xcnt 0x0
	v_mov_b32_e32 v2, 0
	global_store_b8 v[0:1], v2, off
.LBB7_909:
	s_mov_b32 s8, 0
.LBB7_910:
	s_delay_alu instid0(SALU_CYCLE_1)
	s_and_not1_b32 vcc_lo, exec_lo, s8
	s_mov_b32 s8, 0
	s_cbranch_vccnz .LBB7_918
; %bb.911:
	s_cmp_gt_i32 s5, 14
	s_mov_b32 s8, -1
	s_cbranch_scc0 .LBB7_915
; %bb.912:
	s_cmp_eq_u32 s5, 15
	s_mov_b32 s4, -1
	s_cbranch_scc0 .LBB7_914
; %bb.913:
	s_wait_xcnt 0x0
	v_mov_b32_e32 v2, 0
	s_mov_b32 s4, 0
	global_store_b16 v[0:1], v2, off
.LBB7_914:
	s_mov_b32 s8, 0
.LBB7_915:
	s_delay_alu instid0(SALU_CYCLE_1)
	s_and_b32 vcc_lo, exec_lo, s8
	s_mov_b32 s8, 0
	s_cbranch_vccz .LBB7_918
; %bb.916:
	s_cmp_lg_u32 s5, 11
	s_mov_b32 s8, -1
	s_cselect_b32 s5, -1, 0
	s_and_not1_b32 s4, s4, exec_lo
	s_and_b32 s5, s5, exec_lo
	s_delay_alu instid0(SALU_CYCLE_1)
	s_or_b32 s4, s4, s5
	s_branch .LBB7_918
.LBB7_917:
	s_mov_b32 s8, 0
.LBB7_918:
	s_and_not1_b32 s5, s42, exec_lo
	s_and_b32 s4, s4, exec_lo
	s_and_b32 s7, s7, exec_lo
	;; [unrolled: 1-line block ×3, first 2 shown]
	s_or_b32 s42, s5, s4
	s_wait_xcnt 0x0
	s_or_b32 exec_lo, exec_lo, s6
	s_and_saveexec_b32 s4, s42
	s_cbranch_execz .LBB7_876
.LBB7_919:
	s_or_b32 s1, s1, exec_lo
	s_and_not1_b32 s9, s9, exec_lo
	s_trap 2
	s_or_b32 exec_lo, exec_lo, s4
	s_and_saveexec_b32 s4, s9
	s_delay_alu instid0(SALU_CYCLE_1)
	s_xor_b32 s4, exec_lo, s4
	s_cbranch_execnz .LBB7_877
.LBB7_920:
	s_or_b32 exec_lo, exec_lo, s4
	s_and_saveexec_b32 s4, s7
	s_delay_alu instid0(SALU_CYCLE_1)
	s_xor_b32 s4, exec_lo, s4
	s_cbranch_execz .LBB7_958
.LBB7_921:
	s_sext_i32_i16 s6, s0
	s_mov_b32 s5, -1
	s_cmp_lt_i32 s6, 5
	s_cbranch_scc1 .LBB7_942
; %bb.922:
	s_cmp_lt_i32 s6, 8
	s_cbranch_scc1 .LBB7_932
; %bb.923:
	;; [unrolled: 3-line block ×3, first 2 shown]
	s_cmp_gt_i32 s6, 9
	s_cbranch_scc0 .LBB7_926
; %bb.925:
	v_mov_b32_e32 v2, 0
	s_mov_b32 s5, 0
	s_delay_alu instid0(VALU_DEP_1)
	v_dual_mov_b32 v3, v2 :: v_dual_mov_b32 v4, v2
	v_mov_b32_e32 v5, v2
	s_wait_loadcnt 0x0
	global_store_b128 v[0:1], v[2:5], off
.LBB7_926:
	s_and_not1_b32 vcc_lo, exec_lo, s5
	s_cbranch_vccnz .LBB7_928
; %bb.927:
	s_wait_xcnt 0x0
	v_mov_b64_e32 v[2:3], 0
	s_wait_loadcnt 0x0
	global_store_b64 v[0:1], v[2:3], off
.LBB7_928:
	s_mov_b32 s5, 0
.LBB7_929:
	s_delay_alu instid0(SALU_CYCLE_1)
	s_and_not1_b32 vcc_lo, exec_lo, s5
	s_cbranch_vccnz .LBB7_931
; %bb.930:
	s_wait_xcnt 0x0
	v_mov_b32_e32 v2, 0
	s_wait_loadcnt 0x0
	global_store_b32 v[0:1], v2, off
.LBB7_931:
	s_mov_b32 s5, 0
.LBB7_932:
	s_delay_alu instid0(SALU_CYCLE_1)
	s_and_not1_b32 vcc_lo, exec_lo, s5
	s_cbranch_vccnz .LBB7_941
; %bb.933:
	s_sext_i32_i16 s6, s0
	s_mov_b32 s5, -1
	s_cmp_lt_i32 s6, 6
	s_cbranch_scc1 .LBB7_939
; %bb.934:
	s_cmp_gt_i32 s6, 6
	s_cbranch_scc0 .LBB7_936
; %bb.935:
	s_wait_xcnt 0x0
	v_mov_b64_e32 v[2:3], 0
	s_mov_b32 s5, 0
	s_wait_loadcnt 0x0
	global_store_b64 v[0:1], v[2:3], off
.LBB7_936:
	s_and_not1_b32 vcc_lo, exec_lo, s5
	s_cbranch_vccnz .LBB7_938
; %bb.937:
	s_wait_xcnt 0x0
	v_mov_b32_e32 v2, 0
	s_wait_loadcnt 0x0
	global_store_b32 v[0:1], v2, off
.LBB7_938:
	s_mov_b32 s5, 0
.LBB7_939:
	s_delay_alu instid0(SALU_CYCLE_1)
	s_and_not1_b32 vcc_lo, exec_lo, s5
	s_cbranch_vccnz .LBB7_941
; %bb.940:
	s_wait_xcnt 0x0
	v_mov_b32_e32 v2, 0
	s_wait_loadcnt 0x0
	global_store_b16 v[0:1], v2, off
.LBB7_941:
	s_mov_b32 s5, 0
.LBB7_942:
	s_delay_alu instid0(SALU_CYCLE_1)
	s_and_not1_b32 vcc_lo, exec_lo, s5
	s_cbranch_vccnz .LBB7_958
; %bb.943:
	s_sext_i32_i16 s6, s0
	s_mov_b32 s5, -1
	s_cmp_lt_i32 s6, 2
	s_cbranch_scc1 .LBB7_953
; %bb.944:
	s_cmp_lt_i32 s6, 3
	s_cbranch_scc1 .LBB7_950
; %bb.945:
	s_cmp_gt_i32 s6, 3
	s_cbranch_scc0 .LBB7_947
; %bb.946:
	s_wait_xcnt 0x0
	v_mov_b64_e32 v[2:3], 0
	s_mov_b32 s5, 0
	s_wait_loadcnt 0x0
	global_store_b64 v[0:1], v[2:3], off
.LBB7_947:
	s_and_not1_b32 vcc_lo, exec_lo, s5
	s_cbranch_vccnz .LBB7_949
; %bb.948:
	s_wait_xcnt 0x0
	v_mov_b32_e32 v2, 0
	s_wait_loadcnt 0x0
	global_store_b32 v[0:1], v2, off
.LBB7_949:
	s_mov_b32 s5, 0
.LBB7_950:
	s_delay_alu instid0(SALU_CYCLE_1)
	s_and_not1_b32 vcc_lo, exec_lo, s5
	s_cbranch_vccnz .LBB7_952
; %bb.951:
	s_wait_xcnt 0x0
	v_mov_b32_e32 v2, 0
	s_wait_loadcnt 0x0
	global_store_b16 v[0:1], v2, off
.LBB7_952:
	s_mov_b32 s5, 0
.LBB7_953:
	s_delay_alu instid0(SALU_CYCLE_1)
	s_and_not1_b32 vcc_lo, exec_lo, s5
	s_cbranch_vccnz .LBB7_958
; %bb.954:
	s_sext_i32_i16 s0, s0
	s_delay_alu instid0(SALU_CYCLE_1)
	s_cmp_gt_i32 s0, 0
	s_mov_b32 s0, -1
	s_cbranch_scc0 .LBB7_956
; %bb.955:
	s_wait_xcnt 0x0
	v_mov_b32_e32 v2, 0
	s_mov_b32 s0, 0
	s_wait_loadcnt 0x0
	global_store_b8 v[0:1], v2, off
.LBB7_956:
	s_and_not1_b32 vcc_lo, exec_lo, s0
	s_cbranch_vccnz .LBB7_958
; %bb.957:
	s_wait_xcnt 0x0
	v_mov_b32_e32 v2, 0
	s_wait_loadcnt 0x0
	global_store_b8 v[0:1], v2, off
.LBB7_958:
	s_wait_xcnt 0x0
	s_or_b32 exec_lo, exec_lo, s4
	s_delay_alu instid0(SALU_CYCLE_1)
	s_and_b32 s10, s1, exec_lo
                                        ; implicit-def: $vgpr9
                                        ; implicit-def: $vgpr0
.LBB7_959:
	s_or_saveexec_b32 s11, s33
	s_mov_b32 s4, 0
                                        ; implicit-def: $vgpr14_vgpr15
                                        ; implicit-def: $sgpr0
	s_xor_b32 exec_lo, exec_lo, s11
	s_cbranch_execz .LBB7_1854
; %bb.960:
	s_wait_loadcnt 0x0
	v_cndmask_b32_e64 v1, 0, 1, s31
	s_and_not1_b32 vcc_lo, exec_lo, s31
	s_cbranch_vccnz .LBB7_966
; %bb.961:
	s_cmp_lg_u32 s28, 0
	s_mov_b32 s8, 0
	s_cbranch_scc0 .LBB7_967
; %bb.962:
	s_min_u32 s1, s29, 15
	s_delay_alu instid0(SALU_CYCLE_1)
	s_add_co_i32 s1, s1, 1
	s_cmp_eq_u32 s29, 2
	s_cbranch_scc1 .LBB7_968
; %bb.963:
	v_dual_mov_b32 v6, 0 :: v_dual_mov_b32 v14, 0
	v_mov_b32_e32 v2, v0
	s_and_b32 s0, s1, 28
	s_add_nc_u64 s[4:5], s[2:3], 0xc4
	s_mov_b32 s9, 0
	s_mov_b64 s[6:7], s[2:3]
.LBB7_964:                              ; =>This Inner Loop Header: Depth=1
	s_clause 0x1
	s_load_b256 s[12:19], s[6:7], 0x4
	s_load_b128 s[36:39], s[6:7], 0x24
	s_load_b256 s[20:27], s[4:5], 0x0
	s_add_co_i32 s9, s9, 4
	s_wait_xcnt 0x0
	s_add_nc_u64 s[6:7], s[6:7], 48
	s_cmp_lg_u32 s0, s9
	s_add_nc_u64 s[4:5], s[4:5], 32
	s_wait_kmcnt 0x0
	v_mul_hi_u32 v3, s13, v2
	s_delay_alu instid0(VALU_DEP_1) | instskip(NEXT) | instid1(VALU_DEP_1)
	v_add_nc_u32_e32 v3, v2, v3
	v_lshrrev_b32_e32 v3, s14, v3
	s_delay_alu instid0(VALU_DEP_1) | instskip(NEXT) | instid1(VALU_DEP_1)
	v_mul_hi_u32 v4, s16, v3
	v_add_nc_u32_e32 v4, v3, v4
	s_delay_alu instid0(VALU_DEP_1) | instskip(NEXT) | instid1(VALU_DEP_1)
	v_lshrrev_b32_e32 v4, s17, v4
	v_mul_hi_u32 v5, s19, v4
	s_delay_alu instid0(VALU_DEP_1) | instskip(SKIP_1) | instid1(VALU_DEP_1)
	v_add_nc_u32_e32 v5, v4, v5
	v_mul_lo_u32 v7, v3, s12
	v_sub_nc_u32_e32 v2, v2, v7
	v_mul_lo_u32 v7, v4, s15
	s_delay_alu instid0(VALU_DEP_4) | instskip(NEXT) | instid1(VALU_DEP_3)
	v_lshrrev_b32_e32 v5, s36, v5
	v_mad_u32 v10, v2, s21, v14
	v_mad_u32 v2, v2, s20, v6
	s_delay_alu instid0(VALU_DEP_4) | instskip(NEXT) | instid1(VALU_DEP_4)
	v_sub_nc_u32_e32 v3, v3, v7
	v_mul_hi_u32 v8, s38, v5
	v_mul_lo_u32 v6, v5, s18
	s_delay_alu instid0(VALU_DEP_1) | instskip(NEXT) | instid1(VALU_DEP_4)
	v_dual_add_nc_u32 v7, v5, v8 :: v_dual_sub_nc_u32 v4, v4, v6
	v_mad_u32 v8, v3, s23, v10
	v_mad_u32 v3, v3, s22, v2
	s_delay_alu instid0(VALU_DEP_3) | instskip(NEXT) | instid1(VALU_DEP_1)
	v_lshrrev_b32_e32 v2, s39, v7
	v_mul_lo_u32 v6, v2, s37
	s_delay_alu instid0(VALU_DEP_4) | instskip(NEXT) | instid1(VALU_DEP_4)
	v_mad_u32 v7, v4, s25, v8
	v_mad_u32 v3, v4, s24, v3
	s_delay_alu instid0(VALU_DEP_3) | instskip(NEXT) | instid1(VALU_DEP_1)
	v_sub_nc_u32_e32 v4, v5, v6
	v_mad_u32 v14, v4, s27, v7
	s_delay_alu instid0(VALU_DEP_3)
	v_mad_u32 v6, v4, s26, v3
	s_cbranch_scc1 .LBB7_964
; %bb.965:
	s_delay_alu instid0(VALU_DEP_2)
	v_mov_b32_e32 v7, v14
	s_and_b32 s6, s1, 3
	s_mov_b32 s1, 0
	s_cmp_eq_u32 s6, 0
	s_cbranch_scc0 .LBB7_969
	s_branch .LBB7_972
.LBB7_966:
	s_mov_b32 s8, -1
                                        ; implicit-def: $vgpr14
                                        ; implicit-def: $vgpr6
	s_branch .LBB7_972
.LBB7_967:
	v_dual_mov_b32 v14, 0 :: v_dual_mov_b32 v6, 0
	s_branch .LBB7_972
.LBB7_968:
	v_mov_b64_e32 v[6:7], 0
	v_mov_b32_e32 v2, v0
	s_mov_b32 s0, 0
                                        ; implicit-def: $vgpr14
	s_and_b32 s6, s1, 3
	s_mov_b32 s1, 0
	s_cmp_eq_u32 s6, 0
	s_cbranch_scc1 .LBB7_972
.LBB7_969:
	s_lshl_b32 s4, s0, 3
	s_mov_b32 s5, s1
	s_mul_u64 s[12:13], s[0:1], 12
	s_add_nc_u64 s[4:5], s[2:3], s[4:5]
	s_delay_alu instid0(SALU_CYCLE_1)
	s_add_nc_u64 s[0:1], s[4:5], 0xc4
	s_add_nc_u64 s[4:5], s[2:3], s[12:13]
.LBB7_970:                              ; =>This Inner Loop Header: Depth=1
	s_load_b96 s[12:14], s[4:5], 0x4
	s_add_co_i32 s6, s6, -1
	s_wait_xcnt 0x0
	s_add_nc_u64 s[4:5], s[4:5], 12
	s_cmp_lg_u32 s6, 0
	s_wait_kmcnt 0x0
	v_mul_hi_u32 v3, s13, v2
	s_delay_alu instid0(VALU_DEP_1) | instskip(NEXT) | instid1(VALU_DEP_1)
	v_add_nc_u32_e32 v3, v2, v3
	v_lshrrev_b32_e32 v3, s14, v3
	s_load_b64 s[14:15], s[0:1], 0x0
	s_wait_xcnt 0x0
	s_add_nc_u64 s[0:1], s[0:1], 8
	s_delay_alu instid0(VALU_DEP_1) | instskip(NEXT) | instid1(VALU_DEP_1)
	v_mul_lo_u32 v4, v3, s12
	v_sub_nc_u32_e32 v2, v2, v4
	s_wait_kmcnt 0x0
	s_delay_alu instid0(VALU_DEP_1)
	v_mad_u32 v7, v2, s15, v7
	v_mad_u32 v6, v2, s14, v6
	v_mov_b32_e32 v2, v3
	s_cbranch_scc1 .LBB7_970
; %bb.971:
	s_delay_alu instid0(VALU_DEP_3)
	v_mov_b32_e32 v14, v7
.LBB7_972:
	s_and_not1_b32 vcc_lo, exec_lo, s8
	s_cbranch_vccnz .LBB7_975
; %bb.973:
	s_clause 0x1
	s_load_b96 s[4:6], s[2:3], 0x4
	s_load_b64 s[0:1], s[2:3], 0xc4
	s_cmp_lt_u32 s28, 2
	s_wait_kmcnt 0x0
	v_mul_hi_u32 v2, s5, v0
	s_delay_alu instid0(VALU_DEP_1) | instskip(NEXT) | instid1(VALU_DEP_1)
	v_add_nc_u32_e32 v2, v0, v2
	v_lshrrev_b32_e32 v2, s6, v2
	s_delay_alu instid0(VALU_DEP_1) | instskip(NEXT) | instid1(VALU_DEP_1)
	v_mul_lo_u32 v3, v2, s4
	v_sub_nc_u32_e32 v3, v0, v3
	s_delay_alu instid0(VALU_DEP_1)
	v_mul_lo_u32 v14, v3, s1
	v_mul_lo_u32 v6, v3, s0
	s_cbranch_scc1 .LBB7_975
; %bb.974:
	s_clause 0x1
	s_load_b96 s[4:6], s[2:3], 0x10
	s_load_b64 s[0:1], s[2:3], 0xcc
	s_wait_kmcnt 0x0
	v_mul_hi_u32 v3, s5, v2
	s_delay_alu instid0(VALU_DEP_1) | instskip(NEXT) | instid1(VALU_DEP_1)
	v_add_nc_u32_e32 v3, v2, v3
	v_lshrrev_b32_e32 v3, s6, v3
	s_delay_alu instid0(VALU_DEP_1) | instskip(NEXT) | instid1(VALU_DEP_1)
	v_mul_lo_u32 v3, v3, s4
	v_sub_nc_u32_e32 v2, v2, v3
	s_delay_alu instid0(VALU_DEP_1)
	v_mad_u32 v6, v2, s0, v6
	v_mad_u32 v14, v2, s1, v14
.LBB7_975:
	v_cmp_ne_u32_e32 vcc_lo, 1, v1
	v_add_nc_u32_e32 v2, 0x80, v0
	s_cbranch_vccnz .LBB7_981
; %bb.976:
	s_cmp_lg_u32 s28, 0
	s_mov_b32 s8, 0
	s_cbranch_scc0 .LBB7_982
; %bb.977:
	s_min_u32 s1, s29, 15
	s_delay_alu instid0(SALU_CYCLE_1)
	s_add_co_i32 s1, s1, 1
	s_cmp_eq_u32 s29, 2
	s_cbranch_scc1 .LBB7_983
; %bb.978:
	v_dual_mov_b32 v4, 0 :: v_dual_mov_b32 v12, 0
	v_mov_b32_e32 v3, v2
	s_and_b32 s0, s1, 28
	s_add_nc_u64 s[4:5], s[2:3], 0xc4
	s_mov_b32 s9, 0
	s_mov_b64 s[6:7], s[2:3]
.LBB7_979:                              ; =>This Inner Loop Header: Depth=1
	s_clause 0x1
	s_load_b256 s[12:19], s[6:7], 0x4
	s_load_b128 s[36:39], s[6:7], 0x24
	s_load_b256 s[20:27], s[4:5], 0x0
	s_add_co_i32 s9, s9, 4
	s_wait_xcnt 0x0
	s_add_nc_u64 s[6:7], s[6:7], 48
	s_cmp_lg_u32 s0, s9
	s_add_nc_u64 s[4:5], s[4:5], 32
	s_wait_kmcnt 0x0
	v_mul_hi_u32 v5, s13, v3
	s_delay_alu instid0(VALU_DEP_1) | instskip(NEXT) | instid1(VALU_DEP_1)
	v_add_nc_u32_e32 v5, v3, v5
	v_lshrrev_b32_e32 v5, s14, v5
	s_delay_alu instid0(VALU_DEP_1) | instskip(NEXT) | instid1(VALU_DEP_1)
	v_mul_hi_u32 v7, s16, v5
	v_add_nc_u32_e32 v7, v5, v7
	s_delay_alu instid0(VALU_DEP_1) | instskip(NEXT) | instid1(VALU_DEP_1)
	v_lshrrev_b32_e32 v7, s17, v7
	v_mul_hi_u32 v8, s19, v7
	s_delay_alu instid0(VALU_DEP_1) | instskip(SKIP_1) | instid1(VALU_DEP_1)
	v_add_nc_u32_e32 v8, v7, v8
	v_mul_lo_u32 v10, v5, s12
	v_sub_nc_u32_e32 v3, v3, v10
	v_mul_lo_u32 v10, v7, s15
	s_delay_alu instid0(VALU_DEP_4) | instskip(NEXT) | instid1(VALU_DEP_3)
	v_lshrrev_b32_e32 v8, s36, v8
	v_mad_u32 v12, v3, s21, v12
	v_mad_u32 v3, v3, s20, v4
	s_delay_alu instid0(VALU_DEP_4) | instskip(NEXT) | instid1(VALU_DEP_4)
	v_sub_nc_u32_e32 v4, v5, v10
	v_mul_hi_u32 v11, s38, v8
	v_mul_lo_u32 v5, v8, s18
	s_delay_alu instid0(VALU_DEP_1) | instskip(NEXT) | instid1(VALU_DEP_4)
	v_dual_add_nc_u32 v10, v8, v11 :: v_dual_sub_nc_u32 v5, v7, v5
	v_mad_u32 v11, v4, s23, v12
	v_mad_u32 v4, v4, s22, v3
	s_delay_alu instid0(VALU_DEP_3) | instskip(NEXT) | instid1(VALU_DEP_1)
	v_lshrrev_b32_e32 v3, s39, v10
	v_mul_lo_u32 v7, v3, s37
	s_delay_alu instid0(VALU_DEP_4) | instskip(NEXT) | instid1(VALU_DEP_4)
	v_mad_u32 v10, v5, s25, v11
	v_mad_u32 v4, v5, s24, v4
	s_delay_alu instid0(VALU_DEP_3) | instskip(NEXT) | instid1(VALU_DEP_1)
	v_sub_nc_u32_e32 v5, v8, v7
	v_mad_u32 v12, v5, s27, v10
	s_delay_alu instid0(VALU_DEP_3)
	v_mad_u32 v4, v5, s26, v4
	s_cbranch_scc1 .LBB7_979
; %bb.980:
	s_delay_alu instid0(VALU_DEP_2)
	v_mov_b32_e32 v5, v12
	s_and_b32 s6, s1, 3
	s_mov_b32 s1, 0
	s_cmp_eq_u32 s6, 0
	s_cbranch_scc0 .LBB7_984
	s_branch .LBB7_987
.LBB7_981:
	s_mov_b32 s8, -1
                                        ; implicit-def: $vgpr12
                                        ; implicit-def: $vgpr4
	s_branch .LBB7_987
.LBB7_982:
	v_dual_mov_b32 v12, 0 :: v_dual_mov_b32 v4, 0
	s_branch .LBB7_987
.LBB7_983:
	v_mov_b64_e32 v[4:5], 0
	v_mov_b32_e32 v3, v2
	s_mov_b32 s0, 0
                                        ; implicit-def: $vgpr12
	s_and_b32 s6, s1, 3
	s_mov_b32 s1, 0
	s_cmp_eq_u32 s6, 0
	s_cbranch_scc1 .LBB7_987
.LBB7_984:
	s_lshl_b32 s4, s0, 3
	s_mov_b32 s5, s1
	s_mul_u64 s[12:13], s[0:1], 12
	s_add_nc_u64 s[4:5], s[2:3], s[4:5]
	s_delay_alu instid0(SALU_CYCLE_1)
	s_add_nc_u64 s[0:1], s[4:5], 0xc4
	s_add_nc_u64 s[4:5], s[2:3], s[12:13]
.LBB7_985:                              ; =>This Inner Loop Header: Depth=1
	s_load_b96 s[12:14], s[4:5], 0x4
	s_add_co_i32 s6, s6, -1
	s_wait_xcnt 0x0
	s_add_nc_u64 s[4:5], s[4:5], 12
	s_cmp_lg_u32 s6, 0
	s_wait_kmcnt 0x0
	v_mul_hi_u32 v7, s13, v3
	s_delay_alu instid0(VALU_DEP_1) | instskip(NEXT) | instid1(VALU_DEP_1)
	v_add_nc_u32_e32 v7, v3, v7
	v_lshrrev_b32_e32 v7, s14, v7
	s_load_b64 s[14:15], s[0:1], 0x0
	s_wait_xcnt 0x0
	s_add_nc_u64 s[0:1], s[0:1], 8
	s_delay_alu instid0(VALU_DEP_1) | instskip(NEXT) | instid1(VALU_DEP_1)
	v_mul_lo_u32 v8, v7, s12
	v_sub_nc_u32_e32 v3, v3, v8
	s_wait_kmcnt 0x0
	s_delay_alu instid0(VALU_DEP_1)
	v_mad_u32 v5, v3, s15, v5
	v_mad_u32 v4, v3, s14, v4
	v_mov_b32_e32 v3, v7
	s_cbranch_scc1 .LBB7_985
; %bb.986:
	s_delay_alu instid0(VALU_DEP_3)
	v_mov_b32_e32 v12, v5
.LBB7_987:
	s_and_not1_b32 vcc_lo, exec_lo, s8
	s_cbranch_vccnz .LBB7_990
; %bb.988:
	s_clause 0x1
	s_load_b96 s[4:6], s[2:3], 0x4
	s_load_b64 s[0:1], s[2:3], 0xc4
	s_cmp_lt_u32 s28, 2
	s_wait_kmcnt 0x0
	v_mul_hi_u32 v3, s5, v2
	s_delay_alu instid0(VALU_DEP_1) | instskip(NEXT) | instid1(VALU_DEP_1)
	v_add_nc_u32_e32 v3, v2, v3
	v_lshrrev_b32_e32 v3, s6, v3
	s_delay_alu instid0(VALU_DEP_1) | instskip(NEXT) | instid1(VALU_DEP_1)
	v_mul_lo_u32 v4, v3, s4
	v_sub_nc_u32_e32 v2, v2, v4
	s_delay_alu instid0(VALU_DEP_1)
	v_mul_lo_u32 v12, v2, s1
	v_mul_lo_u32 v4, v2, s0
	s_cbranch_scc1 .LBB7_990
; %bb.989:
	s_clause 0x1
	s_load_b96 s[4:6], s[2:3], 0x10
	s_load_b64 s[0:1], s[2:3], 0xcc
	s_wait_kmcnt 0x0
	v_mul_hi_u32 v2, s5, v3
	s_delay_alu instid0(VALU_DEP_1) | instskip(NEXT) | instid1(VALU_DEP_1)
	v_add_nc_u32_e32 v2, v3, v2
	v_lshrrev_b32_e32 v2, s6, v2
	s_delay_alu instid0(VALU_DEP_1) | instskip(NEXT) | instid1(VALU_DEP_1)
	v_mul_lo_u32 v2, v2, s4
	v_sub_nc_u32_e32 v2, v3, v2
	s_delay_alu instid0(VALU_DEP_1)
	v_mad_u32 v4, v2, s0, v4
	v_mad_u32 v12, v2, s1, v12
.LBB7_990:
	v_cmp_ne_u32_e32 vcc_lo, 1, v1
	v_add_nc_u32_e32 v0, 0x100, v0
	s_cbranch_vccnz .LBB7_996
; %bb.991:
	s_cmp_lg_u32 s28, 0
	s_mov_b32 s8, 0
	s_cbranch_scc0 .LBB7_997
; %bb.992:
	s_min_u32 s1, s29, 15
	s_delay_alu instid0(SALU_CYCLE_1)
	s_add_co_i32 s1, s1, 1
	s_cmp_eq_u32 s29, 2
	s_cbranch_scc1 .LBB7_998
; %bb.993:
	v_dual_mov_b32 v2, 0 :: v_dual_mov_b32 v10, 0
	v_mov_b32_e32 v5, v0
	s_and_b32 s0, s1, 28
	s_add_nc_u64 s[4:5], s[2:3], 0xc4
	s_mov_b32 s9, 0
	s_mov_b64 s[6:7], s[2:3]
.LBB7_994:                              ; =>This Inner Loop Header: Depth=1
	s_clause 0x1
	s_load_b256 s[12:19], s[6:7], 0x4
	s_load_b128 s[36:39], s[6:7], 0x24
	s_load_b256 s[20:27], s[4:5], 0x0
	s_add_co_i32 s9, s9, 4
	s_wait_xcnt 0x0
	s_add_nc_u64 s[6:7], s[6:7], 48
	s_cmp_lg_u32 s0, s9
	s_add_nc_u64 s[4:5], s[4:5], 32
	s_wait_kmcnt 0x0
	v_mul_hi_u32 v3, s13, v5
	s_delay_alu instid0(VALU_DEP_1) | instskip(NEXT) | instid1(VALU_DEP_1)
	v_add_nc_u32_e32 v3, v5, v3
	v_lshrrev_b32_e32 v3, s14, v3
	s_delay_alu instid0(VALU_DEP_1) | instskip(NEXT) | instid1(VALU_DEP_1)
	v_mul_hi_u32 v7, s16, v3
	v_add_nc_u32_e32 v7, v3, v7
	s_delay_alu instid0(VALU_DEP_1) | instskip(NEXT) | instid1(VALU_DEP_1)
	v_lshrrev_b32_e32 v7, s17, v7
	v_mul_hi_u32 v8, s19, v7
	s_delay_alu instid0(VALU_DEP_1) | instskip(NEXT) | instid1(VALU_DEP_1)
	v_add_nc_u32_e32 v8, v7, v8
	v_lshrrev_b32_e32 v8, s36, v8
	v_mul_lo_u32 v11, v3, s12
	s_delay_alu instid0(VALU_DEP_2) | instskip(NEXT) | instid1(VALU_DEP_2)
	v_mul_hi_u32 v13, s38, v8
	v_sub_nc_u32_e32 v5, v5, v11
	s_delay_alu instid0(VALU_DEP_1) | instskip(SKIP_1) | instid1(VALU_DEP_4)
	v_mad_u32 v10, v5, s21, v10
	v_mad_u32 v2, v5, s20, v2
	v_add_nc_u32_e32 v5, v8, v13
	s_delay_alu instid0(VALU_DEP_1) | instskip(SKIP_1) | instid1(VALU_DEP_1)
	v_lshrrev_b32_e32 v5, s39, v5
	v_mul_lo_u32 v11, v7, s15
	v_sub_nc_u32_e32 v3, v3, v11
	v_mul_lo_u32 v11, v8, s18
	s_delay_alu instid0(VALU_DEP_2) | instskip(SKIP_1) | instid1(VALU_DEP_3)
	v_mad_u32 v10, v3, s23, v10
	v_mad_u32 v2, v3, s22, v2
	v_sub_nc_u32_e32 v3, v7, v11
	v_mul_lo_u32 v7, v5, s37
	s_delay_alu instid0(VALU_DEP_2) | instskip(NEXT) | instid1(VALU_DEP_4)
	v_mad_u32 v10, v3, s25, v10
	v_mad_u32 v2, v3, s24, v2
	s_delay_alu instid0(VALU_DEP_3) | instskip(NEXT) | instid1(VALU_DEP_1)
	v_sub_nc_u32_e32 v3, v8, v7
	v_mad_u32 v10, v3, s27, v10
	s_delay_alu instid0(VALU_DEP_3)
	v_mad_u32 v2, v3, s26, v2
	s_cbranch_scc1 .LBB7_994
; %bb.995:
	s_delay_alu instid0(VALU_DEP_2)
	v_mov_b32_e32 v3, v10
	s_and_b32 s6, s1, 3
	s_mov_b32 s1, 0
	s_cmp_eq_u32 s6, 0
	s_cbranch_scc0 .LBB7_999
	s_branch .LBB7_1002
.LBB7_996:
	s_mov_b32 s8, -1
                                        ; implicit-def: $vgpr10
                                        ; implicit-def: $vgpr2
	s_branch .LBB7_1002
.LBB7_997:
	v_dual_mov_b32 v10, 0 :: v_dual_mov_b32 v2, 0
	s_branch .LBB7_1002
.LBB7_998:
	v_mov_b64_e32 v[2:3], 0
	v_mov_b32_e32 v5, v0
	s_mov_b32 s0, 0
                                        ; implicit-def: $vgpr10
	s_and_b32 s6, s1, 3
	s_mov_b32 s1, 0
	s_cmp_eq_u32 s6, 0
	s_cbranch_scc1 .LBB7_1002
.LBB7_999:
	s_lshl_b32 s4, s0, 3
	s_mov_b32 s5, s1
	s_mul_u64 s[12:13], s[0:1], 12
	s_add_nc_u64 s[4:5], s[2:3], s[4:5]
	s_delay_alu instid0(SALU_CYCLE_1)
	s_add_nc_u64 s[0:1], s[4:5], 0xc4
	s_add_nc_u64 s[4:5], s[2:3], s[12:13]
.LBB7_1000:                             ; =>This Inner Loop Header: Depth=1
	s_load_b96 s[12:14], s[4:5], 0x4
	s_add_co_i32 s6, s6, -1
	s_wait_xcnt 0x0
	s_add_nc_u64 s[4:5], s[4:5], 12
	s_cmp_lg_u32 s6, 0
	s_wait_kmcnt 0x0
	v_mul_hi_u32 v7, s13, v5
	s_delay_alu instid0(VALU_DEP_1) | instskip(NEXT) | instid1(VALU_DEP_1)
	v_add_nc_u32_e32 v7, v5, v7
	v_lshrrev_b32_e32 v7, s14, v7
	s_load_b64 s[14:15], s[0:1], 0x0
	s_wait_xcnt 0x0
	s_add_nc_u64 s[0:1], s[0:1], 8
	s_delay_alu instid0(VALU_DEP_1) | instskip(NEXT) | instid1(VALU_DEP_1)
	v_mul_lo_u32 v8, v7, s12
	v_sub_nc_u32_e32 v5, v5, v8
	s_wait_kmcnt 0x0
	s_delay_alu instid0(VALU_DEP_1)
	v_mad_u32 v3, v5, s15, v3
	v_mad_u32 v2, v5, s14, v2
	v_mov_b32_e32 v5, v7
	s_cbranch_scc1 .LBB7_1000
; %bb.1001:
	s_delay_alu instid0(VALU_DEP_3)
	v_mov_b32_e32 v10, v3
.LBB7_1002:
	s_and_not1_b32 vcc_lo, exec_lo, s8
	s_cbranch_vccnz .LBB7_1005
; %bb.1003:
	s_clause 0x1
	s_load_b96 s[4:6], s[2:3], 0x4
	s_load_b64 s[0:1], s[2:3], 0xc4
	s_cmp_lt_u32 s28, 2
	s_wait_kmcnt 0x0
	v_mul_hi_u32 v2, s5, v0
	s_delay_alu instid0(VALU_DEP_1) | instskip(NEXT) | instid1(VALU_DEP_1)
	v_add_nc_u32_e32 v2, v0, v2
	v_lshrrev_b32_e32 v3, s6, v2
	s_delay_alu instid0(VALU_DEP_1) | instskip(NEXT) | instid1(VALU_DEP_1)
	v_mul_lo_u32 v2, v3, s4
	v_sub_nc_u32_e32 v0, v0, v2
	s_delay_alu instid0(VALU_DEP_1)
	v_mul_lo_u32 v10, v0, s1
	v_mul_lo_u32 v2, v0, s0
	s_cbranch_scc1 .LBB7_1005
; %bb.1004:
	s_clause 0x1
	s_load_b96 s[4:6], s[2:3], 0x10
	s_load_b64 s[0:1], s[2:3], 0xcc
	s_wait_kmcnt 0x0
	v_mul_hi_u32 v0, s5, v3
	s_delay_alu instid0(VALU_DEP_1) | instskip(NEXT) | instid1(VALU_DEP_1)
	v_add_nc_u32_e32 v0, v3, v0
	v_lshrrev_b32_e32 v0, s6, v0
	s_delay_alu instid0(VALU_DEP_1) | instskip(NEXT) | instid1(VALU_DEP_1)
	v_mul_lo_u32 v0, v0, s4
	v_sub_nc_u32_e32 v0, v3, v0
	s_delay_alu instid0(VALU_DEP_1)
	v_mad_u32 v2, v0, s0, v2
	v_mad_u32 v10, v0, s1, v10
.LBB7_1005:
	v_cmp_ne_u32_e32 vcc_lo, 1, v1
	s_cbranch_vccnz .LBB7_1011
; %bb.1006:
	s_cmp_lg_u32 s28, 0
	s_mov_b32 s8, 0
	s_cbranch_scc0 .LBB7_1012
; %bb.1007:
	s_min_u32 s1, s29, 15
	s_delay_alu instid0(SALU_CYCLE_1)
	s_add_co_i32 s1, s1, 1
	s_cmp_eq_u32 s29, 2
	s_cbranch_scc1 .LBB7_1013
; %bb.1008:
	v_dual_mov_b32 v0, 0 :: v_dual_mov_b32 v8, 0
	v_mov_b32_e32 v3, v9
	s_and_b32 s0, s1, 28
	s_add_nc_u64 s[4:5], s[2:3], 0xc4
	s_mov_b32 s9, 0
	s_mov_b64 s[6:7], s[2:3]
.LBB7_1009:                             ; =>This Inner Loop Header: Depth=1
	s_clause 0x1
	s_load_b256 s[12:19], s[6:7], 0x4
	s_load_b128 s[36:39], s[6:7], 0x24
	s_load_b256 s[20:27], s[4:5], 0x0
	s_add_co_i32 s9, s9, 4
	s_wait_xcnt 0x0
	s_add_nc_u64 s[6:7], s[6:7], 48
	s_cmp_lg_u32 s0, s9
	s_add_nc_u64 s[4:5], s[4:5], 32
	s_wait_kmcnt 0x0
	v_mul_hi_u32 v1, s13, v3
	s_delay_alu instid0(VALU_DEP_1) | instskip(NEXT) | instid1(VALU_DEP_1)
	v_add_nc_u32_e32 v1, v3, v1
	v_lshrrev_b32_e32 v1, s14, v1
	s_delay_alu instid0(VALU_DEP_1) | instskip(NEXT) | instid1(VALU_DEP_1)
	v_mul_lo_u32 v11, v1, s12
	v_sub_nc_u32_e32 v3, v3, v11
	v_mul_hi_u32 v5, s16, v1
	s_delay_alu instid0(VALU_DEP_2) | instskip(SKIP_1) | instid1(VALU_DEP_3)
	v_mad_u32 v8, v3, s21, v8
	v_mad_u32 v0, v3, s20, v0
	v_add_nc_u32_e32 v5, v1, v5
	s_delay_alu instid0(VALU_DEP_1) | instskip(NEXT) | instid1(VALU_DEP_1)
	v_lshrrev_b32_e32 v5, s17, v5
	v_mul_lo_u32 v11, v5, s15
	s_delay_alu instid0(VALU_DEP_1) | instskip(SKIP_1) | instid1(VALU_DEP_2)
	v_sub_nc_u32_e32 v1, v1, v11
	v_mul_hi_u32 v7, s19, v5
	v_mad_u32 v8, v1, s23, v8
	v_mad_u32 v0, v1, s22, v0
	s_delay_alu instid0(VALU_DEP_3) | instskip(NEXT) | instid1(VALU_DEP_1)
	v_add_nc_u32_e32 v7, v5, v7
	v_lshrrev_b32_e32 v7, s36, v7
	s_delay_alu instid0(VALU_DEP_1) | instskip(SKIP_1) | instid1(VALU_DEP_1)
	v_mul_hi_u32 v13, s38, v7
	v_mul_lo_u32 v11, v7, s18
	v_dual_add_nc_u32 v3, v7, v13 :: v_dual_sub_nc_u32 v1, v5, v11
	s_delay_alu instid0(VALU_DEP_1) | instskip(NEXT) | instid1(VALU_DEP_2)
	v_lshrrev_b32_e32 v3, s39, v3
	v_mad_u32 v8, v1, s25, v8
	v_mad_u32 v0, v1, s24, v0
	s_delay_alu instid0(VALU_DEP_3) | instskip(NEXT) | instid1(VALU_DEP_1)
	v_mul_lo_u32 v5, v3, s37
	v_sub_nc_u32_e32 v1, v7, v5
	s_delay_alu instid0(VALU_DEP_1) | instskip(NEXT) | instid1(VALU_DEP_4)
	v_mad_u32 v8, v1, s27, v8
	v_mad_u32 v0, v1, s26, v0
	s_cbranch_scc1 .LBB7_1009
; %bb.1010:
	s_delay_alu instid0(VALU_DEP_2)
	v_mov_b32_e32 v1, v8
	s_and_b32 s6, s1, 3
	s_mov_b32 s1, 0
	s_cmp_eq_u32 s6, 0
	s_cbranch_scc0 .LBB7_1014
	s_branch .LBB7_1017
.LBB7_1011:
	s_mov_b32 s8, -1
                                        ; implicit-def: $vgpr8
                                        ; implicit-def: $vgpr0
	s_branch .LBB7_1017
.LBB7_1012:
	v_dual_mov_b32 v8, 0 :: v_dual_mov_b32 v0, 0
	s_branch .LBB7_1017
.LBB7_1013:
	v_mov_b64_e32 v[0:1], 0
	v_mov_b32_e32 v3, v9
	s_mov_b32 s0, 0
                                        ; implicit-def: $vgpr8
	s_and_b32 s6, s1, 3
	s_mov_b32 s1, 0
	s_cmp_eq_u32 s6, 0
	s_cbranch_scc1 .LBB7_1017
.LBB7_1014:
	s_lshl_b32 s4, s0, 3
	s_mov_b32 s5, s1
	s_mul_u64 s[12:13], s[0:1], 12
	s_add_nc_u64 s[4:5], s[2:3], s[4:5]
	s_delay_alu instid0(SALU_CYCLE_1)
	s_add_nc_u64 s[0:1], s[4:5], 0xc4
	s_add_nc_u64 s[4:5], s[2:3], s[12:13]
.LBB7_1015:                             ; =>This Inner Loop Header: Depth=1
	s_load_b96 s[12:14], s[4:5], 0x4
	s_add_co_i32 s6, s6, -1
	s_wait_xcnt 0x0
	s_add_nc_u64 s[4:5], s[4:5], 12
	s_cmp_lg_u32 s6, 0
	s_wait_kmcnt 0x0
	v_mul_hi_u32 v5, s13, v3
	s_delay_alu instid0(VALU_DEP_1) | instskip(NEXT) | instid1(VALU_DEP_1)
	v_add_nc_u32_e32 v5, v3, v5
	v_lshrrev_b32_e32 v5, s14, v5
	s_load_b64 s[14:15], s[0:1], 0x0
	s_wait_xcnt 0x0
	s_add_nc_u64 s[0:1], s[0:1], 8
	s_delay_alu instid0(VALU_DEP_1) | instskip(NEXT) | instid1(VALU_DEP_1)
	v_mul_lo_u32 v7, v5, s12
	v_sub_nc_u32_e32 v3, v3, v7
	s_wait_kmcnt 0x0
	s_delay_alu instid0(VALU_DEP_1)
	v_mad_u32 v1, v3, s15, v1
	v_mad_u32 v0, v3, s14, v0
	v_mov_b32_e32 v3, v5
	s_cbranch_scc1 .LBB7_1015
; %bb.1016:
	s_delay_alu instid0(VALU_DEP_3)
	v_mov_b32_e32 v8, v1
.LBB7_1017:
	s_and_not1_b32 vcc_lo, exec_lo, s8
	s_cbranch_vccnz .LBB7_1020
; %bb.1018:
	s_clause 0x1
	s_load_b96 s[4:6], s[2:3], 0x4
	s_load_b64 s[0:1], s[2:3], 0xc4
	s_cmp_lt_u32 s28, 2
	s_wait_kmcnt 0x0
	v_mul_hi_u32 v0, s5, v9
	s_delay_alu instid0(VALU_DEP_1) | instskip(NEXT) | instid1(VALU_DEP_1)
	v_add_nc_u32_e32 v0, v9, v0
	v_lshrrev_b32_e32 v1, s6, v0
	s_delay_alu instid0(VALU_DEP_1) | instskip(NEXT) | instid1(VALU_DEP_1)
	v_mul_lo_u32 v0, v1, s4
	v_sub_nc_u32_e32 v0, v9, v0
	s_delay_alu instid0(VALU_DEP_1)
	v_mul_lo_u32 v8, v0, s1
	v_mul_lo_u32 v0, v0, s0
	s_cbranch_scc1 .LBB7_1020
; %bb.1019:
	s_clause 0x1
	s_load_b96 s[4:6], s[2:3], 0x10
	s_load_b64 s[0:1], s[2:3], 0xcc
	s_wait_kmcnt 0x0
	v_mul_hi_u32 v3, s5, v1
	s_delay_alu instid0(VALU_DEP_1) | instskip(NEXT) | instid1(VALU_DEP_1)
	v_add_nc_u32_e32 v3, v1, v3
	v_lshrrev_b32_e32 v3, s6, v3
	s_delay_alu instid0(VALU_DEP_1) | instskip(NEXT) | instid1(VALU_DEP_1)
	v_mul_lo_u32 v3, v3, s4
	v_sub_nc_u32_e32 v1, v1, v3
	s_delay_alu instid0(VALU_DEP_1)
	v_mad_u32 v0, v1, s0, v0
	v_mad_u32 v8, v1, s1, v8
.LBB7_1020:
	v_mov_b32_e32 v15, 0
	s_load_b128 s[4:7], s[2:3], 0x148
	global_load_u8 v1, v15, s[2:3] offset:361
	s_wait_kmcnt 0x0
	v_add_nc_u64_e32 v[14:15], s[6:7], v[14:15]
	s_wait_loadcnt 0x0
	v_and_b32_e32 v3, 0xffff, v1
	v_readfirstlane_b32 s12, v1
	s_delay_alu instid0(VALU_DEP_2)
	v_cmp_gt_i32_e32 vcc_lo, 11, v3
	s_cbranch_vccnz .LBB7_1027
; %bb.1021:
	s_and_b32 s0, 0xffff, s12
	s_mov_b32 s8, 0
	s_cmp_gt_i32 s0, 25
	s_cbranch_scc0 .LBB7_1038
; %bb.1022:
	s_cmp_gt_i32 s0, 28
	s_cbranch_scc0 .LBB7_1039
; %bb.1023:
	;; [unrolled: 3-line block ×4, first 2 shown]
	s_cmp_eq_u32 s0, 46
	s_mov_b32 s13, 0
	s_cbranch_scc0 .LBB7_1056
; %bb.1026:
	global_load_b32 v1, v[14:15], off
	s_mov_b32 s1, 0
	s_mov_b32 s9, -1
	s_wait_loadcnt 0x0
	v_lshlrev_b32_e32 v1, 16, v1
	s_delay_alu instid0(VALU_DEP_1)
	v_cvt_i32_f32_e32 v1, v1
	s_branch .LBB7_1058
.LBB7_1027:
	s_mov_b32 s9, 0
	s_mov_b32 s1, s10
                                        ; implicit-def: $vgpr1
	s_cbranch_execnz .LBB7_1118
.LBB7_1028:
	s_and_not1_b32 vcc_lo, exec_lo, s9
	s_cbranch_vccnz .LBB7_1163
.LBB7_1029:
	s_clause 0x1
	s_load_b32 s16, s[2:3], 0x158
	s_load_b64 s[8:9], s[2:3], 0x160
	s_get_pc_i64 s[14:15]
	s_add_nc_u64 s[14:15], s[14:15], .str@rel64+4
	s_wait_loadcnt 0x0
	s_wait_kmcnt 0x0
	s_delay_alu instid0(VALU_DEP_1) | instskip(SKIP_4) | instid1(SALU_CYCLE_1)
	v_cmp_gt_i32_e32 vcc_lo, s16, v1
	v_cmp_le_i32_e64 s0, s8, v1
	s_or_b32 s0, vcc_lo, s0
	s_cmp_eq_u64 s[14:15], 0
	s_cselect_b32 s9, -1, 0
	s_or_b32 s0, s9, s0
	s_delay_alu instid0(SALU_CYCLE_1) | instskip(NEXT) | instid1(SALU_CYCLE_1)
	s_and_saveexec_b32 s9, s0
	s_xor_b32 s0, exec_lo, s9
	s_cbranch_execnz .LBB7_1413
.LBB7_1030:
	s_or_saveexec_b32 s9, s0
	s_mov_b32 s13, 0
	s_mov_b32 s15, 0
                                        ; implicit-def: $vgpr14_vgpr15
                                        ; implicit-def: $sgpr0
	s_xor_b32 exec_lo, exec_lo, s9
	s_cbranch_execz .LBB7_1852
; %bb.1031:
	v_mov_b32_e32 v13, 0
	s_and_b32 s17, 0xffff, s12
	s_delay_alu instid0(SALU_CYCLE_1) | instskip(NEXT) | instid1(VALU_DEP_1)
	s_cmp_lt_i32 s17, 11
	v_add_nc_u64_e32 v[12:13], s[6:7], v[12:13]
	s_cbranch_scc1 .LBB7_1040
; %bb.1032:
	s_cmp_gt_i32 s17, 25
	s_cbranch_scc0 .LBB7_1052
; %bb.1033:
	s_cmp_gt_i32 s17, 28
	s_cbranch_scc0 .LBB7_1054
	;; [unrolled: 3-line block ×4, first 2 shown]
; %bb.1036:
	s_cmp_eq_u32 s17, 46
	s_mov_b32 s12, 0
	s_cbranch_scc0 .LBB7_1167
; %bb.1037:
	global_load_b32 v1, v[12:13], off
	s_mov_b32 s0, 0
	s_mov_b32 s14, -1
	s_wait_loadcnt 0x0
	v_lshlrev_b32_e32 v1, 16, v1
	s_delay_alu instid0(VALU_DEP_1)
	v_cvt_i32_f32_e32 v1, v1
	s_branch .LBB7_1169
.LBB7_1038:
	s_mov_b32 s9, 0
	s_mov_b32 s1, 0
                                        ; implicit-def: $vgpr1
	s_cbranch_execnz .LBB7_1085
	s_branch .LBB7_1114
.LBB7_1039:
	s_mov_b32 s9, 0
	s_mov_b32 s1, 0
                                        ; implicit-def: $vgpr1
	s_cbranch_execz .LBB7_1084
	s_branch .LBB7_1069
.LBB7_1040:
	s_mov_b32 s14, 0
	s_mov_b32 s12, s1
                                        ; implicit-def: $vgpr1
	s_cbranch_execnz .LBB7_1232
.LBB7_1041:
	s_and_not1_b32 vcc_lo, exec_lo, s14
	s_cbranch_vccnz .LBB7_1280
.LBB7_1042:
	s_wait_loadcnt 0x0
	s_delay_alu instid0(VALU_DEP_1) | instskip(SKIP_4) | instid1(SALU_CYCLE_1)
	v_cmp_gt_i32_e32 vcc_lo, s16, v1
	v_cmp_le_i32_e64 s0, s8, v1
	s_or_b32 s0, vcc_lo, s0
	s_wait_xcnt 0x0
	s_and_saveexec_b32 s13, s0
	s_xor_b32 s0, exec_lo, s13
	s_cbranch_execnz .LBB7_1900
.LBB7_1043:
	s_or_saveexec_b32 s13, s0
	s_mov_b32 s14, 0
	s_mov_b32 s15, 0
                                        ; implicit-def: $vgpr14_vgpr15
                                        ; implicit-def: $sgpr0
	s_xor_b32 exec_lo, exec_lo, s13
	s_cbranch_execz .LBB7_1850
; %bb.1044:
	v_mov_b32_e32 v11, 0
	s_cmp_lt_i32 s17, 11
	s_delay_alu instid0(VALU_DEP_1)
	v_add_nc_u64_e32 v[10:11], s[6:7], v[10:11]
	s_cbranch_scc1 .LBB7_1055
; %bb.1045:
	s_cmp_gt_i32 s17, 25
	s_cbranch_scc0 .LBB7_1063
; %bb.1046:
	s_cmp_gt_i32 s17, 28
	s_cbranch_scc0 .LBB7_1166
	;; [unrolled: 3-line block ×4, first 2 shown]
; %bb.1049:
	s_cmp_eq_u32 s17, 46
	s_cbranch_scc0 .LBB7_1283
; %bb.1050:
	global_load_b32 v1, v[10:11], off
	s_mov_b32 s0, 0
	s_mov_b32 s18, -1
	s_wait_loadcnt 0x0
	v_lshlrev_b32_e32 v1, 16, v1
	s_delay_alu instid0(VALU_DEP_1)
	v_cvt_i32_f32_e32 v1, v1
	s_branch .LBB7_1285
.LBB7_1051:
	s_mov_b32 s9, 0
	s_mov_b32 s1, 0
                                        ; implicit-def: $vgpr1
	s_cbranch_execnz .LBB7_1065
	s_branch .LBB7_1068
.LBB7_1052:
	s_mov_b32 s12, -1
	s_mov_b32 s14, 0
	s_mov_b32 s0, 0
                                        ; implicit-def: $vgpr1
	s_branch .LBB7_1197
.LBB7_1053:
	s_mov_b32 s13, -1
	s_mov_b32 s9, 0
	s_mov_b32 s1, 0
	s_branch .LBB7_1057
.LBB7_1054:
	s_mov_b32 s12, -1
	s_mov_b32 s14, 0
	s_mov_b32 s0, 0
                                        ; implicit-def: $vgpr1
	s_branch .LBB7_1180
.LBB7_1055:
	s_mov_b32 s0, -1
	s_mov_b32 s18, 0
	s_mov_b32 s14, s12
                                        ; implicit-def: $vgpr1
	s_branch .LBB7_1347
.LBB7_1056:
	s_mov_b32 s1, -1
	s_mov_b32 s9, 0
.LBB7_1057:
                                        ; implicit-def: $vgpr1
.LBB7_1058:
	s_and_b32 vcc_lo, exec_lo, s13
	s_cbranch_vccz .LBB7_1061
; %bb.1059:
	s_cmp_eq_u32 s0, 44
	s_cbranch_scc0 .LBB7_1064
; %bb.1060:
	global_load_u8 v1, v[14:15], off
	s_mov_b32 s1, 0
	s_mov_b32 s9, -1
	s_wait_loadcnt 0x0
	v_lshlrev_b32_e32 v3, 23, v1
	v_cmp_ne_u32_e32 vcc_lo, 0, v1
	s_delay_alu instid0(VALU_DEP_2) | instskip(NEXT) | instid1(VALU_DEP_1)
	v_cvt_i32_f32_e32 v3, v3
	v_cndmask_b32_e32 v1, 0, v3, vcc_lo
.LBB7_1061:
	s_branch .LBB7_1068
.LBB7_1062:
	s_mov_b32 s12, -1
	s_mov_b32 s14, 0
	s_mov_b32 s0, 0
                                        ; implicit-def: $vgpr1
	s_branch .LBB7_1175
.LBB7_1063:
	s_mov_b32 s14, -1
	s_mov_b32 s18, 0
	s_mov_b32 s0, 0
                                        ; implicit-def: $vgpr1
	s_branch .LBB7_1312
.LBB7_1064:
	s_mov_b32 s1, -1
                                        ; implicit-def: $vgpr1
	s_branch .LBB7_1068
.LBB7_1065:
	s_cmp_eq_u32 s0, 29
	s_cbranch_scc0 .LBB7_1067
; %bb.1066:
	global_load_b32 v1, v[14:15], off
	s_mov_b32 s1, 0
	s_mov_b32 s9, -1
	s_branch .LBB7_1068
.LBB7_1067:
	s_mov_b32 s1, -1
                                        ; implicit-def: $vgpr1
.LBB7_1068:
	s_branch .LBB7_1084
.LBB7_1069:
	s_cmp_lt_i32 s0, 27
	s_cbranch_scc1 .LBB7_1072
; %bb.1070:
	s_cmp_gt_i32 s0, 27
	s_cbranch_scc0 .LBB7_1073
; %bb.1071:
	s_wait_loadcnt 0x0
	global_load_b32 v1, v[14:15], off
	s_mov_b32 s9, 0
	s_branch .LBB7_1074
.LBB7_1072:
	s_mov_b32 s9, -1
                                        ; implicit-def: $vgpr1
	s_branch .LBB7_1077
.LBB7_1073:
	s_mov_b32 s9, -1
                                        ; implicit-def: $vgpr1
.LBB7_1074:
	s_delay_alu instid0(SALU_CYCLE_1)
	s_and_not1_b32 vcc_lo, exec_lo, s9
	s_cbranch_vccnz .LBB7_1076
; %bb.1075:
	s_wait_loadcnt 0x0
	global_load_u16 v1, v[14:15], off
.LBB7_1076:
	s_mov_b32 s9, 0
.LBB7_1077:
	s_delay_alu instid0(SALU_CYCLE_1)
	s_and_not1_b32 vcc_lo, exec_lo, s9
	s_cbranch_vccnz .LBB7_1083
; %bb.1078:
	global_load_u8 v3, v[14:15], off
	s_mov_b32 s13, 0
	s_mov_b32 s9, exec_lo
	s_wait_loadcnt 0x0
	v_cmpx_lt_i16_e32 0x7f, v3
	s_xor_b32 s9, exec_lo, s9
	s_cbranch_execz .LBB7_1094
; %bb.1079:
	v_cmp_ne_u16_e32 vcc_lo, 0x80, v3
	s_and_b32 s13, vcc_lo, exec_lo
	s_and_not1_saveexec_b32 s9, s9
	s_cbranch_execnz .LBB7_1095
.LBB7_1080:
	s_or_b32 exec_lo, exec_lo, s9
	v_mov_b32_e32 v1, 0
	s_and_saveexec_b32 s9, s13
	s_cbranch_execz .LBB7_1082
.LBB7_1081:
	v_and_b32_e32 v1, 0xffff, v3
	s_delay_alu instid0(VALU_DEP_1) | instskip(SKIP_1) | instid1(VALU_DEP_2)
	v_and_b32_e32 v5, 7, v1
	v_bfe_u32 v11, v1, 3, 4
	v_clz_i32_u32_e32 v7, v5
	s_delay_alu instid0(VALU_DEP_2) | instskip(NEXT) | instid1(VALU_DEP_2)
	v_cmp_eq_u32_e32 vcc_lo, 0, v11
	v_min_u32_e32 v7, 32, v7
	s_delay_alu instid0(VALU_DEP_1) | instskip(NEXT) | instid1(VALU_DEP_1)
	v_subrev_nc_u32_e32 v9, 28, v7
	v_dual_lshlrev_b32 v1, v9, v1 :: v_dual_sub_nc_u32 v7, 29, v7
	s_delay_alu instid0(VALU_DEP_1) | instskip(NEXT) | instid1(VALU_DEP_1)
	v_dual_lshlrev_b32 v3, 24, v3 :: v_dual_bitop2_b32 v1, 7, v1 bitop3:0x40
	v_dual_cndmask_b32 v1, v5, v1, vcc_lo :: v_dual_cndmask_b32 v7, v11, v7, vcc_lo
	s_delay_alu instid0(VALU_DEP_2) | instskip(NEXT) | instid1(VALU_DEP_2)
	v_and_b32_e32 v3, 0x80000000, v3
	v_lshlrev_b32_e32 v1, 20, v1
	s_delay_alu instid0(VALU_DEP_3) | instskip(NEXT) | instid1(VALU_DEP_1)
	v_lshl_add_u32 v5, v7, 23, 0x3b800000
	v_or3_b32 v1, v3, v5, v1
	s_delay_alu instid0(VALU_DEP_1)
	v_cvt_i32_f32_e32 v1, v1
.LBB7_1082:
	s_or_b32 exec_lo, exec_lo, s9
.LBB7_1083:
	s_mov_b32 s9, -1
.LBB7_1084:
	s_branch .LBB7_1114
.LBB7_1085:
	s_cmp_gt_i32 s0, 22
	s_cbranch_scc0 .LBB7_1093
; %bb.1086:
	s_cmp_lt_i32 s0, 24
	s_cbranch_scc1 .LBB7_1096
; %bb.1087:
	s_cmp_gt_i32 s0, 24
	s_cbranch_scc0 .LBB7_1097
; %bb.1088:
	global_load_u8 v3, v[14:15], off
	s_mov_b32 s9, 0
	s_mov_b32 s8, exec_lo
	s_wait_loadcnt 0x0
	v_cmpx_lt_i16_e32 0x7f, v3
	s_xor_b32 s8, exec_lo, s8
	s_cbranch_execz .LBB7_1108
; %bb.1089:
	v_cmp_ne_u16_e32 vcc_lo, 0x80, v3
	s_and_b32 s9, vcc_lo, exec_lo
	s_and_not1_saveexec_b32 s8, s8
	s_cbranch_execnz .LBB7_1109
.LBB7_1090:
	s_or_b32 exec_lo, exec_lo, s8
	v_mov_b32_e32 v1, 0
	s_and_saveexec_b32 s8, s9
	s_cbranch_execz .LBB7_1092
.LBB7_1091:
	v_and_b32_e32 v1, 0xffff, v3
	s_delay_alu instid0(VALU_DEP_1) | instskip(SKIP_1) | instid1(VALU_DEP_2)
	v_and_b32_e32 v5, 3, v1
	v_bfe_u32 v11, v1, 2, 5
	v_clz_i32_u32_e32 v7, v5
	s_delay_alu instid0(VALU_DEP_2) | instskip(NEXT) | instid1(VALU_DEP_2)
	v_cmp_eq_u32_e32 vcc_lo, 0, v11
	v_min_u32_e32 v7, 32, v7
	s_delay_alu instid0(VALU_DEP_1) | instskip(NEXT) | instid1(VALU_DEP_1)
	v_subrev_nc_u32_e32 v9, 29, v7
	v_dual_lshlrev_b32 v1, v9, v1 :: v_dual_sub_nc_u32 v7, 30, v7
	s_delay_alu instid0(VALU_DEP_1) | instskip(NEXT) | instid1(VALU_DEP_1)
	v_dual_lshlrev_b32 v3, 24, v3 :: v_dual_bitop2_b32 v1, 3, v1 bitop3:0x40
	v_dual_cndmask_b32 v1, v5, v1, vcc_lo :: v_dual_cndmask_b32 v7, v11, v7, vcc_lo
	s_delay_alu instid0(VALU_DEP_2) | instskip(NEXT) | instid1(VALU_DEP_2)
	v_and_b32_e32 v3, 0x80000000, v3
	v_lshlrev_b32_e32 v1, 21, v1
	s_delay_alu instid0(VALU_DEP_3) | instskip(NEXT) | instid1(VALU_DEP_1)
	v_lshl_add_u32 v5, v7, 23, 0x37800000
	v_or3_b32 v1, v3, v5, v1
	s_delay_alu instid0(VALU_DEP_1)
	v_cvt_i32_f32_e32 v1, v1
.LBB7_1092:
	s_or_b32 exec_lo, exec_lo, s8
	s_mov_b32 s8, 0
	s_branch .LBB7_1098
.LBB7_1093:
                                        ; implicit-def: $vgpr1
	s_mov_b32 s8, 0
	s_branch .LBB7_1104
.LBB7_1094:
	s_and_not1_saveexec_b32 s9, s9
	s_cbranch_execz .LBB7_1080
.LBB7_1095:
	v_cmp_ne_u16_e32 vcc_lo, 0, v3
	s_and_not1_b32 s13, s13, exec_lo
	s_and_b32 s14, vcc_lo, exec_lo
	s_delay_alu instid0(SALU_CYCLE_1)
	s_or_b32 s13, s13, s14
	s_or_b32 exec_lo, exec_lo, s9
	v_mov_b32_e32 v1, 0
	s_and_saveexec_b32 s9, s13
	s_cbranch_execnz .LBB7_1081
	s_branch .LBB7_1082
.LBB7_1096:
	s_mov_b32 s8, -1
                                        ; implicit-def: $vgpr1
	s_branch .LBB7_1101
.LBB7_1097:
	s_mov_b32 s8, -1
                                        ; implicit-def: $vgpr1
.LBB7_1098:
	s_delay_alu instid0(SALU_CYCLE_1)
	s_and_b32 vcc_lo, exec_lo, s8
	s_cbranch_vccz .LBB7_1100
; %bb.1099:
	s_wait_loadcnt 0x0
	global_load_u8 v1, v[14:15], off
	s_wait_loadcnt 0x0
	v_lshlrev_b32_e32 v1, 24, v1
	s_delay_alu instid0(VALU_DEP_1) | instskip(NEXT) | instid1(VALU_DEP_1)
	v_and_b32_e32 v3, 0x7f000000, v1
	v_clz_i32_u32_e32 v5, v3
	v_add_nc_u32_e32 v9, 0x1000000, v3
	v_cmp_ne_u32_e32 vcc_lo, 0, v3
	s_delay_alu instid0(VALU_DEP_3) | instskip(NEXT) | instid1(VALU_DEP_1)
	v_min_u32_e32 v5, 32, v5
	v_sub_nc_u32_e64 v5, v5, 4 clamp
	s_delay_alu instid0(VALU_DEP_1) | instskip(NEXT) | instid1(VALU_DEP_1)
	v_dual_lshlrev_b32 v7, v5, v3 :: v_dual_lshlrev_b32 v5, 23, v5
	v_lshrrev_b32_e32 v7, 4, v7
	s_delay_alu instid0(VALU_DEP_1) | instskip(SKIP_1) | instid1(VALU_DEP_2)
	v_sub_nc_u32_e32 v5, v7, v5
	v_ashrrev_i32_e32 v7, 8, v9
	v_add_nc_u32_e32 v5, 0x3c000000, v5
	s_delay_alu instid0(VALU_DEP_1) | instskip(NEXT) | instid1(VALU_DEP_1)
	v_and_or_b32 v5, 0x7f800000, v7, v5
	v_cndmask_b32_e32 v3, 0, v5, vcc_lo
	s_delay_alu instid0(VALU_DEP_1) | instskip(NEXT) | instid1(VALU_DEP_1)
	v_and_or_b32 v1, 0x80000000, v1, v3
	v_cvt_i32_f32_e32 v1, v1
.LBB7_1100:
	s_mov_b32 s8, 0
.LBB7_1101:
	s_delay_alu instid0(SALU_CYCLE_1)
	s_and_not1_b32 vcc_lo, exec_lo, s8
	s_cbranch_vccnz .LBB7_1103
; %bb.1102:
	s_wait_loadcnt 0x0
	global_load_u8 v1, v[14:15], off
	s_wait_loadcnt 0x0
	v_lshlrev_b32_e32 v3, 25, v1
	v_lshlrev_b16 v1, 8, v1
	s_delay_alu instid0(VALU_DEP_1) | instskip(SKIP_1) | instid1(VALU_DEP_2)
	v_and_or_b32 v7, 0x7f00, v1, 0.5
	v_bfe_i32 v1, v1, 0, 16
	v_add_f32_e32 v7, -0.5, v7
	v_lshrrev_b32_e32 v5, 4, v3
	v_cmp_gt_u32_e32 vcc_lo, 0x8000000, v3
	s_delay_alu instid0(VALU_DEP_2) | instskip(NEXT) | instid1(VALU_DEP_1)
	v_or_b32_e32 v5, 0x70000000, v5
	v_mul_f32_e32 v5, 0x7800000, v5
	s_delay_alu instid0(VALU_DEP_1) | instskip(NEXT) | instid1(VALU_DEP_1)
	v_cndmask_b32_e32 v3, v5, v7, vcc_lo
	v_and_or_b32 v1, 0x80000000, v1, v3
	s_delay_alu instid0(VALU_DEP_1)
	v_cvt_i32_f32_e32 v1, v1
.LBB7_1103:
	s_mov_b32 s9, -1
	s_mov_b32 s8, 0
	s_cbranch_execnz .LBB7_1114
.LBB7_1104:
	s_cmp_gt_i32 s0, 14
	s_cbranch_scc0 .LBB7_1107
; %bb.1105:
	s_cmp_eq_u32 s0, 15
	s_cbranch_scc0 .LBB7_1110
; %bb.1106:
	s_wait_loadcnt 0x0
	global_load_u16 v1, v[14:15], off
	s_mov_b32 s1, 0
	s_mov_b32 s9, -1
	s_wait_loadcnt 0x0
	v_lshlrev_b32_e32 v1, 16, v1
	s_delay_alu instid0(VALU_DEP_1)
	v_cvt_i32_f32_e32 v1, v1
	s_branch .LBB7_1112
.LBB7_1107:
	s_mov_b32 s8, -1
	s_branch .LBB7_1111
.LBB7_1108:
	s_and_not1_saveexec_b32 s8, s8
	s_cbranch_execz .LBB7_1090
.LBB7_1109:
	v_cmp_ne_u16_e32 vcc_lo, 0, v3
	s_and_not1_b32 s9, s9, exec_lo
	s_and_b32 s13, vcc_lo, exec_lo
	s_delay_alu instid0(SALU_CYCLE_1)
	s_or_b32 s9, s9, s13
	s_or_b32 exec_lo, exec_lo, s8
	v_mov_b32_e32 v1, 0
	s_and_saveexec_b32 s8, s9
	s_cbranch_execnz .LBB7_1091
	s_branch .LBB7_1092
.LBB7_1110:
	s_mov_b32 s1, -1
.LBB7_1111:
                                        ; implicit-def: $vgpr1
.LBB7_1112:
	s_and_b32 vcc_lo, exec_lo, s8
	s_mov_b32 s8, 0
	s_cbranch_vccz .LBB7_1114
; %bb.1113:
	s_cmp_lg_u32 s0, 11
	s_mov_b32 s8, -1
	s_cselect_b32 s1, -1, 0
.LBB7_1114:
	s_delay_alu instid0(SALU_CYCLE_1)
	s_and_b32 vcc_lo, exec_lo, s1
	s_mov_b32 s1, s10
	s_cbranch_vccnz .LBB7_1164
; %bb.1115:
	s_and_not1_b32 vcc_lo, exec_lo, s8
	s_cbranch_vccnz .LBB7_1117
.LBB7_1116:
	s_wait_loadcnt 0x0
	global_load_u8 v1, v[14:15], off
	s_mov_b32 s9, -1
	s_wait_loadcnt 0x0
	v_cmp_ne_u16_e32 vcc_lo, 0, v1
	v_cndmask_b32_e64 v1, 0, 1, vcc_lo
.LBB7_1117:
	s_branch .LBB7_1028
.LBB7_1118:
	s_and_b32 s0, 0xffff, s12
	s_delay_alu instid0(SALU_CYCLE_1)
	s_cmp_lt_i32 s0, 5
	s_cbranch_scc1 .LBB7_1123
; %bb.1119:
	s_cmp_lt_i32 s0, 8
	s_cbranch_scc1 .LBB7_1124
; %bb.1120:
	;; [unrolled: 3-line block ×3, first 2 shown]
	s_cmp_gt_i32 s0, 9
	s_cbranch_scc0 .LBB7_1126
; %bb.1122:
	global_load_b64 v[16:17], v[14:15], off
	s_mov_b32 s8, 0
	s_wait_loadcnt 0x0
	v_cvt_i32_f64_e32 v1, v[16:17]
	s_branch .LBB7_1127
.LBB7_1123:
                                        ; implicit-def: $vgpr1
	s_branch .LBB7_1144
.LBB7_1124:
                                        ; implicit-def: $vgpr1
	s_branch .LBB7_1133
.LBB7_1125:
	s_mov_b32 s8, -1
                                        ; implicit-def: $vgpr1
	s_branch .LBB7_1130
.LBB7_1126:
	s_mov_b32 s8, -1
                                        ; implicit-def: $vgpr1
.LBB7_1127:
	s_delay_alu instid0(SALU_CYCLE_1)
	s_and_not1_b32 vcc_lo, exec_lo, s8
	s_cbranch_vccnz .LBB7_1129
; %bb.1128:
	s_wait_loadcnt 0x0
	global_load_b32 v1, v[14:15], off
	s_wait_loadcnt 0x0
	v_cvt_i32_f32_e32 v1, v1
.LBB7_1129:
	s_mov_b32 s8, 0
.LBB7_1130:
	s_delay_alu instid0(SALU_CYCLE_1)
	s_and_not1_b32 vcc_lo, exec_lo, s8
	s_cbranch_vccnz .LBB7_1132
; %bb.1131:
	s_wait_loadcnt 0x0
	global_load_b32 v1, v[14:15], off
	s_wait_loadcnt 0x0
	v_cvt_f32_f16_e32 v1, v1
	s_delay_alu instid0(VALU_DEP_1)
	v_cvt_i32_f32_e32 v1, v1
.LBB7_1132:
	s_cbranch_execnz .LBB7_1143
.LBB7_1133:
	s_cmp_lt_i32 s0, 6
	s_cbranch_scc1 .LBB7_1136
; %bb.1134:
	s_cmp_gt_i32 s0, 6
	s_cbranch_scc0 .LBB7_1137
; %bb.1135:
	global_load_b64 v[16:17], v[14:15], off
	s_mov_b32 s8, 0
	s_wait_loadcnt 0x0
	v_cvt_i32_f64_e32 v1, v[16:17]
	s_branch .LBB7_1138
.LBB7_1136:
	s_mov_b32 s8, -1
                                        ; implicit-def: $vgpr1
	s_branch .LBB7_1141
.LBB7_1137:
	s_mov_b32 s8, -1
                                        ; implicit-def: $vgpr1
.LBB7_1138:
	s_delay_alu instid0(SALU_CYCLE_1)
	s_and_not1_b32 vcc_lo, exec_lo, s8
	s_cbranch_vccnz .LBB7_1140
; %bb.1139:
	s_wait_loadcnt 0x0
	global_load_b32 v1, v[14:15], off
	s_wait_loadcnt 0x0
	v_cvt_i32_f32_e32 v1, v1
.LBB7_1140:
	s_mov_b32 s8, 0
.LBB7_1141:
	s_delay_alu instid0(SALU_CYCLE_1)
	s_and_not1_b32 vcc_lo, exec_lo, s8
	s_cbranch_vccnz .LBB7_1143
; %bb.1142:
	s_wait_loadcnt 0x0
	global_load_u16 v1, v[14:15], off
	s_wait_loadcnt 0x0
	v_cvt_f32_f16_e32 v1, v1
	s_delay_alu instid0(VALU_DEP_1)
	v_cvt_i32_f32_e32 v1, v1
.LBB7_1143:
	s_cbranch_execnz .LBB7_1162
.LBB7_1144:
	s_cmp_lt_i32 s0, 2
	s_cbranch_scc1 .LBB7_1148
; %bb.1145:
	s_cmp_lt_i32 s0, 3
	s_cbranch_scc1 .LBB7_1149
; %bb.1146:
	s_cmp_gt_i32 s0, 3
	s_cbranch_scc0 .LBB7_1150
; %bb.1147:
	s_wait_loadcnt 0x0
	global_load_b32 v1, v[14:15], off
	s_mov_b32 s8, 0
	s_branch .LBB7_1151
.LBB7_1148:
                                        ; implicit-def: $vgpr1
	s_branch .LBB7_1157
.LBB7_1149:
	s_mov_b32 s8, -1
                                        ; implicit-def: $vgpr1
	s_branch .LBB7_1154
.LBB7_1150:
	s_mov_b32 s8, -1
                                        ; implicit-def: $vgpr1
.LBB7_1151:
	s_delay_alu instid0(SALU_CYCLE_1)
	s_and_not1_b32 vcc_lo, exec_lo, s8
	s_cbranch_vccnz .LBB7_1153
; %bb.1152:
	s_wait_loadcnt 0x0
	global_load_b32 v1, v[14:15], off
.LBB7_1153:
	s_mov_b32 s8, 0
.LBB7_1154:
	s_delay_alu instid0(SALU_CYCLE_1)
	s_and_not1_b32 vcc_lo, exec_lo, s8
	s_cbranch_vccnz .LBB7_1156
; %bb.1155:
	s_wait_loadcnt 0x0
	global_load_i16 v1, v[14:15], off
.LBB7_1156:
	s_cbranch_execnz .LBB7_1162
.LBB7_1157:
	s_cmp_gt_i32 s0, 0
	s_mov_b32 s0, 0
	s_cbranch_scc0 .LBB7_1159
; %bb.1158:
	s_wait_loadcnt 0x0
	global_load_i8 v1, v[14:15], off
	s_branch .LBB7_1160
.LBB7_1159:
	s_mov_b32 s0, -1
                                        ; implicit-def: $vgpr1
.LBB7_1160:
	s_delay_alu instid0(SALU_CYCLE_1)
	s_and_not1_b32 vcc_lo, exec_lo, s0
	s_cbranch_vccnz .LBB7_1162
; %bb.1161:
	s_wait_loadcnt 0x0
	global_load_u8 v1, v[14:15], off
.LBB7_1162:
	s_branch .LBB7_1029
.LBB7_1163:
	s_mov_b32 s13, 0
	s_mov_b32 s15, 0
                                        ; implicit-def: $vgpr14_vgpr15
                                        ; implicit-def: $sgpr0
	s_branch .LBB7_1853
.LBB7_1164:
	s_or_b32 s1, s10, exec_lo
	s_trap 2
	s_cbranch_execz .LBB7_1116
	s_branch .LBB7_1117
.LBB7_1165:
	s_mov_b32 s12, -1
	s_mov_b32 s14, 0
	s_mov_b32 s0, 0
	s_branch .LBB7_1168
.LBB7_1166:
	s_mov_b32 s14, -1
	s_mov_b32 s18, 0
	s_mov_b32 s0, 0
                                        ; implicit-def: $vgpr1
	s_branch .LBB7_1295
.LBB7_1167:
	s_mov_b32 s0, -1
	s_mov_b32 s14, 0
.LBB7_1168:
                                        ; implicit-def: $vgpr1
.LBB7_1169:
	s_and_b32 vcc_lo, exec_lo, s12
	s_cbranch_vccz .LBB7_1174
; %bb.1170:
	s_cmp_eq_u32 s17, 44
	s_cbranch_scc0 .LBB7_1173
; %bb.1171:
	global_load_u8 v1, v[12:13], off
	s_mov_b32 s0, 0
	s_mov_b32 s14, -1
	s_wait_loadcnt 0x0
	v_lshlrev_b32_e32 v3, 23, v1
	v_cmp_ne_u32_e32 vcc_lo, 0, v1
	s_delay_alu instid0(VALU_DEP_2) | instskip(NEXT) | instid1(VALU_DEP_1)
	v_cvt_i32_f32_e32 v3, v3
	v_cndmask_b32_e32 v1, 0, v3, vcc_lo
	s_branch .LBB7_1174
.LBB7_1172:
	s_mov_b32 s14, -1
	s_mov_b32 s18, 0
	s_mov_b32 s0, 0
                                        ; implicit-def: $vgpr1
	s_branch .LBB7_1290
.LBB7_1173:
	s_mov_b32 s0, -1
                                        ; implicit-def: $vgpr1
.LBB7_1174:
	s_mov_b32 s12, 0
.LBB7_1175:
	s_delay_alu instid0(SALU_CYCLE_1)
	s_and_b32 vcc_lo, exec_lo, s12
	s_cbranch_vccz .LBB7_1179
; %bb.1176:
	s_cmp_eq_u32 s17, 29
	s_cbranch_scc0 .LBB7_1178
; %bb.1177:
	global_load_b32 v1, v[12:13], off
	s_mov_b32 s0, 0
	s_mov_b32 s14, -1
	s_branch .LBB7_1179
.LBB7_1178:
	s_mov_b32 s0, -1
                                        ; implicit-def: $vgpr1
.LBB7_1179:
	s_mov_b32 s12, 0
.LBB7_1180:
	s_delay_alu instid0(SALU_CYCLE_1)
	s_and_b32 vcc_lo, exec_lo, s12
	s_cbranch_vccz .LBB7_1196
; %bb.1181:
	s_cmp_lt_i32 s17, 27
	s_cbranch_scc1 .LBB7_1184
; %bb.1182:
	s_cmp_gt_i32 s17, 27
	s_cbranch_scc0 .LBB7_1185
; %bb.1183:
	s_wait_loadcnt 0x0
	global_load_b32 v1, v[12:13], off
	s_mov_b32 s12, 0
	s_branch .LBB7_1186
.LBB7_1184:
	s_mov_b32 s12, -1
                                        ; implicit-def: $vgpr1
	s_branch .LBB7_1189
.LBB7_1185:
	s_mov_b32 s12, -1
                                        ; implicit-def: $vgpr1
.LBB7_1186:
	s_delay_alu instid0(SALU_CYCLE_1)
	s_and_not1_b32 vcc_lo, exec_lo, s12
	s_cbranch_vccnz .LBB7_1188
; %bb.1187:
	s_wait_loadcnt 0x0
	global_load_u16 v1, v[12:13], off
.LBB7_1188:
	s_mov_b32 s12, 0
.LBB7_1189:
	s_delay_alu instid0(SALU_CYCLE_1)
	s_and_not1_b32 vcc_lo, exec_lo, s12
	s_cbranch_vccnz .LBB7_1195
; %bb.1190:
	global_load_u8 v3, v[12:13], off
	s_mov_b32 s14, 0
	s_mov_b32 s12, exec_lo
	s_wait_loadcnt 0x0
	v_cmpx_lt_i16_e32 0x7f, v3
	s_xor_b32 s12, exec_lo, s12
	s_cbranch_execz .LBB7_1207
; %bb.1191:
	v_cmp_ne_u16_e32 vcc_lo, 0x80, v3
	s_and_b32 s14, vcc_lo, exec_lo
	s_and_not1_saveexec_b32 s12, s12
	s_cbranch_execnz .LBB7_1208
.LBB7_1192:
	s_or_b32 exec_lo, exec_lo, s12
	v_mov_b32_e32 v1, 0
	s_and_saveexec_b32 s12, s14
	s_cbranch_execz .LBB7_1194
.LBB7_1193:
	v_and_b32_e32 v1, 0xffff, v3
	s_delay_alu instid0(VALU_DEP_1) | instskip(SKIP_1) | instid1(VALU_DEP_2)
	v_and_b32_e32 v5, 7, v1
	v_bfe_u32 v11, v1, 3, 4
	v_clz_i32_u32_e32 v7, v5
	s_delay_alu instid0(VALU_DEP_2) | instskip(NEXT) | instid1(VALU_DEP_2)
	v_cmp_eq_u32_e32 vcc_lo, 0, v11
	v_min_u32_e32 v7, 32, v7
	s_delay_alu instid0(VALU_DEP_1) | instskip(NEXT) | instid1(VALU_DEP_1)
	v_subrev_nc_u32_e32 v9, 28, v7
	v_dual_lshlrev_b32 v1, v9, v1 :: v_dual_sub_nc_u32 v7, 29, v7
	s_delay_alu instid0(VALU_DEP_1) | instskip(NEXT) | instid1(VALU_DEP_1)
	v_dual_lshlrev_b32 v3, 24, v3 :: v_dual_bitop2_b32 v1, 7, v1 bitop3:0x40
	v_dual_cndmask_b32 v1, v5, v1, vcc_lo :: v_dual_cndmask_b32 v7, v11, v7, vcc_lo
	s_delay_alu instid0(VALU_DEP_2) | instskip(NEXT) | instid1(VALU_DEP_2)
	v_and_b32_e32 v3, 0x80000000, v3
	v_lshlrev_b32_e32 v1, 20, v1
	s_delay_alu instid0(VALU_DEP_3) | instskip(NEXT) | instid1(VALU_DEP_1)
	v_lshl_add_u32 v5, v7, 23, 0x3b800000
	v_or3_b32 v1, v3, v5, v1
	s_delay_alu instid0(VALU_DEP_1)
	v_cvt_i32_f32_e32 v1, v1
.LBB7_1194:
	s_or_b32 exec_lo, exec_lo, s12
.LBB7_1195:
	s_mov_b32 s14, -1
.LBB7_1196:
	s_mov_b32 s12, 0
.LBB7_1197:
	s_delay_alu instid0(SALU_CYCLE_1)
	s_and_b32 vcc_lo, exec_lo, s12
	s_cbranch_vccz .LBB7_1228
; %bb.1198:
	s_cmp_gt_i32 s17, 22
	s_cbranch_scc0 .LBB7_1206
; %bb.1199:
	s_cmp_lt_i32 s17, 24
	s_cbranch_scc1 .LBB7_1209
; %bb.1200:
	s_cmp_gt_i32 s17, 24
	s_cbranch_scc0 .LBB7_1210
; %bb.1201:
	global_load_u8 v3, v[12:13], off
	s_mov_b32 s12, exec_lo
	s_wait_loadcnt 0x0
	v_cmpx_lt_i16_e32 0x7f, v3
	s_xor_b32 s12, exec_lo, s12
	s_cbranch_execz .LBB7_1222
; %bb.1202:
	v_cmp_ne_u16_e32 vcc_lo, 0x80, v3
	s_and_b32 s13, vcc_lo, exec_lo
	s_and_not1_saveexec_b32 s12, s12
	s_cbranch_execnz .LBB7_1223
.LBB7_1203:
	s_or_b32 exec_lo, exec_lo, s12
	v_mov_b32_e32 v1, 0
	s_and_saveexec_b32 s12, s13
	s_cbranch_execz .LBB7_1205
.LBB7_1204:
	v_and_b32_e32 v1, 0xffff, v3
	s_delay_alu instid0(VALU_DEP_1) | instskip(SKIP_1) | instid1(VALU_DEP_2)
	v_and_b32_e32 v5, 3, v1
	v_bfe_u32 v11, v1, 2, 5
	v_clz_i32_u32_e32 v7, v5
	s_delay_alu instid0(VALU_DEP_2) | instskip(NEXT) | instid1(VALU_DEP_2)
	v_cmp_eq_u32_e32 vcc_lo, 0, v11
	v_min_u32_e32 v7, 32, v7
	s_delay_alu instid0(VALU_DEP_1) | instskip(NEXT) | instid1(VALU_DEP_1)
	v_subrev_nc_u32_e32 v9, 29, v7
	v_dual_lshlrev_b32 v1, v9, v1 :: v_dual_sub_nc_u32 v7, 30, v7
	s_delay_alu instid0(VALU_DEP_1) | instskip(NEXT) | instid1(VALU_DEP_1)
	v_dual_lshlrev_b32 v3, 24, v3 :: v_dual_bitop2_b32 v1, 3, v1 bitop3:0x40
	v_dual_cndmask_b32 v1, v5, v1, vcc_lo :: v_dual_cndmask_b32 v7, v11, v7, vcc_lo
	s_delay_alu instid0(VALU_DEP_2) | instskip(NEXT) | instid1(VALU_DEP_2)
	v_and_b32_e32 v3, 0x80000000, v3
	v_lshlrev_b32_e32 v1, 21, v1
	s_delay_alu instid0(VALU_DEP_3) | instskip(NEXT) | instid1(VALU_DEP_1)
	v_lshl_add_u32 v5, v7, 23, 0x37800000
	v_or3_b32 v1, v3, v5, v1
	s_delay_alu instid0(VALU_DEP_1)
	v_cvt_i32_f32_e32 v1, v1
.LBB7_1205:
	s_or_b32 exec_lo, exec_lo, s12
	s_mov_b32 s12, 0
	s_branch .LBB7_1211
.LBB7_1206:
	s_mov_b32 s12, -1
                                        ; implicit-def: $vgpr1
	s_branch .LBB7_1217
.LBB7_1207:
	s_and_not1_saveexec_b32 s12, s12
	s_cbranch_execz .LBB7_1192
.LBB7_1208:
	v_cmp_ne_u16_e32 vcc_lo, 0, v3
	s_and_not1_b32 s14, s14, exec_lo
	s_and_b32 s15, vcc_lo, exec_lo
	s_delay_alu instid0(SALU_CYCLE_1)
	s_or_b32 s14, s14, s15
	s_or_b32 exec_lo, exec_lo, s12
	v_mov_b32_e32 v1, 0
	s_and_saveexec_b32 s12, s14
	s_cbranch_execnz .LBB7_1193
	s_branch .LBB7_1194
.LBB7_1209:
	s_mov_b32 s12, -1
                                        ; implicit-def: $vgpr1
	s_branch .LBB7_1214
.LBB7_1210:
	s_mov_b32 s12, -1
                                        ; implicit-def: $vgpr1
.LBB7_1211:
	s_delay_alu instid0(SALU_CYCLE_1)
	s_and_b32 vcc_lo, exec_lo, s12
	s_cbranch_vccz .LBB7_1213
; %bb.1212:
	s_wait_loadcnt 0x0
	global_load_u8 v1, v[12:13], off
	s_wait_loadcnt 0x0
	v_lshlrev_b32_e32 v1, 24, v1
	s_delay_alu instid0(VALU_DEP_1) | instskip(NEXT) | instid1(VALU_DEP_1)
	v_and_b32_e32 v3, 0x7f000000, v1
	v_clz_i32_u32_e32 v5, v3
	v_add_nc_u32_e32 v9, 0x1000000, v3
	v_cmp_ne_u32_e32 vcc_lo, 0, v3
	s_delay_alu instid0(VALU_DEP_3) | instskip(NEXT) | instid1(VALU_DEP_1)
	v_min_u32_e32 v5, 32, v5
	v_sub_nc_u32_e64 v5, v5, 4 clamp
	s_delay_alu instid0(VALU_DEP_1) | instskip(NEXT) | instid1(VALU_DEP_1)
	v_dual_lshlrev_b32 v7, v5, v3 :: v_dual_lshlrev_b32 v5, 23, v5
	v_lshrrev_b32_e32 v7, 4, v7
	s_delay_alu instid0(VALU_DEP_1) | instskip(SKIP_1) | instid1(VALU_DEP_2)
	v_sub_nc_u32_e32 v5, v7, v5
	v_ashrrev_i32_e32 v7, 8, v9
	v_add_nc_u32_e32 v5, 0x3c000000, v5
	s_delay_alu instid0(VALU_DEP_1) | instskip(NEXT) | instid1(VALU_DEP_1)
	v_and_or_b32 v5, 0x7f800000, v7, v5
	v_cndmask_b32_e32 v3, 0, v5, vcc_lo
	s_delay_alu instid0(VALU_DEP_1) | instskip(NEXT) | instid1(VALU_DEP_1)
	v_and_or_b32 v1, 0x80000000, v1, v3
	v_cvt_i32_f32_e32 v1, v1
.LBB7_1213:
	s_mov_b32 s12, 0
.LBB7_1214:
	s_delay_alu instid0(SALU_CYCLE_1)
	s_and_not1_b32 vcc_lo, exec_lo, s12
	s_cbranch_vccnz .LBB7_1216
; %bb.1215:
	s_wait_loadcnt 0x0
	global_load_u8 v1, v[12:13], off
	s_wait_loadcnt 0x0
	v_lshlrev_b32_e32 v3, 25, v1
	v_lshlrev_b16 v1, 8, v1
	s_delay_alu instid0(VALU_DEP_1) | instskip(SKIP_1) | instid1(VALU_DEP_2)
	v_and_or_b32 v7, 0x7f00, v1, 0.5
	v_bfe_i32 v1, v1, 0, 16
	v_add_f32_e32 v7, -0.5, v7
	v_lshrrev_b32_e32 v5, 4, v3
	v_cmp_gt_u32_e32 vcc_lo, 0x8000000, v3
	s_delay_alu instid0(VALU_DEP_2) | instskip(NEXT) | instid1(VALU_DEP_1)
	v_or_b32_e32 v5, 0x70000000, v5
	v_mul_f32_e32 v5, 0x7800000, v5
	s_delay_alu instid0(VALU_DEP_1) | instskip(NEXT) | instid1(VALU_DEP_1)
	v_cndmask_b32_e32 v3, v5, v7, vcc_lo
	v_and_or_b32 v1, 0x80000000, v1, v3
	s_delay_alu instid0(VALU_DEP_1)
	v_cvt_i32_f32_e32 v1, v1
.LBB7_1216:
	s_mov_b32 s12, 0
	s_mov_b32 s14, -1
.LBB7_1217:
	s_and_not1_b32 vcc_lo, exec_lo, s12
	s_mov_b32 s13, 0
	s_cbranch_vccnz .LBB7_1228
; %bb.1218:
	s_cmp_gt_i32 s17, 14
	s_cbranch_scc0 .LBB7_1221
; %bb.1219:
	s_cmp_eq_u32 s17, 15
	s_cbranch_scc0 .LBB7_1224
; %bb.1220:
	s_wait_loadcnt 0x0
	global_load_u16 v1, v[12:13], off
	s_mov_b32 s0, 0
	s_mov_b32 s14, -1
	s_wait_loadcnt 0x0
	v_lshlrev_b32_e32 v1, 16, v1
	s_delay_alu instid0(VALU_DEP_1)
	v_cvt_i32_f32_e32 v1, v1
	s_branch .LBB7_1225
.LBB7_1221:
	s_mov_b32 s12, -1
                                        ; implicit-def: $vgpr1
	s_branch .LBB7_1226
.LBB7_1222:
	s_and_not1_saveexec_b32 s12, s12
	s_cbranch_execz .LBB7_1203
.LBB7_1223:
	v_cmp_ne_u16_e32 vcc_lo, 0, v3
	s_and_not1_b32 s13, s13, exec_lo
	s_and_b32 s14, vcc_lo, exec_lo
	s_delay_alu instid0(SALU_CYCLE_1)
	s_or_b32 s13, s13, s14
	s_or_b32 exec_lo, exec_lo, s12
	v_mov_b32_e32 v1, 0
	s_and_saveexec_b32 s12, s13
	s_cbranch_execnz .LBB7_1204
	s_branch .LBB7_1205
.LBB7_1224:
	s_mov_b32 s0, -1
                                        ; implicit-def: $vgpr1
.LBB7_1225:
	s_mov_b32 s12, 0
.LBB7_1226:
	s_delay_alu instid0(SALU_CYCLE_1)
	s_and_b32 vcc_lo, exec_lo, s12
	s_cbranch_vccz .LBB7_1228
; %bb.1227:
	s_cmp_lg_u32 s17, 11
	s_mov_b32 s13, -1
	s_cselect_b32 s0, -1, 0
.LBB7_1228:
	s_delay_alu instid0(SALU_CYCLE_1)
	s_and_b32 vcc_lo, exec_lo, s0
	s_mov_b32 s12, s1
	s_cbranch_vccnz .LBB7_1281
; %bb.1229:
	s_and_not1_b32 vcc_lo, exec_lo, s13
	s_cbranch_vccnz .LBB7_1231
.LBB7_1230:
	s_wait_loadcnt 0x0
	global_load_u8 v1, v[12:13], off
	s_mov_b32 s14, -1
	s_wait_loadcnt 0x0
	v_cmp_ne_u16_e32 vcc_lo, 0, v1
	v_cndmask_b32_e64 v1, 0, 1, vcc_lo
.LBB7_1231:
	s_branch .LBB7_1041
.LBB7_1232:
	s_cmp_lt_i32 s17, 5
	s_cbranch_scc1 .LBB7_1237
; %bb.1233:
	s_cmp_lt_i32 s17, 8
	s_cbranch_scc1 .LBB7_1238
; %bb.1234:
	;; [unrolled: 3-line block ×3, first 2 shown]
	s_cmp_gt_i32 s17, 9
	s_cbranch_scc0 .LBB7_1240
; %bb.1236:
	global_load_b64 v[14:15], v[12:13], off
	s_mov_b32 s0, 0
	s_wait_loadcnt 0x0
	v_cvt_i32_f64_e32 v1, v[14:15]
	s_branch .LBB7_1241
.LBB7_1237:
	s_mov_b32 s0, -1
                                        ; implicit-def: $vgpr1
	s_branch .LBB7_1259
.LBB7_1238:
	s_mov_b32 s0, -1
                                        ; implicit-def: $vgpr1
	s_branch .LBB7_1247
.LBB7_1239:
	s_mov_b32 s0, -1
                                        ; implicit-def: $vgpr1
	s_branch .LBB7_1244
.LBB7_1240:
	s_mov_b32 s0, -1
                                        ; implicit-def: $vgpr1
.LBB7_1241:
	s_delay_alu instid0(SALU_CYCLE_1)
	s_and_not1_b32 vcc_lo, exec_lo, s0
	s_cbranch_vccnz .LBB7_1243
; %bb.1242:
	s_wait_loadcnt 0x0
	global_load_b32 v1, v[12:13], off
	s_wait_loadcnt 0x0
	v_cvt_i32_f32_e32 v1, v1
.LBB7_1243:
	s_mov_b32 s0, 0
.LBB7_1244:
	s_delay_alu instid0(SALU_CYCLE_1)
	s_and_not1_b32 vcc_lo, exec_lo, s0
	s_cbranch_vccnz .LBB7_1246
; %bb.1245:
	s_wait_loadcnt 0x0
	global_load_b32 v1, v[12:13], off
	s_wait_loadcnt 0x0
	v_cvt_f32_f16_e32 v1, v1
	s_delay_alu instid0(VALU_DEP_1)
	v_cvt_i32_f32_e32 v1, v1
.LBB7_1246:
	s_mov_b32 s0, 0
.LBB7_1247:
	s_delay_alu instid0(SALU_CYCLE_1)
	s_and_not1_b32 vcc_lo, exec_lo, s0
	s_cbranch_vccnz .LBB7_1258
; %bb.1248:
	s_cmp_lt_i32 s17, 6
	s_cbranch_scc1 .LBB7_1251
; %bb.1249:
	s_cmp_gt_i32 s17, 6
	s_cbranch_scc0 .LBB7_1252
; %bb.1250:
	global_load_b64 v[14:15], v[12:13], off
	s_mov_b32 s0, 0
	s_wait_loadcnt 0x0
	v_cvt_i32_f64_e32 v1, v[14:15]
	s_branch .LBB7_1253
.LBB7_1251:
	s_mov_b32 s0, -1
                                        ; implicit-def: $vgpr1
	s_branch .LBB7_1256
.LBB7_1252:
	s_mov_b32 s0, -1
                                        ; implicit-def: $vgpr1
.LBB7_1253:
	s_delay_alu instid0(SALU_CYCLE_1)
	s_and_not1_b32 vcc_lo, exec_lo, s0
	s_cbranch_vccnz .LBB7_1255
; %bb.1254:
	s_wait_loadcnt 0x0
	global_load_b32 v1, v[12:13], off
	s_wait_loadcnt 0x0
	v_cvt_i32_f32_e32 v1, v1
.LBB7_1255:
	s_mov_b32 s0, 0
.LBB7_1256:
	s_delay_alu instid0(SALU_CYCLE_1)
	s_and_not1_b32 vcc_lo, exec_lo, s0
	s_cbranch_vccnz .LBB7_1258
; %bb.1257:
	s_wait_loadcnt 0x0
	global_load_u16 v1, v[12:13], off
	s_wait_loadcnt 0x0
	v_cvt_f32_f16_e32 v1, v1
	s_delay_alu instid0(VALU_DEP_1)
	v_cvt_i32_f32_e32 v1, v1
.LBB7_1258:
	s_mov_b32 s0, 0
.LBB7_1259:
	s_delay_alu instid0(SALU_CYCLE_1)
	s_and_not1_b32 vcc_lo, exec_lo, s0
	s_cbranch_vccnz .LBB7_1279
; %bb.1260:
	s_cmp_lt_i32 s17, 2
	s_cbranch_scc1 .LBB7_1264
; %bb.1261:
	s_cmp_lt_i32 s17, 3
	s_cbranch_scc1 .LBB7_1265
; %bb.1262:
	s_cmp_gt_i32 s17, 3
	s_cbranch_scc0 .LBB7_1266
; %bb.1263:
	s_wait_loadcnt 0x0
	global_load_b32 v1, v[12:13], off
	s_mov_b32 s0, 0
	s_branch .LBB7_1267
.LBB7_1264:
	s_mov_b32 s0, -1
                                        ; implicit-def: $vgpr1
	s_branch .LBB7_1273
.LBB7_1265:
	s_mov_b32 s0, -1
                                        ; implicit-def: $vgpr1
	s_branch .LBB7_1270
.LBB7_1266:
	s_mov_b32 s0, -1
                                        ; implicit-def: $vgpr1
.LBB7_1267:
	s_delay_alu instid0(SALU_CYCLE_1)
	s_and_not1_b32 vcc_lo, exec_lo, s0
	s_cbranch_vccnz .LBB7_1269
; %bb.1268:
	s_wait_loadcnt 0x0
	global_load_b32 v1, v[12:13], off
.LBB7_1269:
	s_mov_b32 s0, 0
.LBB7_1270:
	s_delay_alu instid0(SALU_CYCLE_1)
	s_and_not1_b32 vcc_lo, exec_lo, s0
	s_cbranch_vccnz .LBB7_1272
; %bb.1271:
	s_wait_loadcnt 0x0
	global_load_i16 v1, v[12:13], off
.LBB7_1272:
	s_mov_b32 s0, 0
.LBB7_1273:
	s_delay_alu instid0(SALU_CYCLE_1)
	s_and_not1_b32 vcc_lo, exec_lo, s0
	s_cbranch_vccnz .LBB7_1279
; %bb.1274:
	s_cmp_gt_i32 s17, 0
	s_mov_b32 s0, 0
	s_cbranch_scc0 .LBB7_1276
; %bb.1275:
	s_wait_loadcnt 0x0
	global_load_i8 v1, v[12:13], off
	s_branch .LBB7_1277
.LBB7_1276:
	s_mov_b32 s0, -1
                                        ; implicit-def: $vgpr1
.LBB7_1277:
	s_delay_alu instid0(SALU_CYCLE_1)
	s_and_not1_b32 vcc_lo, exec_lo, s0
	s_cbranch_vccnz .LBB7_1279
; %bb.1278:
	s_wait_loadcnt 0x0
	global_load_u8 v1, v[12:13], off
.LBB7_1279:
	s_branch .LBB7_1042
.LBB7_1280:
	s_mov_b32 s14, 0
	s_mov_b32 s15, 0
                                        ; implicit-def: $vgpr14_vgpr15
                                        ; implicit-def: $sgpr0
	s_branch .LBB7_1851
.LBB7_1281:
	s_or_b32 s12, s1, exec_lo
	s_trap 2
	s_cbranch_execz .LBB7_1230
	s_branch .LBB7_1231
.LBB7_1282:
	s_mov_b32 s14, -1
	s_mov_b32 s18, 0
	s_mov_b32 s0, 0
	s_branch .LBB7_1284
.LBB7_1283:
	s_mov_b32 s0, -1
	s_mov_b32 s18, 0
.LBB7_1284:
                                        ; implicit-def: $vgpr1
.LBB7_1285:
	s_and_b32 vcc_lo, exec_lo, s14
	s_cbranch_vccz .LBB7_1289
; %bb.1286:
	s_cmp_eq_u32 s17, 44
	s_cbranch_scc0 .LBB7_1288
; %bb.1287:
	global_load_u8 v1, v[10:11], off
	s_mov_b32 s0, 0
	s_mov_b32 s18, -1
	s_wait_loadcnt 0x0
	v_lshlrev_b32_e32 v3, 23, v1
	v_cmp_ne_u32_e32 vcc_lo, 0, v1
	s_delay_alu instid0(VALU_DEP_2) | instskip(NEXT) | instid1(VALU_DEP_1)
	v_cvt_i32_f32_e32 v3, v3
	v_cndmask_b32_e32 v1, 0, v3, vcc_lo
	s_branch .LBB7_1289
.LBB7_1288:
	s_mov_b32 s0, -1
                                        ; implicit-def: $vgpr1
.LBB7_1289:
	s_mov_b32 s14, 0
.LBB7_1290:
	s_delay_alu instid0(SALU_CYCLE_1)
	s_and_b32 vcc_lo, exec_lo, s14
	s_cbranch_vccz .LBB7_1294
; %bb.1291:
	s_cmp_eq_u32 s17, 29
	s_cbranch_scc0 .LBB7_1293
; %bb.1292:
	global_load_b32 v1, v[10:11], off
	s_mov_b32 s0, 0
	s_mov_b32 s18, -1
	s_branch .LBB7_1294
.LBB7_1293:
	s_mov_b32 s0, -1
                                        ; implicit-def: $vgpr1
.LBB7_1294:
	s_mov_b32 s14, 0
.LBB7_1295:
	s_delay_alu instid0(SALU_CYCLE_1)
	s_and_b32 vcc_lo, exec_lo, s14
	s_cbranch_vccz .LBB7_1311
; %bb.1296:
	s_cmp_lt_i32 s17, 27
	s_cbranch_scc1 .LBB7_1299
; %bb.1297:
	s_cmp_gt_i32 s17, 27
	s_cbranch_scc0 .LBB7_1300
; %bb.1298:
	s_wait_loadcnt 0x0
	global_load_b32 v1, v[10:11], off
	s_mov_b32 s14, 0
	s_branch .LBB7_1301
.LBB7_1299:
	s_mov_b32 s14, -1
                                        ; implicit-def: $vgpr1
	s_branch .LBB7_1304
.LBB7_1300:
	s_mov_b32 s14, -1
                                        ; implicit-def: $vgpr1
.LBB7_1301:
	s_delay_alu instid0(SALU_CYCLE_1)
	s_and_not1_b32 vcc_lo, exec_lo, s14
	s_cbranch_vccnz .LBB7_1303
; %bb.1302:
	s_wait_loadcnt 0x0
	global_load_u16 v1, v[10:11], off
.LBB7_1303:
	s_mov_b32 s14, 0
.LBB7_1304:
	s_delay_alu instid0(SALU_CYCLE_1)
	s_and_not1_b32 vcc_lo, exec_lo, s14
	s_cbranch_vccnz .LBB7_1310
; %bb.1305:
	global_load_u8 v3, v[10:11], off
	s_mov_b32 s18, 0
	s_mov_b32 s14, exec_lo
	s_wait_loadcnt 0x0
	v_cmpx_lt_i16_e32 0x7f, v3
	s_xor_b32 s14, exec_lo, s14
	s_cbranch_execz .LBB7_1322
; %bb.1306:
	v_cmp_ne_u16_e32 vcc_lo, 0x80, v3
	s_and_b32 s18, vcc_lo, exec_lo
	s_and_not1_saveexec_b32 s14, s14
	s_cbranch_execnz .LBB7_1323
.LBB7_1307:
	s_or_b32 exec_lo, exec_lo, s14
	v_mov_b32_e32 v1, 0
	s_and_saveexec_b32 s14, s18
	s_cbranch_execz .LBB7_1309
.LBB7_1308:
	v_and_b32_e32 v1, 0xffff, v3
	s_delay_alu instid0(VALU_DEP_1) | instskip(SKIP_1) | instid1(VALU_DEP_2)
	v_and_b32_e32 v5, 7, v1
	v_bfe_u32 v12, v1, 3, 4
	v_clz_i32_u32_e32 v7, v5
	s_delay_alu instid0(VALU_DEP_2) | instskip(NEXT) | instid1(VALU_DEP_2)
	v_cmp_eq_u32_e32 vcc_lo, 0, v12
	v_min_u32_e32 v7, 32, v7
	s_delay_alu instid0(VALU_DEP_1) | instskip(NEXT) | instid1(VALU_DEP_1)
	v_subrev_nc_u32_e32 v9, 28, v7
	v_dual_lshlrev_b32 v1, v9, v1 :: v_dual_sub_nc_u32 v7, 29, v7
	s_delay_alu instid0(VALU_DEP_1) | instskip(NEXT) | instid1(VALU_DEP_1)
	v_dual_lshlrev_b32 v3, 24, v3 :: v_dual_bitop2_b32 v1, 7, v1 bitop3:0x40
	v_dual_cndmask_b32 v1, v5, v1, vcc_lo :: v_dual_cndmask_b32 v7, v12, v7, vcc_lo
	s_delay_alu instid0(VALU_DEP_2) | instskip(NEXT) | instid1(VALU_DEP_2)
	v_and_b32_e32 v3, 0x80000000, v3
	v_lshlrev_b32_e32 v1, 20, v1
	s_delay_alu instid0(VALU_DEP_3) | instskip(NEXT) | instid1(VALU_DEP_1)
	v_lshl_add_u32 v5, v7, 23, 0x3b800000
	v_or3_b32 v1, v3, v5, v1
	s_delay_alu instid0(VALU_DEP_1)
	v_cvt_i32_f32_e32 v1, v1
.LBB7_1309:
	s_or_b32 exec_lo, exec_lo, s14
.LBB7_1310:
	s_mov_b32 s18, -1
.LBB7_1311:
	s_mov_b32 s14, 0
.LBB7_1312:
	s_delay_alu instid0(SALU_CYCLE_1)
	s_and_b32 vcc_lo, exec_lo, s14
	s_cbranch_vccz .LBB7_1343
; %bb.1313:
	s_cmp_gt_i32 s17, 22
	s_cbranch_scc0 .LBB7_1321
; %bb.1314:
	s_cmp_lt_i32 s17, 24
	s_cbranch_scc1 .LBB7_1324
; %bb.1315:
	s_cmp_gt_i32 s17, 24
	s_cbranch_scc0 .LBB7_1325
; %bb.1316:
	global_load_u8 v3, v[10:11], off
	s_mov_b32 s14, exec_lo
	s_wait_loadcnt 0x0
	v_cmpx_lt_i16_e32 0x7f, v3
	s_xor_b32 s14, exec_lo, s14
	s_cbranch_execz .LBB7_1337
; %bb.1317:
	v_cmp_ne_u16_e32 vcc_lo, 0x80, v3
	s_and_b32 s15, vcc_lo, exec_lo
	s_and_not1_saveexec_b32 s14, s14
	s_cbranch_execnz .LBB7_1338
.LBB7_1318:
	s_or_b32 exec_lo, exec_lo, s14
	v_mov_b32_e32 v1, 0
	s_and_saveexec_b32 s14, s15
	s_cbranch_execz .LBB7_1320
.LBB7_1319:
	v_and_b32_e32 v1, 0xffff, v3
	s_delay_alu instid0(VALU_DEP_1) | instskip(SKIP_1) | instid1(VALU_DEP_2)
	v_and_b32_e32 v5, 3, v1
	v_bfe_u32 v12, v1, 2, 5
	v_clz_i32_u32_e32 v7, v5
	s_delay_alu instid0(VALU_DEP_2) | instskip(NEXT) | instid1(VALU_DEP_2)
	v_cmp_eq_u32_e32 vcc_lo, 0, v12
	v_min_u32_e32 v7, 32, v7
	s_delay_alu instid0(VALU_DEP_1) | instskip(NEXT) | instid1(VALU_DEP_1)
	v_subrev_nc_u32_e32 v9, 29, v7
	v_dual_lshlrev_b32 v1, v9, v1 :: v_dual_sub_nc_u32 v7, 30, v7
	s_delay_alu instid0(VALU_DEP_1) | instskip(NEXT) | instid1(VALU_DEP_1)
	v_dual_lshlrev_b32 v3, 24, v3 :: v_dual_bitop2_b32 v1, 3, v1 bitop3:0x40
	v_dual_cndmask_b32 v1, v5, v1, vcc_lo :: v_dual_cndmask_b32 v7, v12, v7, vcc_lo
	s_delay_alu instid0(VALU_DEP_2) | instskip(NEXT) | instid1(VALU_DEP_2)
	v_and_b32_e32 v3, 0x80000000, v3
	v_lshlrev_b32_e32 v1, 21, v1
	s_delay_alu instid0(VALU_DEP_3) | instskip(NEXT) | instid1(VALU_DEP_1)
	v_lshl_add_u32 v5, v7, 23, 0x37800000
	v_or3_b32 v1, v3, v5, v1
	s_delay_alu instid0(VALU_DEP_1)
	v_cvt_i32_f32_e32 v1, v1
.LBB7_1320:
	s_or_b32 exec_lo, exec_lo, s14
	s_mov_b32 s14, 0
	s_branch .LBB7_1326
.LBB7_1321:
	s_mov_b32 s14, -1
                                        ; implicit-def: $vgpr1
	s_branch .LBB7_1332
.LBB7_1322:
	s_and_not1_saveexec_b32 s14, s14
	s_cbranch_execz .LBB7_1307
.LBB7_1323:
	v_cmp_ne_u16_e32 vcc_lo, 0, v3
	s_and_not1_b32 s18, s18, exec_lo
	s_and_b32 s19, vcc_lo, exec_lo
	s_delay_alu instid0(SALU_CYCLE_1)
	s_or_b32 s18, s18, s19
	s_or_b32 exec_lo, exec_lo, s14
	v_mov_b32_e32 v1, 0
	s_and_saveexec_b32 s14, s18
	s_cbranch_execnz .LBB7_1308
	s_branch .LBB7_1309
.LBB7_1324:
	s_mov_b32 s14, -1
                                        ; implicit-def: $vgpr1
	s_branch .LBB7_1329
.LBB7_1325:
	s_mov_b32 s14, -1
                                        ; implicit-def: $vgpr1
.LBB7_1326:
	s_delay_alu instid0(SALU_CYCLE_1)
	s_and_b32 vcc_lo, exec_lo, s14
	s_cbranch_vccz .LBB7_1328
; %bb.1327:
	s_wait_loadcnt 0x0
	global_load_u8 v1, v[10:11], off
	s_wait_loadcnt 0x0
	v_lshlrev_b32_e32 v1, 24, v1
	s_delay_alu instid0(VALU_DEP_1) | instskip(NEXT) | instid1(VALU_DEP_1)
	v_and_b32_e32 v3, 0x7f000000, v1
	v_clz_i32_u32_e32 v5, v3
	v_add_nc_u32_e32 v9, 0x1000000, v3
	v_cmp_ne_u32_e32 vcc_lo, 0, v3
	s_delay_alu instid0(VALU_DEP_3) | instskip(NEXT) | instid1(VALU_DEP_1)
	v_min_u32_e32 v5, 32, v5
	v_sub_nc_u32_e64 v5, v5, 4 clamp
	s_delay_alu instid0(VALU_DEP_1) | instskip(NEXT) | instid1(VALU_DEP_1)
	v_dual_lshlrev_b32 v7, v5, v3 :: v_dual_lshlrev_b32 v5, 23, v5
	v_lshrrev_b32_e32 v7, 4, v7
	s_delay_alu instid0(VALU_DEP_1) | instskip(SKIP_1) | instid1(VALU_DEP_2)
	v_sub_nc_u32_e32 v5, v7, v5
	v_ashrrev_i32_e32 v7, 8, v9
	v_add_nc_u32_e32 v5, 0x3c000000, v5
	s_delay_alu instid0(VALU_DEP_1) | instskip(NEXT) | instid1(VALU_DEP_1)
	v_and_or_b32 v5, 0x7f800000, v7, v5
	v_cndmask_b32_e32 v3, 0, v5, vcc_lo
	s_delay_alu instid0(VALU_DEP_1) | instskip(NEXT) | instid1(VALU_DEP_1)
	v_and_or_b32 v1, 0x80000000, v1, v3
	v_cvt_i32_f32_e32 v1, v1
.LBB7_1328:
	s_mov_b32 s14, 0
.LBB7_1329:
	s_delay_alu instid0(SALU_CYCLE_1)
	s_and_not1_b32 vcc_lo, exec_lo, s14
	s_cbranch_vccnz .LBB7_1331
; %bb.1330:
	s_wait_loadcnt 0x0
	global_load_u8 v1, v[10:11], off
	s_wait_loadcnt 0x0
	v_lshlrev_b32_e32 v3, 25, v1
	v_lshlrev_b16 v1, 8, v1
	s_delay_alu instid0(VALU_DEP_1) | instskip(SKIP_1) | instid1(VALU_DEP_2)
	v_and_or_b32 v7, 0x7f00, v1, 0.5
	v_bfe_i32 v1, v1, 0, 16
	v_add_f32_e32 v7, -0.5, v7
	v_lshrrev_b32_e32 v5, 4, v3
	v_cmp_gt_u32_e32 vcc_lo, 0x8000000, v3
	s_delay_alu instid0(VALU_DEP_2) | instskip(NEXT) | instid1(VALU_DEP_1)
	v_or_b32_e32 v5, 0x70000000, v5
	v_mul_f32_e32 v5, 0x7800000, v5
	s_delay_alu instid0(VALU_DEP_1) | instskip(NEXT) | instid1(VALU_DEP_1)
	v_cndmask_b32_e32 v3, v5, v7, vcc_lo
	v_and_or_b32 v1, 0x80000000, v1, v3
	s_delay_alu instid0(VALU_DEP_1)
	v_cvt_i32_f32_e32 v1, v1
.LBB7_1331:
	s_mov_b32 s14, 0
	s_mov_b32 s18, -1
.LBB7_1332:
	s_and_not1_b32 vcc_lo, exec_lo, s14
	s_mov_b32 s15, 0
	s_cbranch_vccnz .LBB7_1343
; %bb.1333:
	s_cmp_gt_i32 s17, 14
	s_cbranch_scc0 .LBB7_1336
; %bb.1334:
	s_cmp_eq_u32 s17, 15
	s_cbranch_scc0 .LBB7_1339
; %bb.1335:
	s_wait_loadcnt 0x0
	global_load_u16 v1, v[10:11], off
	s_mov_b32 s0, 0
	s_mov_b32 s18, -1
	s_wait_loadcnt 0x0
	v_lshlrev_b32_e32 v1, 16, v1
	s_delay_alu instid0(VALU_DEP_1)
	v_cvt_i32_f32_e32 v1, v1
	s_branch .LBB7_1340
.LBB7_1336:
	s_mov_b32 s14, -1
                                        ; implicit-def: $vgpr1
	s_branch .LBB7_1341
.LBB7_1337:
	s_and_not1_saveexec_b32 s14, s14
	s_cbranch_execz .LBB7_1318
.LBB7_1338:
	v_cmp_ne_u16_e32 vcc_lo, 0, v3
	s_and_not1_b32 s15, s15, exec_lo
	s_and_b32 s18, vcc_lo, exec_lo
	s_delay_alu instid0(SALU_CYCLE_1)
	s_or_b32 s15, s15, s18
	s_or_b32 exec_lo, exec_lo, s14
	v_mov_b32_e32 v1, 0
	s_and_saveexec_b32 s14, s15
	s_cbranch_execnz .LBB7_1319
	s_branch .LBB7_1320
.LBB7_1339:
	s_mov_b32 s0, -1
                                        ; implicit-def: $vgpr1
.LBB7_1340:
	s_mov_b32 s14, 0
.LBB7_1341:
	s_delay_alu instid0(SALU_CYCLE_1)
	s_and_b32 vcc_lo, exec_lo, s14
	s_cbranch_vccz .LBB7_1343
; %bb.1342:
	s_cmp_lg_u32 s17, 11
	s_mov_b32 s15, -1
	s_cselect_b32 s0, -1, 0
.LBB7_1343:
	s_delay_alu instid0(SALU_CYCLE_1)
	s_and_b32 vcc_lo, exec_lo, s0
	s_mov_b32 s14, s12
	s_cbranch_vccnz .LBB7_1410
; %bb.1344:
	s_and_not1_b32 vcc_lo, exec_lo, s15
	s_cbranch_vccnz .LBB7_1346
.LBB7_1345:
	s_wait_loadcnt 0x0
	global_load_u8 v1, v[10:11], off
	s_mov_b32 s18, -1
	s_wait_loadcnt 0x0
	v_cmp_ne_u16_e32 vcc_lo, 0, v1
	v_cndmask_b32_e64 v1, 0, 1, vcc_lo
.LBB7_1346:
	s_mov_b32 s0, 0
.LBB7_1347:
	s_delay_alu instid0(SALU_CYCLE_1)
	s_and_b32 vcc_lo, exec_lo, s0
	s_cbranch_vccz .LBB7_1396
; %bb.1348:
	s_cmp_lt_i32 s17, 5
	s_cbranch_scc1 .LBB7_1353
; %bb.1349:
	s_cmp_lt_i32 s17, 8
	s_cbranch_scc1 .LBB7_1354
	;; [unrolled: 3-line block ×3, first 2 shown]
; %bb.1351:
	s_cmp_gt_i32 s17, 9
	s_cbranch_scc0 .LBB7_1356
; %bb.1352:
	global_load_b64 v[12:13], v[10:11], off
	s_mov_b32 s0, 0
	s_wait_loadcnt 0x0
	v_cvt_i32_f64_e32 v1, v[12:13]
	s_branch .LBB7_1357
.LBB7_1353:
	s_mov_b32 s0, -1
                                        ; implicit-def: $vgpr1
	s_branch .LBB7_1375
.LBB7_1354:
	s_mov_b32 s0, -1
                                        ; implicit-def: $vgpr1
	s_branch .LBB7_1363
.LBB7_1355:
	s_mov_b32 s0, -1
                                        ; implicit-def: $vgpr1
	s_branch .LBB7_1360
.LBB7_1356:
	s_mov_b32 s0, -1
                                        ; implicit-def: $vgpr1
.LBB7_1357:
	s_delay_alu instid0(SALU_CYCLE_1)
	s_and_not1_b32 vcc_lo, exec_lo, s0
	s_cbranch_vccnz .LBB7_1359
; %bb.1358:
	s_wait_loadcnt 0x0
	global_load_b32 v1, v[10:11], off
	s_wait_loadcnt 0x0
	v_cvt_i32_f32_e32 v1, v1
.LBB7_1359:
	s_mov_b32 s0, 0
.LBB7_1360:
	s_delay_alu instid0(SALU_CYCLE_1)
	s_and_not1_b32 vcc_lo, exec_lo, s0
	s_cbranch_vccnz .LBB7_1362
; %bb.1361:
	s_wait_loadcnt 0x0
	global_load_b32 v1, v[10:11], off
	s_wait_loadcnt 0x0
	v_cvt_f32_f16_e32 v1, v1
	s_delay_alu instid0(VALU_DEP_1)
	v_cvt_i32_f32_e32 v1, v1
.LBB7_1362:
	s_mov_b32 s0, 0
.LBB7_1363:
	s_delay_alu instid0(SALU_CYCLE_1)
	s_and_not1_b32 vcc_lo, exec_lo, s0
	s_cbranch_vccnz .LBB7_1374
; %bb.1364:
	s_cmp_lt_i32 s17, 6
	s_cbranch_scc1 .LBB7_1367
; %bb.1365:
	s_cmp_gt_i32 s17, 6
	s_cbranch_scc0 .LBB7_1368
; %bb.1366:
	global_load_b64 v[12:13], v[10:11], off
	s_mov_b32 s0, 0
	s_wait_loadcnt 0x0
	v_cvt_i32_f64_e32 v1, v[12:13]
	s_branch .LBB7_1369
.LBB7_1367:
	s_mov_b32 s0, -1
                                        ; implicit-def: $vgpr1
	s_branch .LBB7_1372
.LBB7_1368:
	s_mov_b32 s0, -1
                                        ; implicit-def: $vgpr1
.LBB7_1369:
	s_delay_alu instid0(SALU_CYCLE_1)
	s_and_not1_b32 vcc_lo, exec_lo, s0
	s_cbranch_vccnz .LBB7_1371
; %bb.1370:
	s_wait_loadcnt 0x0
	global_load_b32 v1, v[10:11], off
	s_wait_loadcnt 0x0
	v_cvt_i32_f32_e32 v1, v1
.LBB7_1371:
	s_mov_b32 s0, 0
.LBB7_1372:
	s_delay_alu instid0(SALU_CYCLE_1)
	s_and_not1_b32 vcc_lo, exec_lo, s0
	s_cbranch_vccnz .LBB7_1374
; %bb.1373:
	s_wait_loadcnt 0x0
	global_load_u16 v1, v[10:11], off
	s_wait_loadcnt 0x0
	v_cvt_f32_f16_e32 v1, v1
	s_delay_alu instid0(VALU_DEP_1)
	v_cvt_i32_f32_e32 v1, v1
.LBB7_1374:
	s_mov_b32 s0, 0
.LBB7_1375:
	s_delay_alu instid0(SALU_CYCLE_1)
	s_and_not1_b32 vcc_lo, exec_lo, s0
	s_cbranch_vccnz .LBB7_1395
; %bb.1376:
	s_cmp_lt_i32 s17, 2
	s_cbranch_scc1 .LBB7_1380
; %bb.1377:
	s_cmp_lt_i32 s17, 3
	s_cbranch_scc1 .LBB7_1381
; %bb.1378:
	s_cmp_gt_i32 s17, 3
	s_cbranch_scc0 .LBB7_1382
; %bb.1379:
	s_wait_loadcnt 0x0
	global_load_b32 v1, v[10:11], off
	s_mov_b32 s0, 0
	s_branch .LBB7_1383
.LBB7_1380:
	s_mov_b32 s0, -1
                                        ; implicit-def: $vgpr1
	s_branch .LBB7_1389
.LBB7_1381:
	s_mov_b32 s0, -1
                                        ; implicit-def: $vgpr1
	s_branch .LBB7_1386
.LBB7_1382:
	s_mov_b32 s0, -1
                                        ; implicit-def: $vgpr1
.LBB7_1383:
	s_delay_alu instid0(SALU_CYCLE_1)
	s_and_not1_b32 vcc_lo, exec_lo, s0
	s_cbranch_vccnz .LBB7_1385
; %bb.1384:
	s_wait_loadcnt 0x0
	global_load_b32 v1, v[10:11], off
.LBB7_1385:
	s_mov_b32 s0, 0
.LBB7_1386:
	s_delay_alu instid0(SALU_CYCLE_1)
	s_and_not1_b32 vcc_lo, exec_lo, s0
	s_cbranch_vccnz .LBB7_1388
; %bb.1387:
	s_wait_loadcnt 0x0
	global_load_i16 v1, v[10:11], off
.LBB7_1388:
	s_mov_b32 s0, 0
.LBB7_1389:
	s_delay_alu instid0(SALU_CYCLE_1)
	s_and_not1_b32 vcc_lo, exec_lo, s0
	s_cbranch_vccnz .LBB7_1395
; %bb.1390:
	s_cmp_gt_i32 s17, 0
	s_mov_b32 s0, 0
	s_cbranch_scc0 .LBB7_1392
; %bb.1391:
	s_wait_loadcnt 0x0
	global_load_i8 v1, v[10:11], off
	s_branch .LBB7_1393
.LBB7_1392:
	s_mov_b32 s0, -1
                                        ; implicit-def: $vgpr1
.LBB7_1393:
	s_delay_alu instid0(SALU_CYCLE_1)
	s_and_not1_b32 vcc_lo, exec_lo, s0
	s_cbranch_vccnz .LBB7_1395
; %bb.1394:
	s_wait_loadcnt 0x0
	global_load_u8 v1, v[10:11], off
.LBB7_1395:
	s_mov_b32 s18, -1
.LBB7_1396:
	s_delay_alu instid0(SALU_CYCLE_1)
	s_and_not1_b32 vcc_lo, exec_lo, s18
	s_cbranch_vccnz .LBB7_1406
; %bb.1397:
	s_wait_loadcnt 0x0
	s_delay_alu instid0(VALU_DEP_1) | instskip(SKIP_4) | instid1(SALU_CYCLE_1)
	v_cmp_gt_i32_e32 vcc_lo, s16, v1
	v_cmp_le_i32_e64 s0, s8, v1
	s_or_b32 s0, vcc_lo, s0
	s_wait_xcnt 0x0
	s_and_saveexec_b32 s15, s0
	s_xor_b32 s0, exec_lo, s15
	s_cbranch_execnz .LBB7_1903
.LBB7_1398:
	s_or_saveexec_b32 s15, s0
	s_mov_b32 s18, 0
	s_mov_b32 s19, 0
                                        ; implicit-def: $vgpr14_vgpr15
                                        ; implicit-def: $sgpr0
	s_xor_b32 exec_lo, exec_lo, s15
	s_cbranch_execz .LBB7_1848
; %bb.1399:
	v_mov_b32_e32 v9, 0
	s_cmp_lt_i32 s17, 11
	s_delay_alu instid0(VALU_DEP_1)
	v_add_nc_u64_e32 v[8:9], s[6:7], v[8:9]
	s_cbranch_scc1 .LBB7_1407
; %bb.1400:
	s_cmp_gt_i32 s17, 25
	s_mov_b32 s7, 0
	s_cbranch_scc0 .LBB7_1408
; %bb.1401:
	s_cmp_gt_i32 s17, 28
	s_cbranch_scc0 .LBB7_1409
; %bb.1402:
	s_cmp_gt_i32 s17, 43
	;; [unrolled: 3-line block ×3, first 2 shown]
	s_cbranch_scc0 .LBB7_1412
; %bb.1404:
	s_cmp_eq_u32 s17, 46
	s_mov_b32 s6, 0
	s_cbranch_scc0 .LBB7_1414
; %bb.1405:
	global_load_b32 v1, v[8:9], off
	s_mov_b32 s0, 0
	s_mov_b32 s18, -1
	s_wait_loadcnt 0x0
	v_lshlrev_b32_e32 v1, 16, v1
	s_delay_alu instid0(VALU_DEP_1)
	v_cvt_i32_f32_e32 v1, v1
	s_branch .LBB7_1416
.LBB7_1406:
	s_mov_b32 s18, 0
	s_mov_b32 s19, 0
                                        ; implicit-def: $vgpr14_vgpr15
                                        ; implicit-def: $sgpr0
	s_branch .LBB7_1849
.LBB7_1407:
	s_mov_b32 s0, -1
	s_mov_b32 s6, s14
                                        ; implicit-def: $vgpr1
	s_branch .LBB7_1478
.LBB7_1408:
	s_mov_b32 s6, -1
	s_mov_b32 s0, 0
                                        ; implicit-def: $vgpr1
	s_branch .LBB7_1443
.LBB7_1409:
	s_mov_b32 s6, -1
	s_mov_b32 s0, 0
                                        ; implicit-def: $vgpr1
	s_branch .LBB7_1426
.LBB7_1410:
	s_or_b32 s14, s12, exec_lo
	s_trap 2
	s_cbranch_execz .LBB7_1345
	s_branch .LBB7_1346
.LBB7_1411:
	s_mov_b32 s6, -1
	s_mov_b32 s0, 0
                                        ; implicit-def: $vgpr1
	s_branch .LBB7_1421
.LBB7_1412:
	s_mov_b32 s6, -1
	s_mov_b32 s0, 0
	s_branch .LBB7_1415
.LBB7_1413:
	s_or_b32 s1, s1, exec_lo
	s_trap 2
                                        ; implicit-def: $vgpr12
                                        ; implicit-def: $vgpr10
                                        ; implicit-def: $vgpr8
                                        ; implicit-def: $vgpr0
                                        ; implicit-def: $vgpr6
                                        ; implicit-def: $vgpr4
                                        ; implicit-def: $vgpr2
	s_branch .LBB7_1030
.LBB7_1414:
	s_mov_b32 s0, -1
.LBB7_1415:
                                        ; implicit-def: $vgpr1
.LBB7_1416:
	s_and_b32 vcc_lo, exec_lo, s6
	s_cbranch_vccz .LBB7_1420
; %bb.1417:
	s_cmp_eq_u32 s17, 44
	s_cbranch_scc0 .LBB7_1419
; %bb.1418:
	global_load_u8 v1, v[8:9], off
	s_mov_b32 s0, 0
	s_mov_b32 s18, -1
	s_wait_loadcnt 0x0
	v_lshlrev_b32_e32 v3, 23, v1
	v_cmp_ne_u32_e32 vcc_lo, 0, v1
	s_delay_alu instid0(VALU_DEP_2) | instskip(NEXT) | instid1(VALU_DEP_1)
	v_cvt_i32_f32_e32 v3, v3
	v_cndmask_b32_e32 v1, 0, v3, vcc_lo
	s_branch .LBB7_1420
.LBB7_1419:
	s_mov_b32 s0, -1
                                        ; implicit-def: $vgpr1
.LBB7_1420:
	s_mov_b32 s6, 0
.LBB7_1421:
	s_delay_alu instid0(SALU_CYCLE_1)
	s_and_b32 vcc_lo, exec_lo, s6
	s_cbranch_vccz .LBB7_1425
; %bb.1422:
	s_cmp_eq_u32 s17, 29
	s_cbranch_scc0 .LBB7_1424
; %bb.1423:
	global_load_b32 v1, v[8:9], off
	s_mov_b32 s0, 0
	s_mov_b32 s18, -1
	s_branch .LBB7_1425
.LBB7_1424:
	s_mov_b32 s0, -1
                                        ; implicit-def: $vgpr1
.LBB7_1425:
	s_mov_b32 s6, 0
.LBB7_1426:
	s_delay_alu instid0(SALU_CYCLE_1)
	s_and_b32 vcc_lo, exec_lo, s6
	s_cbranch_vccz .LBB7_1442
; %bb.1427:
	s_cmp_lt_i32 s17, 27
	s_cbranch_scc1 .LBB7_1430
; %bb.1428:
	s_cmp_gt_i32 s17, 27
	s_cbranch_scc0 .LBB7_1431
; %bb.1429:
	s_wait_loadcnt 0x0
	global_load_b32 v1, v[8:9], off
	s_mov_b32 s6, 0
	s_branch .LBB7_1432
.LBB7_1430:
	s_mov_b32 s6, -1
                                        ; implicit-def: $vgpr1
	s_branch .LBB7_1435
.LBB7_1431:
	s_mov_b32 s6, -1
                                        ; implicit-def: $vgpr1
.LBB7_1432:
	s_delay_alu instid0(SALU_CYCLE_1)
	s_and_not1_b32 vcc_lo, exec_lo, s6
	s_cbranch_vccnz .LBB7_1434
; %bb.1433:
	s_wait_loadcnt 0x0
	global_load_u16 v1, v[8:9], off
.LBB7_1434:
	s_mov_b32 s6, 0
.LBB7_1435:
	s_delay_alu instid0(SALU_CYCLE_1)
	s_and_not1_b32 vcc_lo, exec_lo, s6
	s_cbranch_vccnz .LBB7_1441
; %bb.1436:
	global_load_u8 v3, v[8:9], off
	s_mov_b32 s18, 0
	s_mov_b32 s6, exec_lo
	s_wait_loadcnt 0x0
	v_cmpx_lt_i16_e32 0x7f, v3
	s_xor_b32 s6, exec_lo, s6
	s_cbranch_execz .LBB7_1453
; %bb.1437:
	v_cmp_ne_u16_e32 vcc_lo, 0x80, v3
	s_and_b32 s18, vcc_lo, exec_lo
	s_and_not1_saveexec_b32 s6, s6
	s_cbranch_execnz .LBB7_1454
.LBB7_1438:
	s_or_b32 exec_lo, exec_lo, s6
	v_mov_b32_e32 v1, 0
	s_and_saveexec_b32 s6, s18
	s_cbranch_execz .LBB7_1440
.LBB7_1439:
	v_and_b32_e32 v1, 0xffff, v3
	s_delay_alu instid0(VALU_DEP_1) | instskip(SKIP_1) | instid1(VALU_DEP_2)
	v_and_b32_e32 v5, 7, v1
	v_bfe_u32 v11, v1, 3, 4
	v_clz_i32_u32_e32 v7, v5
	s_delay_alu instid0(VALU_DEP_2) | instskip(NEXT) | instid1(VALU_DEP_2)
	v_cmp_eq_u32_e32 vcc_lo, 0, v11
	v_min_u32_e32 v7, 32, v7
	s_delay_alu instid0(VALU_DEP_1) | instskip(NEXT) | instid1(VALU_DEP_1)
	v_subrev_nc_u32_e32 v10, 28, v7
	v_dual_lshlrev_b32 v1, v10, v1 :: v_dual_sub_nc_u32 v7, 29, v7
	s_delay_alu instid0(VALU_DEP_1) | instskip(NEXT) | instid1(VALU_DEP_1)
	v_dual_lshlrev_b32 v3, 24, v3 :: v_dual_bitop2_b32 v1, 7, v1 bitop3:0x40
	v_dual_cndmask_b32 v1, v5, v1, vcc_lo :: v_dual_cndmask_b32 v7, v11, v7, vcc_lo
	s_delay_alu instid0(VALU_DEP_2) | instskip(NEXT) | instid1(VALU_DEP_2)
	v_and_b32_e32 v3, 0x80000000, v3
	v_lshlrev_b32_e32 v1, 20, v1
	s_delay_alu instid0(VALU_DEP_3) | instskip(NEXT) | instid1(VALU_DEP_1)
	v_lshl_add_u32 v5, v7, 23, 0x3b800000
	v_or3_b32 v1, v3, v5, v1
	s_delay_alu instid0(VALU_DEP_1)
	v_cvt_i32_f32_e32 v1, v1
.LBB7_1440:
	s_or_b32 exec_lo, exec_lo, s6
.LBB7_1441:
	s_mov_b32 s18, -1
.LBB7_1442:
	s_mov_b32 s6, 0
.LBB7_1443:
	s_delay_alu instid0(SALU_CYCLE_1)
	s_and_b32 vcc_lo, exec_lo, s6
	s_cbranch_vccz .LBB7_1474
; %bb.1444:
	s_cmp_gt_i32 s17, 22
	s_cbranch_scc0 .LBB7_1452
; %bb.1445:
	s_cmp_lt_i32 s17, 24
	s_cbranch_scc1 .LBB7_1455
; %bb.1446:
	s_cmp_gt_i32 s17, 24
	s_cbranch_scc0 .LBB7_1456
; %bb.1447:
	global_load_u8 v3, v[8:9], off
	s_mov_b32 s6, exec_lo
	s_wait_loadcnt 0x0
	v_cmpx_lt_i16_e32 0x7f, v3
	s_xor_b32 s6, exec_lo, s6
	s_cbranch_execz .LBB7_1468
; %bb.1448:
	v_cmp_ne_u16_e32 vcc_lo, 0x80, v3
	s_and_b32 s7, vcc_lo, exec_lo
	s_and_not1_saveexec_b32 s6, s6
	s_cbranch_execnz .LBB7_1469
.LBB7_1449:
	s_or_b32 exec_lo, exec_lo, s6
	v_mov_b32_e32 v1, 0
	s_and_saveexec_b32 s6, s7
	s_cbranch_execz .LBB7_1451
.LBB7_1450:
	v_and_b32_e32 v1, 0xffff, v3
	s_delay_alu instid0(VALU_DEP_1) | instskip(SKIP_1) | instid1(VALU_DEP_2)
	v_and_b32_e32 v5, 3, v1
	v_bfe_u32 v11, v1, 2, 5
	v_clz_i32_u32_e32 v7, v5
	s_delay_alu instid0(VALU_DEP_2) | instskip(NEXT) | instid1(VALU_DEP_2)
	v_cmp_eq_u32_e32 vcc_lo, 0, v11
	v_min_u32_e32 v7, 32, v7
	s_delay_alu instid0(VALU_DEP_1) | instskip(NEXT) | instid1(VALU_DEP_1)
	v_subrev_nc_u32_e32 v10, 29, v7
	v_dual_lshlrev_b32 v1, v10, v1 :: v_dual_sub_nc_u32 v7, 30, v7
	s_delay_alu instid0(VALU_DEP_1) | instskip(NEXT) | instid1(VALU_DEP_1)
	v_dual_lshlrev_b32 v3, 24, v3 :: v_dual_bitop2_b32 v1, 3, v1 bitop3:0x40
	v_dual_cndmask_b32 v1, v5, v1, vcc_lo :: v_dual_cndmask_b32 v7, v11, v7, vcc_lo
	s_delay_alu instid0(VALU_DEP_2) | instskip(NEXT) | instid1(VALU_DEP_2)
	v_and_b32_e32 v3, 0x80000000, v3
	v_lshlrev_b32_e32 v1, 21, v1
	s_delay_alu instid0(VALU_DEP_3) | instskip(NEXT) | instid1(VALU_DEP_1)
	v_lshl_add_u32 v5, v7, 23, 0x37800000
	v_or3_b32 v1, v3, v5, v1
	s_delay_alu instid0(VALU_DEP_1)
	v_cvt_i32_f32_e32 v1, v1
.LBB7_1451:
	s_or_b32 exec_lo, exec_lo, s6
	s_mov_b32 s6, 0
	s_branch .LBB7_1457
.LBB7_1452:
	s_mov_b32 s6, -1
                                        ; implicit-def: $vgpr1
	s_branch .LBB7_1463
.LBB7_1453:
	s_and_not1_saveexec_b32 s6, s6
	s_cbranch_execz .LBB7_1438
.LBB7_1454:
	v_cmp_ne_u16_e32 vcc_lo, 0, v3
	s_and_not1_b32 s18, s18, exec_lo
	s_and_b32 s19, vcc_lo, exec_lo
	s_delay_alu instid0(SALU_CYCLE_1)
	s_or_b32 s18, s18, s19
	s_or_b32 exec_lo, exec_lo, s6
	v_mov_b32_e32 v1, 0
	s_and_saveexec_b32 s6, s18
	s_cbranch_execnz .LBB7_1439
	s_branch .LBB7_1440
.LBB7_1455:
	s_mov_b32 s6, -1
                                        ; implicit-def: $vgpr1
	s_branch .LBB7_1460
.LBB7_1456:
	s_mov_b32 s6, -1
                                        ; implicit-def: $vgpr1
.LBB7_1457:
	s_delay_alu instid0(SALU_CYCLE_1)
	s_and_b32 vcc_lo, exec_lo, s6
	s_cbranch_vccz .LBB7_1459
; %bb.1458:
	s_wait_loadcnt 0x0
	global_load_u8 v1, v[8:9], off
	s_wait_loadcnt 0x0
	v_lshlrev_b32_e32 v1, 24, v1
	s_delay_alu instid0(VALU_DEP_1) | instskip(NEXT) | instid1(VALU_DEP_1)
	v_and_b32_e32 v3, 0x7f000000, v1
	v_clz_i32_u32_e32 v5, v3
	v_cmp_ne_u32_e32 vcc_lo, 0, v3
	v_add_nc_u32_e32 v10, 0x1000000, v3
	s_delay_alu instid0(VALU_DEP_3) | instskip(NEXT) | instid1(VALU_DEP_1)
	v_min_u32_e32 v5, 32, v5
	v_sub_nc_u32_e64 v5, v5, 4 clamp
	s_delay_alu instid0(VALU_DEP_1) | instskip(NEXT) | instid1(VALU_DEP_1)
	v_dual_lshlrev_b32 v7, v5, v3 :: v_dual_lshlrev_b32 v5, 23, v5
	v_lshrrev_b32_e32 v7, 4, v7
	s_delay_alu instid0(VALU_DEP_1) | instskip(NEXT) | instid1(VALU_DEP_1)
	v_dual_sub_nc_u32 v5, v7, v5 :: v_dual_ashrrev_i32 v7, 8, v10
	v_add_nc_u32_e32 v5, 0x3c000000, v5
	s_delay_alu instid0(VALU_DEP_1) | instskip(NEXT) | instid1(VALU_DEP_1)
	v_and_or_b32 v5, 0x7f800000, v7, v5
	v_cndmask_b32_e32 v3, 0, v5, vcc_lo
	s_delay_alu instid0(VALU_DEP_1) | instskip(NEXT) | instid1(VALU_DEP_1)
	v_and_or_b32 v1, 0x80000000, v1, v3
	v_cvt_i32_f32_e32 v1, v1
.LBB7_1459:
	s_mov_b32 s6, 0
.LBB7_1460:
	s_delay_alu instid0(SALU_CYCLE_1)
	s_and_not1_b32 vcc_lo, exec_lo, s6
	s_cbranch_vccnz .LBB7_1462
; %bb.1461:
	s_wait_loadcnt 0x0
	global_load_u8 v1, v[8:9], off
	s_wait_loadcnt 0x0
	v_lshlrev_b32_e32 v3, 25, v1
	v_lshlrev_b16 v1, 8, v1
	s_delay_alu instid0(VALU_DEP_1) | instskip(SKIP_1) | instid1(VALU_DEP_2)
	v_and_or_b32 v7, 0x7f00, v1, 0.5
	v_bfe_i32 v1, v1, 0, 16
	v_add_f32_e32 v7, -0.5, v7
	v_lshrrev_b32_e32 v5, 4, v3
	v_cmp_gt_u32_e32 vcc_lo, 0x8000000, v3
	s_delay_alu instid0(VALU_DEP_2) | instskip(NEXT) | instid1(VALU_DEP_1)
	v_or_b32_e32 v5, 0x70000000, v5
	v_mul_f32_e32 v5, 0x7800000, v5
	s_delay_alu instid0(VALU_DEP_1) | instskip(NEXT) | instid1(VALU_DEP_1)
	v_cndmask_b32_e32 v3, v5, v7, vcc_lo
	v_and_or_b32 v1, 0x80000000, v1, v3
	s_delay_alu instid0(VALU_DEP_1)
	v_cvt_i32_f32_e32 v1, v1
.LBB7_1462:
	s_mov_b32 s6, 0
	s_mov_b32 s18, -1
.LBB7_1463:
	s_and_not1_b32 vcc_lo, exec_lo, s6
	s_mov_b32 s7, 0
	s_cbranch_vccnz .LBB7_1474
; %bb.1464:
	s_cmp_gt_i32 s17, 14
	s_cbranch_scc0 .LBB7_1467
; %bb.1465:
	s_cmp_eq_u32 s17, 15
	s_cbranch_scc0 .LBB7_1470
; %bb.1466:
	s_wait_loadcnt 0x0
	global_load_u16 v1, v[8:9], off
	s_mov_b32 s0, 0
	s_mov_b32 s18, -1
	s_wait_loadcnt 0x0
	v_lshlrev_b32_e32 v1, 16, v1
	s_delay_alu instid0(VALU_DEP_1)
	v_cvt_i32_f32_e32 v1, v1
	s_branch .LBB7_1471
.LBB7_1467:
	s_mov_b32 s6, -1
                                        ; implicit-def: $vgpr1
	s_branch .LBB7_1472
.LBB7_1468:
	s_and_not1_saveexec_b32 s6, s6
	s_cbranch_execz .LBB7_1449
.LBB7_1469:
	v_cmp_ne_u16_e32 vcc_lo, 0, v3
	s_and_not1_b32 s7, s7, exec_lo
	s_and_b32 s18, vcc_lo, exec_lo
	s_delay_alu instid0(SALU_CYCLE_1)
	s_or_b32 s7, s7, s18
	s_or_b32 exec_lo, exec_lo, s6
	v_mov_b32_e32 v1, 0
	s_and_saveexec_b32 s6, s7
	s_cbranch_execnz .LBB7_1450
	s_branch .LBB7_1451
.LBB7_1470:
	s_mov_b32 s0, -1
                                        ; implicit-def: $vgpr1
.LBB7_1471:
	s_mov_b32 s6, 0
.LBB7_1472:
	s_delay_alu instid0(SALU_CYCLE_1)
	s_and_b32 vcc_lo, exec_lo, s6
	s_cbranch_vccz .LBB7_1474
; %bb.1473:
	s_cmp_lg_u32 s17, 11
	s_mov_b32 s7, -1
	s_cselect_b32 s0, -1, 0
.LBB7_1474:
	s_delay_alu instid0(SALU_CYCLE_1)
	s_and_b32 vcc_lo, exec_lo, s0
	s_mov_b32 s6, s14
	s_cbranch_vccnz .LBB7_1897
; %bb.1475:
	s_and_not1_b32 vcc_lo, exec_lo, s7
	s_cbranch_vccnz .LBB7_1477
.LBB7_1476:
	s_wait_loadcnt 0x0
	global_load_u8 v1, v[8:9], off
	s_mov_b32 s18, -1
	s_wait_loadcnt 0x0
	v_cmp_ne_u16_e32 vcc_lo, 0, v1
	v_cndmask_b32_e64 v1, 0, 1, vcc_lo
.LBB7_1477:
	s_mov_b32 s0, 0
.LBB7_1478:
	s_delay_alu instid0(SALU_CYCLE_1)
	s_and_b32 vcc_lo, exec_lo, s0
	s_cbranch_vccz .LBB7_1527
; %bb.1479:
	s_cmp_lt_i32 s17, 5
	s_cbranch_scc1 .LBB7_1484
; %bb.1480:
	s_cmp_lt_i32 s17, 8
	s_cbranch_scc1 .LBB7_1485
	;; [unrolled: 3-line block ×3, first 2 shown]
; %bb.1482:
	s_cmp_gt_i32 s17, 9
	s_cbranch_scc0 .LBB7_1487
; %bb.1483:
	global_load_b64 v[10:11], v[8:9], off
	s_mov_b32 s0, 0
	s_wait_loadcnt 0x0
	v_cvt_i32_f64_e32 v1, v[10:11]
	s_branch .LBB7_1488
.LBB7_1484:
	s_mov_b32 s0, -1
                                        ; implicit-def: $vgpr1
	s_branch .LBB7_1506
.LBB7_1485:
	s_mov_b32 s0, -1
                                        ; implicit-def: $vgpr1
	s_branch .LBB7_1494
.LBB7_1486:
	s_mov_b32 s0, -1
                                        ; implicit-def: $vgpr1
	s_branch .LBB7_1491
.LBB7_1487:
	s_mov_b32 s0, -1
                                        ; implicit-def: $vgpr1
.LBB7_1488:
	s_delay_alu instid0(SALU_CYCLE_1)
	s_and_not1_b32 vcc_lo, exec_lo, s0
	s_cbranch_vccnz .LBB7_1490
; %bb.1489:
	s_wait_loadcnt 0x0
	global_load_b32 v1, v[8:9], off
	s_wait_loadcnt 0x0
	v_cvt_i32_f32_e32 v1, v1
.LBB7_1490:
	s_mov_b32 s0, 0
.LBB7_1491:
	s_delay_alu instid0(SALU_CYCLE_1)
	s_and_not1_b32 vcc_lo, exec_lo, s0
	s_cbranch_vccnz .LBB7_1493
; %bb.1492:
	s_wait_loadcnt 0x0
	global_load_b32 v1, v[8:9], off
	s_wait_loadcnt 0x0
	v_cvt_f32_f16_e32 v1, v1
	s_delay_alu instid0(VALU_DEP_1)
	v_cvt_i32_f32_e32 v1, v1
.LBB7_1493:
	s_mov_b32 s0, 0
.LBB7_1494:
	s_delay_alu instid0(SALU_CYCLE_1)
	s_and_not1_b32 vcc_lo, exec_lo, s0
	s_cbranch_vccnz .LBB7_1505
; %bb.1495:
	s_cmp_lt_i32 s17, 6
	s_cbranch_scc1 .LBB7_1498
; %bb.1496:
	s_cmp_gt_i32 s17, 6
	s_cbranch_scc0 .LBB7_1499
; %bb.1497:
	global_load_b64 v[10:11], v[8:9], off
	s_mov_b32 s0, 0
	s_wait_loadcnt 0x0
	v_cvt_i32_f64_e32 v1, v[10:11]
	s_branch .LBB7_1500
.LBB7_1498:
	s_mov_b32 s0, -1
                                        ; implicit-def: $vgpr1
	s_branch .LBB7_1503
.LBB7_1499:
	s_mov_b32 s0, -1
                                        ; implicit-def: $vgpr1
.LBB7_1500:
	s_delay_alu instid0(SALU_CYCLE_1)
	s_and_not1_b32 vcc_lo, exec_lo, s0
	s_cbranch_vccnz .LBB7_1502
; %bb.1501:
	s_wait_loadcnt 0x0
	global_load_b32 v1, v[8:9], off
	s_wait_loadcnt 0x0
	v_cvt_i32_f32_e32 v1, v1
.LBB7_1502:
	s_mov_b32 s0, 0
.LBB7_1503:
	s_delay_alu instid0(SALU_CYCLE_1)
	s_and_not1_b32 vcc_lo, exec_lo, s0
	s_cbranch_vccnz .LBB7_1505
; %bb.1504:
	s_wait_loadcnt 0x0
	global_load_u16 v1, v[8:9], off
	s_wait_loadcnt 0x0
	v_cvt_f32_f16_e32 v1, v1
	s_delay_alu instid0(VALU_DEP_1)
	v_cvt_i32_f32_e32 v1, v1
.LBB7_1505:
	s_mov_b32 s0, 0
.LBB7_1506:
	s_delay_alu instid0(SALU_CYCLE_1)
	s_and_not1_b32 vcc_lo, exec_lo, s0
	s_cbranch_vccnz .LBB7_1526
; %bb.1507:
	s_cmp_lt_i32 s17, 2
	s_cbranch_scc1 .LBB7_1511
; %bb.1508:
	s_cmp_lt_i32 s17, 3
	s_cbranch_scc1 .LBB7_1512
; %bb.1509:
	s_cmp_gt_i32 s17, 3
	s_cbranch_scc0 .LBB7_1513
; %bb.1510:
	s_wait_loadcnt 0x0
	global_load_b32 v1, v[8:9], off
	s_mov_b32 s0, 0
	s_branch .LBB7_1514
.LBB7_1511:
	s_mov_b32 s0, -1
                                        ; implicit-def: $vgpr1
	s_branch .LBB7_1520
.LBB7_1512:
	s_mov_b32 s0, -1
                                        ; implicit-def: $vgpr1
	s_branch .LBB7_1517
.LBB7_1513:
	s_mov_b32 s0, -1
                                        ; implicit-def: $vgpr1
.LBB7_1514:
	s_delay_alu instid0(SALU_CYCLE_1)
	s_and_not1_b32 vcc_lo, exec_lo, s0
	s_cbranch_vccnz .LBB7_1516
; %bb.1515:
	s_wait_loadcnt 0x0
	global_load_b32 v1, v[8:9], off
.LBB7_1516:
	s_mov_b32 s0, 0
.LBB7_1517:
	s_delay_alu instid0(SALU_CYCLE_1)
	s_and_not1_b32 vcc_lo, exec_lo, s0
	s_cbranch_vccnz .LBB7_1519
; %bb.1518:
	s_wait_loadcnt 0x0
	global_load_i16 v1, v[8:9], off
.LBB7_1519:
	s_mov_b32 s0, 0
.LBB7_1520:
	s_delay_alu instid0(SALU_CYCLE_1)
	s_and_not1_b32 vcc_lo, exec_lo, s0
	s_cbranch_vccnz .LBB7_1526
; %bb.1521:
	s_cmp_gt_i32 s17, 0
	s_mov_b32 s0, 0
	s_cbranch_scc0 .LBB7_1523
; %bb.1522:
	s_wait_loadcnt 0x0
	global_load_i8 v1, v[8:9], off
	s_branch .LBB7_1524
.LBB7_1523:
	s_mov_b32 s0, -1
                                        ; implicit-def: $vgpr1
.LBB7_1524:
	s_delay_alu instid0(SALU_CYCLE_1)
	s_and_not1_b32 vcc_lo, exec_lo, s0
	s_cbranch_vccnz .LBB7_1526
; %bb.1525:
	s_wait_loadcnt 0x0
	global_load_u8 v1, v[8:9], off
.LBB7_1526:
	s_mov_b32 s18, -1
.LBB7_1527:
	s_delay_alu instid0(SALU_CYCLE_1)
	s_and_not1_b32 vcc_lo, exec_lo, s18
	s_cbranch_vccnz .LBB7_1578
; %bb.1528:
	s_wait_loadcnt 0x0
	s_delay_alu instid0(VALU_DEP_1) | instskip(SKIP_4) | instid1(SALU_CYCLE_1)
	v_cmp_gt_i32_e32 vcc_lo, s16, v1
	v_cmp_le_i32_e64 s0, s8, v1
	s_or_b32 s0, vcc_lo, s0
	s_wait_xcnt 0x0
	s_and_saveexec_b32 s7, s0
	s_xor_b32 s0, exec_lo, s7
	s_cbranch_execnz .LBB7_1905
.LBB7_1529:
	s_or_saveexec_b32 s7, s0
	s_mov_b32 s8, 0
	s_mov_b32 s16, 0
                                        ; implicit-def: $vgpr14_vgpr15
                                        ; implicit-def: $sgpr0
	s_xor_b32 exec_lo, exec_lo, s7
	s_cbranch_execz .LBB7_1846
; %bb.1530:
	s_load_b32 s0, s[2:3], 0x168
	v_mov_b32_e32 v7, 0
	s_delay_alu instid0(VALU_DEP_1) | instskip(SKIP_2) | instid1(SALU_CYCLE_1)
	v_add_nc_u64_e32 v[6:7], s[4:5], v[6:7]
	s_wait_kmcnt 0x0
	s_and_b32 s0, s0, 0xff
	s_cmp_lt_i32 s0, 11
	s_cbranch_scc1 .LBB7_1579
; %bb.1531:
	s_and_b32 s2, 0xffff, s0
	s_mov_b32 s17, -1
	s_cmp_gt_i32 s2, 25
	s_mov_b32 s3, 0
	s_cbranch_scc0 .LBB7_1556
; %bb.1532:
	s_cmp_gt_i32 s2, 28
	s_cbranch_scc0 .LBB7_1545
; %bb.1533:
	s_cmp_gt_i32 s2, 43
	;; [unrolled: 3-line block ×3, first 2 shown]
	s_cbranch_scc0 .LBB7_1537
; %bb.1535:
	s_mov_b32 s3, -1
	s_mov_b32 s17, 0
	s_cmp_eq_u32 s2, 46
	s_cbranch_scc0 .LBB7_1537
; %bb.1536:
	v_mov_b32_e32 v1, 0
	s_mov_b32 s3, 0
	s_mov_b32 s8, -1
	global_store_b32 v[6:7], v1, off
.LBB7_1537:
	s_and_b32 vcc_lo, exec_lo, s17
	s_cbranch_vccz .LBB7_1540
; %bb.1538:
	s_cmp_eq_u32 s2, 44
	s_mov_b32 s3, -1
	s_cbranch_scc0 .LBB7_1540
; %bb.1539:
	s_wait_xcnt 0x0
	v_mov_b32_e32 v1, 0
	s_mov_b32 s3, 0
	s_mov_b32 s8, -1
	global_store_b8 v[6:7], v1, off
.LBB7_1540:
	s_mov_b32 s17, 0
.LBB7_1541:
	s_delay_alu instid0(SALU_CYCLE_1)
	s_and_b32 vcc_lo, exec_lo, s17
	s_cbranch_vccz .LBB7_1544
; %bb.1542:
	s_cmp_eq_u32 s2, 29
	s_mov_b32 s3, -1
	s_cbranch_scc0 .LBB7_1544
; %bb.1543:
	v_mov_b64_e32 v[8:9], 0
	s_mov_b32 s3, 0
	s_mov_b32 s8, -1
	global_store_b64 v[6:7], v[8:9], off
.LBB7_1544:
	s_mov_b32 s17, 0
.LBB7_1545:
	s_delay_alu instid0(SALU_CYCLE_1)
	s_and_b32 vcc_lo, exec_lo, s17
	s_cbranch_vccz .LBB7_1555
; %bb.1546:
	s_cmp_lt_i32 s2, 27
	s_mov_b32 s8, -1
	s_cbranch_scc1 .LBB7_1552
; %bb.1547:
	s_cmp_gt_i32 s2, 27
	s_cbranch_scc0 .LBB7_1549
; %bb.1548:
	s_wait_xcnt 0x0
	v_mov_b32_e32 v1, 0
	s_mov_b32 s8, 0
	global_store_b32 v[6:7], v1, off
.LBB7_1549:
	s_and_not1_b32 vcc_lo, exec_lo, s8
	s_cbranch_vccnz .LBB7_1551
; %bb.1550:
	s_wait_xcnt 0x0
	v_mov_b32_e32 v1, 0
	global_store_b16 v[6:7], v1, off
.LBB7_1551:
	s_mov_b32 s8, 0
.LBB7_1552:
	s_delay_alu instid0(SALU_CYCLE_1)
	s_and_not1_b32 vcc_lo, exec_lo, s8
	s_cbranch_vccnz .LBB7_1554
; %bb.1553:
	s_wait_xcnt 0x0
	v_mov_b32_e32 v1, 0
	global_store_b8 v[6:7], v1, off
.LBB7_1554:
	s_mov_b32 s8, -1
.LBB7_1555:
	s_mov_b32 s17, 0
.LBB7_1556:
	s_delay_alu instid0(SALU_CYCLE_1)
	s_and_b32 vcc_lo, exec_lo, s17
	s_cbranch_vccz .LBB7_1574
; %bb.1557:
	s_cmp_gt_i32 s2, 22
	s_mov_b32 s16, -1
	s_cbranch_scc0 .LBB7_1567
; %bb.1558:
	s_cmp_lt_i32 s2, 24
	s_mov_b32 s8, -1
	s_cbranch_scc1 .LBB7_1564
; %bb.1559:
	s_cmp_gt_i32 s2, 24
	s_cbranch_scc0 .LBB7_1561
; %bb.1560:
	s_wait_xcnt 0x0
	v_mov_b32_e32 v1, 0
	s_mov_b32 s8, 0
	global_store_b8 v[6:7], v1, off
.LBB7_1561:
	s_and_not1_b32 vcc_lo, exec_lo, s8
	s_cbranch_vccnz .LBB7_1563
; %bb.1562:
	s_wait_xcnt 0x0
	v_mov_b32_e32 v1, 0
	global_store_b8 v[6:7], v1, off
.LBB7_1563:
	s_mov_b32 s8, 0
.LBB7_1564:
	s_delay_alu instid0(SALU_CYCLE_1)
	s_and_not1_b32 vcc_lo, exec_lo, s8
	s_cbranch_vccnz .LBB7_1566
; %bb.1565:
	s_wait_xcnt 0x0
	v_mov_b32_e32 v1, 0
	global_store_b8 v[6:7], v1, off
.LBB7_1566:
	s_mov_b32 s16, 0
	s_mov_b32 s8, -1
.LBB7_1567:
	s_and_not1_b32 vcc_lo, exec_lo, s16
	s_mov_b32 s16, 0
	s_cbranch_vccnz .LBB7_1574
; %bb.1568:
	s_cmp_gt_i32 s2, 14
	s_mov_b32 s16, -1
	s_cbranch_scc0 .LBB7_1572
; %bb.1569:
	s_cmp_eq_u32 s2, 15
	s_mov_b32 s3, -1
	s_cbranch_scc0 .LBB7_1571
; %bb.1570:
	s_wait_xcnt 0x0
	v_mov_b32_e32 v1, 0
	s_mov_b32 s3, 0
	s_mov_b32 s8, -1
	global_store_b16 v[6:7], v1, off
.LBB7_1571:
	s_mov_b32 s16, 0
.LBB7_1572:
	s_delay_alu instid0(SALU_CYCLE_1)
	s_and_b32 vcc_lo, exec_lo, s16
	s_mov_b32 s16, 0
	s_cbranch_vccz .LBB7_1574
; %bb.1573:
	s_cmp_lg_u32 s2, 11
	s_mov_b32 s16, -1
	s_cselect_b32 s3, -1, 0
.LBB7_1574:
	s_delay_alu instid0(SALU_CYCLE_1)
	s_and_b32 vcc_lo, exec_lo, s3
	s_mov_b32 s2, s6
	s_cbranch_vccnz .LBB7_1899
; %bb.1575:
	s_and_not1_b32 vcc_lo, exec_lo, s16
	s_cbranch_vccnz .LBB7_1577
.LBB7_1576:
	s_wait_xcnt 0x0
	v_mov_b32_e32 v1, 0
	s_mov_b32 s8, -1
	global_store_b8 v[6:7], v1, off
.LBB7_1577:
	s_mov_b32 s3, 0
	s_branch .LBB7_1580
.LBB7_1578:
	s_mov_b32 s8, 0
	s_mov_b32 s16, 0
                                        ; implicit-def: $vgpr14_vgpr15
                                        ; implicit-def: $sgpr0
	s_branch .LBB7_1847
.LBB7_1579:
	s_mov_b32 s3, -1
	s_mov_b32 s2, s6
.LBB7_1580:
	s_and_b32 vcc_lo, exec_lo, s3
	s_cbranch_vccz .LBB7_1619
; %bb.1581:
	s_and_b32 s3, 0xffff, s0
	s_mov_b32 s8, -1
	s_cmp_lt_i32 s3, 5
	s_cbranch_scc1 .LBB7_1602
; %bb.1582:
	s_cmp_lt_i32 s3, 8
	s_cbranch_scc1 .LBB7_1592
; %bb.1583:
	;; [unrolled: 3-line block ×3, first 2 shown]
	s_cmp_gt_i32 s3, 9
	s_cbranch_scc0 .LBB7_1586
; %bb.1585:
	s_wait_xcnt 0x0
	v_mov_b32_e32 v8, 0
	s_mov_b32 s8, 0
	s_delay_alu instid0(VALU_DEP_1)
	v_dual_mov_b32 v9, v8 :: v_dual_mov_b32 v10, v8
	v_mov_b32_e32 v11, v8
	global_store_b128 v[6:7], v[8:11], off
.LBB7_1586:
	s_and_not1_b32 vcc_lo, exec_lo, s8
	s_cbranch_vccnz .LBB7_1588
; %bb.1587:
	s_wait_xcnt 0x0
	v_mov_b64_e32 v[8:9], 0
	global_store_b64 v[6:7], v[8:9], off
.LBB7_1588:
	s_mov_b32 s8, 0
.LBB7_1589:
	s_delay_alu instid0(SALU_CYCLE_1)
	s_and_not1_b32 vcc_lo, exec_lo, s8
	s_cbranch_vccnz .LBB7_1591
; %bb.1590:
	s_wait_xcnt 0x0
	v_mov_b32_e32 v1, 0
	global_store_b32 v[6:7], v1, off
.LBB7_1591:
	s_mov_b32 s8, 0
.LBB7_1592:
	s_delay_alu instid0(SALU_CYCLE_1)
	s_and_not1_b32 vcc_lo, exec_lo, s8
	s_cbranch_vccnz .LBB7_1601
; %bb.1593:
	s_cmp_lt_i32 s3, 6
	s_mov_b32 s8, -1
	s_cbranch_scc1 .LBB7_1599
; %bb.1594:
	s_cmp_gt_i32 s3, 6
	s_cbranch_scc0 .LBB7_1596
; %bb.1595:
	s_wait_xcnt 0x0
	v_mov_b64_e32 v[8:9], 0
	s_mov_b32 s8, 0
	global_store_b64 v[6:7], v[8:9], off
.LBB7_1596:
	s_and_not1_b32 vcc_lo, exec_lo, s8
	s_cbranch_vccnz .LBB7_1598
; %bb.1597:
	s_wait_xcnt 0x0
	v_mov_b32_e32 v1, 0
	global_store_b32 v[6:7], v1, off
.LBB7_1598:
	s_mov_b32 s8, 0
.LBB7_1599:
	s_delay_alu instid0(SALU_CYCLE_1)
	s_and_not1_b32 vcc_lo, exec_lo, s8
	s_cbranch_vccnz .LBB7_1601
; %bb.1600:
	s_wait_xcnt 0x0
	v_mov_b32_e32 v1, 0
	global_store_b16 v[6:7], v1, off
.LBB7_1601:
	s_mov_b32 s8, 0
.LBB7_1602:
	s_delay_alu instid0(SALU_CYCLE_1)
	s_and_not1_b32 vcc_lo, exec_lo, s8
	s_cbranch_vccnz .LBB7_1618
; %bb.1603:
	s_cmp_lt_i32 s3, 2
	s_mov_b32 s8, -1
	s_cbranch_scc1 .LBB7_1613
; %bb.1604:
	s_cmp_lt_i32 s3, 3
	s_cbranch_scc1 .LBB7_1610
; %bb.1605:
	s_cmp_gt_i32 s3, 3
	s_cbranch_scc0 .LBB7_1607
; %bb.1606:
	s_wait_xcnt 0x0
	v_mov_b64_e32 v[8:9], 0
	s_mov_b32 s8, 0
	global_store_b64 v[6:7], v[8:9], off
.LBB7_1607:
	s_and_not1_b32 vcc_lo, exec_lo, s8
	s_cbranch_vccnz .LBB7_1609
; %bb.1608:
	s_wait_xcnt 0x0
	v_mov_b32_e32 v1, 0
	global_store_b32 v[6:7], v1, off
.LBB7_1609:
	s_mov_b32 s8, 0
.LBB7_1610:
	s_delay_alu instid0(SALU_CYCLE_1)
	s_and_not1_b32 vcc_lo, exec_lo, s8
	s_cbranch_vccnz .LBB7_1612
; %bb.1611:
	s_wait_xcnt 0x0
	v_mov_b32_e32 v1, 0
	global_store_b16 v[6:7], v1, off
.LBB7_1612:
	s_mov_b32 s8, 0
.LBB7_1613:
	s_delay_alu instid0(SALU_CYCLE_1)
	s_and_not1_b32 vcc_lo, exec_lo, s8
	s_cbranch_vccnz .LBB7_1618
; %bb.1614:
	s_cmp_gt_i32 s3, 0
	s_mov_b32 s3, -1
	s_cbranch_scc0 .LBB7_1616
; %bb.1615:
	s_wait_xcnt 0x0
	v_mov_b32_e32 v1, 0
	s_mov_b32 s3, 0
	global_store_b8 v[6:7], v1, off
.LBB7_1616:
	s_and_not1_b32 vcc_lo, exec_lo, s3
	s_cbranch_vccnz .LBB7_1618
; %bb.1617:
	s_wait_xcnt 0x0
	v_mov_b32_e32 v1, 0
	global_store_b8 v[6:7], v1, off
.LBB7_1618:
	s_mov_b32 s8, -1
.LBB7_1619:
	s_delay_alu instid0(SALU_CYCLE_1)
	s_and_not1_b32 vcc_lo, exec_lo, s8
	s_cbranch_vccnz .LBB7_1844
; %bb.1620:
	v_mov_b32_e32 v5, 0
	s_and_b32 s3, 0xffff, s0
	s_delay_alu instid0(SALU_CYCLE_1) | instskip(NEXT) | instid1(VALU_DEP_1)
	s_cmp_lt_i32 s3, 11
	v_add_nc_u64_e32 v[4:5], s[4:5], v[4:5]
	s_cbranch_scc1 .LBB7_1668
; %bb.1621:
	s_mov_b32 s18, -1
	s_mov_b32 s17, 0
	s_cmp_gt_i32 s3, 25
	s_mov_b32 s16, 0
	s_mov_b32 s8, 0
	s_cbranch_scc0 .LBB7_1646
; %bb.1622:
	s_cmp_gt_i32 s3, 28
	s_cbranch_scc0 .LBB7_1635
; %bb.1623:
	s_cmp_gt_i32 s3, 43
	;; [unrolled: 3-line block ×3, first 2 shown]
	s_cbranch_scc0 .LBB7_1627
; %bb.1625:
	s_mov_b32 s8, -1
	s_mov_b32 s18, 0
	s_cmp_eq_u32 s3, 46
	s_cbranch_scc0 .LBB7_1627
; %bb.1626:
	s_wait_xcnt 0x0
	v_mov_b32_e32 v1, 0
	s_mov_b32 s8, 0
	s_mov_b32 s16, -1
	global_store_b32 v[4:5], v1, off
.LBB7_1627:
	s_and_b32 vcc_lo, exec_lo, s18
	s_cbranch_vccz .LBB7_1630
; %bb.1628:
	s_cmp_eq_u32 s3, 44
	s_mov_b32 s8, -1
	s_cbranch_scc0 .LBB7_1630
; %bb.1629:
	s_wait_xcnt 0x0
	v_mov_b32_e32 v1, 0
	s_mov_b32 s8, 0
	s_mov_b32 s16, -1
	global_store_b8 v[4:5], v1, off
.LBB7_1630:
	s_mov_b32 s18, 0
.LBB7_1631:
	s_delay_alu instid0(SALU_CYCLE_1)
	s_and_b32 vcc_lo, exec_lo, s18
	s_cbranch_vccz .LBB7_1634
; %bb.1632:
	s_cmp_eq_u32 s3, 29
	s_mov_b32 s8, -1
	s_cbranch_scc0 .LBB7_1634
; %bb.1633:
	s_wait_xcnt 0x0
	v_mov_b64_e32 v[6:7], 0
	s_mov_b32 s8, 0
	s_mov_b32 s16, -1
	global_store_b64 v[4:5], v[6:7], off
.LBB7_1634:
	s_mov_b32 s18, 0
.LBB7_1635:
	s_delay_alu instid0(SALU_CYCLE_1)
	s_and_b32 vcc_lo, exec_lo, s18
	s_cbranch_vccz .LBB7_1645
; %bb.1636:
	s_cmp_lt_i32 s3, 27
	s_mov_b32 s16, -1
	s_cbranch_scc1 .LBB7_1642
; %bb.1637:
	s_cmp_gt_i32 s3, 27
	s_cbranch_scc0 .LBB7_1639
; %bb.1638:
	s_wait_xcnt 0x0
	v_mov_b32_e32 v1, 0
	s_mov_b32 s16, 0
	global_store_b32 v[4:5], v1, off
.LBB7_1639:
	s_and_not1_b32 vcc_lo, exec_lo, s16
	s_cbranch_vccnz .LBB7_1641
; %bb.1640:
	s_wait_xcnt 0x0
	v_mov_b32_e32 v1, 0
	global_store_b16 v[4:5], v1, off
.LBB7_1641:
	s_mov_b32 s16, 0
.LBB7_1642:
	s_delay_alu instid0(SALU_CYCLE_1)
	s_and_not1_b32 vcc_lo, exec_lo, s16
	s_cbranch_vccnz .LBB7_1644
; %bb.1643:
	s_wait_xcnt 0x0
	v_mov_b32_e32 v1, 0
	global_store_b8 v[4:5], v1, off
.LBB7_1644:
	s_mov_b32 s16, -1
.LBB7_1645:
	s_mov_b32 s18, 0
.LBB7_1646:
	s_delay_alu instid0(SALU_CYCLE_1)
	s_and_b32 vcc_lo, exec_lo, s18
	s_cbranch_vccz .LBB7_1664
; %bb.1647:
	s_cmp_gt_i32 s3, 22
	s_mov_b32 s17, -1
	s_cbranch_scc0 .LBB7_1657
; %bb.1648:
	s_cmp_lt_i32 s3, 24
	s_mov_b32 s16, -1
	s_cbranch_scc1 .LBB7_1654
; %bb.1649:
	s_cmp_gt_i32 s3, 24
	s_cbranch_scc0 .LBB7_1651
; %bb.1650:
	s_wait_xcnt 0x0
	v_mov_b32_e32 v1, 0
	s_mov_b32 s16, 0
	global_store_b8 v[4:5], v1, off
.LBB7_1651:
	s_and_not1_b32 vcc_lo, exec_lo, s16
	s_cbranch_vccnz .LBB7_1653
; %bb.1652:
	s_wait_xcnt 0x0
	v_mov_b32_e32 v1, 0
	global_store_b8 v[4:5], v1, off
.LBB7_1653:
	s_mov_b32 s16, 0
.LBB7_1654:
	s_delay_alu instid0(SALU_CYCLE_1)
	s_and_not1_b32 vcc_lo, exec_lo, s16
	s_cbranch_vccnz .LBB7_1656
; %bb.1655:
	s_wait_xcnt 0x0
	v_mov_b32_e32 v1, 0
	global_store_b8 v[4:5], v1, off
.LBB7_1656:
	s_mov_b32 s17, 0
	s_mov_b32 s16, -1
.LBB7_1657:
	s_and_not1_b32 vcc_lo, exec_lo, s17
	s_mov_b32 s17, 0
	s_cbranch_vccnz .LBB7_1664
; %bb.1658:
	s_cmp_gt_i32 s3, 14
	s_mov_b32 s17, -1
	s_cbranch_scc0 .LBB7_1662
; %bb.1659:
	s_cmp_eq_u32 s3, 15
	s_mov_b32 s8, -1
	s_cbranch_scc0 .LBB7_1661
; %bb.1660:
	s_wait_xcnt 0x0
	v_mov_b32_e32 v1, 0
	s_mov_b32 s8, 0
	s_mov_b32 s16, -1
	global_store_b16 v[4:5], v1, off
.LBB7_1661:
	s_mov_b32 s17, 0
.LBB7_1662:
	s_delay_alu instid0(SALU_CYCLE_1)
	s_and_b32 vcc_lo, exec_lo, s17
	s_mov_b32 s17, 0
	s_cbranch_vccz .LBB7_1664
; %bb.1663:
	s_cmp_lg_u32 s3, 11
	s_mov_b32 s17, -1
	s_cselect_b32 s8, -1, 0
.LBB7_1664:
	s_delay_alu instid0(SALU_CYCLE_1)
	s_and_b32 vcc_lo, exec_lo, s8
	s_cbranch_vccnz .LBB7_1901
; %bb.1665:
	s_and_not1_b32 vcc_lo, exec_lo, s17
	s_cbranch_vccnz .LBB7_1667
.LBB7_1666:
	s_wait_xcnt 0x0
	v_mov_b32_e32 v1, 0
	s_mov_b32 s16, -1
	global_store_b8 v[4:5], v1, off
.LBB7_1667:
	s_mov_b32 s8, 0
	s_branch .LBB7_1669
.LBB7_1668:
	s_mov_b32 s8, -1
	s_mov_b32 s16, 0
.LBB7_1669:
	s_and_b32 vcc_lo, exec_lo, s8
	s_cbranch_vccz .LBB7_1708
; %bb.1670:
	s_cmp_lt_i32 s3, 5
	s_mov_b32 s8, -1
	s_cbranch_scc1 .LBB7_1691
; %bb.1671:
	s_cmp_lt_i32 s3, 8
	s_cbranch_scc1 .LBB7_1681
; %bb.1672:
	s_cmp_lt_i32 s3, 9
	s_cbranch_scc1 .LBB7_1678
; %bb.1673:
	s_cmp_gt_i32 s3, 9
	s_cbranch_scc0 .LBB7_1675
; %bb.1674:
	s_wait_xcnt 0x0
	v_mov_b32_e32 v6, 0
	s_mov_b32 s8, 0
	s_delay_alu instid0(VALU_DEP_1)
	v_dual_mov_b32 v7, v6 :: v_dual_mov_b32 v8, v6
	v_mov_b32_e32 v9, v6
	global_store_b128 v[4:5], v[6:9], off
.LBB7_1675:
	s_and_not1_b32 vcc_lo, exec_lo, s8
	s_cbranch_vccnz .LBB7_1677
; %bb.1676:
	s_wait_xcnt 0x0
	v_mov_b64_e32 v[6:7], 0
	global_store_b64 v[4:5], v[6:7], off
.LBB7_1677:
	s_mov_b32 s8, 0
.LBB7_1678:
	s_delay_alu instid0(SALU_CYCLE_1)
	s_and_not1_b32 vcc_lo, exec_lo, s8
	s_cbranch_vccnz .LBB7_1680
; %bb.1679:
	s_wait_xcnt 0x0
	v_mov_b32_e32 v1, 0
	global_store_b32 v[4:5], v1, off
.LBB7_1680:
	s_mov_b32 s8, 0
.LBB7_1681:
	s_delay_alu instid0(SALU_CYCLE_1)
	s_and_not1_b32 vcc_lo, exec_lo, s8
	s_cbranch_vccnz .LBB7_1690
; %bb.1682:
	s_cmp_lt_i32 s3, 6
	s_mov_b32 s8, -1
	s_cbranch_scc1 .LBB7_1688
; %bb.1683:
	s_cmp_gt_i32 s3, 6
	s_cbranch_scc0 .LBB7_1685
; %bb.1684:
	s_wait_xcnt 0x0
	v_mov_b64_e32 v[6:7], 0
	s_mov_b32 s8, 0
	global_store_b64 v[4:5], v[6:7], off
.LBB7_1685:
	s_and_not1_b32 vcc_lo, exec_lo, s8
	s_cbranch_vccnz .LBB7_1687
; %bb.1686:
	s_wait_xcnt 0x0
	v_mov_b32_e32 v1, 0
	global_store_b32 v[4:5], v1, off
.LBB7_1687:
	s_mov_b32 s8, 0
.LBB7_1688:
	s_delay_alu instid0(SALU_CYCLE_1)
	s_and_not1_b32 vcc_lo, exec_lo, s8
	s_cbranch_vccnz .LBB7_1690
; %bb.1689:
	s_wait_xcnt 0x0
	v_mov_b32_e32 v1, 0
	global_store_b16 v[4:5], v1, off
.LBB7_1690:
	s_mov_b32 s8, 0
.LBB7_1691:
	s_delay_alu instid0(SALU_CYCLE_1)
	s_and_not1_b32 vcc_lo, exec_lo, s8
	s_cbranch_vccnz .LBB7_1707
; %bb.1692:
	s_cmp_lt_i32 s3, 2
	s_mov_b32 s8, -1
	s_cbranch_scc1 .LBB7_1702
; %bb.1693:
	s_cmp_lt_i32 s3, 3
	s_cbranch_scc1 .LBB7_1699
; %bb.1694:
	s_cmp_gt_i32 s3, 3
	s_cbranch_scc0 .LBB7_1696
; %bb.1695:
	s_wait_xcnt 0x0
	v_mov_b64_e32 v[6:7], 0
	s_mov_b32 s8, 0
	global_store_b64 v[4:5], v[6:7], off
.LBB7_1696:
	s_and_not1_b32 vcc_lo, exec_lo, s8
	s_cbranch_vccnz .LBB7_1698
; %bb.1697:
	s_wait_xcnt 0x0
	v_mov_b32_e32 v1, 0
	global_store_b32 v[4:5], v1, off
.LBB7_1698:
	s_mov_b32 s8, 0
.LBB7_1699:
	s_delay_alu instid0(SALU_CYCLE_1)
	s_and_not1_b32 vcc_lo, exec_lo, s8
	s_cbranch_vccnz .LBB7_1701
; %bb.1700:
	s_wait_xcnt 0x0
	v_mov_b32_e32 v1, 0
	global_store_b16 v[4:5], v1, off
.LBB7_1701:
	s_mov_b32 s8, 0
.LBB7_1702:
	s_delay_alu instid0(SALU_CYCLE_1)
	s_and_not1_b32 vcc_lo, exec_lo, s8
	s_cbranch_vccnz .LBB7_1707
; %bb.1703:
	s_cmp_gt_i32 s3, 0
	s_mov_b32 s8, -1
	s_cbranch_scc0 .LBB7_1705
; %bb.1704:
	s_wait_xcnt 0x0
	v_mov_b32_e32 v1, 0
	s_mov_b32 s8, 0
	global_store_b8 v[4:5], v1, off
.LBB7_1705:
	s_and_not1_b32 vcc_lo, exec_lo, s8
	s_cbranch_vccnz .LBB7_1707
; %bb.1706:
	s_wait_xcnt 0x0
	v_mov_b32_e32 v1, 0
	global_store_b8 v[4:5], v1, off
.LBB7_1707:
	s_mov_b32 s16, -1
.LBB7_1708:
	s_delay_alu instid0(SALU_CYCLE_1)
	s_and_not1_b32 vcc_lo, exec_lo, s16
	s_cbranch_vccnz .LBB7_1844
; %bb.1709:
	v_mov_b32_e32 v3, 0
	s_cmp_lt_i32 s3, 11
	s_delay_alu instid0(VALU_DEP_1)
	v_add_nc_u64_e32 v[2:3], s[4:5], v[2:3]
	s_cbranch_scc1 .LBB7_1757
; %bb.1710:
	s_mov_b32 s18, -1
	s_mov_b32 s17, 0
	s_cmp_gt_i32 s3, 25
	s_mov_b32 s16, 0
	s_mov_b32 s8, 0
	s_cbranch_scc0 .LBB7_1735
; %bb.1711:
	s_cmp_gt_i32 s3, 28
	s_cbranch_scc0 .LBB7_1724
; %bb.1712:
	s_cmp_gt_i32 s3, 43
	;; [unrolled: 3-line block ×3, first 2 shown]
	s_cbranch_scc0 .LBB7_1716
; %bb.1714:
	s_mov_b32 s8, -1
	s_mov_b32 s18, 0
	s_cmp_eq_u32 s3, 46
	s_cbranch_scc0 .LBB7_1716
; %bb.1715:
	s_wait_xcnt 0x0
	v_mov_b32_e32 v1, 0
	s_mov_b32 s8, 0
	s_mov_b32 s16, -1
	global_store_b32 v[2:3], v1, off
.LBB7_1716:
	s_and_b32 vcc_lo, exec_lo, s18
	s_cbranch_vccz .LBB7_1719
; %bb.1717:
	s_cmp_eq_u32 s3, 44
	s_mov_b32 s8, -1
	s_cbranch_scc0 .LBB7_1719
; %bb.1718:
	s_wait_xcnt 0x0
	v_mov_b32_e32 v1, 0
	s_mov_b32 s8, 0
	s_mov_b32 s16, -1
	global_store_b8 v[2:3], v1, off
.LBB7_1719:
	s_mov_b32 s18, 0
.LBB7_1720:
	s_delay_alu instid0(SALU_CYCLE_1)
	s_and_b32 vcc_lo, exec_lo, s18
	s_cbranch_vccz .LBB7_1723
; %bb.1721:
	s_cmp_eq_u32 s3, 29
	s_mov_b32 s8, -1
	s_cbranch_scc0 .LBB7_1723
; %bb.1722:
	s_wait_xcnt 0x0
	v_mov_b64_e32 v[4:5], 0
	s_mov_b32 s8, 0
	s_mov_b32 s16, -1
	global_store_b64 v[2:3], v[4:5], off
.LBB7_1723:
	s_mov_b32 s18, 0
.LBB7_1724:
	s_delay_alu instid0(SALU_CYCLE_1)
	s_and_b32 vcc_lo, exec_lo, s18
	s_cbranch_vccz .LBB7_1734
; %bb.1725:
	s_cmp_lt_i32 s3, 27
	s_mov_b32 s16, -1
	s_cbranch_scc1 .LBB7_1731
; %bb.1726:
	s_cmp_gt_i32 s3, 27
	s_cbranch_scc0 .LBB7_1728
; %bb.1727:
	s_wait_xcnt 0x0
	v_mov_b32_e32 v1, 0
	s_mov_b32 s16, 0
	global_store_b32 v[2:3], v1, off
.LBB7_1728:
	s_and_not1_b32 vcc_lo, exec_lo, s16
	s_cbranch_vccnz .LBB7_1730
; %bb.1729:
	s_wait_xcnt 0x0
	v_mov_b32_e32 v1, 0
	global_store_b16 v[2:3], v1, off
.LBB7_1730:
	s_mov_b32 s16, 0
.LBB7_1731:
	s_delay_alu instid0(SALU_CYCLE_1)
	s_and_not1_b32 vcc_lo, exec_lo, s16
	s_cbranch_vccnz .LBB7_1733
; %bb.1732:
	s_wait_xcnt 0x0
	v_mov_b32_e32 v1, 0
	global_store_b8 v[2:3], v1, off
.LBB7_1733:
	s_mov_b32 s16, -1
.LBB7_1734:
	s_mov_b32 s18, 0
.LBB7_1735:
	s_delay_alu instid0(SALU_CYCLE_1)
	s_and_b32 vcc_lo, exec_lo, s18
	s_cbranch_vccz .LBB7_1753
; %bb.1736:
	s_cmp_gt_i32 s3, 22
	s_mov_b32 s17, -1
	s_cbranch_scc0 .LBB7_1746
; %bb.1737:
	s_cmp_lt_i32 s3, 24
	s_mov_b32 s16, -1
	s_cbranch_scc1 .LBB7_1743
; %bb.1738:
	s_cmp_gt_i32 s3, 24
	s_cbranch_scc0 .LBB7_1740
; %bb.1739:
	s_wait_xcnt 0x0
	v_mov_b32_e32 v1, 0
	s_mov_b32 s16, 0
	global_store_b8 v[2:3], v1, off
.LBB7_1740:
	s_and_not1_b32 vcc_lo, exec_lo, s16
	s_cbranch_vccnz .LBB7_1742
; %bb.1741:
	s_wait_xcnt 0x0
	v_mov_b32_e32 v1, 0
	global_store_b8 v[2:3], v1, off
.LBB7_1742:
	s_mov_b32 s16, 0
.LBB7_1743:
	s_delay_alu instid0(SALU_CYCLE_1)
	s_and_not1_b32 vcc_lo, exec_lo, s16
	s_cbranch_vccnz .LBB7_1745
; %bb.1744:
	s_wait_xcnt 0x0
	v_mov_b32_e32 v1, 0
	global_store_b8 v[2:3], v1, off
.LBB7_1745:
	s_mov_b32 s17, 0
	s_mov_b32 s16, -1
.LBB7_1746:
	s_and_not1_b32 vcc_lo, exec_lo, s17
	s_mov_b32 s17, 0
	s_cbranch_vccnz .LBB7_1753
; %bb.1747:
	s_cmp_gt_i32 s3, 14
	s_mov_b32 s17, -1
	s_cbranch_scc0 .LBB7_1751
; %bb.1748:
	s_cmp_eq_u32 s3, 15
	s_mov_b32 s8, -1
	s_cbranch_scc0 .LBB7_1750
; %bb.1749:
	s_wait_xcnt 0x0
	v_mov_b32_e32 v1, 0
	s_mov_b32 s8, 0
	s_mov_b32 s16, -1
	global_store_b16 v[2:3], v1, off
.LBB7_1750:
	s_mov_b32 s17, 0
.LBB7_1751:
	s_delay_alu instid0(SALU_CYCLE_1)
	s_and_b32 vcc_lo, exec_lo, s17
	s_mov_b32 s17, 0
	s_cbranch_vccz .LBB7_1753
; %bb.1752:
	s_cmp_lg_u32 s3, 11
	s_mov_b32 s17, -1
	s_cselect_b32 s8, -1, 0
.LBB7_1753:
	s_delay_alu instid0(SALU_CYCLE_1)
	s_and_b32 vcc_lo, exec_lo, s8
	s_cbranch_vccnz .LBB7_1902
; %bb.1754:
	s_and_not1_b32 vcc_lo, exec_lo, s17
	s_cbranch_vccnz .LBB7_1756
.LBB7_1755:
	s_wait_xcnt 0x0
	v_mov_b32_e32 v1, 0
	s_mov_b32 s16, -1
	global_store_b8 v[2:3], v1, off
.LBB7_1756:
	s_mov_b32 s8, 0
	s_branch .LBB7_1758
.LBB7_1757:
	s_mov_b32 s8, -1
	s_mov_b32 s16, 0
.LBB7_1758:
	s_and_b32 vcc_lo, exec_lo, s8
	s_cbranch_vccz .LBB7_1797
; %bb.1759:
	s_cmp_lt_i32 s3, 5
	s_mov_b32 s8, -1
	s_cbranch_scc1 .LBB7_1780
; %bb.1760:
	s_cmp_lt_i32 s3, 8
	s_cbranch_scc1 .LBB7_1770
; %bb.1761:
	s_cmp_lt_i32 s3, 9
	s_cbranch_scc1 .LBB7_1767
; %bb.1762:
	s_cmp_gt_i32 s3, 9
	s_cbranch_scc0 .LBB7_1764
; %bb.1763:
	s_wait_xcnt 0x0
	v_mov_b32_e32 v4, 0
	s_mov_b32 s8, 0
	s_delay_alu instid0(VALU_DEP_1)
	v_dual_mov_b32 v5, v4 :: v_dual_mov_b32 v6, v4
	v_mov_b32_e32 v7, v4
	global_store_b128 v[2:3], v[4:7], off
.LBB7_1764:
	s_and_not1_b32 vcc_lo, exec_lo, s8
	s_cbranch_vccnz .LBB7_1766
; %bb.1765:
	s_wait_xcnt 0x0
	v_mov_b64_e32 v[4:5], 0
	global_store_b64 v[2:3], v[4:5], off
.LBB7_1766:
	s_mov_b32 s8, 0
.LBB7_1767:
	s_delay_alu instid0(SALU_CYCLE_1)
	s_and_not1_b32 vcc_lo, exec_lo, s8
	s_cbranch_vccnz .LBB7_1769
; %bb.1768:
	s_wait_xcnt 0x0
	v_mov_b32_e32 v1, 0
	global_store_b32 v[2:3], v1, off
.LBB7_1769:
	s_mov_b32 s8, 0
.LBB7_1770:
	s_delay_alu instid0(SALU_CYCLE_1)
	s_and_not1_b32 vcc_lo, exec_lo, s8
	s_cbranch_vccnz .LBB7_1779
; %bb.1771:
	s_cmp_lt_i32 s3, 6
	s_mov_b32 s8, -1
	s_cbranch_scc1 .LBB7_1777
; %bb.1772:
	s_cmp_gt_i32 s3, 6
	s_cbranch_scc0 .LBB7_1774
; %bb.1773:
	s_wait_xcnt 0x0
	v_mov_b64_e32 v[4:5], 0
	s_mov_b32 s8, 0
	global_store_b64 v[2:3], v[4:5], off
.LBB7_1774:
	s_and_not1_b32 vcc_lo, exec_lo, s8
	s_cbranch_vccnz .LBB7_1776
; %bb.1775:
	s_wait_xcnt 0x0
	v_mov_b32_e32 v1, 0
	global_store_b32 v[2:3], v1, off
.LBB7_1776:
	s_mov_b32 s8, 0
.LBB7_1777:
	s_delay_alu instid0(SALU_CYCLE_1)
	s_and_not1_b32 vcc_lo, exec_lo, s8
	s_cbranch_vccnz .LBB7_1779
; %bb.1778:
	s_wait_xcnt 0x0
	v_mov_b32_e32 v1, 0
	global_store_b16 v[2:3], v1, off
.LBB7_1779:
	s_mov_b32 s8, 0
.LBB7_1780:
	s_delay_alu instid0(SALU_CYCLE_1)
	s_and_not1_b32 vcc_lo, exec_lo, s8
	s_cbranch_vccnz .LBB7_1796
; %bb.1781:
	s_cmp_lt_i32 s3, 2
	s_mov_b32 s8, -1
	s_cbranch_scc1 .LBB7_1791
; %bb.1782:
	s_cmp_lt_i32 s3, 3
	s_cbranch_scc1 .LBB7_1788
; %bb.1783:
	s_cmp_gt_i32 s3, 3
	s_cbranch_scc0 .LBB7_1785
; %bb.1784:
	s_wait_xcnt 0x0
	v_mov_b64_e32 v[4:5], 0
	s_mov_b32 s8, 0
	global_store_b64 v[2:3], v[4:5], off
.LBB7_1785:
	s_and_not1_b32 vcc_lo, exec_lo, s8
	s_cbranch_vccnz .LBB7_1787
; %bb.1786:
	s_wait_xcnt 0x0
	v_mov_b32_e32 v1, 0
	global_store_b32 v[2:3], v1, off
.LBB7_1787:
	s_mov_b32 s8, 0
.LBB7_1788:
	s_delay_alu instid0(SALU_CYCLE_1)
	s_and_not1_b32 vcc_lo, exec_lo, s8
	s_cbranch_vccnz .LBB7_1790
; %bb.1789:
	s_wait_xcnt 0x0
	v_mov_b32_e32 v1, 0
	global_store_b16 v[2:3], v1, off
.LBB7_1790:
	s_mov_b32 s8, 0
.LBB7_1791:
	s_delay_alu instid0(SALU_CYCLE_1)
	s_and_not1_b32 vcc_lo, exec_lo, s8
	s_cbranch_vccnz .LBB7_1796
; %bb.1792:
	s_cmp_gt_i32 s3, 0
	s_mov_b32 s8, -1
	s_cbranch_scc0 .LBB7_1794
; %bb.1793:
	s_wait_xcnt 0x0
	v_mov_b32_e32 v1, 0
	s_mov_b32 s8, 0
	global_store_b8 v[2:3], v1, off
.LBB7_1794:
	s_and_not1_b32 vcc_lo, exec_lo, s8
	s_cbranch_vccnz .LBB7_1796
; %bb.1795:
	s_wait_xcnt 0x0
	v_mov_b32_e32 v1, 0
	global_store_b8 v[2:3], v1, off
.LBB7_1796:
	s_mov_b32 s16, -1
.LBB7_1797:
	s_delay_alu instid0(SALU_CYCLE_1)
	s_and_not1_b32 vcc_lo, exec_lo, s16
	s_cbranch_vccnz .LBB7_1844
; %bb.1798:
	s_wait_xcnt 0x0
	v_mov_b32_e32 v1, 0
	s_cmp_lt_i32 s3, 11
	s_delay_alu instid0(VALU_DEP_1)
	v_add_nc_u64_e32 v[14:15], s[4:5], v[0:1]
	s_cbranch_scc1 .LBB7_1898
; %bb.1799:
	s_mov_b32 s8, -1
	s_mov_b32 s4, 0
	s_cmp_gt_i32 s3, 25
	s_mov_b32 s5, 0
	s_cbranch_scc0 .LBB7_1824
; %bb.1800:
	s_cmp_gt_i32 s3, 28
	s_cbranch_scc0 .LBB7_1814
; %bb.1801:
	s_cmp_gt_i32 s3, 43
	;; [unrolled: 3-line block ×3, first 2 shown]
	s_cbranch_scc0 .LBB7_1806
; %bb.1803:
	s_cmp_eq_u32 s3, 46
	s_mov_b32 s5, -1
	s_cbranch_scc0 .LBB7_1805
; %bb.1804:
	v_mov_b32_e32 v0, 0
	s_mov_b32 s5, 0
	global_store_b32 v[14:15], v0, off
.LBB7_1805:
	s_mov_b32 s8, 0
.LBB7_1806:
	s_delay_alu instid0(SALU_CYCLE_1)
	s_and_b32 vcc_lo, exec_lo, s8
	s_cbranch_vccz .LBB7_1809
; %bb.1807:
	s_cmp_eq_u32 s3, 44
	s_mov_b32 s5, -1
	s_cbranch_scc0 .LBB7_1809
; %bb.1808:
	s_wait_xcnt 0x0
	v_mov_b32_e32 v0, 0
	s_mov_b32 s5, 0
	global_store_b8 v[14:15], v0, off
.LBB7_1809:
	s_mov_b32 s8, 0
.LBB7_1810:
	s_delay_alu instid0(SALU_CYCLE_1)
	s_and_b32 vcc_lo, exec_lo, s8
	s_cbranch_vccz .LBB7_1813
; %bb.1811:
	s_cmp_eq_u32 s3, 29
	s_mov_b32 s5, -1
	s_cbranch_scc0 .LBB7_1813
; %bb.1812:
	s_wait_xcnt 0x0
	v_mov_b64_e32 v[0:1], 0
	s_mov_b32 s5, 0
	global_store_b64 v[14:15], v[0:1], off
.LBB7_1813:
	s_mov_b32 s8, 0
.LBB7_1814:
	s_delay_alu instid0(SALU_CYCLE_1)
	s_and_b32 vcc_lo, exec_lo, s8
	s_cbranch_vccz .LBB7_1823
; %bb.1815:
	s_cmp_lt_i32 s3, 27
	s_mov_b32 s8, -1
	s_cbranch_scc1 .LBB7_1821
; %bb.1816:
	s_cmp_gt_i32 s3, 27
	s_cbranch_scc0 .LBB7_1818
; %bb.1817:
	s_wait_xcnt 0x0
	v_mov_b32_e32 v0, 0
	s_mov_b32 s8, 0
	global_store_b32 v[14:15], v0, off
.LBB7_1818:
	s_and_not1_b32 vcc_lo, exec_lo, s8
	s_cbranch_vccnz .LBB7_1820
; %bb.1819:
	s_wait_xcnt 0x0
	v_mov_b32_e32 v0, 0
	global_store_b16 v[14:15], v0, off
.LBB7_1820:
	s_mov_b32 s8, 0
.LBB7_1821:
	s_delay_alu instid0(SALU_CYCLE_1)
	s_and_not1_b32 vcc_lo, exec_lo, s8
	s_cbranch_vccnz .LBB7_1823
; %bb.1822:
	s_wait_xcnt 0x0
	v_mov_b32_e32 v0, 0
	global_store_b8 v[14:15], v0, off
.LBB7_1823:
	s_mov_b32 s8, 0
.LBB7_1824:
	s_delay_alu instid0(SALU_CYCLE_1)
	s_and_b32 vcc_lo, exec_lo, s8
	s_cbranch_vccz .LBB7_1842
; %bb.1825:
	s_cmp_gt_i32 s3, 22
	s_mov_b32 s4, -1
	s_cbranch_scc0 .LBB7_1835
; %bb.1826:
	s_cmp_lt_i32 s3, 24
	s_cbranch_scc1 .LBB7_1832
; %bb.1827:
	s_cmp_gt_i32 s3, 24
	s_cbranch_scc0 .LBB7_1829
; %bb.1828:
	s_wait_xcnt 0x0
	v_mov_b32_e32 v0, 0
	s_mov_b32 s4, 0
	global_store_b8 v[14:15], v0, off
.LBB7_1829:
	s_and_not1_b32 vcc_lo, exec_lo, s4
	s_cbranch_vccnz .LBB7_1831
; %bb.1830:
	s_wait_xcnt 0x0
	v_mov_b32_e32 v0, 0
	global_store_b8 v[14:15], v0, off
.LBB7_1831:
	s_mov_b32 s4, 0
.LBB7_1832:
	s_delay_alu instid0(SALU_CYCLE_1)
	s_and_not1_b32 vcc_lo, exec_lo, s4
	s_cbranch_vccnz .LBB7_1834
; %bb.1833:
	s_wait_xcnt 0x0
	v_mov_b32_e32 v0, 0
	global_store_b8 v[14:15], v0, off
.LBB7_1834:
	s_mov_b32 s4, 0
.LBB7_1835:
	s_delay_alu instid0(SALU_CYCLE_1)
	s_and_not1_b32 vcc_lo, exec_lo, s4
	s_mov_b32 s4, 0
	s_cbranch_vccnz .LBB7_1842
; %bb.1836:
	s_cmp_gt_i32 s3, 14
	s_mov_b32 s4, -1
	s_cbranch_scc0 .LBB7_1840
; %bb.1837:
	s_cmp_eq_u32 s3, 15
	s_mov_b32 s5, -1
	s_cbranch_scc0 .LBB7_1839
; %bb.1838:
	s_wait_xcnt 0x0
	v_mov_b32_e32 v0, 0
	s_mov_b32 s5, 0
	global_store_b16 v[14:15], v0, off
.LBB7_1839:
	s_mov_b32 s4, 0
.LBB7_1840:
	s_delay_alu instid0(SALU_CYCLE_1)
	s_and_b32 vcc_lo, exec_lo, s4
	s_mov_b32 s4, 0
	s_cbranch_vccz .LBB7_1842
; %bb.1841:
	s_cmp_lg_u32 s3, 11
	s_mov_b32 s4, -1
	s_cselect_b32 s5, -1, 0
.LBB7_1842:
	s_delay_alu instid0(SALU_CYCLE_1)
	s_and_b32 vcc_lo, exec_lo, s5
	s_cbranch_vccnz .LBB7_1904
.LBB7_1843:
	s_mov_b32 s3, 0
	s_branch .LBB7_1845
.LBB7_1844:
	s_mov_b32 s3, 0
	s_mov_b32 s4, 0
                                        ; implicit-def: $vgpr14_vgpr15
                                        ; implicit-def: $sgpr0
.LBB7_1845:
	s_and_b32 s16, s3, exec_lo
	s_and_not1_b32 s3, s6, exec_lo
	s_and_b32 s2, s2, exec_lo
	s_and_b32 s8, s4, exec_lo
	s_or_b32 s6, s3, s2
.LBB7_1846:
	s_wait_xcnt 0x0
	s_or_b32 exec_lo, exec_lo, s7
.LBB7_1847:
	s_delay_alu instid0(SALU_CYCLE_1)
	s_and_not1_b32 s2, s14, exec_lo
	s_and_b32 s3, s6, exec_lo
	s_and_b32 s19, s16, exec_lo
	s_and_b32 s18, s8, exec_lo
	s_or_b32 s14, s2, s3
.LBB7_1848:
	s_wait_xcnt 0x0
	s_or_b32 exec_lo, exec_lo, s15
.LBB7_1849:
	s_delay_alu instid0(SALU_CYCLE_1)
	s_and_not1_b32 s2, s12, exec_lo
	s_and_b32 s3, s14, exec_lo
	s_and_b32 s15, s19, exec_lo
	;; [unrolled: 1-line block ×3, first 2 shown]
	s_or_b32 s12, s2, s3
.LBB7_1850:
	s_wait_xcnt 0x0
	s_or_b32 exec_lo, exec_lo, s13
.LBB7_1851:
	s_delay_alu instid0(SALU_CYCLE_1)
	s_and_not1_b32 s1, s1, exec_lo
	s_and_b32 s2, s12, exec_lo
	s_and_b32 s15, s15, exec_lo
	;; [unrolled: 1-line block ×3, first 2 shown]
	s_or_b32 s1, s1, s2
.LBB7_1852:
	s_wait_xcnt 0x0
	s_or_b32 exec_lo, exec_lo, s9
.LBB7_1853:
	s_delay_alu instid0(SALU_CYCLE_1)
	s_and_not1_b32 s2, s10, exec_lo
	s_and_b32 s1, s1, exec_lo
	s_and_b32 s4, s15, exec_lo
	s_and_b32 s30, s13, exec_lo
	s_or_b32 s10, s2, s1
.LBB7_1854:
	s_wait_xcnt 0x0
	s_or_b32 exec_lo, exec_lo, s11
	s_and_saveexec_b32 s1, s10
	s_cbranch_execz .LBB7_1857
; %bb.1855:
	; divergent unreachable
	s_or_b32 exec_lo, exec_lo, s1
	s_and_saveexec_b32 s1, s30
	s_delay_alu instid0(SALU_CYCLE_1)
	s_xor_b32 s1, exec_lo, s1
	s_cbranch_execnz .LBB7_1858
.LBB7_1856:
	s_or_b32 exec_lo, exec_lo, s1
	s_and_saveexec_b32 s1, s4
	s_cbranch_execnz .LBB7_1859
	s_branch .LBB7_1896
.LBB7_1857:
	s_or_b32 exec_lo, exec_lo, s1
	s_and_saveexec_b32 s1, s30
	s_delay_alu instid0(SALU_CYCLE_1)
	s_xor_b32 s1, exec_lo, s1
	s_cbranch_execz .LBB7_1856
.LBB7_1858:
	v_mov_b32_e32 v0, 0
	global_store_b8 v[14:15], v0, off
	s_wait_xcnt 0x0
	s_or_b32 exec_lo, exec_lo, s1
	s_and_saveexec_b32 s1, s4
	s_cbranch_execz .LBB7_1896
.LBB7_1859:
	s_sext_i32_i16 s2, s0
	s_mov_b32 s1, -1
	s_cmp_lt_i32 s2, 5
	s_cbranch_scc1 .LBB7_1880
; %bb.1860:
	s_cmp_lt_i32 s2, 8
	s_cbranch_scc1 .LBB7_1870
; %bb.1861:
	;; [unrolled: 3-line block ×3, first 2 shown]
	s_cmp_gt_i32 s2, 9
	s_cbranch_scc0 .LBB7_1864
; %bb.1863:
	v_mov_b32_e32 v0, 0
	s_mov_b32 s1, 0
	s_wait_loadcnt 0x0
	s_delay_alu instid0(VALU_DEP_1)
	v_dual_mov_b32 v1, v0 :: v_dual_mov_b32 v2, v0
	v_mov_b32_e32 v3, v0
	global_store_b128 v[14:15], v[0:3], off
.LBB7_1864:
	s_and_not1_b32 vcc_lo, exec_lo, s1
	s_cbranch_vccnz .LBB7_1866
; %bb.1865:
	s_wait_loadcnt 0x0
	v_mov_b64_e32 v[0:1], 0
	global_store_b64 v[14:15], v[0:1], off
.LBB7_1866:
	s_mov_b32 s1, 0
.LBB7_1867:
	s_delay_alu instid0(SALU_CYCLE_1)
	s_and_not1_b32 vcc_lo, exec_lo, s1
	s_cbranch_vccnz .LBB7_1869
; %bb.1868:
	s_wait_xcnt 0x0
	v_mov_b32_e32 v0, 0
	global_store_b32 v[14:15], v0, off
.LBB7_1869:
	s_mov_b32 s1, 0
.LBB7_1870:
	s_delay_alu instid0(SALU_CYCLE_1)
	s_and_not1_b32 vcc_lo, exec_lo, s1
	s_cbranch_vccnz .LBB7_1879
; %bb.1871:
	s_sext_i32_i16 s2, s0
	s_mov_b32 s1, -1
	s_cmp_lt_i32 s2, 6
	s_cbranch_scc1 .LBB7_1877
; %bb.1872:
	s_cmp_gt_i32 s2, 6
	s_cbranch_scc0 .LBB7_1874
; %bb.1873:
	s_wait_loadcnt 0x0
	v_mov_b64_e32 v[0:1], 0
	s_mov_b32 s1, 0
	global_store_b64 v[14:15], v[0:1], off
.LBB7_1874:
	s_and_not1_b32 vcc_lo, exec_lo, s1
	s_cbranch_vccnz .LBB7_1876
; %bb.1875:
	s_wait_xcnt 0x0
	v_mov_b32_e32 v0, 0
	global_store_b32 v[14:15], v0, off
.LBB7_1876:
	s_mov_b32 s1, 0
.LBB7_1877:
	s_delay_alu instid0(SALU_CYCLE_1)
	s_and_not1_b32 vcc_lo, exec_lo, s1
	s_cbranch_vccnz .LBB7_1879
; %bb.1878:
	s_wait_xcnt 0x0
	v_mov_b32_e32 v0, 0
	global_store_b16 v[14:15], v0, off
.LBB7_1879:
	s_mov_b32 s1, 0
.LBB7_1880:
	s_delay_alu instid0(SALU_CYCLE_1)
	s_and_not1_b32 vcc_lo, exec_lo, s1
	s_cbranch_vccnz .LBB7_1896
; %bb.1881:
	s_sext_i32_i16 s2, s0
	s_mov_b32 s1, -1
	s_cmp_lt_i32 s2, 2
	s_cbranch_scc1 .LBB7_1891
; %bb.1882:
	s_cmp_lt_i32 s2, 3
	s_cbranch_scc1 .LBB7_1888
; %bb.1883:
	s_cmp_gt_i32 s2, 3
	s_cbranch_scc0 .LBB7_1885
; %bb.1884:
	s_wait_loadcnt 0x0
	v_mov_b64_e32 v[0:1], 0
	s_mov_b32 s1, 0
	global_store_b64 v[14:15], v[0:1], off
.LBB7_1885:
	s_and_not1_b32 vcc_lo, exec_lo, s1
	s_cbranch_vccnz .LBB7_1887
; %bb.1886:
	s_wait_xcnt 0x0
	v_mov_b32_e32 v0, 0
	global_store_b32 v[14:15], v0, off
.LBB7_1887:
	s_mov_b32 s1, 0
.LBB7_1888:
	s_delay_alu instid0(SALU_CYCLE_1)
	s_and_not1_b32 vcc_lo, exec_lo, s1
	s_cbranch_vccnz .LBB7_1890
; %bb.1889:
	s_wait_xcnt 0x0
	v_mov_b32_e32 v0, 0
	global_store_b16 v[14:15], v0, off
.LBB7_1890:
	s_mov_b32 s1, 0
.LBB7_1891:
	s_delay_alu instid0(SALU_CYCLE_1)
	s_and_not1_b32 vcc_lo, exec_lo, s1
	s_cbranch_vccnz .LBB7_1896
; %bb.1892:
	s_sext_i32_i16 s0, s0
	s_delay_alu instid0(SALU_CYCLE_1)
	s_cmp_gt_i32 s0, 0
	s_mov_b32 s0, -1
	s_cbranch_scc0 .LBB7_1894
; %bb.1893:
	s_wait_xcnt 0x0
	v_mov_b32_e32 v0, 0
	s_mov_b32 s0, 0
	global_store_b8 v[14:15], v0, off
.LBB7_1894:
	s_and_not1_b32 vcc_lo, exec_lo, s0
	s_cbranch_vccnz .LBB7_1896
; %bb.1895:
	s_wait_xcnt 0x0
	v_mov_b32_e32 v0, 0
	global_store_b8 v[14:15], v0, off
	s_endpgm
.LBB7_1896:
	s_endpgm
.LBB7_1897:
	s_or_b32 s6, s14, exec_lo
	s_trap 2
	s_cbranch_execz .LBB7_1476
	s_branch .LBB7_1477
.LBB7_1898:
	s_mov_b32 s4, 0
	s_mov_b32 s3, -1
	s_branch .LBB7_1845
.LBB7_1899:
	s_or_b32 s2, s6, exec_lo
	s_trap 2
	s_cbranch_execz .LBB7_1576
	s_branch .LBB7_1577
.LBB7_1900:
	s_or_b32 s12, s12, exec_lo
	s_trap 2
                                        ; implicit-def: $vgpr10
                                        ; implicit-def: $vgpr8
                                        ; implicit-def: $vgpr0
                                        ; implicit-def: $vgpr6
                                        ; implicit-def: $vgpr4
                                        ; implicit-def: $vgpr2
	s_branch .LBB7_1043
.LBB7_1901:
	s_or_b32 s2, s2, exec_lo
	s_trap 2
	s_cbranch_execz .LBB7_1666
	s_branch .LBB7_1667
.LBB7_1902:
	s_or_b32 s2, s2, exec_lo
	s_trap 2
	s_cbranch_execz .LBB7_1755
	s_branch .LBB7_1756
.LBB7_1903:
	s_or_b32 s14, s14, exec_lo
	s_trap 2
                                        ; implicit-def: $vgpr8
                                        ; implicit-def: $vgpr0
                                        ; implicit-def: $vgpr6
                                        ; implicit-def: $vgpr4
                                        ; implicit-def: $vgpr2
	s_branch .LBB7_1398
.LBB7_1904:
	s_mov_b32 s4, 0
	s_or_b32 s2, s2, exec_lo
	s_trap 2
	s_branch .LBB7_1843
.LBB7_1905:
	s_or_b32 s6, s6, exec_lo
	s_trap 2
                                        ; implicit-def: $vgpr0
                                        ; implicit-def: $vgpr6
                                        ; implicit-def: $vgpr4
                                        ; implicit-def: $vgpr2
	s_branch .LBB7_1529
	.section	.rodata,"a",@progbits
	.p2align	6, 0x0
	.amdhsa_kernel _ZN2at6native32elementwise_kernel_manual_unrollILi128ELi4EZNS0_15gpu_kernel_implIZZZNS0_12_GLOBAL__N_142_validate_compressed_sparse_indices_kernelILNS3_8CDimNameE0ENS3_18CUDAKernelLauncherENS3_14EmptyVecKernelENS3_8DummyVecELm8EEEvRKNS_6TensorESB_lllENKUlvE0_clEvENKUlvE_clEvEUliE_EEvRNS_18TensorIteratorBaseERKT_EUlibE0_EEviT1_
		.amdhsa_group_segment_fixed_size 0
		.amdhsa_private_segment_fixed_size 0
		.amdhsa_kernarg_size 376
		.amdhsa_user_sgpr_count 2
		.amdhsa_user_sgpr_dispatch_ptr 0
		.amdhsa_user_sgpr_queue_ptr 0
		.amdhsa_user_sgpr_kernarg_segment_ptr 1
		.amdhsa_user_sgpr_dispatch_id 0
		.amdhsa_user_sgpr_kernarg_preload_length 0
		.amdhsa_user_sgpr_kernarg_preload_offset 0
		.amdhsa_user_sgpr_private_segment_size 0
		.amdhsa_wavefront_size32 1
		.amdhsa_uses_dynamic_stack 0
		.amdhsa_enable_private_segment 0
		.amdhsa_system_sgpr_workgroup_id_x 1
		.amdhsa_system_sgpr_workgroup_id_y 0
		.amdhsa_system_sgpr_workgroup_id_z 0
		.amdhsa_system_sgpr_workgroup_info 0
		.amdhsa_system_vgpr_workitem_id 0
		.amdhsa_next_free_vgpr 18
		.amdhsa_next_free_sgpr 72
		.amdhsa_named_barrier_count 0
		.amdhsa_reserve_vcc 1
		.amdhsa_float_round_mode_32 0
		.amdhsa_float_round_mode_16_64 0
		.amdhsa_float_denorm_mode_32 3
		.amdhsa_float_denorm_mode_16_64 3
		.amdhsa_fp16_overflow 0
		.amdhsa_memory_ordered 1
		.amdhsa_forward_progress 1
		.amdhsa_inst_pref_size 255
		.amdhsa_round_robin_scheduling 0
		.amdhsa_exception_fp_ieee_invalid_op 0
		.amdhsa_exception_fp_denorm_src 0
		.amdhsa_exception_fp_ieee_div_zero 0
		.amdhsa_exception_fp_ieee_overflow 0
		.amdhsa_exception_fp_ieee_underflow 0
		.amdhsa_exception_fp_ieee_inexact 0
		.amdhsa_exception_int_div_zero 0
	.end_amdhsa_kernel
	.section	.text._ZN2at6native32elementwise_kernel_manual_unrollILi128ELi4EZNS0_15gpu_kernel_implIZZZNS0_12_GLOBAL__N_142_validate_compressed_sparse_indices_kernelILNS3_8CDimNameE0ENS3_18CUDAKernelLauncherENS3_14EmptyVecKernelENS3_8DummyVecELm8EEEvRKNS_6TensorESB_lllENKUlvE0_clEvENKUlvE_clEvEUliE_EEvRNS_18TensorIteratorBaseERKT_EUlibE0_EEviT1_,"axG",@progbits,_ZN2at6native32elementwise_kernel_manual_unrollILi128ELi4EZNS0_15gpu_kernel_implIZZZNS0_12_GLOBAL__N_142_validate_compressed_sparse_indices_kernelILNS3_8CDimNameE0ENS3_18CUDAKernelLauncherENS3_14EmptyVecKernelENS3_8DummyVecELm8EEEvRKNS_6TensorESB_lllENKUlvE0_clEvENKUlvE_clEvEUliE_EEvRNS_18TensorIteratorBaseERKT_EUlibE0_EEviT1_,comdat
.Lfunc_end7:
	.size	_ZN2at6native32elementwise_kernel_manual_unrollILi128ELi4EZNS0_15gpu_kernel_implIZZZNS0_12_GLOBAL__N_142_validate_compressed_sparse_indices_kernelILNS3_8CDimNameE0ENS3_18CUDAKernelLauncherENS3_14EmptyVecKernelENS3_8DummyVecELm8EEEvRKNS_6TensorESB_lllENKUlvE0_clEvENKUlvE_clEvEUliE_EEvRNS_18TensorIteratorBaseERKT_EUlibE0_EEviT1_, .Lfunc_end7-_ZN2at6native32elementwise_kernel_manual_unrollILi128ELi4EZNS0_15gpu_kernel_implIZZZNS0_12_GLOBAL__N_142_validate_compressed_sparse_indices_kernelILNS3_8CDimNameE0ENS3_18CUDAKernelLauncherENS3_14EmptyVecKernelENS3_8DummyVecELm8EEEvRKNS_6TensorESB_lllENKUlvE0_clEvENKUlvE_clEvEUliE_EEvRNS_18TensorIteratorBaseERKT_EUlibE0_EEviT1_
                                        ; -- End function
	.set _ZN2at6native32elementwise_kernel_manual_unrollILi128ELi4EZNS0_15gpu_kernel_implIZZZNS0_12_GLOBAL__N_142_validate_compressed_sparse_indices_kernelILNS3_8CDimNameE0ENS3_18CUDAKernelLauncherENS3_14EmptyVecKernelENS3_8DummyVecELm8EEEvRKNS_6TensorESB_lllENKUlvE0_clEvENKUlvE_clEvEUliE_EEvRNS_18TensorIteratorBaseERKT_EUlibE0_EEviT1_.num_vgpr, 18
	.set _ZN2at6native32elementwise_kernel_manual_unrollILi128ELi4EZNS0_15gpu_kernel_implIZZZNS0_12_GLOBAL__N_142_validate_compressed_sparse_indices_kernelILNS3_8CDimNameE0ENS3_18CUDAKernelLauncherENS3_14EmptyVecKernelENS3_8DummyVecELm8EEEvRKNS_6TensorESB_lllENKUlvE0_clEvENKUlvE_clEvEUliE_EEvRNS_18TensorIteratorBaseERKT_EUlibE0_EEviT1_.num_agpr, 0
	.set _ZN2at6native32elementwise_kernel_manual_unrollILi128ELi4EZNS0_15gpu_kernel_implIZZZNS0_12_GLOBAL__N_142_validate_compressed_sparse_indices_kernelILNS3_8CDimNameE0ENS3_18CUDAKernelLauncherENS3_14EmptyVecKernelENS3_8DummyVecELm8EEEvRKNS_6TensorESB_lllENKUlvE0_clEvENKUlvE_clEvEUliE_EEvRNS_18TensorIteratorBaseERKT_EUlibE0_EEviT1_.numbered_sgpr, 72
	.set _ZN2at6native32elementwise_kernel_manual_unrollILi128ELi4EZNS0_15gpu_kernel_implIZZZNS0_12_GLOBAL__N_142_validate_compressed_sparse_indices_kernelILNS3_8CDimNameE0ENS3_18CUDAKernelLauncherENS3_14EmptyVecKernelENS3_8DummyVecELm8EEEvRKNS_6TensorESB_lllENKUlvE0_clEvENKUlvE_clEvEUliE_EEvRNS_18TensorIteratorBaseERKT_EUlibE0_EEviT1_.num_named_barrier, 0
	.set _ZN2at6native32elementwise_kernel_manual_unrollILi128ELi4EZNS0_15gpu_kernel_implIZZZNS0_12_GLOBAL__N_142_validate_compressed_sparse_indices_kernelILNS3_8CDimNameE0ENS3_18CUDAKernelLauncherENS3_14EmptyVecKernelENS3_8DummyVecELm8EEEvRKNS_6TensorESB_lllENKUlvE0_clEvENKUlvE_clEvEUliE_EEvRNS_18TensorIteratorBaseERKT_EUlibE0_EEviT1_.private_seg_size, 0
	.set _ZN2at6native32elementwise_kernel_manual_unrollILi128ELi4EZNS0_15gpu_kernel_implIZZZNS0_12_GLOBAL__N_142_validate_compressed_sparse_indices_kernelILNS3_8CDimNameE0ENS3_18CUDAKernelLauncherENS3_14EmptyVecKernelENS3_8DummyVecELm8EEEvRKNS_6TensorESB_lllENKUlvE0_clEvENKUlvE_clEvEUliE_EEvRNS_18TensorIteratorBaseERKT_EUlibE0_EEviT1_.uses_vcc, 1
	.set _ZN2at6native32elementwise_kernel_manual_unrollILi128ELi4EZNS0_15gpu_kernel_implIZZZNS0_12_GLOBAL__N_142_validate_compressed_sparse_indices_kernelILNS3_8CDimNameE0ENS3_18CUDAKernelLauncherENS3_14EmptyVecKernelENS3_8DummyVecELm8EEEvRKNS_6TensorESB_lllENKUlvE0_clEvENKUlvE_clEvEUliE_EEvRNS_18TensorIteratorBaseERKT_EUlibE0_EEviT1_.uses_flat_scratch, 0
	.set _ZN2at6native32elementwise_kernel_manual_unrollILi128ELi4EZNS0_15gpu_kernel_implIZZZNS0_12_GLOBAL__N_142_validate_compressed_sparse_indices_kernelILNS3_8CDimNameE0ENS3_18CUDAKernelLauncherENS3_14EmptyVecKernelENS3_8DummyVecELm8EEEvRKNS_6TensorESB_lllENKUlvE0_clEvENKUlvE_clEvEUliE_EEvRNS_18TensorIteratorBaseERKT_EUlibE0_EEviT1_.has_dyn_sized_stack, 0
	.set _ZN2at6native32elementwise_kernel_manual_unrollILi128ELi4EZNS0_15gpu_kernel_implIZZZNS0_12_GLOBAL__N_142_validate_compressed_sparse_indices_kernelILNS3_8CDimNameE0ENS3_18CUDAKernelLauncherENS3_14EmptyVecKernelENS3_8DummyVecELm8EEEvRKNS_6TensorESB_lllENKUlvE0_clEvENKUlvE_clEvEUliE_EEvRNS_18TensorIteratorBaseERKT_EUlibE0_EEviT1_.has_recursion, 0
	.set _ZN2at6native32elementwise_kernel_manual_unrollILi128ELi4EZNS0_15gpu_kernel_implIZZZNS0_12_GLOBAL__N_142_validate_compressed_sparse_indices_kernelILNS3_8CDimNameE0ENS3_18CUDAKernelLauncherENS3_14EmptyVecKernelENS3_8DummyVecELm8EEEvRKNS_6TensorESB_lllENKUlvE0_clEvENKUlvE_clEvEUliE_EEvRNS_18TensorIteratorBaseERKT_EUlibE0_EEviT1_.has_indirect_call, 0
	.section	.AMDGPU.csdata,"",@progbits
; Kernel info:
; codeLenInByte = 33916
; TotalNumSgprs: 74
; NumVgprs: 18
; ScratchSize: 0
; MemoryBound: 1
; FloatMode: 240
; IeeeMode: 1
; LDSByteSize: 0 bytes/workgroup (compile time only)
; SGPRBlocks: 0
; VGPRBlocks: 1
; NumSGPRsForWavesPerEU: 74
; NumVGPRsForWavesPerEU: 18
; NamedBarCnt: 0
; Occupancy: 16
; WaveLimiterHint : 1
; COMPUTE_PGM_RSRC2:SCRATCH_EN: 0
; COMPUTE_PGM_RSRC2:USER_SGPR: 2
; COMPUTE_PGM_RSRC2:TRAP_HANDLER: 0
; COMPUTE_PGM_RSRC2:TGID_X_EN: 1
; COMPUTE_PGM_RSRC2:TGID_Y_EN: 0
; COMPUTE_PGM_RSRC2:TGID_Z_EN: 0
; COMPUTE_PGM_RSRC2:TIDIG_COMP_CNT: 0
	.section	.text._ZN2at6native29vectorized_elementwise_kernelILi16EZZZNS0_12_GLOBAL__N_142_validate_compressed_sparse_indices_kernelILNS2_8CDimNameE0ENS2_18CUDAKernelLauncherENS2_14EmptyVecKernelENS2_8DummyVecELm8EEEvRKNS_6TensorESA_lllENKUlvE0_clEvENKUlvE0_clEvEUllE_St5arrayIPcLm2EEEEviT0_T1_,"axG",@progbits,_ZN2at6native29vectorized_elementwise_kernelILi16EZZZNS0_12_GLOBAL__N_142_validate_compressed_sparse_indices_kernelILNS2_8CDimNameE0ENS2_18CUDAKernelLauncherENS2_14EmptyVecKernelENS2_8DummyVecELm8EEEvRKNS_6TensorESA_lllENKUlvE0_clEvENKUlvE0_clEvEUllE_St5arrayIPcLm2EEEEviT0_T1_,comdat
	.globl	_ZN2at6native29vectorized_elementwise_kernelILi16EZZZNS0_12_GLOBAL__N_142_validate_compressed_sparse_indices_kernelILNS2_8CDimNameE0ENS2_18CUDAKernelLauncherENS2_14EmptyVecKernelENS2_8DummyVecELm8EEEvRKNS_6TensorESA_lllENKUlvE0_clEvENKUlvE0_clEvEUllE_St5arrayIPcLm2EEEEviT0_T1_ ; -- Begin function _ZN2at6native29vectorized_elementwise_kernelILi16EZZZNS0_12_GLOBAL__N_142_validate_compressed_sparse_indices_kernelILNS2_8CDimNameE0ENS2_18CUDAKernelLauncherENS2_14EmptyVecKernelENS2_8DummyVecELm8EEEvRKNS_6TensorESA_lllENKUlvE0_clEvENKUlvE0_clEvEUllE_St5arrayIPcLm2EEEEviT0_T1_
	.p2align	8
	.type	_ZN2at6native29vectorized_elementwise_kernelILi16EZZZNS0_12_GLOBAL__N_142_validate_compressed_sparse_indices_kernelILNS2_8CDimNameE0ENS2_18CUDAKernelLauncherENS2_14EmptyVecKernelENS2_8DummyVecELm8EEEvRKNS_6TensorESA_lllENKUlvE0_clEvENKUlvE0_clEvEUllE_St5arrayIPcLm2EEEEviT0_T1_,@function
_ZN2at6native29vectorized_elementwise_kernelILi16EZZZNS0_12_GLOBAL__N_142_validate_compressed_sparse_indices_kernelILNS2_8CDimNameE0ENS2_18CUDAKernelLauncherENS2_14EmptyVecKernelENS2_8DummyVecELm8EEEvRKNS_6TensorESA_lllENKUlvE0_clEvENKUlvE0_clEvEUllE_St5arrayIPcLm2EEEEviT0_T1_: ; @_ZN2at6native29vectorized_elementwise_kernelILi16EZZZNS0_12_GLOBAL__N_142_validate_compressed_sparse_indices_kernelILNS2_8CDimNameE0ENS2_18CUDAKernelLauncherENS2_14EmptyVecKernelENS2_8DummyVecELm8EEEvRKNS_6TensorESA_lllENKUlvE0_clEvENKUlvE0_clEvEUllE_St5arrayIPcLm2EEEEviT0_T1_
; %bb.0:
	s_clause 0x1
	s_load_b32 s3, s[0:1], 0x0
	s_load_b256 s[4:11], s[0:1], 0x8
	s_wait_xcnt 0x0
	s_bfe_u32 s0, ttmp6, 0x4000c
	s_and_b32 s1, ttmp6, 15
	s_add_co_i32 s0, s0, 1
	s_getreg_b32 s2, hwreg(HW_REG_IB_STS2, 6, 4)
	s_mul_i32 s0, ttmp9, s0
	s_mov_b32 s18, 0
	s_add_co_i32 s1, s1, s0
	s_cmp_eq_u32 s2, 0
	s_get_pc_i64 s[12:13]
	s_add_nc_u64 s[12:13], s[12:13], .str@rel64+4
	s_cselect_b32 s0, ttmp9, s1
	s_delay_alu instid0(SALU_CYCLE_1)
	s_lshl_b32 s2, s0, 10
	s_mov_b32 s0, -1
	s_wait_kmcnt 0x0
	s_sub_co_i32 s1, s3, s2
	s_mov_b32 s3, 0
	s_cmp_gt_i32 s1, 0x3ff
	s_cbranch_scc0 .LBB8_13
; %bb.1:
	s_cmp_eq_u64 s[12:13], 0
	s_cselect_b32 s19, -1, 0
	s_cmp_lg_u64 s[12:13], 0
	s_cbranch_scc0 .LBB8_11
; %bb.2:
	s_ashr_i32 s3, s2, 31
	v_lshlrev_b32_e32 v6, 5, v0
	s_lshl_b64 s[14:15], s[2:3], 3
	s_delay_alu instid0(SALU_CYCLE_1)
	s_add_nc_u64 s[16:17], s[10:11], s[14:15]
	global_load_b64 v[2:3], v6, s[16:17]
	s_wait_loadcnt 0x0
	v_cmp_le_i64_e32 vcc_lo, s[4:5], v[2:3]
	v_cmp_gt_i64_e64 s0, s[6:7], v[2:3]
	s_and_b32 s0, vcc_lo, s0
	s_delay_alu instid0(SALU_CYCLE_1)
	s_xor_b32 s19, s0, -1
	s_and_saveexec_b32 s3, s0
	s_cbranch_execz .LBB8_10
; %bb.3:
	v_mov_b32_e32 v7, 0
	s_delay_alu instid0(VALU_DEP_1)
	v_add_nc_u64_e32 v[10:11], s[16:17], v[6:7]
	s_clause 0x1
	global_load_b128 v[2:5], v[10:11], off offset:8
	global_load_b64 v[8:9], v[10:11], off offset:24
	s_wait_loadcnt 0x1
	v_cmp_le_i64_e32 vcc_lo, s[4:5], v[2:3]
	v_cmp_gt_i64_e64 s0, s[6:7], v[2:3]
	s_and_b32 s0, vcc_lo, s0
	s_delay_alu instid0(SALU_CYCLE_1)
	s_xor_b32 s16, s0, -1
	s_wait_xcnt 0x0
	s_and_saveexec_b32 s17, s0
	s_cbranch_execz .LBB8_9
; %bb.4:
	v_cmp_le_i64_e32 vcc_lo, s[4:5], v[4:5]
	v_cmp_gt_i64_e64 s0, s[6:7], v[4:5]
	s_mov_b32 s22, -1
	s_and_b32 s0, vcc_lo, s0
	s_delay_alu instid0(SALU_CYCLE_1)
	s_xor_b32 s20, s0, -1
	s_and_saveexec_b32 s21, s0
	s_cbranch_execz .LBB8_8
; %bb.5:
	s_wait_loadcnt 0x0
	v_cmp_le_i64_e32 vcc_lo, s[4:5], v[8:9]
	v_cmp_gt_i64_e64 s0, s[6:7], v[8:9]
	s_and_b32 s0, vcc_lo, s0
	s_delay_alu instid0(SALU_CYCLE_1) | instskip(NEXT) | instid1(SALU_CYCLE_1)
	s_and_saveexec_b32 s23, s0
	s_xor_b32 s0, exec_lo, s23
; %bb.6:
	s_mov_b32 s24, 0
	s_add_nc_u64 s[14:15], s[8:9], s[14:15]
	s_mov_b32 s25, s24
	s_mov_b32 s26, s24
	;; [unrolled: 1-line block ×3, first 2 shown]
	v_mov_b64_e32 v[2:3], s[24:25]
	v_mov_b64_e32 v[4:5], s[26:27]
	s_xor_b32 s22, exec_lo, -1
	s_clause 0x1
	global_store_b128 v6, v[2:5], s[14:15]
	global_store_b128 v6, v[2:5], s[14:15] offset:16
; %bb.7:
	s_wait_xcnt 0x0
	s_or_b32 exec_lo, exec_lo, s0
	s_delay_alu instid0(SALU_CYCLE_1) | instskip(SKIP_1) | instid1(SALU_CYCLE_1)
	s_and_not1_b32 s0, s20, exec_lo
	s_and_b32 s14, s22, exec_lo
	s_or_b32 s20, s0, s14
.LBB8_8:
	s_or_b32 exec_lo, exec_lo, s21
	s_delay_alu instid0(SALU_CYCLE_1) | instskip(SKIP_1) | instid1(SALU_CYCLE_1)
	s_and_not1_b32 s0, s16, exec_lo
	s_and_b32 s14, s20, exec_lo
	s_or_b32 s16, s0, s14
.LBB8_9:
	s_or_b32 exec_lo, exec_lo, s17
	s_delay_alu instid0(SALU_CYCLE_1) | instskip(SKIP_1) | instid1(SALU_CYCLE_1)
	s_and_not1_b32 s0, s19, exec_lo
	s_and_b32 s14, s16, exec_lo
	s_or_b32 s19, s0, s14
.LBB8_10:
	s_or_b32 exec_lo, exec_lo, s3
.LBB8_11:
	s_mov_b32 s0, 0
	s_mov_b32 s3, 0
	s_and_saveexec_b32 s14, s19
	s_delay_alu instid0(SALU_CYCLE_1)
	s_xor_b32 s14, exec_lo, s14
	s_cbranch_execnz .LBB8_51
.LBB8_12:
	s_or_b32 exec_lo, exec_lo, s14
.LBB8_13:
	s_delay_alu instid0(SALU_CYCLE_1)
	s_and_b32 vcc_lo, exec_lo, s0
	s_cbranch_vccz .LBB8_26
; %bb.14:
	v_mov_b64_e32 v[4:5], 0
	s_wait_loadcnt 0x0
	v_mov_b64_e32 v[8:9], 0
	v_cmp_le_i32_e64 s15, s1, v0
	v_cmp_gt_i32_e64 s14, s1, v0
	v_or_b32_e32 v1, 0x100, v0
	v_mov_b32_e32 v10, v0
	s_and_saveexec_b32 s0, s14
	s_cbranch_execz .LBB8_16
; %bb.15:
	v_or_b32_e32 v2, s2, v0
	v_or_b32_e32 v10, 0x100, v0
	global_load_b64 v[8:9], v2, s[10:11] scale_offset
.LBB8_16:
	s_wait_xcnt 0x0
	s_or_b32 exec_lo, exec_lo, s0
	s_delay_alu instid0(SALU_CYCLE_1)
	s_mov_b32 s0, exec_lo
	v_cmpx_gt_i32_e64 s1, v10
	s_cbranch_execz .LBB8_18
; %bb.17:
	v_add_nc_u32_e32 v2, s2, v10
	v_add_nc_u32_e32 v10, 0x100, v10
	global_load_b64 v[4:5], v2, s[10:11] scale_offset
.LBB8_18:
	s_wait_xcnt 0x0
	s_or_b32 exec_lo, exec_lo, s0
	v_mov_b64_e32 v[2:3], 0
	v_mov_b64_e32 v[6:7], 0
	s_mov_b32 s0, exec_lo
	v_cmpx_gt_i32_e64 s1, v10
	s_cbranch_execz .LBB8_20
; %bb.19:
	v_add_nc_u32_e32 v6, s2, v10
	v_add_nc_u32_e32 v10, 0x100, v10
	global_load_b64 v[6:7], v6, s[10:11] scale_offset
.LBB8_20:
	s_wait_xcnt 0x0
	s_or_b32 exec_lo, exec_lo, s0
	s_delay_alu instid0(SALU_CYCLE_1)
	s_mov_b32 s0, exec_lo
	v_cmpx_gt_i32_e64 s1, v10
	s_cbranch_execz .LBB8_22
; %bb.21:
	v_add_nc_u32_e32 v2, s2, v10
	global_load_b64 v[2:3], v2, s[10:11] scale_offset
.LBB8_22:
	s_wait_xcnt 0x0
	s_or_b32 exec_lo, exec_lo, s0
	s_cmp_lg_u64 s[12:13], 0
	s_mov_b32 s10, 0
	s_cselect_b32 s12, -1, 0
	s_and_saveexec_b32 s11, s14
	s_cbranch_execnz .LBB8_35
; %bb.23:
	s_or_b32 exec_lo, exec_lo, s11
	s_and_saveexec_b32 s11, s15
	s_cbranch_execnz .LBB8_36
.LBB8_24:
	s_or_b32 exec_lo, exec_lo, s11
	s_and_saveexec_b32 s0, s10
	s_cbranch_execnz .LBB8_47
.LBB8_25:
	s_or_b32 exec_lo, exec_lo, s0
	s_and_saveexec_b32 s0, s3
	s_cbranch_execnz .LBB8_27
	s_branch .LBB8_28
.LBB8_26:
                                        ; implicit-def: $sgpr14
                                        ; implicit-def: $vgpr1
                                        ; implicit-def: $vgpr0
	s_and_saveexec_b32 s0, s3
.LBB8_27:
	; divergent unreachable
.LBB8_28:
	s_delay_alu instid0(SALU_CYCLE_1) | instskip(SKIP_1) | instid1(SALU_CYCLE_1)
	s_or_b32 exec_lo, exec_lo, s0
	s_and_saveexec_b32 s0, s18
	s_xor_b32 s0, exec_lo, s0
	s_cbranch_execz .LBB8_34
; %bb.29:
	s_and_saveexec_b32 s0, s14
	s_delay_alu instid0(SALU_CYCLE_1)
	s_xor_b32 s0, exec_lo, s0
	s_cbranch_execnz .LBB8_48
; %bb.30:
	s_or_b32 exec_lo, exec_lo, s0
	s_delay_alu instid0(SALU_CYCLE_1)
	s_mov_b32 s0, exec_lo
	v_cmpx_gt_i32_e64 s1, v0
	s_cbranch_execnz .LBB8_49
.LBB8_31:
	s_or_b32 exec_lo, exec_lo, s0
	s_delay_alu instid0(SALU_CYCLE_1)
	s_mov_b32 s0, exec_lo
	v_cmpx_gt_i32_e64 s1, v0
	s_cbranch_execnz .LBB8_50
.LBB8_32:
	s_or_b32 exec_lo, exec_lo, s0
	s_delay_alu instid0(SALU_CYCLE_1)
	s_mov_b32 s0, exec_lo
	v_cmpx_gt_i32_e64 s1, v0
	s_cbranch_execz .LBB8_34
.LBB8_33:
	s_wait_loadcnt 0x0
	v_mov_b64_e32 v[2:3], 0
	v_add_nc_u32_e32 v0, s2, v0
	global_store_b64 v0, v[2:3], s[8:9] scale_offset
.LBB8_34:
	s_endpgm
.LBB8_35:
	s_wait_loadcnt 0x0
	v_cmp_le_i64_e32 vcc_lo, s[4:5], v[8:9]
	v_cmp_gt_i64_e64 s0, s[6:7], v[8:9]
	s_and_not1_b32 s13, s15, exec_lo
	s_mov_b32 s10, exec_lo
	s_and_b32 s0, vcc_lo, s0
	s_delay_alu instid0(SALU_CYCLE_1) | instskip(NEXT) | instid1(SALU_CYCLE_1)
	s_and_b32 s0, s12, s0
	s_and_b32 s0, s0, exec_lo
	s_delay_alu instid0(SALU_CYCLE_1)
	s_or_b32 s15, s13, s0
	s_or_b32 exec_lo, exec_lo, s11
	s_and_saveexec_b32 s11, s15
	s_cbranch_execz .LBB8_24
.LBB8_36:
	v_cmp_le_i32_e64 s17, s1, v1
	s_mov_b32 s16, 0
	s_mov_b32 s13, 0
	s_mov_b32 s15, exec_lo
	v_cmpx_gt_i32_e64 s1, v1
	s_cbranch_execz .LBB8_38
; %bb.37:
	s_wait_loadcnt 0x0
	v_cmp_le_i64_e32 vcc_lo, s[4:5], v[4:5]
	v_cmp_gt_i64_e64 s0, s[6:7], v[4:5]
	s_and_not1_b32 s17, s17, exec_lo
	s_mov_b32 s13, exec_lo
	s_and_b32 s0, vcc_lo, s0
	s_delay_alu instid0(SALU_CYCLE_1) | instskip(NEXT) | instid1(SALU_CYCLE_1)
	s_and_b32 s0, s12, s0
	s_and_b32 s0, s0, exec_lo
	s_delay_alu instid0(SALU_CYCLE_1)
	s_or_b32 s17, s17, s0
.LBB8_38:
	s_or_b32 exec_lo, exec_lo, s15
	s_and_saveexec_b32 s15, s17
	s_cbranch_execz .LBB8_46
; %bb.39:
	s_wait_loadcnt 0x0
	v_or_b32_e32 v4, 0x200, v0
	s_mov_b32 s17, exec_lo
	s_delay_alu instid0(VALU_DEP_1)
	v_cmp_le_i32_e64 s19, s1, v4
	v_cmpx_gt_i32_e64 s1, v4
; %bb.40:
	v_cmp_le_i64_e32 vcc_lo, s[4:5], v[6:7]
	v_cmp_gt_i64_e64 s0, s[6:7], v[6:7]
	s_and_not1_b32 s19, s19, exec_lo
	s_mov_b32 s16, exec_lo
	s_and_b32 s0, vcc_lo, s0
	s_delay_alu instid0(SALU_CYCLE_1) | instskip(NEXT) | instid1(SALU_CYCLE_1)
	s_and_b32 s0, s12, s0
	s_and_b32 s0, s0, exec_lo
	s_delay_alu instid0(SALU_CYCLE_1)
	s_or_b32 s19, s19, s0
; %bb.41:
	s_or_b32 exec_lo, exec_lo, s17
	s_and_saveexec_b32 s17, s19
	s_cbranch_execz .LBB8_45
; %bb.42:
	v_or_b32_e32 v4, 0x300, v0
	s_mov_b32 s0, 0
	s_mov_b32 s19, exec_lo
	s_delay_alu instid0(VALU_DEP_1)
	v_cmp_le_i32_e64 s18, s1, v4
	v_cmpx_gt_i32_e64 s1, v4
	s_xor_b32 s19, exec_lo, s19
; %bb.43:
	v_cmp_le_i64_e32 vcc_lo, s[4:5], v[2:3]
	v_cmp_gt_i64_e64 s0, s[6:7], v[2:3]
	s_or_b32 s18, s18, exec_lo
	s_and_b32 s0, vcc_lo, s0
	s_delay_alu instid0(SALU_CYCLE_1) | instskip(NEXT) | instid1(SALU_CYCLE_1)
	s_and_b32 s0, s12, s0
	s_xor_b32 s0, s0, -1
	s_delay_alu instid0(SALU_CYCLE_1)
	s_and_b32 s0, s0, exec_lo
; %bb.44:
	s_or_b32 exec_lo, exec_lo, s19
	s_delay_alu instid0(SALU_CYCLE_1)
	s_and_not1_b32 s4, s16, exec_lo
	s_and_b32 s0, s0, exec_lo
	s_and_b32 s18, s18, exec_lo
	s_or_b32 s16, s4, s0
.LBB8_45:
	s_or_b32 exec_lo, exec_lo, s17
	s_delay_alu instid0(SALU_CYCLE_1)
	s_and_not1_b32 s0, s13, exec_lo
	s_and_b32 s4, s16, exec_lo
	s_and_b32 s16, s18, exec_lo
	s_or_b32 s13, s0, s4
.LBB8_46:
	s_or_b32 exec_lo, exec_lo, s15
	s_delay_alu instid0(SALU_CYCLE_1)
	s_and_not1_b32 s0, s10, exec_lo
	s_and_b32 s4, s13, exec_lo
	s_and_b32 s18, s16, exec_lo
	s_or_b32 s10, s0, s4
	s_or_b32 exec_lo, exec_lo, s11
	s_and_saveexec_b32 s0, s10
	s_cbranch_execz .LBB8_25
.LBB8_47:
	s_and_not1_b32 s18, s18, exec_lo
	s_or_b32 s3, s3, exec_lo
	s_trap 2
	s_or_b32 exec_lo, exec_lo, s0
	s_and_saveexec_b32 s0, s3
	s_cbranch_execnz .LBB8_27
	s_branch .LBB8_28
.LBB8_48:
	s_wait_loadcnt 0x0
	v_mov_b64_e32 v[2:3], 0
	v_dual_mov_b32 v0, v1 :: v_dual_bitop2_b32 v4, s2, v0 bitop3:0x54
	global_store_b64 v4, v[2:3], s[8:9] scale_offset
	s_wait_xcnt 0x0
	s_or_b32 exec_lo, exec_lo, s0
	s_delay_alu instid0(SALU_CYCLE_1)
	s_mov_b32 s0, exec_lo
	v_cmpx_gt_i32_e64 s1, v0
	s_cbranch_execz .LBB8_31
.LBB8_49:
	s_wait_loadcnt 0x0
	v_mov_b64_e32 v[2:3], 0
	v_add_nc_u32_e32 v1, s2, v0
	v_add_nc_u32_e32 v0, 0x100, v0
	global_store_b64 v1, v[2:3], s[8:9] scale_offset
	s_wait_xcnt 0x0
	s_or_b32 exec_lo, exec_lo, s0
	s_delay_alu instid0(SALU_CYCLE_1)
	s_mov_b32 s0, exec_lo
	v_cmpx_gt_i32_e64 s1, v0
	s_cbranch_execz .LBB8_32
.LBB8_50:
	s_wait_loadcnt 0x0
	v_mov_b64_e32 v[2:3], 0
	v_add_nc_u32_e32 v1, s2, v0
	v_add_nc_u32_e32 v0, 0x100, v0
	global_store_b64 v1, v[2:3], s[8:9] scale_offset
	s_wait_xcnt 0x0
	s_or_b32 exec_lo, exec_lo, s0
	s_delay_alu instid0(SALU_CYCLE_1)
	s_mov_b32 s0, exec_lo
	v_cmpx_gt_i32_e64 s1, v0
	s_cbranch_execnz .LBB8_33
	s_branch .LBB8_34
.LBB8_51:
	s_mov_b32 s3, exec_lo
	s_trap 2
	s_branch .LBB8_12
	.section	.rodata,"a",@progbits
	.p2align	6, 0x0
	.amdhsa_kernel _ZN2at6native29vectorized_elementwise_kernelILi16EZZZNS0_12_GLOBAL__N_142_validate_compressed_sparse_indices_kernelILNS2_8CDimNameE0ENS2_18CUDAKernelLauncherENS2_14EmptyVecKernelENS2_8DummyVecELm8EEEvRKNS_6TensorESA_lllENKUlvE0_clEvENKUlvE0_clEvEUllE_St5arrayIPcLm2EEEEviT0_T1_
		.amdhsa_group_segment_fixed_size 0
		.amdhsa_private_segment_fixed_size 0
		.amdhsa_kernarg_size 40
		.amdhsa_user_sgpr_count 2
		.amdhsa_user_sgpr_dispatch_ptr 0
		.amdhsa_user_sgpr_queue_ptr 0
		.amdhsa_user_sgpr_kernarg_segment_ptr 1
		.amdhsa_user_sgpr_dispatch_id 0
		.amdhsa_user_sgpr_kernarg_preload_length 0
		.amdhsa_user_sgpr_kernarg_preload_offset 0
		.amdhsa_user_sgpr_private_segment_size 0
		.amdhsa_wavefront_size32 1
		.amdhsa_uses_dynamic_stack 0
		.amdhsa_enable_private_segment 0
		.amdhsa_system_sgpr_workgroup_id_x 1
		.amdhsa_system_sgpr_workgroup_id_y 0
		.amdhsa_system_sgpr_workgroup_id_z 0
		.amdhsa_system_sgpr_workgroup_info 0
		.amdhsa_system_vgpr_workitem_id 0
		.amdhsa_next_free_vgpr 12
		.amdhsa_next_free_sgpr 28
		.amdhsa_named_barrier_count 0
		.amdhsa_reserve_vcc 1
		.amdhsa_float_round_mode_32 0
		.amdhsa_float_round_mode_16_64 0
		.amdhsa_float_denorm_mode_32 3
		.amdhsa_float_denorm_mode_16_64 3
		.amdhsa_fp16_overflow 0
		.amdhsa_memory_ordered 1
		.amdhsa_forward_progress 1
		.amdhsa_inst_pref_size 13
		.amdhsa_round_robin_scheduling 0
		.amdhsa_exception_fp_ieee_invalid_op 0
		.amdhsa_exception_fp_denorm_src 0
		.amdhsa_exception_fp_ieee_div_zero 0
		.amdhsa_exception_fp_ieee_overflow 0
		.amdhsa_exception_fp_ieee_underflow 0
		.amdhsa_exception_fp_ieee_inexact 0
		.amdhsa_exception_int_div_zero 0
	.end_amdhsa_kernel
	.section	.text._ZN2at6native29vectorized_elementwise_kernelILi16EZZZNS0_12_GLOBAL__N_142_validate_compressed_sparse_indices_kernelILNS2_8CDimNameE0ENS2_18CUDAKernelLauncherENS2_14EmptyVecKernelENS2_8DummyVecELm8EEEvRKNS_6TensorESA_lllENKUlvE0_clEvENKUlvE0_clEvEUllE_St5arrayIPcLm2EEEEviT0_T1_,"axG",@progbits,_ZN2at6native29vectorized_elementwise_kernelILi16EZZZNS0_12_GLOBAL__N_142_validate_compressed_sparse_indices_kernelILNS2_8CDimNameE0ENS2_18CUDAKernelLauncherENS2_14EmptyVecKernelENS2_8DummyVecELm8EEEvRKNS_6TensorESA_lllENKUlvE0_clEvENKUlvE0_clEvEUllE_St5arrayIPcLm2EEEEviT0_T1_,comdat
.Lfunc_end8:
	.size	_ZN2at6native29vectorized_elementwise_kernelILi16EZZZNS0_12_GLOBAL__N_142_validate_compressed_sparse_indices_kernelILNS2_8CDimNameE0ENS2_18CUDAKernelLauncherENS2_14EmptyVecKernelENS2_8DummyVecELm8EEEvRKNS_6TensorESA_lllENKUlvE0_clEvENKUlvE0_clEvEUllE_St5arrayIPcLm2EEEEviT0_T1_, .Lfunc_end8-_ZN2at6native29vectorized_elementwise_kernelILi16EZZZNS0_12_GLOBAL__N_142_validate_compressed_sparse_indices_kernelILNS2_8CDimNameE0ENS2_18CUDAKernelLauncherENS2_14EmptyVecKernelENS2_8DummyVecELm8EEEvRKNS_6TensorESA_lllENKUlvE0_clEvENKUlvE0_clEvEUllE_St5arrayIPcLm2EEEEviT0_T1_
                                        ; -- End function
	.set _ZN2at6native29vectorized_elementwise_kernelILi16EZZZNS0_12_GLOBAL__N_142_validate_compressed_sparse_indices_kernelILNS2_8CDimNameE0ENS2_18CUDAKernelLauncherENS2_14EmptyVecKernelENS2_8DummyVecELm8EEEvRKNS_6TensorESA_lllENKUlvE0_clEvENKUlvE0_clEvEUllE_St5arrayIPcLm2EEEEviT0_T1_.num_vgpr, 12
	.set _ZN2at6native29vectorized_elementwise_kernelILi16EZZZNS0_12_GLOBAL__N_142_validate_compressed_sparse_indices_kernelILNS2_8CDimNameE0ENS2_18CUDAKernelLauncherENS2_14EmptyVecKernelENS2_8DummyVecELm8EEEvRKNS_6TensorESA_lllENKUlvE0_clEvENKUlvE0_clEvEUllE_St5arrayIPcLm2EEEEviT0_T1_.num_agpr, 0
	.set _ZN2at6native29vectorized_elementwise_kernelILi16EZZZNS0_12_GLOBAL__N_142_validate_compressed_sparse_indices_kernelILNS2_8CDimNameE0ENS2_18CUDAKernelLauncherENS2_14EmptyVecKernelENS2_8DummyVecELm8EEEvRKNS_6TensorESA_lllENKUlvE0_clEvENKUlvE0_clEvEUllE_St5arrayIPcLm2EEEEviT0_T1_.numbered_sgpr, 28
	.set _ZN2at6native29vectorized_elementwise_kernelILi16EZZZNS0_12_GLOBAL__N_142_validate_compressed_sparse_indices_kernelILNS2_8CDimNameE0ENS2_18CUDAKernelLauncherENS2_14EmptyVecKernelENS2_8DummyVecELm8EEEvRKNS_6TensorESA_lllENKUlvE0_clEvENKUlvE0_clEvEUllE_St5arrayIPcLm2EEEEviT0_T1_.num_named_barrier, 0
	.set _ZN2at6native29vectorized_elementwise_kernelILi16EZZZNS0_12_GLOBAL__N_142_validate_compressed_sparse_indices_kernelILNS2_8CDimNameE0ENS2_18CUDAKernelLauncherENS2_14EmptyVecKernelENS2_8DummyVecELm8EEEvRKNS_6TensorESA_lllENKUlvE0_clEvENKUlvE0_clEvEUllE_St5arrayIPcLm2EEEEviT0_T1_.private_seg_size, 0
	.set _ZN2at6native29vectorized_elementwise_kernelILi16EZZZNS0_12_GLOBAL__N_142_validate_compressed_sparse_indices_kernelILNS2_8CDimNameE0ENS2_18CUDAKernelLauncherENS2_14EmptyVecKernelENS2_8DummyVecELm8EEEvRKNS_6TensorESA_lllENKUlvE0_clEvENKUlvE0_clEvEUllE_St5arrayIPcLm2EEEEviT0_T1_.uses_vcc, 1
	.set _ZN2at6native29vectorized_elementwise_kernelILi16EZZZNS0_12_GLOBAL__N_142_validate_compressed_sparse_indices_kernelILNS2_8CDimNameE0ENS2_18CUDAKernelLauncherENS2_14EmptyVecKernelENS2_8DummyVecELm8EEEvRKNS_6TensorESA_lllENKUlvE0_clEvENKUlvE0_clEvEUllE_St5arrayIPcLm2EEEEviT0_T1_.uses_flat_scratch, 0
	.set _ZN2at6native29vectorized_elementwise_kernelILi16EZZZNS0_12_GLOBAL__N_142_validate_compressed_sparse_indices_kernelILNS2_8CDimNameE0ENS2_18CUDAKernelLauncherENS2_14EmptyVecKernelENS2_8DummyVecELm8EEEvRKNS_6TensorESA_lllENKUlvE0_clEvENKUlvE0_clEvEUllE_St5arrayIPcLm2EEEEviT0_T1_.has_dyn_sized_stack, 0
	.set _ZN2at6native29vectorized_elementwise_kernelILi16EZZZNS0_12_GLOBAL__N_142_validate_compressed_sparse_indices_kernelILNS2_8CDimNameE0ENS2_18CUDAKernelLauncherENS2_14EmptyVecKernelENS2_8DummyVecELm8EEEvRKNS_6TensorESA_lllENKUlvE0_clEvENKUlvE0_clEvEUllE_St5arrayIPcLm2EEEEviT0_T1_.has_recursion, 0
	.set _ZN2at6native29vectorized_elementwise_kernelILi16EZZZNS0_12_GLOBAL__N_142_validate_compressed_sparse_indices_kernelILNS2_8CDimNameE0ENS2_18CUDAKernelLauncherENS2_14EmptyVecKernelENS2_8DummyVecELm8EEEvRKNS_6TensorESA_lllENKUlvE0_clEvENKUlvE0_clEvEUllE_St5arrayIPcLm2EEEEviT0_T1_.has_indirect_call, 0
	.section	.AMDGPU.csdata,"",@progbits
; Kernel info:
; codeLenInByte = 1580
; TotalNumSgprs: 30
; NumVgprs: 12
; ScratchSize: 0
; MemoryBound: 1
; FloatMode: 240
; IeeeMode: 1
; LDSByteSize: 0 bytes/workgroup (compile time only)
; SGPRBlocks: 0
; VGPRBlocks: 0
; NumSGPRsForWavesPerEU: 30
; NumVGPRsForWavesPerEU: 12
; NamedBarCnt: 0
; Occupancy: 16
; WaveLimiterHint : 0
; COMPUTE_PGM_RSRC2:SCRATCH_EN: 0
; COMPUTE_PGM_RSRC2:USER_SGPR: 2
; COMPUTE_PGM_RSRC2:TRAP_HANDLER: 0
; COMPUTE_PGM_RSRC2:TGID_X_EN: 1
; COMPUTE_PGM_RSRC2:TGID_Y_EN: 0
; COMPUTE_PGM_RSRC2:TGID_Z_EN: 0
; COMPUTE_PGM_RSRC2:TIDIG_COMP_CNT: 0
	.section	.text._ZN2at6native29vectorized_elementwise_kernelILi8EZZZNS0_12_GLOBAL__N_142_validate_compressed_sparse_indices_kernelILNS2_8CDimNameE0ENS2_18CUDAKernelLauncherENS2_14EmptyVecKernelENS2_8DummyVecELm8EEEvRKNS_6TensorESA_lllENKUlvE0_clEvENKUlvE0_clEvEUllE_St5arrayIPcLm2EEEEviT0_T1_,"axG",@progbits,_ZN2at6native29vectorized_elementwise_kernelILi8EZZZNS0_12_GLOBAL__N_142_validate_compressed_sparse_indices_kernelILNS2_8CDimNameE0ENS2_18CUDAKernelLauncherENS2_14EmptyVecKernelENS2_8DummyVecELm8EEEvRKNS_6TensorESA_lllENKUlvE0_clEvENKUlvE0_clEvEUllE_St5arrayIPcLm2EEEEviT0_T1_,comdat
	.globl	_ZN2at6native29vectorized_elementwise_kernelILi8EZZZNS0_12_GLOBAL__N_142_validate_compressed_sparse_indices_kernelILNS2_8CDimNameE0ENS2_18CUDAKernelLauncherENS2_14EmptyVecKernelENS2_8DummyVecELm8EEEvRKNS_6TensorESA_lllENKUlvE0_clEvENKUlvE0_clEvEUllE_St5arrayIPcLm2EEEEviT0_T1_ ; -- Begin function _ZN2at6native29vectorized_elementwise_kernelILi8EZZZNS0_12_GLOBAL__N_142_validate_compressed_sparse_indices_kernelILNS2_8CDimNameE0ENS2_18CUDAKernelLauncherENS2_14EmptyVecKernelENS2_8DummyVecELm8EEEvRKNS_6TensorESA_lllENKUlvE0_clEvENKUlvE0_clEvEUllE_St5arrayIPcLm2EEEEviT0_T1_
	.p2align	8
	.type	_ZN2at6native29vectorized_elementwise_kernelILi8EZZZNS0_12_GLOBAL__N_142_validate_compressed_sparse_indices_kernelILNS2_8CDimNameE0ENS2_18CUDAKernelLauncherENS2_14EmptyVecKernelENS2_8DummyVecELm8EEEvRKNS_6TensorESA_lllENKUlvE0_clEvENKUlvE0_clEvEUllE_St5arrayIPcLm2EEEEviT0_T1_,@function
_ZN2at6native29vectorized_elementwise_kernelILi8EZZZNS0_12_GLOBAL__N_142_validate_compressed_sparse_indices_kernelILNS2_8CDimNameE0ENS2_18CUDAKernelLauncherENS2_14EmptyVecKernelENS2_8DummyVecELm8EEEvRKNS_6TensorESA_lllENKUlvE0_clEvENKUlvE0_clEvEUllE_St5arrayIPcLm2EEEEviT0_T1_: ; @_ZN2at6native29vectorized_elementwise_kernelILi8EZZZNS0_12_GLOBAL__N_142_validate_compressed_sparse_indices_kernelILNS2_8CDimNameE0ENS2_18CUDAKernelLauncherENS2_14EmptyVecKernelENS2_8DummyVecELm8EEEvRKNS_6TensorESA_lllENKUlvE0_clEvENKUlvE0_clEvEUllE_St5arrayIPcLm2EEEEviT0_T1_
; %bb.0:
	s_clause 0x1
	s_load_b32 s3, s[0:1], 0x0
	s_load_b256 s[4:11], s[0:1], 0x8
	s_wait_xcnt 0x0
	s_bfe_u32 s0, ttmp6, 0x4000c
	s_and_b32 s1, ttmp6, 15
	s_add_co_i32 s0, s0, 1
	s_getreg_b32 s2, hwreg(HW_REG_IB_STS2, 6, 4)
	s_mul_i32 s0, ttmp9, s0
	s_mov_b32 s18, 0
	s_add_co_i32 s1, s1, s0
	s_cmp_eq_u32 s2, 0
	s_get_pc_i64 s[12:13]
	s_add_nc_u64 s[12:13], s[12:13], .str@rel64+4
	s_cselect_b32 s0, ttmp9, s1
	s_delay_alu instid0(SALU_CYCLE_1)
	s_lshl_b32 s2, s0, 10
	s_mov_b32 s0, -1
	s_wait_kmcnt 0x0
	s_sub_co_i32 s1, s3, s2
	s_mov_b32 s3, 0
	s_cmp_gt_i32 s1, 0x3ff
	s_cbranch_scc0 .LBB9_13
; %bb.1:
	s_cmp_eq_u64 s[12:13], 0
	s_cselect_b32 s19, -1, 0
	s_cmp_lg_u64 s[12:13], 0
	s_cbranch_scc0 .LBB9_11
; %bb.2:
	s_ashr_i32 s3, s2, 31
	v_lshlrev_b32_e32 v6, 5, v0
	s_lshl_b64 s[14:15], s[2:3], 3
	s_delay_alu instid0(SALU_CYCLE_1)
	s_add_nc_u64 s[16:17], s[10:11], s[14:15]
	global_load_b64 v[2:3], v6, s[16:17]
	s_wait_loadcnt 0x0
	v_cmp_le_i64_e32 vcc_lo, s[4:5], v[2:3]
	v_cmp_gt_i64_e64 s0, s[6:7], v[2:3]
	s_and_b32 s0, vcc_lo, s0
	s_delay_alu instid0(SALU_CYCLE_1)
	s_xor_b32 s19, s0, -1
	s_and_saveexec_b32 s3, s0
	s_cbranch_execz .LBB9_10
; %bb.3:
	v_mov_b32_e32 v7, 0
	s_delay_alu instid0(VALU_DEP_1)
	v_add_nc_u64_e32 v[10:11], s[16:17], v[6:7]
	s_clause 0x1
	global_load_b128 v[2:5], v[10:11], off offset:8
	global_load_b64 v[8:9], v[10:11], off offset:24
	s_wait_loadcnt 0x1
	v_cmp_le_i64_e32 vcc_lo, s[4:5], v[2:3]
	v_cmp_gt_i64_e64 s0, s[6:7], v[2:3]
	s_and_b32 s0, vcc_lo, s0
	s_delay_alu instid0(SALU_CYCLE_1)
	s_xor_b32 s16, s0, -1
	s_wait_xcnt 0x0
	s_and_saveexec_b32 s17, s0
	s_cbranch_execz .LBB9_9
; %bb.4:
	v_cmp_le_i64_e32 vcc_lo, s[4:5], v[4:5]
	v_cmp_gt_i64_e64 s0, s[6:7], v[4:5]
	s_mov_b32 s22, -1
	s_and_b32 s0, vcc_lo, s0
	s_delay_alu instid0(SALU_CYCLE_1)
	s_xor_b32 s20, s0, -1
	s_and_saveexec_b32 s21, s0
	s_cbranch_execz .LBB9_8
; %bb.5:
	s_wait_loadcnt 0x0
	v_cmp_le_i64_e32 vcc_lo, s[4:5], v[8:9]
	v_cmp_gt_i64_e64 s0, s[6:7], v[8:9]
	s_and_b32 s0, vcc_lo, s0
	s_delay_alu instid0(SALU_CYCLE_1) | instskip(NEXT) | instid1(SALU_CYCLE_1)
	s_and_saveexec_b32 s23, s0
	s_xor_b32 s0, exec_lo, s23
; %bb.6:
	s_mov_b32 s24, 0
	s_add_nc_u64 s[14:15], s[8:9], s[14:15]
	s_mov_b32 s25, s24
	s_mov_b32 s26, s24
	;; [unrolled: 1-line block ×3, first 2 shown]
	v_mov_b64_e32 v[2:3], s[24:25]
	v_mov_b64_e32 v[4:5], s[26:27]
	s_xor_b32 s22, exec_lo, -1
	s_clause 0x1
	global_store_b128 v6, v[2:5], s[14:15]
	global_store_b128 v6, v[2:5], s[14:15] offset:16
; %bb.7:
	s_wait_xcnt 0x0
	s_or_b32 exec_lo, exec_lo, s0
	s_delay_alu instid0(SALU_CYCLE_1) | instskip(SKIP_1) | instid1(SALU_CYCLE_1)
	s_and_not1_b32 s0, s20, exec_lo
	s_and_b32 s14, s22, exec_lo
	s_or_b32 s20, s0, s14
.LBB9_8:
	s_or_b32 exec_lo, exec_lo, s21
	s_delay_alu instid0(SALU_CYCLE_1) | instskip(SKIP_1) | instid1(SALU_CYCLE_1)
	s_and_not1_b32 s0, s16, exec_lo
	s_and_b32 s14, s20, exec_lo
	s_or_b32 s16, s0, s14
.LBB9_9:
	s_or_b32 exec_lo, exec_lo, s17
	s_delay_alu instid0(SALU_CYCLE_1) | instskip(SKIP_1) | instid1(SALU_CYCLE_1)
	s_and_not1_b32 s0, s19, exec_lo
	s_and_b32 s14, s16, exec_lo
	s_or_b32 s19, s0, s14
.LBB9_10:
	s_or_b32 exec_lo, exec_lo, s3
.LBB9_11:
	s_mov_b32 s0, 0
	s_mov_b32 s3, 0
	s_and_saveexec_b32 s14, s19
	s_delay_alu instid0(SALU_CYCLE_1)
	s_xor_b32 s14, exec_lo, s14
	s_cbranch_execnz .LBB9_51
.LBB9_12:
	s_or_b32 exec_lo, exec_lo, s14
.LBB9_13:
	s_delay_alu instid0(SALU_CYCLE_1)
	s_and_b32 vcc_lo, exec_lo, s0
	s_cbranch_vccz .LBB9_26
; %bb.14:
	v_mov_b64_e32 v[4:5], 0
	s_wait_loadcnt 0x0
	v_mov_b64_e32 v[8:9], 0
	v_cmp_le_i32_e64 s15, s1, v0
	v_cmp_gt_i32_e64 s14, s1, v0
	v_or_b32_e32 v1, 0x100, v0
	v_mov_b32_e32 v10, v0
	s_and_saveexec_b32 s0, s14
	s_cbranch_execz .LBB9_16
; %bb.15:
	v_or_b32_e32 v2, s2, v0
	v_or_b32_e32 v10, 0x100, v0
	global_load_b64 v[8:9], v2, s[10:11] scale_offset
.LBB9_16:
	s_wait_xcnt 0x0
	s_or_b32 exec_lo, exec_lo, s0
	s_delay_alu instid0(SALU_CYCLE_1)
	s_mov_b32 s0, exec_lo
	v_cmpx_gt_i32_e64 s1, v10
	s_cbranch_execz .LBB9_18
; %bb.17:
	v_add_nc_u32_e32 v2, s2, v10
	v_add_nc_u32_e32 v10, 0x100, v10
	global_load_b64 v[4:5], v2, s[10:11] scale_offset
.LBB9_18:
	s_wait_xcnt 0x0
	s_or_b32 exec_lo, exec_lo, s0
	v_mov_b64_e32 v[2:3], 0
	v_mov_b64_e32 v[6:7], 0
	s_mov_b32 s0, exec_lo
	v_cmpx_gt_i32_e64 s1, v10
	s_cbranch_execz .LBB9_20
; %bb.19:
	v_add_nc_u32_e32 v6, s2, v10
	v_add_nc_u32_e32 v10, 0x100, v10
	global_load_b64 v[6:7], v6, s[10:11] scale_offset
.LBB9_20:
	s_wait_xcnt 0x0
	s_or_b32 exec_lo, exec_lo, s0
	s_delay_alu instid0(SALU_CYCLE_1)
	s_mov_b32 s0, exec_lo
	v_cmpx_gt_i32_e64 s1, v10
	s_cbranch_execz .LBB9_22
; %bb.21:
	v_add_nc_u32_e32 v2, s2, v10
	global_load_b64 v[2:3], v2, s[10:11] scale_offset
.LBB9_22:
	s_wait_xcnt 0x0
	s_or_b32 exec_lo, exec_lo, s0
	s_cmp_lg_u64 s[12:13], 0
	s_mov_b32 s10, 0
	s_cselect_b32 s12, -1, 0
	s_and_saveexec_b32 s11, s14
	s_cbranch_execnz .LBB9_35
; %bb.23:
	s_or_b32 exec_lo, exec_lo, s11
	s_and_saveexec_b32 s11, s15
	s_cbranch_execnz .LBB9_36
.LBB9_24:
	s_or_b32 exec_lo, exec_lo, s11
	s_and_saveexec_b32 s0, s10
	s_cbranch_execnz .LBB9_47
.LBB9_25:
	s_or_b32 exec_lo, exec_lo, s0
	s_and_saveexec_b32 s0, s3
	s_cbranch_execnz .LBB9_27
	s_branch .LBB9_28
.LBB9_26:
                                        ; implicit-def: $sgpr14
                                        ; implicit-def: $vgpr1
                                        ; implicit-def: $vgpr0
	s_and_saveexec_b32 s0, s3
.LBB9_27:
	; divergent unreachable
.LBB9_28:
	s_delay_alu instid0(SALU_CYCLE_1) | instskip(SKIP_1) | instid1(SALU_CYCLE_1)
	s_or_b32 exec_lo, exec_lo, s0
	s_and_saveexec_b32 s0, s18
	s_xor_b32 s0, exec_lo, s0
	s_cbranch_execz .LBB9_34
; %bb.29:
	s_and_saveexec_b32 s0, s14
	s_delay_alu instid0(SALU_CYCLE_1)
	s_xor_b32 s0, exec_lo, s0
	s_cbranch_execnz .LBB9_48
; %bb.30:
	s_or_b32 exec_lo, exec_lo, s0
	s_delay_alu instid0(SALU_CYCLE_1)
	s_mov_b32 s0, exec_lo
	v_cmpx_gt_i32_e64 s1, v0
	s_cbranch_execnz .LBB9_49
.LBB9_31:
	s_or_b32 exec_lo, exec_lo, s0
	s_delay_alu instid0(SALU_CYCLE_1)
	s_mov_b32 s0, exec_lo
	v_cmpx_gt_i32_e64 s1, v0
	s_cbranch_execnz .LBB9_50
.LBB9_32:
	s_or_b32 exec_lo, exec_lo, s0
	s_delay_alu instid0(SALU_CYCLE_1)
	s_mov_b32 s0, exec_lo
	v_cmpx_gt_i32_e64 s1, v0
	s_cbranch_execz .LBB9_34
.LBB9_33:
	s_wait_loadcnt 0x0
	v_mov_b64_e32 v[2:3], 0
	v_add_nc_u32_e32 v0, s2, v0
	global_store_b64 v0, v[2:3], s[8:9] scale_offset
.LBB9_34:
	s_endpgm
.LBB9_35:
	s_wait_loadcnt 0x0
	v_cmp_le_i64_e32 vcc_lo, s[4:5], v[8:9]
	v_cmp_gt_i64_e64 s0, s[6:7], v[8:9]
	s_and_not1_b32 s13, s15, exec_lo
	s_mov_b32 s10, exec_lo
	s_and_b32 s0, vcc_lo, s0
	s_delay_alu instid0(SALU_CYCLE_1) | instskip(NEXT) | instid1(SALU_CYCLE_1)
	s_and_b32 s0, s12, s0
	s_and_b32 s0, s0, exec_lo
	s_delay_alu instid0(SALU_CYCLE_1)
	s_or_b32 s15, s13, s0
	s_or_b32 exec_lo, exec_lo, s11
	s_and_saveexec_b32 s11, s15
	s_cbranch_execz .LBB9_24
.LBB9_36:
	v_cmp_le_i32_e64 s17, s1, v1
	s_mov_b32 s16, 0
	s_mov_b32 s13, 0
	s_mov_b32 s15, exec_lo
	v_cmpx_gt_i32_e64 s1, v1
	s_cbranch_execz .LBB9_38
; %bb.37:
	s_wait_loadcnt 0x0
	v_cmp_le_i64_e32 vcc_lo, s[4:5], v[4:5]
	v_cmp_gt_i64_e64 s0, s[6:7], v[4:5]
	s_and_not1_b32 s17, s17, exec_lo
	s_mov_b32 s13, exec_lo
	s_and_b32 s0, vcc_lo, s0
	s_delay_alu instid0(SALU_CYCLE_1) | instskip(NEXT) | instid1(SALU_CYCLE_1)
	s_and_b32 s0, s12, s0
	s_and_b32 s0, s0, exec_lo
	s_delay_alu instid0(SALU_CYCLE_1)
	s_or_b32 s17, s17, s0
.LBB9_38:
	s_or_b32 exec_lo, exec_lo, s15
	s_and_saveexec_b32 s15, s17
	s_cbranch_execz .LBB9_46
; %bb.39:
	s_wait_loadcnt 0x0
	v_or_b32_e32 v4, 0x200, v0
	s_mov_b32 s17, exec_lo
	s_delay_alu instid0(VALU_DEP_1)
	v_cmp_le_i32_e64 s19, s1, v4
	v_cmpx_gt_i32_e64 s1, v4
; %bb.40:
	v_cmp_le_i64_e32 vcc_lo, s[4:5], v[6:7]
	v_cmp_gt_i64_e64 s0, s[6:7], v[6:7]
	s_and_not1_b32 s19, s19, exec_lo
	s_mov_b32 s16, exec_lo
	s_and_b32 s0, vcc_lo, s0
	s_delay_alu instid0(SALU_CYCLE_1) | instskip(NEXT) | instid1(SALU_CYCLE_1)
	s_and_b32 s0, s12, s0
	s_and_b32 s0, s0, exec_lo
	s_delay_alu instid0(SALU_CYCLE_1)
	s_or_b32 s19, s19, s0
; %bb.41:
	s_or_b32 exec_lo, exec_lo, s17
	s_and_saveexec_b32 s17, s19
	s_cbranch_execz .LBB9_45
; %bb.42:
	v_or_b32_e32 v4, 0x300, v0
	s_mov_b32 s0, 0
	s_mov_b32 s19, exec_lo
	s_delay_alu instid0(VALU_DEP_1)
	v_cmp_le_i32_e64 s18, s1, v4
	v_cmpx_gt_i32_e64 s1, v4
	s_xor_b32 s19, exec_lo, s19
; %bb.43:
	v_cmp_le_i64_e32 vcc_lo, s[4:5], v[2:3]
	v_cmp_gt_i64_e64 s0, s[6:7], v[2:3]
	s_or_b32 s18, s18, exec_lo
	s_and_b32 s0, vcc_lo, s0
	s_delay_alu instid0(SALU_CYCLE_1) | instskip(NEXT) | instid1(SALU_CYCLE_1)
	s_and_b32 s0, s12, s0
	s_xor_b32 s0, s0, -1
	s_delay_alu instid0(SALU_CYCLE_1)
	s_and_b32 s0, s0, exec_lo
; %bb.44:
	s_or_b32 exec_lo, exec_lo, s19
	s_delay_alu instid0(SALU_CYCLE_1)
	s_and_not1_b32 s4, s16, exec_lo
	s_and_b32 s0, s0, exec_lo
	s_and_b32 s18, s18, exec_lo
	s_or_b32 s16, s4, s0
.LBB9_45:
	s_or_b32 exec_lo, exec_lo, s17
	s_delay_alu instid0(SALU_CYCLE_1)
	s_and_not1_b32 s0, s13, exec_lo
	s_and_b32 s4, s16, exec_lo
	s_and_b32 s16, s18, exec_lo
	s_or_b32 s13, s0, s4
.LBB9_46:
	s_or_b32 exec_lo, exec_lo, s15
	s_delay_alu instid0(SALU_CYCLE_1)
	s_and_not1_b32 s0, s10, exec_lo
	s_and_b32 s4, s13, exec_lo
	s_and_b32 s18, s16, exec_lo
	s_or_b32 s10, s0, s4
	s_or_b32 exec_lo, exec_lo, s11
	s_and_saveexec_b32 s0, s10
	s_cbranch_execz .LBB9_25
.LBB9_47:
	s_and_not1_b32 s18, s18, exec_lo
	s_or_b32 s3, s3, exec_lo
	s_trap 2
	s_or_b32 exec_lo, exec_lo, s0
	s_and_saveexec_b32 s0, s3
	s_cbranch_execnz .LBB9_27
	s_branch .LBB9_28
.LBB9_48:
	s_wait_loadcnt 0x0
	v_mov_b64_e32 v[2:3], 0
	v_dual_mov_b32 v0, v1 :: v_dual_bitop2_b32 v4, s2, v0 bitop3:0x54
	global_store_b64 v4, v[2:3], s[8:9] scale_offset
	s_wait_xcnt 0x0
	s_or_b32 exec_lo, exec_lo, s0
	s_delay_alu instid0(SALU_CYCLE_1)
	s_mov_b32 s0, exec_lo
	v_cmpx_gt_i32_e64 s1, v0
	s_cbranch_execz .LBB9_31
.LBB9_49:
	s_wait_loadcnt 0x0
	v_mov_b64_e32 v[2:3], 0
	v_add_nc_u32_e32 v1, s2, v0
	v_add_nc_u32_e32 v0, 0x100, v0
	global_store_b64 v1, v[2:3], s[8:9] scale_offset
	s_wait_xcnt 0x0
	s_or_b32 exec_lo, exec_lo, s0
	s_delay_alu instid0(SALU_CYCLE_1)
	s_mov_b32 s0, exec_lo
	v_cmpx_gt_i32_e64 s1, v0
	s_cbranch_execz .LBB9_32
.LBB9_50:
	s_wait_loadcnt 0x0
	v_mov_b64_e32 v[2:3], 0
	v_add_nc_u32_e32 v1, s2, v0
	v_add_nc_u32_e32 v0, 0x100, v0
	global_store_b64 v1, v[2:3], s[8:9] scale_offset
	s_wait_xcnt 0x0
	s_or_b32 exec_lo, exec_lo, s0
	s_delay_alu instid0(SALU_CYCLE_1)
	s_mov_b32 s0, exec_lo
	v_cmpx_gt_i32_e64 s1, v0
	s_cbranch_execnz .LBB9_33
	s_branch .LBB9_34
.LBB9_51:
	s_mov_b32 s3, exec_lo
	s_trap 2
	s_branch .LBB9_12
	.section	.rodata,"a",@progbits
	.p2align	6, 0x0
	.amdhsa_kernel _ZN2at6native29vectorized_elementwise_kernelILi8EZZZNS0_12_GLOBAL__N_142_validate_compressed_sparse_indices_kernelILNS2_8CDimNameE0ENS2_18CUDAKernelLauncherENS2_14EmptyVecKernelENS2_8DummyVecELm8EEEvRKNS_6TensorESA_lllENKUlvE0_clEvENKUlvE0_clEvEUllE_St5arrayIPcLm2EEEEviT0_T1_
		.amdhsa_group_segment_fixed_size 0
		.amdhsa_private_segment_fixed_size 0
		.amdhsa_kernarg_size 40
		.amdhsa_user_sgpr_count 2
		.amdhsa_user_sgpr_dispatch_ptr 0
		.amdhsa_user_sgpr_queue_ptr 0
		.amdhsa_user_sgpr_kernarg_segment_ptr 1
		.amdhsa_user_sgpr_dispatch_id 0
		.amdhsa_user_sgpr_kernarg_preload_length 0
		.amdhsa_user_sgpr_kernarg_preload_offset 0
		.amdhsa_user_sgpr_private_segment_size 0
		.amdhsa_wavefront_size32 1
		.amdhsa_uses_dynamic_stack 0
		.amdhsa_enable_private_segment 0
		.amdhsa_system_sgpr_workgroup_id_x 1
		.amdhsa_system_sgpr_workgroup_id_y 0
		.amdhsa_system_sgpr_workgroup_id_z 0
		.amdhsa_system_sgpr_workgroup_info 0
		.amdhsa_system_vgpr_workitem_id 0
		.amdhsa_next_free_vgpr 12
		.amdhsa_next_free_sgpr 28
		.amdhsa_named_barrier_count 0
		.amdhsa_reserve_vcc 1
		.amdhsa_float_round_mode_32 0
		.amdhsa_float_round_mode_16_64 0
		.amdhsa_float_denorm_mode_32 3
		.amdhsa_float_denorm_mode_16_64 3
		.amdhsa_fp16_overflow 0
		.amdhsa_memory_ordered 1
		.amdhsa_forward_progress 1
		.amdhsa_inst_pref_size 13
		.amdhsa_round_robin_scheduling 0
		.amdhsa_exception_fp_ieee_invalid_op 0
		.amdhsa_exception_fp_denorm_src 0
		.amdhsa_exception_fp_ieee_div_zero 0
		.amdhsa_exception_fp_ieee_overflow 0
		.amdhsa_exception_fp_ieee_underflow 0
		.amdhsa_exception_fp_ieee_inexact 0
		.amdhsa_exception_int_div_zero 0
	.end_amdhsa_kernel
	.section	.text._ZN2at6native29vectorized_elementwise_kernelILi8EZZZNS0_12_GLOBAL__N_142_validate_compressed_sparse_indices_kernelILNS2_8CDimNameE0ENS2_18CUDAKernelLauncherENS2_14EmptyVecKernelENS2_8DummyVecELm8EEEvRKNS_6TensorESA_lllENKUlvE0_clEvENKUlvE0_clEvEUllE_St5arrayIPcLm2EEEEviT0_T1_,"axG",@progbits,_ZN2at6native29vectorized_elementwise_kernelILi8EZZZNS0_12_GLOBAL__N_142_validate_compressed_sparse_indices_kernelILNS2_8CDimNameE0ENS2_18CUDAKernelLauncherENS2_14EmptyVecKernelENS2_8DummyVecELm8EEEvRKNS_6TensorESA_lllENKUlvE0_clEvENKUlvE0_clEvEUllE_St5arrayIPcLm2EEEEviT0_T1_,comdat
.Lfunc_end9:
	.size	_ZN2at6native29vectorized_elementwise_kernelILi8EZZZNS0_12_GLOBAL__N_142_validate_compressed_sparse_indices_kernelILNS2_8CDimNameE0ENS2_18CUDAKernelLauncherENS2_14EmptyVecKernelENS2_8DummyVecELm8EEEvRKNS_6TensorESA_lllENKUlvE0_clEvENKUlvE0_clEvEUllE_St5arrayIPcLm2EEEEviT0_T1_, .Lfunc_end9-_ZN2at6native29vectorized_elementwise_kernelILi8EZZZNS0_12_GLOBAL__N_142_validate_compressed_sparse_indices_kernelILNS2_8CDimNameE0ENS2_18CUDAKernelLauncherENS2_14EmptyVecKernelENS2_8DummyVecELm8EEEvRKNS_6TensorESA_lllENKUlvE0_clEvENKUlvE0_clEvEUllE_St5arrayIPcLm2EEEEviT0_T1_
                                        ; -- End function
	.set _ZN2at6native29vectorized_elementwise_kernelILi8EZZZNS0_12_GLOBAL__N_142_validate_compressed_sparse_indices_kernelILNS2_8CDimNameE0ENS2_18CUDAKernelLauncherENS2_14EmptyVecKernelENS2_8DummyVecELm8EEEvRKNS_6TensorESA_lllENKUlvE0_clEvENKUlvE0_clEvEUllE_St5arrayIPcLm2EEEEviT0_T1_.num_vgpr, 12
	.set _ZN2at6native29vectorized_elementwise_kernelILi8EZZZNS0_12_GLOBAL__N_142_validate_compressed_sparse_indices_kernelILNS2_8CDimNameE0ENS2_18CUDAKernelLauncherENS2_14EmptyVecKernelENS2_8DummyVecELm8EEEvRKNS_6TensorESA_lllENKUlvE0_clEvENKUlvE0_clEvEUllE_St5arrayIPcLm2EEEEviT0_T1_.num_agpr, 0
	.set _ZN2at6native29vectorized_elementwise_kernelILi8EZZZNS0_12_GLOBAL__N_142_validate_compressed_sparse_indices_kernelILNS2_8CDimNameE0ENS2_18CUDAKernelLauncherENS2_14EmptyVecKernelENS2_8DummyVecELm8EEEvRKNS_6TensorESA_lllENKUlvE0_clEvENKUlvE0_clEvEUllE_St5arrayIPcLm2EEEEviT0_T1_.numbered_sgpr, 28
	.set _ZN2at6native29vectorized_elementwise_kernelILi8EZZZNS0_12_GLOBAL__N_142_validate_compressed_sparse_indices_kernelILNS2_8CDimNameE0ENS2_18CUDAKernelLauncherENS2_14EmptyVecKernelENS2_8DummyVecELm8EEEvRKNS_6TensorESA_lllENKUlvE0_clEvENKUlvE0_clEvEUllE_St5arrayIPcLm2EEEEviT0_T1_.num_named_barrier, 0
	.set _ZN2at6native29vectorized_elementwise_kernelILi8EZZZNS0_12_GLOBAL__N_142_validate_compressed_sparse_indices_kernelILNS2_8CDimNameE0ENS2_18CUDAKernelLauncherENS2_14EmptyVecKernelENS2_8DummyVecELm8EEEvRKNS_6TensorESA_lllENKUlvE0_clEvENKUlvE0_clEvEUllE_St5arrayIPcLm2EEEEviT0_T1_.private_seg_size, 0
	.set _ZN2at6native29vectorized_elementwise_kernelILi8EZZZNS0_12_GLOBAL__N_142_validate_compressed_sparse_indices_kernelILNS2_8CDimNameE0ENS2_18CUDAKernelLauncherENS2_14EmptyVecKernelENS2_8DummyVecELm8EEEvRKNS_6TensorESA_lllENKUlvE0_clEvENKUlvE0_clEvEUllE_St5arrayIPcLm2EEEEviT0_T1_.uses_vcc, 1
	.set _ZN2at6native29vectorized_elementwise_kernelILi8EZZZNS0_12_GLOBAL__N_142_validate_compressed_sparse_indices_kernelILNS2_8CDimNameE0ENS2_18CUDAKernelLauncherENS2_14EmptyVecKernelENS2_8DummyVecELm8EEEvRKNS_6TensorESA_lllENKUlvE0_clEvENKUlvE0_clEvEUllE_St5arrayIPcLm2EEEEviT0_T1_.uses_flat_scratch, 0
	.set _ZN2at6native29vectorized_elementwise_kernelILi8EZZZNS0_12_GLOBAL__N_142_validate_compressed_sparse_indices_kernelILNS2_8CDimNameE0ENS2_18CUDAKernelLauncherENS2_14EmptyVecKernelENS2_8DummyVecELm8EEEvRKNS_6TensorESA_lllENKUlvE0_clEvENKUlvE0_clEvEUllE_St5arrayIPcLm2EEEEviT0_T1_.has_dyn_sized_stack, 0
	.set _ZN2at6native29vectorized_elementwise_kernelILi8EZZZNS0_12_GLOBAL__N_142_validate_compressed_sparse_indices_kernelILNS2_8CDimNameE0ENS2_18CUDAKernelLauncherENS2_14EmptyVecKernelENS2_8DummyVecELm8EEEvRKNS_6TensorESA_lllENKUlvE0_clEvENKUlvE0_clEvEUllE_St5arrayIPcLm2EEEEviT0_T1_.has_recursion, 0
	.set _ZN2at6native29vectorized_elementwise_kernelILi8EZZZNS0_12_GLOBAL__N_142_validate_compressed_sparse_indices_kernelILNS2_8CDimNameE0ENS2_18CUDAKernelLauncherENS2_14EmptyVecKernelENS2_8DummyVecELm8EEEvRKNS_6TensorESA_lllENKUlvE0_clEvENKUlvE0_clEvEUllE_St5arrayIPcLm2EEEEviT0_T1_.has_indirect_call, 0
	.section	.AMDGPU.csdata,"",@progbits
; Kernel info:
; codeLenInByte = 1580
; TotalNumSgprs: 30
; NumVgprs: 12
; ScratchSize: 0
; MemoryBound: 1
; FloatMode: 240
; IeeeMode: 1
; LDSByteSize: 0 bytes/workgroup (compile time only)
; SGPRBlocks: 0
; VGPRBlocks: 0
; NumSGPRsForWavesPerEU: 30
; NumVGPRsForWavesPerEU: 12
; NamedBarCnt: 0
; Occupancy: 16
; WaveLimiterHint : 0
; COMPUTE_PGM_RSRC2:SCRATCH_EN: 0
; COMPUTE_PGM_RSRC2:USER_SGPR: 2
; COMPUTE_PGM_RSRC2:TRAP_HANDLER: 0
; COMPUTE_PGM_RSRC2:TGID_X_EN: 1
; COMPUTE_PGM_RSRC2:TGID_Y_EN: 0
; COMPUTE_PGM_RSRC2:TGID_Z_EN: 0
; COMPUTE_PGM_RSRC2:TIDIG_COMP_CNT: 0
	.section	.text._ZN2at6native29vectorized_elementwise_kernelILi4EZZZNS0_12_GLOBAL__N_142_validate_compressed_sparse_indices_kernelILNS2_8CDimNameE0ENS2_18CUDAKernelLauncherENS2_14EmptyVecKernelENS2_8DummyVecELm8EEEvRKNS_6TensorESA_lllENKUlvE0_clEvENKUlvE0_clEvEUllE_St5arrayIPcLm2EEEEviT0_T1_,"axG",@progbits,_ZN2at6native29vectorized_elementwise_kernelILi4EZZZNS0_12_GLOBAL__N_142_validate_compressed_sparse_indices_kernelILNS2_8CDimNameE0ENS2_18CUDAKernelLauncherENS2_14EmptyVecKernelENS2_8DummyVecELm8EEEvRKNS_6TensorESA_lllENKUlvE0_clEvENKUlvE0_clEvEUllE_St5arrayIPcLm2EEEEviT0_T1_,comdat
	.globl	_ZN2at6native29vectorized_elementwise_kernelILi4EZZZNS0_12_GLOBAL__N_142_validate_compressed_sparse_indices_kernelILNS2_8CDimNameE0ENS2_18CUDAKernelLauncherENS2_14EmptyVecKernelENS2_8DummyVecELm8EEEvRKNS_6TensorESA_lllENKUlvE0_clEvENKUlvE0_clEvEUllE_St5arrayIPcLm2EEEEviT0_T1_ ; -- Begin function _ZN2at6native29vectorized_elementwise_kernelILi4EZZZNS0_12_GLOBAL__N_142_validate_compressed_sparse_indices_kernelILNS2_8CDimNameE0ENS2_18CUDAKernelLauncherENS2_14EmptyVecKernelENS2_8DummyVecELm8EEEvRKNS_6TensorESA_lllENKUlvE0_clEvENKUlvE0_clEvEUllE_St5arrayIPcLm2EEEEviT0_T1_
	.p2align	8
	.type	_ZN2at6native29vectorized_elementwise_kernelILi4EZZZNS0_12_GLOBAL__N_142_validate_compressed_sparse_indices_kernelILNS2_8CDimNameE0ENS2_18CUDAKernelLauncherENS2_14EmptyVecKernelENS2_8DummyVecELm8EEEvRKNS_6TensorESA_lllENKUlvE0_clEvENKUlvE0_clEvEUllE_St5arrayIPcLm2EEEEviT0_T1_,@function
_ZN2at6native29vectorized_elementwise_kernelILi4EZZZNS0_12_GLOBAL__N_142_validate_compressed_sparse_indices_kernelILNS2_8CDimNameE0ENS2_18CUDAKernelLauncherENS2_14EmptyVecKernelENS2_8DummyVecELm8EEEvRKNS_6TensorESA_lllENKUlvE0_clEvENKUlvE0_clEvEUllE_St5arrayIPcLm2EEEEviT0_T1_: ; @_ZN2at6native29vectorized_elementwise_kernelILi4EZZZNS0_12_GLOBAL__N_142_validate_compressed_sparse_indices_kernelILNS2_8CDimNameE0ENS2_18CUDAKernelLauncherENS2_14EmptyVecKernelENS2_8DummyVecELm8EEEvRKNS_6TensorESA_lllENKUlvE0_clEvENKUlvE0_clEvEUllE_St5arrayIPcLm2EEEEviT0_T1_
; %bb.0:
	s_clause 0x1
	s_load_b32 s3, s[0:1], 0x0
	s_load_b256 s[4:11], s[0:1], 0x8
	s_wait_xcnt 0x0
	s_bfe_u32 s0, ttmp6, 0x4000c
	s_and_b32 s1, ttmp6, 15
	s_add_co_i32 s0, s0, 1
	s_getreg_b32 s2, hwreg(HW_REG_IB_STS2, 6, 4)
	s_mul_i32 s0, ttmp9, s0
	s_mov_b32 s18, 0
	s_add_co_i32 s1, s1, s0
	s_cmp_eq_u32 s2, 0
	s_get_pc_i64 s[12:13]
	s_add_nc_u64 s[12:13], s[12:13], .str@rel64+4
	s_cselect_b32 s0, ttmp9, s1
	s_delay_alu instid0(SALU_CYCLE_1)
	s_lshl_b32 s2, s0, 10
	s_mov_b32 s0, -1
	s_wait_kmcnt 0x0
	s_sub_co_i32 s1, s3, s2
	s_mov_b32 s3, 0
	s_cmp_gt_i32 s1, 0x3ff
	s_cbranch_scc0 .LBB10_13
; %bb.1:
	s_cmp_eq_u64 s[12:13], 0
	s_cselect_b32 s19, -1, 0
	s_cmp_lg_u64 s[12:13], 0
	s_cbranch_scc0 .LBB10_11
; %bb.2:
	s_ashr_i32 s3, s2, 31
	v_lshlrev_b32_e32 v6, 5, v0
	s_lshl_b64 s[14:15], s[2:3], 3
	s_delay_alu instid0(SALU_CYCLE_1)
	s_add_nc_u64 s[16:17], s[10:11], s[14:15]
	global_load_b64 v[2:3], v6, s[16:17]
	s_wait_loadcnt 0x0
	v_cmp_le_i64_e32 vcc_lo, s[4:5], v[2:3]
	v_cmp_gt_i64_e64 s0, s[6:7], v[2:3]
	s_and_b32 s0, vcc_lo, s0
	s_delay_alu instid0(SALU_CYCLE_1)
	s_xor_b32 s19, s0, -1
	s_and_saveexec_b32 s3, s0
	s_cbranch_execz .LBB10_10
; %bb.3:
	v_mov_b32_e32 v7, 0
	s_delay_alu instid0(VALU_DEP_1)
	v_add_nc_u64_e32 v[10:11], s[16:17], v[6:7]
	s_clause 0x1
	global_load_b128 v[2:5], v[10:11], off offset:8
	global_load_b64 v[8:9], v[10:11], off offset:24
	s_wait_loadcnt 0x1
	v_cmp_le_i64_e32 vcc_lo, s[4:5], v[2:3]
	v_cmp_gt_i64_e64 s0, s[6:7], v[2:3]
	s_and_b32 s0, vcc_lo, s0
	s_delay_alu instid0(SALU_CYCLE_1)
	s_xor_b32 s16, s0, -1
	s_wait_xcnt 0x0
	s_and_saveexec_b32 s17, s0
	s_cbranch_execz .LBB10_9
; %bb.4:
	v_cmp_le_i64_e32 vcc_lo, s[4:5], v[4:5]
	v_cmp_gt_i64_e64 s0, s[6:7], v[4:5]
	s_mov_b32 s22, -1
	s_and_b32 s0, vcc_lo, s0
	s_delay_alu instid0(SALU_CYCLE_1)
	s_xor_b32 s20, s0, -1
	s_and_saveexec_b32 s21, s0
	s_cbranch_execz .LBB10_8
; %bb.5:
	s_wait_loadcnt 0x0
	v_cmp_le_i64_e32 vcc_lo, s[4:5], v[8:9]
	v_cmp_gt_i64_e64 s0, s[6:7], v[8:9]
	s_and_b32 s0, vcc_lo, s0
	s_delay_alu instid0(SALU_CYCLE_1) | instskip(NEXT) | instid1(SALU_CYCLE_1)
	s_and_saveexec_b32 s23, s0
	s_xor_b32 s0, exec_lo, s23
; %bb.6:
	s_mov_b32 s24, 0
	s_add_nc_u64 s[14:15], s[8:9], s[14:15]
	s_mov_b32 s25, s24
	s_mov_b32 s26, s24
	;; [unrolled: 1-line block ×3, first 2 shown]
	v_mov_b64_e32 v[2:3], s[24:25]
	v_mov_b64_e32 v[4:5], s[26:27]
	s_xor_b32 s22, exec_lo, -1
	s_clause 0x1
	global_store_b128 v6, v[2:5], s[14:15]
	global_store_b128 v6, v[2:5], s[14:15] offset:16
; %bb.7:
	s_wait_xcnt 0x0
	s_or_b32 exec_lo, exec_lo, s0
	s_delay_alu instid0(SALU_CYCLE_1) | instskip(SKIP_1) | instid1(SALU_CYCLE_1)
	s_and_not1_b32 s0, s20, exec_lo
	s_and_b32 s14, s22, exec_lo
	s_or_b32 s20, s0, s14
.LBB10_8:
	s_or_b32 exec_lo, exec_lo, s21
	s_delay_alu instid0(SALU_CYCLE_1) | instskip(SKIP_1) | instid1(SALU_CYCLE_1)
	s_and_not1_b32 s0, s16, exec_lo
	s_and_b32 s14, s20, exec_lo
	s_or_b32 s16, s0, s14
.LBB10_9:
	s_or_b32 exec_lo, exec_lo, s17
	s_delay_alu instid0(SALU_CYCLE_1) | instskip(SKIP_1) | instid1(SALU_CYCLE_1)
	s_and_not1_b32 s0, s19, exec_lo
	s_and_b32 s14, s16, exec_lo
	s_or_b32 s19, s0, s14
.LBB10_10:
	s_or_b32 exec_lo, exec_lo, s3
.LBB10_11:
	s_mov_b32 s0, 0
	s_mov_b32 s3, 0
	s_and_saveexec_b32 s14, s19
	s_delay_alu instid0(SALU_CYCLE_1)
	s_xor_b32 s14, exec_lo, s14
	s_cbranch_execnz .LBB10_51
.LBB10_12:
	s_or_b32 exec_lo, exec_lo, s14
.LBB10_13:
	s_delay_alu instid0(SALU_CYCLE_1)
	s_and_b32 vcc_lo, exec_lo, s0
	s_cbranch_vccz .LBB10_26
; %bb.14:
	v_mov_b64_e32 v[4:5], 0
	s_wait_loadcnt 0x0
	v_mov_b64_e32 v[8:9], 0
	v_cmp_le_i32_e64 s15, s1, v0
	v_cmp_gt_i32_e64 s14, s1, v0
	v_or_b32_e32 v1, 0x100, v0
	v_mov_b32_e32 v10, v0
	s_and_saveexec_b32 s0, s14
	s_cbranch_execz .LBB10_16
; %bb.15:
	v_or_b32_e32 v2, s2, v0
	v_or_b32_e32 v10, 0x100, v0
	global_load_b64 v[8:9], v2, s[10:11] scale_offset
.LBB10_16:
	s_wait_xcnt 0x0
	s_or_b32 exec_lo, exec_lo, s0
	s_delay_alu instid0(SALU_CYCLE_1)
	s_mov_b32 s0, exec_lo
	v_cmpx_gt_i32_e64 s1, v10
	s_cbranch_execz .LBB10_18
; %bb.17:
	v_add_nc_u32_e32 v2, s2, v10
	v_add_nc_u32_e32 v10, 0x100, v10
	global_load_b64 v[4:5], v2, s[10:11] scale_offset
.LBB10_18:
	s_wait_xcnt 0x0
	s_or_b32 exec_lo, exec_lo, s0
	v_mov_b64_e32 v[2:3], 0
	v_mov_b64_e32 v[6:7], 0
	s_mov_b32 s0, exec_lo
	v_cmpx_gt_i32_e64 s1, v10
	s_cbranch_execz .LBB10_20
; %bb.19:
	v_add_nc_u32_e32 v6, s2, v10
	v_add_nc_u32_e32 v10, 0x100, v10
	global_load_b64 v[6:7], v6, s[10:11] scale_offset
.LBB10_20:
	s_wait_xcnt 0x0
	s_or_b32 exec_lo, exec_lo, s0
	s_delay_alu instid0(SALU_CYCLE_1)
	s_mov_b32 s0, exec_lo
	v_cmpx_gt_i32_e64 s1, v10
	s_cbranch_execz .LBB10_22
; %bb.21:
	v_add_nc_u32_e32 v2, s2, v10
	global_load_b64 v[2:3], v2, s[10:11] scale_offset
.LBB10_22:
	s_wait_xcnt 0x0
	s_or_b32 exec_lo, exec_lo, s0
	s_cmp_lg_u64 s[12:13], 0
	s_mov_b32 s10, 0
	s_cselect_b32 s12, -1, 0
	s_and_saveexec_b32 s11, s14
	s_cbranch_execnz .LBB10_35
; %bb.23:
	s_or_b32 exec_lo, exec_lo, s11
	s_and_saveexec_b32 s11, s15
	s_cbranch_execnz .LBB10_36
.LBB10_24:
	s_or_b32 exec_lo, exec_lo, s11
	s_and_saveexec_b32 s0, s10
	s_cbranch_execnz .LBB10_47
.LBB10_25:
	s_or_b32 exec_lo, exec_lo, s0
	s_and_saveexec_b32 s0, s3
	s_cbranch_execnz .LBB10_27
	s_branch .LBB10_28
.LBB10_26:
                                        ; implicit-def: $sgpr14
                                        ; implicit-def: $vgpr1
                                        ; implicit-def: $vgpr0
	s_and_saveexec_b32 s0, s3
.LBB10_27:
	; divergent unreachable
.LBB10_28:
	s_delay_alu instid0(SALU_CYCLE_1) | instskip(SKIP_1) | instid1(SALU_CYCLE_1)
	s_or_b32 exec_lo, exec_lo, s0
	s_and_saveexec_b32 s0, s18
	s_xor_b32 s0, exec_lo, s0
	s_cbranch_execz .LBB10_34
; %bb.29:
	s_and_saveexec_b32 s0, s14
	s_delay_alu instid0(SALU_CYCLE_1)
	s_xor_b32 s0, exec_lo, s0
	s_cbranch_execnz .LBB10_48
; %bb.30:
	s_or_b32 exec_lo, exec_lo, s0
	s_delay_alu instid0(SALU_CYCLE_1)
	s_mov_b32 s0, exec_lo
	v_cmpx_gt_i32_e64 s1, v0
	s_cbranch_execnz .LBB10_49
.LBB10_31:
	s_or_b32 exec_lo, exec_lo, s0
	s_delay_alu instid0(SALU_CYCLE_1)
	s_mov_b32 s0, exec_lo
	v_cmpx_gt_i32_e64 s1, v0
	s_cbranch_execnz .LBB10_50
.LBB10_32:
	s_or_b32 exec_lo, exec_lo, s0
	s_delay_alu instid0(SALU_CYCLE_1)
	s_mov_b32 s0, exec_lo
	v_cmpx_gt_i32_e64 s1, v0
	s_cbranch_execz .LBB10_34
.LBB10_33:
	s_wait_loadcnt 0x0
	v_mov_b64_e32 v[2:3], 0
	v_add_nc_u32_e32 v0, s2, v0
	global_store_b64 v0, v[2:3], s[8:9] scale_offset
.LBB10_34:
	s_endpgm
.LBB10_35:
	s_wait_loadcnt 0x0
	v_cmp_le_i64_e32 vcc_lo, s[4:5], v[8:9]
	v_cmp_gt_i64_e64 s0, s[6:7], v[8:9]
	s_and_not1_b32 s13, s15, exec_lo
	s_mov_b32 s10, exec_lo
	s_and_b32 s0, vcc_lo, s0
	s_delay_alu instid0(SALU_CYCLE_1) | instskip(NEXT) | instid1(SALU_CYCLE_1)
	s_and_b32 s0, s12, s0
	s_and_b32 s0, s0, exec_lo
	s_delay_alu instid0(SALU_CYCLE_1)
	s_or_b32 s15, s13, s0
	s_or_b32 exec_lo, exec_lo, s11
	s_and_saveexec_b32 s11, s15
	s_cbranch_execz .LBB10_24
.LBB10_36:
	v_cmp_le_i32_e64 s17, s1, v1
	s_mov_b32 s16, 0
	s_mov_b32 s13, 0
	s_mov_b32 s15, exec_lo
	v_cmpx_gt_i32_e64 s1, v1
	s_cbranch_execz .LBB10_38
; %bb.37:
	s_wait_loadcnt 0x0
	v_cmp_le_i64_e32 vcc_lo, s[4:5], v[4:5]
	v_cmp_gt_i64_e64 s0, s[6:7], v[4:5]
	s_and_not1_b32 s17, s17, exec_lo
	s_mov_b32 s13, exec_lo
	s_and_b32 s0, vcc_lo, s0
	s_delay_alu instid0(SALU_CYCLE_1) | instskip(NEXT) | instid1(SALU_CYCLE_1)
	s_and_b32 s0, s12, s0
	s_and_b32 s0, s0, exec_lo
	s_delay_alu instid0(SALU_CYCLE_1)
	s_or_b32 s17, s17, s0
.LBB10_38:
	s_or_b32 exec_lo, exec_lo, s15
	s_and_saveexec_b32 s15, s17
	s_cbranch_execz .LBB10_46
; %bb.39:
	s_wait_loadcnt 0x0
	v_or_b32_e32 v4, 0x200, v0
	s_mov_b32 s17, exec_lo
	s_delay_alu instid0(VALU_DEP_1)
	v_cmp_le_i32_e64 s19, s1, v4
	v_cmpx_gt_i32_e64 s1, v4
; %bb.40:
	v_cmp_le_i64_e32 vcc_lo, s[4:5], v[6:7]
	v_cmp_gt_i64_e64 s0, s[6:7], v[6:7]
	s_and_not1_b32 s19, s19, exec_lo
	s_mov_b32 s16, exec_lo
	s_and_b32 s0, vcc_lo, s0
	s_delay_alu instid0(SALU_CYCLE_1) | instskip(NEXT) | instid1(SALU_CYCLE_1)
	s_and_b32 s0, s12, s0
	s_and_b32 s0, s0, exec_lo
	s_delay_alu instid0(SALU_CYCLE_1)
	s_or_b32 s19, s19, s0
; %bb.41:
	s_or_b32 exec_lo, exec_lo, s17
	s_and_saveexec_b32 s17, s19
	s_cbranch_execz .LBB10_45
; %bb.42:
	v_or_b32_e32 v4, 0x300, v0
	s_mov_b32 s0, 0
	s_mov_b32 s19, exec_lo
	s_delay_alu instid0(VALU_DEP_1)
	v_cmp_le_i32_e64 s18, s1, v4
	v_cmpx_gt_i32_e64 s1, v4
	s_xor_b32 s19, exec_lo, s19
; %bb.43:
	v_cmp_le_i64_e32 vcc_lo, s[4:5], v[2:3]
	v_cmp_gt_i64_e64 s0, s[6:7], v[2:3]
	s_or_b32 s18, s18, exec_lo
	s_and_b32 s0, vcc_lo, s0
	s_delay_alu instid0(SALU_CYCLE_1) | instskip(NEXT) | instid1(SALU_CYCLE_1)
	s_and_b32 s0, s12, s0
	s_xor_b32 s0, s0, -1
	s_delay_alu instid0(SALU_CYCLE_1)
	s_and_b32 s0, s0, exec_lo
; %bb.44:
	s_or_b32 exec_lo, exec_lo, s19
	s_delay_alu instid0(SALU_CYCLE_1)
	s_and_not1_b32 s4, s16, exec_lo
	s_and_b32 s0, s0, exec_lo
	s_and_b32 s18, s18, exec_lo
	s_or_b32 s16, s4, s0
.LBB10_45:
	s_or_b32 exec_lo, exec_lo, s17
	s_delay_alu instid0(SALU_CYCLE_1)
	s_and_not1_b32 s0, s13, exec_lo
	s_and_b32 s4, s16, exec_lo
	s_and_b32 s16, s18, exec_lo
	s_or_b32 s13, s0, s4
.LBB10_46:
	s_or_b32 exec_lo, exec_lo, s15
	s_delay_alu instid0(SALU_CYCLE_1)
	s_and_not1_b32 s0, s10, exec_lo
	s_and_b32 s4, s13, exec_lo
	s_and_b32 s18, s16, exec_lo
	s_or_b32 s10, s0, s4
	s_or_b32 exec_lo, exec_lo, s11
	s_and_saveexec_b32 s0, s10
	s_cbranch_execz .LBB10_25
.LBB10_47:
	s_and_not1_b32 s18, s18, exec_lo
	s_or_b32 s3, s3, exec_lo
	s_trap 2
	s_or_b32 exec_lo, exec_lo, s0
	s_and_saveexec_b32 s0, s3
	s_cbranch_execnz .LBB10_27
	s_branch .LBB10_28
.LBB10_48:
	s_wait_loadcnt 0x0
	v_mov_b64_e32 v[2:3], 0
	v_dual_mov_b32 v0, v1 :: v_dual_bitop2_b32 v4, s2, v0 bitop3:0x54
	global_store_b64 v4, v[2:3], s[8:9] scale_offset
	s_wait_xcnt 0x0
	s_or_b32 exec_lo, exec_lo, s0
	s_delay_alu instid0(SALU_CYCLE_1)
	s_mov_b32 s0, exec_lo
	v_cmpx_gt_i32_e64 s1, v0
	s_cbranch_execz .LBB10_31
.LBB10_49:
	s_wait_loadcnt 0x0
	v_mov_b64_e32 v[2:3], 0
	v_add_nc_u32_e32 v1, s2, v0
	v_add_nc_u32_e32 v0, 0x100, v0
	global_store_b64 v1, v[2:3], s[8:9] scale_offset
	s_wait_xcnt 0x0
	s_or_b32 exec_lo, exec_lo, s0
	s_delay_alu instid0(SALU_CYCLE_1)
	s_mov_b32 s0, exec_lo
	v_cmpx_gt_i32_e64 s1, v0
	s_cbranch_execz .LBB10_32
.LBB10_50:
	s_wait_loadcnt 0x0
	v_mov_b64_e32 v[2:3], 0
	v_add_nc_u32_e32 v1, s2, v0
	v_add_nc_u32_e32 v0, 0x100, v0
	global_store_b64 v1, v[2:3], s[8:9] scale_offset
	s_wait_xcnt 0x0
	s_or_b32 exec_lo, exec_lo, s0
	s_delay_alu instid0(SALU_CYCLE_1)
	s_mov_b32 s0, exec_lo
	v_cmpx_gt_i32_e64 s1, v0
	s_cbranch_execnz .LBB10_33
	s_branch .LBB10_34
.LBB10_51:
	s_mov_b32 s3, exec_lo
	s_trap 2
	s_branch .LBB10_12
	.section	.rodata,"a",@progbits
	.p2align	6, 0x0
	.amdhsa_kernel _ZN2at6native29vectorized_elementwise_kernelILi4EZZZNS0_12_GLOBAL__N_142_validate_compressed_sparse_indices_kernelILNS2_8CDimNameE0ENS2_18CUDAKernelLauncherENS2_14EmptyVecKernelENS2_8DummyVecELm8EEEvRKNS_6TensorESA_lllENKUlvE0_clEvENKUlvE0_clEvEUllE_St5arrayIPcLm2EEEEviT0_T1_
		.amdhsa_group_segment_fixed_size 0
		.amdhsa_private_segment_fixed_size 0
		.amdhsa_kernarg_size 40
		.amdhsa_user_sgpr_count 2
		.amdhsa_user_sgpr_dispatch_ptr 0
		.amdhsa_user_sgpr_queue_ptr 0
		.amdhsa_user_sgpr_kernarg_segment_ptr 1
		.amdhsa_user_sgpr_dispatch_id 0
		.amdhsa_user_sgpr_kernarg_preload_length 0
		.amdhsa_user_sgpr_kernarg_preload_offset 0
		.amdhsa_user_sgpr_private_segment_size 0
		.amdhsa_wavefront_size32 1
		.amdhsa_uses_dynamic_stack 0
		.amdhsa_enable_private_segment 0
		.amdhsa_system_sgpr_workgroup_id_x 1
		.amdhsa_system_sgpr_workgroup_id_y 0
		.amdhsa_system_sgpr_workgroup_id_z 0
		.amdhsa_system_sgpr_workgroup_info 0
		.amdhsa_system_vgpr_workitem_id 0
		.amdhsa_next_free_vgpr 12
		.amdhsa_next_free_sgpr 28
		.amdhsa_named_barrier_count 0
		.amdhsa_reserve_vcc 1
		.amdhsa_float_round_mode_32 0
		.amdhsa_float_round_mode_16_64 0
		.amdhsa_float_denorm_mode_32 3
		.amdhsa_float_denorm_mode_16_64 3
		.amdhsa_fp16_overflow 0
		.amdhsa_memory_ordered 1
		.amdhsa_forward_progress 1
		.amdhsa_inst_pref_size 13
		.amdhsa_round_robin_scheduling 0
		.amdhsa_exception_fp_ieee_invalid_op 0
		.amdhsa_exception_fp_denorm_src 0
		.amdhsa_exception_fp_ieee_div_zero 0
		.amdhsa_exception_fp_ieee_overflow 0
		.amdhsa_exception_fp_ieee_underflow 0
		.amdhsa_exception_fp_ieee_inexact 0
		.amdhsa_exception_int_div_zero 0
	.end_amdhsa_kernel
	.section	.text._ZN2at6native29vectorized_elementwise_kernelILi4EZZZNS0_12_GLOBAL__N_142_validate_compressed_sparse_indices_kernelILNS2_8CDimNameE0ENS2_18CUDAKernelLauncherENS2_14EmptyVecKernelENS2_8DummyVecELm8EEEvRKNS_6TensorESA_lllENKUlvE0_clEvENKUlvE0_clEvEUllE_St5arrayIPcLm2EEEEviT0_T1_,"axG",@progbits,_ZN2at6native29vectorized_elementwise_kernelILi4EZZZNS0_12_GLOBAL__N_142_validate_compressed_sparse_indices_kernelILNS2_8CDimNameE0ENS2_18CUDAKernelLauncherENS2_14EmptyVecKernelENS2_8DummyVecELm8EEEvRKNS_6TensorESA_lllENKUlvE0_clEvENKUlvE0_clEvEUllE_St5arrayIPcLm2EEEEviT0_T1_,comdat
.Lfunc_end10:
	.size	_ZN2at6native29vectorized_elementwise_kernelILi4EZZZNS0_12_GLOBAL__N_142_validate_compressed_sparse_indices_kernelILNS2_8CDimNameE0ENS2_18CUDAKernelLauncherENS2_14EmptyVecKernelENS2_8DummyVecELm8EEEvRKNS_6TensorESA_lllENKUlvE0_clEvENKUlvE0_clEvEUllE_St5arrayIPcLm2EEEEviT0_T1_, .Lfunc_end10-_ZN2at6native29vectorized_elementwise_kernelILi4EZZZNS0_12_GLOBAL__N_142_validate_compressed_sparse_indices_kernelILNS2_8CDimNameE0ENS2_18CUDAKernelLauncherENS2_14EmptyVecKernelENS2_8DummyVecELm8EEEvRKNS_6TensorESA_lllENKUlvE0_clEvENKUlvE0_clEvEUllE_St5arrayIPcLm2EEEEviT0_T1_
                                        ; -- End function
	.set _ZN2at6native29vectorized_elementwise_kernelILi4EZZZNS0_12_GLOBAL__N_142_validate_compressed_sparse_indices_kernelILNS2_8CDimNameE0ENS2_18CUDAKernelLauncherENS2_14EmptyVecKernelENS2_8DummyVecELm8EEEvRKNS_6TensorESA_lllENKUlvE0_clEvENKUlvE0_clEvEUllE_St5arrayIPcLm2EEEEviT0_T1_.num_vgpr, 12
	.set _ZN2at6native29vectorized_elementwise_kernelILi4EZZZNS0_12_GLOBAL__N_142_validate_compressed_sparse_indices_kernelILNS2_8CDimNameE0ENS2_18CUDAKernelLauncherENS2_14EmptyVecKernelENS2_8DummyVecELm8EEEvRKNS_6TensorESA_lllENKUlvE0_clEvENKUlvE0_clEvEUllE_St5arrayIPcLm2EEEEviT0_T1_.num_agpr, 0
	.set _ZN2at6native29vectorized_elementwise_kernelILi4EZZZNS0_12_GLOBAL__N_142_validate_compressed_sparse_indices_kernelILNS2_8CDimNameE0ENS2_18CUDAKernelLauncherENS2_14EmptyVecKernelENS2_8DummyVecELm8EEEvRKNS_6TensorESA_lllENKUlvE0_clEvENKUlvE0_clEvEUllE_St5arrayIPcLm2EEEEviT0_T1_.numbered_sgpr, 28
	.set _ZN2at6native29vectorized_elementwise_kernelILi4EZZZNS0_12_GLOBAL__N_142_validate_compressed_sparse_indices_kernelILNS2_8CDimNameE0ENS2_18CUDAKernelLauncherENS2_14EmptyVecKernelENS2_8DummyVecELm8EEEvRKNS_6TensorESA_lllENKUlvE0_clEvENKUlvE0_clEvEUllE_St5arrayIPcLm2EEEEviT0_T1_.num_named_barrier, 0
	.set _ZN2at6native29vectorized_elementwise_kernelILi4EZZZNS0_12_GLOBAL__N_142_validate_compressed_sparse_indices_kernelILNS2_8CDimNameE0ENS2_18CUDAKernelLauncherENS2_14EmptyVecKernelENS2_8DummyVecELm8EEEvRKNS_6TensorESA_lllENKUlvE0_clEvENKUlvE0_clEvEUllE_St5arrayIPcLm2EEEEviT0_T1_.private_seg_size, 0
	.set _ZN2at6native29vectorized_elementwise_kernelILi4EZZZNS0_12_GLOBAL__N_142_validate_compressed_sparse_indices_kernelILNS2_8CDimNameE0ENS2_18CUDAKernelLauncherENS2_14EmptyVecKernelENS2_8DummyVecELm8EEEvRKNS_6TensorESA_lllENKUlvE0_clEvENKUlvE0_clEvEUllE_St5arrayIPcLm2EEEEviT0_T1_.uses_vcc, 1
	.set _ZN2at6native29vectorized_elementwise_kernelILi4EZZZNS0_12_GLOBAL__N_142_validate_compressed_sparse_indices_kernelILNS2_8CDimNameE0ENS2_18CUDAKernelLauncherENS2_14EmptyVecKernelENS2_8DummyVecELm8EEEvRKNS_6TensorESA_lllENKUlvE0_clEvENKUlvE0_clEvEUllE_St5arrayIPcLm2EEEEviT0_T1_.uses_flat_scratch, 0
	.set _ZN2at6native29vectorized_elementwise_kernelILi4EZZZNS0_12_GLOBAL__N_142_validate_compressed_sparse_indices_kernelILNS2_8CDimNameE0ENS2_18CUDAKernelLauncherENS2_14EmptyVecKernelENS2_8DummyVecELm8EEEvRKNS_6TensorESA_lllENKUlvE0_clEvENKUlvE0_clEvEUllE_St5arrayIPcLm2EEEEviT0_T1_.has_dyn_sized_stack, 0
	.set _ZN2at6native29vectorized_elementwise_kernelILi4EZZZNS0_12_GLOBAL__N_142_validate_compressed_sparse_indices_kernelILNS2_8CDimNameE0ENS2_18CUDAKernelLauncherENS2_14EmptyVecKernelENS2_8DummyVecELm8EEEvRKNS_6TensorESA_lllENKUlvE0_clEvENKUlvE0_clEvEUllE_St5arrayIPcLm2EEEEviT0_T1_.has_recursion, 0
	.set _ZN2at6native29vectorized_elementwise_kernelILi4EZZZNS0_12_GLOBAL__N_142_validate_compressed_sparse_indices_kernelILNS2_8CDimNameE0ENS2_18CUDAKernelLauncherENS2_14EmptyVecKernelENS2_8DummyVecELm8EEEvRKNS_6TensorESA_lllENKUlvE0_clEvENKUlvE0_clEvEUllE_St5arrayIPcLm2EEEEviT0_T1_.has_indirect_call, 0
	.section	.AMDGPU.csdata,"",@progbits
; Kernel info:
; codeLenInByte = 1580
; TotalNumSgprs: 30
; NumVgprs: 12
; ScratchSize: 0
; MemoryBound: 1
; FloatMode: 240
; IeeeMode: 1
; LDSByteSize: 0 bytes/workgroup (compile time only)
; SGPRBlocks: 0
; VGPRBlocks: 0
; NumSGPRsForWavesPerEU: 30
; NumVGPRsForWavesPerEU: 12
; NamedBarCnt: 0
; Occupancy: 16
; WaveLimiterHint : 0
; COMPUTE_PGM_RSRC2:SCRATCH_EN: 0
; COMPUTE_PGM_RSRC2:USER_SGPR: 2
; COMPUTE_PGM_RSRC2:TRAP_HANDLER: 0
; COMPUTE_PGM_RSRC2:TGID_X_EN: 1
; COMPUTE_PGM_RSRC2:TGID_Y_EN: 0
; COMPUTE_PGM_RSRC2:TGID_Z_EN: 0
; COMPUTE_PGM_RSRC2:TIDIG_COMP_CNT: 0
	.section	.text._ZN2at6native29vectorized_elementwise_kernelILi2EZZZNS0_12_GLOBAL__N_142_validate_compressed_sparse_indices_kernelILNS2_8CDimNameE0ENS2_18CUDAKernelLauncherENS2_14EmptyVecKernelENS2_8DummyVecELm8EEEvRKNS_6TensorESA_lllENKUlvE0_clEvENKUlvE0_clEvEUllE_St5arrayIPcLm2EEEEviT0_T1_,"axG",@progbits,_ZN2at6native29vectorized_elementwise_kernelILi2EZZZNS0_12_GLOBAL__N_142_validate_compressed_sparse_indices_kernelILNS2_8CDimNameE0ENS2_18CUDAKernelLauncherENS2_14EmptyVecKernelENS2_8DummyVecELm8EEEvRKNS_6TensorESA_lllENKUlvE0_clEvENKUlvE0_clEvEUllE_St5arrayIPcLm2EEEEviT0_T1_,comdat
	.globl	_ZN2at6native29vectorized_elementwise_kernelILi2EZZZNS0_12_GLOBAL__N_142_validate_compressed_sparse_indices_kernelILNS2_8CDimNameE0ENS2_18CUDAKernelLauncherENS2_14EmptyVecKernelENS2_8DummyVecELm8EEEvRKNS_6TensorESA_lllENKUlvE0_clEvENKUlvE0_clEvEUllE_St5arrayIPcLm2EEEEviT0_T1_ ; -- Begin function _ZN2at6native29vectorized_elementwise_kernelILi2EZZZNS0_12_GLOBAL__N_142_validate_compressed_sparse_indices_kernelILNS2_8CDimNameE0ENS2_18CUDAKernelLauncherENS2_14EmptyVecKernelENS2_8DummyVecELm8EEEvRKNS_6TensorESA_lllENKUlvE0_clEvENKUlvE0_clEvEUllE_St5arrayIPcLm2EEEEviT0_T1_
	.p2align	8
	.type	_ZN2at6native29vectorized_elementwise_kernelILi2EZZZNS0_12_GLOBAL__N_142_validate_compressed_sparse_indices_kernelILNS2_8CDimNameE0ENS2_18CUDAKernelLauncherENS2_14EmptyVecKernelENS2_8DummyVecELm8EEEvRKNS_6TensorESA_lllENKUlvE0_clEvENKUlvE0_clEvEUllE_St5arrayIPcLm2EEEEviT0_T1_,@function
_ZN2at6native29vectorized_elementwise_kernelILi2EZZZNS0_12_GLOBAL__N_142_validate_compressed_sparse_indices_kernelILNS2_8CDimNameE0ENS2_18CUDAKernelLauncherENS2_14EmptyVecKernelENS2_8DummyVecELm8EEEvRKNS_6TensorESA_lllENKUlvE0_clEvENKUlvE0_clEvEUllE_St5arrayIPcLm2EEEEviT0_T1_: ; @_ZN2at6native29vectorized_elementwise_kernelILi2EZZZNS0_12_GLOBAL__N_142_validate_compressed_sparse_indices_kernelILNS2_8CDimNameE0ENS2_18CUDAKernelLauncherENS2_14EmptyVecKernelENS2_8DummyVecELm8EEEvRKNS_6TensorESA_lllENKUlvE0_clEvENKUlvE0_clEvEUllE_St5arrayIPcLm2EEEEviT0_T1_
; %bb.0:
	s_clause 0x1
	s_load_b32 s3, s[0:1], 0x0
	s_load_b256 s[4:11], s[0:1], 0x8
	s_wait_xcnt 0x0
	s_bfe_u32 s0, ttmp6, 0x4000c
	s_and_b32 s1, ttmp6, 15
	s_add_co_i32 s0, s0, 1
	s_getreg_b32 s2, hwreg(HW_REG_IB_STS2, 6, 4)
	s_mul_i32 s0, ttmp9, s0
	s_mov_b32 s18, 0
	s_add_co_i32 s1, s1, s0
	s_cmp_eq_u32 s2, 0
	s_get_pc_i64 s[12:13]
	s_add_nc_u64 s[12:13], s[12:13], .str@rel64+4
	s_cselect_b32 s0, ttmp9, s1
	s_delay_alu instid0(SALU_CYCLE_1)
	s_lshl_b32 s2, s0, 10
	s_mov_b32 s0, -1
	s_wait_kmcnt 0x0
	s_sub_co_i32 s1, s3, s2
	s_mov_b32 s3, 0
	s_cmp_gt_i32 s1, 0x3ff
	s_cbranch_scc0 .LBB11_13
; %bb.1:
	s_cmp_eq_u64 s[12:13], 0
	s_cselect_b32 s19, -1, 0
	s_cmp_lg_u64 s[12:13], 0
	s_cbranch_scc0 .LBB11_11
; %bb.2:
	s_ashr_i32 s3, s2, 31
	v_lshlrev_b32_e32 v2, 4, v0
	s_lshl_b64 s[14:15], s[2:3], 3
	s_delay_alu instid0(SALU_CYCLE_1)
	s_add_nc_u64 s[16:17], s[10:11], s[14:15]
	global_load_b64 v[4:5], v2, s[16:17]
	s_wait_loadcnt 0x0
	v_cmp_le_i64_e32 vcc_lo, s[4:5], v[4:5]
	v_cmp_gt_i64_e64 s0, s[6:7], v[4:5]
	s_and_b32 s0, vcc_lo, s0
	s_delay_alu instid0(SALU_CYCLE_1)
	s_xor_b32 s19, s0, -1
	s_and_saveexec_b32 s3, s0
	s_cbranch_execz .LBB11_10
; %bb.3:
	v_mov_b32_e32 v3, 0
	s_delay_alu instid0(VALU_DEP_1)
	v_add_nc_u64_e32 v[2:3], s[16:17], v[2:3]
	global_load_b64 v[4:5], v[2:3], off offset:8
	s_wait_loadcnt 0x0
	v_cmp_le_i64_e32 vcc_lo, s[4:5], v[4:5]
	v_cmp_gt_i64_e64 s0, s[6:7], v[4:5]
	s_and_b32 s0, vcc_lo, s0
	s_delay_alu instid0(SALU_CYCLE_1)
	s_xor_b32 s16, s0, -1
	s_and_saveexec_b32 s17, s0
	s_cbranch_execz .LBB11_9
; %bb.4:
	global_load_b128 v[2:5], v[2:3], off offset:4096
	s_mov_b32 s22, -1
	s_wait_loadcnt 0x0
	v_cmp_le_i64_e32 vcc_lo, s[4:5], v[2:3]
	v_cmp_gt_i64_e64 s0, s[6:7], v[2:3]
	s_and_b32 s0, vcc_lo, s0
	s_delay_alu instid0(SALU_CYCLE_1)
	s_xor_b32 s20, s0, -1
	s_and_saveexec_b32 s21, s0
	s_cbranch_execz .LBB11_8
; %bb.5:
	v_cmp_le_i64_e32 vcc_lo, s[4:5], v[4:5]
	v_cmp_gt_i64_e64 s0, s[6:7], v[4:5]
	s_and_b32 s0, vcc_lo, s0
	s_delay_alu instid0(SALU_CYCLE_1) | instskip(NEXT) | instid1(SALU_CYCLE_1)
	s_and_saveexec_b32 s23, s0
	s_xor_b32 s0, exec_lo, s23
; %bb.6:
	s_mov_b32 s24, 0
	s_add_nc_u64 s[14:15], s[8:9], s[14:15]
	s_mov_b32 s25, s24
	s_mov_b32 s26, s24
	;; [unrolled: 1-line block ×3, first 2 shown]
	v_mov_b64_e32 v[2:3], s[24:25]
	v_mov_b64_e32 v[4:5], s[26:27]
	s_xor_b32 s22, exec_lo, -1
	s_clause 0x1
	global_store_b128 v0, v[2:5], s[14:15] scale_offset
	global_store_b128 v0, v[2:5], s[14:15] offset:4096 scale_offset
; %bb.7:
	s_wait_xcnt 0x0
	s_or_b32 exec_lo, exec_lo, s0
	s_delay_alu instid0(SALU_CYCLE_1) | instskip(SKIP_1) | instid1(SALU_CYCLE_1)
	s_and_not1_b32 s0, s20, exec_lo
	s_and_b32 s14, s22, exec_lo
	s_or_b32 s20, s0, s14
.LBB11_8:
	s_or_b32 exec_lo, exec_lo, s21
	s_delay_alu instid0(SALU_CYCLE_1) | instskip(SKIP_1) | instid1(SALU_CYCLE_1)
	s_and_not1_b32 s0, s16, exec_lo
	s_and_b32 s14, s20, exec_lo
	s_or_b32 s16, s0, s14
.LBB11_9:
	s_or_b32 exec_lo, exec_lo, s17
	s_delay_alu instid0(SALU_CYCLE_1) | instskip(SKIP_1) | instid1(SALU_CYCLE_1)
	s_and_not1_b32 s0, s19, exec_lo
	s_and_b32 s14, s16, exec_lo
	s_or_b32 s19, s0, s14
.LBB11_10:
	s_or_b32 exec_lo, exec_lo, s3
.LBB11_11:
	s_mov_b32 s0, 0
	s_mov_b32 s3, 0
	s_and_saveexec_b32 s14, s19
	s_delay_alu instid0(SALU_CYCLE_1)
	s_xor_b32 s14, exec_lo, s14
	s_cbranch_execnz .LBB11_51
.LBB11_12:
	s_or_b32 exec_lo, exec_lo, s14
.LBB11_13:
	s_delay_alu instid0(SALU_CYCLE_1)
	s_and_b32 vcc_lo, exec_lo, s0
	s_cbranch_vccz .LBB11_26
; %bb.14:
	v_mov_b64_e32 v[4:5], 0
	v_mov_b64_e32 v[8:9], 0
	v_cmp_le_i32_e64 s15, s1, v0
	v_cmp_gt_i32_e64 s14, s1, v0
	v_or_b32_e32 v1, 0x100, v0
	v_mov_b32_e32 v10, v0
	s_and_saveexec_b32 s0, s14
	s_cbranch_execz .LBB11_16
; %bb.15:
	v_or_b32_e32 v2, s2, v0
	v_or_b32_e32 v10, 0x100, v0
	global_load_b64 v[8:9], v2, s[10:11] scale_offset
.LBB11_16:
	s_wait_xcnt 0x0
	s_or_b32 exec_lo, exec_lo, s0
	s_delay_alu instid0(SALU_CYCLE_1)
	s_mov_b32 s0, exec_lo
	v_cmpx_gt_i32_e64 s1, v10
	s_cbranch_execz .LBB11_18
; %bb.17:
	v_add_nc_u32_e32 v2, s2, v10
	v_add_nc_u32_e32 v10, 0x100, v10
	global_load_b64 v[4:5], v2, s[10:11] scale_offset
.LBB11_18:
	s_wait_xcnt 0x0
	s_or_b32 exec_lo, exec_lo, s0
	v_mov_b64_e32 v[2:3], 0
	v_mov_b64_e32 v[6:7], 0
	s_mov_b32 s0, exec_lo
	v_cmpx_gt_i32_e64 s1, v10
	s_cbranch_execz .LBB11_20
; %bb.19:
	v_add_nc_u32_e32 v6, s2, v10
	v_add_nc_u32_e32 v10, 0x100, v10
	global_load_b64 v[6:7], v6, s[10:11] scale_offset
.LBB11_20:
	s_wait_xcnt 0x0
	s_or_b32 exec_lo, exec_lo, s0
	s_delay_alu instid0(SALU_CYCLE_1)
	s_mov_b32 s0, exec_lo
	v_cmpx_gt_i32_e64 s1, v10
	s_cbranch_execz .LBB11_22
; %bb.21:
	v_add_nc_u32_e32 v2, s2, v10
	global_load_b64 v[2:3], v2, s[10:11] scale_offset
.LBB11_22:
	s_wait_xcnt 0x0
	s_or_b32 exec_lo, exec_lo, s0
	s_cmp_lg_u64 s[12:13], 0
	s_mov_b32 s10, 0
	s_cselect_b32 s12, -1, 0
	s_and_saveexec_b32 s11, s14
	s_cbranch_execnz .LBB11_35
; %bb.23:
	s_or_b32 exec_lo, exec_lo, s11
	s_and_saveexec_b32 s11, s15
	s_cbranch_execnz .LBB11_36
.LBB11_24:
	s_or_b32 exec_lo, exec_lo, s11
	s_and_saveexec_b32 s0, s10
	s_cbranch_execnz .LBB11_47
.LBB11_25:
	s_or_b32 exec_lo, exec_lo, s0
	s_and_saveexec_b32 s0, s3
	s_cbranch_execnz .LBB11_27
	s_branch .LBB11_28
.LBB11_26:
                                        ; implicit-def: $sgpr14
                                        ; implicit-def: $vgpr1
                                        ; implicit-def: $vgpr0
	s_and_saveexec_b32 s0, s3
.LBB11_27:
	; divergent unreachable
.LBB11_28:
	s_delay_alu instid0(SALU_CYCLE_1) | instskip(SKIP_1) | instid1(SALU_CYCLE_1)
	s_or_b32 exec_lo, exec_lo, s0
	s_and_saveexec_b32 s0, s18
	s_xor_b32 s0, exec_lo, s0
	s_cbranch_execz .LBB11_34
; %bb.29:
	s_and_saveexec_b32 s0, s14
	s_delay_alu instid0(SALU_CYCLE_1)
	s_xor_b32 s0, exec_lo, s0
	s_cbranch_execnz .LBB11_48
; %bb.30:
	s_or_b32 exec_lo, exec_lo, s0
	s_delay_alu instid0(SALU_CYCLE_1)
	s_mov_b32 s0, exec_lo
	v_cmpx_gt_i32_e64 s1, v0
	s_cbranch_execnz .LBB11_49
.LBB11_31:
	s_or_b32 exec_lo, exec_lo, s0
	s_delay_alu instid0(SALU_CYCLE_1)
	s_mov_b32 s0, exec_lo
	v_cmpx_gt_i32_e64 s1, v0
	s_cbranch_execnz .LBB11_50
.LBB11_32:
	s_or_b32 exec_lo, exec_lo, s0
	s_delay_alu instid0(SALU_CYCLE_1)
	s_mov_b32 s0, exec_lo
	v_cmpx_gt_i32_e64 s1, v0
	s_cbranch_execz .LBB11_34
.LBB11_33:
	s_wait_loadcnt 0x0
	v_mov_b64_e32 v[2:3], 0
	v_add_nc_u32_e32 v0, s2, v0
	global_store_b64 v0, v[2:3], s[8:9] scale_offset
.LBB11_34:
	s_endpgm
.LBB11_35:
	s_wait_loadcnt 0x0
	v_cmp_le_i64_e32 vcc_lo, s[4:5], v[8:9]
	v_cmp_gt_i64_e64 s0, s[6:7], v[8:9]
	s_and_not1_b32 s13, s15, exec_lo
	s_mov_b32 s10, exec_lo
	s_and_b32 s0, vcc_lo, s0
	s_delay_alu instid0(SALU_CYCLE_1) | instskip(NEXT) | instid1(SALU_CYCLE_1)
	s_and_b32 s0, s12, s0
	s_and_b32 s0, s0, exec_lo
	s_delay_alu instid0(SALU_CYCLE_1)
	s_or_b32 s15, s13, s0
	s_or_b32 exec_lo, exec_lo, s11
	s_and_saveexec_b32 s11, s15
	s_cbranch_execz .LBB11_24
.LBB11_36:
	v_cmp_le_i32_e64 s17, s1, v1
	s_mov_b32 s16, 0
	s_mov_b32 s13, 0
	s_mov_b32 s15, exec_lo
	v_cmpx_gt_i32_e64 s1, v1
	s_cbranch_execz .LBB11_38
; %bb.37:
	s_wait_loadcnt 0x0
	v_cmp_le_i64_e32 vcc_lo, s[4:5], v[4:5]
	v_cmp_gt_i64_e64 s0, s[6:7], v[4:5]
	s_and_not1_b32 s17, s17, exec_lo
	s_mov_b32 s13, exec_lo
	s_and_b32 s0, vcc_lo, s0
	s_delay_alu instid0(SALU_CYCLE_1) | instskip(NEXT) | instid1(SALU_CYCLE_1)
	s_and_b32 s0, s12, s0
	s_and_b32 s0, s0, exec_lo
	s_delay_alu instid0(SALU_CYCLE_1)
	s_or_b32 s17, s17, s0
.LBB11_38:
	s_or_b32 exec_lo, exec_lo, s15
	s_and_saveexec_b32 s15, s17
	s_cbranch_execz .LBB11_46
; %bb.39:
	s_wait_loadcnt 0x0
	v_or_b32_e32 v4, 0x200, v0
	s_mov_b32 s17, exec_lo
	s_delay_alu instid0(VALU_DEP_1)
	v_cmp_le_i32_e64 s19, s1, v4
	v_cmpx_gt_i32_e64 s1, v4
; %bb.40:
	v_cmp_le_i64_e32 vcc_lo, s[4:5], v[6:7]
	v_cmp_gt_i64_e64 s0, s[6:7], v[6:7]
	s_and_not1_b32 s19, s19, exec_lo
	s_mov_b32 s16, exec_lo
	s_and_b32 s0, vcc_lo, s0
	s_delay_alu instid0(SALU_CYCLE_1) | instskip(NEXT) | instid1(SALU_CYCLE_1)
	s_and_b32 s0, s12, s0
	s_and_b32 s0, s0, exec_lo
	s_delay_alu instid0(SALU_CYCLE_1)
	s_or_b32 s19, s19, s0
; %bb.41:
	s_or_b32 exec_lo, exec_lo, s17
	s_and_saveexec_b32 s17, s19
	s_cbranch_execz .LBB11_45
; %bb.42:
	v_or_b32_e32 v4, 0x300, v0
	s_mov_b32 s0, 0
	s_mov_b32 s19, exec_lo
	s_delay_alu instid0(VALU_DEP_1)
	v_cmp_le_i32_e64 s18, s1, v4
	v_cmpx_gt_i32_e64 s1, v4
	s_xor_b32 s19, exec_lo, s19
; %bb.43:
	v_cmp_le_i64_e32 vcc_lo, s[4:5], v[2:3]
	v_cmp_gt_i64_e64 s0, s[6:7], v[2:3]
	s_or_b32 s18, s18, exec_lo
	s_and_b32 s0, vcc_lo, s0
	s_delay_alu instid0(SALU_CYCLE_1) | instskip(NEXT) | instid1(SALU_CYCLE_1)
	s_and_b32 s0, s12, s0
	s_xor_b32 s0, s0, -1
	s_delay_alu instid0(SALU_CYCLE_1)
	s_and_b32 s0, s0, exec_lo
; %bb.44:
	s_or_b32 exec_lo, exec_lo, s19
	s_delay_alu instid0(SALU_CYCLE_1)
	s_and_not1_b32 s4, s16, exec_lo
	s_and_b32 s0, s0, exec_lo
	s_and_b32 s18, s18, exec_lo
	s_or_b32 s16, s4, s0
.LBB11_45:
	s_or_b32 exec_lo, exec_lo, s17
	s_delay_alu instid0(SALU_CYCLE_1)
	s_and_not1_b32 s0, s13, exec_lo
	s_and_b32 s4, s16, exec_lo
	s_and_b32 s16, s18, exec_lo
	s_or_b32 s13, s0, s4
.LBB11_46:
	s_or_b32 exec_lo, exec_lo, s15
	s_delay_alu instid0(SALU_CYCLE_1)
	s_and_not1_b32 s0, s10, exec_lo
	s_and_b32 s4, s13, exec_lo
	s_and_b32 s18, s16, exec_lo
	s_or_b32 s10, s0, s4
	s_or_b32 exec_lo, exec_lo, s11
	s_and_saveexec_b32 s0, s10
	s_cbranch_execz .LBB11_25
.LBB11_47:
	s_and_not1_b32 s18, s18, exec_lo
	s_or_b32 s3, s3, exec_lo
	s_trap 2
	s_or_b32 exec_lo, exec_lo, s0
	s_and_saveexec_b32 s0, s3
	s_cbranch_execnz .LBB11_27
	s_branch .LBB11_28
.LBB11_48:
	s_wait_loadcnt 0x0
	v_mov_b64_e32 v[2:3], 0
	v_dual_mov_b32 v0, v1 :: v_dual_bitop2_b32 v4, s2, v0 bitop3:0x54
	global_store_b64 v4, v[2:3], s[8:9] scale_offset
	s_wait_xcnt 0x0
	s_or_b32 exec_lo, exec_lo, s0
	s_delay_alu instid0(SALU_CYCLE_1)
	s_mov_b32 s0, exec_lo
	v_cmpx_gt_i32_e64 s1, v0
	s_cbranch_execz .LBB11_31
.LBB11_49:
	s_wait_loadcnt 0x0
	v_mov_b64_e32 v[2:3], 0
	v_add_nc_u32_e32 v1, s2, v0
	v_add_nc_u32_e32 v0, 0x100, v0
	global_store_b64 v1, v[2:3], s[8:9] scale_offset
	s_wait_xcnt 0x0
	s_or_b32 exec_lo, exec_lo, s0
	s_delay_alu instid0(SALU_CYCLE_1)
	s_mov_b32 s0, exec_lo
	v_cmpx_gt_i32_e64 s1, v0
	s_cbranch_execz .LBB11_32
.LBB11_50:
	s_wait_loadcnt 0x0
	v_mov_b64_e32 v[2:3], 0
	v_add_nc_u32_e32 v1, s2, v0
	v_add_nc_u32_e32 v0, 0x100, v0
	global_store_b64 v1, v[2:3], s[8:9] scale_offset
	s_wait_xcnt 0x0
	s_or_b32 exec_lo, exec_lo, s0
	s_delay_alu instid0(SALU_CYCLE_1)
	s_mov_b32 s0, exec_lo
	v_cmpx_gt_i32_e64 s1, v0
	s_cbranch_execnz .LBB11_33
	s_branch .LBB11_34
.LBB11_51:
	s_mov_b32 s3, exec_lo
	s_trap 2
	s_branch .LBB11_12
	.section	.rodata,"a",@progbits
	.p2align	6, 0x0
	.amdhsa_kernel _ZN2at6native29vectorized_elementwise_kernelILi2EZZZNS0_12_GLOBAL__N_142_validate_compressed_sparse_indices_kernelILNS2_8CDimNameE0ENS2_18CUDAKernelLauncherENS2_14EmptyVecKernelENS2_8DummyVecELm8EEEvRKNS_6TensorESA_lllENKUlvE0_clEvENKUlvE0_clEvEUllE_St5arrayIPcLm2EEEEviT0_T1_
		.amdhsa_group_segment_fixed_size 0
		.amdhsa_private_segment_fixed_size 0
		.amdhsa_kernarg_size 40
		.amdhsa_user_sgpr_count 2
		.amdhsa_user_sgpr_dispatch_ptr 0
		.amdhsa_user_sgpr_queue_ptr 0
		.amdhsa_user_sgpr_kernarg_segment_ptr 1
		.amdhsa_user_sgpr_dispatch_id 0
		.amdhsa_user_sgpr_kernarg_preload_length 0
		.amdhsa_user_sgpr_kernarg_preload_offset 0
		.amdhsa_user_sgpr_private_segment_size 0
		.amdhsa_wavefront_size32 1
		.amdhsa_uses_dynamic_stack 0
		.amdhsa_enable_private_segment 0
		.amdhsa_system_sgpr_workgroup_id_x 1
		.amdhsa_system_sgpr_workgroup_id_y 0
		.amdhsa_system_sgpr_workgroup_id_z 0
		.amdhsa_system_sgpr_workgroup_info 0
		.amdhsa_system_vgpr_workitem_id 0
		.amdhsa_next_free_vgpr 11
		.amdhsa_next_free_sgpr 28
		.amdhsa_named_barrier_count 0
		.amdhsa_reserve_vcc 1
		.amdhsa_float_round_mode_32 0
		.amdhsa_float_round_mode_16_64 0
		.amdhsa_float_denorm_mode_32 3
		.amdhsa_float_denorm_mode_16_64 3
		.amdhsa_fp16_overflow 0
		.amdhsa_memory_ordered 1
		.amdhsa_forward_progress 1
		.amdhsa_inst_pref_size 13
		.amdhsa_round_robin_scheduling 0
		.amdhsa_exception_fp_ieee_invalid_op 0
		.amdhsa_exception_fp_denorm_src 0
		.amdhsa_exception_fp_ieee_div_zero 0
		.amdhsa_exception_fp_ieee_overflow 0
		.amdhsa_exception_fp_ieee_underflow 0
		.amdhsa_exception_fp_ieee_inexact 0
		.amdhsa_exception_int_div_zero 0
	.end_amdhsa_kernel
	.section	.text._ZN2at6native29vectorized_elementwise_kernelILi2EZZZNS0_12_GLOBAL__N_142_validate_compressed_sparse_indices_kernelILNS2_8CDimNameE0ENS2_18CUDAKernelLauncherENS2_14EmptyVecKernelENS2_8DummyVecELm8EEEvRKNS_6TensorESA_lllENKUlvE0_clEvENKUlvE0_clEvEUllE_St5arrayIPcLm2EEEEviT0_T1_,"axG",@progbits,_ZN2at6native29vectorized_elementwise_kernelILi2EZZZNS0_12_GLOBAL__N_142_validate_compressed_sparse_indices_kernelILNS2_8CDimNameE0ENS2_18CUDAKernelLauncherENS2_14EmptyVecKernelENS2_8DummyVecELm8EEEvRKNS_6TensorESA_lllENKUlvE0_clEvENKUlvE0_clEvEUllE_St5arrayIPcLm2EEEEviT0_T1_,comdat
.Lfunc_end11:
	.size	_ZN2at6native29vectorized_elementwise_kernelILi2EZZZNS0_12_GLOBAL__N_142_validate_compressed_sparse_indices_kernelILNS2_8CDimNameE0ENS2_18CUDAKernelLauncherENS2_14EmptyVecKernelENS2_8DummyVecELm8EEEvRKNS_6TensorESA_lllENKUlvE0_clEvENKUlvE0_clEvEUllE_St5arrayIPcLm2EEEEviT0_T1_, .Lfunc_end11-_ZN2at6native29vectorized_elementwise_kernelILi2EZZZNS0_12_GLOBAL__N_142_validate_compressed_sparse_indices_kernelILNS2_8CDimNameE0ENS2_18CUDAKernelLauncherENS2_14EmptyVecKernelENS2_8DummyVecELm8EEEvRKNS_6TensorESA_lllENKUlvE0_clEvENKUlvE0_clEvEUllE_St5arrayIPcLm2EEEEviT0_T1_
                                        ; -- End function
	.set _ZN2at6native29vectorized_elementwise_kernelILi2EZZZNS0_12_GLOBAL__N_142_validate_compressed_sparse_indices_kernelILNS2_8CDimNameE0ENS2_18CUDAKernelLauncherENS2_14EmptyVecKernelENS2_8DummyVecELm8EEEvRKNS_6TensorESA_lllENKUlvE0_clEvENKUlvE0_clEvEUllE_St5arrayIPcLm2EEEEviT0_T1_.num_vgpr, 11
	.set _ZN2at6native29vectorized_elementwise_kernelILi2EZZZNS0_12_GLOBAL__N_142_validate_compressed_sparse_indices_kernelILNS2_8CDimNameE0ENS2_18CUDAKernelLauncherENS2_14EmptyVecKernelENS2_8DummyVecELm8EEEvRKNS_6TensorESA_lllENKUlvE0_clEvENKUlvE0_clEvEUllE_St5arrayIPcLm2EEEEviT0_T1_.num_agpr, 0
	.set _ZN2at6native29vectorized_elementwise_kernelILi2EZZZNS0_12_GLOBAL__N_142_validate_compressed_sparse_indices_kernelILNS2_8CDimNameE0ENS2_18CUDAKernelLauncherENS2_14EmptyVecKernelENS2_8DummyVecELm8EEEvRKNS_6TensorESA_lllENKUlvE0_clEvENKUlvE0_clEvEUllE_St5arrayIPcLm2EEEEviT0_T1_.numbered_sgpr, 28
	.set _ZN2at6native29vectorized_elementwise_kernelILi2EZZZNS0_12_GLOBAL__N_142_validate_compressed_sparse_indices_kernelILNS2_8CDimNameE0ENS2_18CUDAKernelLauncherENS2_14EmptyVecKernelENS2_8DummyVecELm8EEEvRKNS_6TensorESA_lllENKUlvE0_clEvENKUlvE0_clEvEUllE_St5arrayIPcLm2EEEEviT0_T1_.num_named_barrier, 0
	.set _ZN2at6native29vectorized_elementwise_kernelILi2EZZZNS0_12_GLOBAL__N_142_validate_compressed_sparse_indices_kernelILNS2_8CDimNameE0ENS2_18CUDAKernelLauncherENS2_14EmptyVecKernelENS2_8DummyVecELm8EEEvRKNS_6TensorESA_lllENKUlvE0_clEvENKUlvE0_clEvEUllE_St5arrayIPcLm2EEEEviT0_T1_.private_seg_size, 0
	.set _ZN2at6native29vectorized_elementwise_kernelILi2EZZZNS0_12_GLOBAL__N_142_validate_compressed_sparse_indices_kernelILNS2_8CDimNameE0ENS2_18CUDAKernelLauncherENS2_14EmptyVecKernelENS2_8DummyVecELm8EEEvRKNS_6TensorESA_lllENKUlvE0_clEvENKUlvE0_clEvEUllE_St5arrayIPcLm2EEEEviT0_T1_.uses_vcc, 1
	.set _ZN2at6native29vectorized_elementwise_kernelILi2EZZZNS0_12_GLOBAL__N_142_validate_compressed_sparse_indices_kernelILNS2_8CDimNameE0ENS2_18CUDAKernelLauncherENS2_14EmptyVecKernelENS2_8DummyVecELm8EEEvRKNS_6TensorESA_lllENKUlvE0_clEvENKUlvE0_clEvEUllE_St5arrayIPcLm2EEEEviT0_T1_.uses_flat_scratch, 0
	.set _ZN2at6native29vectorized_elementwise_kernelILi2EZZZNS0_12_GLOBAL__N_142_validate_compressed_sparse_indices_kernelILNS2_8CDimNameE0ENS2_18CUDAKernelLauncherENS2_14EmptyVecKernelENS2_8DummyVecELm8EEEvRKNS_6TensorESA_lllENKUlvE0_clEvENKUlvE0_clEvEUllE_St5arrayIPcLm2EEEEviT0_T1_.has_dyn_sized_stack, 0
	.set _ZN2at6native29vectorized_elementwise_kernelILi2EZZZNS0_12_GLOBAL__N_142_validate_compressed_sparse_indices_kernelILNS2_8CDimNameE0ENS2_18CUDAKernelLauncherENS2_14EmptyVecKernelENS2_8DummyVecELm8EEEvRKNS_6TensorESA_lllENKUlvE0_clEvENKUlvE0_clEvEUllE_St5arrayIPcLm2EEEEviT0_T1_.has_recursion, 0
	.set _ZN2at6native29vectorized_elementwise_kernelILi2EZZZNS0_12_GLOBAL__N_142_validate_compressed_sparse_indices_kernelILNS2_8CDimNameE0ENS2_18CUDAKernelLauncherENS2_14EmptyVecKernelENS2_8DummyVecELm8EEEvRKNS_6TensorESA_lllENKUlvE0_clEvENKUlvE0_clEvEUllE_St5arrayIPcLm2EEEEviT0_T1_.has_indirect_call, 0
	.section	.AMDGPU.csdata,"",@progbits
; Kernel info:
; codeLenInByte = 1568
; TotalNumSgprs: 30
; NumVgprs: 11
; ScratchSize: 0
; MemoryBound: 0
; FloatMode: 240
; IeeeMode: 1
; LDSByteSize: 0 bytes/workgroup (compile time only)
; SGPRBlocks: 0
; VGPRBlocks: 0
; NumSGPRsForWavesPerEU: 30
; NumVGPRsForWavesPerEU: 11
; NamedBarCnt: 0
; Occupancy: 16
; WaveLimiterHint : 1
; COMPUTE_PGM_RSRC2:SCRATCH_EN: 0
; COMPUTE_PGM_RSRC2:USER_SGPR: 2
; COMPUTE_PGM_RSRC2:TRAP_HANDLER: 0
; COMPUTE_PGM_RSRC2:TGID_X_EN: 1
; COMPUTE_PGM_RSRC2:TGID_Y_EN: 0
; COMPUTE_PGM_RSRC2:TGID_Z_EN: 0
; COMPUTE_PGM_RSRC2:TIDIG_COMP_CNT: 0
	.section	.text._ZN2at6native27unrolled_elementwise_kernelIZZZNS0_12_GLOBAL__N_142_validate_compressed_sparse_indices_kernelILNS2_8CDimNameE0ENS2_18CUDAKernelLauncherENS2_14EmptyVecKernelENS2_8DummyVecELm8EEEvRKNS_6TensorESA_lllENKUlvE0_clEvENKUlvE0_clEvEUllE_St5arrayIPcLm2EELi4E23TrivialOffsetCalculatorILi1EjESI_NS0_6memory15LoadWithoutCastENSJ_16StoreWithoutCastEEEviT_T0_T2_T3_T4_T5_,"axG",@progbits,_ZN2at6native27unrolled_elementwise_kernelIZZZNS0_12_GLOBAL__N_142_validate_compressed_sparse_indices_kernelILNS2_8CDimNameE0ENS2_18CUDAKernelLauncherENS2_14EmptyVecKernelENS2_8DummyVecELm8EEEvRKNS_6TensorESA_lllENKUlvE0_clEvENKUlvE0_clEvEUllE_St5arrayIPcLm2EELi4E23TrivialOffsetCalculatorILi1EjESI_NS0_6memory15LoadWithoutCastENSJ_16StoreWithoutCastEEEviT_T0_T2_T3_T4_T5_,comdat
	.globl	_ZN2at6native27unrolled_elementwise_kernelIZZZNS0_12_GLOBAL__N_142_validate_compressed_sparse_indices_kernelILNS2_8CDimNameE0ENS2_18CUDAKernelLauncherENS2_14EmptyVecKernelENS2_8DummyVecELm8EEEvRKNS_6TensorESA_lllENKUlvE0_clEvENKUlvE0_clEvEUllE_St5arrayIPcLm2EELi4E23TrivialOffsetCalculatorILi1EjESI_NS0_6memory15LoadWithoutCastENSJ_16StoreWithoutCastEEEviT_T0_T2_T3_T4_T5_ ; -- Begin function _ZN2at6native27unrolled_elementwise_kernelIZZZNS0_12_GLOBAL__N_142_validate_compressed_sparse_indices_kernelILNS2_8CDimNameE0ENS2_18CUDAKernelLauncherENS2_14EmptyVecKernelENS2_8DummyVecELm8EEEvRKNS_6TensorESA_lllENKUlvE0_clEvENKUlvE0_clEvEUllE_St5arrayIPcLm2EELi4E23TrivialOffsetCalculatorILi1EjESI_NS0_6memory15LoadWithoutCastENSJ_16StoreWithoutCastEEEviT_T0_T2_T3_T4_T5_
	.p2align	8
	.type	_ZN2at6native27unrolled_elementwise_kernelIZZZNS0_12_GLOBAL__N_142_validate_compressed_sparse_indices_kernelILNS2_8CDimNameE0ENS2_18CUDAKernelLauncherENS2_14EmptyVecKernelENS2_8DummyVecELm8EEEvRKNS_6TensorESA_lllENKUlvE0_clEvENKUlvE0_clEvEUllE_St5arrayIPcLm2EELi4E23TrivialOffsetCalculatorILi1EjESI_NS0_6memory15LoadWithoutCastENSJ_16StoreWithoutCastEEEviT_T0_T2_T3_T4_T5_,@function
_ZN2at6native27unrolled_elementwise_kernelIZZZNS0_12_GLOBAL__N_142_validate_compressed_sparse_indices_kernelILNS2_8CDimNameE0ENS2_18CUDAKernelLauncherENS2_14EmptyVecKernelENS2_8DummyVecELm8EEEvRKNS_6TensorESA_lllENKUlvE0_clEvENKUlvE0_clEvEUllE_St5arrayIPcLm2EELi4E23TrivialOffsetCalculatorILi1EjESI_NS0_6memory15LoadWithoutCastENSJ_16StoreWithoutCastEEEviT_T0_T2_T3_T4_T5_: ; @_ZN2at6native27unrolled_elementwise_kernelIZZZNS0_12_GLOBAL__N_142_validate_compressed_sparse_indices_kernelILNS2_8CDimNameE0ENS2_18CUDAKernelLauncherENS2_14EmptyVecKernelENS2_8DummyVecELm8EEEvRKNS_6TensorESA_lllENKUlvE0_clEvENKUlvE0_clEvEUllE_St5arrayIPcLm2EELi4E23TrivialOffsetCalculatorILi1EjESI_NS0_6memory15LoadWithoutCastENSJ_16StoreWithoutCastEEEviT_T0_T2_T3_T4_T5_
; %bb.0:
	s_load_b32 s3, s[0:1], 0x0
	s_bfe_u32 s2, ttmp6, 0x4000c
	s_load_b256 s[4:11], s[0:1], 0x8
	s_add_co_i32 s2, s2, 1
	s_wait_xcnt 0x0
	s_and_b32 s0, ttmp6, 15
	s_mul_i32 s1, ttmp9, s2
	s_getreg_b32 s2, hwreg(HW_REG_IB_STS2, 6, 4)
	s_add_co_i32 s0, s0, s1
	s_cmp_eq_u32 s2, 0
	v_mov_b64_e32 v[4:5], 0
	s_cselect_b32 s0, ttmp9, s0
	v_mov_b64_e32 v[8:9], 0
	s_lshl_b32 s2, s0, 10
	v_or_b32_e32 v1, 0x100, v0
	v_mov_b32_e32 v10, v0
	s_wait_kmcnt 0x0
	s_sub_co_i32 s3, s3, s2
	s_delay_alu instid0(SALU_CYCLE_1)
	v_cmp_le_i32_e64 s13, s3, v0
	v_cmp_gt_i32_e32 vcc_lo, s3, v0
	s_and_saveexec_b32 s0, vcc_lo
	s_cbranch_execz .LBB12_2
; %bb.1:
	v_or_b32_e32 v2, s2, v0
	v_or_b32_e32 v10, 0x100, v0
	global_load_b64 v[8:9], v2, s[10:11] scale_offset
.LBB12_2:
	s_wait_xcnt 0x0
	s_or_b32 exec_lo, exec_lo, s0
	s_delay_alu instid0(SALU_CYCLE_1)
	s_mov_b32 s1, exec_lo
	v_cmpx_gt_i32_e64 s3, v10
	s_cbranch_execz .LBB12_4
; %bb.3:
	v_add_nc_u32_e32 v2, s2, v10
	v_add_nc_u32_e32 v10, 0x100, v10
	global_load_b64 v[4:5], v2, s[10:11] scale_offset
.LBB12_4:
	s_wait_xcnt 0x0
	s_or_b32 exec_lo, exec_lo, s1
	v_mov_b64_e32 v[2:3], 0
	v_mov_b64_e32 v[6:7], 0
	s_mov_b32 s1, exec_lo
	v_cmpx_gt_i32_e64 s3, v10
	s_cbranch_execz .LBB12_6
; %bb.5:
	v_add_nc_u32_e32 v6, s2, v10
	v_add_nc_u32_e32 v10, 0x100, v10
	global_load_b64 v[6:7], v6, s[10:11] scale_offset
.LBB12_6:
	s_wait_xcnt 0x0
	s_or_b32 exec_lo, exec_lo, s1
	s_delay_alu instid0(SALU_CYCLE_1)
	s_mov_b32 s1, exec_lo
	v_cmpx_gt_i32_e64 s3, v10
	s_cbranch_execz .LBB12_8
; %bb.7:
	v_add_nc_u32_e32 v2, s2, v10
	global_load_b64 v[2:3], v2, s[10:11] scale_offset
.LBB12_8:
	s_wait_xcnt 0x0
	s_or_b32 exec_lo, exec_lo, s1
	s_get_pc_i64 s[0:1]
	s_add_nc_u64 s[0:1], s[0:1], .str@rel64+4
	s_mov_b32 s14, 0
	s_cmp_lg_u64 s[0:1], 0
	s_mov_b32 s10, 0
	s_cselect_b32 s12, -1, 0
	s_and_saveexec_b32 s11, vcc_lo
	s_cbranch_execnz .LBB12_17
; %bb.9:
	s_or_b32 exec_lo, exec_lo, s11
	s_and_saveexec_b32 s11, s13
	s_cbranch_execnz .LBB12_18
.LBB12_10:
	s_or_b32 exec_lo, exec_lo, s11
	s_and_saveexec_b32 s0, s10
	s_cbranch_execnz .LBB12_29
.LBB12_11:
	s_or_b32 exec_lo, exec_lo, s0
	s_and_saveexec_b32 s0, s14
	s_delay_alu instid0(SALU_CYCLE_1)
	s_xor_b32 s0, exec_lo, s0
	s_cbranch_execz .LBB12_16
.LBB12_12:
	s_and_saveexec_b32 s0, vcc_lo
	s_delay_alu instid0(SALU_CYCLE_1)
	s_xor_b32 s0, exec_lo, s0
	s_cbranch_execnz .LBB12_30
; %bb.13:
	s_or_b32 exec_lo, exec_lo, s0
	s_delay_alu instid0(SALU_CYCLE_1)
	s_mov_b32 s0, exec_lo
	v_cmpx_gt_i32_e64 s3, v0
	s_cbranch_execnz .LBB12_31
.LBB12_14:
	s_or_b32 exec_lo, exec_lo, s0
	s_delay_alu instid0(SALU_CYCLE_1)
	s_mov_b32 s0, exec_lo
	v_cmpx_gt_i32_e64 s3, v0
	s_cbranch_execnz .LBB12_32
.LBB12_15:
	s_or_b32 exec_lo, exec_lo, s0
	s_delay_alu instid0(SALU_CYCLE_1)
	s_mov_b32 s0, exec_lo
	v_cmpx_gt_i32_e64 s3, v0
	s_cbranch_execnz .LBB12_33
.LBB12_16:
	s_endpgm
.LBB12_17:
	s_wait_loadcnt 0x0
	v_cmp_le_i64_e64 s0, s[4:5], v[8:9]
	v_cmp_gt_i64_e64 s1, s[6:7], v[8:9]
	s_mov_b32 s10, exec_lo
	s_and_b32 s0, s0, s1
	s_and_not1_b32 s1, s13, exec_lo
	s_and_b32 s0, s12, s0
	s_delay_alu instid0(SALU_CYCLE_1) | instskip(NEXT) | instid1(SALU_CYCLE_1)
	s_and_b32 s0, s0, exec_lo
	s_or_b32 s13, s1, s0
	s_or_b32 exec_lo, exec_lo, s11
	s_and_saveexec_b32 s11, s13
	s_cbranch_execz .LBB12_10
.LBB12_18:
	v_cmp_le_i32_e64 s16, s3, v1
	s_mov_b32 s15, 0
	s_mov_b32 s13, 0
	s_mov_b32 s14, exec_lo
	v_cmpx_gt_i32_e64 s3, v1
	s_cbranch_execz .LBB12_20
; %bb.19:
	s_wait_loadcnt 0x0
	v_cmp_le_i64_e64 s0, s[4:5], v[4:5]
	v_cmp_gt_i64_e64 s1, s[6:7], v[4:5]
	s_mov_b32 s13, exec_lo
	s_and_b32 s0, s0, s1
	s_and_not1_b32 s1, s16, exec_lo
	s_and_b32 s0, s12, s0
	s_delay_alu instid0(SALU_CYCLE_1) | instskip(NEXT) | instid1(SALU_CYCLE_1)
	s_and_b32 s0, s0, exec_lo
	s_or_b32 s16, s1, s0
.LBB12_20:
	s_or_b32 exec_lo, exec_lo, s14
	s_and_saveexec_b32 s14, s16
	s_cbranch_execz .LBB12_28
; %bb.21:
	s_wait_loadcnt 0x0
	v_or_b32_e32 v4, 0x200, v0
	s_mov_b32 s17, 0
	s_mov_b32 s16, exec_lo
	s_delay_alu instid0(VALU_DEP_1)
	v_cmp_le_i32_e64 s18, s3, v4
	v_cmpx_gt_i32_e64 s3, v4
; %bb.22:
	v_cmp_le_i64_e64 s0, s[4:5], v[6:7]
	v_cmp_gt_i64_e64 s1, s[6:7], v[6:7]
	s_mov_b32 s15, exec_lo
	s_and_b32 s0, s0, s1
	s_and_not1_b32 s1, s18, exec_lo
	s_and_b32 s0, s12, s0
	s_delay_alu instid0(SALU_CYCLE_1) | instskip(NEXT) | instid1(SALU_CYCLE_1)
	s_and_b32 s0, s0, exec_lo
	s_or_b32 s18, s1, s0
; %bb.23:
	s_or_b32 exec_lo, exec_lo, s16
	s_and_saveexec_b32 s16, s18
	s_cbranch_execz .LBB12_27
; %bb.24:
	v_or_b32_e32 v4, 0x300, v0
	s_mov_b32 s1, 0
	s_mov_b32 s18, exec_lo
	s_delay_alu instid0(VALU_DEP_1)
	v_cmp_le_i32_e64 s17, s3, v4
	v_cmpx_gt_i32_e64 s3, v4
	s_xor_b32 s18, exec_lo, s18
; %bb.25:
	v_cmp_le_i64_e64 s0, s[4:5], v[2:3]
	v_cmp_gt_i64_e64 s1, s[6:7], v[2:3]
	s_or_b32 s17, s17, exec_lo
	s_and_b32 s0, s0, s1
	s_delay_alu instid0(SALU_CYCLE_1) | instskip(NEXT) | instid1(SALU_CYCLE_1)
	s_and_b32 s0, s12, s0
	s_xor_b32 s0, s0, -1
	s_delay_alu instid0(SALU_CYCLE_1)
	s_and_b32 s1, s0, exec_lo
; %bb.26:
	s_or_b32 exec_lo, exec_lo, s18
	s_delay_alu instid0(SALU_CYCLE_1)
	s_and_not1_b32 s0, s15, exec_lo
	s_and_b32 s1, s1, exec_lo
	s_and_b32 s17, s17, exec_lo
	s_or_b32 s15, s0, s1
.LBB12_27:
	s_or_b32 exec_lo, exec_lo, s16
	s_delay_alu instid0(SALU_CYCLE_1)
	s_and_not1_b32 s0, s13, exec_lo
	s_and_b32 s1, s15, exec_lo
	s_and_b32 s15, s17, exec_lo
	s_or_b32 s13, s0, s1
.LBB12_28:
	s_or_b32 exec_lo, exec_lo, s14
	s_delay_alu instid0(SALU_CYCLE_1)
	s_and_not1_b32 s0, s10, exec_lo
	s_and_b32 s1, s13, exec_lo
	s_and_b32 s14, s15, exec_lo
	s_or_b32 s10, s0, s1
	s_or_b32 exec_lo, exec_lo, s11
	s_and_saveexec_b32 s0, s10
	s_cbranch_execz .LBB12_11
.LBB12_29:
	s_trap 2
	; divergent unreachable
	s_and_not1_b32 s14, s14, exec_lo
	s_or_b32 exec_lo, exec_lo, s0
	s_and_saveexec_b32 s0, s14
	s_delay_alu instid0(SALU_CYCLE_1)
	s_xor_b32 s0, exec_lo, s0
	s_cbranch_execnz .LBB12_12
	s_branch .LBB12_16
.LBB12_30:
	s_wait_loadcnt 0x0
	v_mov_b64_e32 v[2:3], 0
	v_dual_mov_b32 v0, v1 :: v_dual_bitop2_b32 v4, s2, v0 bitop3:0x54
	global_store_b64 v4, v[2:3], s[8:9] scale_offset
	s_wait_xcnt 0x0
	s_or_b32 exec_lo, exec_lo, s0
	s_delay_alu instid0(SALU_CYCLE_1)
	s_mov_b32 s0, exec_lo
	v_cmpx_gt_i32_e64 s3, v0
	s_cbranch_execz .LBB12_14
.LBB12_31:
	v_add_nc_u32_e32 v1, 0x100, v0
	s_wait_loadcnt 0x0
	v_mov_b64_e32 v[2:3], 0
	s_delay_alu instid0(VALU_DEP_2) | instskip(SKIP_3) | instid1(SALU_CYCLE_1)
	v_dual_add_nc_u32 v4, s2, v0 :: v_dual_mov_b32 v0, v1
	global_store_b64 v4, v[2:3], s[8:9] scale_offset
	s_wait_xcnt 0x0
	s_or_b32 exec_lo, exec_lo, s0
	s_mov_b32 s0, exec_lo
	v_cmpx_gt_i32_e64 s3, v0
	s_cbranch_execz .LBB12_15
.LBB12_32:
	v_add_nc_u32_e32 v1, 0x100, v0
	s_wait_loadcnt 0x0
	v_mov_b64_e32 v[2:3], 0
	s_delay_alu instid0(VALU_DEP_2) | instskip(SKIP_3) | instid1(SALU_CYCLE_1)
	v_dual_add_nc_u32 v4, s2, v0 :: v_dual_mov_b32 v0, v1
	global_store_b64 v4, v[2:3], s[8:9] scale_offset
	s_wait_xcnt 0x0
	s_or_b32 exec_lo, exec_lo, s0
	s_mov_b32 s0, exec_lo
	v_cmpx_gt_i32_e64 s3, v0
	s_cbranch_execz .LBB12_16
.LBB12_33:
	s_wait_loadcnt 0x0
	v_mov_b64_e32 v[2:3], 0
	v_add_nc_u32_e32 v0, s2, v0
	global_store_b64 v0, v[2:3], s[8:9] scale_offset
	s_endpgm
	.section	.rodata,"a",@progbits
	.p2align	6, 0x0
	.amdhsa_kernel _ZN2at6native27unrolled_elementwise_kernelIZZZNS0_12_GLOBAL__N_142_validate_compressed_sparse_indices_kernelILNS2_8CDimNameE0ENS2_18CUDAKernelLauncherENS2_14EmptyVecKernelENS2_8DummyVecELm8EEEvRKNS_6TensorESA_lllENKUlvE0_clEvENKUlvE0_clEvEUllE_St5arrayIPcLm2EELi4E23TrivialOffsetCalculatorILi1EjESI_NS0_6memory15LoadWithoutCastENSJ_16StoreWithoutCastEEEviT_T0_T2_T3_T4_T5_
		.amdhsa_group_segment_fixed_size 0
		.amdhsa_private_segment_fixed_size 0
		.amdhsa_kernarg_size 44
		.amdhsa_user_sgpr_count 2
		.amdhsa_user_sgpr_dispatch_ptr 0
		.amdhsa_user_sgpr_queue_ptr 0
		.amdhsa_user_sgpr_kernarg_segment_ptr 1
		.amdhsa_user_sgpr_dispatch_id 0
		.amdhsa_user_sgpr_kernarg_preload_length 0
		.amdhsa_user_sgpr_kernarg_preload_offset 0
		.amdhsa_user_sgpr_private_segment_size 0
		.amdhsa_wavefront_size32 1
		.amdhsa_uses_dynamic_stack 0
		.amdhsa_enable_private_segment 0
		.amdhsa_system_sgpr_workgroup_id_x 1
		.amdhsa_system_sgpr_workgroup_id_y 0
		.amdhsa_system_sgpr_workgroup_id_z 0
		.amdhsa_system_sgpr_workgroup_info 0
		.amdhsa_system_vgpr_workitem_id 0
		.amdhsa_next_free_vgpr 11
		.amdhsa_next_free_sgpr 19
		.amdhsa_named_barrier_count 0
		.amdhsa_reserve_vcc 1
		.amdhsa_float_round_mode_32 0
		.amdhsa_float_round_mode_16_64 0
		.amdhsa_float_denorm_mode_32 3
		.amdhsa_float_denorm_mode_16_64 3
		.amdhsa_fp16_overflow 0
		.amdhsa_memory_ordered 1
		.amdhsa_forward_progress 1
		.amdhsa_inst_pref_size 9
		.amdhsa_round_robin_scheduling 0
		.amdhsa_exception_fp_ieee_invalid_op 0
		.amdhsa_exception_fp_denorm_src 0
		.amdhsa_exception_fp_ieee_div_zero 0
		.amdhsa_exception_fp_ieee_overflow 0
		.amdhsa_exception_fp_ieee_underflow 0
		.amdhsa_exception_fp_ieee_inexact 0
		.amdhsa_exception_int_div_zero 0
	.end_amdhsa_kernel
	.section	.text._ZN2at6native27unrolled_elementwise_kernelIZZZNS0_12_GLOBAL__N_142_validate_compressed_sparse_indices_kernelILNS2_8CDimNameE0ENS2_18CUDAKernelLauncherENS2_14EmptyVecKernelENS2_8DummyVecELm8EEEvRKNS_6TensorESA_lllENKUlvE0_clEvENKUlvE0_clEvEUllE_St5arrayIPcLm2EELi4E23TrivialOffsetCalculatorILi1EjESI_NS0_6memory15LoadWithoutCastENSJ_16StoreWithoutCastEEEviT_T0_T2_T3_T4_T5_,"axG",@progbits,_ZN2at6native27unrolled_elementwise_kernelIZZZNS0_12_GLOBAL__N_142_validate_compressed_sparse_indices_kernelILNS2_8CDimNameE0ENS2_18CUDAKernelLauncherENS2_14EmptyVecKernelENS2_8DummyVecELm8EEEvRKNS_6TensorESA_lllENKUlvE0_clEvENKUlvE0_clEvEUllE_St5arrayIPcLm2EELi4E23TrivialOffsetCalculatorILi1EjESI_NS0_6memory15LoadWithoutCastENSJ_16StoreWithoutCastEEEviT_T0_T2_T3_T4_T5_,comdat
.Lfunc_end12:
	.size	_ZN2at6native27unrolled_elementwise_kernelIZZZNS0_12_GLOBAL__N_142_validate_compressed_sparse_indices_kernelILNS2_8CDimNameE0ENS2_18CUDAKernelLauncherENS2_14EmptyVecKernelENS2_8DummyVecELm8EEEvRKNS_6TensorESA_lllENKUlvE0_clEvENKUlvE0_clEvEUllE_St5arrayIPcLm2EELi4E23TrivialOffsetCalculatorILi1EjESI_NS0_6memory15LoadWithoutCastENSJ_16StoreWithoutCastEEEviT_T0_T2_T3_T4_T5_, .Lfunc_end12-_ZN2at6native27unrolled_elementwise_kernelIZZZNS0_12_GLOBAL__N_142_validate_compressed_sparse_indices_kernelILNS2_8CDimNameE0ENS2_18CUDAKernelLauncherENS2_14EmptyVecKernelENS2_8DummyVecELm8EEEvRKNS_6TensorESA_lllENKUlvE0_clEvENKUlvE0_clEvEUllE_St5arrayIPcLm2EELi4E23TrivialOffsetCalculatorILi1EjESI_NS0_6memory15LoadWithoutCastENSJ_16StoreWithoutCastEEEviT_T0_T2_T3_T4_T5_
                                        ; -- End function
	.set _ZN2at6native27unrolled_elementwise_kernelIZZZNS0_12_GLOBAL__N_142_validate_compressed_sparse_indices_kernelILNS2_8CDimNameE0ENS2_18CUDAKernelLauncherENS2_14EmptyVecKernelENS2_8DummyVecELm8EEEvRKNS_6TensorESA_lllENKUlvE0_clEvENKUlvE0_clEvEUllE_St5arrayIPcLm2EELi4E23TrivialOffsetCalculatorILi1EjESI_NS0_6memory15LoadWithoutCastENSJ_16StoreWithoutCastEEEviT_T0_T2_T3_T4_T5_.num_vgpr, 11
	.set _ZN2at6native27unrolled_elementwise_kernelIZZZNS0_12_GLOBAL__N_142_validate_compressed_sparse_indices_kernelILNS2_8CDimNameE0ENS2_18CUDAKernelLauncherENS2_14EmptyVecKernelENS2_8DummyVecELm8EEEvRKNS_6TensorESA_lllENKUlvE0_clEvENKUlvE0_clEvEUllE_St5arrayIPcLm2EELi4E23TrivialOffsetCalculatorILi1EjESI_NS0_6memory15LoadWithoutCastENSJ_16StoreWithoutCastEEEviT_T0_T2_T3_T4_T5_.num_agpr, 0
	.set _ZN2at6native27unrolled_elementwise_kernelIZZZNS0_12_GLOBAL__N_142_validate_compressed_sparse_indices_kernelILNS2_8CDimNameE0ENS2_18CUDAKernelLauncherENS2_14EmptyVecKernelENS2_8DummyVecELm8EEEvRKNS_6TensorESA_lllENKUlvE0_clEvENKUlvE0_clEvEUllE_St5arrayIPcLm2EELi4E23TrivialOffsetCalculatorILi1EjESI_NS0_6memory15LoadWithoutCastENSJ_16StoreWithoutCastEEEviT_T0_T2_T3_T4_T5_.numbered_sgpr, 19
	.set _ZN2at6native27unrolled_elementwise_kernelIZZZNS0_12_GLOBAL__N_142_validate_compressed_sparse_indices_kernelILNS2_8CDimNameE0ENS2_18CUDAKernelLauncherENS2_14EmptyVecKernelENS2_8DummyVecELm8EEEvRKNS_6TensorESA_lllENKUlvE0_clEvENKUlvE0_clEvEUllE_St5arrayIPcLm2EELi4E23TrivialOffsetCalculatorILi1EjESI_NS0_6memory15LoadWithoutCastENSJ_16StoreWithoutCastEEEviT_T0_T2_T3_T4_T5_.num_named_barrier, 0
	.set _ZN2at6native27unrolled_elementwise_kernelIZZZNS0_12_GLOBAL__N_142_validate_compressed_sparse_indices_kernelILNS2_8CDimNameE0ENS2_18CUDAKernelLauncherENS2_14EmptyVecKernelENS2_8DummyVecELm8EEEvRKNS_6TensorESA_lllENKUlvE0_clEvENKUlvE0_clEvEUllE_St5arrayIPcLm2EELi4E23TrivialOffsetCalculatorILi1EjESI_NS0_6memory15LoadWithoutCastENSJ_16StoreWithoutCastEEEviT_T0_T2_T3_T4_T5_.private_seg_size, 0
	.set _ZN2at6native27unrolled_elementwise_kernelIZZZNS0_12_GLOBAL__N_142_validate_compressed_sparse_indices_kernelILNS2_8CDimNameE0ENS2_18CUDAKernelLauncherENS2_14EmptyVecKernelENS2_8DummyVecELm8EEEvRKNS_6TensorESA_lllENKUlvE0_clEvENKUlvE0_clEvEUllE_St5arrayIPcLm2EELi4E23TrivialOffsetCalculatorILi1EjESI_NS0_6memory15LoadWithoutCastENSJ_16StoreWithoutCastEEEviT_T0_T2_T3_T4_T5_.uses_vcc, 1
	.set _ZN2at6native27unrolled_elementwise_kernelIZZZNS0_12_GLOBAL__N_142_validate_compressed_sparse_indices_kernelILNS2_8CDimNameE0ENS2_18CUDAKernelLauncherENS2_14EmptyVecKernelENS2_8DummyVecELm8EEEvRKNS_6TensorESA_lllENKUlvE0_clEvENKUlvE0_clEvEUllE_St5arrayIPcLm2EELi4E23TrivialOffsetCalculatorILi1EjESI_NS0_6memory15LoadWithoutCastENSJ_16StoreWithoutCastEEEviT_T0_T2_T3_T4_T5_.uses_flat_scratch, 0
	.set _ZN2at6native27unrolled_elementwise_kernelIZZZNS0_12_GLOBAL__N_142_validate_compressed_sparse_indices_kernelILNS2_8CDimNameE0ENS2_18CUDAKernelLauncherENS2_14EmptyVecKernelENS2_8DummyVecELm8EEEvRKNS_6TensorESA_lllENKUlvE0_clEvENKUlvE0_clEvEUllE_St5arrayIPcLm2EELi4E23TrivialOffsetCalculatorILi1EjESI_NS0_6memory15LoadWithoutCastENSJ_16StoreWithoutCastEEEviT_T0_T2_T3_T4_T5_.has_dyn_sized_stack, 0
	.set _ZN2at6native27unrolled_elementwise_kernelIZZZNS0_12_GLOBAL__N_142_validate_compressed_sparse_indices_kernelILNS2_8CDimNameE0ENS2_18CUDAKernelLauncherENS2_14EmptyVecKernelENS2_8DummyVecELm8EEEvRKNS_6TensorESA_lllENKUlvE0_clEvENKUlvE0_clEvEUllE_St5arrayIPcLm2EELi4E23TrivialOffsetCalculatorILi1EjESI_NS0_6memory15LoadWithoutCastENSJ_16StoreWithoutCastEEEviT_T0_T2_T3_T4_T5_.has_recursion, 0
	.set _ZN2at6native27unrolled_elementwise_kernelIZZZNS0_12_GLOBAL__N_142_validate_compressed_sparse_indices_kernelILNS2_8CDimNameE0ENS2_18CUDAKernelLauncherENS2_14EmptyVecKernelENS2_8DummyVecELm8EEEvRKNS_6TensorESA_lllENKUlvE0_clEvENKUlvE0_clEvEUllE_St5arrayIPcLm2EELi4E23TrivialOffsetCalculatorILi1EjESI_NS0_6memory15LoadWithoutCastENSJ_16StoreWithoutCastEEEviT_T0_T2_T3_T4_T5_.has_indirect_call, 0
	.section	.AMDGPU.csdata,"",@progbits
; Kernel info:
; codeLenInByte = 1144
; TotalNumSgprs: 21
; NumVgprs: 11
; ScratchSize: 0
; MemoryBound: 0
; FloatMode: 240
; IeeeMode: 1
; LDSByteSize: 0 bytes/workgroup (compile time only)
; SGPRBlocks: 0
; VGPRBlocks: 0
; NumSGPRsForWavesPerEU: 21
; NumVGPRsForWavesPerEU: 11
; NamedBarCnt: 0
; Occupancy: 16
; WaveLimiterHint : 0
; COMPUTE_PGM_RSRC2:SCRATCH_EN: 0
; COMPUTE_PGM_RSRC2:USER_SGPR: 2
; COMPUTE_PGM_RSRC2:TRAP_HANDLER: 0
; COMPUTE_PGM_RSRC2:TGID_X_EN: 1
; COMPUTE_PGM_RSRC2:TGID_Y_EN: 0
; COMPUTE_PGM_RSRC2:TGID_Z_EN: 0
; COMPUTE_PGM_RSRC2:TIDIG_COMP_CNT: 0
	.section	.text._ZN2at6native32elementwise_kernel_manual_unrollILi128ELi4EZNS0_22gpu_kernel_impl_nocastIZZZNS0_12_GLOBAL__N_142_validate_compressed_sparse_indices_kernelILNS3_8CDimNameE0ENS3_18CUDAKernelLauncherENS3_14EmptyVecKernelENS3_8DummyVecELm8EEEvRKNS_6TensorESB_lllENKUlvE0_clEvENKUlvE0_clEvEUllE_EEvRNS_18TensorIteratorBaseERKT_EUlibE_EEviT1_,"axG",@progbits,_ZN2at6native32elementwise_kernel_manual_unrollILi128ELi4EZNS0_22gpu_kernel_impl_nocastIZZZNS0_12_GLOBAL__N_142_validate_compressed_sparse_indices_kernelILNS3_8CDimNameE0ENS3_18CUDAKernelLauncherENS3_14EmptyVecKernelENS3_8DummyVecELm8EEEvRKNS_6TensorESB_lllENKUlvE0_clEvENKUlvE0_clEvEUllE_EEvRNS_18TensorIteratorBaseERKT_EUlibE_EEviT1_,comdat
	.globl	_ZN2at6native32elementwise_kernel_manual_unrollILi128ELi4EZNS0_22gpu_kernel_impl_nocastIZZZNS0_12_GLOBAL__N_142_validate_compressed_sparse_indices_kernelILNS3_8CDimNameE0ENS3_18CUDAKernelLauncherENS3_14EmptyVecKernelENS3_8DummyVecELm8EEEvRKNS_6TensorESB_lllENKUlvE0_clEvENKUlvE0_clEvEUllE_EEvRNS_18TensorIteratorBaseERKT_EUlibE_EEviT1_ ; -- Begin function _ZN2at6native32elementwise_kernel_manual_unrollILi128ELi4EZNS0_22gpu_kernel_impl_nocastIZZZNS0_12_GLOBAL__N_142_validate_compressed_sparse_indices_kernelILNS3_8CDimNameE0ENS3_18CUDAKernelLauncherENS3_14EmptyVecKernelENS3_8DummyVecELm8EEEvRKNS_6TensorESB_lllENKUlvE0_clEvENKUlvE0_clEvEUllE_EEvRNS_18TensorIteratorBaseERKT_EUlibE_EEviT1_
	.p2align	8
	.type	_ZN2at6native32elementwise_kernel_manual_unrollILi128ELi4EZNS0_22gpu_kernel_impl_nocastIZZZNS0_12_GLOBAL__N_142_validate_compressed_sparse_indices_kernelILNS3_8CDimNameE0ENS3_18CUDAKernelLauncherENS3_14EmptyVecKernelENS3_8DummyVecELm8EEEvRKNS_6TensorESB_lllENKUlvE0_clEvENKUlvE0_clEvEUllE_EEvRNS_18TensorIteratorBaseERKT_EUlibE_EEviT1_,@function
_ZN2at6native32elementwise_kernel_manual_unrollILi128ELi4EZNS0_22gpu_kernel_impl_nocastIZZZNS0_12_GLOBAL__N_142_validate_compressed_sparse_indices_kernelILNS3_8CDimNameE0ENS3_18CUDAKernelLauncherENS3_14EmptyVecKernelENS3_8DummyVecELm8EEEvRKNS_6TensorESB_lllENKUlvE0_clEvENKUlvE0_clEvEUllE_EEvRNS_18TensorIteratorBaseERKT_EUlibE_EEviT1_: ; @_ZN2at6native32elementwise_kernel_manual_unrollILi128ELi4EZNS0_22gpu_kernel_impl_nocastIZZZNS0_12_GLOBAL__N_142_validate_compressed_sparse_indices_kernelILNS3_8CDimNameE0ENS3_18CUDAKernelLauncherENS3_14EmptyVecKernelENS3_8DummyVecELm8EEEvRKNS_6TensorESB_lllENKUlvE0_clEvENKUlvE0_clEvEUllE_EEvRNS_18TensorIteratorBaseERKT_EUlibE_EEviT1_
; %bb.0:
	s_clause 0x1
	s_load_b32 s33, s[0:1], 0x8
	s_load_b32 s42, s[0:1], 0x0
	s_bfe_u32 s2, ttmp6, 0x4000c
	s_and_b32 s3, ttmp6, 15
	s_add_co_i32 s2, s2, 1
	s_getreg_b32 s4, hwreg(HW_REG_IB_STS2, 6, 4)
	s_mul_i32 s2, ttmp9, s2
	s_mov_b32 s37, 0
	s_add_co_i32 s3, s3, s2
	s_cmp_eq_u32 s4, 0
	s_mov_b32 s28, -1
	s_cselect_b32 s2, ttmp9, s3
	s_add_nc_u64 s[20:21], s[0:1], 8
	v_lshl_or_b32 v0, s2, 9, v0
	s_mov_b32 s12, 0
	s_get_pc_i64 s[2:3]
	s_add_nc_u64 s[2:3], s[2:3], .str@rel64+4
	s_wait_xcnt 0x0
	s_mov_b32 s0, exec_lo
	v_or_b32_e32 v1, 0x180, v0
	s_wait_kmcnt 0x0
	s_add_co_i32 s36, s33, -1
	s_delay_alu instid0(SALU_CYCLE_1)
	s_cmp_gt_u32 s36, 1
	s_cselect_b32 s38, -1, 0
	v_cmpx_le_i32_e64 s42, v1
	s_xor_b32 s39, exec_lo, s0
	s_cbranch_execz .LBB13_31
; %bb.1:
	s_clause 0x3
	s_load_b128 s[12:15], s[20:21], 0x4
	s_load_b64 s[0:1], s[20:21], 0x14
	s_load_b128 s[16:19], s[20:21], 0xc4
	s_load_b256 s[4:11], s[20:21], 0x148
	s_cmp_lg_u32 s33, 0
	s_mov_b32 s23, 0
	s_cselect_b32 s44, -1, 0
	s_min_u32 s43, s36, 15
	s_cmp_gt_u32 s33, 1
	s_add_nc_u64 s[26:27], s[20:21], 0xc4
	s_cselect_b32 s41, -1, 0
	s_cmp_lg_u64 s[2:3], 0
	s_mov_b32 s25, s23
	s_cselect_b32 s40, -1, 0
	s_mov_b32 s45, exec_lo
	s_wait_kmcnt 0x0
	s_mov_b32 s22, s13
	s_mov_b32 s24, s0
	s_mov_b32 s13, s23
	v_cmpx_gt_i32_e64 s42, v0
	s_cbranch_execz .LBB13_7
; %bb.2:
	s_and_not1_b32 vcc_lo, exec_lo, s38
	s_cbranch_vccnz .LBB13_14
; %bb.3:
	s_and_not1_b32 vcc_lo, exec_lo, s44
	s_cbranch_vccnz .LBB13_16
; %bb.4:
	s_add_co_i32 s0, s43, 1
	s_cmp_eq_u32 s36, 2
	s_cbranch_scc1 .LBB13_17
; %bb.5:
	v_dual_mov_b32 v2, 0 :: v_dual_mov_b32 v3, 0
	v_mov_b32_e32 v1, v0
	s_and_b32 s28, s0, 28
	s_mov_b32 s13, 0
	s_mov_b64 s[30:31], s[20:21]
	s_mov_b64 s[34:35], s[26:27]
.LBB13_6:                               ; =>This Inner Loop Header: Depth=1
	s_clause 0x1
	s_load_b256 s[48:55], s[30:31], 0x4
	s_load_b128 s[64:67], s[30:31], 0x24
	s_load_b256 s[56:63], s[34:35], 0x0
	s_add_co_i32 s13, s13, 4
	s_wait_xcnt 0x0
	s_add_nc_u64 s[30:31], s[30:31], 48
	s_cmp_lg_u32 s28, s13
	s_add_nc_u64 s[34:35], s[34:35], 32
	s_wait_kmcnt 0x0
	v_mul_hi_u32 v4, s49, v1
	s_delay_alu instid0(VALU_DEP_1) | instskip(NEXT) | instid1(VALU_DEP_1)
	v_add_nc_u32_e32 v4, v1, v4
	v_lshrrev_b32_e32 v4, s50, v4
	s_delay_alu instid0(VALU_DEP_1) | instskip(NEXT) | instid1(VALU_DEP_1)
	v_mul_hi_u32 v5, s52, v4
	v_add_nc_u32_e32 v5, v4, v5
	s_delay_alu instid0(VALU_DEP_1) | instskip(NEXT) | instid1(VALU_DEP_1)
	v_lshrrev_b32_e32 v5, s53, v5
	v_mul_hi_u32 v6, s55, v5
	s_delay_alu instid0(VALU_DEP_1) | instskip(SKIP_1) | instid1(VALU_DEP_1)
	v_add_nc_u32_e32 v6, v5, v6
	v_mul_lo_u32 v7, v4, s48
	v_sub_nc_u32_e32 v1, v1, v7
	v_mul_lo_u32 v7, v5, s51
	s_delay_alu instid0(VALU_DEP_4) | instskip(NEXT) | instid1(VALU_DEP_3)
	v_lshrrev_b32_e32 v6, s64, v6
	v_mad_u32 v3, v1, s57, v3
	v_mad_u32 v1, v1, s56, v2
	s_delay_alu instid0(VALU_DEP_4) | instskip(NEXT) | instid1(VALU_DEP_4)
	v_sub_nc_u32_e32 v2, v4, v7
	v_mul_hi_u32 v8, s66, v6
	v_mul_lo_u32 v4, v6, s54
	s_delay_alu instid0(VALU_DEP_3) | instskip(SKIP_1) | instid1(VALU_DEP_4)
	v_mad_u32 v3, v2, s59, v3
	v_mad_u32 v2, v2, s58, v1
	v_add_nc_u32_e32 v7, v6, v8
	s_delay_alu instid0(VALU_DEP_1) | instskip(NEXT) | instid1(VALU_DEP_1)
	v_dual_sub_nc_u32 v4, v5, v4 :: v_dual_lshrrev_b32 v1, s67, v7
	v_mad_u32 v3, v4, s61, v3
	s_delay_alu instid0(VALU_DEP_4) | instskip(NEXT) | instid1(VALU_DEP_3)
	v_mad_u32 v2, v4, s60, v2
	v_mul_lo_u32 v5, v1, s65
	s_delay_alu instid0(VALU_DEP_1) | instskip(NEXT) | instid1(VALU_DEP_1)
	v_sub_nc_u32_e32 v4, v6, v5
	v_mad_u32 v3, v4, s63, v3
	s_delay_alu instid0(VALU_DEP_4)
	v_mad_u32 v2, v4, s62, v2
	s_cbranch_scc1 .LBB13_6
	s_branch .LBB13_18
.LBB13_7:
	s_or_b32 exec_lo, exec_lo, s45
                                        ; implicit-def: $vgpr2
	s_and_saveexec_b32 s45, s28
	s_cbranch_execz .LBB13_27
.LBB13_8:
	s_mov_b32 s0, -1
	s_mov_b32 s46, s13
	s_mov_b32 s47, exec_lo
	v_cmpx_gt_i32_e64 s42, v0
	s_cbranch_execz .LBB13_115
; %bb.9:
	s_and_not1_b32 vcc_lo, exec_lo, s38
	s_cbranch_vccnz .LBB13_15
; %bb.10:
	s_and_not1_b32 vcc_lo, exec_lo, s44
	s_cbranch_vccnz .LBB13_104
; %bb.11:
	s_add_co_i32 s0, s43, 1
	s_cmp_eq_u32 s36, 2
	s_cbranch_scc1 .LBB13_105
; %bb.12:
	v_dual_mov_b32 v2, 0 :: v_dual_mov_b32 v3, 0
	v_mov_b32_e32 v1, v0
	s_and_b32 s28, s0, 28
	s_mov_b32 s29, 0
	s_mov_b64 s[30:31], s[20:21]
	s_mov_b64 s[34:35], s[26:27]
.LBB13_13:                              ; =>This Inner Loop Header: Depth=1
	s_clause 0x1
	s_load_b256 s[48:55], s[30:31], 0x4
	s_load_b128 s[64:67], s[30:31], 0x24
	s_load_b256 s[56:63], s[34:35], 0x0
	s_add_co_i32 s29, s29, 4
	s_wait_xcnt 0x0
	s_add_nc_u64 s[30:31], s[30:31], 48
	s_cmp_eq_u32 s28, s29
	s_add_nc_u64 s[34:35], s[34:35], 32
	s_wait_kmcnt 0x0
	v_mul_hi_u32 v4, s49, v1
	s_delay_alu instid0(VALU_DEP_1) | instskip(NEXT) | instid1(VALU_DEP_1)
	v_add_nc_u32_e32 v4, v1, v4
	v_lshrrev_b32_e32 v4, s50, v4
	s_delay_alu instid0(VALU_DEP_1) | instskip(NEXT) | instid1(VALU_DEP_1)
	v_mul_hi_u32 v5, s52, v4
	v_add_nc_u32_e32 v5, v4, v5
	s_delay_alu instid0(VALU_DEP_1) | instskip(NEXT) | instid1(VALU_DEP_1)
	v_lshrrev_b32_e32 v5, s53, v5
	v_mul_hi_u32 v6, s55, v5
	s_delay_alu instid0(VALU_DEP_1) | instskip(SKIP_1) | instid1(VALU_DEP_1)
	v_add_nc_u32_e32 v6, v5, v6
	v_mul_lo_u32 v7, v4, s48
	v_sub_nc_u32_e32 v1, v1, v7
	v_mul_lo_u32 v7, v5, s51
	s_delay_alu instid0(VALU_DEP_4) | instskip(NEXT) | instid1(VALU_DEP_3)
	v_lshrrev_b32_e32 v6, s64, v6
	v_mad_u32 v3, v1, s57, v3
	v_mad_u32 v1, v1, s56, v2
	s_delay_alu instid0(VALU_DEP_4) | instskip(NEXT) | instid1(VALU_DEP_4)
	v_sub_nc_u32_e32 v2, v4, v7
	v_mul_hi_u32 v8, s66, v6
	v_mul_lo_u32 v4, v6, s54
	s_delay_alu instid0(VALU_DEP_3) | instskip(SKIP_1) | instid1(VALU_DEP_4)
	v_mad_u32 v3, v2, s59, v3
	v_mad_u32 v2, v2, s58, v1
	v_add_nc_u32_e32 v7, v6, v8
	s_delay_alu instid0(VALU_DEP_1) | instskip(NEXT) | instid1(VALU_DEP_1)
	v_dual_sub_nc_u32 v4, v5, v4 :: v_dual_lshrrev_b32 v1, s67, v7
	v_mad_u32 v3, v4, s61, v3
	s_delay_alu instid0(VALU_DEP_4) | instskip(NEXT) | instid1(VALU_DEP_3)
	v_mad_u32 v2, v4, s60, v2
	v_mul_lo_u32 v5, v1, s65
	s_delay_alu instid0(VALU_DEP_1) | instskip(NEXT) | instid1(VALU_DEP_1)
	v_sub_nc_u32_e32 v4, v6, v5
	v_mad_u32 v3, v4, s63, v3
	s_delay_alu instid0(VALU_DEP_4)
	v_mad_u32 v2, v4, s62, v2
	s_cbranch_scc0 .LBB13_13
	s_branch .LBB13_106
.LBB13_14:
                                        ; implicit-def: $vgpr3
	s_branch .LBB13_22
.LBB13_15:
                                        ; implicit-def: $vgpr3
	s_and_not1_b32 vcc_lo, exec_lo, s0
	s_cbranch_vccz .LBB13_110
	s_branch .LBB13_112
.LBB13_16:
	v_dual_mov_b32 v3, 0 :: v_dual_mov_b32 v2, 0
	s_branch .LBB13_21
.LBB13_17:
	v_mov_b64_e32 v[2:3], 0
	v_mov_b32_e32 v1, v0
	s_mov_b32 s28, 0
.LBB13_18:
	s_and_b32 s0, s0, 3
	s_mov_b32 s29, 0
	s_cmp_eq_u32 s0, 0
	s_cbranch_scc1 .LBB13_21
; %bb.19:
	s_lshl_b32 s30, s28, 3
	s_mov_b32 s31, s29
	s_mul_u64 s[34:35], s[28:29], 12
	s_add_nc_u64 s[30:31], s[20:21], s[30:31]
	s_delay_alu instid0(SALU_CYCLE_1)
	s_add_nc_u64 s[28:29], s[30:31], 0xc4
	s_add_nc_u64 s[30:31], s[20:21], s[34:35]
.LBB13_20:                              ; =>This Inner Loop Header: Depth=1
	s_load_b96 s[48:50], s[30:31], 0x4
	s_load_b64 s[34:35], s[28:29], 0x0
	s_add_co_i32 s0, s0, -1
	s_wait_xcnt 0x0
	s_add_nc_u64 s[30:31], s[30:31], 12
	s_cmp_lg_u32 s0, 0
	s_add_nc_u64 s[28:29], s[28:29], 8
	s_wait_kmcnt 0x0
	v_mul_hi_u32 v4, s49, v1
	s_delay_alu instid0(VALU_DEP_1) | instskip(NEXT) | instid1(VALU_DEP_1)
	v_add_nc_u32_e32 v4, v1, v4
	v_lshrrev_b32_e32 v4, s50, v4
	s_delay_alu instid0(VALU_DEP_1) | instskip(NEXT) | instid1(VALU_DEP_1)
	v_mul_lo_u32 v5, v4, s48
	v_sub_nc_u32_e32 v1, v1, v5
	s_delay_alu instid0(VALU_DEP_1)
	v_mad_u32 v3, v1, s35, v3
	v_mad_u32 v2, v1, s34, v2
	v_mov_b32_e32 v1, v4
	s_cbranch_scc1 .LBB13_20
.LBB13_21:
	s_cbranch_execnz .LBB13_24
.LBB13_22:
	v_mov_b32_e32 v1, 0
	s_and_not1_b32 vcc_lo, exec_lo, s41
	s_delay_alu instid0(VALU_DEP_1) | instskip(NEXT) | instid1(VALU_DEP_1)
	v_mul_u64_e32 v[2:3], s[22:23], v[0:1]
	v_add_nc_u32_e32 v2, v0, v3
	s_delay_alu instid0(VALU_DEP_1) | instskip(NEXT) | instid1(VALU_DEP_1)
	v_lshrrev_b32_e32 v4, s14, v2
	v_mul_lo_u32 v2, v4, s12
	s_delay_alu instid0(VALU_DEP_1) | instskip(NEXT) | instid1(VALU_DEP_1)
	v_sub_nc_u32_e32 v2, v0, v2
	v_mul_lo_u32 v3, v2, s17
	v_mul_lo_u32 v2, v2, s16
	s_cbranch_vccnz .LBB13_24
; %bb.23:
	v_mov_b32_e32 v5, v1
	s_delay_alu instid0(VALU_DEP_1) | instskip(NEXT) | instid1(VALU_DEP_1)
	v_mul_u64_e32 v[6:7], s[24:25], v[4:5]
	v_add_nc_u32_e32 v1, v4, v7
	s_delay_alu instid0(VALU_DEP_1) | instskip(NEXT) | instid1(VALU_DEP_1)
	v_lshrrev_b32_e32 v1, s1, v1
	v_mul_lo_u32 v1, v1, s15
	s_delay_alu instid0(VALU_DEP_1) | instskip(NEXT) | instid1(VALU_DEP_1)
	v_sub_nc_u32_e32 v1, v4, v1
	v_mad_u32 v2, v1, s18, v2
	v_mad_u32 v3, v1, s19, v3
.LBB13_24:
	global_load_b64 v[4:5], v3, s[6:7]
	s_wait_loadcnt 0x0
	v_cmp_le_i64_e32 vcc_lo, s[8:9], v[4:5]
	v_cmp_gt_i64_e64 s0, s[10:11], v[4:5]
	s_and_b32 s13, vcc_lo, s0
	s_mov_b32 s0, 0
	s_and_b32 s29, s40, s13
	s_mov_b32 s13, -1
	s_and_saveexec_b32 s28, s29
; %bb.25:
	v_mov_b64_e32 v[4:5], 0
	v_add_nc_u32_e32 v0, 0x80, v0
	s_mov_b32 s0, exec_lo
	s_xor_b32 s13, exec_lo, -1
	global_store_b64 v2, v[4:5], s[4:5]
; %bb.26:
	s_wait_xcnt 0x0
	s_or_b32 exec_lo, exec_lo, s28
	s_delay_alu instid0(SALU_CYCLE_1)
	s_and_b32 s13, s13, exec_lo
	s_or_not1_b32 s28, s0, exec_lo
	s_or_b32 exec_lo, exec_lo, s45
                                        ; implicit-def: $vgpr2
	s_and_saveexec_b32 s45, s28
	s_cbranch_execnz .LBB13_8
.LBB13_27:
	s_or_b32 exec_lo, exec_lo, s45
	s_mov_b32 s0, 0
	s_and_saveexec_b32 s1, s13
	s_cbranch_execnz .LBB13_156
.LBB13_28:
	s_or_b32 exec_lo, exec_lo, s1
	s_and_saveexec_b32 s1, s23
	s_delay_alu instid0(SALU_CYCLE_1)
	s_xor_b32 s1, exec_lo, s1
	s_cbranch_execz .LBB13_30
.LBB13_29:
	v_mov_b64_e32 v[0:1], 0
	global_store_b64 v2, v[0:1], s[4:5]
.LBB13_30:
	s_wait_xcnt 0x0
	s_or_b32 exec_lo, exec_lo, s1
	s_delay_alu instid0(SALU_CYCLE_1)
	s_and_b32 s12, s0, exec_lo
                                        ; implicit-def: $vgpr1
                                        ; implicit-def: $vgpr0
.LBB13_31:
	s_or_saveexec_b32 s13, s39
                                        ; implicit-def: $sgpr4_sgpr5_sgpr6_sgpr7_sgpr8_sgpr9_sgpr10_sgpr11
                                        ; implicit-def: $vgpr8
                                        ; implicit-def: $vgpr6
                                        ; implicit-def: $vgpr4
                                        ; implicit-def: $vgpr2
	s_delay_alu instid0(SALU_CYCLE_1)
	s_xor_b32 exec_lo, exec_lo, s13
	s_cbranch_execz .LBB13_38
; %bb.32:
	v_cndmask_b32_e64 v8, 0, 1, s38
	s_and_not1_b32 vcc_lo, exec_lo, s38
	s_cbranch_vccnz .LBB13_41
; %bb.33:
	s_cmp_lg_u32 s33, 0
	s_mov_b32 s8, 0
	s_cbranch_scc0 .LBB13_42
; %bb.34:
	s_min_u32 s1, s36, 15
	s_delay_alu instid0(SALU_CYCLE_1)
	s_add_co_i32 s1, s1, 1
	s_cmp_eq_u32 s36, 2
	s_cbranch_scc1 .LBB13_43
; %bb.35:
	v_dual_mov_b32 v2, 0 :: v_dual_mov_b32 v3, 0
	v_mov_b32_e32 v4, v0
	s_and_b32 s0, s1, 28
	s_add_nc_u64 s[4:5], s[20:21], 0xc4
	s_mov_b32 s9, 0
	s_mov_b64 s[6:7], s[20:21]
.LBB13_36:                              ; =>This Inner Loop Header: Depth=1
	s_clause 0x1
	s_load_b256 s[24:31], s[6:7], 0x4
	s_load_b128 s[16:19], s[6:7], 0x24
	s_load_b256 s[40:47], s[4:5], 0x0
	s_add_co_i32 s9, s9, 4
	s_wait_xcnt 0x0
	s_add_nc_u64 s[6:7], s[6:7], 48
	s_cmp_lg_u32 s0, s9
	s_add_nc_u64 s[4:5], s[4:5], 32
	s_wait_kmcnt 0x0
	v_mul_hi_u32 v5, s25, v4
	s_delay_alu instid0(VALU_DEP_1) | instskip(NEXT) | instid1(VALU_DEP_1)
	v_add_nc_u32_e32 v5, v4, v5
	v_lshrrev_b32_e32 v5, s26, v5
	s_delay_alu instid0(VALU_DEP_1) | instskip(NEXT) | instid1(VALU_DEP_1)
	v_mul_hi_u32 v6, s28, v5
	v_add_nc_u32_e32 v6, v5, v6
	s_delay_alu instid0(VALU_DEP_1) | instskip(NEXT) | instid1(VALU_DEP_1)
	v_lshrrev_b32_e32 v6, s29, v6
	v_mul_hi_u32 v7, s31, v6
	s_delay_alu instid0(VALU_DEP_1) | instskip(SKIP_1) | instid1(VALU_DEP_1)
	v_add_nc_u32_e32 v7, v6, v7
	v_mul_lo_u32 v9, v5, s24
	v_sub_nc_u32_e32 v4, v4, v9
	v_mul_lo_u32 v9, v6, s27
	s_delay_alu instid0(VALU_DEP_4) | instskip(NEXT) | instid1(VALU_DEP_3)
	v_lshrrev_b32_e32 v7, s16, v7
	v_mad_u32 v3, v4, s41, v3
	v_mad_u32 v2, v4, s40, v2
	s_delay_alu instid0(VALU_DEP_4) | instskip(NEXT) | instid1(VALU_DEP_4)
	v_sub_nc_u32_e32 v4, v5, v9
	v_mul_hi_u32 v10, s18, v7
	v_mul_lo_u32 v5, v7, s30
	s_delay_alu instid0(VALU_DEP_3) | instskip(SKIP_1) | instid1(VALU_DEP_3)
	v_mad_u32 v3, v4, s43, v3
	v_mad_u32 v2, v4, s42, v2
	v_dual_add_nc_u32 v9, v7, v10 :: v_dual_sub_nc_u32 v5, v6, v5
	s_delay_alu instid0(VALU_DEP_1) | instskip(NEXT) | instid1(VALU_DEP_2)
	v_lshrrev_b32_e32 v4, s19, v9
	v_mad_u32 v3, v5, s45, v3
	s_delay_alu instid0(VALU_DEP_4) | instskip(NEXT) | instid1(VALU_DEP_3)
	v_mad_u32 v2, v5, s44, v2
	v_mul_lo_u32 v6, v4, s17
	s_delay_alu instid0(VALU_DEP_1) | instskip(NEXT) | instid1(VALU_DEP_1)
	v_sub_nc_u32_e32 v5, v7, v6
	v_mad_u32 v3, v5, s47, v3
	s_delay_alu instid0(VALU_DEP_4)
	v_mad_u32 v2, v5, s46, v2
	s_cbranch_scc1 .LBB13_36
; %bb.37:
	s_and_b32 s6, s1, 3
	s_mov_b32 s1, 0
	s_cmp_eq_u32 s6, 0
	s_cbranch_scc0 .LBB13_44
	s_branch .LBB13_46
.LBB13_38:
	s_or_b32 exec_lo, exec_lo, s13
	s_and_saveexec_b32 s0, s12
	s_cbranch_execz .LBB13_102
.LBB13_39:
	; divergent unreachable
	s_or_b32 exec_lo, exec_lo, s0
	s_and_saveexec_b32 s0, s37
	s_cbranch_execnz .LBB13_103
.LBB13_40:
	s_endpgm
.LBB13_41:
	s_mov_b32 s8, -1
                                        ; implicit-def: $vgpr3
	s_branch .LBB13_46
.LBB13_42:
	v_dual_mov_b32 v3, 0 :: v_dual_mov_b32 v2, 0
	s_branch .LBB13_46
.LBB13_43:
	v_mov_b64_e32 v[2:3], 0
	v_mov_b32_e32 v4, v0
	s_mov_b32 s0, 0
	s_and_b32 s6, s1, 3
	s_mov_b32 s1, 0
	s_cmp_eq_u32 s6, 0
	s_cbranch_scc1 .LBB13_46
.LBB13_44:
	s_lshl_b32 s4, s0, 3
	s_mov_b32 s5, s1
	s_mul_u64 s[10:11], s[0:1], 12
	s_add_nc_u64 s[4:5], s[20:21], s[4:5]
	s_delay_alu instid0(SALU_CYCLE_1)
	s_add_nc_u64 s[0:1], s[4:5], 0xc4
	s_add_nc_u64 s[4:5], s[20:21], s[10:11]
.LBB13_45:                              ; =>This Inner Loop Header: Depth=1
	s_load_b96 s[16:18], s[4:5], 0x4
	s_load_b64 s[10:11], s[0:1], 0x0
	s_add_co_i32 s6, s6, -1
	s_wait_xcnt 0x0
	s_add_nc_u64 s[4:5], s[4:5], 12
	s_cmp_lg_u32 s6, 0
	s_add_nc_u64 s[0:1], s[0:1], 8
	s_wait_kmcnt 0x0
	v_mul_hi_u32 v5, s17, v4
	s_delay_alu instid0(VALU_DEP_1) | instskip(NEXT) | instid1(VALU_DEP_1)
	v_add_nc_u32_e32 v5, v4, v5
	v_lshrrev_b32_e32 v5, s18, v5
	s_delay_alu instid0(VALU_DEP_1) | instskip(NEXT) | instid1(VALU_DEP_1)
	v_mul_lo_u32 v6, v5, s16
	v_sub_nc_u32_e32 v4, v4, v6
	s_delay_alu instid0(VALU_DEP_1)
	v_mad_u32 v3, v4, s11, v3
	v_mad_u32 v2, v4, s10, v2
	v_mov_b32_e32 v4, v5
	s_cbranch_scc1 .LBB13_45
.LBB13_46:
	s_and_not1_b32 vcc_lo, exec_lo, s8
	s_cbranch_vccnz .LBB13_49
; %bb.47:
	s_clause 0x1
	s_load_b96 s[4:6], s[20:21], 0x4
	s_load_b64 s[0:1], s[20:21], 0xc4
	s_cmp_lt_u32 s33, 2
	s_wait_kmcnt 0x0
	v_mul_hi_u32 v2, s5, v0
	s_delay_alu instid0(VALU_DEP_1) | instskip(NEXT) | instid1(VALU_DEP_1)
	v_add_nc_u32_e32 v2, v0, v2
	v_lshrrev_b32_e32 v4, s6, v2
	s_delay_alu instid0(VALU_DEP_1) | instskip(NEXT) | instid1(VALU_DEP_1)
	v_mul_lo_u32 v2, v4, s4
	v_sub_nc_u32_e32 v2, v0, v2
	s_delay_alu instid0(VALU_DEP_1)
	v_mul_lo_u32 v3, v2, s1
	v_mul_lo_u32 v2, v2, s0
	s_cbranch_scc1 .LBB13_49
; %bb.48:
	s_clause 0x1
	s_load_b96 s[4:6], s[20:21], 0x10
	s_load_b64 s[0:1], s[20:21], 0xcc
	s_wait_kmcnt 0x0
	v_mul_hi_u32 v5, s5, v4
	s_delay_alu instid0(VALU_DEP_1) | instskip(NEXT) | instid1(VALU_DEP_1)
	v_add_nc_u32_e32 v5, v4, v5
	v_lshrrev_b32_e32 v5, s6, v5
	s_delay_alu instid0(VALU_DEP_1) | instskip(NEXT) | instid1(VALU_DEP_1)
	v_mul_lo_u32 v5, v5, s4
	v_sub_nc_u32_e32 v4, v4, v5
	s_delay_alu instid0(VALU_DEP_1)
	v_mad_u32 v2, v4, s0, v2
	v_mad_u32 v3, v4, s1, v3
.LBB13_49:
	v_cmp_ne_u32_e32 vcc_lo, 1, v8
	v_add_nc_u32_e32 v6, 0x80, v0
	s_cbranch_vccnz .LBB13_55
; %bb.50:
	s_cmp_lg_u32 s33, 0
	s_mov_b32 s8, 0
	s_cbranch_scc0 .LBB13_56
; %bb.51:
	s_min_u32 s1, s36, 15
	s_delay_alu instid0(SALU_CYCLE_1)
	s_add_co_i32 s1, s1, 1
	s_cmp_eq_u32 s36, 2
	s_cbranch_scc1 .LBB13_57
; %bb.52:
	v_dual_mov_b32 v4, 0 :: v_dual_mov_b32 v5, 0
	v_mov_b32_e32 v7, v6
	s_and_b32 s0, s1, 28
	s_add_nc_u64 s[4:5], s[20:21], 0xc4
	s_mov_b32 s9, 0
	s_mov_b64 s[6:7], s[20:21]
.LBB13_53:                              ; =>This Inner Loop Header: Depth=1
	s_clause 0x1
	s_load_b256 s[24:31], s[6:7], 0x4
	s_load_b128 s[16:19], s[6:7], 0x24
	s_load_b256 s[40:47], s[4:5], 0x0
	s_add_co_i32 s9, s9, 4
	s_wait_xcnt 0x0
	s_add_nc_u64 s[6:7], s[6:7], 48
	s_cmp_lg_u32 s0, s9
	s_add_nc_u64 s[4:5], s[4:5], 32
	s_wait_kmcnt 0x0
	v_mul_hi_u32 v9, s25, v7
	s_delay_alu instid0(VALU_DEP_1) | instskip(NEXT) | instid1(VALU_DEP_1)
	v_add_nc_u32_e32 v9, v7, v9
	v_lshrrev_b32_e32 v9, s26, v9
	s_delay_alu instid0(VALU_DEP_1) | instskip(NEXT) | instid1(VALU_DEP_1)
	v_mul_hi_u32 v10, s28, v9
	v_add_nc_u32_e32 v10, v9, v10
	s_delay_alu instid0(VALU_DEP_1) | instskip(NEXT) | instid1(VALU_DEP_1)
	v_lshrrev_b32_e32 v10, s29, v10
	v_mul_hi_u32 v11, s31, v10
	s_delay_alu instid0(VALU_DEP_1) | instskip(SKIP_1) | instid1(VALU_DEP_1)
	v_add_nc_u32_e32 v11, v10, v11
	v_mul_lo_u32 v12, v9, s24
	v_sub_nc_u32_e32 v7, v7, v12
	v_mul_lo_u32 v12, v10, s27
	s_delay_alu instid0(VALU_DEP_4) | instskip(NEXT) | instid1(VALU_DEP_3)
	v_lshrrev_b32_e32 v11, s16, v11
	v_mad_u32 v5, v7, s41, v5
	v_mad_u32 v4, v7, s40, v4
	s_delay_alu instid0(VALU_DEP_4) | instskip(NEXT) | instid1(VALU_DEP_4)
	v_sub_nc_u32_e32 v7, v9, v12
	v_mul_hi_u32 v13, s18, v11
	v_mul_lo_u32 v9, v11, s30
	s_delay_alu instid0(VALU_DEP_3) | instskip(SKIP_1) | instid1(VALU_DEP_4)
	v_mad_u32 v5, v7, s43, v5
	v_mad_u32 v4, v7, s42, v4
	v_add_nc_u32_e32 v12, v11, v13
	s_delay_alu instid0(VALU_DEP_1) | instskip(NEXT) | instid1(VALU_DEP_1)
	v_dual_sub_nc_u32 v9, v10, v9 :: v_dual_lshrrev_b32 v7, s19, v12
	v_mad_u32 v5, v9, s45, v5
	s_delay_alu instid0(VALU_DEP_4) | instskip(NEXT) | instid1(VALU_DEP_3)
	v_mad_u32 v4, v9, s44, v4
	v_mul_lo_u32 v10, v7, s17
	s_delay_alu instid0(VALU_DEP_1) | instskip(NEXT) | instid1(VALU_DEP_1)
	v_sub_nc_u32_e32 v9, v11, v10
	v_mad_u32 v5, v9, s47, v5
	s_delay_alu instid0(VALU_DEP_4)
	v_mad_u32 v4, v9, s46, v4
	s_cbranch_scc1 .LBB13_53
; %bb.54:
	s_and_b32 s6, s1, 3
	s_mov_b32 s1, 0
	s_cmp_eq_u32 s6, 0
	s_cbranch_scc0 .LBB13_58
	s_branch .LBB13_60
.LBB13_55:
	s_mov_b32 s8, -1
                                        ; implicit-def: $vgpr5
	s_branch .LBB13_60
.LBB13_56:
	v_dual_mov_b32 v5, 0 :: v_dual_mov_b32 v4, 0
	s_branch .LBB13_60
.LBB13_57:
	v_mov_b64_e32 v[4:5], 0
	v_mov_b32_e32 v7, v6
	s_mov_b32 s0, 0
	s_and_b32 s6, s1, 3
	s_mov_b32 s1, 0
	s_cmp_eq_u32 s6, 0
	s_cbranch_scc1 .LBB13_60
.LBB13_58:
	s_lshl_b32 s4, s0, 3
	s_mov_b32 s5, s1
	s_mul_u64 s[10:11], s[0:1], 12
	s_add_nc_u64 s[4:5], s[20:21], s[4:5]
	s_delay_alu instid0(SALU_CYCLE_1)
	s_add_nc_u64 s[0:1], s[4:5], 0xc4
	s_add_nc_u64 s[4:5], s[20:21], s[10:11]
.LBB13_59:                              ; =>This Inner Loop Header: Depth=1
	s_load_b96 s[16:18], s[4:5], 0x4
	s_load_b64 s[10:11], s[0:1], 0x0
	s_add_co_i32 s6, s6, -1
	s_wait_xcnt 0x0
	s_add_nc_u64 s[4:5], s[4:5], 12
	s_cmp_lg_u32 s6, 0
	s_add_nc_u64 s[0:1], s[0:1], 8
	s_wait_kmcnt 0x0
	v_mul_hi_u32 v9, s17, v7
	s_delay_alu instid0(VALU_DEP_1) | instskip(NEXT) | instid1(VALU_DEP_1)
	v_add_nc_u32_e32 v9, v7, v9
	v_lshrrev_b32_e32 v9, s18, v9
	s_delay_alu instid0(VALU_DEP_1) | instskip(NEXT) | instid1(VALU_DEP_1)
	v_mul_lo_u32 v10, v9, s16
	v_sub_nc_u32_e32 v7, v7, v10
	s_delay_alu instid0(VALU_DEP_1)
	v_mad_u32 v5, v7, s11, v5
	v_mad_u32 v4, v7, s10, v4
	v_mov_b32_e32 v7, v9
	s_cbranch_scc1 .LBB13_59
.LBB13_60:
	s_and_not1_b32 vcc_lo, exec_lo, s8
	s_cbranch_vccnz .LBB13_63
; %bb.61:
	s_clause 0x1
	s_load_b96 s[4:6], s[20:21], 0x4
	s_load_b64 s[0:1], s[20:21], 0xc4
	s_cmp_lt_u32 s33, 2
	s_wait_kmcnt 0x0
	v_mul_hi_u32 v4, s5, v6
	s_delay_alu instid0(VALU_DEP_1) | instskip(NEXT) | instid1(VALU_DEP_1)
	v_add_nc_u32_e32 v4, v6, v4
	v_lshrrev_b32_e32 v7, s6, v4
	s_delay_alu instid0(VALU_DEP_1) | instskip(NEXT) | instid1(VALU_DEP_1)
	v_mul_lo_u32 v4, v7, s4
	v_sub_nc_u32_e32 v4, v6, v4
	s_delay_alu instid0(VALU_DEP_1)
	v_mul_lo_u32 v5, v4, s1
	v_mul_lo_u32 v4, v4, s0
	s_cbranch_scc1 .LBB13_63
; %bb.62:
	s_clause 0x1
	s_load_b96 s[4:6], s[20:21], 0x10
	s_load_b64 s[0:1], s[20:21], 0xcc
	s_wait_kmcnt 0x0
	v_mul_hi_u32 v6, s5, v7
	s_delay_alu instid0(VALU_DEP_1) | instskip(NEXT) | instid1(VALU_DEP_1)
	v_add_nc_u32_e32 v6, v7, v6
	v_lshrrev_b32_e32 v6, s6, v6
	s_delay_alu instid0(VALU_DEP_1) | instskip(NEXT) | instid1(VALU_DEP_1)
	v_mul_lo_u32 v6, v6, s4
	v_sub_nc_u32_e32 v6, v7, v6
	s_delay_alu instid0(VALU_DEP_1)
	v_mad_u32 v4, v6, s0, v4
	v_mad_u32 v5, v6, s1, v5
.LBB13_63:
	v_cmp_ne_u32_e32 vcc_lo, 1, v8
	v_add_nc_u32_e32 v0, 0x100, v0
	s_cbranch_vccnz .LBB13_69
; %bb.64:
	s_cmp_lg_u32 s33, 0
	s_mov_b32 s8, 0
	s_cbranch_scc0 .LBB13_70
; %bb.65:
	s_min_u32 s1, s36, 15
	s_delay_alu instid0(SALU_CYCLE_1)
	s_add_co_i32 s1, s1, 1
	s_cmp_eq_u32 s36, 2
	s_cbranch_scc1 .LBB13_71
; %bb.66:
	v_dual_mov_b32 v6, 0 :: v_dual_mov_b32 v7, 0
	v_mov_b32_e32 v9, v0
	s_and_b32 s0, s1, 28
	s_add_nc_u64 s[4:5], s[20:21], 0xc4
	s_mov_b32 s9, 0
	s_mov_b64 s[6:7], s[20:21]
.LBB13_67:                              ; =>This Inner Loop Header: Depth=1
	s_clause 0x1
	s_load_b256 s[24:31], s[6:7], 0x4
	s_load_b128 s[16:19], s[6:7], 0x24
	s_load_b256 s[40:47], s[4:5], 0x0
	s_add_co_i32 s9, s9, 4
	s_wait_xcnt 0x0
	s_add_nc_u64 s[6:7], s[6:7], 48
	s_cmp_lg_u32 s0, s9
	s_add_nc_u64 s[4:5], s[4:5], 32
	s_wait_kmcnt 0x0
	v_mul_hi_u32 v10, s25, v9
	s_delay_alu instid0(VALU_DEP_1) | instskip(NEXT) | instid1(VALU_DEP_1)
	v_add_nc_u32_e32 v10, v9, v10
	v_lshrrev_b32_e32 v10, s26, v10
	s_delay_alu instid0(VALU_DEP_1) | instskip(NEXT) | instid1(VALU_DEP_1)
	v_mul_hi_u32 v11, s28, v10
	v_add_nc_u32_e32 v11, v10, v11
	s_delay_alu instid0(VALU_DEP_1) | instskip(NEXT) | instid1(VALU_DEP_1)
	v_lshrrev_b32_e32 v11, s29, v11
	v_mul_hi_u32 v12, s31, v11
	s_delay_alu instid0(VALU_DEP_1) | instskip(SKIP_1) | instid1(VALU_DEP_1)
	v_add_nc_u32_e32 v12, v11, v12
	v_mul_lo_u32 v13, v10, s24
	v_sub_nc_u32_e32 v9, v9, v13
	v_mul_lo_u32 v13, v11, s27
	s_delay_alu instid0(VALU_DEP_4) | instskip(NEXT) | instid1(VALU_DEP_3)
	v_lshrrev_b32_e32 v12, s16, v12
	v_mad_u32 v7, v9, s41, v7
	v_mad_u32 v6, v9, s40, v6
	s_delay_alu instid0(VALU_DEP_4) | instskip(NEXT) | instid1(VALU_DEP_4)
	v_sub_nc_u32_e32 v9, v10, v13
	v_mul_hi_u32 v14, s18, v12
	v_mul_lo_u32 v10, v12, s30
	s_delay_alu instid0(VALU_DEP_3) | instskip(SKIP_1) | instid1(VALU_DEP_4)
	v_mad_u32 v7, v9, s43, v7
	v_mad_u32 v6, v9, s42, v6
	v_add_nc_u32_e32 v13, v12, v14
	s_delay_alu instid0(VALU_DEP_1) | instskip(NEXT) | instid1(VALU_DEP_1)
	v_dual_sub_nc_u32 v10, v11, v10 :: v_dual_lshrrev_b32 v9, s19, v13
	v_mad_u32 v7, v10, s45, v7
	s_delay_alu instid0(VALU_DEP_4) | instskip(NEXT) | instid1(VALU_DEP_3)
	v_mad_u32 v6, v10, s44, v6
	v_mul_lo_u32 v11, v9, s17
	s_delay_alu instid0(VALU_DEP_1) | instskip(NEXT) | instid1(VALU_DEP_1)
	v_sub_nc_u32_e32 v10, v12, v11
	v_mad_u32 v7, v10, s47, v7
	s_delay_alu instid0(VALU_DEP_4)
	v_mad_u32 v6, v10, s46, v6
	s_cbranch_scc1 .LBB13_67
; %bb.68:
	s_and_b32 s6, s1, 3
	s_mov_b32 s1, 0
	s_cmp_eq_u32 s6, 0
	s_cbranch_scc0 .LBB13_72
	s_branch .LBB13_74
.LBB13_69:
	s_mov_b32 s8, -1
                                        ; implicit-def: $vgpr7
	s_branch .LBB13_74
.LBB13_70:
	v_dual_mov_b32 v7, 0 :: v_dual_mov_b32 v6, 0
	s_branch .LBB13_74
.LBB13_71:
	v_mov_b64_e32 v[6:7], 0
	v_mov_b32_e32 v9, v0
	s_mov_b32 s0, 0
	s_and_b32 s6, s1, 3
	s_mov_b32 s1, 0
	s_cmp_eq_u32 s6, 0
	s_cbranch_scc1 .LBB13_74
.LBB13_72:
	s_lshl_b32 s4, s0, 3
	s_mov_b32 s5, s1
	s_mul_u64 s[10:11], s[0:1], 12
	s_add_nc_u64 s[4:5], s[20:21], s[4:5]
	s_delay_alu instid0(SALU_CYCLE_1)
	s_add_nc_u64 s[0:1], s[4:5], 0xc4
	s_add_nc_u64 s[4:5], s[20:21], s[10:11]
.LBB13_73:                              ; =>This Inner Loop Header: Depth=1
	s_load_b96 s[16:18], s[4:5], 0x4
	s_load_b64 s[10:11], s[0:1], 0x0
	s_add_co_i32 s6, s6, -1
	s_wait_xcnt 0x0
	s_add_nc_u64 s[4:5], s[4:5], 12
	s_cmp_lg_u32 s6, 0
	s_add_nc_u64 s[0:1], s[0:1], 8
	s_wait_kmcnt 0x0
	v_mul_hi_u32 v10, s17, v9
	s_delay_alu instid0(VALU_DEP_1) | instskip(NEXT) | instid1(VALU_DEP_1)
	v_add_nc_u32_e32 v10, v9, v10
	v_lshrrev_b32_e32 v10, s18, v10
	s_delay_alu instid0(VALU_DEP_1) | instskip(NEXT) | instid1(VALU_DEP_1)
	v_mul_lo_u32 v11, v10, s16
	v_sub_nc_u32_e32 v9, v9, v11
	s_delay_alu instid0(VALU_DEP_1)
	v_mad_u32 v7, v9, s11, v7
	v_mad_u32 v6, v9, s10, v6
	v_mov_b32_e32 v9, v10
	s_cbranch_scc1 .LBB13_73
.LBB13_74:
	s_and_not1_b32 vcc_lo, exec_lo, s8
	s_cbranch_vccnz .LBB13_77
; %bb.75:
	s_clause 0x1
	s_load_b96 s[4:6], s[20:21], 0x4
	s_load_b64 s[0:1], s[20:21], 0xc4
	s_cmp_lt_u32 s33, 2
	s_wait_kmcnt 0x0
	v_mul_hi_u32 v6, s5, v0
	s_delay_alu instid0(VALU_DEP_1) | instskip(NEXT) | instid1(VALU_DEP_1)
	v_add_nc_u32_e32 v6, v0, v6
	v_lshrrev_b32_e32 v9, s6, v6
	s_delay_alu instid0(VALU_DEP_1) | instskip(NEXT) | instid1(VALU_DEP_1)
	v_mul_lo_u32 v6, v9, s4
	v_sub_nc_u32_e32 v0, v0, v6
	s_delay_alu instid0(VALU_DEP_1)
	v_mul_lo_u32 v7, v0, s1
	v_mul_lo_u32 v6, v0, s0
	s_cbranch_scc1 .LBB13_77
; %bb.76:
	s_clause 0x1
	s_load_b96 s[4:6], s[20:21], 0x10
	s_load_b64 s[0:1], s[20:21], 0xcc
	s_wait_kmcnt 0x0
	v_mul_hi_u32 v0, s5, v9
	s_delay_alu instid0(VALU_DEP_1) | instskip(NEXT) | instid1(VALU_DEP_1)
	v_add_nc_u32_e32 v0, v9, v0
	v_lshrrev_b32_e32 v0, s6, v0
	s_delay_alu instid0(VALU_DEP_1) | instskip(NEXT) | instid1(VALU_DEP_1)
	v_mul_lo_u32 v0, v0, s4
	v_sub_nc_u32_e32 v0, v9, v0
	s_delay_alu instid0(VALU_DEP_1)
	v_mad_u32 v6, v0, s0, v6
	v_mad_u32 v7, v0, s1, v7
.LBB13_77:
	v_cmp_ne_u32_e32 vcc_lo, 1, v8
	s_cbranch_vccnz .LBB13_83
; %bb.78:
	s_cmp_lg_u32 s33, 0
	s_mov_b32 s8, 0
	s_cbranch_scc0 .LBB13_84
; %bb.79:
	s_min_u32 s1, s36, 15
	s_delay_alu instid0(SALU_CYCLE_1)
	s_add_co_i32 s1, s1, 1
	s_cmp_eq_u32 s36, 2
	s_cbranch_scc1 .LBB13_85
; %bb.80:
	v_dual_mov_b32 v8, 0 :: v_dual_mov_b32 v9, 0
	v_mov_b32_e32 v0, v1
	s_and_b32 s0, s1, 28
	s_add_nc_u64 s[4:5], s[20:21], 0xc4
	s_mov_b32 s9, 0
	s_mov_b64 s[6:7], s[20:21]
.LBB13_81:                              ; =>This Inner Loop Header: Depth=1
	s_clause 0x1
	s_load_b256 s[24:31], s[6:7], 0x4
	s_load_b128 s[16:19], s[6:7], 0x24
	s_load_b256 s[36:43], s[4:5], 0x0
	s_add_co_i32 s9, s9, 4
	s_wait_xcnt 0x0
	s_add_nc_u64 s[6:7], s[6:7], 48
	s_cmp_lg_u32 s0, s9
	s_add_nc_u64 s[4:5], s[4:5], 32
	s_wait_kmcnt 0x0
	v_mul_hi_u32 v10, s25, v0
	s_delay_alu instid0(VALU_DEP_1) | instskip(NEXT) | instid1(VALU_DEP_1)
	v_add_nc_u32_e32 v10, v0, v10
	v_lshrrev_b32_e32 v10, s26, v10
	s_delay_alu instid0(VALU_DEP_1) | instskip(NEXT) | instid1(VALU_DEP_1)
	v_mul_hi_u32 v11, s28, v10
	v_add_nc_u32_e32 v11, v10, v11
	s_delay_alu instid0(VALU_DEP_1) | instskip(NEXT) | instid1(VALU_DEP_1)
	v_lshrrev_b32_e32 v11, s29, v11
	v_mul_hi_u32 v12, s31, v11
	s_delay_alu instid0(VALU_DEP_1) | instskip(SKIP_1) | instid1(VALU_DEP_1)
	v_add_nc_u32_e32 v12, v11, v12
	v_mul_lo_u32 v13, v10, s24
	v_sub_nc_u32_e32 v0, v0, v13
	v_mul_lo_u32 v13, v11, s27
	s_delay_alu instid0(VALU_DEP_4) | instskip(NEXT) | instid1(VALU_DEP_3)
	v_lshrrev_b32_e32 v12, s16, v12
	v_mad_u32 v9, v0, s37, v9
	v_mad_u32 v0, v0, s36, v8
	s_delay_alu instid0(VALU_DEP_4) | instskip(NEXT) | instid1(VALU_DEP_4)
	v_sub_nc_u32_e32 v8, v10, v13
	v_mul_hi_u32 v14, s18, v12
	v_mul_lo_u32 v10, v12, s30
	s_delay_alu instid0(VALU_DEP_3) | instskip(SKIP_1) | instid1(VALU_DEP_4)
	v_mad_u32 v9, v8, s39, v9
	v_mad_u32 v8, v8, s38, v0
	v_add_nc_u32_e32 v13, v12, v14
	s_delay_alu instid0(VALU_DEP_1) | instskip(NEXT) | instid1(VALU_DEP_1)
	v_dual_sub_nc_u32 v10, v11, v10 :: v_dual_lshrrev_b32 v0, s19, v13
	v_mad_u32 v9, v10, s41, v9
	s_delay_alu instid0(VALU_DEP_4) | instskip(NEXT) | instid1(VALU_DEP_3)
	v_mad_u32 v8, v10, s40, v8
	v_mul_lo_u32 v11, v0, s17
	s_delay_alu instid0(VALU_DEP_1) | instskip(NEXT) | instid1(VALU_DEP_1)
	v_sub_nc_u32_e32 v10, v12, v11
	v_mad_u32 v9, v10, s43, v9
	s_delay_alu instid0(VALU_DEP_4)
	v_mad_u32 v8, v10, s42, v8
	s_cbranch_scc1 .LBB13_81
; %bb.82:
	s_and_b32 s6, s1, 3
	s_mov_b32 s1, 0
	s_cmp_eq_u32 s6, 0
	s_cbranch_scc0 .LBB13_86
	s_branch .LBB13_88
.LBB13_83:
	s_mov_b32 s8, -1
                                        ; implicit-def: $vgpr9
	s_branch .LBB13_88
.LBB13_84:
	v_dual_mov_b32 v9, 0 :: v_dual_mov_b32 v8, 0
	s_branch .LBB13_88
.LBB13_85:
	v_mov_b64_e32 v[8:9], 0
	v_mov_b32_e32 v0, v1
	s_mov_b32 s0, 0
	s_and_b32 s6, s1, 3
	s_mov_b32 s1, 0
	s_cmp_eq_u32 s6, 0
	s_cbranch_scc1 .LBB13_88
.LBB13_86:
	s_lshl_b32 s4, s0, 3
	s_mov_b32 s5, s1
	s_mul_u64 s[10:11], s[0:1], 12
	s_add_nc_u64 s[4:5], s[20:21], s[4:5]
	s_delay_alu instid0(SALU_CYCLE_1)
	s_add_nc_u64 s[0:1], s[4:5], 0xc4
	s_add_nc_u64 s[4:5], s[20:21], s[10:11]
.LBB13_87:                              ; =>This Inner Loop Header: Depth=1
	s_load_b96 s[16:18], s[4:5], 0x4
	s_load_b64 s[10:11], s[0:1], 0x0
	s_add_co_i32 s6, s6, -1
	s_wait_xcnt 0x0
	s_add_nc_u64 s[4:5], s[4:5], 12
	s_cmp_lg_u32 s6, 0
	s_add_nc_u64 s[0:1], s[0:1], 8
	s_wait_kmcnt 0x0
	v_mul_hi_u32 v10, s17, v0
	s_delay_alu instid0(VALU_DEP_1) | instskip(NEXT) | instid1(VALU_DEP_1)
	v_add_nc_u32_e32 v10, v0, v10
	v_lshrrev_b32_e32 v10, s18, v10
	s_delay_alu instid0(VALU_DEP_1) | instskip(NEXT) | instid1(VALU_DEP_1)
	v_mul_lo_u32 v11, v10, s16
	v_sub_nc_u32_e32 v0, v0, v11
	s_delay_alu instid0(VALU_DEP_1)
	v_mad_u32 v9, v0, s11, v9
	v_mad_u32 v8, v0, s10, v8
	v_mov_b32_e32 v0, v10
	s_cbranch_scc1 .LBB13_87
.LBB13_88:
	s_and_not1_b32 vcc_lo, exec_lo, s8
	s_cbranch_vccnz .LBB13_91
; %bb.89:
	s_clause 0x1
	s_load_b96 s[4:6], s[20:21], 0x4
	s_load_b64 s[0:1], s[20:21], 0xc4
	s_cmp_lt_u32 s33, 2
	s_wait_kmcnt 0x0
	v_mul_hi_u32 v0, s5, v1
	s_delay_alu instid0(VALU_DEP_1) | instskip(NEXT) | instid1(VALU_DEP_1)
	v_add_nc_u32_e32 v0, v1, v0
	v_lshrrev_b32_e32 v0, s6, v0
	s_delay_alu instid0(VALU_DEP_1) | instskip(NEXT) | instid1(VALU_DEP_1)
	v_mul_lo_u32 v8, v0, s4
	v_sub_nc_u32_e32 v1, v1, v8
	s_delay_alu instid0(VALU_DEP_1)
	v_mul_lo_u32 v9, v1, s1
	v_mul_lo_u32 v8, v1, s0
	s_cbranch_scc1 .LBB13_91
; %bb.90:
	s_clause 0x1
	s_load_b96 s[4:6], s[20:21], 0x10
	s_load_b64 s[0:1], s[20:21], 0xcc
	s_wait_kmcnt 0x0
	v_mul_hi_u32 v1, s5, v0
	s_delay_alu instid0(VALU_DEP_1) | instskip(NEXT) | instid1(VALU_DEP_1)
	v_add_nc_u32_e32 v1, v0, v1
	v_lshrrev_b32_e32 v1, s6, v1
	s_delay_alu instid0(VALU_DEP_1) | instskip(NEXT) | instid1(VALU_DEP_1)
	v_mul_lo_u32 v1, v1, s4
	v_sub_nc_u32_e32 v0, v0, v1
	s_delay_alu instid0(VALU_DEP_1)
	v_mad_u32 v8, v0, s0, v8
	v_mad_u32 v9, v0, s1, v9
.LBB13_91:
	s_load_b256 s[4:11], s[20:21], 0x148
	s_wait_kmcnt 0x0
	global_load_b64 v[0:1], v3, s[6:7]
	s_wait_loadcnt 0x0
	v_cmp_gt_i64_e32 vcc_lo, s[8:9], v[0:1]
	v_cmp_le_i64_e64 s0, s[10:11], v[0:1]
	s_or_b32 s0, vcc_lo, s0
	s_cmp_eq_u64 s[2:3], 0
	s_cselect_b32 s1, -1, 0
	s_delay_alu instid0(SALU_CYCLE_1) | instskip(SKIP_3) | instid1(SALU_CYCLE_1)
	s_or_b32 s0, s1, s0
	s_mov_b32 s1, s12
	s_wait_xcnt 0x0
	s_and_saveexec_b32 s2, s0
	s_xor_b32 s0, exec_lo, s2
	s_cbranch_execnz .LBB13_157
; %bb.92:
	s_or_saveexec_b32 s2, s0
	s_mov_b32 s0, 0
	s_xor_b32 exec_lo, exec_lo, s2
	s_cbranch_execz .LBB13_101
.LBB13_93:
	global_load_b64 v[0:1], v5, s[6:7]
	s_mov_b32 s3, s1
	s_wait_loadcnt 0x0
	v_cmp_gt_i64_e32 vcc_lo, s[8:9], v[0:1]
	v_cmp_le_i64_e64 s0, s[10:11], v[0:1]
	s_or_b32 s0, vcc_lo, s0
	s_wait_xcnt 0x0
	s_and_saveexec_b32 s14, s0
	s_delay_alu instid0(SALU_CYCLE_1)
	s_xor_b32 s0, exec_lo, s14
	s_cbranch_execnz .LBB13_158
; %bb.94:
	s_or_saveexec_b32 s14, s0
	s_mov_b32 s0, 0
	s_xor_b32 exec_lo, exec_lo, s14
	s_cbranch_execz .LBB13_100
.LBB13_95:
	global_load_b64 v[0:1], v7, s[6:7]
	s_mov_b32 s15, s3
	s_wait_loadcnt 0x0
	v_cmp_gt_i64_e32 vcc_lo, s[8:9], v[0:1]
	v_cmp_le_i64_e64 s0, s[10:11], v[0:1]
	s_or_b32 s0, vcc_lo, s0
	s_wait_xcnt 0x0
	s_and_saveexec_b32 s16, s0
	s_delay_alu instid0(SALU_CYCLE_1)
	s_xor_b32 s0, exec_lo, s16
	s_cbranch_execnz .LBB13_159
; %bb.96:
	s_or_saveexec_b32 s16, s0
	s_mov_b32 s0, 0
	s_xor_b32 exec_lo, exec_lo, s16
	s_cbranch_execz .LBB13_99
.LBB13_97:
	global_load_b64 v[0:1], v9, s[6:7]
	s_wait_xcnt 0x0
	s_mov_b32 s6, -1
	s_wait_loadcnt 0x0
	v_cmp_gt_i64_e32 vcc_lo, s[8:9], v[0:1]
	v_cmp_le_i64_e64 s0, s[10:11], v[0:1]
	s_or_b32 s8, vcc_lo, s0
	s_mov_b32 s0, s15
	s_and_saveexec_b32 s7, s8
	s_cbranch_execnz .LBB13_160
.LBB13_98:
	s_or_b32 exec_lo, exec_lo, s7
	s_delay_alu instid0(SALU_CYCLE_1)
	s_and_not1_b32 s7, s15, exec_lo
	s_and_b32 s8, s0, exec_lo
	s_and_b32 s0, s6, exec_lo
	s_or_b32 s15, s7, s8
.LBB13_99:
	s_or_b32 exec_lo, exec_lo, s16
	s_delay_alu instid0(SALU_CYCLE_1)
	s_and_not1_b32 s3, s3, exec_lo
	s_and_b32 s6, s15, exec_lo
	s_and_b32 s0, s0, exec_lo
	s_or_b32 s3, s3, s6
.LBB13_100:
	s_or_b32 exec_lo, exec_lo, s14
	s_delay_alu instid0(SALU_CYCLE_1)
	s_and_not1_b32 s1, s1, exec_lo
	s_and_b32 s3, s3, exec_lo
	s_and_b32 s0, s0, exec_lo
	s_or_b32 s1, s1, s3
.LBB13_101:
	s_or_b32 exec_lo, exec_lo, s2
	s_delay_alu instid0(SALU_CYCLE_1)
	s_and_not1_b32 s2, s12, exec_lo
	s_and_b32 s1, s1, exec_lo
	s_and_b32 s37, s0, exec_lo
	s_or_b32 s12, s2, s1
	s_or_b32 exec_lo, exec_lo, s13
	s_and_saveexec_b32 s0, s12
	s_cbranch_execnz .LBB13_39
.LBB13_102:
	s_or_b32 exec_lo, exec_lo, s0
	s_and_saveexec_b32 s0, s37
	s_cbranch_execz .LBB13_40
.LBB13_103:
	v_mov_b64_e32 v[0:1], 0
	s_clause 0x3
	global_store_b64 v2, v[0:1], s[4:5]
	global_store_b64 v4, v[0:1], s[4:5]
	global_store_b64 v6, v[0:1], s[4:5]
	global_store_b64 v8, v[0:1], s[4:5]
	s_endpgm
.LBB13_104:
	v_dual_mov_b32 v3, 0 :: v_dual_mov_b32 v2, 0
	s_branch .LBB13_109
.LBB13_105:
	v_mov_b64_e32 v[2:3], 0
	v_mov_b32_e32 v1, v0
	s_mov_b32 s28, 0
.LBB13_106:
	s_and_b32 s0, s0, 3
	s_mov_b32 s29, 0
	s_cmp_eq_u32 s0, 0
	s_cbranch_scc1 .LBB13_109
; %bb.107:
	s_lshl_b32 s30, s28, 3
	s_mov_b32 s31, s29
	s_mul_u64 s[34:35], s[28:29], 12
	s_add_nc_u64 s[30:31], s[20:21], s[30:31]
	s_delay_alu instid0(SALU_CYCLE_1)
	s_add_nc_u64 s[28:29], s[30:31], 0xc4
	s_add_nc_u64 s[30:31], s[20:21], s[34:35]
.LBB13_108:                             ; =>This Inner Loop Header: Depth=1
	s_load_b96 s[48:50], s[30:31], 0x4
	s_load_b64 s[34:35], s[28:29], 0x0
	s_add_co_i32 s0, s0, -1
	s_wait_xcnt 0x0
	s_add_nc_u64 s[30:31], s[30:31], 12
	s_cmp_lg_u32 s0, 0
	s_add_nc_u64 s[28:29], s[28:29], 8
	s_wait_kmcnt 0x0
	v_mul_hi_u32 v4, s49, v1
	s_delay_alu instid0(VALU_DEP_1) | instskip(NEXT) | instid1(VALU_DEP_1)
	v_add_nc_u32_e32 v4, v1, v4
	v_lshrrev_b32_e32 v4, s50, v4
	s_delay_alu instid0(VALU_DEP_1) | instskip(NEXT) | instid1(VALU_DEP_1)
	v_mul_lo_u32 v5, v4, s48
	v_sub_nc_u32_e32 v1, v1, v5
	s_delay_alu instid0(VALU_DEP_1)
	v_mad_u32 v3, v1, s35, v3
	v_mad_u32 v2, v1, s34, v2
	v_mov_b32_e32 v1, v4
	s_cbranch_scc1 .LBB13_108
.LBB13_109:
	s_cbranch_execnz .LBB13_112
.LBB13_110:
	v_mov_b32_e32 v1, 0
	s_and_not1_b32 vcc_lo, exec_lo, s41
	s_delay_alu instid0(VALU_DEP_1) | instskip(NEXT) | instid1(VALU_DEP_1)
	v_mul_u64_e32 v[2:3], s[22:23], v[0:1]
	v_add_nc_u32_e32 v2, v0, v3
	s_delay_alu instid0(VALU_DEP_1) | instskip(NEXT) | instid1(VALU_DEP_1)
	v_lshrrev_b32_e32 v4, s14, v2
	v_mul_lo_u32 v2, v4, s12
	s_delay_alu instid0(VALU_DEP_1) | instskip(NEXT) | instid1(VALU_DEP_1)
	v_sub_nc_u32_e32 v2, v0, v2
	v_mul_lo_u32 v3, v2, s17
	v_mul_lo_u32 v2, v2, s16
	s_cbranch_vccnz .LBB13_112
; %bb.111:
	v_mov_b32_e32 v5, v1
	s_delay_alu instid0(VALU_DEP_1) | instskip(NEXT) | instid1(VALU_DEP_1)
	v_mul_u64_e32 v[6:7], s[24:25], v[4:5]
	v_add_nc_u32_e32 v1, v4, v7
	s_delay_alu instid0(VALU_DEP_1) | instskip(NEXT) | instid1(VALU_DEP_1)
	v_lshrrev_b32_e32 v1, s1, v1
	v_mul_lo_u32 v1, v1, s15
	s_delay_alu instid0(VALU_DEP_1) | instskip(NEXT) | instid1(VALU_DEP_1)
	v_sub_nc_u32_e32 v1, v4, v1
	v_mad_u32 v2, v1, s18, v2
	v_mad_u32 v3, v1, s19, v3
.LBB13_112:
	global_load_b64 v[4:5], v3, s[6:7]
	s_wait_loadcnt 0x0
	v_cmp_le_i64_e32 vcc_lo, s[8:9], v[4:5]
	v_cmp_gt_i64_e64 s0, s[10:11], v[4:5]
	s_and_b32 s28, vcc_lo, s0
	s_mov_b32 s0, 0
	s_and_b32 s30, s40, s28
	s_mov_b32 s28, -1
	s_wait_xcnt 0x0
	s_and_saveexec_b32 s29, s30
; %bb.113:
	v_mov_b64_e32 v[4:5], 0
	v_add_nc_u32_e32 v0, 0x80, v0
	s_mov_b32 s0, exec_lo
	s_xor_b32 s28, exec_lo, -1
	global_store_b64 v2, v[4:5], s[4:5]
; %bb.114:
	s_wait_xcnt 0x0
	s_or_b32 exec_lo, exec_lo, s29
	s_delay_alu instid0(SALU_CYCLE_1)
	s_and_not1_b32 s29, s13, exec_lo
	s_and_b32 s28, s28, exec_lo
	s_or_not1_b32 s0, s0, exec_lo
	s_or_b32 s46, s29, s28
.LBB13_115:
	s_or_b32 exec_lo, exec_lo, s47
	s_mov_b32 s28, 0
                                        ; implicit-def: $vgpr2
	s_and_saveexec_b32 s47, s0
	s_cbranch_execz .LBB13_155
; %bb.116:
	s_mov_b32 s0, -1
	s_mov_b32 s34, s46
	s_mov_b32 s48, exec_lo
	v_cmpx_gt_i32_e64 s42, v0
	s_cbranch_execz .LBB13_135
; %bb.117:
	s_and_not1_b32 vcc_lo, exec_lo, s38
	s_cbranch_vccnz .LBB13_122
; %bb.118:
	s_and_not1_b32 vcc_lo, exec_lo, s44
	s_cbranch_vccnz .LBB13_123
; %bb.119:
	s_add_co_i32 s0, s43, 1
	s_cmp_eq_u32 s36, 2
	s_cbranch_scc1 .LBB13_124
; %bb.120:
	v_dual_mov_b32 v2, 0 :: v_dual_mov_b32 v3, 0
	v_mov_b32_e32 v1, v0
	s_and_b32 s28, s0, 28
	s_mov_b32 s29, 0
	s_mov_b64 s[30:31], s[20:21]
	s_mov_b64 s[34:35], s[26:27]
.LBB13_121:                             ; =>This Inner Loop Header: Depth=1
	s_clause 0x1
	s_load_b256 s[52:59], s[30:31], 0x4
	s_load_b128 s[68:71], s[30:31], 0x24
	s_load_b256 s[60:67], s[34:35], 0x0
	s_add_co_i32 s29, s29, 4
	s_wait_xcnt 0x0
	s_add_nc_u64 s[30:31], s[30:31], 48
	s_cmp_eq_u32 s28, s29
	s_add_nc_u64 s[34:35], s[34:35], 32
	s_wait_kmcnt 0x0
	v_mul_hi_u32 v4, s53, v1
	s_delay_alu instid0(VALU_DEP_1) | instskip(NEXT) | instid1(VALU_DEP_1)
	v_add_nc_u32_e32 v4, v1, v4
	v_lshrrev_b32_e32 v4, s54, v4
	s_delay_alu instid0(VALU_DEP_1) | instskip(NEXT) | instid1(VALU_DEP_1)
	v_mul_hi_u32 v5, s56, v4
	v_add_nc_u32_e32 v5, v4, v5
	s_delay_alu instid0(VALU_DEP_1) | instskip(NEXT) | instid1(VALU_DEP_1)
	v_lshrrev_b32_e32 v5, s57, v5
	v_mul_hi_u32 v6, s59, v5
	s_delay_alu instid0(VALU_DEP_1) | instskip(SKIP_1) | instid1(VALU_DEP_1)
	v_add_nc_u32_e32 v6, v5, v6
	v_mul_lo_u32 v7, v4, s52
	v_sub_nc_u32_e32 v1, v1, v7
	v_mul_lo_u32 v7, v5, s55
	s_delay_alu instid0(VALU_DEP_4) | instskip(NEXT) | instid1(VALU_DEP_3)
	v_lshrrev_b32_e32 v6, s68, v6
	v_mad_u32 v3, v1, s61, v3
	v_mad_u32 v1, v1, s60, v2
	s_delay_alu instid0(VALU_DEP_4) | instskip(NEXT) | instid1(VALU_DEP_4)
	v_sub_nc_u32_e32 v2, v4, v7
	v_mul_hi_u32 v8, s70, v6
	v_mul_lo_u32 v4, v6, s58
	s_delay_alu instid0(VALU_DEP_3) | instskip(SKIP_1) | instid1(VALU_DEP_4)
	v_mad_u32 v3, v2, s63, v3
	v_mad_u32 v2, v2, s62, v1
	v_add_nc_u32_e32 v7, v6, v8
	s_delay_alu instid0(VALU_DEP_1) | instskip(NEXT) | instid1(VALU_DEP_1)
	v_dual_sub_nc_u32 v4, v5, v4 :: v_dual_lshrrev_b32 v1, s71, v7
	v_mad_u32 v3, v4, s65, v3
	s_delay_alu instid0(VALU_DEP_4) | instskip(NEXT) | instid1(VALU_DEP_3)
	v_mad_u32 v2, v4, s64, v2
	v_mul_lo_u32 v5, v1, s69
	s_delay_alu instid0(VALU_DEP_1) | instskip(NEXT) | instid1(VALU_DEP_1)
	v_sub_nc_u32_e32 v4, v6, v5
	v_mad_u32 v3, v4, s67, v3
	s_delay_alu instid0(VALU_DEP_4)
	v_mad_u32 v2, v4, s66, v2
	s_cbranch_scc0 .LBB13_121
	s_branch .LBB13_125
.LBB13_122:
                                        ; implicit-def: $vgpr3
	s_branch .LBB13_129
.LBB13_123:
	v_dual_mov_b32 v3, 0 :: v_dual_mov_b32 v2, 0
	s_branch .LBB13_128
.LBB13_124:
	v_mov_b64_e32 v[2:3], 0
	v_mov_b32_e32 v1, v0
.LBB13_125:
	s_and_b32 s0, s0, 3
	s_mov_b32 s29, 0
	s_cmp_eq_u32 s0, 0
	s_cbranch_scc1 .LBB13_128
; %bb.126:
	s_lshl_b32 s30, s28, 3
	s_mov_b32 s31, s29
	s_mul_u64 s[34:35], s[28:29], 12
	s_add_nc_u64 s[30:31], s[20:21], s[30:31]
	s_delay_alu instid0(SALU_CYCLE_1)
	s_add_nc_u64 s[28:29], s[30:31], 0xc4
	s_add_nc_u64 s[30:31], s[20:21], s[34:35]
.LBB13_127:                             ; =>This Inner Loop Header: Depth=1
	s_load_b96 s[52:54], s[30:31], 0x4
	s_load_b64 s[34:35], s[28:29], 0x0
	s_add_co_i32 s0, s0, -1
	s_wait_xcnt 0x0
	s_add_nc_u64 s[30:31], s[30:31], 12
	s_cmp_lg_u32 s0, 0
	s_add_nc_u64 s[28:29], s[28:29], 8
	s_wait_kmcnt 0x0
	v_mul_hi_u32 v4, s53, v1
	s_delay_alu instid0(VALU_DEP_1) | instskip(NEXT) | instid1(VALU_DEP_1)
	v_add_nc_u32_e32 v4, v1, v4
	v_lshrrev_b32_e32 v4, s54, v4
	s_delay_alu instid0(VALU_DEP_1) | instskip(NEXT) | instid1(VALU_DEP_1)
	v_mul_lo_u32 v5, v4, s52
	v_sub_nc_u32_e32 v1, v1, v5
	s_delay_alu instid0(VALU_DEP_1)
	v_mad_u32 v3, v1, s35, v3
	v_mad_u32 v2, v1, s34, v2
	v_mov_b32_e32 v1, v4
	s_cbranch_scc1 .LBB13_127
.LBB13_128:
	s_mov_b32 s0, 0
.LBB13_129:
	s_delay_alu instid0(SALU_CYCLE_1)
	s_and_not1_b32 vcc_lo, exec_lo, s0
	s_cbranch_vccnz .LBB13_132
; %bb.130:
	v_mov_b32_e32 v1, 0
	s_and_not1_b32 vcc_lo, exec_lo, s41
	s_delay_alu instid0(VALU_DEP_1) | instskip(NEXT) | instid1(VALU_DEP_1)
	v_mul_u64_e32 v[2:3], s[22:23], v[0:1]
	v_add_nc_u32_e32 v2, v0, v3
	s_delay_alu instid0(VALU_DEP_1) | instskip(NEXT) | instid1(VALU_DEP_1)
	v_lshrrev_b32_e32 v4, s14, v2
	v_mul_lo_u32 v2, v4, s12
	s_delay_alu instid0(VALU_DEP_1) | instskip(NEXT) | instid1(VALU_DEP_1)
	v_sub_nc_u32_e32 v2, v0, v2
	v_mul_lo_u32 v3, v2, s17
	v_mul_lo_u32 v2, v2, s16
	s_cbranch_vccnz .LBB13_132
; %bb.131:
	v_mov_b32_e32 v5, v1
	s_delay_alu instid0(VALU_DEP_1) | instskip(NEXT) | instid1(VALU_DEP_1)
	v_mul_u64_e32 v[6:7], s[24:25], v[4:5]
	v_add_nc_u32_e32 v1, v4, v7
	s_delay_alu instid0(VALU_DEP_1) | instskip(NEXT) | instid1(VALU_DEP_1)
	v_lshrrev_b32_e32 v1, s1, v1
	v_mul_lo_u32 v1, v1, s15
	s_delay_alu instid0(VALU_DEP_1) | instskip(NEXT) | instid1(VALU_DEP_1)
	v_sub_nc_u32_e32 v1, v4, v1
	v_mad_u32 v2, v1, s18, v2
	v_mad_u32 v3, v1, s19, v3
.LBB13_132:
	global_load_b64 v[4:5], v3, s[6:7]
	s_wait_loadcnt 0x0
	v_cmp_le_i64_e32 vcc_lo, s[8:9], v[4:5]
	v_cmp_gt_i64_e64 s0, s[10:11], v[4:5]
	s_and_b32 s28, vcc_lo, s0
	s_mov_b32 s0, 0
	s_and_b32 s30, s40, s28
	s_mov_b32 s28, -1
	s_wait_xcnt 0x0
	s_and_saveexec_b32 s29, s30
; %bb.133:
	v_mov_b64_e32 v[4:5], 0
	v_add_nc_u32_e32 v0, 0x80, v0
	s_mov_b32 s0, exec_lo
	s_xor_b32 s28, exec_lo, -1
	global_store_b64 v2, v[4:5], s[4:5]
; %bb.134:
	s_wait_xcnt 0x0
	s_or_b32 exec_lo, exec_lo, s29
	s_delay_alu instid0(SALU_CYCLE_1)
	s_and_not1_b32 s29, s46, exec_lo
	s_and_b32 s28, s28, exec_lo
	s_or_not1_b32 s0, s0, exec_lo
	s_or_b32 s34, s29, s28
.LBB13_135:
	s_or_b32 exec_lo, exec_lo, s48
	s_mov_b32 s28, 0
                                        ; implicit-def: $vgpr2
	s_and_saveexec_b32 s35, s0
	s_cbranch_execz .LBB13_154
; %bb.136:
	v_cmp_gt_i32_e32 vcc_lo, s42, v0
	s_mov_b32 s0, s34
                                        ; implicit-def: $vgpr2
	s_and_saveexec_b32 s42, vcc_lo
	s_cbranch_execz .LBB13_153
; %bb.137:
	s_and_not1_b32 vcc_lo, exec_lo, s38
	s_cbranch_vccnz .LBB13_142
; %bb.138:
	s_and_not1_b32 vcc_lo, exec_lo, s44
	s_cbranch_vccnz .LBB13_143
; %bb.139:
	s_add_co_i32 s43, s43, 1
	s_cmp_eq_u32 s36, 2
	s_cbranch_scc1 .LBB13_144
; %bb.140:
	v_dual_mov_b32 v2, 0 :: v_dual_mov_b32 v3, 0
	v_mov_b32_e32 v1, v0
	s_and_b32 s28, s43, 28
	s_mov_b32 s0, 0
	s_mov_b64 s[30:31], s[20:21]
.LBB13_141:                             ; =>This Inner Loop Header: Depth=1
	s_clause 0x1
	s_load_b256 s[48:55], s[30:31], 0x4
	s_load_b128 s[64:67], s[30:31], 0x24
	s_load_b256 s[56:63], s[26:27], 0x0
	s_add_co_i32 s0, s0, 4
	s_wait_xcnt 0x0
	s_add_nc_u64 s[30:31], s[30:31], 48
	s_cmp_eq_u32 s28, s0
	s_add_nc_u64 s[26:27], s[26:27], 32
	s_wait_kmcnt 0x0
	v_mul_hi_u32 v4, s49, v1
	s_delay_alu instid0(VALU_DEP_1) | instskip(NEXT) | instid1(VALU_DEP_1)
	v_add_nc_u32_e32 v4, v1, v4
	v_lshrrev_b32_e32 v4, s50, v4
	s_delay_alu instid0(VALU_DEP_1) | instskip(NEXT) | instid1(VALU_DEP_1)
	v_mul_hi_u32 v5, s52, v4
	v_add_nc_u32_e32 v5, v4, v5
	s_delay_alu instid0(VALU_DEP_1) | instskip(NEXT) | instid1(VALU_DEP_1)
	v_lshrrev_b32_e32 v5, s53, v5
	v_mul_hi_u32 v6, s55, v5
	s_delay_alu instid0(VALU_DEP_1) | instskip(SKIP_1) | instid1(VALU_DEP_1)
	v_add_nc_u32_e32 v6, v5, v6
	v_mul_lo_u32 v7, v4, s48
	v_sub_nc_u32_e32 v1, v1, v7
	v_mul_lo_u32 v7, v5, s51
	s_delay_alu instid0(VALU_DEP_4) | instskip(NEXT) | instid1(VALU_DEP_3)
	v_lshrrev_b32_e32 v6, s64, v6
	v_mad_u32 v3, v1, s57, v3
	v_mad_u32 v1, v1, s56, v2
	s_delay_alu instid0(VALU_DEP_4) | instskip(NEXT) | instid1(VALU_DEP_4)
	v_sub_nc_u32_e32 v2, v4, v7
	v_mul_hi_u32 v8, s66, v6
	v_mul_lo_u32 v4, v6, s54
	s_delay_alu instid0(VALU_DEP_3) | instskip(SKIP_1) | instid1(VALU_DEP_4)
	v_mad_u32 v3, v2, s59, v3
	v_mad_u32 v2, v2, s58, v1
	v_add_nc_u32_e32 v7, v6, v8
	s_delay_alu instid0(VALU_DEP_1) | instskip(NEXT) | instid1(VALU_DEP_1)
	v_dual_sub_nc_u32 v4, v5, v4 :: v_dual_lshrrev_b32 v1, s67, v7
	v_mad_u32 v3, v4, s61, v3
	s_delay_alu instid0(VALU_DEP_4) | instskip(NEXT) | instid1(VALU_DEP_3)
	v_mad_u32 v2, v4, s60, v2
	v_mul_lo_u32 v5, v1, s65
	s_delay_alu instid0(VALU_DEP_1) | instskip(NEXT) | instid1(VALU_DEP_1)
	v_sub_nc_u32_e32 v4, v6, v5
	v_mad_u32 v3, v4, s63, v3
	s_delay_alu instid0(VALU_DEP_4)
	v_mad_u32 v2, v4, s62, v2
	s_cbranch_scc0 .LBB13_141
	s_branch .LBB13_145
.LBB13_142:
	s_mov_b32 s0, -1
                                        ; implicit-def: $vgpr3
	s_branch .LBB13_149
.LBB13_143:
	v_dual_mov_b32 v3, 0 :: v_dual_mov_b32 v2, 0
	s_branch .LBB13_148
.LBB13_144:
	v_mov_b64_e32 v[2:3], 0
	v_mov_b32_e32 v1, v0
.LBB13_145:
	s_and_b32 s0, s43, 3
	s_mov_b32 s29, 0
	s_cmp_eq_u32 s0, 0
	s_cbranch_scc1 .LBB13_148
; %bb.146:
	s_lshl_b32 s26, s28, 3
	s_mov_b32 s27, s29
	s_mul_u64 s[28:29], s[28:29], 12
	s_add_nc_u64 s[26:27], s[20:21], s[26:27]
	s_add_nc_u64 s[28:29], s[20:21], s[28:29]
	;; [unrolled: 1-line block ×3, first 2 shown]
.LBB13_147:                             ; =>This Inner Loop Header: Depth=1
	s_load_b96 s[48:50], s[28:29], 0x4
	s_load_b64 s[30:31], s[26:27], 0x0
	s_add_co_i32 s0, s0, -1
	s_wait_xcnt 0x0
	s_add_nc_u64 s[28:29], s[28:29], 12
	s_cmp_lg_u32 s0, 0
	s_add_nc_u64 s[26:27], s[26:27], 8
	s_wait_kmcnt 0x0
	v_mul_hi_u32 v4, s49, v1
	s_delay_alu instid0(VALU_DEP_1) | instskip(NEXT) | instid1(VALU_DEP_1)
	v_add_nc_u32_e32 v4, v1, v4
	v_lshrrev_b32_e32 v4, s50, v4
	s_delay_alu instid0(VALU_DEP_1) | instskip(NEXT) | instid1(VALU_DEP_1)
	v_mul_lo_u32 v5, v4, s48
	v_sub_nc_u32_e32 v1, v1, v5
	s_delay_alu instid0(VALU_DEP_1)
	v_mad_u32 v3, v1, s31, v3
	v_mad_u32 v2, v1, s30, v2
	v_mov_b32_e32 v1, v4
	s_cbranch_scc1 .LBB13_147
.LBB13_148:
	s_mov_b32 s0, 0
.LBB13_149:
	s_delay_alu instid0(SALU_CYCLE_1)
	s_and_not1_b32 vcc_lo, exec_lo, s0
	s_cbranch_vccnz .LBB13_152
; %bb.150:
	v_mov_b32_e32 v1, 0
	s_and_not1_b32 vcc_lo, exec_lo, s41
	s_delay_alu instid0(VALU_DEP_1) | instskip(NEXT) | instid1(VALU_DEP_1)
	v_mul_u64_e32 v[2:3], s[22:23], v[0:1]
	v_add_nc_u32_e32 v2, v0, v3
	s_delay_alu instid0(VALU_DEP_1) | instskip(NEXT) | instid1(VALU_DEP_1)
	v_lshrrev_b32_e32 v4, s14, v2
	v_mul_lo_u32 v2, v4, s12
	s_delay_alu instid0(VALU_DEP_1) | instskip(NEXT) | instid1(VALU_DEP_1)
	v_sub_nc_u32_e32 v0, v0, v2
	v_mul_lo_u32 v3, v0, s17
	v_mul_lo_u32 v2, v0, s16
	s_cbranch_vccnz .LBB13_152
; %bb.151:
	v_mov_b32_e32 v5, v1
	s_delay_alu instid0(VALU_DEP_1) | instskip(NEXT) | instid1(VALU_DEP_1)
	v_mul_u64_e32 v[0:1], s[24:25], v[4:5]
	v_add_nc_u32_e32 v0, v4, v1
	s_delay_alu instid0(VALU_DEP_1) | instskip(NEXT) | instid1(VALU_DEP_1)
	v_lshrrev_b32_e32 v0, s1, v0
	v_mul_lo_u32 v0, v0, s15
	s_delay_alu instid0(VALU_DEP_1) | instskip(NEXT) | instid1(VALU_DEP_1)
	v_sub_nc_u32_e32 v0, v4, v0
	v_mad_u32 v2, v0, s18, v2
	v_mad_u32 v3, v0, s19, v3
.LBB13_152:
	global_load_b64 v[0:1], v3, s[6:7]
	s_and_not1_b32 s1, s34, exec_lo
	s_mov_b32 s28, exec_lo
	s_wait_loadcnt 0x0
	v_cmp_le_i64_e32 vcc_lo, s[8:9], v[0:1]
	v_cmp_gt_i64_e64 s0, s[10:11], v[0:1]
	s_and_b32 s0, vcc_lo, s0
	s_delay_alu instid0(SALU_CYCLE_1) | instskip(NEXT) | instid1(SALU_CYCLE_1)
	s_and_b32 s0, s40, s0
	s_xor_b32 s0, s0, -1
	s_delay_alu instid0(SALU_CYCLE_1) | instskip(NEXT) | instid1(SALU_CYCLE_1)
	s_and_b32 s0, s0, exec_lo
	s_or_b32 s0, s1, s0
.LBB13_153:
	s_wait_xcnt 0x0
	s_or_b32 exec_lo, exec_lo, s42
	s_delay_alu instid0(SALU_CYCLE_1)
	s_and_not1_b32 s1, s34, exec_lo
	s_and_b32 s0, s0, exec_lo
	s_and_b32 s28, s28, exec_lo
	s_or_b32 s34, s1, s0
.LBB13_154:
	s_or_b32 exec_lo, exec_lo, s35
	s_delay_alu instid0(SALU_CYCLE_1)
	s_and_not1_b32 s0, s46, exec_lo
	s_and_b32 s1, s34, exec_lo
	s_and_b32 s28, s28, exec_lo
	s_or_b32 s46, s0, s1
.LBB13_155:
	s_or_b32 exec_lo, exec_lo, s47
	s_delay_alu instid0(SALU_CYCLE_1)
	s_and_not1_b32 s0, s13, exec_lo
	s_and_b32 s1, s46, exec_lo
	s_and_b32 s23, s28, exec_lo
	s_or_b32 s13, s0, s1
	s_or_b32 exec_lo, exec_lo, s45
	s_mov_b32 s0, 0
	s_and_saveexec_b32 s1, s13
	s_cbranch_execz .LBB13_28
.LBB13_156:
	s_mov_b32 s0, exec_lo
	s_and_not1_b32 s23, s23, exec_lo
	s_trap 2
	s_or_b32 exec_lo, exec_lo, s1
	s_and_saveexec_b32 s1, s23
	s_delay_alu instid0(SALU_CYCLE_1)
	s_xor_b32 s1, exec_lo, s1
	s_cbranch_execnz .LBB13_29
	s_branch .LBB13_30
.LBB13_157:
	s_or_b32 s1, s12, exec_lo
	s_trap 2
	s_or_saveexec_b32 s2, s0
	s_mov_b32 s0, 0
	s_xor_b32 exec_lo, exec_lo, s2
	s_cbranch_execnz .LBB13_93
	s_branch .LBB13_101
.LBB13_158:
	s_or_b32 s3, s1, exec_lo
	s_trap 2
	s_or_saveexec_b32 s14, s0
	s_mov_b32 s0, 0
	s_xor_b32 exec_lo, exec_lo, s14
	s_cbranch_execnz .LBB13_95
	s_branch .LBB13_100
.LBB13_159:
	s_or_b32 s15, s3, exec_lo
	s_trap 2
	s_or_saveexec_b32 s16, s0
	s_mov_b32 s0, 0
	s_xor_b32 exec_lo, exec_lo, s16
	s_cbranch_execnz .LBB13_97
	s_branch .LBB13_99
.LBB13_160:
	s_xor_b32 s6, exec_lo, -1
	s_or_b32 s0, s15, exec_lo
	s_trap 2
	s_branch .LBB13_98
	.section	.rodata,"a",@progbits
	.p2align	6, 0x0
	.amdhsa_kernel _ZN2at6native32elementwise_kernel_manual_unrollILi128ELi4EZNS0_22gpu_kernel_impl_nocastIZZZNS0_12_GLOBAL__N_142_validate_compressed_sparse_indices_kernelILNS3_8CDimNameE0ENS3_18CUDAKernelLauncherENS3_14EmptyVecKernelENS3_8DummyVecELm8EEEvRKNS_6TensorESB_lllENKUlvE0_clEvENKUlvE0_clEvEUllE_EEvRNS_18TensorIteratorBaseERKT_EUlibE_EEviT1_
		.amdhsa_group_segment_fixed_size 0
		.amdhsa_private_segment_fixed_size 0
		.amdhsa_kernarg_size 368
		.amdhsa_user_sgpr_count 2
		.amdhsa_user_sgpr_dispatch_ptr 0
		.amdhsa_user_sgpr_queue_ptr 0
		.amdhsa_user_sgpr_kernarg_segment_ptr 1
		.amdhsa_user_sgpr_dispatch_id 0
		.amdhsa_user_sgpr_kernarg_preload_length 0
		.amdhsa_user_sgpr_kernarg_preload_offset 0
		.amdhsa_user_sgpr_private_segment_size 0
		.amdhsa_wavefront_size32 1
		.amdhsa_uses_dynamic_stack 0
		.amdhsa_enable_private_segment 0
		.amdhsa_system_sgpr_workgroup_id_x 1
		.amdhsa_system_sgpr_workgroup_id_y 0
		.amdhsa_system_sgpr_workgroup_id_z 0
		.amdhsa_system_sgpr_workgroup_info 0
		.amdhsa_system_vgpr_workitem_id 0
		.amdhsa_next_free_vgpr 15
		.amdhsa_next_free_sgpr 72
		.amdhsa_named_barrier_count 0
		.amdhsa_reserve_vcc 1
		.amdhsa_float_round_mode_32 0
		.amdhsa_float_round_mode_16_64 0
		.amdhsa_float_denorm_mode_32 3
		.amdhsa_float_denorm_mode_16_64 3
		.amdhsa_fp16_overflow 0
		.amdhsa_memory_ordered 1
		.amdhsa_forward_progress 1
		.amdhsa_inst_pref_size 56
		.amdhsa_round_robin_scheduling 0
		.amdhsa_exception_fp_ieee_invalid_op 0
		.amdhsa_exception_fp_denorm_src 0
		.amdhsa_exception_fp_ieee_div_zero 0
		.amdhsa_exception_fp_ieee_overflow 0
		.amdhsa_exception_fp_ieee_underflow 0
		.amdhsa_exception_fp_ieee_inexact 0
		.amdhsa_exception_int_div_zero 0
	.end_amdhsa_kernel
	.section	.text._ZN2at6native32elementwise_kernel_manual_unrollILi128ELi4EZNS0_22gpu_kernel_impl_nocastIZZZNS0_12_GLOBAL__N_142_validate_compressed_sparse_indices_kernelILNS3_8CDimNameE0ENS3_18CUDAKernelLauncherENS3_14EmptyVecKernelENS3_8DummyVecELm8EEEvRKNS_6TensorESB_lllENKUlvE0_clEvENKUlvE0_clEvEUllE_EEvRNS_18TensorIteratorBaseERKT_EUlibE_EEviT1_,"axG",@progbits,_ZN2at6native32elementwise_kernel_manual_unrollILi128ELi4EZNS0_22gpu_kernel_impl_nocastIZZZNS0_12_GLOBAL__N_142_validate_compressed_sparse_indices_kernelILNS3_8CDimNameE0ENS3_18CUDAKernelLauncherENS3_14EmptyVecKernelENS3_8DummyVecELm8EEEvRKNS_6TensorESB_lllENKUlvE0_clEvENKUlvE0_clEvEUllE_EEvRNS_18TensorIteratorBaseERKT_EUlibE_EEviT1_,comdat
.Lfunc_end13:
	.size	_ZN2at6native32elementwise_kernel_manual_unrollILi128ELi4EZNS0_22gpu_kernel_impl_nocastIZZZNS0_12_GLOBAL__N_142_validate_compressed_sparse_indices_kernelILNS3_8CDimNameE0ENS3_18CUDAKernelLauncherENS3_14EmptyVecKernelENS3_8DummyVecELm8EEEvRKNS_6TensorESB_lllENKUlvE0_clEvENKUlvE0_clEvEUllE_EEvRNS_18TensorIteratorBaseERKT_EUlibE_EEviT1_, .Lfunc_end13-_ZN2at6native32elementwise_kernel_manual_unrollILi128ELi4EZNS0_22gpu_kernel_impl_nocastIZZZNS0_12_GLOBAL__N_142_validate_compressed_sparse_indices_kernelILNS3_8CDimNameE0ENS3_18CUDAKernelLauncherENS3_14EmptyVecKernelENS3_8DummyVecELm8EEEvRKNS_6TensorESB_lllENKUlvE0_clEvENKUlvE0_clEvEUllE_EEvRNS_18TensorIteratorBaseERKT_EUlibE_EEviT1_
                                        ; -- End function
	.set _ZN2at6native32elementwise_kernel_manual_unrollILi128ELi4EZNS0_22gpu_kernel_impl_nocastIZZZNS0_12_GLOBAL__N_142_validate_compressed_sparse_indices_kernelILNS3_8CDimNameE0ENS3_18CUDAKernelLauncherENS3_14EmptyVecKernelENS3_8DummyVecELm8EEEvRKNS_6TensorESB_lllENKUlvE0_clEvENKUlvE0_clEvEUllE_EEvRNS_18TensorIteratorBaseERKT_EUlibE_EEviT1_.num_vgpr, 15
	.set _ZN2at6native32elementwise_kernel_manual_unrollILi128ELi4EZNS0_22gpu_kernel_impl_nocastIZZZNS0_12_GLOBAL__N_142_validate_compressed_sparse_indices_kernelILNS3_8CDimNameE0ENS3_18CUDAKernelLauncherENS3_14EmptyVecKernelENS3_8DummyVecELm8EEEvRKNS_6TensorESB_lllENKUlvE0_clEvENKUlvE0_clEvEUllE_EEvRNS_18TensorIteratorBaseERKT_EUlibE_EEviT1_.num_agpr, 0
	.set _ZN2at6native32elementwise_kernel_manual_unrollILi128ELi4EZNS0_22gpu_kernel_impl_nocastIZZZNS0_12_GLOBAL__N_142_validate_compressed_sparse_indices_kernelILNS3_8CDimNameE0ENS3_18CUDAKernelLauncherENS3_14EmptyVecKernelENS3_8DummyVecELm8EEEvRKNS_6TensorESB_lllENKUlvE0_clEvENKUlvE0_clEvEUllE_EEvRNS_18TensorIteratorBaseERKT_EUlibE_EEviT1_.numbered_sgpr, 72
	.set _ZN2at6native32elementwise_kernel_manual_unrollILi128ELi4EZNS0_22gpu_kernel_impl_nocastIZZZNS0_12_GLOBAL__N_142_validate_compressed_sparse_indices_kernelILNS3_8CDimNameE0ENS3_18CUDAKernelLauncherENS3_14EmptyVecKernelENS3_8DummyVecELm8EEEvRKNS_6TensorESB_lllENKUlvE0_clEvENKUlvE0_clEvEUllE_EEvRNS_18TensorIteratorBaseERKT_EUlibE_EEviT1_.num_named_barrier, 0
	.set _ZN2at6native32elementwise_kernel_manual_unrollILi128ELi4EZNS0_22gpu_kernel_impl_nocastIZZZNS0_12_GLOBAL__N_142_validate_compressed_sparse_indices_kernelILNS3_8CDimNameE0ENS3_18CUDAKernelLauncherENS3_14EmptyVecKernelENS3_8DummyVecELm8EEEvRKNS_6TensorESB_lllENKUlvE0_clEvENKUlvE0_clEvEUllE_EEvRNS_18TensorIteratorBaseERKT_EUlibE_EEviT1_.private_seg_size, 0
	.set _ZN2at6native32elementwise_kernel_manual_unrollILi128ELi4EZNS0_22gpu_kernel_impl_nocastIZZZNS0_12_GLOBAL__N_142_validate_compressed_sparse_indices_kernelILNS3_8CDimNameE0ENS3_18CUDAKernelLauncherENS3_14EmptyVecKernelENS3_8DummyVecELm8EEEvRKNS_6TensorESB_lllENKUlvE0_clEvENKUlvE0_clEvEUllE_EEvRNS_18TensorIteratorBaseERKT_EUlibE_EEviT1_.uses_vcc, 1
	.set _ZN2at6native32elementwise_kernel_manual_unrollILi128ELi4EZNS0_22gpu_kernel_impl_nocastIZZZNS0_12_GLOBAL__N_142_validate_compressed_sparse_indices_kernelILNS3_8CDimNameE0ENS3_18CUDAKernelLauncherENS3_14EmptyVecKernelENS3_8DummyVecELm8EEEvRKNS_6TensorESB_lllENKUlvE0_clEvENKUlvE0_clEvEUllE_EEvRNS_18TensorIteratorBaseERKT_EUlibE_EEviT1_.uses_flat_scratch, 0
	.set _ZN2at6native32elementwise_kernel_manual_unrollILi128ELi4EZNS0_22gpu_kernel_impl_nocastIZZZNS0_12_GLOBAL__N_142_validate_compressed_sparse_indices_kernelILNS3_8CDimNameE0ENS3_18CUDAKernelLauncherENS3_14EmptyVecKernelENS3_8DummyVecELm8EEEvRKNS_6TensorESB_lllENKUlvE0_clEvENKUlvE0_clEvEUllE_EEvRNS_18TensorIteratorBaseERKT_EUlibE_EEviT1_.has_dyn_sized_stack, 0
	.set _ZN2at6native32elementwise_kernel_manual_unrollILi128ELi4EZNS0_22gpu_kernel_impl_nocastIZZZNS0_12_GLOBAL__N_142_validate_compressed_sparse_indices_kernelILNS3_8CDimNameE0ENS3_18CUDAKernelLauncherENS3_14EmptyVecKernelENS3_8DummyVecELm8EEEvRKNS_6TensorESB_lllENKUlvE0_clEvENKUlvE0_clEvEUllE_EEvRNS_18TensorIteratorBaseERKT_EUlibE_EEviT1_.has_recursion, 0
	.set _ZN2at6native32elementwise_kernel_manual_unrollILi128ELi4EZNS0_22gpu_kernel_impl_nocastIZZZNS0_12_GLOBAL__N_142_validate_compressed_sparse_indices_kernelILNS3_8CDimNameE0ENS3_18CUDAKernelLauncherENS3_14EmptyVecKernelENS3_8DummyVecELm8EEEvRKNS_6TensorESB_lllENKUlvE0_clEvENKUlvE0_clEvEUllE_EEvRNS_18TensorIteratorBaseERKT_EUlibE_EEviT1_.has_indirect_call, 0
	.section	.AMDGPU.csdata,"",@progbits
; Kernel info:
; codeLenInByte = 7128
; TotalNumSgprs: 74
; NumVgprs: 15
; ScratchSize: 0
; MemoryBound: 0
; FloatMode: 240
; IeeeMode: 1
; LDSByteSize: 0 bytes/workgroup (compile time only)
; SGPRBlocks: 0
; VGPRBlocks: 0
; NumSGPRsForWavesPerEU: 74
; NumVGPRsForWavesPerEU: 15
; NamedBarCnt: 0
; Occupancy: 16
; WaveLimiterHint : 1
; COMPUTE_PGM_RSRC2:SCRATCH_EN: 0
; COMPUTE_PGM_RSRC2:USER_SGPR: 2
; COMPUTE_PGM_RSRC2:TRAP_HANDLER: 0
; COMPUTE_PGM_RSRC2:TGID_X_EN: 1
; COMPUTE_PGM_RSRC2:TGID_Y_EN: 0
; COMPUTE_PGM_RSRC2:TGID_Z_EN: 0
; COMPUTE_PGM_RSRC2:TIDIG_COMP_CNT: 0
	.section	.text._ZN2at6native32elementwise_kernel_manual_unrollILi128ELi4EZNS0_15gpu_kernel_implIZZZNS0_12_GLOBAL__N_142_validate_compressed_sparse_indices_kernelILNS3_8CDimNameE0ENS3_18CUDAKernelLauncherENS3_14EmptyVecKernelENS3_8DummyVecELm8EEEvRKNS_6TensorESB_lllENKUlvE0_clEvENKUlvE0_clEvEUllE_EEvRNS_18TensorIteratorBaseERKT_EUlibE_EEviT1_,"axG",@progbits,_ZN2at6native32elementwise_kernel_manual_unrollILi128ELi4EZNS0_15gpu_kernel_implIZZZNS0_12_GLOBAL__N_142_validate_compressed_sparse_indices_kernelILNS3_8CDimNameE0ENS3_18CUDAKernelLauncherENS3_14EmptyVecKernelENS3_8DummyVecELm8EEEvRKNS_6TensorESB_lllENKUlvE0_clEvENKUlvE0_clEvEUllE_EEvRNS_18TensorIteratorBaseERKT_EUlibE_EEviT1_,comdat
	.globl	_ZN2at6native32elementwise_kernel_manual_unrollILi128ELi4EZNS0_15gpu_kernel_implIZZZNS0_12_GLOBAL__N_142_validate_compressed_sparse_indices_kernelILNS3_8CDimNameE0ENS3_18CUDAKernelLauncherENS3_14EmptyVecKernelENS3_8DummyVecELm8EEEvRKNS_6TensorESB_lllENKUlvE0_clEvENKUlvE0_clEvEUllE_EEvRNS_18TensorIteratorBaseERKT_EUlibE_EEviT1_ ; -- Begin function _ZN2at6native32elementwise_kernel_manual_unrollILi128ELi4EZNS0_15gpu_kernel_implIZZZNS0_12_GLOBAL__N_142_validate_compressed_sparse_indices_kernelILNS3_8CDimNameE0ENS3_18CUDAKernelLauncherENS3_14EmptyVecKernelENS3_8DummyVecELm8EEEvRKNS_6TensorESB_lllENKUlvE0_clEvENKUlvE0_clEvEUllE_EEvRNS_18TensorIteratorBaseERKT_EUlibE_EEviT1_
	.p2align	8
	.type	_ZN2at6native32elementwise_kernel_manual_unrollILi128ELi4EZNS0_15gpu_kernel_implIZZZNS0_12_GLOBAL__N_142_validate_compressed_sparse_indices_kernelILNS3_8CDimNameE0ENS3_18CUDAKernelLauncherENS3_14EmptyVecKernelENS3_8DummyVecELm8EEEvRKNS_6TensorESB_lllENKUlvE0_clEvENKUlvE0_clEvEUllE_EEvRNS_18TensorIteratorBaseERKT_EUlibE_EEviT1_,@function
_ZN2at6native32elementwise_kernel_manual_unrollILi128ELi4EZNS0_15gpu_kernel_implIZZZNS0_12_GLOBAL__N_142_validate_compressed_sparse_indices_kernelILNS3_8CDimNameE0ENS3_18CUDAKernelLauncherENS3_14EmptyVecKernelENS3_8DummyVecELm8EEEvRKNS_6TensorESB_lllENKUlvE0_clEvENKUlvE0_clEvEUllE_EEvRNS_18TensorIteratorBaseERKT_EUlibE_EEviT1_: ; @_ZN2at6native32elementwise_kernel_manual_unrollILi128ELi4EZNS0_15gpu_kernel_implIZZZNS0_12_GLOBAL__N_142_validate_compressed_sparse_indices_kernelILNS3_8CDimNameE0ENS3_18CUDAKernelLauncherENS3_14EmptyVecKernelENS3_8DummyVecELm8EEEvRKNS_6TensorESB_lllENKUlvE0_clEvENKUlvE0_clEvEUllE_EEvRNS_18TensorIteratorBaseERKT_EUlibE_EEviT1_
; %bb.0:
	s_load_b32 s12, s[0:1], 0x30
	s_bfe_u32 s2, ttmp6, 0x4000c
	s_clause 0x1
	s_load_b32 s16, s[0:1], 0x0
	s_load_b128 s[4:7], s[0:1], 0x8
	s_add_co_i32 s13, s2, 1
	s_clause 0x1
	s_load_b64 s[2:3], s[0:1], 0x18
	s_load_b128 s[8:11], s[0:1], 0x20
	s_and_b32 s14, ttmp6, 15
	s_wait_xcnt 0x0
	s_mul_i32 s0, ttmp9, s13
	s_getreg_b32 s15, hwreg(HW_REG_IB_STS2, 6, 4)
	s_add_co_i32 s14, s14, s0
	s_mov_b32 s1, 0
	s_wait_kmcnt 0x0
	s_bfe_u32 s13, s12, 0x80008
	s_cmp_eq_u32 s15, 0
	s_mov_b32 s15, 0
	s_cselect_b32 s0, ttmp9, s14
	s_delay_alu instid0(SALU_CYCLE_1) | instskip(SKIP_1) | instid1(VALU_DEP_1)
	v_lshl_or_b32 v6, s0, 9, v0
	s_mov_b32 s0, exec_lo
	v_or_b32_e32 v0, 0x180, v6
	s_delay_alu instid0(VALU_DEP_1)
	v_cmpx_le_i32_e64 s16, v0
	s_xor_b32 s14, exec_lo, s0
	s_cbranch_execz .LBB14_894
; %bb.1:
	s_get_pc_i64 s[24:25]
	s_add_nc_u64 s[24:25], s[24:25], .str@rel64+4
	s_mov_b32 s23, -1
	s_cmp_lg_u64 s[24:25], 0
	s_mov_b32 s21, 0
	s_mov_b32 s19, 0
	;; [unrolled: 1-line block ×3, first 2 shown]
	s_cselect_b32 s15, -1, 0
	s_mov_b32 s17, 0
	s_mov_b32 s20, exec_lo
	v_cmpx_gt_i32_e64 s16, v6
	s_cbranch_execz .LBB14_221
; %bb.2:
	v_mul_lo_u32 v0, v6, s3
	s_and_b32 s0, 0xffff, s13
	s_delay_alu instid0(SALU_CYCLE_1) | instskip(NEXT) | instid1(VALU_DEP_1)
	s_cmp_lt_i32 s0, 11
	v_ashrrev_i32_e32 v1, 31, v0
	s_delay_alu instid0(VALU_DEP_1)
	v_add_nc_u64_e32 v[0:1], s[6:7], v[0:1]
	s_cbranch_scc1 .LBB14_9
; %bb.3:
	s_cmp_gt_i32 s0, 25
	s_cbranch_scc0 .LBB14_19
; %bb.4:
	s_cmp_gt_i32 s0, 28
	s_cbranch_scc0 .LBB14_23
	;; [unrolled: 3-line block ×4, first 2 shown]
; %bb.7:
	s_cmp_eq_u32 s0, 46
	s_cbranch_scc0 .LBB14_29
; %bb.8:
	global_load_b32 v2, v[0:1], off
	s_mov_b32 s17, -1
	s_wait_loadcnt 0x0
	v_lshlrev_b32_e32 v2, 16, v2
	s_delay_alu instid0(VALU_DEP_1) | instskip(NEXT) | instid1(VALU_DEP_1)
	v_trunc_f32_e32 v2, v2
	v_mul_f32_e64 v3, 0x2f800000, |v2|
	s_delay_alu instid0(VALU_DEP_1) | instskip(NEXT) | instid1(VALU_DEP_1)
	v_floor_f32_e32 v3, v3
	v_fma_f32 v4, 0xcf800000, v3, |v2|
	v_ashrrev_i32_e32 v2, 31, v2
	v_cvt_u32_f32_e32 v5, v3
	s_delay_alu instid0(VALU_DEP_3) | instskip(NEXT) | instid1(VALU_DEP_2)
	v_cvt_u32_f32_e32 v4, v4
	v_dual_mov_b32 v3, v2 :: v_dual_bitop2_b32 v5, v5, v2 bitop3:0x14
	s_delay_alu instid0(VALU_DEP_2) | instskip(NEXT) | instid1(VALU_DEP_1)
	v_xor_b32_e32 v4, v4, v2
	v_sub_nc_u64_e32 v[2:3], v[4:5], v[2:3]
	s_branch .LBB14_31
.LBB14_9:
                                        ; implicit-def: $vgpr2_vgpr3
	s_cbranch_execnz .LBB14_91
.LBB14_10:
	s_and_not1_b32 vcc_lo, exec_lo, s17
	s_cbranch_vccnz .LBB14_138
.LBB14_11:
	s_wait_loadcnt 0x0
	s_delay_alu instid0(VALU_DEP_1)
	v_cmp_le_i64_e32 vcc_lo, s[8:9], v[2:3]
	v_cmp_gt_i64_e64 s0, s[10:11], v[2:3]
	s_mov_b32 s18, -1
	s_mov_b32 s22, 0
	s_mov_b32 s17, 0
	s_and_b32 s0, vcc_lo, s0
	s_delay_alu instid0(SALU_CYCLE_1) | instskip(NEXT) | instid1(SALU_CYCLE_1)
	s_and_b32 s23, s15, s0
	s_and_saveexec_b32 s0, s23
	s_cbranch_execz .LBB14_219
; %bb.12:
	v_mul_lo_u32 v0, v6, s2
	s_and_b32 s18, s12, 0xff
	s_delay_alu instid0(SALU_CYCLE_1) | instskip(NEXT) | instid1(VALU_DEP_1)
	s_cmp_lt_i32 s18, 11
	v_ashrrev_i32_e32 v1, 31, v0
	s_delay_alu instid0(VALU_DEP_1)
	v_add_nc_u64_e32 v[0:1], s[4:5], v[0:1]
	s_cbranch_scc1 .LBB14_20
; %bb.13:
	s_and_b32 s22, 0xffff, s18
	s_delay_alu instid0(SALU_CYCLE_1)
	s_cmp_gt_i32 s22, 25
	s_cbranch_scc0 .LBB14_24
; %bb.14:
	s_cmp_gt_i32 s22, 28
	s_cbranch_scc0 .LBB14_26
; %bb.15:
	;; [unrolled: 3-line block ×4, first 2 shown]
	s_mov_b32 s24, 0
	s_mov_b32 s17, -1
	s_cmp_eq_u32 s22, 46
	s_mov_b32 s23, 0
	s_cbranch_scc0 .LBB14_140
; %bb.18:
	v_mov_b32_e32 v2, 0
	s_mov_b32 s23, -1
	s_mov_b32 s17, 0
	global_store_b32 v[0:1], v2, off
	s_branch .LBB14_140
.LBB14_19:
                                        ; implicit-def: $vgpr2_vgpr3
	s_cbranch_execnz .LBB14_58
	s_branch .LBB14_90
.LBB14_20:
	s_mov_b32 s23, 0
	s_cbranch_execnz .LBB14_179
.LBB14_21:
	s_and_not1_b32 vcc_lo, exec_lo, s23
	s_cbranch_vccnz .LBB14_217
.LBB14_22:
	v_add_nc_u32_e32 v6, 0x80, v6
	s_mov_b32 s22, -1
	s_branch .LBB14_218
.LBB14_23:
	s_mov_b32 s18, -1
                                        ; implicit-def: $vgpr2_vgpr3
	s_branch .LBB14_41
.LBB14_24:
	s_mov_b32 s24, -1
	s_mov_b32 s23, 0
	s_branch .LBB14_159
.LBB14_25:
	s_mov_b32 s18, -1
                                        ; implicit-def: $vgpr2_vgpr3
	s_branch .LBB14_36
.LBB14_26:
	s_mov_b32 s24, -1
	s_mov_b32 s23, 0
	s_branch .LBB14_148
.LBB14_27:
	s_mov_b32 s18, -1
	s_branch .LBB14_30
.LBB14_28:
	s_mov_b32 s24, -1
	s_mov_b32 s23, 0
	s_branch .LBB14_144
.LBB14_29:
	s_mov_b32 s19, -1
.LBB14_30:
                                        ; implicit-def: $vgpr2_vgpr3
.LBB14_31:
	s_and_b32 vcc_lo, exec_lo, s18
	s_cbranch_vccz .LBB14_35
; %bb.32:
	s_cmp_eq_u32 s0, 44
	s_cbranch_scc0 .LBB14_34
; %bb.33:
	global_load_u8 v7, v[0:1], off
	s_mov_b32 s19, 0
	s_mov_b32 s17, -1
	s_wait_loadcnt 0x0
	v_lshlrev_b32_e32 v2, 23, v7
	v_cmp_ne_u32_e32 vcc_lo, 0, v7
	s_delay_alu instid0(VALU_DEP_2) | instskip(NEXT) | instid1(VALU_DEP_1)
	v_trunc_f32_e32 v2, v2
	v_mul_f32_e64 v3, 0x2f800000, |v2|
	s_delay_alu instid0(VALU_DEP_1) | instskip(NEXT) | instid1(VALU_DEP_1)
	v_floor_f32_e32 v3, v3
	v_fma_f32 v4, 0xcf800000, v3, |v2|
	v_ashrrev_i32_e32 v2, 31, v2
	v_cvt_u32_f32_e32 v5, v3
	s_delay_alu instid0(VALU_DEP_3) | instskip(NEXT) | instid1(VALU_DEP_2)
	v_cvt_u32_f32_e32 v4, v4
	v_dual_mov_b32 v3, v2 :: v_dual_bitop2_b32 v5, v5, v2 bitop3:0x14
	s_delay_alu instid0(VALU_DEP_2) | instskip(NEXT) | instid1(VALU_DEP_1)
	v_xor_b32_e32 v4, v4, v2
	v_sub_nc_u64_e32 v[2:3], v[4:5], v[2:3]
	s_delay_alu instid0(VALU_DEP_1)
	v_dual_cndmask_b32 v3, 0, v3 :: v_dual_cndmask_b32 v2, 0, v2
	s_branch .LBB14_35
.LBB14_34:
	s_mov_b32 s19, -1
                                        ; implicit-def: $vgpr2_vgpr3
.LBB14_35:
	s_mov_b32 s18, 0
.LBB14_36:
	s_delay_alu instid0(SALU_CYCLE_1)
	s_and_b32 vcc_lo, exec_lo, s18
	s_cbranch_vccz .LBB14_40
; %bb.37:
	s_cmp_eq_u32 s0, 29
	s_cbranch_scc0 .LBB14_39
; %bb.38:
	global_load_b64 v[2:3], v[0:1], off
	s_mov_b32 s17, -1
	s_mov_b32 s19, 0
	s_branch .LBB14_40
.LBB14_39:
	s_mov_b32 s19, -1
                                        ; implicit-def: $vgpr2_vgpr3
.LBB14_40:
	s_mov_b32 s18, 0
.LBB14_41:
	s_delay_alu instid0(SALU_CYCLE_1)
	s_and_b32 vcc_lo, exec_lo, s18
	s_cbranch_vccz .LBB14_57
; %bb.42:
	s_cmp_lt_i32 s0, 27
	s_cbranch_scc1 .LBB14_45
; %bb.43:
	s_cmp_gt_i32 s0, 27
	s_cbranch_scc0 .LBB14_46
; %bb.44:
	s_wait_loadcnt 0x0
	global_load_b32 v2, v[0:1], off
	v_mov_b32_e32 v3, 0
	s_mov_b32 s17, 0
	s_branch .LBB14_47
.LBB14_45:
	s_mov_b32 s17, -1
                                        ; implicit-def: $vgpr2_vgpr3
	s_branch .LBB14_50
.LBB14_46:
	s_mov_b32 s17, -1
                                        ; implicit-def: $vgpr2_vgpr3
.LBB14_47:
	s_delay_alu instid0(SALU_CYCLE_1)
	s_and_not1_b32 vcc_lo, exec_lo, s17
	s_cbranch_vccnz .LBB14_49
; %bb.48:
	s_wait_loadcnt 0x0
	global_load_u16 v2, v[0:1], off
	s_mov_b32 s17, 0
	s_delay_alu instid0(SALU_CYCLE_1)
	v_mov_b32_e32 v3, s17
	s_wait_loadcnt 0x0
	v_and_b32_e32 v2, 0xffff, v2
.LBB14_49:
	s_mov_b32 s17, 0
.LBB14_50:
	s_delay_alu instid0(SALU_CYCLE_1)
	s_and_not1_b32 vcc_lo, exec_lo, s17
	s_cbranch_vccnz .LBB14_56
; %bb.51:
	global_load_u8 v4, v[0:1], off
	s_mov_b32 s18, 0
	s_mov_b32 s17, exec_lo
	s_wait_loadcnt 0x0
	v_cmpx_lt_i16_e32 0x7f, v4
	s_xor_b32 s17, exec_lo, s17
	s_cbranch_execz .LBB14_67
; %bb.52:
	v_cmp_ne_u16_e32 vcc_lo, 0x80, v4
	s_and_b32 s18, vcc_lo, exec_lo
	s_and_not1_saveexec_b32 s17, s17
	s_cbranch_execnz .LBB14_68
.LBB14_53:
	s_or_b32 exec_lo, exec_lo, s17
	v_mov_b64_e32 v[2:3], 0
	s_and_saveexec_b32 s17, s18
	s_cbranch_execz .LBB14_55
.LBB14_54:
	v_and_b32_e32 v2, 0xffff, v4
	s_delay_alu instid0(VALU_DEP_1) | instskip(SKIP_1) | instid1(VALU_DEP_2)
	v_and_b32_e32 v3, 7, v2
	v_bfe_u32 v8, v2, 3, 4
	v_clz_i32_u32_e32 v5, v3
	s_delay_alu instid0(VALU_DEP_2) | instskip(NEXT) | instid1(VALU_DEP_2)
	v_cmp_eq_u32_e32 vcc_lo, 0, v8
	v_min_u32_e32 v5, 32, v5
	s_delay_alu instid0(VALU_DEP_1) | instskip(NEXT) | instid1(VALU_DEP_1)
	v_subrev_nc_u32_e32 v7, 28, v5
	v_dual_lshlrev_b32 v2, v7, v2 :: v_dual_sub_nc_u32 v5, 29, v5
	s_delay_alu instid0(VALU_DEP_1) | instskip(NEXT) | instid1(VALU_DEP_1)
	v_dual_lshlrev_b32 v4, 24, v4 :: v_dual_bitop2_b32 v2, 7, v2 bitop3:0x40
	v_dual_cndmask_b32 v5, v8, v5 :: v_dual_cndmask_b32 v2, v3, v2
	s_delay_alu instid0(VALU_DEP_2) | instskip(NEXT) | instid1(VALU_DEP_2)
	v_and_b32_e32 v3, 0x80000000, v4
	v_lshl_add_u32 v4, v5, 23, 0x3b800000
	s_delay_alu instid0(VALU_DEP_3) | instskip(NEXT) | instid1(VALU_DEP_1)
	v_lshlrev_b32_e32 v2, 20, v2
	v_or3_b32 v2, v3, v4, v2
	s_delay_alu instid0(VALU_DEP_1) | instskip(NEXT) | instid1(VALU_DEP_1)
	v_trunc_f32_e32 v2, v2
	v_mul_f32_e64 v3, 0x2f800000, |v2|
	s_delay_alu instid0(VALU_DEP_1) | instskip(NEXT) | instid1(VALU_DEP_1)
	v_floor_f32_e32 v3, v3
	v_fma_f32 v4, 0xcf800000, v3, |v2|
	v_ashrrev_i32_e32 v2, 31, v2
	v_cvt_u32_f32_e32 v5, v3
	s_delay_alu instid0(VALU_DEP_3) | instskip(NEXT) | instid1(VALU_DEP_2)
	v_cvt_u32_f32_e32 v4, v4
	v_dual_mov_b32 v3, v2 :: v_dual_bitop2_b32 v5, v5, v2 bitop3:0x14
	s_delay_alu instid0(VALU_DEP_2) | instskip(NEXT) | instid1(VALU_DEP_1)
	v_xor_b32_e32 v4, v4, v2
	v_sub_nc_u64_e32 v[2:3], v[4:5], v[2:3]
.LBB14_55:
	s_or_b32 exec_lo, exec_lo, s17
.LBB14_56:
	s_mov_b32 s17, -1
.LBB14_57:
	s_branch .LBB14_90
.LBB14_58:
	s_cmp_gt_i32 s0, 22
	s_cbranch_scc0 .LBB14_66
; %bb.59:
	s_cmp_lt_i32 s0, 24
	s_cbranch_scc1 .LBB14_69
; %bb.60:
	s_cmp_gt_i32 s0, 24
	s_cbranch_scc0 .LBB14_70
; %bb.61:
	global_load_u8 v4, v[0:1], off
	s_mov_b32 s18, 0
	s_mov_b32 s17, exec_lo
	s_wait_loadcnt 0x0
	v_cmpx_lt_i16_e32 0x7f, v4
	s_xor_b32 s17, exec_lo, s17
	s_cbranch_execz .LBB14_82
; %bb.62:
	v_cmp_ne_u16_e32 vcc_lo, 0x80, v4
	s_and_b32 s18, vcc_lo, exec_lo
	s_and_not1_saveexec_b32 s17, s17
	s_cbranch_execnz .LBB14_83
.LBB14_63:
	s_or_b32 exec_lo, exec_lo, s17
	v_mov_b64_e32 v[2:3], 0
	s_and_saveexec_b32 s17, s18
	s_cbranch_execz .LBB14_65
.LBB14_64:
	v_and_b32_e32 v2, 0xffff, v4
	s_delay_alu instid0(VALU_DEP_1) | instskip(SKIP_1) | instid1(VALU_DEP_2)
	v_and_b32_e32 v3, 3, v2
	v_bfe_u32 v8, v2, 2, 5
	v_clz_i32_u32_e32 v5, v3
	s_delay_alu instid0(VALU_DEP_2) | instskip(NEXT) | instid1(VALU_DEP_2)
	v_cmp_eq_u32_e32 vcc_lo, 0, v8
	v_min_u32_e32 v5, 32, v5
	s_delay_alu instid0(VALU_DEP_1) | instskip(NEXT) | instid1(VALU_DEP_1)
	v_subrev_nc_u32_e32 v7, 29, v5
	v_dual_lshlrev_b32 v2, v7, v2 :: v_dual_sub_nc_u32 v5, 30, v5
	s_delay_alu instid0(VALU_DEP_1) | instskip(NEXT) | instid1(VALU_DEP_1)
	v_dual_lshlrev_b32 v4, 24, v4 :: v_dual_bitop2_b32 v2, 3, v2 bitop3:0x40
	v_dual_cndmask_b32 v5, v8, v5 :: v_dual_cndmask_b32 v2, v3, v2
	s_delay_alu instid0(VALU_DEP_2) | instskip(NEXT) | instid1(VALU_DEP_2)
	v_and_b32_e32 v3, 0x80000000, v4
	v_lshl_add_u32 v4, v5, 23, 0x37800000
	s_delay_alu instid0(VALU_DEP_3) | instskip(NEXT) | instid1(VALU_DEP_1)
	v_lshlrev_b32_e32 v2, 21, v2
	v_or3_b32 v2, v3, v4, v2
	s_delay_alu instid0(VALU_DEP_1) | instskip(NEXT) | instid1(VALU_DEP_1)
	v_trunc_f32_e32 v2, v2
	v_mul_f32_e64 v3, 0x2f800000, |v2|
	s_delay_alu instid0(VALU_DEP_1) | instskip(NEXT) | instid1(VALU_DEP_1)
	v_floor_f32_e32 v3, v3
	v_fma_f32 v4, 0xcf800000, v3, |v2|
	v_ashrrev_i32_e32 v2, 31, v2
	v_cvt_u32_f32_e32 v5, v3
	s_delay_alu instid0(VALU_DEP_3) | instskip(NEXT) | instid1(VALU_DEP_2)
	v_cvt_u32_f32_e32 v4, v4
	v_dual_mov_b32 v3, v2 :: v_dual_bitop2_b32 v5, v5, v2 bitop3:0x14
	s_delay_alu instid0(VALU_DEP_2) | instskip(NEXT) | instid1(VALU_DEP_1)
	v_xor_b32_e32 v4, v4, v2
	v_sub_nc_u64_e32 v[2:3], v[4:5], v[2:3]
.LBB14_65:
	s_or_b32 exec_lo, exec_lo, s17
	s_mov_b32 s17, 0
	s_branch .LBB14_71
.LBB14_66:
	s_mov_b32 s18, -1
                                        ; implicit-def: $vgpr2_vgpr3
	s_branch .LBB14_77
.LBB14_67:
	s_and_not1_saveexec_b32 s17, s17
	s_cbranch_execz .LBB14_53
.LBB14_68:
	v_cmp_ne_u16_e32 vcc_lo, 0, v4
	s_and_not1_b32 s18, s18, exec_lo
	s_and_b32 s22, vcc_lo, exec_lo
	s_delay_alu instid0(SALU_CYCLE_1)
	s_or_b32 s18, s18, s22
	s_or_b32 exec_lo, exec_lo, s17
	v_mov_b64_e32 v[2:3], 0
	s_and_saveexec_b32 s17, s18
	s_cbranch_execnz .LBB14_54
	s_branch .LBB14_55
.LBB14_69:
	s_mov_b32 s17, -1
                                        ; implicit-def: $vgpr2_vgpr3
	s_branch .LBB14_74
.LBB14_70:
	s_mov_b32 s17, -1
                                        ; implicit-def: $vgpr2_vgpr3
.LBB14_71:
	s_delay_alu instid0(SALU_CYCLE_1)
	s_and_b32 vcc_lo, exec_lo, s17
	s_cbranch_vccz .LBB14_73
; %bb.72:
	s_wait_loadcnt 0x0
	global_load_u8 v2, v[0:1], off
	s_wait_loadcnt 0x0
	v_lshlrev_b32_e32 v2, 24, v2
	s_delay_alu instid0(VALU_DEP_1) | instskip(NEXT) | instid1(VALU_DEP_1)
	v_and_b32_e32 v3, 0x7f000000, v2
	v_clz_i32_u32_e32 v4, v3
	v_add_nc_u32_e32 v7, 0x1000000, v3
	v_cmp_ne_u32_e32 vcc_lo, 0, v3
	s_delay_alu instid0(VALU_DEP_3) | instskip(NEXT) | instid1(VALU_DEP_1)
	v_min_u32_e32 v4, 32, v4
	v_sub_nc_u32_e64 v4, v4, 4 clamp
	s_delay_alu instid0(VALU_DEP_1) | instskip(NEXT) | instid1(VALU_DEP_1)
	v_dual_lshlrev_b32 v5, v4, v3 :: v_dual_lshlrev_b32 v4, 23, v4
	v_lshrrev_b32_e32 v5, 4, v5
	s_delay_alu instid0(VALU_DEP_1) | instskip(NEXT) | instid1(VALU_DEP_1)
	v_dual_sub_nc_u32 v4, v5, v4 :: v_dual_ashrrev_i32 v5, 8, v7
	v_add_nc_u32_e32 v4, 0x3c000000, v4
	s_delay_alu instid0(VALU_DEP_1) | instskip(NEXT) | instid1(VALU_DEP_1)
	v_and_or_b32 v4, 0x7f800000, v5, v4
	v_cndmask_b32_e32 v3, 0, v4, vcc_lo
	s_delay_alu instid0(VALU_DEP_1) | instskip(NEXT) | instid1(VALU_DEP_1)
	v_and_or_b32 v2, 0x80000000, v2, v3
	v_trunc_f32_e32 v2, v2
	s_delay_alu instid0(VALU_DEP_1) | instskip(NEXT) | instid1(VALU_DEP_1)
	v_mul_f32_e64 v3, 0x2f800000, |v2|
	v_floor_f32_e32 v3, v3
	s_delay_alu instid0(VALU_DEP_1) | instskip(SKIP_2) | instid1(VALU_DEP_3)
	v_fma_f32 v4, 0xcf800000, v3, |v2|
	v_ashrrev_i32_e32 v2, 31, v2
	v_cvt_u32_f32_e32 v5, v3
	v_cvt_u32_f32_e32 v4, v4
	s_delay_alu instid0(VALU_DEP_2) | instskip(NEXT) | instid1(VALU_DEP_2)
	v_dual_mov_b32 v3, v2 :: v_dual_bitop2_b32 v5, v5, v2 bitop3:0x14
	v_xor_b32_e32 v4, v4, v2
	s_delay_alu instid0(VALU_DEP_1)
	v_sub_nc_u64_e32 v[2:3], v[4:5], v[2:3]
.LBB14_73:
	s_mov_b32 s17, 0
.LBB14_74:
	s_delay_alu instid0(SALU_CYCLE_1)
	s_and_not1_b32 vcc_lo, exec_lo, s17
	s_cbranch_vccnz .LBB14_76
; %bb.75:
	s_wait_loadcnt 0x0
	global_load_u8 v2, v[0:1], off
	s_wait_loadcnt 0x0
	v_lshlrev_b32_e32 v3, 25, v2
	v_lshlrev_b16 v2, 8, v2
	s_delay_alu instid0(VALU_DEP_1) | instskip(SKIP_1) | instid1(VALU_DEP_2)
	v_and_or_b32 v5, 0x7f00, v2, 0.5
	v_bfe_i32 v2, v2, 0, 16
	v_dual_add_f32 v5, -0.5, v5 :: v_dual_lshrrev_b32 v4, 4, v3
	v_cmp_gt_u32_e32 vcc_lo, 0x8000000, v3
	s_delay_alu instid0(VALU_DEP_2) | instskip(NEXT) | instid1(VALU_DEP_1)
	v_or_b32_e32 v4, 0x70000000, v4
	v_mul_f32_e32 v4, 0x7800000, v4
	s_delay_alu instid0(VALU_DEP_1) | instskip(NEXT) | instid1(VALU_DEP_1)
	v_cndmask_b32_e32 v3, v4, v5, vcc_lo
	v_and_or_b32 v2, 0x80000000, v2, v3
	s_delay_alu instid0(VALU_DEP_1) | instskip(NEXT) | instid1(VALU_DEP_1)
	v_trunc_f32_e32 v2, v2
	v_mul_f32_e64 v3, 0x2f800000, |v2|
	s_delay_alu instid0(VALU_DEP_1) | instskip(NEXT) | instid1(VALU_DEP_1)
	v_floor_f32_e32 v3, v3
	v_fma_f32 v4, 0xcf800000, v3, |v2|
	v_ashrrev_i32_e32 v2, 31, v2
	v_cvt_u32_f32_e32 v5, v3
	s_delay_alu instid0(VALU_DEP_3) | instskip(NEXT) | instid1(VALU_DEP_2)
	v_cvt_u32_f32_e32 v4, v4
	v_dual_mov_b32 v3, v2 :: v_dual_bitop2_b32 v5, v5, v2 bitop3:0x14
	s_delay_alu instid0(VALU_DEP_2) | instskip(NEXT) | instid1(VALU_DEP_1)
	v_xor_b32_e32 v4, v4, v2
	v_sub_nc_u64_e32 v[2:3], v[4:5], v[2:3]
.LBB14_76:
	s_mov_b32 s18, 0
	s_mov_b32 s17, -1
.LBB14_77:
	s_and_not1_b32 vcc_lo, exec_lo, s18
	s_cbranch_vccnz .LBB14_90
; %bb.78:
	s_cmp_gt_i32 s0, 14
	s_cbranch_scc0 .LBB14_81
; %bb.79:
	s_cmp_eq_u32 s0, 15
	s_cbranch_scc0 .LBB14_84
; %bb.80:
	s_wait_loadcnt 0x0
	global_load_u16 v2, v[0:1], off
	s_mov_b32 s17, -1
	s_mov_b32 s19, 0
	s_wait_loadcnt 0x0
	v_lshlrev_b32_e32 v2, 16, v2
	s_delay_alu instid0(VALU_DEP_1) | instskip(NEXT) | instid1(VALU_DEP_1)
	v_trunc_f32_e32 v2, v2
	v_mul_f32_e64 v3, 0x2f800000, |v2|
	s_delay_alu instid0(VALU_DEP_1) | instskip(NEXT) | instid1(VALU_DEP_1)
	v_floor_f32_e32 v3, v3
	v_fma_f32 v4, 0xcf800000, v3, |v2|
	v_ashrrev_i32_e32 v2, 31, v2
	v_cvt_u32_f32_e32 v5, v3
	s_delay_alu instid0(VALU_DEP_3) | instskip(NEXT) | instid1(VALU_DEP_2)
	v_cvt_u32_f32_e32 v4, v4
	v_dual_mov_b32 v3, v2 :: v_dual_bitop2_b32 v5, v5, v2 bitop3:0x14
	s_delay_alu instid0(VALU_DEP_2) | instskip(NEXT) | instid1(VALU_DEP_1)
	v_xor_b32_e32 v4, v4, v2
	v_sub_nc_u64_e32 v[2:3], v[4:5], v[2:3]
	s_branch .LBB14_85
.LBB14_81:
	s_mov_b32 s18, -1
                                        ; implicit-def: $vgpr2_vgpr3
	s_branch .LBB14_86
.LBB14_82:
	s_and_not1_saveexec_b32 s17, s17
	s_cbranch_execz .LBB14_63
.LBB14_83:
	v_cmp_ne_u16_e32 vcc_lo, 0, v4
	s_and_not1_b32 s18, s18, exec_lo
	s_and_b32 s22, vcc_lo, exec_lo
	s_delay_alu instid0(SALU_CYCLE_1)
	s_or_b32 s18, s18, s22
	s_or_b32 exec_lo, exec_lo, s17
	v_mov_b64_e32 v[2:3], 0
	s_and_saveexec_b32 s17, s18
	s_cbranch_execnz .LBB14_64
	s_branch .LBB14_65
.LBB14_84:
	s_mov_b32 s19, -1
                                        ; implicit-def: $vgpr2_vgpr3
.LBB14_85:
	s_mov_b32 s18, 0
.LBB14_86:
	s_delay_alu instid0(SALU_CYCLE_1)
	s_and_b32 vcc_lo, exec_lo, s18
	s_cbranch_vccz .LBB14_90
; %bb.87:
	s_cmp_eq_u32 s0, 11
	s_cbranch_scc0 .LBB14_89
; %bb.88:
	s_wait_loadcnt 0x0
	global_load_u8 v2, v[0:1], off
	s_mov_b32 s19, 0
	s_mov_b32 s17, -1
	v_mov_b32_e32 v3, s19
	s_wait_loadcnt 0x0
	v_cmp_ne_u16_e32 vcc_lo, 0, v2
	v_cndmask_b32_e64 v2, 0, 1, vcc_lo
	s_branch .LBB14_90
.LBB14_89:
	s_mov_b32 s19, -1
                                        ; implicit-def: $vgpr2_vgpr3
.LBB14_90:
	s_branch .LBB14_10
.LBB14_91:
	s_cmp_lt_i32 s0, 5
	s_cbranch_scc1 .LBB14_96
; %bb.92:
	s_cmp_lt_i32 s0, 8
	s_cbranch_scc1 .LBB14_97
; %bb.93:
	s_cmp_lt_i32 s0, 9
	s_cbranch_scc1 .LBB14_98
; %bb.94:
	s_cmp_gt_i32 s0, 9
	s_cbranch_scc0 .LBB14_99
; %bb.95:
	s_wait_loadcnt 0x0
	global_load_b64 v[2:3], v[0:1], off
	s_mov_b32 s17, 0
	s_wait_loadcnt 0x0
	v_trunc_f64_e32 v[2:3], v[2:3]
	s_delay_alu instid0(VALU_DEP_1) | instskip(NEXT) | instid1(VALU_DEP_1)
	v_ldexp_f64 v[4:5], v[2:3], 0xffffffe0
	v_floor_f64_e32 v[4:5], v[4:5]
	s_delay_alu instid0(VALU_DEP_1) | instskip(SKIP_1) | instid1(VALU_DEP_2)
	v_fmamk_f64 v[8:9], v[4:5], 0xc1f00000, v[2:3]
	v_cvt_i32_f64_e32 v3, v[4:5]
	v_cvt_u32_f64_e32 v2, v[8:9]
	s_branch .LBB14_100
.LBB14_96:
                                        ; implicit-def: $vgpr2_vgpr3
	s_branch .LBB14_118
.LBB14_97:
	s_mov_b32 s17, -1
                                        ; implicit-def: $vgpr2_vgpr3
	s_branch .LBB14_106
.LBB14_98:
	s_mov_b32 s17, -1
                                        ; implicit-def: $vgpr2_vgpr3
	s_branch .LBB14_103
.LBB14_99:
	s_mov_b32 s17, -1
                                        ; implicit-def: $vgpr2_vgpr3
.LBB14_100:
	s_delay_alu instid0(SALU_CYCLE_1)
	s_and_not1_b32 vcc_lo, exec_lo, s17
	s_cbranch_vccnz .LBB14_102
; %bb.101:
	s_wait_loadcnt 0x0
	global_load_b32 v2, v[0:1], off
	s_wait_loadcnt 0x0
	v_trunc_f32_e32 v2, v2
	s_delay_alu instid0(VALU_DEP_1) | instskip(NEXT) | instid1(VALU_DEP_1)
	v_mul_f32_e64 v3, 0x2f800000, |v2|
	v_floor_f32_e32 v3, v3
	s_delay_alu instid0(VALU_DEP_1) | instskip(SKIP_2) | instid1(VALU_DEP_3)
	v_fma_f32 v4, 0xcf800000, v3, |v2|
	v_ashrrev_i32_e32 v2, 31, v2
	v_cvt_u32_f32_e32 v5, v3
	v_cvt_u32_f32_e32 v4, v4
	s_delay_alu instid0(VALU_DEP_2) | instskip(NEXT) | instid1(VALU_DEP_2)
	v_dual_mov_b32 v3, v2 :: v_dual_bitop2_b32 v5, v5, v2 bitop3:0x14
	v_xor_b32_e32 v4, v4, v2
	s_delay_alu instid0(VALU_DEP_1)
	v_sub_nc_u64_e32 v[2:3], v[4:5], v[2:3]
.LBB14_102:
	s_mov_b32 s17, 0
.LBB14_103:
	s_delay_alu instid0(SALU_CYCLE_1)
	s_and_not1_b32 vcc_lo, exec_lo, s17
	s_cbranch_vccnz .LBB14_105
; %bb.104:
	s_wait_loadcnt 0x0
	global_load_b32 v2, v[0:1], off
	s_wait_loadcnt 0x0
	v_cvt_f32_f16_e32 v2, v2
	s_delay_alu instid0(VALU_DEP_1) | instskip(NEXT) | instid1(VALU_DEP_1)
	v_cvt_i32_f32_e32 v2, v2
	v_ashrrev_i32_e32 v3, 31, v2
.LBB14_105:
	s_mov_b32 s17, 0
.LBB14_106:
	s_delay_alu instid0(SALU_CYCLE_1)
	s_and_not1_b32 vcc_lo, exec_lo, s17
	s_cbranch_vccnz .LBB14_117
; %bb.107:
	s_cmp_lt_i32 s0, 6
	s_cbranch_scc1 .LBB14_110
; %bb.108:
	s_cmp_gt_i32 s0, 6
	s_cbranch_scc0 .LBB14_111
; %bb.109:
	s_wait_loadcnt 0x0
	global_load_b64 v[2:3], v[0:1], off
	s_mov_b32 s17, 0
	s_wait_loadcnt 0x0
	v_trunc_f64_e32 v[2:3], v[2:3]
	s_delay_alu instid0(VALU_DEP_1) | instskip(NEXT) | instid1(VALU_DEP_1)
	v_ldexp_f64 v[4:5], v[2:3], 0xffffffe0
	v_floor_f64_e32 v[4:5], v[4:5]
	s_delay_alu instid0(VALU_DEP_1) | instskip(SKIP_1) | instid1(VALU_DEP_2)
	v_fmamk_f64 v[8:9], v[4:5], 0xc1f00000, v[2:3]
	v_cvt_i32_f64_e32 v3, v[4:5]
	v_cvt_u32_f64_e32 v2, v[8:9]
	s_branch .LBB14_112
.LBB14_110:
	s_mov_b32 s17, -1
                                        ; implicit-def: $vgpr2_vgpr3
	s_branch .LBB14_115
.LBB14_111:
	s_mov_b32 s17, -1
                                        ; implicit-def: $vgpr2_vgpr3
.LBB14_112:
	s_delay_alu instid0(SALU_CYCLE_1)
	s_and_not1_b32 vcc_lo, exec_lo, s17
	s_cbranch_vccnz .LBB14_114
; %bb.113:
	s_wait_loadcnt 0x0
	global_load_b32 v2, v[0:1], off
	s_wait_loadcnt 0x0
	v_trunc_f32_e32 v2, v2
	s_delay_alu instid0(VALU_DEP_1) | instskip(NEXT) | instid1(VALU_DEP_1)
	v_mul_f32_e64 v3, 0x2f800000, |v2|
	v_floor_f32_e32 v3, v3
	s_delay_alu instid0(VALU_DEP_1) | instskip(SKIP_2) | instid1(VALU_DEP_3)
	v_fma_f32 v4, 0xcf800000, v3, |v2|
	v_ashrrev_i32_e32 v2, 31, v2
	v_cvt_u32_f32_e32 v5, v3
	v_cvt_u32_f32_e32 v4, v4
	s_delay_alu instid0(VALU_DEP_2) | instskip(NEXT) | instid1(VALU_DEP_2)
	v_dual_mov_b32 v3, v2 :: v_dual_bitop2_b32 v5, v5, v2 bitop3:0x14
	v_xor_b32_e32 v4, v4, v2
	s_delay_alu instid0(VALU_DEP_1)
	v_sub_nc_u64_e32 v[2:3], v[4:5], v[2:3]
.LBB14_114:
	s_mov_b32 s17, 0
.LBB14_115:
	s_delay_alu instid0(SALU_CYCLE_1)
	s_and_not1_b32 vcc_lo, exec_lo, s17
	s_cbranch_vccnz .LBB14_117
; %bb.116:
	s_wait_loadcnt 0x0
	global_load_u16 v2, v[0:1], off
	s_wait_loadcnt 0x0
	v_cvt_f32_f16_e32 v2, v2
	s_delay_alu instid0(VALU_DEP_1) | instskip(NEXT) | instid1(VALU_DEP_1)
	v_cvt_i32_f32_e32 v2, v2
	v_ashrrev_i32_e32 v3, 31, v2
.LBB14_117:
	s_cbranch_execnz .LBB14_137
.LBB14_118:
	s_cmp_lt_i32 s0, 2
	s_cbranch_scc1 .LBB14_122
; %bb.119:
	s_cmp_lt_i32 s0, 3
	s_cbranch_scc1 .LBB14_123
; %bb.120:
	s_cmp_gt_i32 s0, 3
	s_cbranch_scc0 .LBB14_124
; %bb.121:
	s_wait_loadcnt 0x0
	global_load_b64 v[2:3], v[0:1], off
	s_mov_b32 s17, 0
	s_branch .LBB14_125
.LBB14_122:
	s_mov_b32 s17, -1
                                        ; implicit-def: $vgpr2_vgpr3
	s_branch .LBB14_131
.LBB14_123:
	s_mov_b32 s17, -1
                                        ; implicit-def: $vgpr2_vgpr3
	s_branch .LBB14_128
.LBB14_124:
	s_mov_b32 s17, -1
                                        ; implicit-def: $vgpr2_vgpr3
.LBB14_125:
	s_delay_alu instid0(SALU_CYCLE_1)
	s_and_not1_b32 vcc_lo, exec_lo, s17
	s_cbranch_vccnz .LBB14_127
; %bb.126:
	s_wait_loadcnt 0x0
	global_load_b32 v2, v[0:1], off
	s_wait_loadcnt 0x0
	v_ashrrev_i32_e32 v3, 31, v2
.LBB14_127:
	s_mov_b32 s17, 0
.LBB14_128:
	s_delay_alu instid0(SALU_CYCLE_1)
	s_and_not1_b32 vcc_lo, exec_lo, s17
	s_cbranch_vccnz .LBB14_130
; %bb.129:
	s_wait_loadcnt 0x0
	global_load_u16 v2, v[0:1], off
	s_wait_loadcnt 0x0
	v_bfe_i32 v2, v2, 0, 16
	s_delay_alu instid0(VALU_DEP_1)
	v_ashrrev_i32_e32 v3, 31, v2
.LBB14_130:
	s_mov_b32 s17, 0
.LBB14_131:
	s_delay_alu instid0(SALU_CYCLE_1)
	s_and_not1_b32 vcc_lo, exec_lo, s17
	s_cbranch_vccnz .LBB14_137
; %bb.132:
	s_cmp_gt_i32 s0, 0
	s_mov_b32 s0, 0
	s_cbranch_scc0 .LBB14_134
; %bb.133:
	s_wait_loadcnt 0x0
	global_load_i8 v2, v[0:1], off
	s_wait_loadcnt 0x0
	v_bfe_i32 v2, v2, 0, 16
	s_delay_alu instid0(VALU_DEP_1)
	v_ashrrev_i32_e32 v3, 31, v2
	s_branch .LBB14_135
.LBB14_134:
	s_mov_b32 s0, -1
                                        ; implicit-def: $vgpr2_vgpr3
.LBB14_135:
	s_delay_alu instid0(SALU_CYCLE_1)
	s_and_not1_b32 vcc_lo, exec_lo, s0
	s_cbranch_vccnz .LBB14_137
; %bb.136:
	global_load_u8 v0, v[0:1], off
	s_mov_b32 s0, 0
	s_wait_loadcnt 0x1
	v_mov_b32_e32 v3, s0
	s_wait_loadcnt 0x0
	v_and_b32_e32 v2, 0xffff, v0
.LBB14_137:
	s_branch .LBB14_11
.LBB14_138:
	s_mov_b32 s22, 0
	s_mov_b32 s18, 0
	s_mov_b32 s17, 0
                                        ; implicit-def: $vgpr6
	s_branch .LBB14_220
.LBB14_139:
	s_mov_b32 s24, -1
	s_mov_b32 s23, 0
.LBB14_140:
	s_and_b32 vcc_lo, exec_lo, s24
	s_cbranch_vccz .LBB14_143
; %bb.141:
	s_cmp_eq_u32 s22, 44
	s_mov_b32 s17, -1
	s_cbranch_scc0 .LBB14_143
; %bb.142:
	s_wait_xcnt 0x0
	v_mov_b32_e32 v2, 0
	s_mov_b32 s23, -1
	s_mov_b32 s17, 0
	s_mov_b32 s24, 0
	global_store_b8 v[0:1], v2, off
	s_branch .LBB14_144
.LBB14_143:
	s_mov_b32 s24, 0
.LBB14_144:
	s_delay_alu instid0(SALU_CYCLE_1)
	s_and_b32 vcc_lo, exec_lo, s24
	s_cbranch_vccz .LBB14_147
; %bb.145:
	s_cmp_eq_u32 s22, 29
	s_mov_b32 s17, -1
	s_cbranch_scc0 .LBB14_147
; %bb.146:
	s_wait_xcnt 0x0
	v_mov_b64_e32 v[2:3], 0
	s_mov_b32 s23, -1
	s_mov_b32 s17, 0
	s_mov_b32 s24, 0
	global_store_b64 v[0:1], v[2:3], off
	s_branch .LBB14_148
.LBB14_147:
	s_mov_b32 s24, 0
.LBB14_148:
	s_delay_alu instid0(SALU_CYCLE_1)
	s_and_b32 vcc_lo, exec_lo, s24
	s_cbranch_vccz .LBB14_158
; %bb.149:
	s_cmp_lt_i32 s22, 27
	s_mov_b32 s23, -1
	s_cbranch_scc1 .LBB14_155
; %bb.150:
	s_cmp_gt_i32 s22, 27
	s_cbranch_scc0 .LBB14_152
; %bb.151:
	s_wait_xcnt 0x0
	v_mov_b32_e32 v2, 0
	s_mov_b32 s23, 0
	global_store_b32 v[0:1], v2, off
.LBB14_152:
	s_and_not1_b32 vcc_lo, exec_lo, s23
	s_cbranch_vccnz .LBB14_154
; %bb.153:
	s_wait_xcnt 0x0
	v_mov_b32_e32 v2, 0
	global_store_b16 v[0:1], v2, off
.LBB14_154:
	s_mov_b32 s23, 0
.LBB14_155:
	s_delay_alu instid0(SALU_CYCLE_1)
	s_and_not1_b32 vcc_lo, exec_lo, s23
	s_cbranch_vccnz .LBB14_157
; %bb.156:
	s_wait_xcnt 0x0
	v_mov_b32_e32 v2, 0
	global_store_b8 v[0:1], v2, off
.LBB14_157:
	s_mov_b32 s23, -1
.LBB14_158:
	s_mov_b32 s24, 0
.LBB14_159:
	s_delay_alu instid0(SALU_CYCLE_1)
	s_and_b32 vcc_lo, exec_lo, s24
	s_cbranch_vccz .LBB14_178
; %bb.160:
	s_cmp_gt_i32 s22, 22
	s_mov_b32 s24, -1
	s_cbranch_scc0 .LBB14_170
; %bb.161:
	s_cmp_lt_i32 s22, 24
	s_mov_b32 s23, -1
	s_cbranch_scc1 .LBB14_167
; %bb.162:
	s_cmp_gt_i32 s22, 24
	s_cbranch_scc0 .LBB14_164
; %bb.163:
	s_wait_xcnt 0x0
	v_mov_b32_e32 v2, 0
	s_mov_b32 s23, 0
	global_store_b8 v[0:1], v2, off
.LBB14_164:
	s_and_not1_b32 vcc_lo, exec_lo, s23
	s_cbranch_vccnz .LBB14_166
; %bb.165:
	s_wait_xcnt 0x0
	v_mov_b32_e32 v2, 0
	global_store_b8 v[0:1], v2, off
.LBB14_166:
	s_mov_b32 s23, 0
.LBB14_167:
	s_delay_alu instid0(SALU_CYCLE_1)
	s_and_not1_b32 vcc_lo, exec_lo, s23
	s_cbranch_vccnz .LBB14_169
; %bb.168:
	s_wait_xcnt 0x0
	v_mov_b32_e32 v2, 0
	global_store_b8 v[0:1], v2, off
.LBB14_169:
	s_mov_b32 s24, 0
	s_mov_b32 s23, -1
.LBB14_170:
	s_and_not1_b32 vcc_lo, exec_lo, s24
	s_cbranch_vccnz .LBB14_178
; %bb.171:
	s_cmp_gt_i32 s22, 14
	s_mov_b32 s24, -1
	s_cbranch_scc0 .LBB14_175
; %bb.172:
	s_cmp_eq_u32 s22, 15
	s_mov_b32 s17, -1
	s_cbranch_scc0 .LBB14_174
; %bb.173:
	s_wait_xcnt 0x0
	v_mov_b32_e32 v2, 0
	s_mov_b32 s23, -1
	s_mov_b32 s17, 0
	global_store_b16 v[0:1], v2, off
.LBB14_174:
	s_mov_b32 s24, 0
.LBB14_175:
	s_delay_alu instid0(SALU_CYCLE_1)
	s_and_b32 vcc_lo, exec_lo, s24
	s_cbranch_vccz .LBB14_178
; %bb.176:
	s_cmp_eq_u32 s22, 11
	s_mov_b32 s17, -1
	s_cbranch_scc0 .LBB14_178
; %bb.177:
	s_wait_xcnt 0x0
	v_mov_b32_e32 v2, 0
	s_mov_b32 s23, -1
	s_mov_b32 s17, 0
	global_store_b8 v[0:1], v2, off
.LBB14_178:
	s_branch .LBB14_21
.LBB14_179:
	s_and_b32 s18, 0xffff, s18
	s_mov_b32 s22, -1
	s_cmp_lt_i32 s18, 5
	s_cbranch_scc1 .LBB14_200
; %bb.180:
	s_cmp_lt_i32 s18, 8
	s_cbranch_scc1 .LBB14_190
; %bb.181:
	;; [unrolled: 3-line block ×3, first 2 shown]
	s_cmp_gt_i32 s18, 9
	s_cbranch_scc0 .LBB14_184
; %bb.183:
	s_wait_xcnt 0x0
	v_mov_b32_e32 v2, 0
	s_mov_b32 s22, 0
	s_delay_alu instid0(VALU_DEP_1)
	v_dual_mov_b32 v3, v2 :: v_dual_mov_b32 v4, v2
	v_mov_b32_e32 v5, v2
	global_store_b128 v[0:1], v[2:5], off
.LBB14_184:
	s_and_not1_b32 vcc_lo, exec_lo, s22
	s_cbranch_vccnz .LBB14_186
; %bb.185:
	s_wait_xcnt 0x0
	v_mov_b64_e32 v[2:3], 0
	global_store_b64 v[0:1], v[2:3], off
.LBB14_186:
	s_mov_b32 s22, 0
.LBB14_187:
	s_delay_alu instid0(SALU_CYCLE_1)
	s_and_not1_b32 vcc_lo, exec_lo, s22
	s_cbranch_vccnz .LBB14_189
; %bb.188:
	s_wait_xcnt 0x0
	v_mov_b32_e32 v2, 0
	global_store_b32 v[0:1], v2, off
.LBB14_189:
	s_mov_b32 s22, 0
.LBB14_190:
	s_delay_alu instid0(SALU_CYCLE_1)
	s_and_not1_b32 vcc_lo, exec_lo, s22
	s_cbranch_vccnz .LBB14_199
; %bb.191:
	s_cmp_lt_i32 s18, 6
	s_mov_b32 s22, -1
	s_cbranch_scc1 .LBB14_197
; %bb.192:
	s_cmp_gt_i32 s18, 6
	s_cbranch_scc0 .LBB14_194
; %bb.193:
	s_wait_xcnt 0x0
	v_mov_b64_e32 v[2:3], 0
	s_mov_b32 s22, 0
	global_store_b64 v[0:1], v[2:3], off
.LBB14_194:
	s_and_not1_b32 vcc_lo, exec_lo, s22
	s_cbranch_vccnz .LBB14_196
; %bb.195:
	s_wait_xcnt 0x0
	v_mov_b32_e32 v2, 0
	global_store_b32 v[0:1], v2, off
.LBB14_196:
	s_mov_b32 s22, 0
.LBB14_197:
	s_delay_alu instid0(SALU_CYCLE_1)
	s_and_not1_b32 vcc_lo, exec_lo, s22
	s_cbranch_vccnz .LBB14_199
; %bb.198:
	s_wait_xcnt 0x0
	v_mov_b32_e32 v2, 0
	global_store_b16 v[0:1], v2, off
.LBB14_199:
	s_mov_b32 s22, 0
.LBB14_200:
	s_delay_alu instid0(SALU_CYCLE_1)
	s_and_not1_b32 vcc_lo, exec_lo, s22
	s_cbranch_vccnz .LBB14_216
; %bb.201:
	s_cmp_lt_i32 s18, 2
	s_mov_b32 s22, -1
	s_cbranch_scc1 .LBB14_211
; %bb.202:
	s_cmp_lt_i32 s18, 3
	s_cbranch_scc1 .LBB14_208
; %bb.203:
	s_cmp_gt_i32 s18, 3
	s_cbranch_scc0 .LBB14_205
; %bb.204:
	s_wait_xcnt 0x0
	v_mov_b64_e32 v[2:3], 0
	s_mov_b32 s22, 0
	global_store_b64 v[0:1], v[2:3], off
.LBB14_205:
	s_and_not1_b32 vcc_lo, exec_lo, s22
	s_cbranch_vccnz .LBB14_207
; %bb.206:
	s_wait_xcnt 0x0
	v_mov_b32_e32 v2, 0
	global_store_b32 v[0:1], v2, off
.LBB14_207:
	s_mov_b32 s22, 0
.LBB14_208:
	s_delay_alu instid0(SALU_CYCLE_1)
	s_and_not1_b32 vcc_lo, exec_lo, s22
	s_cbranch_vccnz .LBB14_210
; %bb.209:
	s_wait_xcnt 0x0
	v_mov_b32_e32 v2, 0
	global_store_b16 v[0:1], v2, off
.LBB14_210:
	s_mov_b32 s22, 0
.LBB14_211:
	s_delay_alu instid0(SALU_CYCLE_1)
	s_and_not1_b32 vcc_lo, exec_lo, s22
	s_cbranch_vccnz .LBB14_216
; %bb.212:
	s_cmp_gt_i32 s18, 0
	s_mov_b32 s18, -1
	s_cbranch_scc0 .LBB14_214
; %bb.213:
	s_wait_xcnt 0x0
	v_mov_b32_e32 v2, 0
	s_mov_b32 s18, 0
	global_store_b8 v[0:1], v2, off
.LBB14_214:
	s_and_not1_b32 vcc_lo, exec_lo, s18
	s_cbranch_vccnz .LBB14_216
; %bb.215:
	s_wait_xcnt 0x0
	v_mov_b32_e32 v2, 0
	global_store_b8 v[0:1], v2, off
.LBB14_216:
	s_branch .LBB14_22
.LBB14_217:
	s_mov_b32 s22, 0
                                        ; implicit-def: $vgpr6
.LBB14_218:
	s_and_b32 s17, s17, exec_lo
	s_xor_b32 s18, exec_lo, -1
	s_and_b32 s22, s22, exec_lo
.LBB14_219:
	s_wait_xcnt 0x0
	s_or_b32 exec_lo, exec_lo, s0
.LBB14_220:
	s_delay_alu instid0(SALU_CYCLE_1)
	s_and_b32 s17, s17, exec_lo
	s_and_b32 s18, s18, exec_lo
	;; [unrolled: 1-line block ×3, first 2 shown]
	s_or_not1_b32 s23, s22, exec_lo
.LBB14_221:
	s_wait_xcnt 0x0
	s_or_b32 exec_lo, exec_lo, s20
	s_mov_b32 s22, 0
	s_mov_b32 s0, 0
                                        ; implicit-def: $vgpr0_vgpr1
                                        ; implicit-def: $vgpr2_vgpr3
	s_and_saveexec_b32 s20, s23
	s_cbranch_execz .LBB14_230
; %bb.222:
	s_mov_b32 s0, -1
	s_mov_b32 s21, s19
	s_mov_b32 s23, s18
	;; [unrolled: 1-line block ×3, first 2 shown]
	s_mov_b32 s24, exec_lo
	v_cmpx_gt_i32_e64 s16, v6
	s_cbranch_execz .LBB14_448
; %bb.223:
	v_mul_lo_u32 v0, v6, s3
	s_and_b32 s0, 0xffff, s13
	s_delay_alu instid0(SALU_CYCLE_1) | instskip(NEXT) | instid1(VALU_DEP_1)
	s_cmp_lt_i32 s0, 11
	v_ashrrev_i32_e32 v1, 31, v0
	s_delay_alu instid0(VALU_DEP_1)
	v_add_nc_u64_e32 v[0:1], s[6:7], v[0:1]
	s_cbranch_scc1 .LBB14_233
; %bb.224:
	s_cmp_gt_i32 s0, 25
	s_cbranch_scc0 .LBB14_243
; %bb.225:
	s_cmp_gt_i32 s0, 28
	s_cbranch_scc0 .LBB14_245
	;; [unrolled: 3-line block ×4, first 2 shown]
; %bb.228:
	s_cmp_eq_u32 s0, 46
	s_mov_b32 s23, 0
	s_cbranch_scc0 .LBB14_251
; %bb.229:
	s_wait_loadcnt 0x0
	global_load_b32 v2, v[0:1], off
	s_mov_b32 s22, -1
	s_mov_b32 s21, 0
	s_wait_loadcnt 0x0
	v_lshlrev_b32_e32 v2, 16, v2
	s_delay_alu instid0(VALU_DEP_1) | instskip(NEXT) | instid1(VALU_DEP_1)
	v_trunc_f32_e32 v2, v2
	v_mul_f32_e64 v3, 0x2f800000, |v2|
	s_delay_alu instid0(VALU_DEP_1) | instskip(NEXT) | instid1(VALU_DEP_1)
	v_floor_f32_e32 v3, v3
	v_fma_f32 v4, 0xcf800000, v3, |v2|
	v_ashrrev_i32_e32 v2, 31, v2
	v_cvt_u32_f32_e32 v5, v3
	s_delay_alu instid0(VALU_DEP_3) | instskip(NEXT) | instid1(VALU_DEP_2)
	v_cvt_u32_f32_e32 v4, v4
	v_dual_mov_b32 v3, v2 :: v_dual_bitop2_b32 v5, v5, v2 bitop3:0x14
	s_delay_alu instid0(VALU_DEP_2) | instskip(NEXT) | instid1(VALU_DEP_1)
	v_xor_b32_e32 v4, v4, v2
	v_sub_nc_u64_e32 v[2:3], v[4:5], v[2:3]
	s_branch .LBB14_253
.LBB14_230:
	s_or_b32 exec_lo, exec_lo, s20
	s_mov_b32 s16, 0
	s_and_saveexec_b32 s20, s19
	s_cbranch_execnz .LBB14_752
.LBB14_231:
	s_or_b32 exec_lo, exec_lo, s20
	s_and_saveexec_b32 s19, s21
	s_delay_alu instid0(SALU_CYCLE_1)
	s_xor_b32 s19, exec_lo, s19
	s_cbranch_execz .LBB14_753
.LBB14_232:
	s_wait_loadcnt 0x0
	global_load_u8 v2, v[0:1], off
	s_mov_b32 s20, 0
	s_or_b32 s0, s0, exec_lo
	v_mov_b32_e32 v3, s20
	s_wait_loadcnt 0x0
	v_cmp_ne_u16_e32 vcc_lo, 0, v2
	v_cndmask_b32_e64 v2, 0, 1, vcc_lo
	s_wait_xcnt 0x0
	s_or_b32 exec_lo, exec_lo, s19
	s_and_saveexec_b32 s19, s22
	s_cbranch_execz .LBB14_799
	s_branch .LBB14_754
.LBB14_233:
	s_mov_b32 s22, 0
	s_mov_b32 s21, s19
                                        ; implicit-def: $vgpr2_vgpr3
	s_cbranch_execnz .LBB14_314
.LBB14_234:
	s_and_not1_b32 vcc_lo, exec_lo, s22
	s_cbranch_vccnz .LBB14_362
.LBB14_235:
	s_wait_loadcnt 0x0
	s_delay_alu instid0(VALU_DEP_1)
	v_cmp_le_i64_e32 vcc_lo, s[8:9], v[2:3]
	v_cmp_gt_i64_e64 s0, s[10:11], v[2:3]
	s_mov_b32 s25, 0
	s_mov_b32 s23, -1
	s_mov_b32 s22, s17
	s_and_b32 s0, vcc_lo, s0
	s_delay_alu instid0(SALU_CYCLE_1)
	s_and_b32 s26, s15, s0
	s_wait_xcnt 0x0
	s_and_saveexec_b32 s0, s26
	s_cbranch_execz .LBB14_446
; %bb.236:
	v_mul_lo_u32 v0, v6, s2
	s_and_b32 s23, s12, 0xff
	s_delay_alu instid0(SALU_CYCLE_1) | instskip(NEXT) | instid1(VALU_DEP_1)
	s_cmp_lt_i32 s23, 11
	v_ashrrev_i32_e32 v1, 31, v0
	s_delay_alu instid0(VALU_DEP_1)
	v_add_nc_u64_e32 v[0:1], s[4:5], v[0:1]
	s_cbranch_scc1 .LBB14_244
; %bb.237:
	s_and_b32 s25, 0xffff, s23
	s_delay_alu instid0(SALU_CYCLE_1)
	s_cmp_gt_i32 s25, 25
	s_cbranch_scc0 .LBB14_246
; %bb.238:
	s_cmp_gt_i32 s25, 28
	s_cbranch_scc0 .LBB14_248
; %bb.239:
	;; [unrolled: 3-line block ×4, first 2 shown]
	s_mov_b32 s27, 0
	s_mov_b32 s22, -1
	s_cmp_eq_u32 s25, 46
	s_mov_b32 s26, 0
	s_cbranch_scc0 .LBB14_364
; %bb.242:
	v_mov_b32_e32 v2, 0
	s_mov_b32 s26, -1
	s_mov_b32 s22, 0
	global_store_b32 v[0:1], v2, off
	s_branch .LBB14_364
.LBB14_243:
	s_mov_b32 s23, -1
	s_mov_b32 s22, 0
	s_mov_b32 s21, s19
                                        ; implicit-def: $vgpr2_vgpr3
	s_branch .LBB14_280
.LBB14_244:
	s_mov_b32 s25, -1
	s_mov_b32 s26, 0
	s_mov_b32 s22, s17
	s_branch .LBB14_403
.LBB14_245:
	s_mov_b32 s23, -1
	s_mov_b32 s22, 0
	s_mov_b32 s21, s19
                                        ; implicit-def: $vgpr2_vgpr3
	s_branch .LBB14_263
.LBB14_246:
	s_mov_b32 s27, -1
	s_mov_b32 s26, 0
	s_mov_b32 s22, s17
	s_branch .LBB14_383
.LBB14_247:
	s_mov_b32 s23, -1
	s_mov_b32 s22, 0
	s_mov_b32 s21, s19
                                        ; implicit-def: $vgpr2_vgpr3
	s_branch .LBB14_258
.LBB14_248:
	s_mov_b32 s27, -1
	s_mov_b32 s26, 0
	s_mov_b32 s22, s17
	s_branch .LBB14_372
.LBB14_249:
	s_mov_b32 s23, -1
	s_mov_b32 s22, 0
	s_mov_b32 s21, s19
	s_branch .LBB14_252
.LBB14_250:
	s_mov_b32 s27, -1
	s_mov_b32 s26, 0
	s_mov_b32 s22, s17
	s_branch .LBB14_368
.LBB14_251:
	s_mov_b32 s21, -1
	s_mov_b32 s22, 0
.LBB14_252:
                                        ; implicit-def: $vgpr2_vgpr3
.LBB14_253:
	s_and_b32 vcc_lo, exec_lo, s23
	s_cbranch_vccz .LBB14_257
; %bb.254:
	s_cmp_eq_u32 s0, 44
	s_cbranch_scc0 .LBB14_256
; %bb.255:
	global_load_u8 v7, v[0:1], off
	s_mov_b32 s21, 0
	s_mov_b32 s22, -1
	s_wait_loadcnt 0x0
	v_lshlrev_b32_e32 v2, 23, v7
	v_cmp_ne_u32_e32 vcc_lo, 0, v7
	s_delay_alu instid0(VALU_DEP_2) | instskip(NEXT) | instid1(VALU_DEP_1)
	v_trunc_f32_e32 v2, v2
	v_mul_f32_e64 v3, 0x2f800000, |v2|
	s_delay_alu instid0(VALU_DEP_1) | instskip(NEXT) | instid1(VALU_DEP_1)
	v_floor_f32_e32 v3, v3
	v_fma_f32 v4, 0xcf800000, v3, |v2|
	v_ashrrev_i32_e32 v2, 31, v2
	v_cvt_u32_f32_e32 v5, v3
	s_delay_alu instid0(VALU_DEP_3) | instskip(NEXT) | instid1(VALU_DEP_2)
	v_cvt_u32_f32_e32 v4, v4
	v_dual_mov_b32 v3, v2 :: v_dual_bitop2_b32 v5, v5, v2 bitop3:0x14
	s_delay_alu instid0(VALU_DEP_2) | instskip(NEXT) | instid1(VALU_DEP_1)
	v_xor_b32_e32 v4, v4, v2
	v_sub_nc_u64_e32 v[2:3], v[4:5], v[2:3]
	s_delay_alu instid0(VALU_DEP_1)
	v_dual_cndmask_b32 v3, 0, v3 :: v_dual_cndmask_b32 v2, 0, v2
	s_branch .LBB14_257
.LBB14_256:
	s_mov_b32 s21, -1
                                        ; implicit-def: $vgpr2_vgpr3
.LBB14_257:
	s_mov_b32 s23, 0
.LBB14_258:
	s_delay_alu instid0(SALU_CYCLE_1)
	s_and_b32 vcc_lo, exec_lo, s23
	s_cbranch_vccz .LBB14_262
; %bb.259:
	s_cmp_eq_u32 s0, 29
	s_cbranch_scc0 .LBB14_261
; %bb.260:
	s_wait_loadcnt 0x0
	global_load_b64 v[2:3], v[0:1], off
	s_mov_b32 s22, -1
	s_mov_b32 s21, 0
	s_branch .LBB14_262
.LBB14_261:
	s_mov_b32 s21, -1
                                        ; implicit-def: $vgpr2_vgpr3
.LBB14_262:
	s_mov_b32 s23, 0
.LBB14_263:
	s_delay_alu instid0(SALU_CYCLE_1)
	s_and_b32 vcc_lo, exec_lo, s23
	s_cbranch_vccz .LBB14_279
; %bb.264:
	s_cmp_lt_i32 s0, 27
	s_cbranch_scc1 .LBB14_267
; %bb.265:
	s_cmp_gt_i32 s0, 27
	s_cbranch_scc0 .LBB14_268
; %bb.266:
	s_wait_loadcnt 0x0
	global_load_b32 v2, v[0:1], off
	v_mov_b32_e32 v3, 0
	s_mov_b32 s22, 0
	s_branch .LBB14_269
.LBB14_267:
	s_mov_b32 s22, -1
                                        ; implicit-def: $vgpr2_vgpr3
	s_branch .LBB14_272
.LBB14_268:
	s_mov_b32 s22, -1
                                        ; implicit-def: $vgpr2_vgpr3
.LBB14_269:
	s_delay_alu instid0(SALU_CYCLE_1)
	s_and_not1_b32 vcc_lo, exec_lo, s22
	s_cbranch_vccnz .LBB14_271
; %bb.270:
	s_wait_loadcnt 0x0
	global_load_u16 v2, v[0:1], off
	s_mov_b32 s22, 0
	s_delay_alu instid0(SALU_CYCLE_1)
	v_mov_b32_e32 v3, s22
	s_wait_loadcnt 0x0
	v_and_b32_e32 v2, 0xffff, v2
.LBB14_271:
	s_mov_b32 s22, 0
.LBB14_272:
	s_delay_alu instid0(SALU_CYCLE_1)
	s_and_not1_b32 vcc_lo, exec_lo, s22
	s_cbranch_vccnz .LBB14_278
; %bb.273:
	global_load_u8 v4, v[0:1], off
	s_mov_b32 s23, 0
	s_mov_b32 s22, exec_lo
	s_wait_loadcnt 0x0
	v_cmpx_lt_i16_e32 0x7f, v4
	s_xor_b32 s22, exec_lo, s22
	s_cbranch_execz .LBB14_290
; %bb.274:
	v_cmp_ne_u16_e32 vcc_lo, 0x80, v4
	s_and_b32 s23, vcc_lo, exec_lo
	s_and_not1_saveexec_b32 s22, s22
	s_cbranch_execnz .LBB14_291
.LBB14_275:
	s_or_b32 exec_lo, exec_lo, s22
	v_mov_b64_e32 v[2:3], 0
	s_and_saveexec_b32 s22, s23
	s_cbranch_execz .LBB14_277
.LBB14_276:
	v_and_b32_e32 v2, 0xffff, v4
	s_delay_alu instid0(VALU_DEP_1) | instskip(SKIP_1) | instid1(VALU_DEP_2)
	v_and_b32_e32 v3, 7, v2
	v_bfe_u32 v8, v2, 3, 4
	v_clz_i32_u32_e32 v5, v3
	s_delay_alu instid0(VALU_DEP_2) | instskip(NEXT) | instid1(VALU_DEP_2)
	v_cmp_eq_u32_e32 vcc_lo, 0, v8
	v_min_u32_e32 v5, 32, v5
	s_delay_alu instid0(VALU_DEP_1) | instskip(NEXT) | instid1(VALU_DEP_1)
	v_subrev_nc_u32_e32 v7, 28, v5
	v_dual_lshlrev_b32 v2, v7, v2 :: v_dual_sub_nc_u32 v5, 29, v5
	s_delay_alu instid0(VALU_DEP_1) | instskip(NEXT) | instid1(VALU_DEP_1)
	v_dual_lshlrev_b32 v4, 24, v4 :: v_dual_bitop2_b32 v2, 7, v2 bitop3:0x40
	v_dual_cndmask_b32 v5, v8, v5 :: v_dual_cndmask_b32 v2, v3, v2
	s_delay_alu instid0(VALU_DEP_2) | instskip(NEXT) | instid1(VALU_DEP_2)
	v_and_b32_e32 v3, 0x80000000, v4
	v_lshl_add_u32 v4, v5, 23, 0x3b800000
	s_delay_alu instid0(VALU_DEP_3) | instskip(NEXT) | instid1(VALU_DEP_1)
	v_lshlrev_b32_e32 v2, 20, v2
	v_or3_b32 v2, v3, v4, v2
	s_delay_alu instid0(VALU_DEP_1) | instskip(NEXT) | instid1(VALU_DEP_1)
	v_trunc_f32_e32 v2, v2
	v_mul_f32_e64 v3, 0x2f800000, |v2|
	s_delay_alu instid0(VALU_DEP_1) | instskip(NEXT) | instid1(VALU_DEP_1)
	v_floor_f32_e32 v3, v3
	v_fma_f32 v4, 0xcf800000, v3, |v2|
	v_ashrrev_i32_e32 v2, 31, v2
	v_cvt_u32_f32_e32 v5, v3
	s_delay_alu instid0(VALU_DEP_3) | instskip(NEXT) | instid1(VALU_DEP_2)
	v_cvt_u32_f32_e32 v4, v4
	v_dual_mov_b32 v3, v2 :: v_dual_bitop2_b32 v5, v5, v2 bitop3:0x14
	s_delay_alu instid0(VALU_DEP_2) | instskip(NEXT) | instid1(VALU_DEP_1)
	v_xor_b32_e32 v4, v4, v2
	v_sub_nc_u64_e32 v[2:3], v[4:5], v[2:3]
.LBB14_277:
	s_or_b32 exec_lo, exec_lo, s22
.LBB14_278:
	s_mov_b32 s22, -1
.LBB14_279:
	s_mov_b32 s23, 0
.LBB14_280:
	s_delay_alu instid0(SALU_CYCLE_1)
	s_and_b32 vcc_lo, exec_lo, s23
	s_cbranch_vccz .LBB14_313
; %bb.281:
	s_cmp_gt_i32 s0, 22
	s_cbranch_scc0 .LBB14_289
; %bb.282:
	s_cmp_lt_i32 s0, 24
	s_cbranch_scc1 .LBB14_292
; %bb.283:
	s_cmp_gt_i32 s0, 24
	s_cbranch_scc0 .LBB14_293
; %bb.284:
	global_load_u8 v4, v[0:1], off
	s_mov_b32 s23, 0
	s_mov_b32 s22, exec_lo
	s_wait_loadcnt 0x0
	v_cmpx_lt_i16_e32 0x7f, v4
	s_xor_b32 s22, exec_lo, s22
	s_cbranch_execz .LBB14_305
; %bb.285:
	v_cmp_ne_u16_e32 vcc_lo, 0x80, v4
	s_and_b32 s23, vcc_lo, exec_lo
	s_and_not1_saveexec_b32 s22, s22
	s_cbranch_execnz .LBB14_306
.LBB14_286:
	s_or_b32 exec_lo, exec_lo, s22
	v_mov_b64_e32 v[2:3], 0
	s_and_saveexec_b32 s22, s23
	s_cbranch_execz .LBB14_288
.LBB14_287:
	v_and_b32_e32 v2, 0xffff, v4
	s_delay_alu instid0(VALU_DEP_1) | instskip(SKIP_1) | instid1(VALU_DEP_2)
	v_and_b32_e32 v3, 3, v2
	v_bfe_u32 v8, v2, 2, 5
	v_clz_i32_u32_e32 v5, v3
	s_delay_alu instid0(VALU_DEP_2) | instskip(NEXT) | instid1(VALU_DEP_2)
	v_cmp_eq_u32_e32 vcc_lo, 0, v8
	v_min_u32_e32 v5, 32, v5
	s_delay_alu instid0(VALU_DEP_1) | instskip(NEXT) | instid1(VALU_DEP_1)
	v_subrev_nc_u32_e32 v7, 29, v5
	v_dual_lshlrev_b32 v2, v7, v2 :: v_dual_sub_nc_u32 v5, 30, v5
	s_delay_alu instid0(VALU_DEP_1) | instskip(NEXT) | instid1(VALU_DEP_1)
	v_dual_lshlrev_b32 v4, 24, v4 :: v_dual_bitop2_b32 v2, 3, v2 bitop3:0x40
	v_dual_cndmask_b32 v5, v8, v5 :: v_dual_cndmask_b32 v2, v3, v2
	s_delay_alu instid0(VALU_DEP_2) | instskip(NEXT) | instid1(VALU_DEP_2)
	v_and_b32_e32 v3, 0x80000000, v4
	v_lshl_add_u32 v4, v5, 23, 0x37800000
	s_delay_alu instid0(VALU_DEP_3) | instskip(NEXT) | instid1(VALU_DEP_1)
	v_lshlrev_b32_e32 v2, 21, v2
	v_or3_b32 v2, v3, v4, v2
	s_delay_alu instid0(VALU_DEP_1) | instskip(NEXT) | instid1(VALU_DEP_1)
	v_trunc_f32_e32 v2, v2
	v_mul_f32_e64 v3, 0x2f800000, |v2|
	s_delay_alu instid0(VALU_DEP_1) | instskip(NEXT) | instid1(VALU_DEP_1)
	v_floor_f32_e32 v3, v3
	v_fma_f32 v4, 0xcf800000, v3, |v2|
	v_ashrrev_i32_e32 v2, 31, v2
	v_cvt_u32_f32_e32 v5, v3
	s_delay_alu instid0(VALU_DEP_3) | instskip(NEXT) | instid1(VALU_DEP_2)
	v_cvt_u32_f32_e32 v4, v4
	v_dual_mov_b32 v3, v2 :: v_dual_bitop2_b32 v5, v5, v2 bitop3:0x14
	s_delay_alu instid0(VALU_DEP_2) | instskip(NEXT) | instid1(VALU_DEP_1)
	v_xor_b32_e32 v4, v4, v2
	v_sub_nc_u64_e32 v[2:3], v[4:5], v[2:3]
.LBB14_288:
	s_or_b32 exec_lo, exec_lo, s22
	s_mov_b32 s22, 0
	s_branch .LBB14_294
.LBB14_289:
	s_mov_b32 s23, -1
                                        ; implicit-def: $vgpr2_vgpr3
	s_branch .LBB14_300
.LBB14_290:
	s_and_not1_saveexec_b32 s22, s22
	s_cbranch_execz .LBB14_275
.LBB14_291:
	v_cmp_ne_u16_e32 vcc_lo, 0, v4
	s_and_not1_b32 s23, s23, exec_lo
	s_and_b32 s25, vcc_lo, exec_lo
	s_delay_alu instid0(SALU_CYCLE_1)
	s_or_b32 s23, s23, s25
	s_or_b32 exec_lo, exec_lo, s22
	v_mov_b64_e32 v[2:3], 0
	s_and_saveexec_b32 s22, s23
	s_cbranch_execnz .LBB14_276
	s_branch .LBB14_277
.LBB14_292:
	s_mov_b32 s22, -1
                                        ; implicit-def: $vgpr2_vgpr3
	s_branch .LBB14_297
.LBB14_293:
	s_mov_b32 s22, -1
                                        ; implicit-def: $vgpr2_vgpr3
.LBB14_294:
	s_delay_alu instid0(SALU_CYCLE_1)
	s_and_b32 vcc_lo, exec_lo, s22
	s_cbranch_vccz .LBB14_296
; %bb.295:
	s_wait_loadcnt 0x0
	global_load_u8 v2, v[0:1], off
	s_wait_loadcnt 0x0
	v_lshlrev_b32_e32 v2, 24, v2
	s_delay_alu instid0(VALU_DEP_1) | instskip(NEXT) | instid1(VALU_DEP_1)
	v_and_b32_e32 v3, 0x7f000000, v2
	v_clz_i32_u32_e32 v4, v3
	v_add_nc_u32_e32 v7, 0x1000000, v3
	v_cmp_ne_u32_e32 vcc_lo, 0, v3
	s_delay_alu instid0(VALU_DEP_3) | instskip(NEXT) | instid1(VALU_DEP_1)
	v_min_u32_e32 v4, 32, v4
	v_sub_nc_u32_e64 v4, v4, 4 clamp
	s_delay_alu instid0(VALU_DEP_1) | instskip(NEXT) | instid1(VALU_DEP_1)
	v_dual_lshlrev_b32 v5, v4, v3 :: v_dual_lshlrev_b32 v4, 23, v4
	v_lshrrev_b32_e32 v5, 4, v5
	s_delay_alu instid0(VALU_DEP_1) | instskip(NEXT) | instid1(VALU_DEP_1)
	v_dual_sub_nc_u32 v4, v5, v4 :: v_dual_ashrrev_i32 v5, 8, v7
	v_add_nc_u32_e32 v4, 0x3c000000, v4
	s_delay_alu instid0(VALU_DEP_1) | instskip(NEXT) | instid1(VALU_DEP_1)
	v_and_or_b32 v4, 0x7f800000, v5, v4
	v_cndmask_b32_e32 v3, 0, v4, vcc_lo
	s_delay_alu instid0(VALU_DEP_1) | instskip(NEXT) | instid1(VALU_DEP_1)
	v_and_or_b32 v2, 0x80000000, v2, v3
	v_trunc_f32_e32 v2, v2
	s_delay_alu instid0(VALU_DEP_1) | instskip(NEXT) | instid1(VALU_DEP_1)
	v_mul_f32_e64 v3, 0x2f800000, |v2|
	v_floor_f32_e32 v3, v3
	s_delay_alu instid0(VALU_DEP_1) | instskip(SKIP_2) | instid1(VALU_DEP_3)
	v_fma_f32 v4, 0xcf800000, v3, |v2|
	v_ashrrev_i32_e32 v2, 31, v2
	v_cvt_u32_f32_e32 v5, v3
	v_cvt_u32_f32_e32 v4, v4
	s_delay_alu instid0(VALU_DEP_2) | instskip(NEXT) | instid1(VALU_DEP_2)
	v_dual_mov_b32 v3, v2 :: v_dual_bitop2_b32 v5, v5, v2 bitop3:0x14
	v_xor_b32_e32 v4, v4, v2
	s_delay_alu instid0(VALU_DEP_1)
	v_sub_nc_u64_e32 v[2:3], v[4:5], v[2:3]
.LBB14_296:
	s_mov_b32 s22, 0
.LBB14_297:
	s_delay_alu instid0(SALU_CYCLE_1)
	s_and_not1_b32 vcc_lo, exec_lo, s22
	s_cbranch_vccnz .LBB14_299
; %bb.298:
	s_wait_loadcnt 0x0
	global_load_u8 v2, v[0:1], off
	s_wait_loadcnt 0x0
	v_lshlrev_b32_e32 v3, 25, v2
	v_lshlrev_b16 v2, 8, v2
	s_delay_alu instid0(VALU_DEP_1) | instskip(SKIP_1) | instid1(VALU_DEP_2)
	v_and_or_b32 v5, 0x7f00, v2, 0.5
	v_bfe_i32 v2, v2, 0, 16
	v_dual_add_f32 v5, -0.5, v5 :: v_dual_lshrrev_b32 v4, 4, v3
	v_cmp_gt_u32_e32 vcc_lo, 0x8000000, v3
	s_delay_alu instid0(VALU_DEP_2) | instskip(NEXT) | instid1(VALU_DEP_1)
	v_or_b32_e32 v4, 0x70000000, v4
	v_mul_f32_e32 v4, 0x7800000, v4
	s_delay_alu instid0(VALU_DEP_1) | instskip(NEXT) | instid1(VALU_DEP_1)
	v_cndmask_b32_e32 v3, v4, v5, vcc_lo
	v_and_or_b32 v2, 0x80000000, v2, v3
	s_delay_alu instid0(VALU_DEP_1) | instskip(NEXT) | instid1(VALU_DEP_1)
	v_trunc_f32_e32 v2, v2
	v_mul_f32_e64 v3, 0x2f800000, |v2|
	s_delay_alu instid0(VALU_DEP_1) | instskip(NEXT) | instid1(VALU_DEP_1)
	v_floor_f32_e32 v3, v3
	v_fma_f32 v4, 0xcf800000, v3, |v2|
	v_ashrrev_i32_e32 v2, 31, v2
	v_cvt_u32_f32_e32 v5, v3
	s_delay_alu instid0(VALU_DEP_3) | instskip(NEXT) | instid1(VALU_DEP_2)
	v_cvt_u32_f32_e32 v4, v4
	v_dual_mov_b32 v3, v2 :: v_dual_bitop2_b32 v5, v5, v2 bitop3:0x14
	s_delay_alu instid0(VALU_DEP_2) | instskip(NEXT) | instid1(VALU_DEP_1)
	v_xor_b32_e32 v4, v4, v2
	v_sub_nc_u64_e32 v[2:3], v[4:5], v[2:3]
.LBB14_299:
	s_mov_b32 s23, 0
	s_mov_b32 s22, -1
.LBB14_300:
	s_and_not1_b32 vcc_lo, exec_lo, s23
	s_cbranch_vccnz .LBB14_313
; %bb.301:
	s_cmp_gt_i32 s0, 14
	s_cbranch_scc0 .LBB14_304
; %bb.302:
	s_cmp_eq_u32 s0, 15
	s_cbranch_scc0 .LBB14_307
; %bb.303:
	s_wait_loadcnt 0x0
	global_load_u16 v2, v[0:1], off
	s_mov_b32 s22, -1
	s_mov_b32 s21, 0
	s_wait_loadcnt 0x0
	v_lshlrev_b32_e32 v2, 16, v2
	s_delay_alu instid0(VALU_DEP_1) | instskip(NEXT) | instid1(VALU_DEP_1)
	v_trunc_f32_e32 v2, v2
	v_mul_f32_e64 v3, 0x2f800000, |v2|
	s_delay_alu instid0(VALU_DEP_1) | instskip(NEXT) | instid1(VALU_DEP_1)
	v_floor_f32_e32 v3, v3
	v_fma_f32 v4, 0xcf800000, v3, |v2|
	v_ashrrev_i32_e32 v2, 31, v2
	v_cvt_u32_f32_e32 v5, v3
	s_delay_alu instid0(VALU_DEP_3) | instskip(NEXT) | instid1(VALU_DEP_2)
	v_cvt_u32_f32_e32 v4, v4
	v_dual_mov_b32 v3, v2 :: v_dual_bitop2_b32 v5, v5, v2 bitop3:0x14
	s_delay_alu instid0(VALU_DEP_2) | instskip(NEXT) | instid1(VALU_DEP_1)
	v_xor_b32_e32 v4, v4, v2
	v_sub_nc_u64_e32 v[2:3], v[4:5], v[2:3]
	s_branch .LBB14_308
.LBB14_304:
	s_mov_b32 s23, -1
                                        ; implicit-def: $vgpr2_vgpr3
	s_branch .LBB14_309
.LBB14_305:
	s_and_not1_saveexec_b32 s22, s22
	s_cbranch_execz .LBB14_286
.LBB14_306:
	v_cmp_ne_u16_e32 vcc_lo, 0, v4
	s_and_not1_b32 s23, s23, exec_lo
	s_and_b32 s25, vcc_lo, exec_lo
	s_delay_alu instid0(SALU_CYCLE_1)
	s_or_b32 s23, s23, s25
	s_or_b32 exec_lo, exec_lo, s22
	v_mov_b64_e32 v[2:3], 0
	s_and_saveexec_b32 s22, s23
	s_cbranch_execnz .LBB14_287
	s_branch .LBB14_288
.LBB14_307:
	s_mov_b32 s21, -1
                                        ; implicit-def: $vgpr2_vgpr3
.LBB14_308:
	s_mov_b32 s23, 0
.LBB14_309:
	s_delay_alu instid0(SALU_CYCLE_1)
	s_and_b32 vcc_lo, exec_lo, s23
	s_cbranch_vccz .LBB14_313
; %bb.310:
	s_cmp_eq_u32 s0, 11
	s_cbranch_scc0 .LBB14_312
; %bb.311:
	s_wait_loadcnt 0x0
	global_load_u8 v2, v[0:1], off
	s_mov_b32 s21, 0
	s_mov_b32 s22, -1
	v_mov_b32_e32 v3, s21
	s_wait_loadcnt 0x0
	v_cmp_ne_u16_e32 vcc_lo, 0, v2
	v_cndmask_b32_e64 v2, 0, 1, vcc_lo
	s_branch .LBB14_313
.LBB14_312:
	s_mov_b32 s21, -1
                                        ; implicit-def: $vgpr2_vgpr3
.LBB14_313:
	s_branch .LBB14_234
.LBB14_314:
	s_cmp_lt_i32 s0, 5
	s_cbranch_scc1 .LBB14_319
; %bb.315:
	s_cmp_lt_i32 s0, 8
	s_cbranch_scc1 .LBB14_320
; %bb.316:
	;; [unrolled: 3-line block ×3, first 2 shown]
	s_cmp_gt_i32 s0, 9
	s_cbranch_scc0 .LBB14_322
; %bb.318:
	s_wait_loadcnt 0x0
	global_load_b64 v[2:3], v[0:1], off
	s_mov_b32 s22, 0
	s_wait_loadcnt 0x0
	v_trunc_f64_e32 v[2:3], v[2:3]
	s_delay_alu instid0(VALU_DEP_1) | instskip(NEXT) | instid1(VALU_DEP_1)
	v_ldexp_f64 v[4:5], v[2:3], 0xffffffe0
	v_floor_f64_e32 v[4:5], v[4:5]
	s_delay_alu instid0(VALU_DEP_1) | instskip(SKIP_1) | instid1(VALU_DEP_2)
	v_fmamk_f64 v[8:9], v[4:5], 0xc1f00000, v[2:3]
	v_cvt_i32_f64_e32 v3, v[4:5]
	v_cvt_u32_f64_e32 v2, v[8:9]
	s_branch .LBB14_323
.LBB14_319:
	s_mov_b32 s22, -1
                                        ; implicit-def: $vgpr2_vgpr3
	s_branch .LBB14_341
.LBB14_320:
	s_mov_b32 s22, -1
                                        ; implicit-def: $vgpr2_vgpr3
	s_branch .LBB14_329
.LBB14_321:
	s_mov_b32 s22, -1
                                        ; implicit-def: $vgpr2_vgpr3
	s_branch .LBB14_326
.LBB14_322:
	s_mov_b32 s22, -1
                                        ; implicit-def: $vgpr2_vgpr3
.LBB14_323:
	s_delay_alu instid0(SALU_CYCLE_1)
	s_and_not1_b32 vcc_lo, exec_lo, s22
	s_cbranch_vccnz .LBB14_325
; %bb.324:
	s_wait_loadcnt 0x0
	global_load_b32 v2, v[0:1], off
	s_wait_loadcnt 0x0
	v_trunc_f32_e32 v2, v2
	s_delay_alu instid0(VALU_DEP_1) | instskip(NEXT) | instid1(VALU_DEP_1)
	v_mul_f32_e64 v3, 0x2f800000, |v2|
	v_floor_f32_e32 v3, v3
	s_delay_alu instid0(VALU_DEP_1) | instskip(SKIP_2) | instid1(VALU_DEP_3)
	v_fma_f32 v4, 0xcf800000, v3, |v2|
	v_ashrrev_i32_e32 v2, 31, v2
	v_cvt_u32_f32_e32 v5, v3
	v_cvt_u32_f32_e32 v4, v4
	s_delay_alu instid0(VALU_DEP_2) | instskip(NEXT) | instid1(VALU_DEP_2)
	v_dual_mov_b32 v3, v2 :: v_dual_bitop2_b32 v5, v5, v2 bitop3:0x14
	v_xor_b32_e32 v4, v4, v2
	s_delay_alu instid0(VALU_DEP_1)
	v_sub_nc_u64_e32 v[2:3], v[4:5], v[2:3]
.LBB14_325:
	s_mov_b32 s22, 0
.LBB14_326:
	s_delay_alu instid0(SALU_CYCLE_1)
	s_and_not1_b32 vcc_lo, exec_lo, s22
	s_cbranch_vccnz .LBB14_328
; %bb.327:
	s_wait_loadcnt 0x0
	global_load_b32 v2, v[0:1], off
	s_wait_loadcnt 0x0
	v_cvt_f32_f16_e32 v2, v2
	s_delay_alu instid0(VALU_DEP_1) | instskip(NEXT) | instid1(VALU_DEP_1)
	v_cvt_i32_f32_e32 v2, v2
	v_ashrrev_i32_e32 v3, 31, v2
.LBB14_328:
	s_mov_b32 s22, 0
.LBB14_329:
	s_delay_alu instid0(SALU_CYCLE_1)
	s_and_not1_b32 vcc_lo, exec_lo, s22
	s_cbranch_vccnz .LBB14_340
; %bb.330:
	s_cmp_lt_i32 s0, 6
	s_cbranch_scc1 .LBB14_333
; %bb.331:
	s_cmp_gt_i32 s0, 6
	s_cbranch_scc0 .LBB14_334
; %bb.332:
	s_wait_loadcnt 0x0
	global_load_b64 v[2:3], v[0:1], off
	s_mov_b32 s22, 0
	s_wait_loadcnt 0x0
	v_trunc_f64_e32 v[2:3], v[2:3]
	s_delay_alu instid0(VALU_DEP_1) | instskip(NEXT) | instid1(VALU_DEP_1)
	v_ldexp_f64 v[4:5], v[2:3], 0xffffffe0
	v_floor_f64_e32 v[4:5], v[4:5]
	s_delay_alu instid0(VALU_DEP_1) | instskip(SKIP_1) | instid1(VALU_DEP_2)
	v_fmamk_f64 v[8:9], v[4:5], 0xc1f00000, v[2:3]
	v_cvt_i32_f64_e32 v3, v[4:5]
	v_cvt_u32_f64_e32 v2, v[8:9]
	s_branch .LBB14_335
.LBB14_333:
	s_mov_b32 s22, -1
                                        ; implicit-def: $vgpr2_vgpr3
	s_branch .LBB14_338
.LBB14_334:
	s_mov_b32 s22, -1
                                        ; implicit-def: $vgpr2_vgpr3
.LBB14_335:
	s_delay_alu instid0(SALU_CYCLE_1)
	s_and_not1_b32 vcc_lo, exec_lo, s22
	s_cbranch_vccnz .LBB14_337
; %bb.336:
	s_wait_loadcnt 0x0
	global_load_b32 v2, v[0:1], off
	s_wait_loadcnt 0x0
	v_trunc_f32_e32 v2, v2
	s_delay_alu instid0(VALU_DEP_1) | instskip(NEXT) | instid1(VALU_DEP_1)
	v_mul_f32_e64 v3, 0x2f800000, |v2|
	v_floor_f32_e32 v3, v3
	s_delay_alu instid0(VALU_DEP_1) | instskip(SKIP_2) | instid1(VALU_DEP_3)
	v_fma_f32 v4, 0xcf800000, v3, |v2|
	v_ashrrev_i32_e32 v2, 31, v2
	v_cvt_u32_f32_e32 v5, v3
	v_cvt_u32_f32_e32 v4, v4
	s_delay_alu instid0(VALU_DEP_2) | instskip(NEXT) | instid1(VALU_DEP_2)
	v_dual_mov_b32 v3, v2 :: v_dual_bitop2_b32 v5, v5, v2 bitop3:0x14
	v_xor_b32_e32 v4, v4, v2
	s_delay_alu instid0(VALU_DEP_1)
	v_sub_nc_u64_e32 v[2:3], v[4:5], v[2:3]
.LBB14_337:
	s_mov_b32 s22, 0
.LBB14_338:
	s_delay_alu instid0(SALU_CYCLE_1)
	s_and_not1_b32 vcc_lo, exec_lo, s22
	s_cbranch_vccnz .LBB14_340
; %bb.339:
	s_wait_loadcnt 0x0
	global_load_u16 v2, v[0:1], off
	s_wait_loadcnt 0x0
	v_cvt_f32_f16_e32 v2, v2
	s_delay_alu instid0(VALU_DEP_1) | instskip(NEXT) | instid1(VALU_DEP_1)
	v_cvt_i32_f32_e32 v2, v2
	v_ashrrev_i32_e32 v3, 31, v2
.LBB14_340:
	s_mov_b32 s22, 0
.LBB14_341:
	s_delay_alu instid0(SALU_CYCLE_1)
	s_and_not1_b32 vcc_lo, exec_lo, s22
	s_cbranch_vccnz .LBB14_361
; %bb.342:
	s_cmp_lt_i32 s0, 2
	s_cbranch_scc1 .LBB14_346
; %bb.343:
	s_cmp_lt_i32 s0, 3
	s_cbranch_scc1 .LBB14_347
; %bb.344:
	s_cmp_gt_i32 s0, 3
	s_cbranch_scc0 .LBB14_348
; %bb.345:
	s_wait_loadcnt 0x0
	global_load_b64 v[2:3], v[0:1], off
	s_mov_b32 s22, 0
	s_branch .LBB14_349
.LBB14_346:
	s_mov_b32 s22, -1
                                        ; implicit-def: $vgpr2_vgpr3
	s_branch .LBB14_355
.LBB14_347:
	s_mov_b32 s22, -1
                                        ; implicit-def: $vgpr2_vgpr3
	s_branch .LBB14_352
.LBB14_348:
	s_mov_b32 s22, -1
                                        ; implicit-def: $vgpr2_vgpr3
.LBB14_349:
	s_delay_alu instid0(SALU_CYCLE_1)
	s_and_not1_b32 vcc_lo, exec_lo, s22
	s_cbranch_vccnz .LBB14_351
; %bb.350:
	s_wait_loadcnt 0x0
	global_load_b32 v2, v[0:1], off
	s_wait_loadcnt 0x0
	v_ashrrev_i32_e32 v3, 31, v2
.LBB14_351:
	s_mov_b32 s22, 0
.LBB14_352:
	s_delay_alu instid0(SALU_CYCLE_1)
	s_and_not1_b32 vcc_lo, exec_lo, s22
	s_cbranch_vccnz .LBB14_354
; %bb.353:
	s_wait_loadcnt 0x0
	global_load_u16 v2, v[0:1], off
	s_wait_loadcnt 0x0
	v_bfe_i32 v2, v2, 0, 16
	s_delay_alu instid0(VALU_DEP_1)
	v_ashrrev_i32_e32 v3, 31, v2
.LBB14_354:
	s_mov_b32 s22, 0
.LBB14_355:
	s_delay_alu instid0(SALU_CYCLE_1)
	s_and_not1_b32 vcc_lo, exec_lo, s22
	s_cbranch_vccnz .LBB14_361
; %bb.356:
	s_cmp_gt_i32 s0, 0
	s_mov_b32 s0, 0
	s_cbranch_scc0 .LBB14_358
; %bb.357:
	s_wait_loadcnt 0x0
	global_load_i8 v2, v[0:1], off
	s_wait_loadcnt 0x0
	v_bfe_i32 v2, v2, 0, 16
	s_delay_alu instid0(VALU_DEP_1)
	v_ashrrev_i32_e32 v3, 31, v2
	s_branch .LBB14_359
.LBB14_358:
	s_mov_b32 s0, -1
                                        ; implicit-def: $vgpr2_vgpr3
.LBB14_359:
	s_delay_alu instid0(SALU_CYCLE_1)
	s_and_not1_b32 vcc_lo, exec_lo, s0
	s_cbranch_vccnz .LBB14_361
; %bb.360:
	global_load_u8 v0, v[0:1], off
	s_mov_b32 s0, 0
	s_wait_loadcnt 0x1
	v_mov_b32_e32 v3, s0
	s_wait_loadcnt 0x0
	v_and_b32_e32 v2, 0xffff, v0
.LBB14_361:
	s_branch .LBB14_235
.LBB14_362:
	s_mov_b32 s25, 0
	s_mov_b32 s22, s17
	;; [unrolled: 1-line block ×3, first 2 shown]
                                        ; implicit-def: $vgpr6
	s_branch .LBB14_447
.LBB14_363:
	s_mov_b32 s27, -1
	s_mov_b32 s26, 0
	s_mov_b32 s22, s17
.LBB14_364:
	s_and_b32 vcc_lo, exec_lo, s27
	s_cbranch_vccz .LBB14_367
; %bb.365:
	s_cmp_eq_u32 s25, 44
	s_mov_b32 s22, -1
	s_cbranch_scc0 .LBB14_367
; %bb.366:
	s_wait_xcnt 0x0
	v_mov_b32_e32 v2, 0
	s_mov_b32 s26, -1
	s_mov_b32 s22, 0
	global_store_b8 v[0:1], v2, off
.LBB14_367:
	s_mov_b32 s27, 0
.LBB14_368:
	s_delay_alu instid0(SALU_CYCLE_1)
	s_and_b32 vcc_lo, exec_lo, s27
	s_cbranch_vccz .LBB14_371
; %bb.369:
	s_cmp_eq_u32 s25, 29
	s_mov_b32 s22, -1
	s_cbranch_scc0 .LBB14_371
; %bb.370:
	s_wait_xcnt 0x0
	v_mov_b64_e32 v[2:3], 0
	s_mov_b32 s26, -1
	s_mov_b32 s22, 0
	s_mov_b32 s27, 0
	global_store_b64 v[0:1], v[2:3], off
	s_branch .LBB14_372
.LBB14_371:
	s_mov_b32 s27, 0
.LBB14_372:
	s_delay_alu instid0(SALU_CYCLE_1)
	s_and_b32 vcc_lo, exec_lo, s27
	s_cbranch_vccz .LBB14_382
; %bb.373:
	s_cmp_lt_i32 s25, 27
	s_mov_b32 s26, -1
	s_cbranch_scc1 .LBB14_379
; %bb.374:
	s_cmp_gt_i32 s25, 27
	s_cbranch_scc0 .LBB14_376
; %bb.375:
	s_wait_xcnt 0x0
	v_mov_b32_e32 v2, 0
	s_mov_b32 s26, 0
	global_store_b32 v[0:1], v2, off
.LBB14_376:
	s_and_not1_b32 vcc_lo, exec_lo, s26
	s_cbranch_vccnz .LBB14_378
; %bb.377:
	s_wait_xcnt 0x0
	v_mov_b32_e32 v2, 0
	global_store_b16 v[0:1], v2, off
.LBB14_378:
	s_mov_b32 s26, 0
.LBB14_379:
	s_delay_alu instid0(SALU_CYCLE_1)
	s_and_not1_b32 vcc_lo, exec_lo, s26
	s_cbranch_vccnz .LBB14_381
; %bb.380:
	s_wait_xcnt 0x0
	v_mov_b32_e32 v2, 0
	global_store_b8 v[0:1], v2, off
.LBB14_381:
	s_mov_b32 s26, -1
.LBB14_382:
	s_mov_b32 s27, 0
.LBB14_383:
	s_delay_alu instid0(SALU_CYCLE_1)
	s_and_b32 vcc_lo, exec_lo, s27
	s_cbranch_vccz .LBB14_402
; %bb.384:
	s_cmp_gt_i32 s25, 22
	s_mov_b32 s27, -1
	s_cbranch_scc0 .LBB14_394
; %bb.385:
	s_cmp_lt_i32 s25, 24
	s_mov_b32 s26, -1
	s_cbranch_scc1 .LBB14_391
; %bb.386:
	s_cmp_gt_i32 s25, 24
	s_cbranch_scc0 .LBB14_388
; %bb.387:
	s_wait_xcnt 0x0
	v_mov_b32_e32 v2, 0
	s_mov_b32 s26, 0
	global_store_b8 v[0:1], v2, off
.LBB14_388:
	s_and_not1_b32 vcc_lo, exec_lo, s26
	s_cbranch_vccnz .LBB14_390
; %bb.389:
	s_wait_xcnt 0x0
	v_mov_b32_e32 v2, 0
	global_store_b8 v[0:1], v2, off
.LBB14_390:
	s_mov_b32 s26, 0
.LBB14_391:
	s_delay_alu instid0(SALU_CYCLE_1)
	s_and_not1_b32 vcc_lo, exec_lo, s26
	s_cbranch_vccnz .LBB14_393
; %bb.392:
	s_wait_xcnt 0x0
	v_mov_b32_e32 v2, 0
	global_store_b8 v[0:1], v2, off
.LBB14_393:
	s_mov_b32 s27, 0
	s_mov_b32 s26, -1
.LBB14_394:
	s_and_not1_b32 vcc_lo, exec_lo, s27
	s_cbranch_vccnz .LBB14_402
; %bb.395:
	s_cmp_gt_i32 s25, 14
	s_mov_b32 s27, -1
	s_cbranch_scc0 .LBB14_399
; %bb.396:
	s_cmp_eq_u32 s25, 15
	s_mov_b32 s22, -1
	s_cbranch_scc0 .LBB14_398
; %bb.397:
	s_wait_xcnt 0x0
	v_mov_b32_e32 v2, 0
	s_mov_b32 s26, -1
	s_mov_b32 s22, 0
	global_store_b16 v[0:1], v2, off
.LBB14_398:
	s_mov_b32 s27, 0
.LBB14_399:
	s_delay_alu instid0(SALU_CYCLE_1)
	s_and_b32 vcc_lo, exec_lo, s27
	s_cbranch_vccz .LBB14_402
; %bb.400:
	s_cmp_eq_u32 s25, 11
	s_mov_b32 s22, -1
	s_cbranch_scc0 .LBB14_402
; %bb.401:
	s_wait_xcnt 0x0
	v_mov_b32_e32 v2, 0
	s_mov_b32 s26, -1
	s_mov_b32 s22, 0
	global_store_b8 v[0:1], v2, off
.LBB14_402:
	s_mov_b32 s25, 0
.LBB14_403:
	s_delay_alu instid0(SALU_CYCLE_1)
	s_and_b32 vcc_lo, exec_lo, s25
	s_cbranch_vccz .LBB14_442
; %bb.404:
	s_and_b32 s23, 0xffff, s23
	s_mov_b32 s25, -1
	s_cmp_lt_i32 s23, 5
	s_cbranch_scc1 .LBB14_425
; %bb.405:
	s_cmp_lt_i32 s23, 8
	s_cbranch_scc1 .LBB14_415
; %bb.406:
	;; [unrolled: 3-line block ×3, first 2 shown]
	s_cmp_gt_i32 s23, 9
	s_cbranch_scc0 .LBB14_409
; %bb.408:
	s_wait_xcnt 0x0
	v_mov_b32_e32 v2, 0
	s_mov_b32 s25, 0
	s_delay_alu instid0(VALU_DEP_1)
	v_dual_mov_b32 v3, v2 :: v_dual_mov_b32 v4, v2
	v_mov_b32_e32 v5, v2
	global_store_b128 v[0:1], v[2:5], off
.LBB14_409:
	s_and_not1_b32 vcc_lo, exec_lo, s25
	s_cbranch_vccnz .LBB14_411
; %bb.410:
	s_wait_xcnt 0x0
	v_mov_b64_e32 v[2:3], 0
	global_store_b64 v[0:1], v[2:3], off
.LBB14_411:
	s_mov_b32 s25, 0
.LBB14_412:
	s_delay_alu instid0(SALU_CYCLE_1)
	s_and_not1_b32 vcc_lo, exec_lo, s25
	s_cbranch_vccnz .LBB14_414
; %bb.413:
	s_wait_xcnt 0x0
	v_mov_b32_e32 v2, 0
	global_store_b32 v[0:1], v2, off
.LBB14_414:
	s_mov_b32 s25, 0
.LBB14_415:
	s_delay_alu instid0(SALU_CYCLE_1)
	s_and_not1_b32 vcc_lo, exec_lo, s25
	s_cbranch_vccnz .LBB14_424
; %bb.416:
	s_cmp_lt_i32 s23, 6
	s_mov_b32 s25, -1
	s_cbranch_scc1 .LBB14_422
; %bb.417:
	s_cmp_gt_i32 s23, 6
	s_cbranch_scc0 .LBB14_419
; %bb.418:
	s_wait_xcnt 0x0
	v_mov_b64_e32 v[2:3], 0
	s_mov_b32 s25, 0
	global_store_b64 v[0:1], v[2:3], off
.LBB14_419:
	s_and_not1_b32 vcc_lo, exec_lo, s25
	s_cbranch_vccnz .LBB14_421
; %bb.420:
	s_wait_xcnt 0x0
	v_mov_b32_e32 v2, 0
	global_store_b32 v[0:1], v2, off
.LBB14_421:
	s_mov_b32 s25, 0
.LBB14_422:
	s_delay_alu instid0(SALU_CYCLE_1)
	s_and_not1_b32 vcc_lo, exec_lo, s25
	s_cbranch_vccnz .LBB14_424
; %bb.423:
	s_wait_xcnt 0x0
	v_mov_b32_e32 v2, 0
	global_store_b16 v[0:1], v2, off
.LBB14_424:
	s_mov_b32 s25, 0
.LBB14_425:
	s_delay_alu instid0(SALU_CYCLE_1)
	s_and_not1_b32 vcc_lo, exec_lo, s25
	s_cbranch_vccnz .LBB14_441
; %bb.426:
	s_cmp_lt_i32 s23, 2
	s_mov_b32 s25, -1
	s_cbranch_scc1 .LBB14_436
; %bb.427:
	s_cmp_lt_i32 s23, 3
	s_cbranch_scc1 .LBB14_433
; %bb.428:
	s_cmp_gt_i32 s23, 3
	s_cbranch_scc0 .LBB14_430
; %bb.429:
	s_wait_xcnt 0x0
	v_mov_b64_e32 v[2:3], 0
	s_mov_b32 s25, 0
	global_store_b64 v[0:1], v[2:3], off
.LBB14_430:
	s_and_not1_b32 vcc_lo, exec_lo, s25
	s_cbranch_vccnz .LBB14_432
; %bb.431:
	s_wait_xcnt 0x0
	v_mov_b32_e32 v2, 0
	global_store_b32 v[0:1], v2, off
.LBB14_432:
	s_mov_b32 s25, 0
.LBB14_433:
	s_delay_alu instid0(SALU_CYCLE_1)
	s_and_not1_b32 vcc_lo, exec_lo, s25
	s_cbranch_vccnz .LBB14_435
; %bb.434:
	s_wait_xcnt 0x0
	v_mov_b32_e32 v2, 0
	global_store_b16 v[0:1], v2, off
.LBB14_435:
	s_mov_b32 s25, 0
.LBB14_436:
	s_delay_alu instid0(SALU_CYCLE_1)
	s_and_not1_b32 vcc_lo, exec_lo, s25
	s_cbranch_vccnz .LBB14_441
; %bb.437:
	s_cmp_gt_i32 s23, 0
	s_mov_b32 s23, -1
	s_cbranch_scc0 .LBB14_439
; %bb.438:
	s_wait_xcnt 0x0
	v_mov_b32_e32 v2, 0
	s_mov_b32 s23, 0
	global_store_b8 v[0:1], v2, off
.LBB14_439:
	s_and_not1_b32 vcc_lo, exec_lo, s23
	s_cbranch_vccnz .LBB14_441
; %bb.440:
	s_wait_xcnt 0x0
	v_mov_b32_e32 v2, 0
	global_store_b8 v[0:1], v2, off
.LBB14_441:
	s_mov_b32 s26, -1
.LBB14_442:
	s_delay_alu instid0(SALU_CYCLE_1)
	s_and_not1_b32 vcc_lo, exec_lo, s26
	s_cbranch_vccnz .LBB14_444
; %bb.443:
	v_add_nc_u32_e32 v6, 0x80, v6
	s_mov_b32 s25, -1
	s_branch .LBB14_445
.LBB14_444:
	s_mov_b32 s25, 0
                                        ; implicit-def: $vgpr6
.LBB14_445:
	s_and_not1_b32 s23, s17, exec_lo
	s_and_b32 s22, s22, exec_lo
	s_and_b32 s25, s25, exec_lo
	s_or_b32 s22, s23, s22
	s_xor_b32 s23, exec_lo, -1
.LBB14_446:
	s_wait_xcnt 0x0
	s_or_b32 exec_lo, exec_lo, s0
.LBB14_447:
	s_delay_alu instid0(SALU_CYCLE_1)
	s_and_not1_b32 s0, s17, exec_lo
	s_and_b32 s22, s22, exec_lo
	s_and_b32 s23, s23, exec_lo
	s_or_b32 s22, s0, s22
	s_and_not1_b32 s0, s18, exec_lo
	s_and_not1_b32 s26, s19, exec_lo
	s_and_b32 s21, s21, exec_lo
	s_or_b32 s23, s0, s23
	s_or_b32 s21, s26, s21
	s_or_not1_b32 s0, s25, exec_lo
.LBB14_448:
	s_wait_xcnt 0x0
	s_or_b32 exec_lo, exec_lo, s24
	s_mov_b32 s25, 0
	s_mov_b32 s26, 0
	;; [unrolled: 1-line block ×3, first 2 shown]
                                        ; implicit-def: $vgpr0_vgpr1
                                        ; implicit-def: $vgpr2_vgpr3
	s_and_saveexec_b32 s24, s0
	s_cbranch_execz .LBB14_751
; %bb.449:
	s_mov_b32 s31, -1
	s_mov_b32 s0, s21
	s_mov_b32 s26, s23
	;; [unrolled: 1-line block ×3, first 2 shown]
	s_mov_b32 s25, exec_lo
	v_cmpx_gt_i32_e64 s16, v6
	s_cbranch_execz .LBB14_673
; %bb.450:
	v_mul_lo_u32 v0, v6, s3
	s_and_b32 s0, 0xffff, s13
	s_delay_alu instid0(SALU_CYCLE_1) | instskip(NEXT) | instid1(VALU_DEP_1)
	s_cmp_lt_i32 s0, 11
	v_ashrrev_i32_e32 v1, 31, v0
	s_delay_alu instid0(VALU_DEP_1)
	v_add_nc_u64_e32 v[0:1], s[6:7], v[0:1]
	s_cbranch_scc1 .LBB14_457
; %bb.451:
	s_cmp_gt_i32 s0, 25
	s_cbranch_scc0 .LBB14_458
; %bb.452:
	s_cmp_gt_i32 s0, 28
	s_cbranch_scc0 .LBB14_459
	;; [unrolled: 3-line block ×4, first 2 shown]
; %bb.455:
	s_cmp_eq_u32 s0, 46
	s_mov_b32 s28, 0
	s_cbranch_scc0 .LBB14_462
; %bb.456:
	s_wait_loadcnt 0x0
	global_load_b32 v2, v[0:1], off
	s_mov_b32 s27, -1
	s_mov_b32 s26, 0
	s_wait_loadcnt 0x0
	v_lshlrev_b32_e32 v2, 16, v2
	s_delay_alu instid0(VALU_DEP_1) | instskip(NEXT) | instid1(VALU_DEP_1)
	v_trunc_f32_e32 v2, v2
	v_mul_f32_e64 v3, 0x2f800000, |v2|
	s_delay_alu instid0(VALU_DEP_1) | instskip(NEXT) | instid1(VALU_DEP_1)
	v_floor_f32_e32 v3, v3
	v_fma_f32 v4, 0xcf800000, v3, |v2|
	v_ashrrev_i32_e32 v2, 31, v2
	v_cvt_u32_f32_e32 v5, v3
	s_delay_alu instid0(VALU_DEP_3) | instskip(NEXT) | instid1(VALU_DEP_2)
	v_cvt_u32_f32_e32 v4, v4
	v_dual_mov_b32 v3, v2 :: v_dual_bitop2_b32 v5, v5, v2 bitop3:0x14
	s_delay_alu instid0(VALU_DEP_2) | instskip(NEXT) | instid1(VALU_DEP_1)
	v_xor_b32_e32 v4, v4, v2
	v_sub_nc_u64_e32 v[2:3], v[4:5], v[2:3]
	s_branch .LBB14_464
.LBB14_457:
	s_mov_b32 s28, -1
	s_mov_b32 s27, 0
	s_mov_b32 s26, s21
                                        ; implicit-def: $vgpr2_vgpr3
	s_branch .LBB14_525
.LBB14_458:
	s_mov_b32 s28, -1
	s_mov_b32 s27, 0
	s_mov_b32 s26, s21
                                        ; implicit-def: $vgpr2_vgpr3
	s_branch .LBB14_491
.LBB14_459:
	s_mov_b32 s28, -1
	s_mov_b32 s27, 0
	s_mov_b32 s26, s21
                                        ; implicit-def: $vgpr2_vgpr3
	s_branch .LBB14_474
.LBB14_460:
	s_mov_b32 s28, -1
	s_mov_b32 s27, 0
	s_mov_b32 s26, s21
                                        ; implicit-def: $vgpr2_vgpr3
	s_branch .LBB14_469
.LBB14_461:
	s_mov_b32 s28, -1
	s_mov_b32 s27, 0
	s_mov_b32 s26, s21
	s_branch .LBB14_463
.LBB14_462:
	s_mov_b32 s26, -1
	s_mov_b32 s27, 0
.LBB14_463:
                                        ; implicit-def: $vgpr2_vgpr3
.LBB14_464:
	s_and_b32 vcc_lo, exec_lo, s28
	s_cbranch_vccz .LBB14_468
; %bb.465:
	s_cmp_eq_u32 s0, 44
	s_cbranch_scc0 .LBB14_467
; %bb.466:
	global_load_u8 v7, v[0:1], off
	s_mov_b32 s26, 0
	s_mov_b32 s27, -1
	s_wait_loadcnt 0x0
	v_lshlrev_b32_e32 v2, 23, v7
	v_cmp_ne_u32_e32 vcc_lo, 0, v7
	s_delay_alu instid0(VALU_DEP_2) | instskip(NEXT) | instid1(VALU_DEP_1)
	v_trunc_f32_e32 v2, v2
	v_mul_f32_e64 v3, 0x2f800000, |v2|
	s_delay_alu instid0(VALU_DEP_1) | instskip(NEXT) | instid1(VALU_DEP_1)
	v_floor_f32_e32 v3, v3
	v_fma_f32 v4, 0xcf800000, v3, |v2|
	v_ashrrev_i32_e32 v2, 31, v2
	v_cvt_u32_f32_e32 v5, v3
	s_delay_alu instid0(VALU_DEP_3) | instskip(NEXT) | instid1(VALU_DEP_2)
	v_cvt_u32_f32_e32 v4, v4
	v_dual_mov_b32 v3, v2 :: v_dual_bitop2_b32 v5, v5, v2 bitop3:0x14
	s_delay_alu instid0(VALU_DEP_2) | instskip(NEXT) | instid1(VALU_DEP_1)
	v_xor_b32_e32 v4, v4, v2
	v_sub_nc_u64_e32 v[2:3], v[4:5], v[2:3]
	s_delay_alu instid0(VALU_DEP_1)
	v_dual_cndmask_b32 v3, 0, v3 :: v_dual_cndmask_b32 v2, 0, v2
	s_branch .LBB14_468
.LBB14_467:
	s_mov_b32 s26, -1
                                        ; implicit-def: $vgpr2_vgpr3
.LBB14_468:
	s_mov_b32 s28, 0
.LBB14_469:
	s_delay_alu instid0(SALU_CYCLE_1)
	s_and_b32 vcc_lo, exec_lo, s28
	s_cbranch_vccz .LBB14_473
; %bb.470:
	s_cmp_eq_u32 s0, 29
	s_cbranch_scc0 .LBB14_472
; %bb.471:
	s_wait_loadcnt 0x0
	global_load_b64 v[2:3], v[0:1], off
	s_mov_b32 s27, -1
	s_mov_b32 s26, 0
	s_branch .LBB14_473
.LBB14_472:
	s_mov_b32 s26, -1
                                        ; implicit-def: $vgpr2_vgpr3
.LBB14_473:
	s_mov_b32 s28, 0
.LBB14_474:
	s_delay_alu instid0(SALU_CYCLE_1)
	s_and_b32 vcc_lo, exec_lo, s28
	s_cbranch_vccz .LBB14_490
; %bb.475:
	s_cmp_lt_i32 s0, 27
	s_cbranch_scc1 .LBB14_478
; %bb.476:
	s_cmp_gt_i32 s0, 27
	s_cbranch_scc0 .LBB14_479
; %bb.477:
	s_wait_loadcnt 0x0
	global_load_b32 v2, v[0:1], off
	v_mov_b32_e32 v3, 0
	s_mov_b32 s27, 0
	s_branch .LBB14_480
.LBB14_478:
	s_mov_b32 s27, -1
                                        ; implicit-def: $vgpr2_vgpr3
	s_branch .LBB14_483
.LBB14_479:
	s_mov_b32 s27, -1
                                        ; implicit-def: $vgpr2_vgpr3
.LBB14_480:
	s_delay_alu instid0(SALU_CYCLE_1)
	s_and_not1_b32 vcc_lo, exec_lo, s27
	s_cbranch_vccnz .LBB14_482
; %bb.481:
	s_wait_loadcnt 0x0
	global_load_u16 v2, v[0:1], off
	s_mov_b32 s27, 0
	s_delay_alu instid0(SALU_CYCLE_1)
	v_mov_b32_e32 v3, s27
	s_wait_loadcnt 0x0
	v_and_b32_e32 v2, 0xffff, v2
.LBB14_482:
	s_mov_b32 s27, 0
.LBB14_483:
	s_delay_alu instid0(SALU_CYCLE_1)
	s_and_not1_b32 vcc_lo, exec_lo, s27
	s_cbranch_vccnz .LBB14_489
; %bb.484:
	global_load_u8 v4, v[0:1], off
	s_mov_b32 s28, 0
	s_mov_b32 s27, exec_lo
	s_wait_loadcnt 0x0
	v_cmpx_lt_i16_e32 0x7f, v4
	s_xor_b32 s27, exec_lo, s27
	s_cbranch_execz .LBB14_501
; %bb.485:
	v_cmp_ne_u16_e32 vcc_lo, 0x80, v4
	s_and_b32 s28, vcc_lo, exec_lo
	s_and_not1_saveexec_b32 s27, s27
	s_cbranch_execnz .LBB14_502
.LBB14_486:
	s_or_b32 exec_lo, exec_lo, s27
	v_mov_b64_e32 v[2:3], 0
	s_and_saveexec_b32 s27, s28
	s_cbranch_execz .LBB14_488
.LBB14_487:
	v_and_b32_e32 v2, 0xffff, v4
	s_delay_alu instid0(VALU_DEP_1) | instskip(SKIP_1) | instid1(VALU_DEP_2)
	v_and_b32_e32 v3, 7, v2
	v_bfe_u32 v8, v2, 3, 4
	v_clz_i32_u32_e32 v5, v3
	s_delay_alu instid0(VALU_DEP_2) | instskip(NEXT) | instid1(VALU_DEP_2)
	v_cmp_eq_u32_e32 vcc_lo, 0, v8
	v_min_u32_e32 v5, 32, v5
	s_delay_alu instid0(VALU_DEP_1) | instskip(NEXT) | instid1(VALU_DEP_1)
	v_subrev_nc_u32_e32 v7, 28, v5
	v_dual_lshlrev_b32 v2, v7, v2 :: v_dual_sub_nc_u32 v5, 29, v5
	s_delay_alu instid0(VALU_DEP_1) | instskip(NEXT) | instid1(VALU_DEP_1)
	v_dual_lshlrev_b32 v4, 24, v4 :: v_dual_bitop2_b32 v2, 7, v2 bitop3:0x40
	v_dual_cndmask_b32 v5, v8, v5 :: v_dual_cndmask_b32 v2, v3, v2
	s_delay_alu instid0(VALU_DEP_2) | instskip(NEXT) | instid1(VALU_DEP_2)
	v_and_b32_e32 v3, 0x80000000, v4
	v_lshl_add_u32 v4, v5, 23, 0x3b800000
	s_delay_alu instid0(VALU_DEP_3) | instskip(NEXT) | instid1(VALU_DEP_1)
	v_lshlrev_b32_e32 v2, 20, v2
	v_or3_b32 v2, v3, v4, v2
	s_delay_alu instid0(VALU_DEP_1) | instskip(NEXT) | instid1(VALU_DEP_1)
	v_trunc_f32_e32 v2, v2
	v_mul_f32_e64 v3, 0x2f800000, |v2|
	s_delay_alu instid0(VALU_DEP_1) | instskip(NEXT) | instid1(VALU_DEP_1)
	v_floor_f32_e32 v3, v3
	v_fma_f32 v4, 0xcf800000, v3, |v2|
	v_ashrrev_i32_e32 v2, 31, v2
	v_cvt_u32_f32_e32 v5, v3
	s_delay_alu instid0(VALU_DEP_3) | instskip(NEXT) | instid1(VALU_DEP_2)
	v_cvt_u32_f32_e32 v4, v4
	v_dual_mov_b32 v3, v2 :: v_dual_bitop2_b32 v5, v5, v2 bitop3:0x14
	s_delay_alu instid0(VALU_DEP_2) | instskip(NEXT) | instid1(VALU_DEP_1)
	v_xor_b32_e32 v4, v4, v2
	v_sub_nc_u64_e32 v[2:3], v[4:5], v[2:3]
.LBB14_488:
	s_or_b32 exec_lo, exec_lo, s27
.LBB14_489:
	s_mov_b32 s27, -1
.LBB14_490:
	s_mov_b32 s28, 0
.LBB14_491:
	s_delay_alu instid0(SALU_CYCLE_1)
	s_and_b32 vcc_lo, exec_lo, s28
	s_cbranch_vccz .LBB14_524
; %bb.492:
	s_cmp_gt_i32 s0, 22
	s_cbranch_scc0 .LBB14_500
; %bb.493:
	s_cmp_lt_i32 s0, 24
	s_cbranch_scc1 .LBB14_503
; %bb.494:
	s_cmp_gt_i32 s0, 24
	s_cbranch_scc0 .LBB14_504
; %bb.495:
	global_load_u8 v4, v[0:1], off
	s_mov_b32 s28, 0
	s_mov_b32 s27, exec_lo
	s_wait_loadcnt 0x0
	v_cmpx_lt_i16_e32 0x7f, v4
	s_xor_b32 s27, exec_lo, s27
	s_cbranch_execz .LBB14_516
; %bb.496:
	v_cmp_ne_u16_e32 vcc_lo, 0x80, v4
	s_and_b32 s28, vcc_lo, exec_lo
	s_and_not1_saveexec_b32 s27, s27
	s_cbranch_execnz .LBB14_517
.LBB14_497:
	s_or_b32 exec_lo, exec_lo, s27
	v_mov_b64_e32 v[2:3], 0
	s_and_saveexec_b32 s27, s28
	s_cbranch_execz .LBB14_499
.LBB14_498:
	v_and_b32_e32 v2, 0xffff, v4
	s_delay_alu instid0(VALU_DEP_1) | instskip(SKIP_1) | instid1(VALU_DEP_2)
	v_and_b32_e32 v3, 3, v2
	v_bfe_u32 v8, v2, 2, 5
	v_clz_i32_u32_e32 v5, v3
	s_delay_alu instid0(VALU_DEP_2) | instskip(NEXT) | instid1(VALU_DEP_2)
	v_cmp_eq_u32_e32 vcc_lo, 0, v8
	v_min_u32_e32 v5, 32, v5
	s_delay_alu instid0(VALU_DEP_1) | instskip(NEXT) | instid1(VALU_DEP_1)
	v_subrev_nc_u32_e32 v7, 29, v5
	v_dual_lshlrev_b32 v2, v7, v2 :: v_dual_sub_nc_u32 v5, 30, v5
	s_delay_alu instid0(VALU_DEP_1) | instskip(NEXT) | instid1(VALU_DEP_1)
	v_dual_lshlrev_b32 v4, 24, v4 :: v_dual_bitop2_b32 v2, 3, v2 bitop3:0x40
	v_dual_cndmask_b32 v5, v8, v5 :: v_dual_cndmask_b32 v2, v3, v2
	s_delay_alu instid0(VALU_DEP_2) | instskip(NEXT) | instid1(VALU_DEP_2)
	v_and_b32_e32 v3, 0x80000000, v4
	v_lshl_add_u32 v4, v5, 23, 0x37800000
	s_delay_alu instid0(VALU_DEP_3) | instskip(NEXT) | instid1(VALU_DEP_1)
	v_lshlrev_b32_e32 v2, 21, v2
	v_or3_b32 v2, v3, v4, v2
	s_delay_alu instid0(VALU_DEP_1) | instskip(NEXT) | instid1(VALU_DEP_1)
	v_trunc_f32_e32 v2, v2
	v_mul_f32_e64 v3, 0x2f800000, |v2|
	s_delay_alu instid0(VALU_DEP_1) | instskip(NEXT) | instid1(VALU_DEP_1)
	v_floor_f32_e32 v3, v3
	v_fma_f32 v4, 0xcf800000, v3, |v2|
	v_ashrrev_i32_e32 v2, 31, v2
	v_cvt_u32_f32_e32 v5, v3
	s_delay_alu instid0(VALU_DEP_3) | instskip(NEXT) | instid1(VALU_DEP_2)
	v_cvt_u32_f32_e32 v4, v4
	v_dual_mov_b32 v3, v2 :: v_dual_bitop2_b32 v5, v5, v2 bitop3:0x14
	s_delay_alu instid0(VALU_DEP_2) | instskip(NEXT) | instid1(VALU_DEP_1)
	v_xor_b32_e32 v4, v4, v2
	v_sub_nc_u64_e32 v[2:3], v[4:5], v[2:3]
.LBB14_499:
	s_or_b32 exec_lo, exec_lo, s27
	s_mov_b32 s27, 0
	s_branch .LBB14_505
.LBB14_500:
	s_mov_b32 s28, -1
                                        ; implicit-def: $vgpr2_vgpr3
	s_branch .LBB14_511
.LBB14_501:
	s_and_not1_saveexec_b32 s27, s27
	s_cbranch_execz .LBB14_486
.LBB14_502:
	v_cmp_ne_u16_e32 vcc_lo, 0, v4
	s_and_not1_b32 s28, s28, exec_lo
	s_and_b32 s29, vcc_lo, exec_lo
	s_delay_alu instid0(SALU_CYCLE_1)
	s_or_b32 s28, s28, s29
	s_or_b32 exec_lo, exec_lo, s27
	v_mov_b64_e32 v[2:3], 0
	s_and_saveexec_b32 s27, s28
	s_cbranch_execnz .LBB14_487
	s_branch .LBB14_488
.LBB14_503:
	s_mov_b32 s27, -1
                                        ; implicit-def: $vgpr2_vgpr3
	s_branch .LBB14_508
.LBB14_504:
	s_mov_b32 s27, -1
                                        ; implicit-def: $vgpr2_vgpr3
.LBB14_505:
	s_delay_alu instid0(SALU_CYCLE_1)
	s_and_b32 vcc_lo, exec_lo, s27
	s_cbranch_vccz .LBB14_507
; %bb.506:
	s_wait_loadcnt 0x0
	global_load_u8 v2, v[0:1], off
	s_wait_loadcnt 0x0
	v_lshlrev_b32_e32 v2, 24, v2
	s_delay_alu instid0(VALU_DEP_1) | instskip(NEXT) | instid1(VALU_DEP_1)
	v_and_b32_e32 v3, 0x7f000000, v2
	v_clz_i32_u32_e32 v4, v3
	v_add_nc_u32_e32 v7, 0x1000000, v3
	v_cmp_ne_u32_e32 vcc_lo, 0, v3
	s_delay_alu instid0(VALU_DEP_3) | instskip(NEXT) | instid1(VALU_DEP_1)
	v_min_u32_e32 v4, 32, v4
	v_sub_nc_u32_e64 v4, v4, 4 clamp
	s_delay_alu instid0(VALU_DEP_1) | instskip(NEXT) | instid1(VALU_DEP_1)
	v_dual_lshlrev_b32 v5, v4, v3 :: v_dual_lshlrev_b32 v4, 23, v4
	v_lshrrev_b32_e32 v5, 4, v5
	s_delay_alu instid0(VALU_DEP_1) | instskip(NEXT) | instid1(VALU_DEP_1)
	v_dual_sub_nc_u32 v4, v5, v4 :: v_dual_ashrrev_i32 v5, 8, v7
	v_add_nc_u32_e32 v4, 0x3c000000, v4
	s_delay_alu instid0(VALU_DEP_1) | instskip(NEXT) | instid1(VALU_DEP_1)
	v_and_or_b32 v4, 0x7f800000, v5, v4
	v_cndmask_b32_e32 v3, 0, v4, vcc_lo
	s_delay_alu instid0(VALU_DEP_1) | instskip(NEXT) | instid1(VALU_DEP_1)
	v_and_or_b32 v2, 0x80000000, v2, v3
	v_trunc_f32_e32 v2, v2
	s_delay_alu instid0(VALU_DEP_1) | instskip(NEXT) | instid1(VALU_DEP_1)
	v_mul_f32_e64 v3, 0x2f800000, |v2|
	v_floor_f32_e32 v3, v3
	s_delay_alu instid0(VALU_DEP_1) | instskip(SKIP_2) | instid1(VALU_DEP_3)
	v_fma_f32 v4, 0xcf800000, v3, |v2|
	v_ashrrev_i32_e32 v2, 31, v2
	v_cvt_u32_f32_e32 v5, v3
	v_cvt_u32_f32_e32 v4, v4
	s_delay_alu instid0(VALU_DEP_2) | instskip(NEXT) | instid1(VALU_DEP_2)
	v_dual_mov_b32 v3, v2 :: v_dual_bitop2_b32 v5, v5, v2 bitop3:0x14
	v_xor_b32_e32 v4, v4, v2
	s_delay_alu instid0(VALU_DEP_1)
	v_sub_nc_u64_e32 v[2:3], v[4:5], v[2:3]
.LBB14_507:
	s_mov_b32 s27, 0
.LBB14_508:
	s_delay_alu instid0(SALU_CYCLE_1)
	s_and_not1_b32 vcc_lo, exec_lo, s27
	s_cbranch_vccnz .LBB14_510
; %bb.509:
	s_wait_loadcnt 0x0
	global_load_u8 v2, v[0:1], off
	s_wait_loadcnt 0x0
	v_lshlrev_b32_e32 v3, 25, v2
	v_lshlrev_b16 v2, 8, v2
	s_delay_alu instid0(VALU_DEP_1) | instskip(SKIP_1) | instid1(VALU_DEP_2)
	v_and_or_b32 v5, 0x7f00, v2, 0.5
	v_bfe_i32 v2, v2, 0, 16
	v_dual_add_f32 v5, -0.5, v5 :: v_dual_lshrrev_b32 v4, 4, v3
	v_cmp_gt_u32_e32 vcc_lo, 0x8000000, v3
	s_delay_alu instid0(VALU_DEP_2) | instskip(NEXT) | instid1(VALU_DEP_1)
	v_or_b32_e32 v4, 0x70000000, v4
	v_mul_f32_e32 v4, 0x7800000, v4
	s_delay_alu instid0(VALU_DEP_1) | instskip(NEXT) | instid1(VALU_DEP_1)
	v_cndmask_b32_e32 v3, v4, v5, vcc_lo
	v_and_or_b32 v2, 0x80000000, v2, v3
	s_delay_alu instid0(VALU_DEP_1) | instskip(NEXT) | instid1(VALU_DEP_1)
	v_trunc_f32_e32 v2, v2
	v_mul_f32_e64 v3, 0x2f800000, |v2|
	s_delay_alu instid0(VALU_DEP_1) | instskip(NEXT) | instid1(VALU_DEP_1)
	v_floor_f32_e32 v3, v3
	v_fma_f32 v4, 0xcf800000, v3, |v2|
	v_ashrrev_i32_e32 v2, 31, v2
	v_cvt_u32_f32_e32 v5, v3
	s_delay_alu instid0(VALU_DEP_3) | instskip(NEXT) | instid1(VALU_DEP_2)
	v_cvt_u32_f32_e32 v4, v4
	v_dual_mov_b32 v3, v2 :: v_dual_bitop2_b32 v5, v5, v2 bitop3:0x14
	s_delay_alu instid0(VALU_DEP_2) | instskip(NEXT) | instid1(VALU_DEP_1)
	v_xor_b32_e32 v4, v4, v2
	v_sub_nc_u64_e32 v[2:3], v[4:5], v[2:3]
.LBB14_510:
	s_mov_b32 s28, 0
	s_mov_b32 s27, -1
.LBB14_511:
	s_and_not1_b32 vcc_lo, exec_lo, s28
	s_cbranch_vccnz .LBB14_524
; %bb.512:
	s_cmp_gt_i32 s0, 14
	s_cbranch_scc0 .LBB14_515
; %bb.513:
	s_cmp_eq_u32 s0, 15
	s_cbranch_scc0 .LBB14_518
; %bb.514:
	s_wait_loadcnt 0x0
	global_load_u16 v2, v[0:1], off
	s_mov_b32 s27, -1
	s_mov_b32 s26, 0
	s_wait_loadcnt 0x0
	v_lshlrev_b32_e32 v2, 16, v2
	s_delay_alu instid0(VALU_DEP_1) | instskip(NEXT) | instid1(VALU_DEP_1)
	v_trunc_f32_e32 v2, v2
	v_mul_f32_e64 v3, 0x2f800000, |v2|
	s_delay_alu instid0(VALU_DEP_1) | instskip(NEXT) | instid1(VALU_DEP_1)
	v_floor_f32_e32 v3, v3
	v_fma_f32 v4, 0xcf800000, v3, |v2|
	v_ashrrev_i32_e32 v2, 31, v2
	v_cvt_u32_f32_e32 v5, v3
	s_delay_alu instid0(VALU_DEP_3) | instskip(NEXT) | instid1(VALU_DEP_2)
	v_cvt_u32_f32_e32 v4, v4
	v_dual_mov_b32 v3, v2 :: v_dual_bitop2_b32 v5, v5, v2 bitop3:0x14
	s_delay_alu instid0(VALU_DEP_2) | instskip(NEXT) | instid1(VALU_DEP_1)
	v_xor_b32_e32 v4, v4, v2
	v_sub_nc_u64_e32 v[2:3], v[4:5], v[2:3]
	s_branch .LBB14_519
.LBB14_515:
	s_mov_b32 s28, -1
                                        ; implicit-def: $vgpr2_vgpr3
	s_branch .LBB14_520
.LBB14_516:
	s_and_not1_saveexec_b32 s27, s27
	s_cbranch_execz .LBB14_497
.LBB14_517:
	v_cmp_ne_u16_e32 vcc_lo, 0, v4
	s_and_not1_b32 s28, s28, exec_lo
	s_and_b32 s29, vcc_lo, exec_lo
	s_delay_alu instid0(SALU_CYCLE_1)
	s_or_b32 s28, s28, s29
	s_or_b32 exec_lo, exec_lo, s27
	v_mov_b64_e32 v[2:3], 0
	s_and_saveexec_b32 s27, s28
	s_cbranch_execnz .LBB14_498
	s_branch .LBB14_499
.LBB14_518:
	s_mov_b32 s26, -1
                                        ; implicit-def: $vgpr2_vgpr3
.LBB14_519:
	s_mov_b32 s28, 0
.LBB14_520:
	s_delay_alu instid0(SALU_CYCLE_1)
	s_and_b32 vcc_lo, exec_lo, s28
	s_cbranch_vccz .LBB14_524
; %bb.521:
	s_cmp_eq_u32 s0, 11
	s_cbranch_scc0 .LBB14_523
; %bb.522:
	s_wait_loadcnt 0x0
	global_load_u8 v2, v[0:1], off
	s_mov_b32 s26, 0
	s_mov_b32 s27, -1
	v_mov_b32_e32 v3, s26
	s_wait_loadcnt 0x0
	v_cmp_ne_u16_e32 vcc_lo, 0, v2
	v_cndmask_b32_e64 v2, 0, 1, vcc_lo
	s_branch .LBB14_524
.LBB14_523:
	s_mov_b32 s26, -1
                                        ; implicit-def: $vgpr2_vgpr3
.LBB14_524:
	s_mov_b32 s28, 0
.LBB14_525:
	s_delay_alu instid0(SALU_CYCLE_1)
	s_and_b32 vcc_lo, exec_lo, s28
	s_cbranch_vccz .LBB14_574
; %bb.526:
	s_cmp_lt_i32 s0, 5
	s_cbranch_scc1 .LBB14_531
; %bb.527:
	s_cmp_lt_i32 s0, 8
	s_cbranch_scc1 .LBB14_532
	;; [unrolled: 3-line block ×3, first 2 shown]
; %bb.529:
	s_cmp_gt_i32 s0, 9
	s_cbranch_scc0 .LBB14_534
; %bb.530:
	s_wait_loadcnt 0x0
	global_load_b64 v[2:3], v[0:1], off
	s_mov_b32 s27, 0
	s_wait_loadcnt 0x0
	v_trunc_f64_e32 v[2:3], v[2:3]
	s_delay_alu instid0(VALU_DEP_1) | instskip(NEXT) | instid1(VALU_DEP_1)
	v_ldexp_f64 v[4:5], v[2:3], 0xffffffe0
	v_floor_f64_e32 v[4:5], v[4:5]
	s_delay_alu instid0(VALU_DEP_1) | instskip(SKIP_1) | instid1(VALU_DEP_2)
	v_fmamk_f64 v[8:9], v[4:5], 0xc1f00000, v[2:3]
	v_cvt_i32_f64_e32 v3, v[4:5]
	v_cvt_u32_f64_e32 v2, v[8:9]
	s_branch .LBB14_535
.LBB14_531:
	s_mov_b32 s27, -1
                                        ; implicit-def: $vgpr2_vgpr3
	s_branch .LBB14_553
.LBB14_532:
	s_mov_b32 s27, -1
                                        ; implicit-def: $vgpr2_vgpr3
	s_branch .LBB14_541
.LBB14_533:
	s_mov_b32 s27, -1
                                        ; implicit-def: $vgpr2_vgpr3
	s_branch .LBB14_538
.LBB14_534:
	s_mov_b32 s27, -1
                                        ; implicit-def: $vgpr2_vgpr3
.LBB14_535:
	s_delay_alu instid0(SALU_CYCLE_1)
	s_and_not1_b32 vcc_lo, exec_lo, s27
	s_cbranch_vccnz .LBB14_537
; %bb.536:
	s_wait_loadcnt 0x0
	global_load_b32 v2, v[0:1], off
	s_wait_loadcnt 0x0
	v_trunc_f32_e32 v2, v2
	s_delay_alu instid0(VALU_DEP_1) | instskip(NEXT) | instid1(VALU_DEP_1)
	v_mul_f32_e64 v3, 0x2f800000, |v2|
	v_floor_f32_e32 v3, v3
	s_delay_alu instid0(VALU_DEP_1) | instskip(SKIP_2) | instid1(VALU_DEP_3)
	v_fma_f32 v4, 0xcf800000, v3, |v2|
	v_ashrrev_i32_e32 v2, 31, v2
	v_cvt_u32_f32_e32 v5, v3
	v_cvt_u32_f32_e32 v4, v4
	s_delay_alu instid0(VALU_DEP_2) | instskip(NEXT) | instid1(VALU_DEP_2)
	v_dual_mov_b32 v3, v2 :: v_dual_bitop2_b32 v5, v5, v2 bitop3:0x14
	v_xor_b32_e32 v4, v4, v2
	s_delay_alu instid0(VALU_DEP_1)
	v_sub_nc_u64_e32 v[2:3], v[4:5], v[2:3]
.LBB14_537:
	s_mov_b32 s27, 0
.LBB14_538:
	s_delay_alu instid0(SALU_CYCLE_1)
	s_and_not1_b32 vcc_lo, exec_lo, s27
	s_cbranch_vccnz .LBB14_540
; %bb.539:
	s_wait_loadcnt 0x0
	global_load_b32 v2, v[0:1], off
	s_wait_loadcnt 0x0
	v_cvt_f32_f16_e32 v2, v2
	s_delay_alu instid0(VALU_DEP_1) | instskip(NEXT) | instid1(VALU_DEP_1)
	v_cvt_i32_f32_e32 v2, v2
	v_ashrrev_i32_e32 v3, 31, v2
.LBB14_540:
	s_mov_b32 s27, 0
.LBB14_541:
	s_delay_alu instid0(SALU_CYCLE_1)
	s_and_not1_b32 vcc_lo, exec_lo, s27
	s_cbranch_vccnz .LBB14_552
; %bb.542:
	s_cmp_lt_i32 s0, 6
	s_cbranch_scc1 .LBB14_545
; %bb.543:
	s_cmp_gt_i32 s0, 6
	s_cbranch_scc0 .LBB14_546
; %bb.544:
	s_wait_loadcnt 0x0
	global_load_b64 v[2:3], v[0:1], off
	s_mov_b32 s27, 0
	s_wait_loadcnt 0x0
	v_trunc_f64_e32 v[2:3], v[2:3]
	s_delay_alu instid0(VALU_DEP_1) | instskip(NEXT) | instid1(VALU_DEP_1)
	v_ldexp_f64 v[4:5], v[2:3], 0xffffffe0
	v_floor_f64_e32 v[4:5], v[4:5]
	s_delay_alu instid0(VALU_DEP_1) | instskip(SKIP_1) | instid1(VALU_DEP_2)
	v_fmamk_f64 v[8:9], v[4:5], 0xc1f00000, v[2:3]
	v_cvt_i32_f64_e32 v3, v[4:5]
	v_cvt_u32_f64_e32 v2, v[8:9]
	s_branch .LBB14_547
.LBB14_545:
	s_mov_b32 s27, -1
                                        ; implicit-def: $vgpr2_vgpr3
	s_branch .LBB14_550
.LBB14_546:
	s_mov_b32 s27, -1
                                        ; implicit-def: $vgpr2_vgpr3
.LBB14_547:
	s_delay_alu instid0(SALU_CYCLE_1)
	s_and_not1_b32 vcc_lo, exec_lo, s27
	s_cbranch_vccnz .LBB14_549
; %bb.548:
	s_wait_loadcnt 0x0
	global_load_b32 v2, v[0:1], off
	s_wait_loadcnt 0x0
	v_trunc_f32_e32 v2, v2
	s_delay_alu instid0(VALU_DEP_1) | instskip(NEXT) | instid1(VALU_DEP_1)
	v_mul_f32_e64 v3, 0x2f800000, |v2|
	v_floor_f32_e32 v3, v3
	s_delay_alu instid0(VALU_DEP_1) | instskip(SKIP_2) | instid1(VALU_DEP_3)
	v_fma_f32 v4, 0xcf800000, v3, |v2|
	v_ashrrev_i32_e32 v2, 31, v2
	v_cvt_u32_f32_e32 v5, v3
	v_cvt_u32_f32_e32 v4, v4
	s_delay_alu instid0(VALU_DEP_2) | instskip(NEXT) | instid1(VALU_DEP_2)
	v_dual_mov_b32 v3, v2 :: v_dual_bitop2_b32 v5, v5, v2 bitop3:0x14
	v_xor_b32_e32 v4, v4, v2
	s_delay_alu instid0(VALU_DEP_1)
	v_sub_nc_u64_e32 v[2:3], v[4:5], v[2:3]
.LBB14_549:
	s_mov_b32 s27, 0
.LBB14_550:
	s_delay_alu instid0(SALU_CYCLE_1)
	s_and_not1_b32 vcc_lo, exec_lo, s27
	s_cbranch_vccnz .LBB14_552
; %bb.551:
	s_wait_loadcnt 0x0
	global_load_u16 v2, v[0:1], off
	s_wait_loadcnt 0x0
	v_cvt_f32_f16_e32 v2, v2
	s_delay_alu instid0(VALU_DEP_1) | instskip(NEXT) | instid1(VALU_DEP_1)
	v_cvt_i32_f32_e32 v2, v2
	v_ashrrev_i32_e32 v3, 31, v2
.LBB14_552:
	s_mov_b32 s27, 0
.LBB14_553:
	s_delay_alu instid0(SALU_CYCLE_1)
	s_and_not1_b32 vcc_lo, exec_lo, s27
	s_cbranch_vccnz .LBB14_573
; %bb.554:
	s_cmp_lt_i32 s0, 2
	s_cbranch_scc1 .LBB14_558
; %bb.555:
	s_cmp_lt_i32 s0, 3
	s_cbranch_scc1 .LBB14_559
; %bb.556:
	s_cmp_gt_i32 s0, 3
	s_cbranch_scc0 .LBB14_560
; %bb.557:
	s_wait_loadcnt 0x0
	global_load_b64 v[2:3], v[0:1], off
	s_mov_b32 s27, 0
	s_branch .LBB14_561
.LBB14_558:
	s_mov_b32 s27, -1
                                        ; implicit-def: $vgpr2_vgpr3
	s_branch .LBB14_567
.LBB14_559:
	s_mov_b32 s27, -1
                                        ; implicit-def: $vgpr2_vgpr3
	s_branch .LBB14_564
.LBB14_560:
	s_mov_b32 s27, -1
                                        ; implicit-def: $vgpr2_vgpr3
.LBB14_561:
	s_delay_alu instid0(SALU_CYCLE_1)
	s_and_not1_b32 vcc_lo, exec_lo, s27
	s_cbranch_vccnz .LBB14_563
; %bb.562:
	s_wait_loadcnt 0x0
	global_load_b32 v2, v[0:1], off
	s_wait_loadcnt 0x0
	v_ashrrev_i32_e32 v3, 31, v2
.LBB14_563:
	s_mov_b32 s27, 0
.LBB14_564:
	s_delay_alu instid0(SALU_CYCLE_1)
	s_and_not1_b32 vcc_lo, exec_lo, s27
	s_cbranch_vccnz .LBB14_566
; %bb.565:
	s_wait_loadcnt 0x0
	global_load_u16 v2, v[0:1], off
	s_wait_loadcnt 0x0
	v_bfe_i32 v2, v2, 0, 16
	s_delay_alu instid0(VALU_DEP_1)
	v_ashrrev_i32_e32 v3, 31, v2
.LBB14_566:
	s_mov_b32 s27, 0
.LBB14_567:
	s_delay_alu instid0(SALU_CYCLE_1)
	s_and_not1_b32 vcc_lo, exec_lo, s27
	s_cbranch_vccnz .LBB14_573
; %bb.568:
	s_cmp_gt_i32 s0, 0
	s_mov_b32 s0, 0
	s_cbranch_scc0 .LBB14_570
; %bb.569:
	s_wait_loadcnt 0x0
	global_load_i8 v2, v[0:1], off
	s_wait_loadcnt 0x0
	v_bfe_i32 v2, v2, 0, 16
	s_delay_alu instid0(VALU_DEP_1)
	v_ashrrev_i32_e32 v3, 31, v2
	s_branch .LBB14_571
.LBB14_570:
	s_mov_b32 s0, -1
                                        ; implicit-def: $vgpr2_vgpr3
.LBB14_571:
	s_delay_alu instid0(SALU_CYCLE_1)
	s_and_not1_b32 vcc_lo, exec_lo, s0
	s_cbranch_vccnz .LBB14_573
; %bb.572:
	global_load_u8 v0, v[0:1], off
	s_mov_b32 s0, 0
	s_wait_loadcnt 0x1
	v_mov_b32_e32 v3, s0
	s_wait_loadcnt 0x0
	v_and_b32_e32 v2, 0xffff, v0
.LBB14_573:
	s_mov_b32 s27, -1
.LBB14_574:
	s_delay_alu instid0(SALU_CYCLE_1)
	s_and_not1_b32 vcc_lo, exec_lo, s27
	s_cbranch_vccnz .LBB14_583
; %bb.575:
	s_wait_loadcnt 0x0
	s_delay_alu instid0(VALU_DEP_1)
	v_cmp_le_i64_e32 vcc_lo, s[8:9], v[2:3]
	v_cmp_gt_i64_e64 s0, s[10:11], v[2:3]
	s_mov_b32 s28, 0
	s_mov_b32 s29, -1
	s_mov_b32 s27, s22
	s_and_b32 s0, vcc_lo, s0
	s_delay_alu instid0(SALU_CYCLE_1)
	s_and_b32 s30, s15, s0
	s_wait_xcnt 0x0
	s_and_saveexec_b32 s0, s30
	s_cbranch_execz .LBB14_671
; %bb.576:
	v_mul_lo_u32 v0, v6, s2
	s_and_b32 s28, s12, 0xff
	s_delay_alu instid0(SALU_CYCLE_1) | instskip(NEXT) | instid1(VALU_DEP_1)
	s_cmp_lt_i32 s28, 11
	v_ashrrev_i32_e32 v1, 31, v0
	s_delay_alu instid0(VALU_DEP_1)
	v_add_nc_u64_e32 v[0:1], s[4:5], v[0:1]
	s_cbranch_scc1 .LBB14_584
; %bb.577:
	s_and_b32 s29, 0xffff, s28
	s_delay_alu instid0(SALU_CYCLE_1)
	s_cmp_gt_i32 s29, 25
	s_cbranch_scc0 .LBB14_585
; %bb.578:
	s_cmp_gt_i32 s29, 28
	s_cbranch_scc0 .LBB14_586
; %bb.579:
	;; [unrolled: 3-line block ×4, first 2 shown]
	s_mov_b32 s31, 0
	s_mov_b32 s27, -1
	s_cmp_eq_u32 s29, 46
	s_mov_b32 s30, 0
	s_cbranch_scc0 .LBB14_589
; %bb.582:
	v_mov_b32_e32 v2, 0
	s_mov_b32 s30, -1
	s_mov_b32 s27, 0
	global_store_b32 v[0:1], v2, off
	s_branch .LBB14_589
.LBB14_583:
	s_mov_b32 s28, 0
	s_mov_b32 s27, s22
	;; [unrolled: 1-line block ×3, first 2 shown]
                                        ; implicit-def: $vgpr6
	s_branch .LBB14_672
.LBB14_584:
	s_mov_b32 s30, 0
	s_mov_b32 s27, s22
	s_branch .LBB14_628
.LBB14_585:
	s_mov_b32 s30, 0
	s_mov_b32 s27, s22
	s_branch .LBB14_608
.LBB14_586:
	s_mov_b32 s30, 0
	s_mov_b32 s27, s22
	s_branch .LBB14_597
.LBB14_587:
	s_mov_b32 s30, 0
	s_mov_b32 s27, s22
	s_branch .LBB14_593
.LBB14_588:
	s_mov_b32 s30, 0
	s_mov_b32 s27, s22
.LBB14_589:
	s_and_b32 vcc_lo, exec_lo, s31
	s_cbranch_vccz .LBB14_592
; %bb.590:
	s_cmp_eq_u32 s29, 44
	s_mov_b32 s27, -1
	s_cbranch_scc0 .LBB14_592
; %bb.591:
	s_wait_xcnt 0x0
	v_mov_b32_e32 v2, 0
	s_mov_b32 s30, -1
	s_mov_b32 s27, 0
	global_store_b8 v[0:1], v2, off
.LBB14_592:
	s_mov_b32 s31, 0
.LBB14_593:
	s_delay_alu instid0(SALU_CYCLE_1)
	s_and_b32 vcc_lo, exec_lo, s31
	s_cbranch_vccz .LBB14_596
; %bb.594:
	s_cmp_eq_u32 s29, 29
	s_mov_b32 s27, -1
	s_cbranch_scc0 .LBB14_596
; %bb.595:
	s_wait_xcnt 0x0
	v_mov_b64_e32 v[2:3], 0
	s_mov_b32 s30, -1
	s_mov_b32 s27, 0
	s_mov_b32 s31, 0
	global_store_b64 v[0:1], v[2:3], off
	s_branch .LBB14_597
.LBB14_596:
	s_mov_b32 s31, 0
.LBB14_597:
	s_delay_alu instid0(SALU_CYCLE_1)
	s_and_b32 vcc_lo, exec_lo, s31
	s_cbranch_vccz .LBB14_607
; %bb.598:
	s_cmp_lt_i32 s29, 27
	s_mov_b32 s30, -1
	s_cbranch_scc1 .LBB14_604
; %bb.599:
	s_cmp_gt_i32 s29, 27
	s_cbranch_scc0 .LBB14_601
; %bb.600:
	s_wait_xcnt 0x0
	v_mov_b32_e32 v2, 0
	s_mov_b32 s30, 0
	global_store_b32 v[0:1], v2, off
.LBB14_601:
	s_and_not1_b32 vcc_lo, exec_lo, s30
	s_cbranch_vccnz .LBB14_603
; %bb.602:
	s_wait_xcnt 0x0
	v_mov_b32_e32 v2, 0
	global_store_b16 v[0:1], v2, off
.LBB14_603:
	s_mov_b32 s30, 0
.LBB14_604:
	s_delay_alu instid0(SALU_CYCLE_1)
	s_and_not1_b32 vcc_lo, exec_lo, s30
	s_cbranch_vccnz .LBB14_606
; %bb.605:
	s_wait_xcnt 0x0
	v_mov_b32_e32 v2, 0
	global_store_b8 v[0:1], v2, off
.LBB14_606:
	s_mov_b32 s30, -1
.LBB14_607:
	s_mov_b32 s31, 0
.LBB14_608:
	s_delay_alu instid0(SALU_CYCLE_1)
	s_and_b32 vcc_lo, exec_lo, s31
	s_cbranch_vccz .LBB14_627
; %bb.609:
	s_cmp_gt_i32 s29, 22
	s_mov_b32 s31, -1
	s_cbranch_scc0 .LBB14_619
; %bb.610:
	s_cmp_lt_i32 s29, 24
	s_mov_b32 s30, -1
	s_cbranch_scc1 .LBB14_616
; %bb.611:
	s_cmp_gt_i32 s29, 24
	s_cbranch_scc0 .LBB14_613
; %bb.612:
	s_wait_xcnt 0x0
	v_mov_b32_e32 v2, 0
	s_mov_b32 s30, 0
	global_store_b8 v[0:1], v2, off
.LBB14_613:
	s_and_not1_b32 vcc_lo, exec_lo, s30
	s_cbranch_vccnz .LBB14_615
; %bb.614:
	s_wait_xcnt 0x0
	v_mov_b32_e32 v2, 0
	global_store_b8 v[0:1], v2, off
.LBB14_615:
	s_mov_b32 s30, 0
.LBB14_616:
	s_delay_alu instid0(SALU_CYCLE_1)
	s_and_not1_b32 vcc_lo, exec_lo, s30
	s_cbranch_vccnz .LBB14_618
; %bb.617:
	s_wait_xcnt 0x0
	v_mov_b32_e32 v2, 0
	global_store_b8 v[0:1], v2, off
.LBB14_618:
	s_mov_b32 s31, 0
	s_mov_b32 s30, -1
.LBB14_619:
	s_and_not1_b32 vcc_lo, exec_lo, s31
	s_cbranch_vccnz .LBB14_627
; %bb.620:
	s_cmp_gt_i32 s29, 14
	s_mov_b32 s31, -1
	s_cbranch_scc0 .LBB14_624
; %bb.621:
	s_cmp_eq_u32 s29, 15
	s_mov_b32 s27, -1
	s_cbranch_scc0 .LBB14_623
; %bb.622:
	s_wait_xcnt 0x0
	v_mov_b32_e32 v2, 0
	s_mov_b32 s30, -1
	s_mov_b32 s27, 0
	global_store_b16 v[0:1], v2, off
.LBB14_623:
	s_mov_b32 s31, 0
.LBB14_624:
	s_delay_alu instid0(SALU_CYCLE_1)
	s_and_b32 vcc_lo, exec_lo, s31
	s_cbranch_vccz .LBB14_627
; %bb.625:
	s_cmp_eq_u32 s29, 11
	s_mov_b32 s27, -1
	s_cbranch_scc0 .LBB14_627
; %bb.626:
	s_wait_xcnt 0x0
	v_mov_b32_e32 v2, 0
	s_mov_b32 s30, -1
	s_mov_b32 s27, 0
	global_store_b8 v[0:1], v2, off
.LBB14_627:
	s_mov_b32 s29, 0
.LBB14_628:
	s_delay_alu instid0(SALU_CYCLE_1)
	s_and_b32 vcc_lo, exec_lo, s29
	s_cbranch_vccz .LBB14_667
; %bb.629:
	s_and_b32 s28, 0xffff, s28
	s_mov_b32 s29, -1
	s_cmp_lt_i32 s28, 5
	s_cbranch_scc1 .LBB14_650
; %bb.630:
	s_cmp_lt_i32 s28, 8
	s_cbranch_scc1 .LBB14_640
; %bb.631:
	;; [unrolled: 3-line block ×3, first 2 shown]
	s_cmp_gt_i32 s28, 9
	s_cbranch_scc0 .LBB14_634
; %bb.633:
	s_wait_xcnt 0x0
	v_mov_b32_e32 v2, 0
	s_mov_b32 s29, 0
	s_delay_alu instid0(VALU_DEP_1)
	v_dual_mov_b32 v3, v2 :: v_dual_mov_b32 v4, v2
	v_mov_b32_e32 v5, v2
	global_store_b128 v[0:1], v[2:5], off
.LBB14_634:
	s_and_not1_b32 vcc_lo, exec_lo, s29
	s_cbranch_vccnz .LBB14_636
; %bb.635:
	s_wait_xcnt 0x0
	v_mov_b64_e32 v[2:3], 0
	global_store_b64 v[0:1], v[2:3], off
.LBB14_636:
	s_mov_b32 s29, 0
.LBB14_637:
	s_delay_alu instid0(SALU_CYCLE_1)
	s_and_not1_b32 vcc_lo, exec_lo, s29
	s_cbranch_vccnz .LBB14_639
; %bb.638:
	s_wait_xcnt 0x0
	v_mov_b32_e32 v2, 0
	global_store_b32 v[0:1], v2, off
.LBB14_639:
	s_mov_b32 s29, 0
.LBB14_640:
	s_delay_alu instid0(SALU_CYCLE_1)
	s_and_not1_b32 vcc_lo, exec_lo, s29
	s_cbranch_vccnz .LBB14_649
; %bb.641:
	s_cmp_lt_i32 s28, 6
	s_mov_b32 s29, -1
	s_cbranch_scc1 .LBB14_647
; %bb.642:
	s_cmp_gt_i32 s28, 6
	s_cbranch_scc0 .LBB14_644
; %bb.643:
	s_wait_xcnt 0x0
	v_mov_b64_e32 v[2:3], 0
	s_mov_b32 s29, 0
	global_store_b64 v[0:1], v[2:3], off
.LBB14_644:
	s_and_not1_b32 vcc_lo, exec_lo, s29
	s_cbranch_vccnz .LBB14_646
; %bb.645:
	s_wait_xcnt 0x0
	v_mov_b32_e32 v2, 0
	global_store_b32 v[0:1], v2, off
.LBB14_646:
	s_mov_b32 s29, 0
.LBB14_647:
	s_delay_alu instid0(SALU_CYCLE_1)
	s_and_not1_b32 vcc_lo, exec_lo, s29
	s_cbranch_vccnz .LBB14_649
; %bb.648:
	s_wait_xcnt 0x0
	v_mov_b32_e32 v2, 0
	global_store_b16 v[0:1], v2, off
.LBB14_649:
	s_mov_b32 s29, 0
.LBB14_650:
	s_delay_alu instid0(SALU_CYCLE_1)
	s_and_not1_b32 vcc_lo, exec_lo, s29
	s_cbranch_vccnz .LBB14_666
; %bb.651:
	s_cmp_lt_i32 s28, 2
	s_mov_b32 s29, -1
	s_cbranch_scc1 .LBB14_661
; %bb.652:
	s_cmp_lt_i32 s28, 3
	s_cbranch_scc1 .LBB14_658
; %bb.653:
	s_cmp_gt_i32 s28, 3
	s_cbranch_scc0 .LBB14_655
; %bb.654:
	s_wait_xcnt 0x0
	v_mov_b64_e32 v[2:3], 0
	s_mov_b32 s29, 0
	global_store_b64 v[0:1], v[2:3], off
.LBB14_655:
	s_and_not1_b32 vcc_lo, exec_lo, s29
	s_cbranch_vccnz .LBB14_657
; %bb.656:
	s_wait_xcnt 0x0
	v_mov_b32_e32 v2, 0
	global_store_b32 v[0:1], v2, off
.LBB14_657:
	s_mov_b32 s29, 0
.LBB14_658:
	s_delay_alu instid0(SALU_CYCLE_1)
	s_and_not1_b32 vcc_lo, exec_lo, s29
	s_cbranch_vccnz .LBB14_660
; %bb.659:
	s_wait_xcnt 0x0
	v_mov_b32_e32 v2, 0
	global_store_b16 v[0:1], v2, off
.LBB14_660:
	s_mov_b32 s29, 0
.LBB14_661:
	s_delay_alu instid0(SALU_CYCLE_1)
	s_and_not1_b32 vcc_lo, exec_lo, s29
	s_cbranch_vccnz .LBB14_666
; %bb.662:
	s_cmp_gt_i32 s28, 0
	s_mov_b32 s28, -1
	s_cbranch_scc0 .LBB14_664
; %bb.663:
	s_wait_xcnt 0x0
	v_mov_b32_e32 v2, 0
	s_mov_b32 s28, 0
	global_store_b8 v[0:1], v2, off
.LBB14_664:
	s_and_not1_b32 vcc_lo, exec_lo, s28
	s_cbranch_vccnz .LBB14_666
; %bb.665:
	s_wait_xcnt 0x0
	v_mov_b32_e32 v2, 0
	global_store_b8 v[0:1], v2, off
.LBB14_666:
	s_mov_b32 s30, -1
.LBB14_667:
	s_delay_alu instid0(SALU_CYCLE_1)
	s_and_not1_b32 vcc_lo, exec_lo, s30
	s_cbranch_vccnz .LBB14_669
; %bb.668:
	v_add_nc_u32_e32 v6, 0x80, v6
	s_mov_b32 s28, -1
	s_branch .LBB14_670
.LBB14_669:
	s_mov_b32 s28, 0
                                        ; implicit-def: $vgpr6
.LBB14_670:
	s_and_not1_b32 s29, s22, exec_lo
	s_and_b32 s27, s27, exec_lo
	s_and_b32 s28, s28, exec_lo
	s_or_b32 s27, s29, s27
	s_xor_b32 s29, exec_lo, -1
.LBB14_671:
	s_wait_xcnt 0x0
	s_or_b32 exec_lo, exec_lo, s0
.LBB14_672:
	s_delay_alu instid0(SALU_CYCLE_1)
	s_and_not1_b32 s0, s22, exec_lo
	s_and_b32 s27, s27, exec_lo
	s_and_b32 s29, s29, exec_lo
	s_or_b32 s27, s0, s27
	s_and_not1_b32 s0, s23, exec_lo
	s_and_not1_b32 s30, s21, exec_lo
	s_and_b32 s31, s26, exec_lo
	s_or_b32 s26, s0, s29
	s_or_b32 s0, s30, s31
	s_or_not1_b32 s31, s28, exec_lo
.LBB14_673:
	s_wait_xcnt 0x0
	s_or_b32 exec_lo, exec_lo, s25
	s_mov_b32 s28, 0
	s_mov_b32 s29, 0
	;; [unrolled: 1-line block ×3, first 2 shown]
                                        ; implicit-def: $vgpr0_vgpr1
                                        ; implicit-def: $vgpr2_vgpr3
	s_and_saveexec_b32 s25, s31
	s_cbranch_execz .LBB14_750
; %bb.674:
	v_cmp_gt_i32_e32 vcc_lo, s16, v6
	s_mov_b32 s33, s0
	s_mov_b32 s31, 0
	;; [unrolled: 1-line block ×3, first 2 shown]
                                        ; implicit-def: $vgpr0_vgpr1
                                        ; implicit-def: $vgpr2_vgpr3
	s_and_saveexec_b32 s16, vcc_lo
	s_cbranch_execz .LBB14_749
; %bb.675:
	v_mul_lo_u32 v0, v6, s3
	s_and_b32 s28, 0xffff, s13
	s_delay_alu instid0(SALU_CYCLE_1) | instskip(NEXT) | instid1(VALU_DEP_1)
	s_cmp_lt_i32 s28, 11
	v_ashrrev_i32_e32 v1, 31, v0
	s_delay_alu instid0(VALU_DEP_1)
	v_add_nc_u64_e32 v[0:1], s[6:7], v[0:1]
	s_cbranch_scc1 .LBB14_682
; %bb.676:
	s_cmp_gt_i32 s28, 25
	s_cbranch_scc0 .LBB14_683
; %bb.677:
	s_cmp_gt_i32 s28, 28
	s_cbranch_scc0 .LBB14_684
	;; [unrolled: 3-line block ×4, first 2 shown]
; %bb.680:
	s_cmp_eq_u32 s28, 46
	s_mov_b32 s33, 0
	s_cbranch_scc0 .LBB14_687
; %bb.681:
	s_wait_loadcnt 0x0
	global_load_b32 v2, v[0:1], off
	s_mov_b32 s31, -1
	s_wait_loadcnt 0x0
	v_lshlrev_b32_e32 v2, 16, v2
	s_delay_alu instid0(VALU_DEP_1) | instskip(NEXT) | instid1(VALU_DEP_1)
	v_trunc_f32_e32 v2, v2
	v_mul_f32_e64 v3, 0x2f800000, |v2|
	s_delay_alu instid0(VALU_DEP_1) | instskip(NEXT) | instid1(VALU_DEP_1)
	v_floor_f32_e32 v3, v3
	v_fma_f32 v4, 0xcf800000, v3, |v2|
	v_ashrrev_i32_e32 v2, 31, v2
	v_cvt_u32_f32_e32 v5, v3
	s_delay_alu instid0(VALU_DEP_3) | instskip(NEXT) | instid1(VALU_DEP_2)
	v_cvt_u32_f32_e32 v4, v4
	v_dual_mov_b32 v3, v2 :: v_dual_bitop2_b32 v5, v5, v2 bitop3:0x14
	s_delay_alu instid0(VALU_DEP_2) | instskip(NEXT) | instid1(VALU_DEP_1)
	v_xor_b32_e32 v4, v4, v2
	v_sub_nc_u64_e32 v[2:3], v[4:5], v[2:3]
	s_branch .LBB14_689
.LBB14_682:
	s_mov_b32 s28, -1
	s_mov_b32 s29, s0
                                        ; implicit-def: $vgpr2_vgpr3
	s_branch .LBB14_748
.LBB14_683:
	s_mov_b32 s33, -1
	s_mov_b32 s29, s0
                                        ; implicit-def: $vgpr2_vgpr3
	s_branch .LBB14_716
.LBB14_684:
	s_mov_b32 s33, -1
	s_mov_b32 s29, s0
                                        ; implicit-def: $vgpr2_vgpr3
	s_branch .LBB14_699
.LBB14_685:
	s_mov_b32 s33, -1
	s_mov_b32 s29, s0
                                        ; implicit-def: $vgpr2_vgpr3
	s_branch .LBB14_694
.LBB14_686:
	s_mov_b32 s33, -1
	s_mov_b32 s29, s0
	s_branch .LBB14_688
.LBB14_687:
	s_mov_b32 s29, -1
.LBB14_688:
                                        ; implicit-def: $vgpr2_vgpr3
.LBB14_689:
	s_and_b32 vcc_lo, exec_lo, s33
	s_cbranch_vccz .LBB14_693
; %bb.690:
	s_cmp_eq_u32 s28, 44
	s_cbranch_scc0 .LBB14_692
; %bb.691:
	global_load_u8 v7, v[0:1], off
	s_mov_b32 s29, 0
	s_mov_b32 s31, -1
	s_wait_loadcnt 0x0
	v_lshlrev_b32_e32 v2, 23, v7
	v_cmp_ne_u32_e32 vcc_lo, 0, v7
	s_delay_alu instid0(VALU_DEP_2) | instskip(NEXT) | instid1(VALU_DEP_1)
	v_trunc_f32_e32 v2, v2
	v_mul_f32_e64 v3, 0x2f800000, |v2|
	s_delay_alu instid0(VALU_DEP_1) | instskip(NEXT) | instid1(VALU_DEP_1)
	v_floor_f32_e32 v3, v3
	v_fma_f32 v4, 0xcf800000, v3, |v2|
	v_ashrrev_i32_e32 v2, 31, v2
	v_cvt_u32_f32_e32 v5, v3
	s_delay_alu instid0(VALU_DEP_3) | instskip(NEXT) | instid1(VALU_DEP_2)
	v_cvt_u32_f32_e32 v4, v4
	v_dual_mov_b32 v3, v2 :: v_dual_bitop2_b32 v5, v5, v2 bitop3:0x14
	s_delay_alu instid0(VALU_DEP_2) | instskip(NEXT) | instid1(VALU_DEP_1)
	v_xor_b32_e32 v4, v4, v2
	v_sub_nc_u64_e32 v[2:3], v[4:5], v[2:3]
	s_delay_alu instid0(VALU_DEP_1)
	v_dual_cndmask_b32 v3, 0, v3 :: v_dual_cndmask_b32 v2, 0, v2
	s_branch .LBB14_693
.LBB14_692:
	s_mov_b32 s29, -1
                                        ; implicit-def: $vgpr2_vgpr3
.LBB14_693:
	s_mov_b32 s33, 0
.LBB14_694:
	s_delay_alu instid0(SALU_CYCLE_1)
	s_and_b32 vcc_lo, exec_lo, s33
	s_cbranch_vccz .LBB14_698
; %bb.695:
	s_cmp_eq_u32 s28, 29
	s_cbranch_scc0 .LBB14_697
; %bb.696:
	s_wait_loadcnt 0x0
	global_load_b64 v[2:3], v[0:1], off
	s_mov_b32 s29, 0
	s_mov_b32 s31, -1
	s_branch .LBB14_698
.LBB14_697:
	s_mov_b32 s29, -1
                                        ; implicit-def: $vgpr2_vgpr3
.LBB14_698:
	s_mov_b32 s33, 0
.LBB14_699:
	s_delay_alu instid0(SALU_CYCLE_1)
	s_and_b32 vcc_lo, exec_lo, s33
	s_cbranch_vccz .LBB14_715
; %bb.700:
	s_cmp_lt_i32 s28, 27
	s_cbranch_scc1 .LBB14_703
; %bb.701:
	s_cmp_gt_i32 s28, 27
	s_cbranch_scc0 .LBB14_704
; %bb.702:
	s_wait_loadcnt 0x0
	global_load_b32 v2, v[0:1], off
	v_mov_b32_e32 v3, 0
	s_mov_b32 s31, 0
	s_branch .LBB14_705
.LBB14_703:
	s_mov_b32 s31, -1
                                        ; implicit-def: $vgpr2_vgpr3
	s_branch .LBB14_708
.LBB14_704:
	s_mov_b32 s31, -1
                                        ; implicit-def: $vgpr2_vgpr3
.LBB14_705:
	s_delay_alu instid0(SALU_CYCLE_1)
	s_and_not1_b32 vcc_lo, exec_lo, s31
	s_cbranch_vccnz .LBB14_707
; %bb.706:
	s_wait_loadcnt 0x0
	global_load_u16 v2, v[0:1], off
	s_mov_b32 s31, 0
	s_delay_alu instid0(SALU_CYCLE_1)
	v_mov_b32_e32 v3, s31
	s_wait_loadcnt 0x0
	v_and_b32_e32 v2, 0xffff, v2
.LBB14_707:
	s_mov_b32 s31, 0
.LBB14_708:
	s_delay_alu instid0(SALU_CYCLE_1)
	s_and_not1_b32 vcc_lo, exec_lo, s31
	s_cbranch_vccnz .LBB14_714
; %bb.709:
	global_load_u8 v4, v[0:1], off
	s_mov_b32 s33, 0
	s_mov_b32 s31, exec_lo
	s_wait_loadcnt 0x0
	v_cmpx_lt_i16_e32 0x7f, v4
	s_xor_b32 s31, exec_lo, s31
	s_cbranch_execz .LBB14_726
; %bb.710:
	v_cmp_ne_u16_e32 vcc_lo, 0x80, v4
	s_and_b32 s33, vcc_lo, exec_lo
	s_and_not1_saveexec_b32 s31, s31
	s_cbranch_execnz .LBB14_727
.LBB14_711:
	s_or_b32 exec_lo, exec_lo, s31
	v_mov_b64_e32 v[2:3], 0
	s_and_saveexec_b32 s31, s33
	s_cbranch_execz .LBB14_713
.LBB14_712:
	v_and_b32_e32 v2, 0xffff, v4
	s_delay_alu instid0(VALU_DEP_1) | instskip(SKIP_1) | instid1(VALU_DEP_2)
	v_and_b32_e32 v3, 7, v2
	v_bfe_u32 v8, v2, 3, 4
	v_clz_i32_u32_e32 v5, v3
	s_delay_alu instid0(VALU_DEP_2) | instskip(NEXT) | instid1(VALU_DEP_2)
	v_cmp_eq_u32_e32 vcc_lo, 0, v8
	v_min_u32_e32 v5, 32, v5
	s_delay_alu instid0(VALU_DEP_1) | instskip(NEXT) | instid1(VALU_DEP_1)
	v_subrev_nc_u32_e32 v7, 28, v5
	v_dual_lshlrev_b32 v2, v7, v2 :: v_dual_sub_nc_u32 v5, 29, v5
	s_delay_alu instid0(VALU_DEP_1) | instskip(NEXT) | instid1(VALU_DEP_1)
	v_dual_lshlrev_b32 v4, 24, v4 :: v_dual_bitop2_b32 v2, 7, v2 bitop3:0x40
	v_dual_cndmask_b32 v5, v8, v5 :: v_dual_cndmask_b32 v2, v3, v2
	s_delay_alu instid0(VALU_DEP_2) | instskip(NEXT) | instid1(VALU_DEP_2)
	v_and_b32_e32 v3, 0x80000000, v4
	v_lshl_add_u32 v4, v5, 23, 0x3b800000
	s_delay_alu instid0(VALU_DEP_3) | instskip(NEXT) | instid1(VALU_DEP_1)
	v_lshlrev_b32_e32 v2, 20, v2
	v_or3_b32 v2, v3, v4, v2
	s_delay_alu instid0(VALU_DEP_1) | instskip(NEXT) | instid1(VALU_DEP_1)
	v_trunc_f32_e32 v2, v2
	v_mul_f32_e64 v3, 0x2f800000, |v2|
	s_delay_alu instid0(VALU_DEP_1) | instskip(NEXT) | instid1(VALU_DEP_1)
	v_floor_f32_e32 v3, v3
	v_fma_f32 v4, 0xcf800000, v3, |v2|
	v_ashrrev_i32_e32 v2, 31, v2
	v_cvt_u32_f32_e32 v5, v3
	s_delay_alu instid0(VALU_DEP_3) | instskip(NEXT) | instid1(VALU_DEP_2)
	v_cvt_u32_f32_e32 v4, v4
	v_dual_mov_b32 v3, v2 :: v_dual_bitop2_b32 v5, v5, v2 bitop3:0x14
	s_delay_alu instid0(VALU_DEP_2) | instskip(NEXT) | instid1(VALU_DEP_1)
	v_xor_b32_e32 v4, v4, v2
	v_sub_nc_u64_e32 v[2:3], v[4:5], v[2:3]
.LBB14_713:
	s_or_b32 exec_lo, exec_lo, s31
.LBB14_714:
	s_mov_b32 s31, -1
.LBB14_715:
	s_mov_b32 s33, 0
.LBB14_716:
	s_delay_alu instid0(SALU_CYCLE_1)
	s_and_b32 vcc_lo, exec_lo, s33
	s_cbranch_vccz .LBB14_747
; %bb.717:
	s_cmp_gt_i32 s28, 22
	s_cbranch_scc0 .LBB14_725
; %bb.718:
	s_cmp_lt_i32 s28, 24
	s_cbranch_scc1 .LBB14_728
; %bb.719:
	s_cmp_gt_i32 s28, 24
	s_cbranch_scc0 .LBB14_729
; %bb.720:
	global_load_u8 v4, v[0:1], off
	s_mov_b32 s31, 0
	s_mov_b32 s30, exec_lo
	s_wait_loadcnt 0x0
	v_cmpx_lt_i16_e32 0x7f, v4
	s_xor_b32 s30, exec_lo, s30
	s_cbranch_execz .LBB14_741
; %bb.721:
	v_cmp_ne_u16_e32 vcc_lo, 0x80, v4
	s_and_b32 s31, vcc_lo, exec_lo
	s_and_not1_saveexec_b32 s30, s30
	s_cbranch_execnz .LBB14_742
.LBB14_722:
	s_or_b32 exec_lo, exec_lo, s30
	v_mov_b64_e32 v[2:3], 0
	s_and_saveexec_b32 s30, s31
	s_cbranch_execz .LBB14_724
.LBB14_723:
	v_and_b32_e32 v2, 0xffff, v4
	s_delay_alu instid0(VALU_DEP_1) | instskip(SKIP_1) | instid1(VALU_DEP_2)
	v_and_b32_e32 v3, 3, v2
	v_bfe_u32 v8, v2, 2, 5
	v_clz_i32_u32_e32 v5, v3
	s_delay_alu instid0(VALU_DEP_2) | instskip(NEXT) | instid1(VALU_DEP_2)
	v_cmp_eq_u32_e32 vcc_lo, 0, v8
	v_min_u32_e32 v5, 32, v5
	s_delay_alu instid0(VALU_DEP_1) | instskip(NEXT) | instid1(VALU_DEP_1)
	v_subrev_nc_u32_e32 v7, 29, v5
	v_dual_lshlrev_b32 v2, v7, v2 :: v_dual_sub_nc_u32 v5, 30, v5
	s_delay_alu instid0(VALU_DEP_1) | instskip(NEXT) | instid1(VALU_DEP_1)
	v_dual_lshlrev_b32 v4, 24, v4 :: v_dual_bitop2_b32 v2, 3, v2 bitop3:0x40
	v_dual_cndmask_b32 v5, v8, v5 :: v_dual_cndmask_b32 v2, v3, v2
	s_delay_alu instid0(VALU_DEP_2) | instskip(NEXT) | instid1(VALU_DEP_2)
	v_and_b32_e32 v3, 0x80000000, v4
	v_lshl_add_u32 v4, v5, 23, 0x37800000
	s_delay_alu instid0(VALU_DEP_3) | instskip(NEXT) | instid1(VALU_DEP_1)
	v_lshlrev_b32_e32 v2, 21, v2
	v_or3_b32 v2, v3, v4, v2
	s_delay_alu instid0(VALU_DEP_1) | instskip(NEXT) | instid1(VALU_DEP_1)
	v_trunc_f32_e32 v2, v2
	v_mul_f32_e64 v3, 0x2f800000, |v2|
	s_delay_alu instid0(VALU_DEP_1) | instskip(NEXT) | instid1(VALU_DEP_1)
	v_floor_f32_e32 v3, v3
	v_fma_f32 v4, 0xcf800000, v3, |v2|
	v_ashrrev_i32_e32 v2, 31, v2
	v_cvt_u32_f32_e32 v5, v3
	s_delay_alu instid0(VALU_DEP_3) | instskip(NEXT) | instid1(VALU_DEP_2)
	v_cvt_u32_f32_e32 v4, v4
	v_dual_mov_b32 v3, v2 :: v_dual_bitop2_b32 v5, v5, v2 bitop3:0x14
	s_delay_alu instid0(VALU_DEP_2) | instskip(NEXT) | instid1(VALU_DEP_1)
	v_xor_b32_e32 v4, v4, v2
	v_sub_nc_u64_e32 v[2:3], v[4:5], v[2:3]
.LBB14_724:
	s_or_b32 exec_lo, exec_lo, s30
	s_mov_b32 s30, 0
	s_branch .LBB14_730
.LBB14_725:
	s_mov_b32 s30, -1
                                        ; implicit-def: $vgpr2_vgpr3
	s_branch .LBB14_736
.LBB14_726:
	s_and_not1_saveexec_b32 s31, s31
	s_cbranch_execz .LBB14_711
.LBB14_727:
	v_cmp_ne_u16_e32 vcc_lo, 0, v4
	s_and_not1_b32 s33, s33, exec_lo
	s_and_b32 s34, vcc_lo, exec_lo
	s_delay_alu instid0(SALU_CYCLE_1)
	s_or_b32 s33, s33, s34
	s_or_b32 exec_lo, exec_lo, s31
	v_mov_b64_e32 v[2:3], 0
	s_and_saveexec_b32 s31, s33
	s_cbranch_execnz .LBB14_712
	s_branch .LBB14_713
.LBB14_728:
	s_mov_b32 s30, -1
                                        ; implicit-def: $vgpr2_vgpr3
	s_branch .LBB14_733
.LBB14_729:
	s_mov_b32 s30, -1
                                        ; implicit-def: $vgpr2_vgpr3
.LBB14_730:
	s_delay_alu instid0(SALU_CYCLE_1)
	s_and_b32 vcc_lo, exec_lo, s30
	s_cbranch_vccz .LBB14_732
; %bb.731:
	s_wait_loadcnt 0x0
	global_load_u8 v2, v[0:1], off
	s_wait_loadcnt 0x0
	v_lshlrev_b32_e32 v2, 24, v2
	s_delay_alu instid0(VALU_DEP_1) | instskip(NEXT) | instid1(VALU_DEP_1)
	v_and_b32_e32 v3, 0x7f000000, v2
	v_clz_i32_u32_e32 v4, v3
	v_add_nc_u32_e32 v7, 0x1000000, v3
	v_cmp_ne_u32_e32 vcc_lo, 0, v3
	s_delay_alu instid0(VALU_DEP_3) | instskip(NEXT) | instid1(VALU_DEP_1)
	v_min_u32_e32 v4, 32, v4
	v_sub_nc_u32_e64 v4, v4, 4 clamp
	s_delay_alu instid0(VALU_DEP_1) | instskip(NEXT) | instid1(VALU_DEP_1)
	v_dual_lshlrev_b32 v5, v4, v3 :: v_dual_lshlrev_b32 v4, 23, v4
	v_lshrrev_b32_e32 v5, 4, v5
	s_delay_alu instid0(VALU_DEP_1) | instskip(NEXT) | instid1(VALU_DEP_1)
	v_dual_sub_nc_u32 v4, v5, v4 :: v_dual_ashrrev_i32 v5, 8, v7
	v_add_nc_u32_e32 v4, 0x3c000000, v4
	s_delay_alu instid0(VALU_DEP_1) | instskip(NEXT) | instid1(VALU_DEP_1)
	v_and_or_b32 v4, 0x7f800000, v5, v4
	v_cndmask_b32_e32 v3, 0, v4, vcc_lo
	s_delay_alu instid0(VALU_DEP_1) | instskip(NEXT) | instid1(VALU_DEP_1)
	v_and_or_b32 v2, 0x80000000, v2, v3
	v_trunc_f32_e32 v2, v2
	s_delay_alu instid0(VALU_DEP_1) | instskip(NEXT) | instid1(VALU_DEP_1)
	v_mul_f32_e64 v3, 0x2f800000, |v2|
	v_floor_f32_e32 v3, v3
	s_delay_alu instid0(VALU_DEP_1) | instskip(SKIP_2) | instid1(VALU_DEP_3)
	v_fma_f32 v4, 0xcf800000, v3, |v2|
	v_ashrrev_i32_e32 v2, 31, v2
	v_cvt_u32_f32_e32 v5, v3
	v_cvt_u32_f32_e32 v4, v4
	s_delay_alu instid0(VALU_DEP_2) | instskip(NEXT) | instid1(VALU_DEP_2)
	v_dual_mov_b32 v3, v2 :: v_dual_bitop2_b32 v5, v5, v2 bitop3:0x14
	v_xor_b32_e32 v4, v4, v2
	s_delay_alu instid0(VALU_DEP_1)
	v_sub_nc_u64_e32 v[2:3], v[4:5], v[2:3]
.LBB14_732:
	s_mov_b32 s30, 0
.LBB14_733:
	s_delay_alu instid0(SALU_CYCLE_1)
	s_and_not1_b32 vcc_lo, exec_lo, s30
	s_cbranch_vccnz .LBB14_735
; %bb.734:
	s_wait_loadcnt 0x0
	global_load_u8 v2, v[0:1], off
	s_wait_loadcnt 0x0
	v_lshlrev_b32_e32 v3, 25, v2
	v_lshlrev_b16 v2, 8, v2
	s_delay_alu instid0(VALU_DEP_1) | instskip(SKIP_1) | instid1(VALU_DEP_2)
	v_and_or_b32 v5, 0x7f00, v2, 0.5
	v_bfe_i32 v2, v2, 0, 16
	v_dual_add_f32 v5, -0.5, v5 :: v_dual_lshrrev_b32 v4, 4, v3
	v_cmp_gt_u32_e32 vcc_lo, 0x8000000, v3
	s_delay_alu instid0(VALU_DEP_2) | instskip(NEXT) | instid1(VALU_DEP_1)
	v_or_b32_e32 v4, 0x70000000, v4
	v_mul_f32_e32 v4, 0x7800000, v4
	s_delay_alu instid0(VALU_DEP_1) | instskip(NEXT) | instid1(VALU_DEP_1)
	v_cndmask_b32_e32 v3, v4, v5, vcc_lo
	v_and_or_b32 v2, 0x80000000, v2, v3
	s_delay_alu instid0(VALU_DEP_1) | instskip(NEXT) | instid1(VALU_DEP_1)
	v_trunc_f32_e32 v2, v2
	v_mul_f32_e64 v3, 0x2f800000, |v2|
	s_delay_alu instid0(VALU_DEP_1) | instskip(NEXT) | instid1(VALU_DEP_1)
	v_floor_f32_e32 v3, v3
	v_fma_f32 v4, 0xcf800000, v3, |v2|
	v_ashrrev_i32_e32 v2, 31, v2
	v_cvt_u32_f32_e32 v5, v3
	s_delay_alu instid0(VALU_DEP_3) | instskip(NEXT) | instid1(VALU_DEP_2)
	v_cvt_u32_f32_e32 v4, v4
	v_dual_mov_b32 v3, v2 :: v_dual_bitop2_b32 v5, v5, v2 bitop3:0x14
	s_delay_alu instid0(VALU_DEP_2) | instskip(NEXT) | instid1(VALU_DEP_1)
	v_xor_b32_e32 v4, v4, v2
	v_sub_nc_u64_e32 v[2:3], v[4:5], v[2:3]
.LBB14_735:
	s_mov_b32 s30, 0
	s_mov_b32 s31, -1
.LBB14_736:
	s_and_not1_b32 vcc_lo, exec_lo, s30
	s_mov_b32 s30, 0
	s_cbranch_vccnz .LBB14_747
; %bb.737:
	s_cmp_gt_i32 s28, 14
	s_cbranch_scc0 .LBB14_740
; %bb.738:
	s_cmp_eq_u32 s28, 15
	s_cbranch_scc0 .LBB14_743
; %bb.739:
	s_wait_loadcnt 0x0
	global_load_u16 v2, v[0:1], off
	s_mov_b32 s29, 0
	s_mov_b32 s31, -1
	s_wait_loadcnt 0x0
	v_lshlrev_b32_e32 v2, 16, v2
	s_delay_alu instid0(VALU_DEP_1) | instskip(NEXT) | instid1(VALU_DEP_1)
	v_trunc_f32_e32 v2, v2
	v_mul_f32_e64 v3, 0x2f800000, |v2|
	s_delay_alu instid0(VALU_DEP_1) | instskip(NEXT) | instid1(VALU_DEP_1)
	v_floor_f32_e32 v3, v3
	v_fma_f32 v4, 0xcf800000, v3, |v2|
	v_ashrrev_i32_e32 v2, 31, v2
	v_cvt_u32_f32_e32 v5, v3
	s_delay_alu instid0(VALU_DEP_3) | instskip(NEXT) | instid1(VALU_DEP_2)
	v_cvt_u32_f32_e32 v4, v4
	v_dual_mov_b32 v3, v2 :: v_dual_bitop2_b32 v5, v5, v2 bitop3:0x14
	s_delay_alu instid0(VALU_DEP_2) | instskip(NEXT) | instid1(VALU_DEP_1)
	v_xor_b32_e32 v4, v4, v2
	v_sub_nc_u64_e32 v[2:3], v[4:5], v[2:3]
	s_branch .LBB14_745
.LBB14_740:
	s_mov_b32 s30, -1
	s_branch .LBB14_744
.LBB14_741:
	s_and_not1_saveexec_b32 s30, s30
	s_cbranch_execz .LBB14_722
.LBB14_742:
	v_cmp_ne_u16_e32 vcc_lo, 0, v4
	s_and_not1_b32 s31, s31, exec_lo
	s_and_b32 s33, vcc_lo, exec_lo
	s_delay_alu instid0(SALU_CYCLE_1)
	s_or_b32 s31, s31, s33
	s_or_b32 exec_lo, exec_lo, s30
	v_mov_b64_e32 v[2:3], 0
	s_and_saveexec_b32 s30, s31
	s_cbranch_execnz .LBB14_723
	s_branch .LBB14_724
.LBB14_743:
	s_mov_b32 s29, -1
.LBB14_744:
                                        ; implicit-def: $vgpr2_vgpr3
.LBB14_745:
	s_and_b32 vcc_lo, exec_lo, s30
	s_mov_b32 s30, 0
	s_cbranch_vccz .LBB14_747
; %bb.746:
	s_cmp_lg_u32 s28, 11
	s_mov_b32 s30, -1
	s_cselect_b32 s28, -1, 0
	s_and_not1_b32 s29, s29, exec_lo
	s_and_b32 s28, s28, exec_lo
	s_delay_alu instid0(SALU_CYCLE_1)
	s_or_b32 s29, s29, s28
.LBB14_747:
	s_mov_b32 s28, 0
.LBB14_748:
	s_and_not1_b32 s33, s0, exec_lo
	s_and_b32 s29, s29, exec_lo
	s_and_b32 s34, s31, exec_lo
	;; [unrolled: 1-line block ×4, first 2 shown]
	s_or_b32 s33, s33, s29
.LBB14_749:
	s_wait_xcnt 0x0
	s_or_b32 exec_lo, exec_lo, s16
	s_delay_alu instid0(SALU_CYCLE_1)
	s_and_not1_b32 s0, s0, exec_lo
	s_and_b32 s16, s33, exec_lo
	s_and_b32 s30, s34, exec_lo
	;; [unrolled: 1-line block ×4, first 2 shown]
	s_or_b32 s0, s0, s16
.LBB14_750:
	s_or_b32 exec_lo, exec_lo, s25
	s_delay_alu instid0(SALU_CYCLE_1)
	s_and_not1_b32 s16, s22, exec_lo
	s_and_b32 s22, s27, exec_lo
	s_and_not1_b32 s23, s23, exec_lo
	s_and_b32 s25, s26, exec_lo
	s_or_b32 s22, s16, s22
	s_and_not1_b32 s16, s21, exec_lo
	s_and_b32 s0, s0, exec_lo
	s_or_b32 s23, s23, s25
	s_and_b32 s27, s30, exec_lo
	s_and_b32 s26, s29, exec_lo
	;; [unrolled: 1-line block ×3, first 2 shown]
	s_or_b32 s21, s16, s0
.LBB14_751:
	s_or_b32 exec_lo, exec_lo, s24
	s_delay_alu instid0(SALU_CYCLE_1)
	s_and_not1_b32 s0, s17, exec_lo
	s_and_b32 s16, s22, exec_lo
	s_and_not1_b32 s18, s18, exec_lo
	s_and_b32 s22, s23, exec_lo
	s_or_b32 s17, s0, s16
	s_and_not1_b32 s16, s19, exec_lo
	s_and_b32 s19, s21, exec_lo
	s_or_b32 s18, s18, s22
	s_and_b32 s0, s27, exec_lo
	s_and_b32 s22, s26, exec_lo
	;; [unrolled: 1-line block ×3, first 2 shown]
	s_or_b32 s19, s16, s19
	s_or_b32 exec_lo, exec_lo, s20
	s_mov_b32 s16, 0
	s_and_saveexec_b32 s20, s19
	s_cbranch_execz .LBB14_231
.LBB14_752:
	s_mov_b32 s16, exec_lo
	s_and_not1_b32 s21, s21, exec_lo
	s_trap 2
	s_or_b32 exec_lo, exec_lo, s20
	s_and_saveexec_b32 s19, s21
	s_delay_alu instid0(SALU_CYCLE_1)
	s_xor_b32 s19, exec_lo, s19
	s_cbranch_execnz .LBB14_232
.LBB14_753:
	s_or_b32 exec_lo, exec_lo, s19
	s_and_saveexec_b32 s19, s22
	s_cbranch_execz .LBB14_799
.LBB14_754:
	s_sext_i32_i16 s20, s13
	s_delay_alu instid0(SALU_CYCLE_1)
	s_cmp_lt_i32 s20, 5
	s_cbranch_scc1 .LBB14_759
; %bb.755:
	s_cmp_lt_i32 s20, 8
	s_cbranch_scc1 .LBB14_760
; %bb.756:
	;; [unrolled: 3-line block ×3, first 2 shown]
	s_cmp_gt_i32 s20, 9
	s_cbranch_scc0 .LBB14_762
; %bb.758:
	s_wait_loadcnt 0x0
	global_load_b64 v[2:3], v[0:1], off
	s_mov_b32 s20, 0
	s_wait_loadcnt 0x0
	v_trunc_f64_e32 v[2:3], v[2:3]
	s_delay_alu instid0(VALU_DEP_1) | instskip(NEXT) | instid1(VALU_DEP_1)
	v_ldexp_f64 v[4:5], v[2:3], 0xffffffe0
	v_floor_f64_e32 v[4:5], v[4:5]
	s_delay_alu instid0(VALU_DEP_1) | instskip(SKIP_1) | instid1(VALU_DEP_2)
	v_fmamk_f64 v[8:9], v[4:5], 0xc1f00000, v[2:3]
	v_cvt_i32_f64_e32 v3, v[4:5]
	v_cvt_u32_f64_e32 v2, v[8:9]
	s_branch .LBB14_763
.LBB14_759:
                                        ; implicit-def: $vgpr2_vgpr3
	s_branch .LBB14_780
.LBB14_760:
                                        ; implicit-def: $vgpr2_vgpr3
	s_branch .LBB14_769
.LBB14_761:
	s_mov_b32 s20, -1
                                        ; implicit-def: $vgpr2_vgpr3
	s_branch .LBB14_766
.LBB14_762:
	s_mov_b32 s20, -1
                                        ; implicit-def: $vgpr2_vgpr3
.LBB14_763:
	s_delay_alu instid0(SALU_CYCLE_1)
	s_and_not1_b32 vcc_lo, exec_lo, s20
	s_cbranch_vccnz .LBB14_765
; %bb.764:
	s_wait_loadcnt 0x0
	global_load_b32 v2, v[0:1], off
	s_wait_loadcnt 0x0
	v_trunc_f32_e32 v2, v2
	s_delay_alu instid0(VALU_DEP_1) | instskip(NEXT) | instid1(VALU_DEP_1)
	v_mul_f32_e64 v3, 0x2f800000, |v2|
	v_floor_f32_e32 v3, v3
	s_delay_alu instid0(VALU_DEP_1) | instskip(SKIP_2) | instid1(VALU_DEP_3)
	v_fma_f32 v4, 0xcf800000, v3, |v2|
	v_ashrrev_i32_e32 v2, 31, v2
	v_cvt_u32_f32_e32 v5, v3
	v_cvt_u32_f32_e32 v4, v4
	s_delay_alu instid0(VALU_DEP_2) | instskip(NEXT) | instid1(VALU_DEP_2)
	v_dual_mov_b32 v3, v2 :: v_dual_bitop2_b32 v5, v5, v2 bitop3:0x14
	v_xor_b32_e32 v4, v4, v2
	s_delay_alu instid0(VALU_DEP_1)
	v_sub_nc_u64_e32 v[2:3], v[4:5], v[2:3]
.LBB14_765:
	s_mov_b32 s20, 0
.LBB14_766:
	s_delay_alu instid0(SALU_CYCLE_1)
	s_and_not1_b32 vcc_lo, exec_lo, s20
	s_cbranch_vccnz .LBB14_768
; %bb.767:
	s_wait_loadcnt 0x0
	global_load_b32 v2, v[0:1], off
	s_wait_loadcnt 0x0
	v_cvt_f32_f16_e32 v2, v2
	s_delay_alu instid0(VALU_DEP_1) | instskip(NEXT) | instid1(VALU_DEP_1)
	v_cvt_i32_f32_e32 v2, v2
	v_ashrrev_i32_e32 v3, 31, v2
.LBB14_768:
	s_cbranch_execnz .LBB14_779
.LBB14_769:
	s_sext_i32_i16 s20, s13
	s_delay_alu instid0(SALU_CYCLE_1)
	s_cmp_lt_i32 s20, 6
	s_cbranch_scc1 .LBB14_772
; %bb.770:
	s_cmp_gt_i32 s20, 6
	s_cbranch_scc0 .LBB14_773
; %bb.771:
	s_wait_loadcnt 0x0
	global_load_b64 v[2:3], v[0:1], off
	s_mov_b32 s20, 0
	s_wait_loadcnt 0x0
	v_trunc_f64_e32 v[2:3], v[2:3]
	s_delay_alu instid0(VALU_DEP_1) | instskip(NEXT) | instid1(VALU_DEP_1)
	v_ldexp_f64 v[4:5], v[2:3], 0xffffffe0
	v_floor_f64_e32 v[4:5], v[4:5]
	s_delay_alu instid0(VALU_DEP_1) | instskip(SKIP_1) | instid1(VALU_DEP_2)
	v_fmamk_f64 v[8:9], v[4:5], 0xc1f00000, v[2:3]
	v_cvt_i32_f64_e32 v3, v[4:5]
	v_cvt_u32_f64_e32 v2, v[8:9]
	s_branch .LBB14_774
.LBB14_772:
	s_mov_b32 s20, -1
                                        ; implicit-def: $vgpr2_vgpr3
	s_branch .LBB14_777
.LBB14_773:
	s_mov_b32 s20, -1
                                        ; implicit-def: $vgpr2_vgpr3
.LBB14_774:
	s_delay_alu instid0(SALU_CYCLE_1)
	s_and_not1_b32 vcc_lo, exec_lo, s20
	s_cbranch_vccnz .LBB14_776
; %bb.775:
	s_wait_loadcnt 0x0
	global_load_b32 v2, v[0:1], off
	s_wait_loadcnt 0x0
	v_trunc_f32_e32 v2, v2
	s_delay_alu instid0(VALU_DEP_1) | instskip(NEXT) | instid1(VALU_DEP_1)
	v_mul_f32_e64 v3, 0x2f800000, |v2|
	v_floor_f32_e32 v3, v3
	s_delay_alu instid0(VALU_DEP_1) | instskip(SKIP_2) | instid1(VALU_DEP_3)
	v_fma_f32 v4, 0xcf800000, v3, |v2|
	v_ashrrev_i32_e32 v2, 31, v2
	v_cvt_u32_f32_e32 v5, v3
	v_cvt_u32_f32_e32 v4, v4
	s_delay_alu instid0(VALU_DEP_2) | instskip(NEXT) | instid1(VALU_DEP_2)
	v_dual_mov_b32 v3, v2 :: v_dual_bitop2_b32 v5, v5, v2 bitop3:0x14
	v_xor_b32_e32 v4, v4, v2
	s_delay_alu instid0(VALU_DEP_1)
	v_sub_nc_u64_e32 v[2:3], v[4:5], v[2:3]
.LBB14_776:
	s_mov_b32 s20, 0
.LBB14_777:
	s_delay_alu instid0(SALU_CYCLE_1)
	s_and_not1_b32 vcc_lo, exec_lo, s20
	s_cbranch_vccnz .LBB14_779
; %bb.778:
	s_wait_loadcnt 0x0
	global_load_u16 v2, v[0:1], off
	s_wait_loadcnt 0x0
	v_cvt_f32_f16_e32 v2, v2
	s_delay_alu instid0(VALU_DEP_1) | instskip(NEXT) | instid1(VALU_DEP_1)
	v_cvt_i32_f32_e32 v2, v2
	v_ashrrev_i32_e32 v3, 31, v2
.LBB14_779:
	s_cbranch_execnz .LBB14_798
.LBB14_780:
	s_sext_i32_i16 s20, s13
	s_delay_alu instid0(SALU_CYCLE_1)
	s_cmp_lt_i32 s20, 2
	s_cbranch_scc1 .LBB14_784
; %bb.781:
	s_cmp_lt_i32 s20, 3
	s_cbranch_scc1 .LBB14_785
; %bb.782:
	s_cmp_gt_i32 s20, 3
	s_cbranch_scc0 .LBB14_786
; %bb.783:
	s_wait_loadcnt 0x0
	global_load_b64 v[2:3], v[0:1], off
	s_mov_b32 s20, 0
	s_branch .LBB14_787
.LBB14_784:
                                        ; implicit-def: $vgpr2_vgpr3
	s_branch .LBB14_793
.LBB14_785:
	s_mov_b32 s20, -1
                                        ; implicit-def: $vgpr2_vgpr3
	s_branch .LBB14_790
.LBB14_786:
	s_mov_b32 s20, -1
                                        ; implicit-def: $vgpr2_vgpr3
.LBB14_787:
	s_delay_alu instid0(SALU_CYCLE_1)
	s_and_not1_b32 vcc_lo, exec_lo, s20
	s_cbranch_vccnz .LBB14_789
; %bb.788:
	s_wait_loadcnt 0x0
	global_load_b32 v2, v[0:1], off
	s_wait_loadcnt 0x0
	v_ashrrev_i32_e32 v3, 31, v2
.LBB14_789:
	s_mov_b32 s20, 0
.LBB14_790:
	s_delay_alu instid0(SALU_CYCLE_1)
	s_and_not1_b32 vcc_lo, exec_lo, s20
	s_cbranch_vccnz .LBB14_792
; %bb.791:
	s_wait_loadcnt 0x0
	global_load_u16 v2, v[0:1], off
	s_wait_loadcnt 0x0
	v_bfe_i32 v2, v2, 0, 16
	s_delay_alu instid0(VALU_DEP_1)
	v_ashrrev_i32_e32 v3, 31, v2
.LBB14_792:
	s_cbranch_execnz .LBB14_798
.LBB14_793:
	s_sext_i32_i16 s20, s13
	s_delay_alu instid0(SALU_CYCLE_1)
	s_cmp_gt_i32 s20, 0
	s_mov_b32 s20, 0
	s_cbranch_scc0 .LBB14_795
; %bb.794:
	s_wait_loadcnt 0x0
	global_load_i8 v2, v[0:1], off
	s_wait_loadcnt 0x0
	v_bfe_i32 v2, v2, 0, 16
	s_delay_alu instid0(VALU_DEP_1)
	v_ashrrev_i32_e32 v3, 31, v2
	s_branch .LBB14_796
.LBB14_795:
	s_mov_b32 s20, -1
                                        ; implicit-def: $vgpr2_vgpr3
.LBB14_796:
	s_delay_alu instid0(SALU_CYCLE_1)
	s_and_not1_b32 vcc_lo, exec_lo, s20
	s_cbranch_vccnz .LBB14_798
; %bb.797:
	global_load_u8 v0, v[0:1], off
	s_mov_b32 s20, 0
	s_wait_loadcnt 0x1
	v_mov_b32_e32 v3, s20
	s_wait_loadcnt 0x0
	v_and_b32_e32 v2, 0xffff, v0
.LBB14_798:
	s_or_b32 s0, s0, exec_lo
.LBB14_799:
	s_wait_xcnt 0x0
	s_or_b32 exec_lo, exec_lo, s19
	s_mov_b32 s20, 0
	s_and_saveexec_b32 s19, s0
	s_delay_alu instid0(SALU_CYCLE_1)
	s_xor_b32 s19, exec_lo, s19
	s_cbranch_execz .LBB14_801
; %bb.800:
	s_wait_loadcnt 0x0
	s_delay_alu instid0(VALU_DEP_1) | instskip(SKIP_3) | instid1(SALU_CYCLE_1)
	v_cmp_le_i64_e32 vcc_lo, s[8:9], v[2:3]
	v_cmp_gt_i64_e64 s0, s[10:11], v[2:3]
	s_mov_b32 s20, exec_lo
	s_and_b32 s0, vcc_lo, s0
	s_and_b32 s0, s15, s0
	s_and_not1_b32 s15, s18, exec_lo
	s_xor_b32 s0, s0, -1
	s_delay_alu instid0(SALU_CYCLE_1) | instskip(NEXT) | instid1(SALU_CYCLE_1)
	s_and_b32 s0, s0, exec_lo
	s_or_b32 s18, s15, s0
.LBB14_801:
	s_or_b32 exec_lo, exec_lo, s19
	s_and_saveexec_b32 s0, s18
	s_cbranch_execnz .LBB14_814
.LBB14_802:
	s_or_b32 exec_lo, exec_lo, s0
	s_mov_b32 s18, 0
	s_mov_b32 s19, 0
                                        ; implicit-def: $sgpr0
                                        ; implicit-def: $vgpr0_vgpr1
	s_and_saveexec_b32 s15, s20
	s_cbranch_execz .LBB14_810
; %bb.803:
	v_mul_lo_u32 v0, v6, s2
	s_and_b32 s0, s12, 0xff
	s_delay_alu instid0(SALU_CYCLE_1) | instskip(NEXT) | instid1(VALU_DEP_1)
	s_cmp_lt_i32 s0, 11
	v_ashrrev_i32_e32 v1, 31, v0
	s_delay_alu instid0(VALU_DEP_1)
	v_add_nc_u64_e32 v[0:1], s[4:5], v[0:1]
	s_cbranch_scc1 .LBB14_813
; %bb.804:
	s_and_b32 s19, 0xffff, s0
	s_mov_b32 s20, -1
	s_cmp_gt_i32 s19, 25
	s_mov_b32 s18, s17
	s_cbranch_scc0 .LBB14_834
; %bb.805:
	s_cmp_gt_i32 s19, 28
	s_mov_b32 s18, s17
	s_cbranch_scc0 .LBB14_824
; %bb.806:
	;; [unrolled: 4-line block ×4, first 2 shown]
	s_cmp_eq_u32 s19, 46
	s_mov_b32 s18, -1
	s_cbranch_scc0 .LBB14_815
; %bb.809:
	s_wait_loadcnt 0x0
	v_mov_b32_e32 v2, 0
	s_mov_b32 s18, 0
	s_mov_b32 s20, 0
	global_store_b32 v[0:1], v2, off
	s_branch .LBB14_816
.LBB14_810:
	s_or_b32 exec_lo, exec_lo, s15
	s_and_saveexec_b32 s15, s17
	s_cbranch_execnz .LBB14_854
.LBB14_811:
	s_or_b32 exec_lo, exec_lo, s15
	s_and_saveexec_b32 s15, s18
	s_delay_alu instid0(SALU_CYCLE_1)
	s_xor_b32 s15, exec_lo, s15
	s_cbranch_execz .LBB14_855
.LBB14_812:
	s_wait_loadcnt 0x0
	v_mov_b32_e32 v2, 0
	global_store_b8 v[0:1], v2, off
	s_wait_xcnt 0x0
	s_or_b32 exec_lo, exec_lo, s15
	s_and_saveexec_b32 s15, s19
	s_delay_alu instid0(SALU_CYCLE_1)
	s_xor_b32 s15, exec_lo, s15
	s_cbranch_execz .LBB14_893
	s_branch .LBB14_856
.LBB14_813:
	s_mov_b32 s21, 0
	s_mov_b32 s20, -1
	s_mov_b32 s18, s17
	s_branch .LBB14_853
.LBB14_814:
	s_or_b32 s16, s16, exec_lo
	s_and_not1_b32 s20, s20, exec_lo
	s_trap 2
	s_branch .LBB14_802
.LBB14_815:
	s_mov_b32 s20, 0
.LBB14_816:
	s_delay_alu instid0(SALU_CYCLE_1)
	s_and_b32 vcc_lo, exec_lo, s20
	s_cbranch_vccz .LBB14_819
; %bb.817:
	s_cmp_eq_u32 s19, 44
	s_mov_b32 s18, -1
	s_cbranch_scc0 .LBB14_819
; %bb.818:
	s_wait_loadcnt 0x0
	v_mov_b32_e32 v2, 0
	s_mov_b32 s18, 0
	s_mov_b32 s20, 0
	global_store_b8 v[0:1], v2, off
	s_branch .LBB14_820
.LBB14_819:
	s_mov_b32 s20, 0
.LBB14_820:
	s_delay_alu instid0(SALU_CYCLE_1)
	s_and_b32 vcc_lo, exec_lo, s20
	s_cbranch_vccz .LBB14_823
; %bb.821:
	s_cmp_eq_u32 s19, 29
	s_mov_b32 s18, -1
	s_cbranch_scc0 .LBB14_823
; %bb.822:
	s_wait_loadcnt 0x0
	v_mov_b64_e32 v[2:3], 0
	s_mov_b32 s18, 0
	s_mov_b32 s20, 0
	global_store_b64 v[0:1], v[2:3], off
	s_branch .LBB14_824
.LBB14_823:
	s_mov_b32 s20, 0
.LBB14_824:
	s_delay_alu instid0(SALU_CYCLE_1)
	s_and_b32 vcc_lo, exec_lo, s20
	s_cbranch_vccz .LBB14_833
; %bb.825:
	s_cmp_lt_i32 s19, 27
	s_mov_b32 s20, -1
	s_cbranch_scc1 .LBB14_831
; %bb.826:
	s_cmp_gt_i32 s19, 27
	s_cbranch_scc0 .LBB14_828
; %bb.827:
	s_wait_loadcnt 0x0
	v_mov_b32_e32 v2, 0
	s_mov_b32 s20, 0
	global_store_b32 v[0:1], v2, off
.LBB14_828:
	s_and_not1_b32 vcc_lo, exec_lo, s20
	s_cbranch_vccnz .LBB14_830
; %bb.829:
	s_wait_loadcnt 0x0
	v_mov_b32_e32 v2, 0
	global_store_b16 v[0:1], v2, off
.LBB14_830:
	s_mov_b32 s20, 0
.LBB14_831:
	s_delay_alu instid0(SALU_CYCLE_1)
	s_and_not1_b32 vcc_lo, exec_lo, s20
	s_cbranch_vccnz .LBB14_833
; %bb.832:
	s_wait_loadcnt 0x0
	v_mov_b32_e32 v2, 0
	global_store_b8 v[0:1], v2, off
.LBB14_833:
	s_mov_b32 s20, 0
.LBB14_834:
	s_delay_alu instid0(SALU_CYCLE_1)
	s_and_b32 vcc_lo, exec_lo, s20
	s_mov_b32 s20, 0
	s_cbranch_vccz .LBB14_852
; %bb.835:
	s_cmp_gt_i32 s19, 22
	s_mov_b32 s21, -1
	s_cbranch_scc0 .LBB14_845
; %bb.836:
	s_cmp_lt_i32 s19, 24
	s_cbranch_scc1 .LBB14_842
; %bb.837:
	s_cmp_gt_i32 s19, 24
	s_cbranch_scc0 .LBB14_839
; %bb.838:
	s_wait_loadcnt 0x0
	v_mov_b32_e32 v2, 0
	s_mov_b32 s21, 0
	global_store_b8 v[0:1], v2, off
.LBB14_839:
	s_and_not1_b32 vcc_lo, exec_lo, s21
	s_cbranch_vccnz .LBB14_841
; %bb.840:
	s_wait_loadcnt 0x0
	v_mov_b32_e32 v2, 0
	global_store_b8 v[0:1], v2, off
.LBB14_841:
	s_mov_b32 s21, 0
.LBB14_842:
	s_delay_alu instid0(SALU_CYCLE_1)
	s_and_not1_b32 vcc_lo, exec_lo, s21
	s_cbranch_vccnz .LBB14_844
; %bb.843:
	s_wait_loadcnt 0x0
	v_mov_b32_e32 v2, 0
	global_store_b8 v[0:1], v2, off
.LBB14_844:
	s_mov_b32 s21, 0
.LBB14_845:
	s_delay_alu instid0(SALU_CYCLE_1)
	s_and_not1_b32 vcc_lo, exec_lo, s21
	s_mov_b32 s21, 0
	s_cbranch_vccnz .LBB14_853
; %bb.846:
	s_cmp_gt_i32 s19, 14
	s_mov_b32 s21, -1
	s_cbranch_scc0 .LBB14_850
; %bb.847:
	s_cmp_eq_u32 s19, 15
	s_mov_b32 s18, -1
	s_cbranch_scc0 .LBB14_849
; %bb.848:
	s_wait_loadcnt 0x0
	v_mov_b32_e32 v2, 0
	s_mov_b32 s18, 0
	global_store_b16 v[0:1], v2, off
.LBB14_849:
	s_mov_b32 s21, 0
.LBB14_850:
	s_delay_alu instid0(SALU_CYCLE_1)
	s_and_b32 vcc_lo, exec_lo, s21
	s_mov_b32 s21, 0
	s_cbranch_vccz .LBB14_853
; %bb.851:
	s_cmp_lg_u32 s19, 11
	s_mov_b32 s21, -1
	s_cselect_b32 s19, -1, 0
	s_and_not1_b32 s18, s18, exec_lo
	s_and_b32 s19, s19, exec_lo
	s_delay_alu instid0(SALU_CYCLE_1)
	s_or_b32 s18, s18, s19
	s_branch .LBB14_853
.LBB14_852:
	s_mov_b32 s21, 0
.LBB14_853:
	s_and_b32 s19, s20, exec_lo
	s_and_not1_b32 s17, s17, exec_lo
	s_and_b32 s20, s18, exec_lo
	s_and_b32 s18, s21, exec_lo
	s_or_b32 s17, s17, s20
	s_wait_xcnt 0x0
	s_or_b32 exec_lo, exec_lo, s15
	s_and_saveexec_b32 s15, s17
	s_cbranch_execz .LBB14_811
.LBB14_854:
	s_or_b32 s16, s16, exec_lo
	s_and_not1_b32 s18, s18, exec_lo
	s_trap 2
	s_or_b32 exec_lo, exec_lo, s15
	s_and_saveexec_b32 s15, s18
	s_delay_alu instid0(SALU_CYCLE_1)
	s_xor_b32 s15, exec_lo, s15
	s_cbranch_execnz .LBB14_812
.LBB14_855:
	s_or_b32 exec_lo, exec_lo, s15
	s_and_saveexec_b32 s15, s19
	s_delay_alu instid0(SALU_CYCLE_1)
	s_xor_b32 s15, exec_lo, s15
	s_cbranch_execz .LBB14_893
.LBB14_856:
	s_sext_i32_i16 s18, s0
	s_mov_b32 s17, -1
	s_cmp_lt_i32 s18, 5
	s_cbranch_scc1 .LBB14_877
; %bb.857:
	s_cmp_lt_i32 s18, 8
	s_cbranch_scc1 .LBB14_867
; %bb.858:
	;; [unrolled: 3-line block ×3, first 2 shown]
	s_cmp_gt_i32 s18, 9
	s_cbranch_scc0 .LBB14_861
; %bb.860:
	s_wait_loadcnt 0x0
	v_mov_b32_e32 v2, 0
	s_mov_b32 s17, 0
	s_delay_alu instid0(VALU_DEP_1)
	v_dual_mov_b32 v3, v2 :: v_dual_mov_b32 v4, v2
	v_mov_b32_e32 v5, v2
	global_store_b128 v[0:1], v[2:5], off
.LBB14_861:
	s_and_not1_b32 vcc_lo, exec_lo, s17
	s_cbranch_vccnz .LBB14_863
; %bb.862:
	s_wait_loadcnt 0x0
	v_mov_b64_e32 v[2:3], 0
	global_store_b64 v[0:1], v[2:3], off
.LBB14_863:
	s_mov_b32 s17, 0
.LBB14_864:
	s_delay_alu instid0(SALU_CYCLE_1)
	s_and_not1_b32 vcc_lo, exec_lo, s17
	s_cbranch_vccnz .LBB14_866
; %bb.865:
	s_wait_loadcnt 0x0
	v_mov_b32_e32 v2, 0
	global_store_b32 v[0:1], v2, off
.LBB14_866:
	s_mov_b32 s17, 0
.LBB14_867:
	s_delay_alu instid0(SALU_CYCLE_1)
	s_and_not1_b32 vcc_lo, exec_lo, s17
	s_cbranch_vccnz .LBB14_876
; %bb.868:
	s_sext_i32_i16 s18, s0
	s_mov_b32 s17, -1
	s_cmp_lt_i32 s18, 6
	s_cbranch_scc1 .LBB14_874
; %bb.869:
	s_cmp_gt_i32 s18, 6
	s_cbranch_scc0 .LBB14_871
; %bb.870:
	s_wait_loadcnt 0x0
	v_mov_b64_e32 v[2:3], 0
	s_mov_b32 s17, 0
	global_store_b64 v[0:1], v[2:3], off
.LBB14_871:
	s_and_not1_b32 vcc_lo, exec_lo, s17
	s_cbranch_vccnz .LBB14_873
; %bb.872:
	s_wait_loadcnt 0x0
	v_mov_b32_e32 v2, 0
	global_store_b32 v[0:1], v2, off
.LBB14_873:
	s_mov_b32 s17, 0
.LBB14_874:
	s_delay_alu instid0(SALU_CYCLE_1)
	s_and_not1_b32 vcc_lo, exec_lo, s17
	s_cbranch_vccnz .LBB14_876
; %bb.875:
	s_wait_loadcnt 0x0
	v_mov_b32_e32 v2, 0
	global_store_b16 v[0:1], v2, off
.LBB14_876:
	s_mov_b32 s17, 0
.LBB14_877:
	s_delay_alu instid0(SALU_CYCLE_1)
	s_and_not1_b32 vcc_lo, exec_lo, s17
	s_cbranch_vccnz .LBB14_893
; %bb.878:
	s_sext_i32_i16 s18, s0
	s_mov_b32 s17, -1
	s_cmp_lt_i32 s18, 2
	s_cbranch_scc1 .LBB14_888
; %bb.879:
	s_cmp_lt_i32 s18, 3
	s_cbranch_scc1 .LBB14_885
; %bb.880:
	s_cmp_gt_i32 s18, 3
	s_cbranch_scc0 .LBB14_882
; %bb.881:
	s_wait_loadcnt 0x0
	v_mov_b64_e32 v[2:3], 0
	s_mov_b32 s17, 0
	global_store_b64 v[0:1], v[2:3], off
.LBB14_882:
	s_and_not1_b32 vcc_lo, exec_lo, s17
	s_cbranch_vccnz .LBB14_884
; %bb.883:
	s_wait_loadcnt 0x0
	v_mov_b32_e32 v2, 0
	global_store_b32 v[0:1], v2, off
.LBB14_884:
	s_mov_b32 s17, 0
.LBB14_885:
	s_delay_alu instid0(SALU_CYCLE_1)
	s_and_not1_b32 vcc_lo, exec_lo, s17
	s_cbranch_vccnz .LBB14_887
; %bb.886:
	s_wait_loadcnt 0x0
	v_mov_b32_e32 v2, 0
	global_store_b16 v[0:1], v2, off
.LBB14_887:
	s_mov_b32 s17, 0
.LBB14_888:
	s_delay_alu instid0(SALU_CYCLE_1)
	s_and_not1_b32 vcc_lo, exec_lo, s17
	s_cbranch_vccnz .LBB14_893
; %bb.889:
	s_sext_i32_i16 s0, s0
	s_delay_alu instid0(SALU_CYCLE_1)
	s_cmp_gt_i32 s0, 0
	s_mov_b32 s0, -1
	s_cbranch_scc0 .LBB14_891
; %bb.890:
	s_wait_loadcnt 0x0
	v_mov_b32_e32 v2, 0
	s_mov_b32 s0, 0
	global_store_b8 v[0:1], v2, off
.LBB14_891:
	s_and_not1_b32 vcc_lo, exec_lo, s0
	s_cbranch_vccnz .LBB14_893
; %bb.892:
	s_wait_loadcnt 0x0
	v_mov_b32_e32 v2, 0
	global_store_b8 v[0:1], v2, off
.LBB14_893:
	s_wait_xcnt 0x0
	s_or_b32 exec_lo, exec_lo, s15
	s_delay_alu instid0(SALU_CYCLE_1)
	s_and_b32 s15, s16, exec_lo
                                        ; implicit-def: $vgpr6
.LBB14_894:
	s_or_saveexec_b32 s14, s14
	s_mov_b32 s17, 0
                                        ; implicit-def: $sgpr0
                                        ; implicit-def: $vgpr2_vgpr3
	s_xor_b32 exec_lo, exec_lo, s14
	s_cbranch_execz .LBB14_1729
; %bb.895:
	v_mul_lo_u32 v0, s3, v6
	s_and_b32 s17, 0xffff, s13
	s_delay_alu instid0(SALU_CYCLE_1) | instskip(NEXT) | instid1(VALU_DEP_1)
	s_cmp_lt_i32 s17, 11
	v_ashrrev_i32_e32 v1, 31, v0
	s_wait_loadcnt 0x0
	s_delay_alu instid0(VALU_DEP_1)
	v_add_nc_u64_e32 v[2:3], s[6:7], v[0:1]
	s_cbranch_scc1 .LBB14_902
; %bb.896:
	s_cmp_gt_i32 s17, 25
	s_mov_b32 s13, 0
	s_cbranch_scc0 .LBB14_913
; %bb.897:
	s_cmp_gt_i32 s17, 28
	s_cbranch_scc0 .LBB14_914
; %bb.898:
	s_cmp_gt_i32 s17, 43
	;; [unrolled: 3-line block ×3, first 2 shown]
	s_cbranch_scc0 .LBB14_928
; %bb.900:
	s_cmp_eq_u32 s17, 46
	s_cbranch_scc0 .LBB14_931
; %bb.901:
	global_load_b32 v1, v[2:3], off
	s_mov_b32 s0, 0
	s_mov_b32 s16, -1
	s_wait_loadcnt 0x0
	v_lshlrev_b32_e32 v1, 16, v1
	s_delay_alu instid0(VALU_DEP_1) | instskip(NEXT) | instid1(VALU_DEP_1)
	v_trunc_f32_e32 v1, v1
	v_mul_f32_e64 v4, 0x2f800000, |v1|
	s_delay_alu instid0(VALU_DEP_1) | instskip(SKIP_1) | instid1(VALU_DEP_2)
	v_floor_f32_e32 v5, v4
	v_ashrrev_i32_e32 v4, 31, v1
	v_fma_f32 v7, 0xcf800000, v5, |v1|
	v_cvt_u32_f32_e32 v1, v5
	s_delay_alu instid0(VALU_DEP_3) | instskip(NEXT) | instid1(VALU_DEP_3)
	v_mov_b32_e32 v5, v4
	v_cvt_u32_f32_e32 v7, v7
	s_delay_alu instid0(VALU_DEP_3) | instskip(NEXT) | instid1(VALU_DEP_2)
	v_xor_b32_e32 v9, v1, v4
	v_xor_b32_e32 v8, v7, v4
	s_delay_alu instid0(VALU_DEP_1)
	v_sub_nc_u64_e32 v[4:5], v[8:9], v[4:5]
	s_branch .LBB14_933
.LBB14_902:
	s_mov_b32 s16, 0
	s_mov_b32 s1, s15
                                        ; implicit-def: $vgpr4_vgpr5
	s_cbranch_execnz .LBB14_993
.LBB14_903:
	s_and_not1_b32 vcc_lo, exec_lo, s16
	s_cbranch_vccnz .LBB14_1038
.LBB14_904:
	s_wait_loadcnt 0x0
	s_delay_alu instid0(VALU_DEP_1)
	v_cmp_gt_i64_e32 vcc_lo, s[8:9], v[4:5]
	v_cmp_le_i64_e64 s0, s[10:11], v[4:5]
	s_get_pc_i64 s[18:19]
	s_add_nc_u64 s[18:19], s[18:19], .str@rel64+4
	s_or_b32 s0, vcc_lo, s0
	s_cmp_eq_u64 s[18:19], 0
	s_cselect_b32 s13, -1, 0
	s_delay_alu instid0(SALU_CYCLE_1) | instskip(SKIP_2) | instid1(SALU_CYCLE_1)
	s_or_b32 s0, s13, s0
	s_wait_xcnt 0x0
	s_and_saveexec_b32 s13, s0
	s_xor_b32 s0, exec_lo, s13
	s_cbranch_execnz .LBB14_1288
.LBB14_905:
	s_or_saveexec_b32 s13, s0
	s_mov_b32 s16, 0
	s_mov_b32 s19, 0
                                        ; implicit-def: $sgpr0
                                        ; implicit-def: $vgpr2_vgpr3
	s_xor_b32 exec_lo, exec_lo, s13
	s_cbranch_execz .LBB14_1727
; %bb.906:
	s_lshl_b32 s20, s3, 7
	s_cmp_lt_i32 s17, 11
	v_add_nc_u32_e32 v0, s20, v0
	s_delay_alu instid0(VALU_DEP_1) | instskip(NEXT) | instid1(VALU_DEP_1)
	v_ashrrev_i32_e32 v1, 31, v0
	v_add_nc_u64_e32 v[2:3], s[6:7], v[0:1]
	s_cbranch_scc1 .LBB14_915
; %bb.907:
	s_cmp_gt_i32 s17, 25
	s_cbranch_scc0 .LBB14_927
; %bb.908:
	s_cmp_gt_i32 s17, 28
	s_cbranch_scc0 .LBB14_929
	;; [unrolled: 3-line block ×4, first 2 shown]
; %bb.911:
	s_cmp_eq_u32 s17, 46
	s_mov_b32 s3, 0
	s_cbranch_scc0 .LBB14_1042
; %bb.912:
	global_load_b32 v1, v[2:3], off
	s_mov_b32 s0, 0
	s_mov_b32 s18, -1
	s_wait_loadcnt 0x0
	v_lshlrev_b32_e32 v1, 16, v1
	s_delay_alu instid0(VALU_DEP_1) | instskip(NEXT) | instid1(VALU_DEP_1)
	v_trunc_f32_e32 v1, v1
	v_mul_f32_e64 v4, 0x2f800000, |v1|
	s_delay_alu instid0(VALU_DEP_1) | instskip(SKIP_1) | instid1(VALU_DEP_2)
	v_floor_f32_e32 v5, v4
	v_ashrrev_i32_e32 v4, 31, v1
	v_fma_f32 v7, 0xcf800000, v5, |v1|
	v_cvt_u32_f32_e32 v1, v5
	s_delay_alu instid0(VALU_DEP_3) | instskip(NEXT) | instid1(VALU_DEP_3)
	v_mov_b32_e32 v5, v4
	v_cvt_u32_f32_e32 v7, v7
	s_delay_alu instid0(VALU_DEP_3) | instskip(NEXT) | instid1(VALU_DEP_2)
	v_xor_b32_e32 v9, v1, v4
	v_xor_b32_e32 v8, v7, v4
	s_delay_alu instid0(VALU_DEP_1)
	v_sub_nc_u64_e32 v[4:5], v[8:9], v[4:5]
	s_branch .LBB14_1044
.LBB14_913:
	s_mov_b32 s16, 0
	s_mov_b32 s0, 0
                                        ; implicit-def: $vgpr4_vgpr5
	s_cbranch_execnz .LBB14_960
	s_branch .LBB14_989
.LBB14_914:
	s_mov_b32 s16, 0
	s_mov_b32 s0, 0
                                        ; implicit-def: $vgpr4_vgpr5
	s_cbranch_execz .LBB14_959
	s_branch .LBB14_944
.LBB14_915:
	s_mov_b32 s18, 0
	s_mov_b32 s3, s1
                                        ; implicit-def: $vgpr4_vgpr5
	s_cbranch_execnz .LBB14_1107
.LBB14_916:
	s_and_not1_b32 vcc_lo, exec_lo, s18
	s_cbranch_vccnz .LBB14_1155
.LBB14_917:
	s_wait_loadcnt 0x0
	s_delay_alu instid0(VALU_DEP_1) | instskip(SKIP_4) | instid1(SALU_CYCLE_1)
	v_cmp_gt_i64_e32 vcc_lo, s[8:9], v[4:5]
	v_cmp_le_i64_e64 s0, s[10:11], v[4:5]
	s_or_b32 s0, vcc_lo, s0
	s_wait_xcnt 0x0
	s_and_saveexec_b32 s16, s0
	s_xor_b32 s0, exec_lo, s16
	s_cbranch_execnz .LBB14_1775
.LBB14_918:
	s_or_saveexec_b32 s16, s0
	s_mov_b32 s18, 0
	s_mov_b32 s19, 0
                                        ; implicit-def: $sgpr0
                                        ; implicit-def: $vgpr2_vgpr3
	s_xor_b32 exec_lo, exec_lo, s16
	s_cbranch_execz .LBB14_1725
; %bb.919:
	v_add_nc_u32_e32 v0, s20, v0
	s_cmp_lt_i32 s17, 11
	s_delay_alu instid0(VALU_DEP_1) | instskip(NEXT) | instid1(VALU_DEP_1)
	v_ashrrev_i32_e32 v1, 31, v0
	v_add_nc_u64_e32 v[2:3], s[6:7], v[0:1]
	s_cbranch_scc1 .LBB14_930
; %bb.920:
	s_cmp_gt_i32 s17, 25
	s_cbranch_scc0 .LBB14_938
; %bb.921:
	s_cmp_gt_i32 s17, 28
	s_cbranch_scc0 .LBB14_1041
	;; [unrolled: 3-line block ×4, first 2 shown]
; %bb.924:
	s_cmp_eq_u32 s17, 46
	s_cbranch_scc0 .LBB14_1158
; %bb.925:
	global_load_b32 v1, v[2:3], off
	s_mov_b32 s0, 0
	s_mov_b32 s21, -1
	s_wait_loadcnt 0x0
	v_lshlrev_b32_e32 v1, 16, v1
	s_delay_alu instid0(VALU_DEP_1) | instskip(NEXT) | instid1(VALU_DEP_1)
	v_trunc_f32_e32 v1, v1
	v_mul_f32_e64 v4, 0x2f800000, |v1|
	s_delay_alu instid0(VALU_DEP_1) | instskip(SKIP_1) | instid1(VALU_DEP_2)
	v_floor_f32_e32 v5, v4
	v_ashrrev_i32_e32 v4, 31, v1
	v_fma_f32 v7, 0xcf800000, v5, |v1|
	v_cvt_u32_f32_e32 v1, v5
	s_delay_alu instid0(VALU_DEP_3) | instskip(NEXT) | instid1(VALU_DEP_3)
	v_mov_b32_e32 v5, v4
	v_cvt_u32_f32_e32 v7, v7
	s_delay_alu instid0(VALU_DEP_3) | instskip(NEXT) | instid1(VALU_DEP_2)
	v_xor_b32_e32 v9, v1, v4
	v_xor_b32_e32 v8, v7, v4
	s_delay_alu instid0(VALU_DEP_1)
	v_sub_nc_u64_e32 v[4:5], v[8:9], v[4:5]
	s_branch .LBB14_1160
.LBB14_926:
	s_mov_b32 s16, 0
	s_mov_b32 s0, 0
                                        ; implicit-def: $vgpr4_vgpr5
	s_cbranch_execnz .LBB14_940
	s_branch .LBB14_943
.LBB14_927:
	s_mov_b32 s3, -1
	s_mov_b32 s18, 0
	s_mov_b32 s0, 0
                                        ; implicit-def: $vgpr4_vgpr5
	s_branch .LBB14_1072
.LBB14_928:
	s_mov_b32 s1, -1
	s_mov_b32 s16, 0
	s_mov_b32 s0, 0
	s_branch .LBB14_932
.LBB14_929:
	s_mov_b32 s3, -1
	s_mov_b32 s18, 0
	s_mov_b32 s0, 0
                                        ; implicit-def: $vgpr4_vgpr5
	s_branch .LBB14_1055
.LBB14_930:
	s_mov_b32 s0, -1
	s_mov_b32 s21, 0
	s_mov_b32 s18, s3
                                        ; implicit-def: $vgpr4_vgpr5
	s_branch .LBB14_1222
.LBB14_931:
	s_mov_b32 s0, -1
	s_mov_b32 s16, 0
.LBB14_932:
                                        ; implicit-def: $vgpr4_vgpr5
.LBB14_933:
	s_and_b32 vcc_lo, exec_lo, s1
	s_cbranch_vccz .LBB14_936
; %bb.934:
	s_cmp_eq_u32 s17, 44
	s_cbranch_scc0 .LBB14_939
; %bb.935:
	global_load_u8 v1, v[2:3], off
	s_mov_b32 s0, 0
	s_mov_b32 s16, -1
	s_wait_loadcnt 0x0
	v_lshlrev_b32_e32 v4, 23, v1
	v_cmp_ne_u32_e32 vcc_lo, 0, v1
	s_delay_alu instid0(VALU_DEP_2) | instskip(NEXT) | instid1(VALU_DEP_1)
	v_trunc_f32_e32 v4, v4
	v_mul_f32_e64 v5, 0x2f800000, |v4|
	s_delay_alu instid0(VALU_DEP_1) | instskip(NEXT) | instid1(VALU_DEP_1)
	v_floor_f32_e32 v5, v5
	v_fma_f32 v7, 0xcf800000, v5, |v4|
	v_ashrrev_i32_e32 v4, 31, v4
	v_cvt_u32_f32_e32 v8, v5
	s_delay_alu instid0(VALU_DEP_3) | instskip(NEXT) | instid1(VALU_DEP_3)
	v_cvt_u32_f32_e32 v7, v7
	v_mov_b32_e32 v5, v4
	s_delay_alu instid0(VALU_DEP_3) | instskip(NEXT) | instid1(VALU_DEP_3)
	v_xor_b32_e32 v9, v8, v4
	v_xor_b32_e32 v8, v7, v4
	s_delay_alu instid0(VALU_DEP_1) | instskip(NEXT) | instid1(VALU_DEP_1)
	v_sub_nc_u64_e32 v[4:5], v[8:9], v[4:5]
	v_dual_cndmask_b32 v5, 0, v5 :: v_dual_cndmask_b32 v4, 0, v4
.LBB14_936:
	s_branch .LBB14_943
.LBB14_937:
	s_mov_b32 s3, -1
	s_mov_b32 s18, 0
	s_mov_b32 s0, 0
                                        ; implicit-def: $vgpr4_vgpr5
	s_branch .LBB14_1050
.LBB14_938:
	s_mov_b32 s18, -1
	s_mov_b32 s21, 0
	s_mov_b32 s0, 0
                                        ; implicit-def: $vgpr4_vgpr5
	s_branch .LBB14_1187
.LBB14_939:
	s_mov_b32 s0, -1
                                        ; implicit-def: $vgpr4_vgpr5
	s_branch .LBB14_943
.LBB14_940:
	s_cmp_eq_u32 s17, 29
	s_cbranch_scc0 .LBB14_942
; %bb.941:
	global_load_b64 v[4:5], v[2:3], off
	s_mov_b32 s0, 0
	s_mov_b32 s16, -1
	s_branch .LBB14_943
.LBB14_942:
	s_mov_b32 s0, -1
                                        ; implicit-def: $vgpr4_vgpr5
.LBB14_943:
	s_branch .LBB14_959
.LBB14_944:
	s_cmp_lt_i32 s17, 27
	s_cbranch_scc1 .LBB14_947
; %bb.945:
	s_cmp_gt_i32 s17, 27
	s_cbranch_scc0 .LBB14_948
; %bb.946:
	s_wait_loadcnt 0x0
	global_load_b32 v4, v[2:3], off
	v_mov_b32_e32 v5, 0
	s_mov_b32 s1, 0
	s_branch .LBB14_949
.LBB14_947:
	s_mov_b32 s1, -1
                                        ; implicit-def: $vgpr4_vgpr5
	s_branch .LBB14_952
.LBB14_948:
	s_mov_b32 s1, -1
                                        ; implicit-def: $vgpr4_vgpr5
.LBB14_949:
	s_delay_alu instid0(SALU_CYCLE_1)
	s_and_not1_b32 vcc_lo, exec_lo, s1
	s_cbranch_vccnz .LBB14_951
; %bb.950:
	global_load_u16 v1, v[2:3], off
	s_mov_b32 s1, 0
	s_wait_loadcnt 0x1
	v_mov_b32_e32 v5, s1
	s_wait_loadcnt 0x0
	v_and_b32_e32 v4, 0xffff, v1
.LBB14_951:
	s_mov_b32 s1, 0
.LBB14_952:
	s_delay_alu instid0(SALU_CYCLE_1)
	s_and_not1_b32 vcc_lo, exec_lo, s1
	s_cbranch_vccnz .LBB14_958
; %bb.953:
	global_load_u8 v1, v[2:3], off
	s_mov_b32 s16, 0
	s_mov_b32 s1, exec_lo
	s_wait_loadcnt 0x0
	v_cmpx_lt_i16_e32 0x7f, v1
	s_xor_b32 s1, exec_lo, s1
	s_cbranch_execz .LBB14_969
; %bb.954:
	v_cmp_ne_u16_e32 vcc_lo, 0x80, v1
	s_and_b32 s16, vcc_lo, exec_lo
	s_and_not1_saveexec_b32 s1, s1
	s_cbranch_execnz .LBB14_970
.LBB14_955:
	s_or_b32 exec_lo, exec_lo, s1
	v_mov_b64_e32 v[4:5], 0
	s_and_saveexec_b32 s1, s16
	s_cbranch_execz .LBB14_957
.LBB14_956:
	v_and_b32_e32 v4, 0xffff, v1
	s_delay_alu instid0(VALU_DEP_1) | instskip(SKIP_1) | instid1(VALU_DEP_2)
	v_and_b32_e32 v5, 7, v4
	v_bfe_u32 v9, v4, 3, 4
	v_clz_i32_u32_e32 v7, v5
	s_delay_alu instid0(VALU_DEP_2) | instskip(NEXT) | instid1(VALU_DEP_2)
	v_cmp_eq_u32_e32 vcc_lo, 0, v9
	v_min_u32_e32 v7, 32, v7
	s_delay_alu instid0(VALU_DEP_1) | instskip(NEXT) | instid1(VALU_DEP_1)
	v_subrev_nc_u32_e32 v8, 28, v7
	v_dual_lshlrev_b32 v4, v8, v4 :: v_dual_sub_nc_u32 v7, 29, v7
	s_delay_alu instid0(VALU_DEP_1) | instskip(NEXT) | instid1(VALU_DEP_2)
	v_dual_lshlrev_b32 v1, 24, v1 :: v_dual_bitop2_b32 v4, 7, v4 bitop3:0x40
	v_cndmask_b32_e32 v7, v9, v7, vcc_lo
	s_delay_alu instid0(VALU_DEP_2) | instskip(NEXT) | instid1(VALU_DEP_3)
	v_cndmask_b32_e32 v4, v5, v4, vcc_lo
	v_and_b32_e32 v1, 0x80000000, v1
	s_delay_alu instid0(VALU_DEP_3) | instskip(NEXT) | instid1(VALU_DEP_3)
	v_lshl_add_u32 v5, v7, 23, 0x3b800000
	v_lshlrev_b32_e32 v4, 20, v4
	s_delay_alu instid0(VALU_DEP_1) | instskip(NEXT) | instid1(VALU_DEP_1)
	v_or3_b32 v1, v1, v5, v4
	v_trunc_f32_e32 v1, v1
	s_delay_alu instid0(VALU_DEP_1) | instskip(NEXT) | instid1(VALU_DEP_1)
	v_mul_f32_e64 v4, 0x2f800000, |v1|
	v_floor_f32_e32 v5, v4
	v_ashrrev_i32_e32 v4, 31, v1
	s_delay_alu instid0(VALU_DEP_2) | instskip(SKIP_1) | instid1(VALU_DEP_3)
	v_fma_f32 v7, 0xcf800000, v5, |v1|
	v_cvt_u32_f32_e32 v1, v5
	v_mov_b32_e32 v5, v4
	s_delay_alu instid0(VALU_DEP_3) | instskip(NEXT) | instid1(VALU_DEP_3)
	v_cvt_u32_f32_e32 v7, v7
	v_xor_b32_e32 v9, v1, v4
	s_delay_alu instid0(VALU_DEP_2) | instskip(NEXT) | instid1(VALU_DEP_1)
	v_xor_b32_e32 v8, v7, v4
	v_sub_nc_u64_e32 v[4:5], v[8:9], v[4:5]
.LBB14_957:
	s_or_b32 exec_lo, exec_lo, s1
.LBB14_958:
	s_mov_b32 s16, -1
.LBB14_959:
	s_branch .LBB14_989
.LBB14_960:
	s_cmp_gt_i32 s17, 22
	s_cbranch_scc0 .LBB14_968
; %bb.961:
	s_cmp_lt_i32 s17, 24
	s_cbranch_scc1 .LBB14_971
; %bb.962:
	s_cmp_gt_i32 s17, 24
	s_cbranch_scc0 .LBB14_972
; %bb.963:
	global_load_u8 v1, v[2:3], off
	s_mov_b32 s1, exec_lo
	s_wait_loadcnt 0x0
	v_cmpx_lt_i16_e32 0x7f, v1
	s_xor_b32 s1, exec_lo, s1
	s_cbranch_execz .LBB14_983
; %bb.964:
	v_cmp_ne_u16_e32 vcc_lo, 0x80, v1
	s_and_b32 s13, vcc_lo, exec_lo
	s_and_not1_saveexec_b32 s1, s1
	s_cbranch_execnz .LBB14_984
.LBB14_965:
	s_or_b32 exec_lo, exec_lo, s1
	v_mov_b64_e32 v[4:5], 0
	s_and_saveexec_b32 s1, s13
	s_cbranch_execz .LBB14_967
.LBB14_966:
	v_and_b32_e32 v4, 0xffff, v1
	s_delay_alu instid0(VALU_DEP_1) | instskip(SKIP_1) | instid1(VALU_DEP_2)
	v_and_b32_e32 v5, 3, v4
	v_bfe_u32 v9, v4, 2, 5
	v_clz_i32_u32_e32 v7, v5
	s_delay_alu instid0(VALU_DEP_2) | instskip(NEXT) | instid1(VALU_DEP_2)
	v_cmp_eq_u32_e32 vcc_lo, 0, v9
	v_min_u32_e32 v7, 32, v7
	s_delay_alu instid0(VALU_DEP_1) | instskip(NEXT) | instid1(VALU_DEP_1)
	v_subrev_nc_u32_e32 v8, 29, v7
	v_dual_lshlrev_b32 v4, v8, v4 :: v_dual_sub_nc_u32 v7, 30, v7
	s_delay_alu instid0(VALU_DEP_1) | instskip(NEXT) | instid1(VALU_DEP_2)
	v_dual_lshlrev_b32 v1, 24, v1 :: v_dual_bitop2_b32 v4, 3, v4 bitop3:0x40
	v_cndmask_b32_e32 v7, v9, v7, vcc_lo
	s_delay_alu instid0(VALU_DEP_2) | instskip(NEXT) | instid1(VALU_DEP_3)
	v_cndmask_b32_e32 v4, v5, v4, vcc_lo
	v_and_b32_e32 v1, 0x80000000, v1
	s_delay_alu instid0(VALU_DEP_3) | instskip(NEXT) | instid1(VALU_DEP_3)
	v_lshl_add_u32 v5, v7, 23, 0x37800000
	v_lshlrev_b32_e32 v4, 21, v4
	s_delay_alu instid0(VALU_DEP_1) | instskip(NEXT) | instid1(VALU_DEP_1)
	v_or3_b32 v1, v1, v5, v4
	v_trunc_f32_e32 v1, v1
	s_delay_alu instid0(VALU_DEP_1) | instskip(NEXT) | instid1(VALU_DEP_1)
	v_mul_f32_e64 v4, 0x2f800000, |v1|
	v_floor_f32_e32 v5, v4
	v_ashrrev_i32_e32 v4, 31, v1
	s_delay_alu instid0(VALU_DEP_2) | instskip(SKIP_1) | instid1(VALU_DEP_3)
	v_fma_f32 v7, 0xcf800000, v5, |v1|
	v_cvt_u32_f32_e32 v1, v5
	v_mov_b32_e32 v5, v4
	s_delay_alu instid0(VALU_DEP_3) | instskip(NEXT) | instid1(VALU_DEP_3)
	v_cvt_u32_f32_e32 v7, v7
	v_xor_b32_e32 v9, v1, v4
	s_delay_alu instid0(VALU_DEP_2) | instskip(NEXT) | instid1(VALU_DEP_1)
	v_xor_b32_e32 v8, v7, v4
	v_sub_nc_u64_e32 v[4:5], v[8:9], v[4:5]
.LBB14_967:
	s_or_b32 exec_lo, exec_lo, s1
	s_mov_b32 s1, 0
	s_branch .LBB14_973
.LBB14_968:
                                        ; implicit-def: $vgpr4_vgpr5
	s_mov_b32 s13, 0
	s_branch .LBB14_979
.LBB14_969:
	s_and_not1_saveexec_b32 s1, s1
	s_cbranch_execz .LBB14_955
.LBB14_970:
	v_cmp_ne_u16_e32 vcc_lo, 0, v1
	s_and_not1_b32 s16, s16, exec_lo
	s_and_b32 s18, vcc_lo, exec_lo
	s_delay_alu instid0(SALU_CYCLE_1)
	s_or_b32 s16, s16, s18
	s_or_b32 exec_lo, exec_lo, s1
	v_mov_b64_e32 v[4:5], 0
	s_and_saveexec_b32 s1, s16
	s_cbranch_execnz .LBB14_956
	s_branch .LBB14_957
.LBB14_971:
	s_mov_b32 s1, -1
                                        ; implicit-def: $vgpr4_vgpr5
	s_branch .LBB14_976
.LBB14_972:
	s_mov_b32 s1, -1
                                        ; implicit-def: $vgpr4_vgpr5
.LBB14_973:
	s_delay_alu instid0(SALU_CYCLE_1)
	s_and_b32 vcc_lo, exec_lo, s1
	s_cbranch_vccz .LBB14_975
; %bb.974:
	global_load_u8 v1, v[2:3], off
	s_wait_loadcnt 0x0
	v_lshlrev_b32_e32 v1, 24, v1
	s_delay_alu instid0(VALU_DEP_1) | instskip(NEXT) | instid1(VALU_DEP_1)
	v_and_b32_e32 v4, 0x7f000000, v1
	v_clz_i32_u32_e32 v5, v4
	v_add_nc_u32_e32 v8, 0x1000000, v4
	v_cmp_ne_u32_e32 vcc_lo, 0, v4
	s_delay_alu instid0(VALU_DEP_3) | instskip(NEXT) | instid1(VALU_DEP_1)
	v_min_u32_e32 v5, 32, v5
	v_sub_nc_u32_e64 v5, v5, 4 clamp
	s_delay_alu instid0(VALU_DEP_1) | instskip(NEXT) | instid1(VALU_DEP_1)
	v_dual_lshlrev_b32 v7, v5, v4 :: v_dual_lshlrev_b32 v5, 23, v5
	v_lshrrev_b32_e32 v7, 4, v7
	s_delay_alu instid0(VALU_DEP_1) | instskip(NEXT) | instid1(VALU_DEP_1)
	v_dual_sub_nc_u32 v5, v7, v5 :: v_dual_ashrrev_i32 v7, 8, v8
	v_add_nc_u32_e32 v5, 0x3c000000, v5
	s_delay_alu instid0(VALU_DEP_1) | instskip(NEXT) | instid1(VALU_DEP_1)
	v_and_or_b32 v5, 0x7f800000, v7, v5
	v_cndmask_b32_e32 v4, 0, v5, vcc_lo
	s_delay_alu instid0(VALU_DEP_1) | instskip(NEXT) | instid1(VALU_DEP_1)
	v_and_or_b32 v1, 0x80000000, v1, v4
	v_trunc_f32_e32 v1, v1
	s_delay_alu instid0(VALU_DEP_1) | instskip(NEXT) | instid1(VALU_DEP_1)
	v_mul_f32_e64 v4, 0x2f800000, |v1|
	v_floor_f32_e32 v5, v4
	v_ashrrev_i32_e32 v4, 31, v1
	s_delay_alu instid0(VALU_DEP_2) | instskip(SKIP_1) | instid1(VALU_DEP_3)
	v_fma_f32 v7, 0xcf800000, v5, |v1|
	v_cvt_u32_f32_e32 v1, v5
	v_mov_b32_e32 v5, v4
	s_delay_alu instid0(VALU_DEP_3) | instskip(NEXT) | instid1(VALU_DEP_3)
	v_cvt_u32_f32_e32 v7, v7
	v_xor_b32_e32 v9, v1, v4
	s_delay_alu instid0(VALU_DEP_2) | instskip(NEXT) | instid1(VALU_DEP_1)
	v_xor_b32_e32 v8, v7, v4
	v_sub_nc_u64_e32 v[4:5], v[8:9], v[4:5]
.LBB14_975:
	s_mov_b32 s1, 0
.LBB14_976:
	s_delay_alu instid0(SALU_CYCLE_1)
	s_and_not1_b32 vcc_lo, exec_lo, s1
	s_cbranch_vccnz .LBB14_978
; %bb.977:
	global_load_u8 v1, v[2:3], off
	s_wait_loadcnt 0x0
	v_lshlrev_b32_e32 v4, 25, v1
	v_lshlrev_b16 v1, 8, v1
	s_delay_alu instid0(VALU_DEP_1) | instskip(SKIP_1) | instid1(VALU_DEP_2)
	v_and_or_b32 v7, 0x7f00, v1, 0.5
	v_bfe_i32 v1, v1, 0, 16
	v_dual_add_f32 v7, -0.5, v7 :: v_dual_lshrrev_b32 v5, 4, v4
	v_cmp_gt_u32_e32 vcc_lo, 0x8000000, v4
	s_delay_alu instid0(VALU_DEP_2) | instskip(NEXT) | instid1(VALU_DEP_1)
	v_or_b32_e32 v5, 0x70000000, v5
	v_mul_f32_e32 v5, 0x7800000, v5
	s_delay_alu instid0(VALU_DEP_1) | instskip(NEXT) | instid1(VALU_DEP_1)
	v_cndmask_b32_e32 v4, v5, v7, vcc_lo
	v_and_or_b32 v1, 0x80000000, v1, v4
	s_delay_alu instid0(VALU_DEP_1) | instskip(NEXT) | instid1(VALU_DEP_1)
	v_trunc_f32_e32 v1, v1
	v_mul_f32_e64 v4, 0x2f800000, |v1|
	s_delay_alu instid0(VALU_DEP_1) | instskip(SKIP_1) | instid1(VALU_DEP_2)
	v_floor_f32_e32 v5, v4
	v_ashrrev_i32_e32 v4, 31, v1
	v_fma_f32 v7, 0xcf800000, v5, |v1|
	v_cvt_u32_f32_e32 v1, v5
	s_delay_alu instid0(VALU_DEP_3) | instskip(NEXT) | instid1(VALU_DEP_3)
	v_mov_b32_e32 v5, v4
	v_cvt_u32_f32_e32 v7, v7
	s_delay_alu instid0(VALU_DEP_3) | instskip(NEXT) | instid1(VALU_DEP_2)
	v_xor_b32_e32 v9, v1, v4
	v_xor_b32_e32 v8, v7, v4
	s_delay_alu instid0(VALU_DEP_1)
	v_sub_nc_u64_e32 v[4:5], v[8:9], v[4:5]
.LBB14_978:
	s_mov_b32 s16, -1
	s_mov_b32 s13, 0
	s_cbranch_execnz .LBB14_989
.LBB14_979:
	s_cmp_gt_i32 s17, 14
	s_cbranch_scc0 .LBB14_982
; %bb.980:
	s_cmp_eq_u32 s17, 15
	s_cbranch_scc0 .LBB14_985
; %bb.981:
	global_load_u16 v1, v[2:3], off
	s_mov_b32 s0, 0
	s_mov_b32 s16, -1
	s_wait_loadcnt 0x0
	v_lshlrev_b32_e32 v1, 16, v1
	s_delay_alu instid0(VALU_DEP_1) | instskip(NEXT) | instid1(VALU_DEP_1)
	v_trunc_f32_e32 v1, v1
	v_mul_f32_e64 v4, 0x2f800000, |v1|
	s_delay_alu instid0(VALU_DEP_1) | instskip(SKIP_1) | instid1(VALU_DEP_2)
	v_floor_f32_e32 v5, v4
	v_ashrrev_i32_e32 v4, 31, v1
	v_fma_f32 v7, 0xcf800000, v5, |v1|
	v_cvt_u32_f32_e32 v1, v5
	s_delay_alu instid0(VALU_DEP_3) | instskip(NEXT) | instid1(VALU_DEP_3)
	v_mov_b32_e32 v5, v4
	v_cvt_u32_f32_e32 v7, v7
	s_delay_alu instid0(VALU_DEP_3) | instskip(NEXT) | instid1(VALU_DEP_2)
	v_xor_b32_e32 v9, v1, v4
	v_xor_b32_e32 v8, v7, v4
	s_delay_alu instid0(VALU_DEP_1)
	v_sub_nc_u64_e32 v[4:5], v[8:9], v[4:5]
	s_branch .LBB14_986
.LBB14_982:
	s_mov_b32 s1, -1
                                        ; implicit-def: $vgpr4_vgpr5
	s_branch .LBB14_987
.LBB14_983:
	s_and_not1_saveexec_b32 s1, s1
	s_cbranch_execz .LBB14_965
.LBB14_984:
	v_cmp_ne_u16_e32 vcc_lo, 0, v1
	s_and_not1_b32 s13, s13, exec_lo
	s_and_b32 s16, vcc_lo, exec_lo
	s_delay_alu instid0(SALU_CYCLE_1)
	s_or_b32 s13, s13, s16
	s_or_b32 exec_lo, exec_lo, s1
	v_mov_b64_e32 v[4:5], 0
	s_and_saveexec_b32 s1, s13
	s_cbranch_execnz .LBB14_966
	s_branch .LBB14_967
.LBB14_985:
	s_mov_b32 s0, -1
                                        ; implicit-def: $vgpr4_vgpr5
.LBB14_986:
	s_mov_b32 s1, 0
.LBB14_987:
	s_delay_alu instid0(SALU_CYCLE_1)
	s_and_b32 vcc_lo, exec_lo, s1
	s_cbranch_vccz .LBB14_989
; %bb.988:
	s_cmp_lg_u32 s17, 11
	s_mov_b32 s13, -1
	s_cselect_b32 s0, -1, 0
.LBB14_989:
	s_delay_alu instid0(SALU_CYCLE_1)
	s_and_b32 vcc_lo, exec_lo, s0
	s_mov_b32 s1, s15
	s_cbranch_vccnz .LBB14_1039
; %bb.990:
	s_and_not1_b32 vcc_lo, exec_lo, s13
	s_cbranch_vccnz .LBB14_992
.LBB14_991:
	global_load_u8 v1, v[2:3], off
	s_mov_b32 s0, 0
	s_mov_b32 s16, -1
	s_wait_loadcnt 0x1
	v_mov_b32_e32 v5, s0
	s_wait_loadcnt 0x0
	v_cmp_ne_u16_e32 vcc_lo, 0, v1
	v_cndmask_b32_e64 v4, 0, 1, vcc_lo
.LBB14_992:
	s_branch .LBB14_903
.LBB14_993:
	s_cmp_lt_i32 s17, 5
	s_cbranch_scc1 .LBB14_998
; %bb.994:
	s_cmp_lt_i32 s17, 8
	s_cbranch_scc1 .LBB14_999
; %bb.995:
	;; [unrolled: 3-line block ×3, first 2 shown]
	s_cmp_gt_i32 s17, 9
	s_cbranch_scc0 .LBB14_1001
; %bb.997:
	s_wait_loadcnt 0x0
	global_load_b64 v[4:5], v[2:3], off
	s_mov_b32 s0, 0
	s_wait_loadcnt 0x0
	v_trunc_f64_e32 v[4:5], v[4:5]
	s_delay_alu instid0(VALU_DEP_1) | instskip(NEXT) | instid1(VALU_DEP_1)
	v_ldexp_f64 v[8:9], v[4:5], 0xffffffe0
	v_floor_f64_e32 v[8:9], v[8:9]
	s_delay_alu instid0(VALU_DEP_1) | instskip(SKIP_1) | instid1(VALU_DEP_2)
	v_fmamk_f64 v[10:11], v[8:9], 0xc1f00000, v[4:5]
	v_cvt_i32_f64_e32 v5, v[8:9]
	v_cvt_u32_f64_e32 v4, v[10:11]
	s_branch .LBB14_1002
.LBB14_998:
                                        ; implicit-def: $vgpr4_vgpr5
	s_branch .LBB14_1019
.LBB14_999:
                                        ; implicit-def: $vgpr4_vgpr5
	s_branch .LBB14_1008
.LBB14_1000:
	s_mov_b32 s0, -1
                                        ; implicit-def: $vgpr4_vgpr5
	s_branch .LBB14_1005
.LBB14_1001:
	s_mov_b32 s0, -1
                                        ; implicit-def: $vgpr4_vgpr5
.LBB14_1002:
	s_delay_alu instid0(SALU_CYCLE_1)
	s_and_not1_b32 vcc_lo, exec_lo, s0
	s_cbranch_vccnz .LBB14_1004
; %bb.1003:
	global_load_b32 v1, v[2:3], off
	s_wait_loadcnt 0x0
	v_trunc_f32_e32 v1, v1
	s_delay_alu instid0(VALU_DEP_1) | instskip(NEXT) | instid1(VALU_DEP_1)
	v_mul_f32_e64 v4, 0x2f800000, |v1|
	v_floor_f32_e32 v5, v4
	v_ashrrev_i32_e32 v4, 31, v1
	s_delay_alu instid0(VALU_DEP_2) | instskip(SKIP_1) | instid1(VALU_DEP_3)
	v_fma_f32 v7, 0xcf800000, v5, |v1|
	v_cvt_u32_f32_e32 v1, v5
	v_mov_b32_e32 v5, v4
	s_delay_alu instid0(VALU_DEP_3) | instskip(NEXT) | instid1(VALU_DEP_3)
	v_cvt_u32_f32_e32 v7, v7
	v_xor_b32_e32 v9, v1, v4
	s_delay_alu instid0(VALU_DEP_2) | instskip(NEXT) | instid1(VALU_DEP_1)
	v_xor_b32_e32 v8, v7, v4
	v_sub_nc_u64_e32 v[4:5], v[8:9], v[4:5]
.LBB14_1004:
	s_mov_b32 s0, 0
.LBB14_1005:
	s_delay_alu instid0(SALU_CYCLE_1)
	s_and_not1_b32 vcc_lo, exec_lo, s0
	s_cbranch_vccnz .LBB14_1007
; %bb.1006:
	global_load_b32 v1, v[2:3], off
	s_wait_loadcnt 0x0
	v_cvt_f32_f16_e32 v1, v1
	s_delay_alu instid0(VALU_DEP_1) | instskip(NEXT) | instid1(VALU_DEP_1)
	v_cvt_i32_f32_e32 v4, v1
	v_ashrrev_i32_e32 v5, 31, v4
.LBB14_1007:
	s_cbranch_execnz .LBB14_1018
.LBB14_1008:
	s_cmp_lt_i32 s17, 6
	s_cbranch_scc1 .LBB14_1011
; %bb.1009:
	s_cmp_gt_i32 s17, 6
	s_cbranch_scc0 .LBB14_1012
; %bb.1010:
	s_wait_loadcnt 0x0
	global_load_b64 v[4:5], v[2:3], off
	s_mov_b32 s0, 0
	s_wait_loadcnt 0x0
	v_trunc_f64_e32 v[4:5], v[4:5]
	s_delay_alu instid0(VALU_DEP_1) | instskip(NEXT) | instid1(VALU_DEP_1)
	v_ldexp_f64 v[8:9], v[4:5], 0xffffffe0
	v_floor_f64_e32 v[8:9], v[8:9]
	s_delay_alu instid0(VALU_DEP_1) | instskip(SKIP_1) | instid1(VALU_DEP_2)
	v_fmamk_f64 v[10:11], v[8:9], 0xc1f00000, v[4:5]
	v_cvt_i32_f64_e32 v5, v[8:9]
	v_cvt_u32_f64_e32 v4, v[10:11]
	s_branch .LBB14_1013
.LBB14_1011:
	s_mov_b32 s0, -1
                                        ; implicit-def: $vgpr4_vgpr5
	s_branch .LBB14_1016
.LBB14_1012:
	s_mov_b32 s0, -1
                                        ; implicit-def: $vgpr4_vgpr5
.LBB14_1013:
	s_delay_alu instid0(SALU_CYCLE_1)
	s_and_not1_b32 vcc_lo, exec_lo, s0
	s_cbranch_vccnz .LBB14_1015
; %bb.1014:
	global_load_b32 v1, v[2:3], off
	s_wait_loadcnt 0x0
	v_trunc_f32_e32 v1, v1
	s_delay_alu instid0(VALU_DEP_1) | instskip(NEXT) | instid1(VALU_DEP_1)
	v_mul_f32_e64 v4, 0x2f800000, |v1|
	v_floor_f32_e32 v5, v4
	v_ashrrev_i32_e32 v4, 31, v1
	s_delay_alu instid0(VALU_DEP_2) | instskip(SKIP_1) | instid1(VALU_DEP_3)
	v_fma_f32 v7, 0xcf800000, v5, |v1|
	v_cvt_u32_f32_e32 v1, v5
	v_mov_b32_e32 v5, v4
	s_delay_alu instid0(VALU_DEP_3) | instskip(NEXT) | instid1(VALU_DEP_3)
	v_cvt_u32_f32_e32 v7, v7
	v_xor_b32_e32 v9, v1, v4
	s_delay_alu instid0(VALU_DEP_2) | instskip(NEXT) | instid1(VALU_DEP_1)
	v_xor_b32_e32 v8, v7, v4
	v_sub_nc_u64_e32 v[4:5], v[8:9], v[4:5]
.LBB14_1015:
	s_mov_b32 s0, 0
.LBB14_1016:
	s_delay_alu instid0(SALU_CYCLE_1)
	s_and_not1_b32 vcc_lo, exec_lo, s0
	s_cbranch_vccnz .LBB14_1018
; %bb.1017:
	global_load_u16 v1, v[2:3], off
	s_wait_loadcnt 0x0
	v_cvt_f32_f16_e32 v1, v1
	s_delay_alu instid0(VALU_DEP_1) | instskip(NEXT) | instid1(VALU_DEP_1)
	v_cvt_i32_f32_e32 v4, v1
	v_ashrrev_i32_e32 v5, 31, v4
.LBB14_1018:
	s_cbranch_execnz .LBB14_1037
.LBB14_1019:
	s_cmp_lt_i32 s17, 2
	s_cbranch_scc1 .LBB14_1023
; %bb.1020:
	s_cmp_lt_i32 s17, 3
	s_cbranch_scc1 .LBB14_1024
; %bb.1021:
	s_cmp_gt_i32 s17, 3
	s_cbranch_scc0 .LBB14_1025
; %bb.1022:
	s_wait_loadcnt 0x0
	global_load_b64 v[4:5], v[2:3], off
	s_mov_b32 s0, 0
	s_branch .LBB14_1026
.LBB14_1023:
                                        ; implicit-def: $vgpr4_vgpr5
	s_branch .LBB14_1032
.LBB14_1024:
	s_mov_b32 s0, -1
                                        ; implicit-def: $vgpr4_vgpr5
	s_branch .LBB14_1029
.LBB14_1025:
	s_mov_b32 s0, -1
                                        ; implicit-def: $vgpr4_vgpr5
.LBB14_1026:
	s_delay_alu instid0(SALU_CYCLE_1)
	s_and_not1_b32 vcc_lo, exec_lo, s0
	s_cbranch_vccnz .LBB14_1028
; %bb.1027:
	s_wait_loadcnt 0x0
	global_load_b32 v4, v[2:3], off
	s_wait_loadcnt 0x0
	v_ashrrev_i32_e32 v5, 31, v4
.LBB14_1028:
	s_mov_b32 s0, 0
.LBB14_1029:
	s_delay_alu instid0(SALU_CYCLE_1)
	s_and_not1_b32 vcc_lo, exec_lo, s0
	s_cbranch_vccnz .LBB14_1031
; %bb.1030:
	global_load_u16 v1, v[2:3], off
	s_wait_loadcnt 0x0
	v_bfe_i32 v4, v1, 0, 16
	s_delay_alu instid0(VALU_DEP_1)
	v_ashrrev_i32_e32 v5, 31, v4
.LBB14_1031:
	s_cbranch_execnz .LBB14_1037
.LBB14_1032:
	s_cmp_gt_i32 s17, 0
	s_mov_b32 s0, 0
	s_cbranch_scc0 .LBB14_1034
; %bb.1033:
	global_load_i8 v1, v[2:3], off
	s_wait_loadcnt 0x0
	v_bfe_i32 v4, v1, 0, 16
	s_delay_alu instid0(VALU_DEP_1)
	v_ashrrev_i32_e32 v5, 31, v4
	s_branch .LBB14_1035
.LBB14_1034:
	s_mov_b32 s0, -1
                                        ; implicit-def: $vgpr4_vgpr5
.LBB14_1035:
	s_delay_alu instid0(SALU_CYCLE_1)
	s_and_not1_b32 vcc_lo, exec_lo, s0
	s_cbranch_vccnz .LBB14_1037
; %bb.1036:
	global_load_u8 v1, v[2:3], off
	s_mov_b32 s0, 0
	s_wait_loadcnt 0x1
	v_mov_b32_e32 v5, s0
	s_wait_loadcnt 0x0
	v_and_b32_e32 v4, 0xffff, v1
.LBB14_1037:
	s_branch .LBB14_904
.LBB14_1038:
	s_mov_b32 s16, 0
	s_mov_b32 s19, 0
                                        ; implicit-def: $sgpr0
                                        ; implicit-def: $vgpr2_vgpr3
	s_branch .LBB14_1728
.LBB14_1039:
	s_or_b32 s1, s15, exec_lo
	s_trap 2
	s_cbranch_execz .LBB14_991
	s_branch .LBB14_992
.LBB14_1040:
	s_mov_b32 s3, -1
	s_mov_b32 s18, 0
	s_mov_b32 s0, 0
	s_branch .LBB14_1043
.LBB14_1041:
	s_mov_b32 s18, -1
	s_mov_b32 s21, 0
	s_mov_b32 s0, 0
                                        ; implicit-def: $vgpr4_vgpr5
	s_branch .LBB14_1170
.LBB14_1042:
	s_mov_b32 s0, -1
	s_mov_b32 s18, 0
.LBB14_1043:
                                        ; implicit-def: $vgpr4_vgpr5
.LBB14_1044:
	s_and_b32 vcc_lo, exec_lo, s3
	s_cbranch_vccz .LBB14_1049
; %bb.1045:
	s_cmp_eq_u32 s17, 44
	s_cbranch_scc0 .LBB14_1048
; %bb.1046:
	global_load_u8 v1, v[2:3], off
	s_mov_b32 s0, 0
	s_mov_b32 s18, -1
	s_wait_loadcnt 0x0
	v_lshlrev_b32_e32 v4, 23, v1
	v_cmp_ne_u32_e32 vcc_lo, 0, v1
	s_delay_alu instid0(VALU_DEP_2) | instskip(NEXT) | instid1(VALU_DEP_1)
	v_trunc_f32_e32 v4, v4
	v_mul_f32_e64 v5, 0x2f800000, |v4|
	s_delay_alu instid0(VALU_DEP_1) | instskip(NEXT) | instid1(VALU_DEP_1)
	v_floor_f32_e32 v5, v5
	v_fma_f32 v7, 0xcf800000, v5, |v4|
	v_ashrrev_i32_e32 v4, 31, v4
	v_cvt_u32_f32_e32 v8, v5
	s_delay_alu instid0(VALU_DEP_3) | instskip(NEXT) | instid1(VALU_DEP_3)
	v_cvt_u32_f32_e32 v7, v7
	v_mov_b32_e32 v5, v4
	s_delay_alu instid0(VALU_DEP_3) | instskip(NEXT) | instid1(VALU_DEP_3)
	v_xor_b32_e32 v9, v8, v4
	v_xor_b32_e32 v8, v7, v4
	s_delay_alu instid0(VALU_DEP_1) | instskip(NEXT) | instid1(VALU_DEP_1)
	v_sub_nc_u64_e32 v[4:5], v[8:9], v[4:5]
	v_dual_cndmask_b32 v5, 0, v5 :: v_dual_cndmask_b32 v4, 0, v4
	s_branch .LBB14_1049
.LBB14_1047:
	s_mov_b32 s18, -1
	s_mov_b32 s21, 0
	s_mov_b32 s0, 0
                                        ; implicit-def: $vgpr4_vgpr5
	s_branch .LBB14_1165
.LBB14_1048:
	s_mov_b32 s0, -1
                                        ; implicit-def: $vgpr4_vgpr5
.LBB14_1049:
	s_mov_b32 s3, 0
.LBB14_1050:
	s_delay_alu instid0(SALU_CYCLE_1)
	s_and_b32 vcc_lo, exec_lo, s3
	s_cbranch_vccz .LBB14_1054
; %bb.1051:
	s_cmp_eq_u32 s17, 29
	s_cbranch_scc0 .LBB14_1053
; %bb.1052:
	global_load_b64 v[4:5], v[2:3], off
	s_mov_b32 s0, 0
	s_mov_b32 s18, -1
	s_branch .LBB14_1054
.LBB14_1053:
	s_mov_b32 s0, -1
                                        ; implicit-def: $vgpr4_vgpr5
.LBB14_1054:
	s_mov_b32 s3, 0
.LBB14_1055:
	s_delay_alu instid0(SALU_CYCLE_1)
	s_and_b32 vcc_lo, exec_lo, s3
	s_cbranch_vccz .LBB14_1071
; %bb.1056:
	s_cmp_lt_i32 s17, 27
	s_cbranch_scc1 .LBB14_1059
; %bb.1057:
	s_cmp_gt_i32 s17, 27
	s_cbranch_scc0 .LBB14_1060
; %bb.1058:
	s_wait_loadcnt 0x0
	global_load_b32 v4, v[2:3], off
	v_mov_b32_e32 v5, 0
	s_mov_b32 s3, 0
	s_branch .LBB14_1061
.LBB14_1059:
	s_mov_b32 s3, -1
                                        ; implicit-def: $vgpr4_vgpr5
	s_branch .LBB14_1064
.LBB14_1060:
	s_mov_b32 s3, -1
                                        ; implicit-def: $vgpr4_vgpr5
.LBB14_1061:
	s_delay_alu instid0(SALU_CYCLE_1)
	s_and_not1_b32 vcc_lo, exec_lo, s3
	s_cbranch_vccnz .LBB14_1063
; %bb.1062:
	global_load_u16 v1, v[2:3], off
	s_mov_b32 s3, 0
	s_wait_loadcnt 0x1
	v_mov_b32_e32 v5, s3
	s_wait_loadcnt 0x0
	v_and_b32_e32 v4, 0xffff, v1
.LBB14_1063:
	s_mov_b32 s3, 0
.LBB14_1064:
	s_delay_alu instid0(SALU_CYCLE_1)
	s_and_not1_b32 vcc_lo, exec_lo, s3
	s_cbranch_vccnz .LBB14_1070
; %bb.1065:
	global_load_u8 v1, v[2:3], off
	s_mov_b32 s18, 0
	s_mov_b32 s3, exec_lo
	s_wait_loadcnt 0x0
	v_cmpx_lt_i16_e32 0x7f, v1
	s_xor_b32 s3, exec_lo, s3
	s_cbranch_execz .LBB14_1082
; %bb.1066:
	v_cmp_ne_u16_e32 vcc_lo, 0x80, v1
	s_and_b32 s18, vcc_lo, exec_lo
	s_and_not1_saveexec_b32 s3, s3
	s_cbranch_execnz .LBB14_1083
.LBB14_1067:
	s_or_b32 exec_lo, exec_lo, s3
	v_mov_b64_e32 v[4:5], 0
	s_and_saveexec_b32 s3, s18
	s_cbranch_execz .LBB14_1069
.LBB14_1068:
	v_and_b32_e32 v4, 0xffff, v1
	s_delay_alu instid0(VALU_DEP_1) | instskip(SKIP_1) | instid1(VALU_DEP_2)
	v_and_b32_e32 v5, 7, v4
	v_bfe_u32 v9, v4, 3, 4
	v_clz_i32_u32_e32 v7, v5
	s_delay_alu instid0(VALU_DEP_2) | instskip(NEXT) | instid1(VALU_DEP_2)
	v_cmp_eq_u32_e32 vcc_lo, 0, v9
	v_min_u32_e32 v7, 32, v7
	s_delay_alu instid0(VALU_DEP_1) | instskip(NEXT) | instid1(VALU_DEP_1)
	v_subrev_nc_u32_e32 v8, 28, v7
	v_dual_lshlrev_b32 v4, v8, v4 :: v_dual_sub_nc_u32 v7, 29, v7
	s_delay_alu instid0(VALU_DEP_1) | instskip(NEXT) | instid1(VALU_DEP_2)
	v_dual_lshlrev_b32 v1, 24, v1 :: v_dual_bitop2_b32 v4, 7, v4 bitop3:0x40
	v_cndmask_b32_e32 v7, v9, v7, vcc_lo
	s_delay_alu instid0(VALU_DEP_2) | instskip(NEXT) | instid1(VALU_DEP_3)
	v_cndmask_b32_e32 v4, v5, v4, vcc_lo
	v_and_b32_e32 v1, 0x80000000, v1
	s_delay_alu instid0(VALU_DEP_3) | instskip(NEXT) | instid1(VALU_DEP_3)
	v_lshl_add_u32 v5, v7, 23, 0x3b800000
	v_lshlrev_b32_e32 v4, 20, v4
	s_delay_alu instid0(VALU_DEP_1) | instskip(NEXT) | instid1(VALU_DEP_1)
	v_or3_b32 v1, v1, v5, v4
	v_trunc_f32_e32 v1, v1
	s_delay_alu instid0(VALU_DEP_1) | instskip(NEXT) | instid1(VALU_DEP_1)
	v_mul_f32_e64 v4, 0x2f800000, |v1|
	v_floor_f32_e32 v5, v4
	v_ashrrev_i32_e32 v4, 31, v1
	s_delay_alu instid0(VALU_DEP_2) | instskip(SKIP_1) | instid1(VALU_DEP_3)
	v_fma_f32 v7, 0xcf800000, v5, |v1|
	v_cvt_u32_f32_e32 v1, v5
	v_mov_b32_e32 v5, v4
	s_delay_alu instid0(VALU_DEP_3) | instskip(NEXT) | instid1(VALU_DEP_3)
	v_cvt_u32_f32_e32 v7, v7
	v_xor_b32_e32 v9, v1, v4
	s_delay_alu instid0(VALU_DEP_2) | instskip(NEXT) | instid1(VALU_DEP_1)
	v_xor_b32_e32 v8, v7, v4
	v_sub_nc_u64_e32 v[4:5], v[8:9], v[4:5]
.LBB14_1069:
	s_or_b32 exec_lo, exec_lo, s3
.LBB14_1070:
	s_mov_b32 s18, -1
.LBB14_1071:
	s_mov_b32 s3, 0
.LBB14_1072:
	s_delay_alu instid0(SALU_CYCLE_1)
	s_and_b32 vcc_lo, exec_lo, s3
	s_cbranch_vccz .LBB14_1103
; %bb.1073:
	s_cmp_gt_i32 s17, 22
	s_cbranch_scc0 .LBB14_1081
; %bb.1074:
	s_cmp_lt_i32 s17, 24
	s_cbranch_scc1 .LBB14_1084
; %bb.1075:
	s_cmp_gt_i32 s17, 24
	s_cbranch_scc0 .LBB14_1085
; %bb.1076:
	global_load_u8 v1, v[2:3], off
	s_mov_b32 s3, exec_lo
	s_wait_loadcnt 0x0
	v_cmpx_lt_i16_e32 0x7f, v1
	s_xor_b32 s3, exec_lo, s3
	s_cbranch_execz .LBB14_1097
; %bb.1077:
	v_cmp_ne_u16_e32 vcc_lo, 0x80, v1
	s_and_b32 s16, vcc_lo, exec_lo
	s_and_not1_saveexec_b32 s3, s3
	s_cbranch_execnz .LBB14_1098
.LBB14_1078:
	s_or_b32 exec_lo, exec_lo, s3
	v_mov_b64_e32 v[4:5], 0
	s_and_saveexec_b32 s3, s16
	s_cbranch_execz .LBB14_1080
.LBB14_1079:
	v_and_b32_e32 v4, 0xffff, v1
	s_delay_alu instid0(VALU_DEP_1) | instskip(SKIP_1) | instid1(VALU_DEP_2)
	v_and_b32_e32 v5, 3, v4
	v_bfe_u32 v9, v4, 2, 5
	v_clz_i32_u32_e32 v7, v5
	s_delay_alu instid0(VALU_DEP_2) | instskip(NEXT) | instid1(VALU_DEP_2)
	v_cmp_eq_u32_e32 vcc_lo, 0, v9
	v_min_u32_e32 v7, 32, v7
	s_delay_alu instid0(VALU_DEP_1) | instskip(NEXT) | instid1(VALU_DEP_1)
	v_subrev_nc_u32_e32 v8, 29, v7
	v_dual_lshlrev_b32 v4, v8, v4 :: v_dual_sub_nc_u32 v7, 30, v7
	s_delay_alu instid0(VALU_DEP_1) | instskip(NEXT) | instid1(VALU_DEP_2)
	v_dual_lshlrev_b32 v1, 24, v1 :: v_dual_bitop2_b32 v4, 3, v4 bitop3:0x40
	v_cndmask_b32_e32 v7, v9, v7, vcc_lo
	s_delay_alu instid0(VALU_DEP_2) | instskip(NEXT) | instid1(VALU_DEP_3)
	v_cndmask_b32_e32 v4, v5, v4, vcc_lo
	v_and_b32_e32 v1, 0x80000000, v1
	s_delay_alu instid0(VALU_DEP_3) | instskip(NEXT) | instid1(VALU_DEP_3)
	v_lshl_add_u32 v5, v7, 23, 0x37800000
	v_lshlrev_b32_e32 v4, 21, v4
	s_delay_alu instid0(VALU_DEP_1) | instskip(NEXT) | instid1(VALU_DEP_1)
	v_or3_b32 v1, v1, v5, v4
	v_trunc_f32_e32 v1, v1
	s_delay_alu instid0(VALU_DEP_1) | instskip(NEXT) | instid1(VALU_DEP_1)
	v_mul_f32_e64 v4, 0x2f800000, |v1|
	v_floor_f32_e32 v5, v4
	v_ashrrev_i32_e32 v4, 31, v1
	s_delay_alu instid0(VALU_DEP_2) | instskip(SKIP_1) | instid1(VALU_DEP_3)
	v_fma_f32 v7, 0xcf800000, v5, |v1|
	v_cvt_u32_f32_e32 v1, v5
	v_mov_b32_e32 v5, v4
	s_delay_alu instid0(VALU_DEP_3) | instskip(NEXT) | instid1(VALU_DEP_3)
	v_cvt_u32_f32_e32 v7, v7
	v_xor_b32_e32 v9, v1, v4
	s_delay_alu instid0(VALU_DEP_2) | instskip(NEXT) | instid1(VALU_DEP_1)
	v_xor_b32_e32 v8, v7, v4
	v_sub_nc_u64_e32 v[4:5], v[8:9], v[4:5]
.LBB14_1080:
	s_or_b32 exec_lo, exec_lo, s3
	s_mov_b32 s3, 0
	s_branch .LBB14_1086
.LBB14_1081:
	s_mov_b32 s3, -1
                                        ; implicit-def: $vgpr4_vgpr5
	s_branch .LBB14_1092
.LBB14_1082:
	s_and_not1_saveexec_b32 s3, s3
	s_cbranch_execz .LBB14_1067
.LBB14_1083:
	v_cmp_ne_u16_e32 vcc_lo, 0, v1
	s_and_not1_b32 s18, s18, exec_lo
	s_and_b32 s19, vcc_lo, exec_lo
	s_delay_alu instid0(SALU_CYCLE_1)
	s_or_b32 s18, s18, s19
	s_or_b32 exec_lo, exec_lo, s3
	v_mov_b64_e32 v[4:5], 0
	s_and_saveexec_b32 s3, s18
	s_cbranch_execnz .LBB14_1068
	s_branch .LBB14_1069
.LBB14_1084:
	s_mov_b32 s3, -1
                                        ; implicit-def: $vgpr4_vgpr5
	s_branch .LBB14_1089
.LBB14_1085:
	s_mov_b32 s3, -1
                                        ; implicit-def: $vgpr4_vgpr5
.LBB14_1086:
	s_delay_alu instid0(SALU_CYCLE_1)
	s_and_b32 vcc_lo, exec_lo, s3
	s_cbranch_vccz .LBB14_1088
; %bb.1087:
	global_load_u8 v1, v[2:3], off
	s_wait_loadcnt 0x0
	v_lshlrev_b32_e32 v1, 24, v1
	s_delay_alu instid0(VALU_DEP_1) | instskip(NEXT) | instid1(VALU_DEP_1)
	v_and_b32_e32 v4, 0x7f000000, v1
	v_clz_i32_u32_e32 v5, v4
	v_add_nc_u32_e32 v8, 0x1000000, v4
	v_cmp_ne_u32_e32 vcc_lo, 0, v4
	s_delay_alu instid0(VALU_DEP_3) | instskip(NEXT) | instid1(VALU_DEP_1)
	v_min_u32_e32 v5, 32, v5
	v_sub_nc_u32_e64 v5, v5, 4 clamp
	s_delay_alu instid0(VALU_DEP_1) | instskip(NEXT) | instid1(VALU_DEP_1)
	v_dual_lshlrev_b32 v7, v5, v4 :: v_dual_lshlrev_b32 v5, 23, v5
	v_lshrrev_b32_e32 v7, 4, v7
	s_delay_alu instid0(VALU_DEP_1) | instskip(NEXT) | instid1(VALU_DEP_1)
	v_dual_sub_nc_u32 v5, v7, v5 :: v_dual_ashrrev_i32 v7, 8, v8
	v_add_nc_u32_e32 v5, 0x3c000000, v5
	s_delay_alu instid0(VALU_DEP_1) | instskip(NEXT) | instid1(VALU_DEP_1)
	v_and_or_b32 v5, 0x7f800000, v7, v5
	v_cndmask_b32_e32 v4, 0, v5, vcc_lo
	s_delay_alu instid0(VALU_DEP_1) | instskip(NEXT) | instid1(VALU_DEP_1)
	v_and_or_b32 v1, 0x80000000, v1, v4
	v_trunc_f32_e32 v1, v1
	s_delay_alu instid0(VALU_DEP_1) | instskip(NEXT) | instid1(VALU_DEP_1)
	v_mul_f32_e64 v4, 0x2f800000, |v1|
	v_floor_f32_e32 v5, v4
	v_ashrrev_i32_e32 v4, 31, v1
	s_delay_alu instid0(VALU_DEP_2) | instskip(SKIP_1) | instid1(VALU_DEP_3)
	v_fma_f32 v7, 0xcf800000, v5, |v1|
	v_cvt_u32_f32_e32 v1, v5
	v_mov_b32_e32 v5, v4
	s_delay_alu instid0(VALU_DEP_3) | instskip(NEXT) | instid1(VALU_DEP_3)
	v_cvt_u32_f32_e32 v7, v7
	v_xor_b32_e32 v9, v1, v4
	s_delay_alu instid0(VALU_DEP_2) | instskip(NEXT) | instid1(VALU_DEP_1)
	v_xor_b32_e32 v8, v7, v4
	v_sub_nc_u64_e32 v[4:5], v[8:9], v[4:5]
.LBB14_1088:
	s_mov_b32 s3, 0
.LBB14_1089:
	s_delay_alu instid0(SALU_CYCLE_1)
	s_and_not1_b32 vcc_lo, exec_lo, s3
	s_cbranch_vccnz .LBB14_1091
; %bb.1090:
	global_load_u8 v1, v[2:3], off
	s_wait_loadcnt 0x0
	v_lshlrev_b32_e32 v4, 25, v1
	v_lshlrev_b16 v1, 8, v1
	s_delay_alu instid0(VALU_DEP_1) | instskip(SKIP_1) | instid1(VALU_DEP_2)
	v_and_or_b32 v7, 0x7f00, v1, 0.5
	v_bfe_i32 v1, v1, 0, 16
	v_dual_add_f32 v7, -0.5, v7 :: v_dual_lshrrev_b32 v5, 4, v4
	v_cmp_gt_u32_e32 vcc_lo, 0x8000000, v4
	s_delay_alu instid0(VALU_DEP_2) | instskip(NEXT) | instid1(VALU_DEP_1)
	v_or_b32_e32 v5, 0x70000000, v5
	v_mul_f32_e32 v5, 0x7800000, v5
	s_delay_alu instid0(VALU_DEP_1) | instskip(NEXT) | instid1(VALU_DEP_1)
	v_cndmask_b32_e32 v4, v5, v7, vcc_lo
	v_and_or_b32 v1, 0x80000000, v1, v4
	s_delay_alu instid0(VALU_DEP_1) | instskip(NEXT) | instid1(VALU_DEP_1)
	v_trunc_f32_e32 v1, v1
	v_mul_f32_e64 v4, 0x2f800000, |v1|
	s_delay_alu instid0(VALU_DEP_1) | instskip(SKIP_1) | instid1(VALU_DEP_2)
	v_floor_f32_e32 v5, v4
	v_ashrrev_i32_e32 v4, 31, v1
	v_fma_f32 v7, 0xcf800000, v5, |v1|
	v_cvt_u32_f32_e32 v1, v5
	s_delay_alu instid0(VALU_DEP_3) | instskip(NEXT) | instid1(VALU_DEP_3)
	v_mov_b32_e32 v5, v4
	v_cvt_u32_f32_e32 v7, v7
	s_delay_alu instid0(VALU_DEP_3) | instskip(NEXT) | instid1(VALU_DEP_2)
	v_xor_b32_e32 v9, v1, v4
	v_xor_b32_e32 v8, v7, v4
	s_delay_alu instid0(VALU_DEP_1)
	v_sub_nc_u64_e32 v[4:5], v[8:9], v[4:5]
.LBB14_1091:
	s_mov_b32 s3, 0
	s_mov_b32 s18, -1
.LBB14_1092:
	s_and_not1_b32 vcc_lo, exec_lo, s3
	s_mov_b32 s16, 0
	s_cbranch_vccnz .LBB14_1103
; %bb.1093:
	s_cmp_gt_i32 s17, 14
	s_cbranch_scc0 .LBB14_1096
; %bb.1094:
	s_cmp_eq_u32 s17, 15
	s_cbranch_scc0 .LBB14_1099
; %bb.1095:
	global_load_u16 v1, v[2:3], off
	s_mov_b32 s0, 0
	s_mov_b32 s18, -1
	s_wait_loadcnt 0x0
	v_lshlrev_b32_e32 v1, 16, v1
	s_delay_alu instid0(VALU_DEP_1) | instskip(NEXT) | instid1(VALU_DEP_1)
	v_trunc_f32_e32 v1, v1
	v_mul_f32_e64 v4, 0x2f800000, |v1|
	s_delay_alu instid0(VALU_DEP_1) | instskip(SKIP_1) | instid1(VALU_DEP_2)
	v_floor_f32_e32 v5, v4
	v_ashrrev_i32_e32 v4, 31, v1
	v_fma_f32 v7, 0xcf800000, v5, |v1|
	v_cvt_u32_f32_e32 v1, v5
	s_delay_alu instid0(VALU_DEP_3) | instskip(NEXT) | instid1(VALU_DEP_3)
	v_mov_b32_e32 v5, v4
	v_cvt_u32_f32_e32 v7, v7
	s_delay_alu instid0(VALU_DEP_3) | instskip(NEXT) | instid1(VALU_DEP_2)
	v_xor_b32_e32 v9, v1, v4
	v_xor_b32_e32 v8, v7, v4
	s_delay_alu instid0(VALU_DEP_1)
	v_sub_nc_u64_e32 v[4:5], v[8:9], v[4:5]
	s_branch .LBB14_1100
.LBB14_1096:
	s_mov_b32 s3, -1
                                        ; implicit-def: $vgpr4_vgpr5
	s_branch .LBB14_1101
.LBB14_1097:
	s_and_not1_saveexec_b32 s3, s3
	s_cbranch_execz .LBB14_1078
.LBB14_1098:
	v_cmp_ne_u16_e32 vcc_lo, 0, v1
	s_and_not1_b32 s16, s16, exec_lo
	s_and_b32 s18, vcc_lo, exec_lo
	s_delay_alu instid0(SALU_CYCLE_1)
	s_or_b32 s16, s16, s18
	s_or_b32 exec_lo, exec_lo, s3
	v_mov_b64_e32 v[4:5], 0
	s_and_saveexec_b32 s3, s16
	s_cbranch_execnz .LBB14_1079
	s_branch .LBB14_1080
.LBB14_1099:
	s_mov_b32 s0, -1
                                        ; implicit-def: $vgpr4_vgpr5
.LBB14_1100:
	s_mov_b32 s3, 0
.LBB14_1101:
	s_delay_alu instid0(SALU_CYCLE_1)
	s_and_b32 vcc_lo, exec_lo, s3
	s_cbranch_vccz .LBB14_1103
; %bb.1102:
	s_cmp_lg_u32 s17, 11
	s_mov_b32 s16, -1
	s_cselect_b32 s0, -1, 0
.LBB14_1103:
	s_delay_alu instid0(SALU_CYCLE_1)
	s_and_b32 vcc_lo, exec_lo, s0
	s_mov_b32 s3, s1
	s_cbranch_vccnz .LBB14_1156
; %bb.1104:
	s_and_not1_b32 vcc_lo, exec_lo, s16
	s_cbranch_vccnz .LBB14_1106
.LBB14_1105:
	global_load_u8 v1, v[2:3], off
	s_mov_b32 s0, 0
	s_mov_b32 s18, -1
	s_wait_loadcnt 0x1
	v_mov_b32_e32 v5, s0
	s_wait_loadcnt 0x0
	v_cmp_ne_u16_e32 vcc_lo, 0, v1
	v_cndmask_b32_e64 v4, 0, 1, vcc_lo
.LBB14_1106:
	s_branch .LBB14_916
.LBB14_1107:
	s_cmp_lt_i32 s17, 5
	s_cbranch_scc1 .LBB14_1112
; %bb.1108:
	s_cmp_lt_i32 s17, 8
	s_cbranch_scc1 .LBB14_1113
; %bb.1109:
	;; [unrolled: 3-line block ×3, first 2 shown]
	s_cmp_gt_i32 s17, 9
	s_cbranch_scc0 .LBB14_1115
; %bb.1111:
	s_wait_loadcnt 0x0
	global_load_b64 v[4:5], v[2:3], off
	s_mov_b32 s0, 0
	s_wait_loadcnt 0x0
	v_trunc_f64_e32 v[4:5], v[4:5]
	s_delay_alu instid0(VALU_DEP_1) | instskip(NEXT) | instid1(VALU_DEP_1)
	v_ldexp_f64 v[8:9], v[4:5], 0xffffffe0
	v_floor_f64_e32 v[8:9], v[8:9]
	s_delay_alu instid0(VALU_DEP_1) | instskip(SKIP_1) | instid1(VALU_DEP_2)
	v_fmamk_f64 v[10:11], v[8:9], 0xc1f00000, v[4:5]
	v_cvt_i32_f64_e32 v5, v[8:9]
	v_cvt_u32_f64_e32 v4, v[10:11]
	s_branch .LBB14_1116
.LBB14_1112:
	s_mov_b32 s0, -1
                                        ; implicit-def: $vgpr4_vgpr5
	s_branch .LBB14_1134
.LBB14_1113:
	s_mov_b32 s0, -1
                                        ; implicit-def: $vgpr4_vgpr5
	s_branch .LBB14_1122
.LBB14_1114:
	s_mov_b32 s0, -1
                                        ; implicit-def: $vgpr4_vgpr5
	s_branch .LBB14_1119
.LBB14_1115:
	s_mov_b32 s0, -1
                                        ; implicit-def: $vgpr4_vgpr5
.LBB14_1116:
	s_delay_alu instid0(SALU_CYCLE_1)
	s_and_not1_b32 vcc_lo, exec_lo, s0
	s_cbranch_vccnz .LBB14_1118
; %bb.1117:
	global_load_b32 v1, v[2:3], off
	s_wait_loadcnt 0x0
	v_trunc_f32_e32 v1, v1
	s_delay_alu instid0(VALU_DEP_1) | instskip(NEXT) | instid1(VALU_DEP_1)
	v_mul_f32_e64 v4, 0x2f800000, |v1|
	v_floor_f32_e32 v5, v4
	v_ashrrev_i32_e32 v4, 31, v1
	s_delay_alu instid0(VALU_DEP_2) | instskip(SKIP_1) | instid1(VALU_DEP_3)
	v_fma_f32 v7, 0xcf800000, v5, |v1|
	v_cvt_u32_f32_e32 v1, v5
	v_mov_b32_e32 v5, v4
	s_delay_alu instid0(VALU_DEP_3) | instskip(NEXT) | instid1(VALU_DEP_3)
	v_cvt_u32_f32_e32 v7, v7
	v_xor_b32_e32 v9, v1, v4
	s_delay_alu instid0(VALU_DEP_2) | instskip(NEXT) | instid1(VALU_DEP_1)
	v_xor_b32_e32 v8, v7, v4
	v_sub_nc_u64_e32 v[4:5], v[8:9], v[4:5]
.LBB14_1118:
	s_mov_b32 s0, 0
.LBB14_1119:
	s_delay_alu instid0(SALU_CYCLE_1)
	s_and_not1_b32 vcc_lo, exec_lo, s0
	s_cbranch_vccnz .LBB14_1121
; %bb.1120:
	global_load_b32 v1, v[2:3], off
	s_wait_loadcnt 0x0
	v_cvt_f32_f16_e32 v1, v1
	s_delay_alu instid0(VALU_DEP_1) | instskip(NEXT) | instid1(VALU_DEP_1)
	v_cvt_i32_f32_e32 v4, v1
	v_ashrrev_i32_e32 v5, 31, v4
.LBB14_1121:
	s_mov_b32 s0, 0
.LBB14_1122:
	s_delay_alu instid0(SALU_CYCLE_1)
	s_and_not1_b32 vcc_lo, exec_lo, s0
	s_cbranch_vccnz .LBB14_1133
; %bb.1123:
	s_cmp_lt_i32 s17, 6
	s_cbranch_scc1 .LBB14_1126
; %bb.1124:
	s_cmp_gt_i32 s17, 6
	s_cbranch_scc0 .LBB14_1127
; %bb.1125:
	s_wait_loadcnt 0x0
	global_load_b64 v[4:5], v[2:3], off
	s_mov_b32 s0, 0
	s_wait_loadcnt 0x0
	v_trunc_f64_e32 v[4:5], v[4:5]
	s_delay_alu instid0(VALU_DEP_1) | instskip(NEXT) | instid1(VALU_DEP_1)
	v_ldexp_f64 v[8:9], v[4:5], 0xffffffe0
	v_floor_f64_e32 v[8:9], v[8:9]
	s_delay_alu instid0(VALU_DEP_1) | instskip(SKIP_1) | instid1(VALU_DEP_2)
	v_fmamk_f64 v[10:11], v[8:9], 0xc1f00000, v[4:5]
	v_cvt_i32_f64_e32 v5, v[8:9]
	v_cvt_u32_f64_e32 v4, v[10:11]
	s_branch .LBB14_1128
.LBB14_1126:
	s_mov_b32 s0, -1
                                        ; implicit-def: $vgpr4_vgpr5
	s_branch .LBB14_1131
.LBB14_1127:
	s_mov_b32 s0, -1
                                        ; implicit-def: $vgpr4_vgpr5
.LBB14_1128:
	s_delay_alu instid0(SALU_CYCLE_1)
	s_and_not1_b32 vcc_lo, exec_lo, s0
	s_cbranch_vccnz .LBB14_1130
; %bb.1129:
	global_load_b32 v1, v[2:3], off
	s_wait_loadcnt 0x0
	v_trunc_f32_e32 v1, v1
	s_delay_alu instid0(VALU_DEP_1) | instskip(NEXT) | instid1(VALU_DEP_1)
	v_mul_f32_e64 v4, 0x2f800000, |v1|
	v_floor_f32_e32 v5, v4
	v_ashrrev_i32_e32 v4, 31, v1
	s_delay_alu instid0(VALU_DEP_2) | instskip(SKIP_1) | instid1(VALU_DEP_3)
	v_fma_f32 v7, 0xcf800000, v5, |v1|
	v_cvt_u32_f32_e32 v1, v5
	v_mov_b32_e32 v5, v4
	s_delay_alu instid0(VALU_DEP_3) | instskip(NEXT) | instid1(VALU_DEP_3)
	v_cvt_u32_f32_e32 v7, v7
	v_xor_b32_e32 v9, v1, v4
	s_delay_alu instid0(VALU_DEP_2) | instskip(NEXT) | instid1(VALU_DEP_1)
	v_xor_b32_e32 v8, v7, v4
	v_sub_nc_u64_e32 v[4:5], v[8:9], v[4:5]
.LBB14_1130:
	s_mov_b32 s0, 0
.LBB14_1131:
	s_delay_alu instid0(SALU_CYCLE_1)
	s_and_not1_b32 vcc_lo, exec_lo, s0
	s_cbranch_vccnz .LBB14_1133
; %bb.1132:
	global_load_u16 v1, v[2:3], off
	s_wait_loadcnt 0x0
	v_cvt_f32_f16_e32 v1, v1
	s_delay_alu instid0(VALU_DEP_1) | instskip(NEXT) | instid1(VALU_DEP_1)
	v_cvt_i32_f32_e32 v4, v1
	v_ashrrev_i32_e32 v5, 31, v4
.LBB14_1133:
	s_mov_b32 s0, 0
.LBB14_1134:
	s_delay_alu instid0(SALU_CYCLE_1)
	s_and_not1_b32 vcc_lo, exec_lo, s0
	s_cbranch_vccnz .LBB14_1154
; %bb.1135:
	s_cmp_lt_i32 s17, 2
	s_cbranch_scc1 .LBB14_1139
; %bb.1136:
	s_cmp_lt_i32 s17, 3
	s_cbranch_scc1 .LBB14_1140
; %bb.1137:
	s_cmp_gt_i32 s17, 3
	s_cbranch_scc0 .LBB14_1141
; %bb.1138:
	s_wait_loadcnt 0x0
	global_load_b64 v[4:5], v[2:3], off
	s_mov_b32 s0, 0
	s_branch .LBB14_1142
.LBB14_1139:
	s_mov_b32 s0, -1
                                        ; implicit-def: $vgpr4_vgpr5
	s_branch .LBB14_1148
.LBB14_1140:
	s_mov_b32 s0, -1
                                        ; implicit-def: $vgpr4_vgpr5
	s_branch .LBB14_1145
.LBB14_1141:
	s_mov_b32 s0, -1
                                        ; implicit-def: $vgpr4_vgpr5
.LBB14_1142:
	s_delay_alu instid0(SALU_CYCLE_1)
	s_and_not1_b32 vcc_lo, exec_lo, s0
	s_cbranch_vccnz .LBB14_1144
; %bb.1143:
	s_wait_loadcnt 0x0
	global_load_b32 v4, v[2:3], off
	s_wait_loadcnt 0x0
	v_ashrrev_i32_e32 v5, 31, v4
.LBB14_1144:
	s_mov_b32 s0, 0
.LBB14_1145:
	s_delay_alu instid0(SALU_CYCLE_1)
	s_and_not1_b32 vcc_lo, exec_lo, s0
	s_cbranch_vccnz .LBB14_1147
; %bb.1146:
	global_load_u16 v1, v[2:3], off
	s_wait_loadcnt 0x0
	v_bfe_i32 v4, v1, 0, 16
	s_delay_alu instid0(VALU_DEP_1)
	v_ashrrev_i32_e32 v5, 31, v4
.LBB14_1147:
	s_mov_b32 s0, 0
.LBB14_1148:
	s_delay_alu instid0(SALU_CYCLE_1)
	s_and_not1_b32 vcc_lo, exec_lo, s0
	s_cbranch_vccnz .LBB14_1154
; %bb.1149:
	s_cmp_gt_i32 s17, 0
	s_mov_b32 s0, 0
	s_cbranch_scc0 .LBB14_1151
; %bb.1150:
	global_load_i8 v1, v[2:3], off
	s_wait_loadcnt 0x0
	v_bfe_i32 v4, v1, 0, 16
	s_delay_alu instid0(VALU_DEP_1)
	v_ashrrev_i32_e32 v5, 31, v4
	s_branch .LBB14_1152
.LBB14_1151:
	s_mov_b32 s0, -1
                                        ; implicit-def: $vgpr4_vgpr5
.LBB14_1152:
	s_delay_alu instid0(SALU_CYCLE_1)
	s_and_not1_b32 vcc_lo, exec_lo, s0
	s_cbranch_vccnz .LBB14_1154
; %bb.1153:
	global_load_u8 v1, v[2:3], off
	s_mov_b32 s0, 0
	s_wait_loadcnt 0x1
	v_mov_b32_e32 v5, s0
	s_wait_loadcnt 0x0
	v_and_b32_e32 v4, 0xffff, v1
.LBB14_1154:
	s_branch .LBB14_917
.LBB14_1155:
	s_mov_b32 s18, 0
	s_mov_b32 s19, 0
                                        ; implicit-def: $sgpr0
                                        ; implicit-def: $vgpr2_vgpr3
	s_branch .LBB14_1726
.LBB14_1156:
	s_or_b32 s3, s1, exec_lo
	s_trap 2
	s_cbranch_execz .LBB14_1105
	s_branch .LBB14_1106
.LBB14_1157:
	s_mov_b32 s18, -1
	s_mov_b32 s21, 0
	s_mov_b32 s0, 0
	s_branch .LBB14_1159
.LBB14_1158:
	s_mov_b32 s0, -1
	s_mov_b32 s21, 0
.LBB14_1159:
                                        ; implicit-def: $vgpr4_vgpr5
.LBB14_1160:
	s_and_b32 vcc_lo, exec_lo, s18
	s_cbranch_vccz .LBB14_1164
; %bb.1161:
	s_cmp_eq_u32 s17, 44
	s_cbranch_scc0 .LBB14_1163
; %bb.1162:
	global_load_u8 v1, v[2:3], off
	s_mov_b32 s0, 0
	s_mov_b32 s21, -1
	s_wait_loadcnt 0x0
	v_lshlrev_b32_e32 v4, 23, v1
	v_cmp_ne_u32_e32 vcc_lo, 0, v1
	s_delay_alu instid0(VALU_DEP_2) | instskip(NEXT) | instid1(VALU_DEP_1)
	v_trunc_f32_e32 v4, v4
	v_mul_f32_e64 v5, 0x2f800000, |v4|
	s_delay_alu instid0(VALU_DEP_1) | instskip(NEXT) | instid1(VALU_DEP_1)
	v_floor_f32_e32 v5, v5
	v_fma_f32 v7, 0xcf800000, v5, |v4|
	v_ashrrev_i32_e32 v4, 31, v4
	v_cvt_u32_f32_e32 v8, v5
	s_delay_alu instid0(VALU_DEP_3) | instskip(NEXT) | instid1(VALU_DEP_3)
	v_cvt_u32_f32_e32 v7, v7
	v_mov_b32_e32 v5, v4
	s_delay_alu instid0(VALU_DEP_3) | instskip(NEXT) | instid1(VALU_DEP_3)
	v_xor_b32_e32 v9, v8, v4
	v_xor_b32_e32 v8, v7, v4
	s_delay_alu instid0(VALU_DEP_1) | instskip(NEXT) | instid1(VALU_DEP_1)
	v_sub_nc_u64_e32 v[4:5], v[8:9], v[4:5]
	v_dual_cndmask_b32 v5, 0, v5 :: v_dual_cndmask_b32 v4, 0, v4
	s_branch .LBB14_1164
.LBB14_1163:
	s_mov_b32 s0, -1
                                        ; implicit-def: $vgpr4_vgpr5
.LBB14_1164:
	s_mov_b32 s18, 0
.LBB14_1165:
	s_delay_alu instid0(SALU_CYCLE_1)
	s_and_b32 vcc_lo, exec_lo, s18
	s_cbranch_vccz .LBB14_1169
; %bb.1166:
	s_cmp_eq_u32 s17, 29
	s_cbranch_scc0 .LBB14_1168
; %bb.1167:
	global_load_b64 v[4:5], v[2:3], off
	s_mov_b32 s0, 0
	s_mov_b32 s21, -1
	s_branch .LBB14_1169
.LBB14_1168:
	s_mov_b32 s0, -1
                                        ; implicit-def: $vgpr4_vgpr5
.LBB14_1169:
	s_mov_b32 s18, 0
.LBB14_1170:
	s_delay_alu instid0(SALU_CYCLE_1)
	s_and_b32 vcc_lo, exec_lo, s18
	s_cbranch_vccz .LBB14_1186
; %bb.1171:
	s_cmp_lt_i32 s17, 27
	s_cbranch_scc1 .LBB14_1174
; %bb.1172:
	s_cmp_gt_i32 s17, 27
	s_cbranch_scc0 .LBB14_1175
; %bb.1173:
	s_wait_loadcnt 0x0
	global_load_b32 v4, v[2:3], off
	v_mov_b32_e32 v5, 0
	s_mov_b32 s18, 0
	s_branch .LBB14_1176
.LBB14_1174:
	s_mov_b32 s18, -1
                                        ; implicit-def: $vgpr4_vgpr5
	s_branch .LBB14_1179
.LBB14_1175:
	s_mov_b32 s18, -1
                                        ; implicit-def: $vgpr4_vgpr5
.LBB14_1176:
	s_delay_alu instid0(SALU_CYCLE_1)
	s_and_not1_b32 vcc_lo, exec_lo, s18
	s_cbranch_vccnz .LBB14_1178
; %bb.1177:
	global_load_u16 v1, v[2:3], off
	s_mov_b32 s18, 0
	s_wait_loadcnt 0x1
	v_mov_b32_e32 v5, s18
	s_wait_loadcnt 0x0
	v_and_b32_e32 v4, 0xffff, v1
.LBB14_1178:
	s_mov_b32 s18, 0
.LBB14_1179:
	s_delay_alu instid0(SALU_CYCLE_1)
	s_and_not1_b32 vcc_lo, exec_lo, s18
	s_cbranch_vccnz .LBB14_1185
; %bb.1180:
	global_load_u8 v1, v[2:3], off
	s_mov_b32 s21, 0
	s_mov_b32 s18, exec_lo
	s_wait_loadcnt 0x0
	v_cmpx_lt_i16_e32 0x7f, v1
	s_xor_b32 s18, exec_lo, s18
	s_cbranch_execz .LBB14_1197
; %bb.1181:
	v_cmp_ne_u16_e32 vcc_lo, 0x80, v1
	s_and_b32 s21, vcc_lo, exec_lo
	s_and_not1_saveexec_b32 s18, s18
	s_cbranch_execnz .LBB14_1198
.LBB14_1182:
	s_or_b32 exec_lo, exec_lo, s18
	v_mov_b64_e32 v[4:5], 0
	s_and_saveexec_b32 s18, s21
	s_cbranch_execz .LBB14_1184
.LBB14_1183:
	v_and_b32_e32 v4, 0xffff, v1
	s_delay_alu instid0(VALU_DEP_1) | instskip(SKIP_1) | instid1(VALU_DEP_2)
	v_and_b32_e32 v5, 7, v4
	v_bfe_u32 v9, v4, 3, 4
	v_clz_i32_u32_e32 v7, v5
	s_delay_alu instid0(VALU_DEP_2) | instskip(NEXT) | instid1(VALU_DEP_2)
	v_cmp_eq_u32_e32 vcc_lo, 0, v9
	v_min_u32_e32 v7, 32, v7
	s_delay_alu instid0(VALU_DEP_1) | instskip(NEXT) | instid1(VALU_DEP_1)
	v_subrev_nc_u32_e32 v8, 28, v7
	v_dual_lshlrev_b32 v4, v8, v4 :: v_dual_sub_nc_u32 v7, 29, v7
	s_delay_alu instid0(VALU_DEP_1) | instskip(NEXT) | instid1(VALU_DEP_2)
	v_dual_lshlrev_b32 v1, 24, v1 :: v_dual_bitop2_b32 v4, 7, v4 bitop3:0x40
	v_cndmask_b32_e32 v7, v9, v7, vcc_lo
	s_delay_alu instid0(VALU_DEP_2) | instskip(NEXT) | instid1(VALU_DEP_3)
	v_cndmask_b32_e32 v4, v5, v4, vcc_lo
	v_and_b32_e32 v1, 0x80000000, v1
	s_delay_alu instid0(VALU_DEP_3) | instskip(NEXT) | instid1(VALU_DEP_3)
	v_lshl_add_u32 v5, v7, 23, 0x3b800000
	v_lshlrev_b32_e32 v4, 20, v4
	s_delay_alu instid0(VALU_DEP_1) | instskip(NEXT) | instid1(VALU_DEP_1)
	v_or3_b32 v1, v1, v5, v4
	v_trunc_f32_e32 v1, v1
	s_delay_alu instid0(VALU_DEP_1) | instskip(NEXT) | instid1(VALU_DEP_1)
	v_mul_f32_e64 v4, 0x2f800000, |v1|
	v_floor_f32_e32 v5, v4
	v_ashrrev_i32_e32 v4, 31, v1
	s_delay_alu instid0(VALU_DEP_2) | instskip(SKIP_1) | instid1(VALU_DEP_3)
	v_fma_f32 v7, 0xcf800000, v5, |v1|
	v_cvt_u32_f32_e32 v1, v5
	v_mov_b32_e32 v5, v4
	s_delay_alu instid0(VALU_DEP_3) | instskip(NEXT) | instid1(VALU_DEP_3)
	v_cvt_u32_f32_e32 v7, v7
	v_xor_b32_e32 v9, v1, v4
	s_delay_alu instid0(VALU_DEP_2) | instskip(NEXT) | instid1(VALU_DEP_1)
	v_xor_b32_e32 v8, v7, v4
	v_sub_nc_u64_e32 v[4:5], v[8:9], v[4:5]
.LBB14_1184:
	s_or_b32 exec_lo, exec_lo, s18
.LBB14_1185:
	s_mov_b32 s21, -1
.LBB14_1186:
	s_mov_b32 s18, 0
.LBB14_1187:
	s_delay_alu instid0(SALU_CYCLE_1)
	s_and_b32 vcc_lo, exec_lo, s18
	s_cbranch_vccz .LBB14_1218
; %bb.1188:
	s_cmp_gt_i32 s17, 22
	s_cbranch_scc0 .LBB14_1196
; %bb.1189:
	s_cmp_lt_i32 s17, 24
	s_cbranch_scc1 .LBB14_1199
; %bb.1190:
	s_cmp_gt_i32 s17, 24
	s_cbranch_scc0 .LBB14_1200
; %bb.1191:
	global_load_u8 v1, v[2:3], off
	s_mov_b32 s18, exec_lo
	s_wait_loadcnt 0x0
	v_cmpx_lt_i16_e32 0x7f, v1
	s_xor_b32 s18, exec_lo, s18
	s_cbranch_execz .LBB14_1212
; %bb.1192:
	v_cmp_ne_u16_e32 vcc_lo, 0x80, v1
	s_and_b32 s19, vcc_lo, exec_lo
	s_and_not1_saveexec_b32 s18, s18
	s_cbranch_execnz .LBB14_1213
.LBB14_1193:
	s_or_b32 exec_lo, exec_lo, s18
	v_mov_b64_e32 v[4:5], 0
	s_and_saveexec_b32 s18, s19
	s_cbranch_execz .LBB14_1195
.LBB14_1194:
	v_and_b32_e32 v4, 0xffff, v1
	s_delay_alu instid0(VALU_DEP_1) | instskip(SKIP_1) | instid1(VALU_DEP_2)
	v_and_b32_e32 v5, 3, v4
	v_bfe_u32 v9, v4, 2, 5
	v_clz_i32_u32_e32 v7, v5
	s_delay_alu instid0(VALU_DEP_2) | instskip(NEXT) | instid1(VALU_DEP_2)
	v_cmp_eq_u32_e32 vcc_lo, 0, v9
	v_min_u32_e32 v7, 32, v7
	s_delay_alu instid0(VALU_DEP_1) | instskip(NEXT) | instid1(VALU_DEP_1)
	v_subrev_nc_u32_e32 v8, 29, v7
	v_dual_lshlrev_b32 v4, v8, v4 :: v_dual_sub_nc_u32 v7, 30, v7
	s_delay_alu instid0(VALU_DEP_1) | instskip(NEXT) | instid1(VALU_DEP_2)
	v_dual_lshlrev_b32 v1, 24, v1 :: v_dual_bitop2_b32 v4, 3, v4 bitop3:0x40
	v_cndmask_b32_e32 v7, v9, v7, vcc_lo
	s_delay_alu instid0(VALU_DEP_2) | instskip(NEXT) | instid1(VALU_DEP_3)
	v_cndmask_b32_e32 v4, v5, v4, vcc_lo
	v_and_b32_e32 v1, 0x80000000, v1
	s_delay_alu instid0(VALU_DEP_3) | instskip(NEXT) | instid1(VALU_DEP_3)
	v_lshl_add_u32 v5, v7, 23, 0x37800000
	v_lshlrev_b32_e32 v4, 21, v4
	s_delay_alu instid0(VALU_DEP_1) | instskip(NEXT) | instid1(VALU_DEP_1)
	v_or3_b32 v1, v1, v5, v4
	v_trunc_f32_e32 v1, v1
	s_delay_alu instid0(VALU_DEP_1) | instskip(NEXT) | instid1(VALU_DEP_1)
	v_mul_f32_e64 v4, 0x2f800000, |v1|
	v_floor_f32_e32 v5, v4
	v_ashrrev_i32_e32 v4, 31, v1
	s_delay_alu instid0(VALU_DEP_2) | instskip(SKIP_1) | instid1(VALU_DEP_3)
	v_fma_f32 v7, 0xcf800000, v5, |v1|
	v_cvt_u32_f32_e32 v1, v5
	v_mov_b32_e32 v5, v4
	s_delay_alu instid0(VALU_DEP_3) | instskip(NEXT) | instid1(VALU_DEP_3)
	v_cvt_u32_f32_e32 v7, v7
	v_xor_b32_e32 v9, v1, v4
	s_delay_alu instid0(VALU_DEP_2) | instskip(NEXT) | instid1(VALU_DEP_1)
	v_xor_b32_e32 v8, v7, v4
	v_sub_nc_u64_e32 v[4:5], v[8:9], v[4:5]
.LBB14_1195:
	s_or_b32 exec_lo, exec_lo, s18
	s_mov_b32 s18, 0
	s_branch .LBB14_1201
.LBB14_1196:
	s_mov_b32 s18, -1
                                        ; implicit-def: $vgpr4_vgpr5
	s_branch .LBB14_1207
.LBB14_1197:
	s_and_not1_saveexec_b32 s18, s18
	s_cbranch_execz .LBB14_1182
.LBB14_1198:
	v_cmp_ne_u16_e32 vcc_lo, 0, v1
	s_and_not1_b32 s21, s21, exec_lo
	s_and_b32 s22, vcc_lo, exec_lo
	s_delay_alu instid0(SALU_CYCLE_1)
	s_or_b32 s21, s21, s22
	s_or_b32 exec_lo, exec_lo, s18
	v_mov_b64_e32 v[4:5], 0
	s_and_saveexec_b32 s18, s21
	s_cbranch_execnz .LBB14_1183
	s_branch .LBB14_1184
.LBB14_1199:
	s_mov_b32 s18, -1
                                        ; implicit-def: $vgpr4_vgpr5
	s_branch .LBB14_1204
.LBB14_1200:
	s_mov_b32 s18, -1
                                        ; implicit-def: $vgpr4_vgpr5
.LBB14_1201:
	s_delay_alu instid0(SALU_CYCLE_1)
	s_and_b32 vcc_lo, exec_lo, s18
	s_cbranch_vccz .LBB14_1203
; %bb.1202:
	global_load_u8 v1, v[2:3], off
	s_wait_loadcnt 0x0
	v_lshlrev_b32_e32 v1, 24, v1
	s_delay_alu instid0(VALU_DEP_1) | instskip(NEXT) | instid1(VALU_DEP_1)
	v_and_b32_e32 v4, 0x7f000000, v1
	v_clz_i32_u32_e32 v5, v4
	v_add_nc_u32_e32 v8, 0x1000000, v4
	v_cmp_ne_u32_e32 vcc_lo, 0, v4
	s_delay_alu instid0(VALU_DEP_3) | instskip(NEXT) | instid1(VALU_DEP_1)
	v_min_u32_e32 v5, 32, v5
	v_sub_nc_u32_e64 v5, v5, 4 clamp
	s_delay_alu instid0(VALU_DEP_1) | instskip(NEXT) | instid1(VALU_DEP_1)
	v_dual_lshlrev_b32 v7, v5, v4 :: v_dual_lshlrev_b32 v5, 23, v5
	v_lshrrev_b32_e32 v7, 4, v7
	s_delay_alu instid0(VALU_DEP_1) | instskip(NEXT) | instid1(VALU_DEP_1)
	v_dual_sub_nc_u32 v5, v7, v5 :: v_dual_ashrrev_i32 v7, 8, v8
	v_add_nc_u32_e32 v5, 0x3c000000, v5
	s_delay_alu instid0(VALU_DEP_1) | instskip(NEXT) | instid1(VALU_DEP_1)
	v_and_or_b32 v5, 0x7f800000, v7, v5
	v_cndmask_b32_e32 v4, 0, v5, vcc_lo
	s_delay_alu instid0(VALU_DEP_1) | instskip(NEXT) | instid1(VALU_DEP_1)
	v_and_or_b32 v1, 0x80000000, v1, v4
	v_trunc_f32_e32 v1, v1
	s_delay_alu instid0(VALU_DEP_1) | instskip(NEXT) | instid1(VALU_DEP_1)
	v_mul_f32_e64 v4, 0x2f800000, |v1|
	v_floor_f32_e32 v5, v4
	v_ashrrev_i32_e32 v4, 31, v1
	s_delay_alu instid0(VALU_DEP_2) | instskip(SKIP_1) | instid1(VALU_DEP_3)
	v_fma_f32 v7, 0xcf800000, v5, |v1|
	v_cvt_u32_f32_e32 v1, v5
	v_mov_b32_e32 v5, v4
	s_delay_alu instid0(VALU_DEP_3) | instskip(NEXT) | instid1(VALU_DEP_3)
	v_cvt_u32_f32_e32 v7, v7
	v_xor_b32_e32 v9, v1, v4
	s_delay_alu instid0(VALU_DEP_2) | instskip(NEXT) | instid1(VALU_DEP_1)
	v_xor_b32_e32 v8, v7, v4
	v_sub_nc_u64_e32 v[4:5], v[8:9], v[4:5]
.LBB14_1203:
	s_mov_b32 s18, 0
.LBB14_1204:
	s_delay_alu instid0(SALU_CYCLE_1)
	s_and_not1_b32 vcc_lo, exec_lo, s18
	s_cbranch_vccnz .LBB14_1206
; %bb.1205:
	global_load_u8 v1, v[2:3], off
	s_wait_loadcnt 0x0
	v_lshlrev_b32_e32 v4, 25, v1
	v_lshlrev_b16 v1, 8, v1
	s_delay_alu instid0(VALU_DEP_1) | instskip(SKIP_1) | instid1(VALU_DEP_2)
	v_and_or_b32 v7, 0x7f00, v1, 0.5
	v_bfe_i32 v1, v1, 0, 16
	v_dual_add_f32 v7, -0.5, v7 :: v_dual_lshrrev_b32 v5, 4, v4
	v_cmp_gt_u32_e32 vcc_lo, 0x8000000, v4
	s_delay_alu instid0(VALU_DEP_2) | instskip(NEXT) | instid1(VALU_DEP_1)
	v_or_b32_e32 v5, 0x70000000, v5
	v_mul_f32_e32 v5, 0x7800000, v5
	s_delay_alu instid0(VALU_DEP_1) | instskip(NEXT) | instid1(VALU_DEP_1)
	v_cndmask_b32_e32 v4, v5, v7, vcc_lo
	v_and_or_b32 v1, 0x80000000, v1, v4
	s_delay_alu instid0(VALU_DEP_1) | instskip(NEXT) | instid1(VALU_DEP_1)
	v_trunc_f32_e32 v1, v1
	v_mul_f32_e64 v4, 0x2f800000, |v1|
	s_delay_alu instid0(VALU_DEP_1) | instskip(SKIP_1) | instid1(VALU_DEP_2)
	v_floor_f32_e32 v5, v4
	v_ashrrev_i32_e32 v4, 31, v1
	v_fma_f32 v7, 0xcf800000, v5, |v1|
	v_cvt_u32_f32_e32 v1, v5
	s_delay_alu instid0(VALU_DEP_3) | instskip(NEXT) | instid1(VALU_DEP_3)
	v_mov_b32_e32 v5, v4
	v_cvt_u32_f32_e32 v7, v7
	s_delay_alu instid0(VALU_DEP_3) | instskip(NEXT) | instid1(VALU_DEP_2)
	v_xor_b32_e32 v9, v1, v4
	v_xor_b32_e32 v8, v7, v4
	s_delay_alu instid0(VALU_DEP_1)
	v_sub_nc_u64_e32 v[4:5], v[8:9], v[4:5]
.LBB14_1206:
	s_mov_b32 s18, 0
	s_mov_b32 s21, -1
.LBB14_1207:
	s_and_not1_b32 vcc_lo, exec_lo, s18
	s_mov_b32 s19, 0
	s_cbranch_vccnz .LBB14_1218
; %bb.1208:
	s_cmp_gt_i32 s17, 14
	s_cbranch_scc0 .LBB14_1211
; %bb.1209:
	s_cmp_eq_u32 s17, 15
	s_cbranch_scc0 .LBB14_1214
; %bb.1210:
	global_load_u16 v1, v[2:3], off
	s_mov_b32 s0, 0
	s_mov_b32 s21, -1
	s_wait_loadcnt 0x0
	v_lshlrev_b32_e32 v1, 16, v1
	s_delay_alu instid0(VALU_DEP_1) | instskip(NEXT) | instid1(VALU_DEP_1)
	v_trunc_f32_e32 v1, v1
	v_mul_f32_e64 v4, 0x2f800000, |v1|
	s_delay_alu instid0(VALU_DEP_1) | instskip(SKIP_1) | instid1(VALU_DEP_2)
	v_floor_f32_e32 v5, v4
	v_ashrrev_i32_e32 v4, 31, v1
	v_fma_f32 v7, 0xcf800000, v5, |v1|
	v_cvt_u32_f32_e32 v1, v5
	s_delay_alu instid0(VALU_DEP_3) | instskip(NEXT) | instid1(VALU_DEP_3)
	v_mov_b32_e32 v5, v4
	v_cvt_u32_f32_e32 v7, v7
	s_delay_alu instid0(VALU_DEP_3) | instskip(NEXT) | instid1(VALU_DEP_2)
	v_xor_b32_e32 v9, v1, v4
	v_xor_b32_e32 v8, v7, v4
	s_delay_alu instid0(VALU_DEP_1)
	v_sub_nc_u64_e32 v[4:5], v[8:9], v[4:5]
	s_branch .LBB14_1215
.LBB14_1211:
	s_mov_b32 s18, -1
                                        ; implicit-def: $vgpr4_vgpr5
	s_branch .LBB14_1216
.LBB14_1212:
	s_and_not1_saveexec_b32 s18, s18
	s_cbranch_execz .LBB14_1193
.LBB14_1213:
	v_cmp_ne_u16_e32 vcc_lo, 0, v1
	s_and_not1_b32 s19, s19, exec_lo
	s_and_b32 s21, vcc_lo, exec_lo
	s_delay_alu instid0(SALU_CYCLE_1)
	s_or_b32 s19, s19, s21
	s_or_b32 exec_lo, exec_lo, s18
	v_mov_b64_e32 v[4:5], 0
	s_and_saveexec_b32 s18, s19
	s_cbranch_execnz .LBB14_1194
	s_branch .LBB14_1195
.LBB14_1214:
	s_mov_b32 s0, -1
                                        ; implicit-def: $vgpr4_vgpr5
.LBB14_1215:
	s_mov_b32 s18, 0
.LBB14_1216:
	s_delay_alu instid0(SALU_CYCLE_1)
	s_and_b32 vcc_lo, exec_lo, s18
	s_cbranch_vccz .LBB14_1218
; %bb.1217:
	s_cmp_lg_u32 s17, 11
	s_mov_b32 s19, -1
	s_cselect_b32 s0, -1, 0
.LBB14_1218:
	s_delay_alu instid0(SALU_CYCLE_1)
	s_and_b32 vcc_lo, exec_lo, s0
	s_mov_b32 s18, s3
	s_cbranch_vccnz .LBB14_1285
; %bb.1219:
	s_and_not1_b32 vcc_lo, exec_lo, s19
	s_cbranch_vccnz .LBB14_1221
.LBB14_1220:
	global_load_u8 v1, v[2:3], off
	s_mov_b32 s0, 0
	s_mov_b32 s21, -1
	s_wait_loadcnt 0x1
	v_mov_b32_e32 v5, s0
	s_wait_loadcnt 0x0
	v_cmp_ne_u16_e32 vcc_lo, 0, v1
	v_cndmask_b32_e64 v4, 0, 1, vcc_lo
.LBB14_1221:
	s_mov_b32 s0, 0
.LBB14_1222:
	s_delay_alu instid0(SALU_CYCLE_1)
	s_and_b32 vcc_lo, exec_lo, s0
	s_cbranch_vccz .LBB14_1271
; %bb.1223:
	s_cmp_lt_i32 s17, 5
	s_cbranch_scc1 .LBB14_1228
; %bb.1224:
	s_cmp_lt_i32 s17, 8
	s_cbranch_scc1 .LBB14_1229
	;; [unrolled: 3-line block ×3, first 2 shown]
; %bb.1226:
	s_cmp_gt_i32 s17, 9
	s_cbranch_scc0 .LBB14_1231
; %bb.1227:
	s_wait_loadcnt 0x0
	global_load_b64 v[4:5], v[2:3], off
	s_mov_b32 s0, 0
	s_wait_loadcnt 0x0
	v_trunc_f64_e32 v[4:5], v[4:5]
	s_delay_alu instid0(VALU_DEP_1) | instskip(NEXT) | instid1(VALU_DEP_1)
	v_ldexp_f64 v[8:9], v[4:5], 0xffffffe0
	v_floor_f64_e32 v[8:9], v[8:9]
	s_delay_alu instid0(VALU_DEP_1) | instskip(SKIP_1) | instid1(VALU_DEP_2)
	v_fmamk_f64 v[10:11], v[8:9], 0xc1f00000, v[4:5]
	v_cvt_i32_f64_e32 v5, v[8:9]
	v_cvt_u32_f64_e32 v4, v[10:11]
	s_branch .LBB14_1232
.LBB14_1228:
	s_mov_b32 s0, -1
                                        ; implicit-def: $vgpr4_vgpr5
	s_branch .LBB14_1250
.LBB14_1229:
	s_mov_b32 s0, -1
                                        ; implicit-def: $vgpr4_vgpr5
	s_branch .LBB14_1238
.LBB14_1230:
	s_mov_b32 s0, -1
                                        ; implicit-def: $vgpr4_vgpr5
	s_branch .LBB14_1235
.LBB14_1231:
	s_mov_b32 s0, -1
                                        ; implicit-def: $vgpr4_vgpr5
.LBB14_1232:
	s_delay_alu instid0(SALU_CYCLE_1)
	s_and_not1_b32 vcc_lo, exec_lo, s0
	s_cbranch_vccnz .LBB14_1234
; %bb.1233:
	global_load_b32 v1, v[2:3], off
	s_wait_loadcnt 0x0
	v_trunc_f32_e32 v1, v1
	s_delay_alu instid0(VALU_DEP_1) | instskip(NEXT) | instid1(VALU_DEP_1)
	v_mul_f32_e64 v4, 0x2f800000, |v1|
	v_floor_f32_e32 v5, v4
	v_ashrrev_i32_e32 v4, 31, v1
	s_delay_alu instid0(VALU_DEP_2) | instskip(SKIP_1) | instid1(VALU_DEP_3)
	v_fma_f32 v7, 0xcf800000, v5, |v1|
	v_cvt_u32_f32_e32 v1, v5
	v_mov_b32_e32 v5, v4
	s_delay_alu instid0(VALU_DEP_3) | instskip(NEXT) | instid1(VALU_DEP_3)
	v_cvt_u32_f32_e32 v7, v7
	v_xor_b32_e32 v9, v1, v4
	s_delay_alu instid0(VALU_DEP_2) | instskip(NEXT) | instid1(VALU_DEP_1)
	v_xor_b32_e32 v8, v7, v4
	v_sub_nc_u64_e32 v[4:5], v[8:9], v[4:5]
.LBB14_1234:
	s_mov_b32 s0, 0
.LBB14_1235:
	s_delay_alu instid0(SALU_CYCLE_1)
	s_and_not1_b32 vcc_lo, exec_lo, s0
	s_cbranch_vccnz .LBB14_1237
; %bb.1236:
	global_load_b32 v1, v[2:3], off
	s_wait_loadcnt 0x0
	v_cvt_f32_f16_e32 v1, v1
	s_delay_alu instid0(VALU_DEP_1) | instskip(NEXT) | instid1(VALU_DEP_1)
	v_cvt_i32_f32_e32 v4, v1
	v_ashrrev_i32_e32 v5, 31, v4
.LBB14_1237:
	s_mov_b32 s0, 0
.LBB14_1238:
	s_delay_alu instid0(SALU_CYCLE_1)
	s_and_not1_b32 vcc_lo, exec_lo, s0
	s_cbranch_vccnz .LBB14_1249
; %bb.1239:
	s_cmp_lt_i32 s17, 6
	s_cbranch_scc1 .LBB14_1242
; %bb.1240:
	s_cmp_gt_i32 s17, 6
	s_cbranch_scc0 .LBB14_1243
; %bb.1241:
	s_wait_loadcnt 0x0
	global_load_b64 v[4:5], v[2:3], off
	s_mov_b32 s0, 0
	s_wait_loadcnt 0x0
	v_trunc_f64_e32 v[4:5], v[4:5]
	s_delay_alu instid0(VALU_DEP_1) | instskip(NEXT) | instid1(VALU_DEP_1)
	v_ldexp_f64 v[8:9], v[4:5], 0xffffffe0
	v_floor_f64_e32 v[8:9], v[8:9]
	s_delay_alu instid0(VALU_DEP_1) | instskip(SKIP_1) | instid1(VALU_DEP_2)
	v_fmamk_f64 v[10:11], v[8:9], 0xc1f00000, v[4:5]
	v_cvt_i32_f64_e32 v5, v[8:9]
	v_cvt_u32_f64_e32 v4, v[10:11]
	s_branch .LBB14_1244
.LBB14_1242:
	s_mov_b32 s0, -1
                                        ; implicit-def: $vgpr4_vgpr5
	s_branch .LBB14_1247
.LBB14_1243:
	s_mov_b32 s0, -1
                                        ; implicit-def: $vgpr4_vgpr5
.LBB14_1244:
	s_delay_alu instid0(SALU_CYCLE_1)
	s_and_not1_b32 vcc_lo, exec_lo, s0
	s_cbranch_vccnz .LBB14_1246
; %bb.1245:
	global_load_b32 v1, v[2:3], off
	s_wait_loadcnt 0x0
	v_trunc_f32_e32 v1, v1
	s_delay_alu instid0(VALU_DEP_1) | instskip(NEXT) | instid1(VALU_DEP_1)
	v_mul_f32_e64 v4, 0x2f800000, |v1|
	v_floor_f32_e32 v5, v4
	v_ashrrev_i32_e32 v4, 31, v1
	s_delay_alu instid0(VALU_DEP_2) | instskip(SKIP_1) | instid1(VALU_DEP_3)
	v_fma_f32 v7, 0xcf800000, v5, |v1|
	v_cvt_u32_f32_e32 v1, v5
	v_mov_b32_e32 v5, v4
	s_delay_alu instid0(VALU_DEP_3) | instskip(NEXT) | instid1(VALU_DEP_3)
	v_cvt_u32_f32_e32 v7, v7
	v_xor_b32_e32 v9, v1, v4
	s_delay_alu instid0(VALU_DEP_2) | instskip(NEXT) | instid1(VALU_DEP_1)
	v_xor_b32_e32 v8, v7, v4
	v_sub_nc_u64_e32 v[4:5], v[8:9], v[4:5]
.LBB14_1246:
	s_mov_b32 s0, 0
.LBB14_1247:
	s_delay_alu instid0(SALU_CYCLE_1)
	s_and_not1_b32 vcc_lo, exec_lo, s0
	s_cbranch_vccnz .LBB14_1249
; %bb.1248:
	global_load_u16 v1, v[2:3], off
	s_wait_loadcnt 0x0
	v_cvt_f32_f16_e32 v1, v1
	s_delay_alu instid0(VALU_DEP_1) | instskip(NEXT) | instid1(VALU_DEP_1)
	v_cvt_i32_f32_e32 v4, v1
	v_ashrrev_i32_e32 v5, 31, v4
.LBB14_1249:
	s_mov_b32 s0, 0
.LBB14_1250:
	s_delay_alu instid0(SALU_CYCLE_1)
	s_and_not1_b32 vcc_lo, exec_lo, s0
	s_cbranch_vccnz .LBB14_1270
; %bb.1251:
	s_cmp_lt_i32 s17, 2
	s_cbranch_scc1 .LBB14_1255
; %bb.1252:
	s_cmp_lt_i32 s17, 3
	s_cbranch_scc1 .LBB14_1256
; %bb.1253:
	s_cmp_gt_i32 s17, 3
	s_cbranch_scc0 .LBB14_1257
; %bb.1254:
	s_wait_loadcnt 0x0
	global_load_b64 v[4:5], v[2:3], off
	s_mov_b32 s0, 0
	s_branch .LBB14_1258
.LBB14_1255:
	s_mov_b32 s0, -1
                                        ; implicit-def: $vgpr4_vgpr5
	s_branch .LBB14_1264
.LBB14_1256:
	s_mov_b32 s0, -1
                                        ; implicit-def: $vgpr4_vgpr5
	s_branch .LBB14_1261
.LBB14_1257:
	s_mov_b32 s0, -1
                                        ; implicit-def: $vgpr4_vgpr5
.LBB14_1258:
	s_delay_alu instid0(SALU_CYCLE_1)
	s_and_not1_b32 vcc_lo, exec_lo, s0
	s_cbranch_vccnz .LBB14_1260
; %bb.1259:
	s_wait_loadcnt 0x0
	global_load_b32 v4, v[2:3], off
	s_wait_loadcnt 0x0
	v_ashrrev_i32_e32 v5, 31, v4
.LBB14_1260:
	s_mov_b32 s0, 0
.LBB14_1261:
	s_delay_alu instid0(SALU_CYCLE_1)
	s_and_not1_b32 vcc_lo, exec_lo, s0
	s_cbranch_vccnz .LBB14_1263
; %bb.1262:
	global_load_u16 v1, v[2:3], off
	s_wait_loadcnt 0x0
	v_bfe_i32 v4, v1, 0, 16
	s_delay_alu instid0(VALU_DEP_1)
	v_ashrrev_i32_e32 v5, 31, v4
.LBB14_1263:
	s_mov_b32 s0, 0
.LBB14_1264:
	s_delay_alu instid0(SALU_CYCLE_1)
	s_and_not1_b32 vcc_lo, exec_lo, s0
	s_cbranch_vccnz .LBB14_1270
; %bb.1265:
	s_cmp_gt_i32 s17, 0
	s_mov_b32 s0, 0
	s_cbranch_scc0 .LBB14_1267
; %bb.1266:
	global_load_i8 v1, v[2:3], off
	s_wait_loadcnt 0x0
	v_bfe_i32 v4, v1, 0, 16
	s_delay_alu instid0(VALU_DEP_1)
	v_ashrrev_i32_e32 v5, 31, v4
	s_branch .LBB14_1268
.LBB14_1267:
	s_mov_b32 s0, -1
                                        ; implicit-def: $vgpr4_vgpr5
.LBB14_1268:
	s_delay_alu instid0(SALU_CYCLE_1)
	s_and_not1_b32 vcc_lo, exec_lo, s0
	s_cbranch_vccnz .LBB14_1270
; %bb.1269:
	global_load_u8 v1, v[2:3], off
	s_mov_b32 s0, 0
	s_wait_loadcnt 0x1
	v_mov_b32_e32 v5, s0
	s_wait_loadcnt 0x0
	v_and_b32_e32 v4, 0xffff, v1
.LBB14_1270:
	s_mov_b32 s21, -1
.LBB14_1271:
	s_delay_alu instid0(SALU_CYCLE_1)
	s_and_not1_b32 vcc_lo, exec_lo, s21
	s_cbranch_vccnz .LBB14_1281
; %bb.1272:
	s_wait_loadcnt 0x0
	s_delay_alu instid0(VALU_DEP_1) | instskip(SKIP_4) | instid1(SALU_CYCLE_1)
	v_cmp_gt_i64_e32 vcc_lo, s[8:9], v[4:5]
	v_cmp_le_i64_e64 s0, s[10:11], v[4:5]
	s_or_b32 s0, vcc_lo, s0
	s_wait_xcnt 0x0
	s_and_saveexec_b32 s19, s0
	s_xor_b32 s0, exec_lo, s19
	s_cbranch_execnz .LBB14_1778
.LBB14_1273:
	s_or_saveexec_b32 s19, s0
	s_mov_b32 s21, 0
	s_mov_b32 s22, 0
                                        ; implicit-def: $sgpr0
                                        ; implicit-def: $vgpr2_vgpr3
	s_xor_b32 exec_lo, exec_lo, s19
	s_cbranch_execz .LBB14_1723
; %bb.1274:
	v_add_nc_u32_e32 v0, s20, v0
	s_cmp_lt_i32 s17, 11
	s_delay_alu instid0(VALU_DEP_1) | instskip(NEXT) | instid1(VALU_DEP_1)
	v_ashrrev_i32_e32 v1, 31, v0
	v_add_nc_u64_e32 v[0:1], s[6:7], v[0:1]
	s_cbranch_scc1 .LBB14_1282
; %bb.1275:
	s_cmp_gt_i32 s17, 25
	s_mov_b32 s7, 0
	s_cbranch_scc0 .LBB14_1283
; %bb.1276:
	s_cmp_gt_i32 s17, 28
	s_cbranch_scc0 .LBB14_1284
; %bb.1277:
	s_cmp_gt_i32 s17, 43
	;; [unrolled: 3-line block ×3, first 2 shown]
	s_cbranch_scc0 .LBB14_1287
; %bb.1279:
	s_cmp_eq_u32 s17, 46
	s_mov_b32 s6, 0
	s_cbranch_scc0 .LBB14_1289
; %bb.1280:
	global_load_b32 v2, v[0:1], off
	s_mov_b32 s0, 0
	s_mov_b32 s20, -1
	s_wait_loadcnt 0x0
	v_lshlrev_b32_e32 v2, 16, v2
	s_delay_alu instid0(VALU_DEP_1) | instskip(NEXT) | instid1(VALU_DEP_1)
	v_trunc_f32_e32 v2, v2
	v_mul_f32_e64 v3, 0x2f800000, |v2|
	s_delay_alu instid0(VALU_DEP_1) | instskip(NEXT) | instid1(VALU_DEP_1)
	v_floor_f32_e32 v3, v3
	v_fma_f32 v4, 0xcf800000, v3, |v2|
	v_ashrrev_i32_e32 v2, 31, v2
	v_cvt_u32_f32_e32 v5, v3
	s_delay_alu instid0(VALU_DEP_3) | instskip(NEXT) | instid1(VALU_DEP_2)
	v_cvt_u32_f32_e32 v4, v4
	v_dual_mov_b32 v3, v2 :: v_dual_bitop2_b32 v5, v5, v2 bitop3:0x14
	s_delay_alu instid0(VALU_DEP_2) | instskip(NEXT) | instid1(VALU_DEP_1)
	v_xor_b32_e32 v4, v4, v2
	v_sub_nc_u64_e32 v[2:3], v[4:5], v[2:3]
	s_branch .LBB14_1291
.LBB14_1281:
	s_mov_b32 s21, 0
	s_mov_b32 s22, 0
                                        ; implicit-def: $sgpr0
                                        ; implicit-def: $vgpr2_vgpr3
	s_branch .LBB14_1724
.LBB14_1282:
	s_mov_b32 s0, -1
	s_mov_b32 s20, 0
	s_mov_b32 s6, s18
                                        ; implicit-def: $vgpr2_vgpr3
	s_branch .LBB14_1353
.LBB14_1283:
	s_mov_b32 s6, -1
	s_mov_b32 s20, 0
	s_mov_b32 s0, 0
                                        ; implicit-def: $vgpr2_vgpr3
	s_branch .LBB14_1318
.LBB14_1284:
	s_mov_b32 s6, -1
	s_mov_b32 s20, 0
	s_mov_b32 s0, 0
                                        ; implicit-def: $vgpr2_vgpr3
	s_branch .LBB14_1301
.LBB14_1285:
	s_or_b32 s18, s3, exec_lo
	s_trap 2
	s_cbranch_execz .LBB14_1220
	s_branch .LBB14_1221
.LBB14_1286:
	s_mov_b32 s6, -1
	s_mov_b32 s20, 0
	s_mov_b32 s0, 0
                                        ; implicit-def: $vgpr2_vgpr3
	s_branch .LBB14_1296
.LBB14_1287:
	s_mov_b32 s6, -1
	s_mov_b32 s20, 0
	s_mov_b32 s0, 0
	s_branch .LBB14_1290
.LBB14_1288:
	s_or_b32 s1, s1, exec_lo
	s_trap 2
                                        ; implicit-def: $vgpr0
                                        ; implicit-def: $vgpr6
	s_branch .LBB14_905
.LBB14_1289:
	s_mov_b32 s0, -1
	s_mov_b32 s20, 0
.LBB14_1290:
                                        ; implicit-def: $vgpr2_vgpr3
.LBB14_1291:
	s_and_b32 vcc_lo, exec_lo, s6
	s_cbranch_vccz .LBB14_1295
; %bb.1292:
	s_cmp_eq_u32 s17, 44
	s_cbranch_scc0 .LBB14_1294
; %bb.1293:
	global_load_u8 v7, v[0:1], off
	s_mov_b32 s0, 0
	s_mov_b32 s20, -1
	s_wait_loadcnt 0x0
	v_lshlrev_b32_e32 v2, 23, v7
	v_cmp_ne_u32_e32 vcc_lo, 0, v7
	s_delay_alu instid0(VALU_DEP_2) | instskip(NEXT) | instid1(VALU_DEP_1)
	v_trunc_f32_e32 v2, v2
	v_mul_f32_e64 v3, 0x2f800000, |v2|
	s_delay_alu instid0(VALU_DEP_1) | instskip(NEXT) | instid1(VALU_DEP_1)
	v_floor_f32_e32 v3, v3
	v_fma_f32 v4, 0xcf800000, v3, |v2|
	v_ashrrev_i32_e32 v2, 31, v2
	v_cvt_u32_f32_e32 v5, v3
	s_delay_alu instid0(VALU_DEP_3) | instskip(NEXT) | instid1(VALU_DEP_2)
	v_cvt_u32_f32_e32 v4, v4
	v_dual_mov_b32 v3, v2 :: v_dual_bitop2_b32 v5, v5, v2 bitop3:0x14
	s_delay_alu instid0(VALU_DEP_2) | instskip(NEXT) | instid1(VALU_DEP_1)
	v_xor_b32_e32 v4, v4, v2
	v_sub_nc_u64_e32 v[2:3], v[4:5], v[2:3]
	s_delay_alu instid0(VALU_DEP_1)
	v_dual_cndmask_b32 v3, 0, v3 :: v_dual_cndmask_b32 v2, 0, v2
	s_branch .LBB14_1295
.LBB14_1294:
	s_mov_b32 s0, -1
                                        ; implicit-def: $vgpr2_vgpr3
.LBB14_1295:
	s_mov_b32 s6, 0
.LBB14_1296:
	s_delay_alu instid0(SALU_CYCLE_1)
	s_and_b32 vcc_lo, exec_lo, s6
	s_cbranch_vccz .LBB14_1300
; %bb.1297:
	s_cmp_eq_u32 s17, 29
	s_cbranch_scc0 .LBB14_1299
; %bb.1298:
	global_load_b64 v[2:3], v[0:1], off
	s_mov_b32 s0, 0
	s_mov_b32 s20, -1
	s_branch .LBB14_1300
.LBB14_1299:
	s_mov_b32 s0, -1
                                        ; implicit-def: $vgpr2_vgpr3
.LBB14_1300:
	s_mov_b32 s6, 0
.LBB14_1301:
	s_delay_alu instid0(SALU_CYCLE_1)
	s_and_b32 vcc_lo, exec_lo, s6
	s_cbranch_vccz .LBB14_1317
; %bb.1302:
	s_cmp_lt_i32 s17, 27
	s_cbranch_scc1 .LBB14_1305
; %bb.1303:
	s_cmp_gt_i32 s17, 27
	s_cbranch_scc0 .LBB14_1306
; %bb.1304:
	s_wait_loadcnt 0x0
	global_load_b32 v2, v[0:1], off
	v_mov_b32_e32 v3, 0
	s_mov_b32 s6, 0
	s_branch .LBB14_1307
.LBB14_1305:
	s_mov_b32 s6, -1
                                        ; implicit-def: $vgpr2_vgpr3
	s_branch .LBB14_1310
.LBB14_1306:
	s_mov_b32 s6, -1
                                        ; implicit-def: $vgpr2_vgpr3
.LBB14_1307:
	s_delay_alu instid0(SALU_CYCLE_1)
	s_and_not1_b32 vcc_lo, exec_lo, s6
	s_cbranch_vccnz .LBB14_1309
; %bb.1308:
	s_wait_loadcnt 0x0
	global_load_u16 v2, v[0:1], off
	s_mov_b32 s6, 0
	s_delay_alu instid0(SALU_CYCLE_1)
	v_mov_b32_e32 v3, s6
	s_wait_loadcnt 0x0
	v_and_b32_e32 v2, 0xffff, v2
.LBB14_1309:
	s_mov_b32 s6, 0
.LBB14_1310:
	s_delay_alu instid0(SALU_CYCLE_1)
	s_and_not1_b32 vcc_lo, exec_lo, s6
	s_cbranch_vccnz .LBB14_1316
; %bb.1311:
	global_load_u8 v4, v[0:1], off
	s_mov_b32 s20, 0
	s_mov_b32 s6, exec_lo
	s_wait_loadcnt 0x0
	v_cmpx_lt_i16_e32 0x7f, v4
	s_xor_b32 s6, exec_lo, s6
	s_cbranch_execz .LBB14_1328
; %bb.1312:
	v_cmp_ne_u16_e32 vcc_lo, 0x80, v4
	s_and_b32 s20, vcc_lo, exec_lo
	s_and_not1_saveexec_b32 s6, s6
	s_cbranch_execnz .LBB14_1329
.LBB14_1313:
	s_or_b32 exec_lo, exec_lo, s6
	v_mov_b64_e32 v[2:3], 0
	s_and_saveexec_b32 s6, s20
	s_cbranch_execz .LBB14_1315
.LBB14_1314:
	v_and_b32_e32 v2, 0xffff, v4
	s_delay_alu instid0(VALU_DEP_1) | instskip(SKIP_1) | instid1(VALU_DEP_2)
	v_and_b32_e32 v3, 7, v2
	v_bfe_u32 v8, v2, 3, 4
	v_clz_i32_u32_e32 v5, v3
	s_delay_alu instid0(VALU_DEP_2) | instskip(NEXT) | instid1(VALU_DEP_2)
	v_cmp_eq_u32_e32 vcc_lo, 0, v8
	v_min_u32_e32 v5, 32, v5
	s_delay_alu instid0(VALU_DEP_1) | instskip(NEXT) | instid1(VALU_DEP_1)
	v_subrev_nc_u32_e32 v7, 28, v5
	v_dual_lshlrev_b32 v2, v7, v2 :: v_dual_sub_nc_u32 v5, 29, v5
	s_delay_alu instid0(VALU_DEP_1) | instskip(NEXT) | instid1(VALU_DEP_1)
	v_dual_lshlrev_b32 v4, 24, v4 :: v_dual_bitop2_b32 v2, 7, v2 bitop3:0x40
	v_dual_cndmask_b32 v5, v8, v5 :: v_dual_cndmask_b32 v2, v3, v2
	s_delay_alu instid0(VALU_DEP_2) | instskip(NEXT) | instid1(VALU_DEP_2)
	v_and_b32_e32 v3, 0x80000000, v4
	v_lshl_add_u32 v4, v5, 23, 0x3b800000
	s_delay_alu instid0(VALU_DEP_3) | instskip(NEXT) | instid1(VALU_DEP_1)
	v_lshlrev_b32_e32 v2, 20, v2
	v_or3_b32 v2, v3, v4, v2
	s_delay_alu instid0(VALU_DEP_1) | instskip(NEXT) | instid1(VALU_DEP_1)
	v_trunc_f32_e32 v2, v2
	v_mul_f32_e64 v3, 0x2f800000, |v2|
	s_delay_alu instid0(VALU_DEP_1) | instskip(NEXT) | instid1(VALU_DEP_1)
	v_floor_f32_e32 v3, v3
	v_fma_f32 v4, 0xcf800000, v3, |v2|
	v_ashrrev_i32_e32 v2, 31, v2
	v_cvt_u32_f32_e32 v5, v3
	s_delay_alu instid0(VALU_DEP_3) | instskip(NEXT) | instid1(VALU_DEP_2)
	v_cvt_u32_f32_e32 v4, v4
	v_dual_mov_b32 v3, v2 :: v_dual_bitop2_b32 v5, v5, v2 bitop3:0x14
	s_delay_alu instid0(VALU_DEP_2) | instskip(NEXT) | instid1(VALU_DEP_1)
	v_xor_b32_e32 v4, v4, v2
	v_sub_nc_u64_e32 v[2:3], v[4:5], v[2:3]
.LBB14_1315:
	s_or_b32 exec_lo, exec_lo, s6
.LBB14_1316:
	s_mov_b32 s20, -1
.LBB14_1317:
	s_mov_b32 s6, 0
.LBB14_1318:
	s_delay_alu instid0(SALU_CYCLE_1)
	s_and_b32 vcc_lo, exec_lo, s6
	s_cbranch_vccz .LBB14_1349
; %bb.1319:
	s_cmp_gt_i32 s17, 22
	s_cbranch_scc0 .LBB14_1327
; %bb.1320:
	s_cmp_lt_i32 s17, 24
	s_cbranch_scc1 .LBB14_1330
; %bb.1321:
	s_cmp_gt_i32 s17, 24
	s_cbranch_scc0 .LBB14_1331
; %bb.1322:
	global_load_u8 v4, v[0:1], off
	s_mov_b32 s6, exec_lo
	s_wait_loadcnt 0x0
	v_cmpx_lt_i16_e32 0x7f, v4
	s_xor_b32 s6, exec_lo, s6
	s_cbranch_execz .LBB14_1343
; %bb.1323:
	v_cmp_ne_u16_e32 vcc_lo, 0x80, v4
	s_and_b32 s7, vcc_lo, exec_lo
	s_and_not1_saveexec_b32 s6, s6
	s_cbranch_execnz .LBB14_1344
.LBB14_1324:
	s_or_b32 exec_lo, exec_lo, s6
	v_mov_b64_e32 v[2:3], 0
	s_and_saveexec_b32 s6, s7
	s_cbranch_execz .LBB14_1326
.LBB14_1325:
	v_and_b32_e32 v2, 0xffff, v4
	s_delay_alu instid0(VALU_DEP_1) | instskip(SKIP_1) | instid1(VALU_DEP_2)
	v_and_b32_e32 v3, 3, v2
	v_bfe_u32 v8, v2, 2, 5
	v_clz_i32_u32_e32 v5, v3
	s_delay_alu instid0(VALU_DEP_2) | instskip(NEXT) | instid1(VALU_DEP_2)
	v_cmp_eq_u32_e32 vcc_lo, 0, v8
	v_min_u32_e32 v5, 32, v5
	s_delay_alu instid0(VALU_DEP_1) | instskip(NEXT) | instid1(VALU_DEP_1)
	v_subrev_nc_u32_e32 v7, 29, v5
	v_dual_lshlrev_b32 v2, v7, v2 :: v_dual_sub_nc_u32 v5, 30, v5
	s_delay_alu instid0(VALU_DEP_1) | instskip(NEXT) | instid1(VALU_DEP_1)
	v_dual_lshlrev_b32 v4, 24, v4 :: v_dual_bitop2_b32 v2, 3, v2 bitop3:0x40
	v_dual_cndmask_b32 v5, v8, v5 :: v_dual_cndmask_b32 v2, v3, v2
	s_delay_alu instid0(VALU_DEP_2) | instskip(NEXT) | instid1(VALU_DEP_2)
	v_and_b32_e32 v3, 0x80000000, v4
	v_lshl_add_u32 v4, v5, 23, 0x37800000
	s_delay_alu instid0(VALU_DEP_3) | instskip(NEXT) | instid1(VALU_DEP_1)
	v_lshlrev_b32_e32 v2, 21, v2
	v_or3_b32 v2, v3, v4, v2
	s_delay_alu instid0(VALU_DEP_1) | instskip(NEXT) | instid1(VALU_DEP_1)
	v_trunc_f32_e32 v2, v2
	v_mul_f32_e64 v3, 0x2f800000, |v2|
	s_delay_alu instid0(VALU_DEP_1) | instskip(NEXT) | instid1(VALU_DEP_1)
	v_floor_f32_e32 v3, v3
	v_fma_f32 v4, 0xcf800000, v3, |v2|
	v_ashrrev_i32_e32 v2, 31, v2
	v_cvt_u32_f32_e32 v5, v3
	s_delay_alu instid0(VALU_DEP_3) | instskip(NEXT) | instid1(VALU_DEP_2)
	v_cvt_u32_f32_e32 v4, v4
	v_dual_mov_b32 v3, v2 :: v_dual_bitop2_b32 v5, v5, v2 bitop3:0x14
	s_delay_alu instid0(VALU_DEP_2) | instskip(NEXT) | instid1(VALU_DEP_1)
	v_xor_b32_e32 v4, v4, v2
	v_sub_nc_u64_e32 v[2:3], v[4:5], v[2:3]
.LBB14_1326:
	s_or_b32 exec_lo, exec_lo, s6
	s_mov_b32 s6, 0
	s_branch .LBB14_1332
.LBB14_1327:
	s_mov_b32 s6, -1
                                        ; implicit-def: $vgpr2_vgpr3
	s_branch .LBB14_1338
.LBB14_1328:
	s_and_not1_saveexec_b32 s6, s6
	s_cbranch_execz .LBB14_1313
.LBB14_1329:
	v_cmp_ne_u16_e32 vcc_lo, 0, v4
	s_and_not1_b32 s20, s20, exec_lo
	s_and_b32 s21, vcc_lo, exec_lo
	s_delay_alu instid0(SALU_CYCLE_1)
	s_or_b32 s20, s20, s21
	s_or_b32 exec_lo, exec_lo, s6
	v_mov_b64_e32 v[2:3], 0
	s_and_saveexec_b32 s6, s20
	s_cbranch_execnz .LBB14_1314
	s_branch .LBB14_1315
.LBB14_1330:
	s_mov_b32 s6, -1
                                        ; implicit-def: $vgpr2_vgpr3
	s_branch .LBB14_1335
.LBB14_1331:
	s_mov_b32 s6, -1
                                        ; implicit-def: $vgpr2_vgpr3
.LBB14_1332:
	s_delay_alu instid0(SALU_CYCLE_1)
	s_and_b32 vcc_lo, exec_lo, s6
	s_cbranch_vccz .LBB14_1334
; %bb.1333:
	s_wait_loadcnt 0x0
	global_load_u8 v2, v[0:1], off
	s_wait_loadcnt 0x0
	v_lshlrev_b32_e32 v2, 24, v2
	s_delay_alu instid0(VALU_DEP_1) | instskip(NEXT) | instid1(VALU_DEP_1)
	v_and_b32_e32 v3, 0x7f000000, v2
	v_clz_i32_u32_e32 v4, v3
	v_add_nc_u32_e32 v7, 0x1000000, v3
	v_cmp_ne_u32_e32 vcc_lo, 0, v3
	s_delay_alu instid0(VALU_DEP_3) | instskip(NEXT) | instid1(VALU_DEP_1)
	v_min_u32_e32 v4, 32, v4
	v_sub_nc_u32_e64 v4, v4, 4 clamp
	s_delay_alu instid0(VALU_DEP_1) | instskip(NEXT) | instid1(VALU_DEP_1)
	v_dual_lshlrev_b32 v5, v4, v3 :: v_dual_lshlrev_b32 v4, 23, v4
	v_lshrrev_b32_e32 v5, 4, v5
	s_delay_alu instid0(VALU_DEP_1) | instskip(NEXT) | instid1(VALU_DEP_1)
	v_dual_sub_nc_u32 v4, v5, v4 :: v_dual_ashrrev_i32 v5, 8, v7
	v_add_nc_u32_e32 v4, 0x3c000000, v4
	s_delay_alu instid0(VALU_DEP_1) | instskip(NEXT) | instid1(VALU_DEP_1)
	v_and_or_b32 v4, 0x7f800000, v5, v4
	v_cndmask_b32_e32 v3, 0, v4, vcc_lo
	s_delay_alu instid0(VALU_DEP_1) | instskip(NEXT) | instid1(VALU_DEP_1)
	v_and_or_b32 v2, 0x80000000, v2, v3
	v_trunc_f32_e32 v2, v2
	s_delay_alu instid0(VALU_DEP_1) | instskip(NEXT) | instid1(VALU_DEP_1)
	v_mul_f32_e64 v3, 0x2f800000, |v2|
	v_floor_f32_e32 v3, v3
	s_delay_alu instid0(VALU_DEP_1) | instskip(SKIP_2) | instid1(VALU_DEP_3)
	v_fma_f32 v4, 0xcf800000, v3, |v2|
	v_ashrrev_i32_e32 v2, 31, v2
	v_cvt_u32_f32_e32 v5, v3
	v_cvt_u32_f32_e32 v4, v4
	s_delay_alu instid0(VALU_DEP_2) | instskip(NEXT) | instid1(VALU_DEP_2)
	v_dual_mov_b32 v3, v2 :: v_dual_bitop2_b32 v5, v5, v2 bitop3:0x14
	v_xor_b32_e32 v4, v4, v2
	s_delay_alu instid0(VALU_DEP_1)
	v_sub_nc_u64_e32 v[2:3], v[4:5], v[2:3]
.LBB14_1334:
	s_mov_b32 s6, 0
.LBB14_1335:
	s_delay_alu instid0(SALU_CYCLE_1)
	s_and_not1_b32 vcc_lo, exec_lo, s6
	s_cbranch_vccnz .LBB14_1337
; %bb.1336:
	s_wait_loadcnt 0x0
	global_load_u8 v2, v[0:1], off
	s_wait_loadcnt 0x0
	v_lshlrev_b32_e32 v3, 25, v2
	v_lshlrev_b16 v2, 8, v2
	s_delay_alu instid0(VALU_DEP_1) | instskip(SKIP_1) | instid1(VALU_DEP_2)
	v_and_or_b32 v5, 0x7f00, v2, 0.5
	v_bfe_i32 v2, v2, 0, 16
	v_dual_add_f32 v5, -0.5, v5 :: v_dual_lshrrev_b32 v4, 4, v3
	v_cmp_gt_u32_e32 vcc_lo, 0x8000000, v3
	s_delay_alu instid0(VALU_DEP_2) | instskip(NEXT) | instid1(VALU_DEP_1)
	v_or_b32_e32 v4, 0x70000000, v4
	v_mul_f32_e32 v4, 0x7800000, v4
	s_delay_alu instid0(VALU_DEP_1) | instskip(NEXT) | instid1(VALU_DEP_1)
	v_cndmask_b32_e32 v3, v4, v5, vcc_lo
	v_and_or_b32 v2, 0x80000000, v2, v3
	s_delay_alu instid0(VALU_DEP_1) | instskip(NEXT) | instid1(VALU_DEP_1)
	v_trunc_f32_e32 v2, v2
	v_mul_f32_e64 v3, 0x2f800000, |v2|
	s_delay_alu instid0(VALU_DEP_1) | instskip(NEXT) | instid1(VALU_DEP_1)
	v_floor_f32_e32 v3, v3
	v_fma_f32 v4, 0xcf800000, v3, |v2|
	v_ashrrev_i32_e32 v2, 31, v2
	v_cvt_u32_f32_e32 v5, v3
	s_delay_alu instid0(VALU_DEP_3) | instskip(NEXT) | instid1(VALU_DEP_2)
	v_cvt_u32_f32_e32 v4, v4
	v_dual_mov_b32 v3, v2 :: v_dual_bitop2_b32 v5, v5, v2 bitop3:0x14
	s_delay_alu instid0(VALU_DEP_2) | instskip(NEXT) | instid1(VALU_DEP_1)
	v_xor_b32_e32 v4, v4, v2
	v_sub_nc_u64_e32 v[2:3], v[4:5], v[2:3]
.LBB14_1337:
	s_mov_b32 s6, 0
	s_mov_b32 s20, -1
.LBB14_1338:
	s_and_not1_b32 vcc_lo, exec_lo, s6
	s_mov_b32 s7, 0
	s_cbranch_vccnz .LBB14_1349
; %bb.1339:
	s_cmp_gt_i32 s17, 14
	s_cbranch_scc0 .LBB14_1342
; %bb.1340:
	s_cmp_eq_u32 s17, 15
	s_cbranch_scc0 .LBB14_1345
; %bb.1341:
	s_wait_loadcnt 0x0
	global_load_u16 v2, v[0:1], off
	s_mov_b32 s0, 0
	s_mov_b32 s20, -1
	s_wait_loadcnt 0x0
	v_lshlrev_b32_e32 v2, 16, v2
	s_delay_alu instid0(VALU_DEP_1) | instskip(NEXT) | instid1(VALU_DEP_1)
	v_trunc_f32_e32 v2, v2
	v_mul_f32_e64 v3, 0x2f800000, |v2|
	s_delay_alu instid0(VALU_DEP_1) | instskip(NEXT) | instid1(VALU_DEP_1)
	v_floor_f32_e32 v3, v3
	v_fma_f32 v4, 0xcf800000, v3, |v2|
	v_ashrrev_i32_e32 v2, 31, v2
	v_cvt_u32_f32_e32 v5, v3
	s_delay_alu instid0(VALU_DEP_3) | instskip(NEXT) | instid1(VALU_DEP_2)
	v_cvt_u32_f32_e32 v4, v4
	v_dual_mov_b32 v3, v2 :: v_dual_bitop2_b32 v5, v5, v2 bitop3:0x14
	s_delay_alu instid0(VALU_DEP_2) | instskip(NEXT) | instid1(VALU_DEP_1)
	v_xor_b32_e32 v4, v4, v2
	v_sub_nc_u64_e32 v[2:3], v[4:5], v[2:3]
	s_branch .LBB14_1346
.LBB14_1342:
	s_mov_b32 s6, -1
                                        ; implicit-def: $vgpr2_vgpr3
	s_branch .LBB14_1347
.LBB14_1343:
	s_and_not1_saveexec_b32 s6, s6
	s_cbranch_execz .LBB14_1324
.LBB14_1344:
	v_cmp_ne_u16_e32 vcc_lo, 0, v4
	s_and_not1_b32 s7, s7, exec_lo
	s_and_b32 s20, vcc_lo, exec_lo
	s_delay_alu instid0(SALU_CYCLE_1)
	s_or_b32 s7, s7, s20
	s_or_b32 exec_lo, exec_lo, s6
	v_mov_b64_e32 v[2:3], 0
	s_and_saveexec_b32 s6, s7
	s_cbranch_execnz .LBB14_1325
	s_branch .LBB14_1326
.LBB14_1345:
	s_mov_b32 s0, -1
                                        ; implicit-def: $vgpr2_vgpr3
.LBB14_1346:
	s_mov_b32 s6, 0
.LBB14_1347:
	s_delay_alu instid0(SALU_CYCLE_1)
	s_and_b32 vcc_lo, exec_lo, s6
	s_cbranch_vccz .LBB14_1349
; %bb.1348:
	s_cmp_lg_u32 s17, 11
	s_mov_b32 s7, -1
	s_cselect_b32 s0, -1, 0
.LBB14_1349:
	s_delay_alu instid0(SALU_CYCLE_1)
	s_and_b32 vcc_lo, exec_lo, s0
	s_mov_b32 s6, s18
	s_cbranch_vccnz .LBB14_1772
; %bb.1350:
	s_and_not1_b32 vcc_lo, exec_lo, s7
	s_cbranch_vccnz .LBB14_1352
.LBB14_1351:
	s_wait_loadcnt 0x0
	global_load_u8 v2, v[0:1], off
	s_mov_b32 s0, 0
	s_mov_b32 s20, -1
	v_mov_b32_e32 v3, s0
	s_wait_loadcnt 0x0
	v_cmp_ne_u16_e32 vcc_lo, 0, v2
	v_cndmask_b32_e64 v2, 0, 1, vcc_lo
.LBB14_1352:
	s_mov_b32 s0, 0
.LBB14_1353:
	s_delay_alu instid0(SALU_CYCLE_1)
	s_and_b32 vcc_lo, exec_lo, s0
	s_cbranch_vccz .LBB14_1402
; %bb.1354:
	s_cmp_lt_i32 s17, 5
	s_cbranch_scc1 .LBB14_1359
; %bb.1355:
	s_cmp_lt_i32 s17, 8
	s_cbranch_scc1 .LBB14_1360
	;; [unrolled: 3-line block ×3, first 2 shown]
; %bb.1357:
	s_cmp_gt_i32 s17, 9
	s_cbranch_scc0 .LBB14_1362
; %bb.1358:
	s_wait_loadcnt 0x0
	global_load_b64 v[2:3], v[0:1], off
	s_mov_b32 s0, 0
	s_wait_loadcnt 0x0
	v_trunc_f64_e32 v[2:3], v[2:3]
	s_delay_alu instid0(VALU_DEP_1) | instskip(NEXT) | instid1(VALU_DEP_1)
	v_ldexp_f64 v[4:5], v[2:3], 0xffffffe0
	v_floor_f64_e32 v[4:5], v[4:5]
	s_delay_alu instid0(VALU_DEP_1) | instskip(SKIP_1) | instid1(VALU_DEP_2)
	v_fmamk_f64 v[8:9], v[4:5], 0xc1f00000, v[2:3]
	v_cvt_i32_f64_e32 v3, v[4:5]
	v_cvt_u32_f64_e32 v2, v[8:9]
	s_branch .LBB14_1363
.LBB14_1359:
	s_mov_b32 s0, -1
                                        ; implicit-def: $vgpr2_vgpr3
	s_branch .LBB14_1381
.LBB14_1360:
	s_mov_b32 s0, -1
                                        ; implicit-def: $vgpr2_vgpr3
	s_branch .LBB14_1369
.LBB14_1361:
	s_mov_b32 s0, -1
                                        ; implicit-def: $vgpr2_vgpr3
	s_branch .LBB14_1366
.LBB14_1362:
	s_mov_b32 s0, -1
                                        ; implicit-def: $vgpr2_vgpr3
.LBB14_1363:
	s_delay_alu instid0(SALU_CYCLE_1)
	s_and_not1_b32 vcc_lo, exec_lo, s0
	s_cbranch_vccnz .LBB14_1365
; %bb.1364:
	s_wait_loadcnt 0x0
	global_load_b32 v2, v[0:1], off
	s_wait_loadcnt 0x0
	v_trunc_f32_e32 v2, v2
	s_delay_alu instid0(VALU_DEP_1) | instskip(NEXT) | instid1(VALU_DEP_1)
	v_mul_f32_e64 v3, 0x2f800000, |v2|
	v_floor_f32_e32 v3, v3
	s_delay_alu instid0(VALU_DEP_1) | instskip(SKIP_2) | instid1(VALU_DEP_3)
	v_fma_f32 v4, 0xcf800000, v3, |v2|
	v_ashrrev_i32_e32 v2, 31, v2
	v_cvt_u32_f32_e32 v5, v3
	v_cvt_u32_f32_e32 v4, v4
	s_delay_alu instid0(VALU_DEP_2) | instskip(NEXT) | instid1(VALU_DEP_2)
	v_dual_mov_b32 v3, v2 :: v_dual_bitop2_b32 v5, v5, v2 bitop3:0x14
	v_xor_b32_e32 v4, v4, v2
	s_delay_alu instid0(VALU_DEP_1)
	v_sub_nc_u64_e32 v[2:3], v[4:5], v[2:3]
.LBB14_1365:
	s_mov_b32 s0, 0
.LBB14_1366:
	s_delay_alu instid0(SALU_CYCLE_1)
	s_and_not1_b32 vcc_lo, exec_lo, s0
	s_cbranch_vccnz .LBB14_1368
; %bb.1367:
	s_wait_loadcnt 0x0
	global_load_b32 v2, v[0:1], off
	s_wait_loadcnt 0x0
	v_cvt_f32_f16_e32 v2, v2
	s_delay_alu instid0(VALU_DEP_1) | instskip(NEXT) | instid1(VALU_DEP_1)
	v_cvt_i32_f32_e32 v2, v2
	v_ashrrev_i32_e32 v3, 31, v2
.LBB14_1368:
	s_mov_b32 s0, 0
.LBB14_1369:
	s_delay_alu instid0(SALU_CYCLE_1)
	s_and_not1_b32 vcc_lo, exec_lo, s0
	s_cbranch_vccnz .LBB14_1380
; %bb.1370:
	s_cmp_lt_i32 s17, 6
	s_cbranch_scc1 .LBB14_1373
; %bb.1371:
	s_cmp_gt_i32 s17, 6
	s_cbranch_scc0 .LBB14_1374
; %bb.1372:
	s_wait_loadcnt 0x0
	global_load_b64 v[2:3], v[0:1], off
	s_mov_b32 s0, 0
	s_wait_loadcnt 0x0
	v_trunc_f64_e32 v[2:3], v[2:3]
	s_delay_alu instid0(VALU_DEP_1) | instskip(NEXT) | instid1(VALU_DEP_1)
	v_ldexp_f64 v[4:5], v[2:3], 0xffffffe0
	v_floor_f64_e32 v[4:5], v[4:5]
	s_delay_alu instid0(VALU_DEP_1) | instskip(SKIP_1) | instid1(VALU_DEP_2)
	v_fmamk_f64 v[8:9], v[4:5], 0xc1f00000, v[2:3]
	v_cvt_i32_f64_e32 v3, v[4:5]
	v_cvt_u32_f64_e32 v2, v[8:9]
	s_branch .LBB14_1375
.LBB14_1373:
	s_mov_b32 s0, -1
                                        ; implicit-def: $vgpr2_vgpr3
	s_branch .LBB14_1378
.LBB14_1374:
	s_mov_b32 s0, -1
                                        ; implicit-def: $vgpr2_vgpr3
.LBB14_1375:
	s_delay_alu instid0(SALU_CYCLE_1)
	s_and_not1_b32 vcc_lo, exec_lo, s0
	s_cbranch_vccnz .LBB14_1377
; %bb.1376:
	s_wait_loadcnt 0x0
	global_load_b32 v2, v[0:1], off
	s_wait_loadcnt 0x0
	v_trunc_f32_e32 v2, v2
	s_delay_alu instid0(VALU_DEP_1) | instskip(NEXT) | instid1(VALU_DEP_1)
	v_mul_f32_e64 v3, 0x2f800000, |v2|
	v_floor_f32_e32 v3, v3
	s_delay_alu instid0(VALU_DEP_1) | instskip(SKIP_2) | instid1(VALU_DEP_3)
	v_fma_f32 v4, 0xcf800000, v3, |v2|
	v_ashrrev_i32_e32 v2, 31, v2
	v_cvt_u32_f32_e32 v5, v3
	v_cvt_u32_f32_e32 v4, v4
	s_delay_alu instid0(VALU_DEP_2) | instskip(NEXT) | instid1(VALU_DEP_2)
	v_dual_mov_b32 v3, v2 :: v_dual_bitop2_b32 v5, v5, v2 bitop3:0x14
	v_xor_b32_e32 v4, v4, v2
	s_delay_alu instid0(VALU_DEP_1)
	v_sub_nc_u64_e32 v[2:3], v[4:5], v[2:3]
.LBB14_1377:
	s_mov_b32 s0, 0
.LBB14_1378:
	s_delay_alu instid0(SALU_CYCLE_1)
	s_and_not1_b32 vcc_lo, exec_lo, s0
	s_cbranch_vccnz .LBB14_1380
; %bb.1379:
	s_wait_loadcnt 0x0
	global_load_u16 v2, v[0:1], off
	s_wait_loadcnt 0x0
	v_cvt_f32_f16_e32 v2, v2
	s_delay_alu instid0(VALU_DEP_1) | instskip(NEXT) | instid1(VALU_DEP_1)
	v_cvt_i32_f32_e32 v2, v2
	v_ashrrev_i32_e32 v3, 31, v2
.LBB14_1380:
	s_mov_b32 s0, 0
.LBB14_1381:
	s_delay_alu instid0(SALU_CYCLE_1)
	s_and_not1_b32 vcc_lo, exec_lo, s0
	s_cbranch_vccnz .LBB14_1401
; %bb.1382:
	s_cmp_lt_i32 s17, 2
	s_cbranch_scc1 .LBB14_1386
; %bb.1383:
	s_cmp_lt_i32 s17, 3
	s_cbranch_scc1 .LBB14_1387
; %bb.1384:
	s_cmp_gt_i32 s17, 3
	s_cbranch_scc0 .LBB14_1388
; %bb.1385:
	s_wait_loadcnt 0x0
	global_load_b64 v[2:3], v[0:1], off
	s_mov_b32 s0, 0
	s_branch .LBB14_1389
.LBB14_1386:
	s_mov_b32 s0, -1
                                        ; implicit-def: $vgpr2_vgpr3
	s_branch .LBB14_1395
.LBB14_1387:
	s_mov_b32 s0, -1
                                        ; implicit-def: $vgpr2_vgpr3
	s_branch .LBB14_1392
.LBB14_1388:
	s_mov_b32 s0, -1
                                        ; implicit-def: $vgpr2_vgpr3
.LBB14_1389:
	s_delay_alu instid0(SALU_CYCLE_1)
	s_and_not1_b32 vcc_lo, exec_lo, s0
	s_cbranch_vccnz .LBB14_1391
; %bb.1390:
	s_wait_loadcnt 0x0
	global_load_b32 v2, v[0:1], off
	s_wait_loadcnt 0x0
	v_ashrrev_i32_e32 v3, 31, v2
.LBB14_1391:
	s_mov_b32 s0, 0
.LBB14_1392:
	s_delay_alu instid0(SALU_CYCLE_1)
	s_and_not1_b32 vcc_lo, exec_lo, s0
	s_cbranch_vccnz .LBB14_1394
; %bb.1393:
	s_wait_loadcnt 0x0
	global_load_u16 v2, v[0:1], off
	s_wait_loadcnt 0x0
	v_bfe_i32 v2, v2, 0, 16
	s_delay_alu instid0(VALU_DEP_1)
	v_ashrrev_i32_e32 v3, 31, v2
.LBB14_1394:
	s_mov_b32 s0, 0
.LBB14_1395:
	s_delay_alu instid0(SALU_CYCLE_1)
	s_and_not1_b32 vcc_lo, exec_lo, s0
	s_cbranch_vccnz .LBB14_1401
; %bb.1396:
	s_cmp_gt_i32 s17, 0
	s_mov_b32 s0, 0
	s_cbranch_scc0 .LBB14_1398
; %bb.1397:
	s_wait_loadcnt 0x0
	global_load_i8 v2, v[0:1], off
	s_wait_loadcnt 0x0
	v_bfe_i32 v2, v2, 0, 16
	s_delay_alu instid0(VALU_DEP_1)
	v_ashrrev_i32_e32 v3, 31, v2
	s_branch .LBB14_1399
.LBB14_1398:
	s_mov_b32 s0, -1
                                        ; implicit-def: $vgpr2_vgpr3
.LBB14_1399:
	s_delay_alu instid0(SALU_CYCLE_1)
	s_and_not1_b32 vcc_lo, exec_lo, s0
	s_cbranch_vccnz .LBB14_1401
; %bb.1400:
	global_load_u8 v0, v[0:1], off
	s_mov_b32 s0, 0
	s_wait_loadcnt 0x1
	v_mov_b32_e32 v3, s0
	s_wait_loadcnt 0x0
	v_and_b32_e32 v2, 0xffff, v0
.LBB14_1401:
	s_mov_b32 s20, -1
.LBB14_1402:
	s_delay_alu instid0(SALU_CYCLE_1)
	s_and_not1_b32 vcc_lo, exec_lo, s20
	s_cbranch_vccnz .LBB14_1453
; %bb.1403:
	s_wait_loadcnt 0x0
	s_delay_alu instid0(VALU_DEP_1) | instskip(SKIP_4) | instid1(SALU_CYCLE_1)
	v_cmp_gt_i64_e32 vcc_lo, s[8:9], v[2:3]
	v_cmp_le_i64_e64 s0, s[10:11], v[2:3]
	s_or_b32 s0, vcc_lo, s0
	s_wait_xcnt 0x0
	s_and_saveexec_b32 s7, s0
	s_xor_b32 s0, exec_lo, s7
	s_cbranch_execnz .LBB14_1780
.LBB14_1404:
	s_or_saveexec_b32 s7, s0
	s_mov_b32 s8, 0
	s_mov_b32 s9, 0
                                        ; implicit-def: $sgpr0
                                        ; implicit-def: $vgpr2_vgpr3
	s_xor_b32 exec_lo, exec_lo, s7
	s_cbranch_execz .LBB14_1721
; %bb.1405:
	v_mul_lo_u32 v0, s2, v6
	s_and_b32 s0, s12, 0xff
	s_delay_alu instid0(SALU_CYCLE_1) | instskip(NEXT) | instid1(VALU_DEP_1)
	s_cmp_lt_i32 s0, 11
	v_ashrrev_i32_e32 v1, 31, v0
	s_delay_alu instid0(VALU_DEP_1)
	v_add_nc_u64_e32 v[2:3], s[4:5], v[0:1]
	s_cbranch_scc1 .LBB14_1454
; %bb.1406:
	s_and_b32 s8, 0xffff, s0
	s_mov_b32 s12, -1
	s_mov_b32 s11, 0
	s_cmp_gt_i32 s8, 25
	s_mov_b32 s10, 0
	s_cbranch_scc0 .LBB14_1431
; %bb.1407:
	s_cmp_gt_i32 s8, 28
	s_cbranch_scc0 .LBB14_1420
; %bb.1408:
	s_cmp_gt_i32 s8, 43
	;; [unrolled: 3-line block ×3, first 2 shown]
	s_cbranch_scc0 .LBB14_1412
; %bb.1410:
	s_mov_b32 s9, -1
	s_mov_b32 s12, 0
	s_cmp_eq_u32 s8, 46
	s_cbranch_scc0 .LBB14_1412
; %bb.1411:
	v_mov_b32_e32 v1, 0
	s_mov_b32 s9, 0
	s_mov_b32 s10, -1
	global_store_b32 v[2:3], v1, off
.LBB14_1412:
	s_and_b32 vcc_lo, exec_lo, s12
	s_cbranch_vccz .LBB14_1415
; %bb.1413:
	s_cmp_eq_u32 s8, 44
	s_mov_b32 s9, -1
	s_cbranch_scc0 .LBB14_1415
; %bb.1414:
	s_wait_xcnt 0x0
	v_mov_b32_e32 v1, 0
	s_mov_b32 s9, 0
	s_mov_b32 s10, -1
	global_store_b8 v[2:3], v1, off
.LBB14_1415:
	s_mov_b32 s12, 0
.LBB14_1416:
	s_delay_alu instid0(SALU_CYCLE_1)
	s_and_b32 vcc_lo, exec_lo, s12
	s_cbranch_vccz .LBB14_1419
; %bb.1417:
	s_cmp_eq_u32 s8, 29
	s_mov_b32 s9, -1
	s_cbranch_scc0 .LBB14_1419
; %bb.1418:
	v_mov_b64_e32 v[4:5], 0
	s_mov_b32 s9, 0
	s_mov_b32 s10, -1
	global_store_b64 v[2:3], v[4:5], off
.LBB14_1419:
	s_mov_b32 s12, 0
.LBB14_1420:
	s_delay_alu instid0(SALU_CYCLE_1)
	s_and_b32 vcc_lo, exec_lo, s12
	s_cbranch_vccz .LBB14_1430
; %bb.1421:
	s_cmp_lt_i32 s8, 27
	s_mov_b32 s10, -1
	s_cbranch_scc1 .LBB14_1427
; %bb.1422:
	s_cmp_gt_i32 s8, 27
	s_cbranch_scc0 .LBB14_1424
; %bb.1423:
	s_wait_xcnt 0x0
	v_mov_b32_e32 v1, 0
	s_mov_b32 s10, 0
	global_store_b32 v[2:3], v1, off
.LBB14_1424:
	s_and_not1_b32 vcc_lo, exec_lo, s10
	s_cbranch_vccnz .LBB14_1426
; %bb.1425:
	s_wait_xcnt 0x0
	v_mov_b32_e32 v1, 0
	global_store_b16 v[2:3], v1, off
.LBB14_1426:
	s_mov_b32 s10, 0
.LBB14_1427:
	s_delay_alu instid0(SALU_CYCLE_1)
	s_and_not1_b32 vcc_lo, exec_lo, s10
	s_cbranch_vccnz .LBB14_1429
; %bb.1428:
	s_wait_xcnt 0x0
	v_mov_b32_e32 v1, 0
	global_store_b8 v[2:3], v1, off
.LBB14_1429:
	s_mov_b32 s10, -1
.LBB14_1430:
	s_mov_b32 s12, 0
.LBB14_1431:
	s_delay_alu instid0(SALU_CYCLE_1)
	s_and_b32 vcc_lo, exec_lo, s12
	s_cbranch_vccz .LBB14_1449
; %bb.1432:
	s_cmp_gt_i32 s8, 22
	s_mov_b32 s11, -1
	s_cbranch_scc0 .LBB14_1442
; %bb.1433:
	s_cmp_lt_i32 s8, 24
	s_mov_b32 s10, -1
	s_cbranch_scc1 .LBB14_1439
; %bb.1434:
	s_cmp_gt_i32 s8, 24
	s_cbranch_scc0 .LBB14_1436
; %bb.1435:
	s_wait_xcnt 0x0
	v_mov_b32_e32 v1, 0
	s_mov_b32 s10, 0
	global_store_b8 v[2:3], v1, off
.LBB14_1436:
	s_and_not1_b32 vcc_lo, exec_lo, s10
	s_cbranch_vccnz .LBB14_1438
; %bb.1437:
	s_wait_xcnt 0x0
	v_mov_b32_e32 v1, 0
	global_store_b8 v[2:3], v1, off
.LBB14_1438:
	s_mov_b32 s10, 0
.LBB14_1439:
	s_delay_alu instid0(SALU_CYCLE_1)
	s_and_not1_b32 vcc_lo, exec_lo, s10
	s_cbranch_vccnz .LBB14_1441
; %bb.1440:
	s_wait_xcnt 0x0
	v_mov_b32_e32 v1, 0
	global_store_b8 v[2:3], v1, off
.LBB14_1441:
	s_mov_b32 s11, 0
	s_mov_b32 s10, -1
.LBB14_1442:
	s_and_not1_b32 vcc_lo, exec_lo, s11
	s_mov_b32 s11, 0
	s_cbranch_vccnz .LBB14_1449
; %bb.1443:
	s_cmp_gt_i32 s8, 14
	s_mov_b32 s11, -1
	s_cbranch_scc0 .LBB14_1447
; %bb.1444:
	s_cmp_eq_u32 s8, 15
	s_mov_b32 s9, -1
	s_cbranch_scc0 .LBB14_1446
; %bb.1445:
	s_wait_xcnt 0x0
	v_mov_b32_e32 v1, 0
	s_mov_b32 s9, 0
	s_mov_b32 s10, -1
	global_store_b16 v[2:3], v1, off
.LBB14_1446:
	s_mov_b32 s11, 0
.LBB14_1447:
	s_delay_alu instid0(SALU_CYCLE_1)
	s_and_b32 vcc_lo, exec_lo, s11
	s_mov_b32 s11, 0
	s_cbranch_vccz .LBB14_1449
; %bb.1448:
	s_cmp_lg_u32 s8, 11
	s_mov_b32 s11, -1
	s_cselect_b32 s9, -1, 0
.LBB14_1449:
	s_delay_alu instid0(SALU_CYCLE_1)
	s_and_b32 vcc_lo, exec_lo, s9
	s_mov_b32 s8, s6
	s_cbranch_vccnz .LBB14_1774
; %bb.1450:
	s_and_not1_b32 vcc_lo, exec_lo, s11
	s_cbranch_vccnz .LBB14_1452
.LBB14_1451:
	s_wait_xcnt 0x0
	v_mov_b32_e32 v1, 0
	s_mov_b32 s10, -1
	global_store_b8 v[2:3], v1, off
.LBB14_1452:
	s_mov_b32 s9, 0
	s_branch .LBB14_1455
.LBB14_1453:
	s_mov_b32 s8, 0
	s_mov_b32 s9, 0
                                        ; implicit-def: $sgpr0
                                        ; implicit-def: $vgpr2_vgpr3
	s_branch .LBB14_1722
.LBB14_1454:
	s_mov_b32 s9, -1
	s_mov_b32 s10, 0
	s_mov_b32 s8, s6
.LBB14_1455:
	s_and_b32 vcc_lo, exec_lo, s9
	s_cbranch_vccz .LBB14_1494
; %bb.1456:
	s_and_b32 s9, 0xffff, s0
	s_mov_b32 s10, -1
	s_cmp_lt_i32 s9, 5
	s_cbranch_scc1 .LBB14_1477
; %bb.1457:
	s_cmp_lt_i32 s9, 8
	s_cbranch_scc1 .LBB14_1467
; %bb.1458:
	;; [unrolled: 3-line block ×3, first 2 shown]
	s_cmp_gt_i32 s9, 9
	s_cbranch_scc0 .LBB14_1461
; %bb.1460:
	s_wait_xcnt 0x0
	v_mov_b32_e32 v4, 0
	s_mov_b32 s10, 0
	s_delay_alu instid0(VALU_DEP_1)
	v_dual_mov_b32 v5, v4 :: v_dual_mov_b32 v6, v4
	v_mov_b32_e32 v7, v4
	global_store_b128 v[2:3], v[4:7], off
.LBB14_1461:
	s_and_not1_b32 vcc_lo, exec_lo, s10
	s_cbranch_vccnz .LBB14_1463
; %bb.1462:
	s_wait_xcnt 0x0
	v_mov_b64_e32 v[4:5], 0
	global_store_b64 v[2:3], v[4:5], off
.LBB14_1463:
	s_mov_b32 s10, 0
.LBB14_1464:
	s_delay_alu instid0(SALU_CYCLE_1)
	s_and_not1_b32 vcc_lo, exec_lo, s10
	s_cbranch_vccnz .LBB14_1466
; %bb.1465:
	s_wait_xcnt 0x0
	v_mov_b32_e32 v1, 0
	global_store_b32 v[2:3], v1, off
.LBB14_1466:
	s_mov_b32 s10, 0
.LBB14_1467:
	s_delay_alu instid0(SALU_CYCLE_1)
	s_and_not1_b32 vcc_lo, exec_lo, s10
	s_cbranch_vccnz .LBB14_1476
; %bb.1468:
	s_cmp_lt_i32 s9, 6
	s_mov_b32 s10, -1
	s_cbranch_scc1 .LBB14_1474
; %bb.1469:
	s_cmp_gt_i32 s9, 6
	s_cbranch_scc0 .LBB14_1471
; %bb.1470:
	s_wait_xcnt 0x0
	v_mov_b64_e32 v[4:5], 0
	s_mov_b32 s10, 0
	global_store_b64 v[2:3], v[4:5], off
.LBB14_1471:
	s_and_not1_b32 vcc_lo, exec_lo, s10
	s_cbranch_vccnz .LBB14_1473
; %bb.1472:
	s_wait_xcnt 0x0
	v_mov_b32_e32 v1, 0
	global_store_b32 v[2:3], v1, off
.LBB14_1473:
	s_mov_b32 s10, 0
.LBB14_1474:
	s_delay_alu instid0(SALU_CYCLE_1)
	s_and_not1_b32 vcc_lo, exec_lo, s10
	s_cbranch_vccnz .LBB14_1476
; %bb.1475:
	s_wait_xcnt 0x0
	v_mov_b32_e32 v1, 0
	global_store_b16 v[2:3], v1, off
.LBB14_1476:
	s_mov_b32 s10, 0
.LBB14_1477:
	s_delay_alu instid0(SALU_CYCLE_1)
	s_and_not1_b32 vcc_lo, exec_lo, s10
	s_cbranch_vccnz .LBB14_1493
; %bb.1478:
	s_cmp_lt_i32 s9, 2
	s_mov_b32 s10, -1
	s_cbranch_scc1 .LBB14_1488
; %bb.1479:
	s_cmp_lt_i32 s9, 3
	s_cbranch_scc1 .LBB14_1485
; %bb.1480:
	s_cmp_gt_i32 s9, 3
	s_cbranch_scc0 .LBB14_1482
; %bb.1481:
	s_wait_xcnt 0x0
	v_mov_b64_e32 v[4:5], 0
	s_mov_b32 s10, 0
	global_store_b64 v[2:3], v[4:5], off
.LBB14_1482:
	s_and_not1_b32 vcc_lo, exec_lo, s10
	s_cbranch_vccnz .LBB14_1484
; %bb.1483:
	s_wait_xcnt 0x0
	v_mov_b32_e32 v1, 0
	global_store_b32 v[2:3], v1, off
.LBB14_1484:
	s_mov_b32 s10, 0
.LBB14_1485:
	s_delay_alu instid0(SALU_CYCLE_1)
	s_and_not1_b32 vcc_lo, exec_lo, s10
	s_cbranch_vccnz .LBB14_1487
; %bb.1486:
	s_wait_xcnt 0x0
	v_mov_b32_e32 v1, 0
	global_store_b16 v[2:3], v1, off
.LBB14_1487:
	s_mov_b32 s10, 0
.LBB14_1488:
	s_delay_alu instid0(SALU_CYCLE_1)
	s_and_not1_b32 vcc_lo, exec_lo, s10
	s_cbranch_vccnz .LBB14_1493
; %bb.1489:
	s_cmp_gt_i32 s9, 0
	s_mov_b32 s9, -1
	s_cbranch_scc0 .LBB14_1491
; %bb.1490:
	s_wait_xcnt 0x0
	v_mov_b32_e32 v1, 0
	s_mov_b32 s9, 0
	global_store_b8 v[2:3], v1, off
.LBB14_1491:
	s_and_not1_b32 vcc_lo, exec_lo, s9
	s_cbranch_vccnz .LBB14_1493
; %bb.1492:
	s_wait_xcnt 0x0
	v_mov_b32_e32 v1, 0
	global_store_b8 v[2:3], v1, off
.LBB14_1493:
	s_mov_b32 s10, -1
.LBB14_1494:
	s_delay_alu instid0(SALU_CYCLE_1)
	s_and_not1_b32 vcc_lo, exec_lo, s10
	s_cbranch_vccnz .LBB14_1719
; %bb.1495:
	s_lshl_b32 s2, s2, 7
	s_cmp_lt_i32 s0, 11
	v_add_nc_u32_e32 v0, s2, v0
	s_wait_xcnt 0x0
	s_delay_alu instid0(VALU_DEP_1) | instskip(NEXT) | instid1(VALU_DEP_1)
	v_ashrrev_i32_e32 v1, 31, v0
	v_add_nc_u64_e32 v[2:3], s[4:5], v[0:1]
	s_cbranch_scc1 .LBB14_1543
; %bb.1496:
	s_and_b32 s9, 0xffff, s0
	s_mov_b32 s17, -1
	s_mov_b32 s12, 0
	s_cmp_gt_i32 s9, 25
	s_mov_b32 s11, 0
	s_mov_b32 s10, 0
	s_cbranch_scc0 .LBB14_1521
; %bb.1497:
	s_cmp_gt_i32 s9, 28
	s_cbranch_scc0 .LBB14_1510
; %bb.1498:
	s_cmp_gt_i32 s9, 43
	;; [unrolled: 3-line block ×3, first 2 shown]
	s_cbranch_scc0 .LBB14_1502
; %bb.1500:
	s_mov_b32 s10, -1
	s_mov_b32 s17, 0
	s_cmp_eq_u32 s9, 46
	s_cbranch_scc0 .LBB14_1502
; %bb.1501:
	v_mov_b32_e32 v1, 0
	s_mov_b32 s10, 0
	s_mov_b32 s11, -1
	global_store_b32 v[2:3], v1, off
.LBB14_1502:
	s_and_b32 vcc_lo, exec_lo, s17
	s_cbranch_vccz .LBB14_1505
; %bb.1503:
	s_cmp_eq_u32 s9, 44
	s_mov_b32 s10, -1
	s_cbranch_scc0 .LBB14_1505
; %bb.1504:
	s_wait_xcnt 0x0
	v_mov_b32_e32 v1, 0
	s_mov_b32 s10, 0
	s_mov_b32 s11, -1
	global_store_b8 v[2:3], v1, off
.LBB14_1505:
	s_mov_b32 s17, 0
.LBB14_1506:
	s_delay_alu instid0(SALU_CYCLE_1)
	s_and_b32 vcc_lo, exec_lo, s17
	s_cbranch_vccz .LBB14_1509
; %bb.1507:
	s_cmp_eq_u32 s9, 29
	s_mov_b32 s10, -1
	s_cbranch_scc0 .LBB14_1509
; %bb.1508:
	v_mov_b64_e32 v[4:5], 0
	s_mov_b32 s10, 0
	s_mov_b32 s11, -1
	global_store_b64 v[2:3], v[4:5], off
.LBB14_1509:
	s_mov_b32 s17, 0
.LBB14_1510:
	s_delay_alu instid0(SALU_CYCLE_1)
	s_and_b32 vcc_lo, exec_lo, s17
	s_cbranch_vccz .LBB14_1520
; %bb.1511:
	s_cmp_lt_i32 s9, 27
	s_mov_b32 s11, -1
	s_cbranch_scc1 .LBB14_1517
; %bb.1512:
	s_cmp_gt_i32 s9, 27
	s_cbranch_scc0 .LBB14_1514
; %bb.1513:
	s_wait_xcnt 0x0
	v_mov_b32_e32 v1, 0
	s_mov_b32 s11, 0
	global_store_b32 v[2:3], v1, off
.LBB14_1514:
	s_and_not1_b32 vcc_lo, exec_lo, s11
	s_cbranch_vccnz .LBB14_1516
; %bb.1515:
	s_wait_xcnt 0x0
	v_mov_b32_e32 v1, 0
	global_store_b16 v[2:3], v1, off
.LBB14_1516:
	s_mov_b32 s11, 0
.LBB14_1517:
	s_delay_alu instid0(SALU_CYCLE_1)
	s_and_not1_b32 vcc_lo, exec_lo, s11
	s_cbranch_vccnz .LBB14_1519
; %bb.1518:
	s_wait_xcnt 0x0
	v_mov_b32_e32 v1, 0
	global_store_b8 v[2:3], v1, off
.LBB14_1519:
	s_mov_b32 s11, -1
.LBB14_1520:
	s_mov_b32 s17, 0
.LBB14_1521:
	s_delay_alu instid0(SALU_CYCLE_1)
	s_and_b32 vcc_lo, exec_lo, s17
	s_cbranch_vccz .LBB14_1539
; %bb.1522:
	s_cmp_gt_i32 s9, 22
	s_mov_b32 s12, -1
	s_cbranch_scc0 .LBB14_1532
; %bb.1523:
	s_cmp_lt_i32 s9, 24
	s_mov_b32 s11, -1
	s_cbranch_scc1 .LBB14_1529
; %bb.1524:
	s_cmp_gt_i32 s9, 24
	s_cbranch_scc0 .LBB14_1526
; %bb.1525:
	s_wait_xcnt 0x0
	v_mov_b32_e32 v1, 0
	s_mov_b32 s11, 0
	global_store_b8 v[2:3], v1, off
.LBB14_1526:
	s_and_not1_b32 vcc_lo, exec_lo, s11
	s_cbranch_vccnz .LBB14_1528
; %bb.1527:
	s_wait_xcnt 0x0
	v_mov_b32_e32 v1, 0
	global_store_b8 v[2:3], v1, off
.LBB14_1528:
	s_mov_b32 s11, 0
.LBB14_1529:
	s_delay_alu instid0(SALU_CYCLE_1)
	s_and_not1_b32 vcc_lo, exec_lo, s11
	s_cbranch_vccnz .LBB14_1531
; %bb.1530:
	s_wait_xcnt 0x0
	v_mov_b32_e32 v1, 0
	global_store_b8 v[2:3], v1, off
.LBB14_1531:
	s_mov_b32 s12, 0
	s_mov_b32 s11, -1
.LBB14_1532:
	s_and_not1_b32 vcc_lo, exec_lo, s12
	s_mov_b32 s12, 0
	s_cbranch_vccnz .LBB14_1539
; %bb.1533:
	s_cmp_gt_i32 s9, 14
	s_mov_b32 s12, -1
	s_cbranch_scc0 .LBB14_1537
; %bb.1534:
	s_cmp_eq_u32 s9, 15
	s_mov_b32 s10, -1
	s_cbranch_scc0 .LBB14_1536
; %bb.1535:
	s_wait_xcnt 0x0
	v_mov_b32_e32 v1, 0
	s_mov_b32 s10, 0
	s_mov_b32 s11, -1
	global_store_b16 v[2:3], v1, off
.LBB14_1536:
	s_mov_b32 s12, 0
.LBB14_1537:
	s_delay_alu instid0(SALU_CYCLE_1)
	s_and_b32 vcc_lo, exec_lo, s12
	s_mov_b32 s12, 0
	s_cbranch_vccz .LBB14_1539
; %bb.1538:
	s_cmp_lg_u32 s9, 11
	s_mov_b32 s12, -1
	s_cselect_b32 s10, -1, 0
.LBB14_1539:
	s_delay_alu instid0(SALU_CYCLE_1)
	s_and_b32 vcc_lo, exec_lo, s10
	s_cbranch_vccnz .LBB14_1776
; %bb.1540:
	s_and_not1_b32 vcc_lo, exec_lo, s12
	s_cbranch_vccnz .LBB14_1542
.LBB14_1541:
	s_wait_xcnt 0x0
	v_mov_b32_e32 v1, 0
	s_mov_b32 s11, -1
	global_store_b8 v[2:3], v1, off
.LBB14_1542:
	s_mov_b32 s9, 0
	s_branch .LBB14_1544
.LBB14_1543:
	s_mov_b32 s9, -1
	s_mov_b32 s11, 0
.LBB14_1544:
	s_and_b32 vcc_lo, exec_lo, s9
	s_cbranch_vccz .LBB14_1583
; %bb.1545:
	s_and_b32 s9, 0xffff, s0
	s_mov_b32 s10, -1
	s_cmp_lt_i32 s9, 5
	s_cbranch_scc1 .LBB14_1566
; %bb.1546:
	s_cmp_lt_i32 s9, 8
	s_cbranch_scc1 .LBB14_1556
; %bb.1547:
	;; [unrolled: 3-line block ×3, first 2 shown]
	s_cmp_gt_i32 s9, 9
	s_cbranch_scc0 .LBB14_1550
; %bb.1549:
	s_wait_xcnt 0x0
	v_mov_b32_e32 v4, 0
	s_mov_b32 s10, 0
	s_delay_alu instid0(VALU_DEP_1)
	v_dual_mov_b32 v5, v4 :: v_dual_mov_b32 v6, v4
	v_mov_b32_e32 v7, v4
	global_store_b128 v[2:3], v[4:7], off
.LBB14_1550:
	s_and_not1_b32 vcc_lo, exec_lo, s10
	s_cbranch_vccnz .LBB14_1552
; %bb.1551:
	s_wait_xcnt 0x0
	v_mov_b64_e32 v[4:5], 0
	global_store_b64 v[2:3], v[4:5], off
.LBB14_1552:
	s_mov_b32 s10, 0
.LBB14_1553:
	s_delay_alu instid0(SALU_CYCLE_1)
	s_and_not1_b32 vcc_lo, exec_lo, s10
	s_cbranch_vccnz .LBB14_1555
; %bb.1554:
	s_wait_xcnt 0x0
	v_mov_b32_e32 v1, 0
	global_store_b32 v[2:3], v1, off
.LBB14_1555:
	s_mov_b32 s10, 0
.LBB14_1556:
	s_delay_alu instid0(SALU_CYCLE_1)
	s_and_not1_b32 vcc_lo, exec_lo, s10
	s_cbranch_vccnz .LBB14_1565
; %bb.1557:
	s_cmp_lt_i32 s9, 6
	s_mov_b32 s10, -1
	s_cbranch_scc1 .LBB14_1563
; %bb.1558:
	s_cmp_gt_i32 s9, 6
	s_cbranch_scc0 .LBB14_1560
; %bb.1559:
	s_wait_xcnt 0x0
	v_mov_b64_e32 v[4:5], 0
	s_mov_b32 s10, 0
	global_store_b64 v[2:3], v[4:5], off
.LBB14_1560:
	s_and_not1_b32 vcc_lo, exec_lo, s10
	s_cbranch_vccnz .LBB14_1562
; %bb.1561:
	s_wait_xcnt 0x0
	v_mov_b32_e32 v1, 0
	global_store_b32 v[2:3], v1, off
.LBB14_1562:
	s_mov_b32 s10, 0
.LBB14_1563:
	s_delay_alu instid0(SALU_CYCLE_1)
	s_and_not1_b32 vcc_lo, exec_lo, s10
	s_cbranch_vccnz .LBB14_1565
; %bb.1564:
	s_wait_xcnt 0x0
	v_mov_b32_e32 v1, 0
	global_store_b16 v[2:3], v1, off
.LBB14_1565:
	s_mov_b32 s10, 0
.LBB14_1566:
	s_delay_alu instid0(SALU_CYCLE_1)
	s_and_not1_b32 vcc_lo, exec_lo, s10
	s_cbranch_vccnz .LBB14_1582
; %bb.1567:
	s_cmp_lt_i32 s9, 2
	s_mov_b32 s10, -1
	s_cbranch_scc1 .LBB14_1577
; %bb.1568:
	s_cmp_lt_i32 s9, 3
	s_cbranch_scc1 .LBB14_1574
; %bb.1569:
	s_cmp_gt_i32 s9, 3
	s_cbranch_scc0 .LBB14_1571
; %bb.1570:
	s_wait_xcnt 0x0
	v_mov_b64_e32 v[4:5], 0
	s_mov_b32 s10, 0
	global_store_b64 v[2:3], v[4:5], off
.LBB14_1571:
	s_and_not1_b32 vcc_lo, exec_lo, s10
	s_cbranch_vccnz .LBB14_1573
; %bb.1572:
	s_wait_xcnt 0x0
	v_mov_b32_e32 v1, 0
	global_store_b32 v[2:3], v1, off
.LBB14_1573:
	s_mov_b32 s10, 0
.LBB14_1574:
	s_delay_alu instid0(SALU_CYCLE_1)
	s_and_not1_b32 vcc_lo, exec_lo, s10
	s_cbranch_vccnz .LBB14_1576
; %bb.1575:
	s_wait_xcnt 0x0
	v_mov_b32_e32 v1, 0
	global_store_b16 v[2:3], v1, off
.LBB14_1576:
	s_mov_b32 s10, 0
.LBB14_1577:
	s_delay_alu instid0(SALU_CYCLE_1)
	s_and_not1_b32 vcc_lo, exec_lo, s10
	s_cbranch_vccnz .LBB14_1582
; %bb.1578:
	s_cmp_gt_i32 s9, 0
	s_mov_b32 s9, -1
	s_cbranch_scc0 .LBB14_1580
; %bb.1579:
	s_wait_xcnt 0x0
	v_mov_b32_e32 v1, 0
	s_mov_b32 s9, 0
	global_store_b8 v[2:3], v1, off
.LBB14_1580:
	s_and_not1_b32 vcc_lo, exec_lo, s9
	s_cbranch_vccnz .LBB14_1582
; %bb.1581:
	s_wait_xcnt 0x0
	v_mov_b32_e32 v1, 0
	global_store_b8 v[2:3], v1, off
.LBB14_1582:
	s_mov_b32 s11, -1
.LBB14_1583:
	s_delay_alu instid0(SALU_CYCLE_1)
	s_and_not1_b32 vcc_lo, exec_lo, s11
	s_cbranch_vccnz .LBB14_1719
; %bb.1584:
	v_add_nc_u32_e32 v0, s2, v0
	s_cmp_lt_i32 s0, 11
	s_wait_xcnt 0x0
	s_delay_alu instid0(VALU_DEP_1) | instskip(NEXT) | instid1(VALU_DEP_1)
	v_ashrrev_i32_e32 v1, 31, v0
	v_add_nc_u64_e32 v[2:3], s[4:5], v[0:1]
	s_cbranch_scc1 .LBB14_1632
; %bb.1585:
	s_and_b32 s9, 0xffff, s0
	s_mov_b32 s17, -1
	s_mov_b32 s12, 0
	s_cmp_gt_i32 s9, 25
	s_mov_b32 s11, 0
	s_mov_b32 s10, 0
	s_cbranch_scc0 .LBB14_1610
; %bb.1586:
	s_cmp_gt_i32 s9, 28
	s_cbranch_scc0 .LBB14_1599
; %bb.1587:
	s_cmp_gt_i32 s9, 43
	;; [unrolled: 3-line block ×3, first 2 shown]
	s_cbranch_scc0 .LBB14_1591
; %bb.1589:
	s_mov_b32 s10, -1
	s_mov_b32 s17, 0
	s_cmp_eq_u32 s9, 46
	s_cbranch_scc0 .LBB14_1591
; %bb.1590:
	v_mov_b32_e32 v1, 0
	s_mov_b32 s10, 0
	s_mov_b32 s11, -1
	global_store_b32 v[2:3], v1, off
.LBB14_1591:
	s_and_b32 vcc_lo, exec_lo, s17
	s_cbranch_vccz .LBB14_1594
; %bb.1592:
	s_cmp_eq_u32 s9, 44
	s_mov_b32 s10, -1
	s_cbranch_scc0 .LBB14_1594
; %bb.1593:
	s_wait_xcnt 0x0
	v_mov_b32_e32 v1, 0
	s_mov_b32 s10, 0
	s_mov_b32 s11, -1
	global_store_b8 v[2:3], v1, off
.LBB14_1594:
	s_mov_b32 s17, 0
.LBB14_1595:
	s_delay_alu instid0(SALU_CYCLE_1)
	s_and_b32 vcc_lo, exec_lo, s17
	s_cbranch_vccz .LBB14_1598
; %bb.1596:
	s_cmp_eq_u32 s9, 29
	s_mov_b32 s10, -1
	s_cbranch_scc0 .LBB14_1598
; %bb.1597:
	v_mov_b64_e32 v[4:5], 0
	s_mov_b32 s10, 0
	s_mov_b32 s11, -1
	global_store_b64 v[2:3], v[4:5], off
.LBB14_1598:
	s_mov_b32 s17, 0
.LBB14_1599:
	s_delay_alu instid0(SALU_CYCLE_1)
	s_and_b32 vcc_lo, exec_lo, s17
	s_cbranch_vccz .LBB14_1609
; %bb.1600:
	s_cmp_lt_i32 s9, 27
	s_mov_b32 s11, -1
	s_cbranch_scc1 .LBB14_1606
; %bb.1601:
	s_cmp_gt_i32 s9, 27
	s_cbranch_scc0 .LBB14_1603
; %bb.1602:
	s_wait_xcnt 0x0
	v_mov_b32_e32 v1, 0
	s_mov_b32 s11, 0
	global_store_b32 v[2:3], v1, off
.LBB14_1603:
	s_and_not1_b32 vcc_lo, exec_lo, s11
	s_cbranch_vccnz .LBB14_1605
; %bb.1604:
	s_wait_xcnt 0x0
	v_mov_b32_e32 v1, 0
	global_store_b16 v[2:3], v1, off
.LBB14_1605:
	s_mov_b32 s11, 0
.LBB14_1606:
	s_delay_alu instid0(SALU_CYCLE_1)
	s_and_not1_b32 vcc_lo, exec_lo, s11
	s_cbranch_vccnz .LBB14_1608
; %bb.1607:
	s_wait_xcnt 0x0
	v_mov_b32_e32 v1, 0
	global_store_b8 v[2:3], v1, off
.LBB14_1608:
	s_mov_b32 s11, -1
.LBB14_1609:
	s_mov_b32 s17, 0
.LBB14_1610:
	s_delay_alu instid0(SALU_CYCLE_1)
	s_and_b32 vcc_lo, exec_lo, s17
	s_cbranch_vccz .LBB14_1628
; %bb.1611:
	s_cmp_gt_i32 s9, 22
	s_mov_b32 s12, -1
	s_cbranch_scc0 .LBB14_1621
; %bb.1612:
	s_cmp_lt_i32 s9, 24
	s_mov_b32 s11, -1
	s_cbranch_scc1 .LBB14_1618
; %bb.1613:
	s_cmp_gt_i32 s9, 24
	s_cbranch_scc0 .LBB14_1615
; %bb.1614:
	s_wait_xcnt 0x0
	v_mov_b32_e32 v1, 0
	s_mov_b32 s11, 0
	global_store_b8 v[2:3], v1, off
.LBB14_1615:
	s_and_not1_b32 vcc_lo, exec_lo, s11
	s_cbranch_vccnz .LBB14_1617
; %bb.1616:
	s_wait_xcnt 0x0
	v_mov_b32_e32 v1, 0
	global_store_b8 v[2:3], v1, off
.LBB14_1617:
	s_mov_b32 s11, 0
.LBB14_1618:
	s_delay_alu instid0(SALU_CYCLE_1)
	s_and_not1_b32 vcc_lo, exec_lo, s11
	s_cbranch_vccnz .LBB14_1620
; %bb.1619:
	s_wait_xcnt 0x0
	v_mov_b32_e32 v1, 0
	global_store_b8 v[2:3], v1, off
.LBB14_1620:
	s_mov_b32 s12, 0
	s_mov_b32 s11, -1
.LBB14_1621:
	s_and_not1_b32 vcc_lo, exec_lo, s12
	s_mov_b32 s12, 0
	s_cbranch_vccnz .LBB14_1628
; %bb.1622:
	s_cmp_gt_i32 s9, 14
	s_mov_b32 s12, -1
	s_cbranch_scc0 .LBB14_1626
; %bb.1623:
	s_cmp_eq_u32 s9, 15
	s_mov_b32 s10, -1
	s_cbranch_scc0 .LBB14_1625
; %bb.1624:
	s_wait_xcnt 0x0
	v_mov_b32_e32 v1, 0
	s_mov_b32 s10, 0
	s_mov_b32 s11, -1
	global_store_b16 v[2:3], v1, off
.LBB14_1625:
	s_mov_b32 s12, 0
.LBB14_1626:
	s_delay_alu instid0(SALU_CYCLE_1)
	s_and_b32 vcc_lo, exec_lo, s12
	s_mov_b32 s12, 0
	s_cbranch_vccz .LBB14_1628
; %bb.1627:
	s_cmp_lg_u32 s9, 11
	s_mov_b32 s12, -1
	s_cselect_b32 s10, -1, 0
.LBB14_1628:
	s_delay_alu instid0(SALU_CYCLE_1)
	s_and_b32 vcc_lo, exec_lo, s10
	s_cbranch_vccnz .LBB14_1777
; %bb.1629:
	s_and_not1_b32 vcc_lo, exec_lo, s12
	s_cbranch_vccnz .LBB14_1631
.LBB14_1630:
	s_wait_xcnt 0x0
	v_mov_b32_e32 v1, 0
	s_mov_b32 s11, -1
	global_store_b8 v[2:3], v1, off
.LBB14_1631:
	s_mov_b32 s9, 0
	s_branch .LBB14_1633
.LBB14_1632:
	s_mov_b32 s9, -1
	s_mov_b32 s11, 0
.LBB14_1633:
	s_and_b32 vcc_lo, exec_lo, s9
	s_cbranch_vccz .LBB14_1672
; %bb.1634:
	s_and_b32 s9, 0xffff, s0
	s_mov_b32 s10, -1
	s_cmp_lt_i32 s9, 5
	s_cbranch_scc1 .LBB14_1655
; %bb.1635:
	s_cmp_lt_i32 s9, 8
	s_cbranch_scc1 .LBB14_1645
; %bb.1636:
	;; [unrolled: 3-line block ×3, first 2 shown]
	s_cmp_gt_i32 s9, 9
	s_cbranch_scc0 .LBB14_1639
; %bb.1638:
	s_wait_xcnt 0x0
	v_mov_b32_e32 v4, 0
	s_mov_b32 s10, 0
	s_delay_alu instid0(VALU_DEP_1)
	v_dual_mov_b32 v5, v4 :: v_dual_mov_b32 v6, v4
	v_mov_b32_e32 v7, v4
	global_store_b128 v[2:3], v[4:7], off
.LBB14_1639:
	s_and_not1_b32 vcc_lo, exec_lo, s10
	s_cbranch_vccnz .LBB14_1641
; %bb.1640:
	s_wait_xcnt 0x0
	v_mov_b64_e32 v[4:5], 0
	global_store_b64 v[2:3], v[4:5], off
.LBB14_1641:
	s_mov_b32 s10, 0
.LBB14_1642:
	s_delay_alu instid0(SALU_CYCLE_1)
	s_and_not1_b32 vcc_lo, exec_lo, s10
	s_cbranch_vccnz .LBB14_1644
; %bb.1643:
	s_wait_xcnt 0x0
	v_mov_b32_e32 v1, 0
	global_store_b32 v[2:3], v1, off
.LBB14_1644:
	s_mov_b32 s10, 0
.LBB14_1645:
	s_delay_alu instid0(SALU_CYCLE_1)
	s_and_not1_b32 vcc_lo, exec_lo, s10
	s_cbranch_vccnz .LBB14_1654
; %bb.1646:
	s_cmp_lt_i32 s9, 6
	s_mov_b32 s10, -1
	s_cbranch_scc1 .LBB14_1652
; %bb.1647:
	s_cmp_gt_i32 s9, 6
	s_cbranch_scc0 .LBB14_1649
; %bb.1648:
	s_wait_xcnt 0x0
	v_mov_b64_e32 v[4:5], 0
	s_mov_b32 s10, 0
	global_store_b64 v[2:3], v[4:5], off
.LBB14_1649:
	s_and_not1_b32 vcc_lo, exec_lo, s10
	s_cbranch_vccnz .LBB14_1651
; %bb.1650:
	s_wait_xcnt 0x0
	v_mov_b32_e32 v1, 0
	global_store_b32 v[2:3], v1, off
.LBB14_1651:
	s_mov_b32 s10, 0
.LBB14_1652:
	s_delay_alu instid0(SALU_CYCLE_1)
	s_and_not1_b32 vcc_lo, exec_lo, s10
	s_cbranch_vccnz .LBB14_1654
; %bb.1653:
	s_wait_xcnt 0x0
	v_mov_b32_e32 v1, 0
	global_store_b16 v[2:3], v1, off
.LBB14_1654:
	s_mov_b32 s10, 0
.LBB14_1655:
	s_delay_alu instid0(SALU_CYCLE_1)
	s_and_not1_b32 vcc_lo, exec_lo, s10
	s_cbranch_vccnz .LBB14_1671
; %bb.1656:
	s_cmp_lt_i32 s9, 2
	s_mov_b32 s10, -1
	s_cbranch_scc1 .LBB14_1666
; %bb.1657:
	s_cmp_lt_i32 s9, 3
	s_cbranch_scc1 .LBB14_1663
; %bb.1658:
	s_cmp_gt_i32 s9, 3
	s_cbranch_scc0 .LBB14_1660
; %bb.1659:
	s_wait_xcnt 0x0
	v_mov_b64_e32 v[4:5], 0
	s_mov_b32 s10, 0
	global_store_b64 v[2:3], v[4:5], off
.LBB14_1660:
	s_and_not1_b32 vcc_lo, exec_lo, s10
	s_cbranch_vccnz .LBB14_1662
; %bb.1661:
	s_wait_xcnt 0x0
	v_mov_b32_e32 v1, 0
	global_store_b32 v[2:3], v1, off
.LBB14_1662:
	s_mov_b32 s10, 0
.LBB14_1663:
	s_delay_alu instid0(SALU_CYCLE_1)
	s_and_not1_b32 vcc_lo, exec_lo, s10
	s_cbranch_vccnz .LBB14_1665
; %bb.1664:
	s_wait_xcnt 0x0
	v_mov_b32_e32 v1, 0
	global_store_b16 v[2:3], v1, off
.LBB14_1665:
	s_mov_b32 s10, 0
.LBB14_1666:
	s_delay_alu instid0(SALU_CYCLE_1)
	s_and_not1_b32 vcc_lo, exec_lo, s10
	s_cbranch_vccnz .LBB14_1671
; %bb.1667:
	s_cmp_gt_i32 s9, 0
	s_mov_b32 s9, -1
	s_cbranch_scc0 .LBB14_1669
; %bb.1668:
	s_wait_xcnt 0x0
	v_mov_b32_e32 v1, 0
	s_mov_b32 s9, 0
	global_store_b8 v[2:3], v1, off
.LBB14_1669:
	s_and_not1_b32 vcc_lo, exec_lo, s9
	s_cbranch_vccnz .LBB14_1671
; %bb.1670:
	s_wait_xcnt 0x0
	v_mov_b32_e32 v1, 0
	global_store_b8 v[2:3], v1, off
.LBB14_1671:
	s_mov_b32 s11, -1
.LBB14_1672:
	s_delay_alu instid0(SALU_CYCLE_1)
	s_and_not1_b32 vcc_lo, exec_lo, s11
	s_cbranch_vccnz .LBB14_1719
; %bb.1673:
	v_add_nc_u32_e32 v0, s2, v0
	s_cmp_lt_i32 s0, 11
	s_wait_xcnt 0x0
	s_delay_alu instid0(VALU_DEP_1) | instskip(NEXT) | instid1(VALU_DEP_1)
	v_ashrrev_i32_e32 v1, 31, v0
	v_add_nc_u64_e32 v[2:3], s[4:5], v[0:1]
	s_cbranch_scc1 .LBB14_1773
; %bb.1674:
	s_and_b32 s4, 0xffff, s0
	s_mov_b32 s9, -1
	s_mov_b32 s2, 0
	s_cmp_gt_i32 s4, 25
	s_mov_b32 s5, 0
	s_cbranch_scc0 .LBB14_1699
; %bb.1675:
	s_cmp_gt_i32 s4, 28
	s_cbranch_scc0 .LBB14_1689
; %bb.1676:
	s_cmp_gt_i32 s4, 43
	;; [unrolled: 3-line block ×3, first 2 shown]
	s_cbranch_scc0 .LBB14_1681
; %bb.1678:
	s_cmp_eq_u32 s4, 46
	s_mov_b32 s5, -1
	s_cbranch_scc0 .LBB14_1680
; %bb.1679:
	v_mov_b32_e32 v0, 0
	s_mov_b32 s5, 0
	global_store_b32 v[2:3], v0, off
.LBB14_1680:
	s_mov_b32 s9, 0
.LBB14_1681:
	s_delay_alu instid0(SALU_CYCLE_1)
	s_and_b32 vcc_lo, exec_lo, s9
	s_cbranch_vccz .LBB14_1684
; %bb.1682:
	s_cmp_eq_u32 s4, 44
	s_mov_b32 s5, -1
	s_cbranch_scc0 .LBB14_1684
; %bb.1683:
	s_wait_xcnt 0x0
	v_mov_b32_e32 v0, 0
	s_mov_b32 s5, 0
	global_store_b8 v[2:3], v0, off
.LBB14_1684:
	s_mov_b32 s9, 0
.LBB14_1685:
	s_delay_alu instid0(SALU_CYCLE_1)
	s_and_b32 vcc_lo, exec_lo, s9
	s_cbranch_vccz .LBB14_1688
; %bb.1686:
	s_cmp_eq_u32 s4, 29
	s_mov_b32 s5, -1
	s_cbranch_scc0 .LBB14_1688
; %bb.1687:
	s_wait_xcnt 0x0
	v_mov_b64_e32 v[0:1], 0
	s_mov_b32 s5, 0
	global_store_b64 v[2:3], v[0:1], off
.LBB14_1688:
	s_mov_b32 s9, 0
.LBB14_1689:
	s_delay_alu instid0(SALU_CYCLE_1)
	s_and_b32 vcc_lo, exec_lo, s9
	s_cbranch_vccz .LBB14_1698
; %bb.1690:
	s_cmp_lt_i32 s4, 27
	s_mov_b32 s9, -1
	s_cbranch_scc1 .LBB14_1696
; %bb.1691:
	s_cmp_gt_i32 s4, 27
	s_cbranch_scc0 .LBB14_1693
; %bb.1692:
	s_wait_xcnt 0x0
	v_mov_b32_e32 v0, 0
	s_mov_b32 s9, 0
	global_store_b32 v[2:3], v0, off
.LBB14_1693:
	s_and_not1_b32 vcc_lo, exec_lo, s9
	s_cbranch_vccnz .LBB14_1695
; %bb.1694:
	s_wait_xcnt 0x0
	v_mov_b32_e32 v0, 0
	global_store_b16 v[2:3], v0, off
.LBB14_1695:
	s_mov_b32 s9, 0
.LBB14_1696:
	s_delay_alu instid0(SALU_CYCLE_1)
	s_and_not1_b32 vcc_lo, exec_lo, s9
	s_cbranch_vccnz .LBB14_1698
; %bb.1697:
	s_wait_xcnt 0x0
	v_mov_b32_e32 v0, 0
	global_store_b8 v[2:3], v0, off
.LBB14_1698:
	s_mov_b32 s9, 0
.LBB14_1699:
	s_delay_alu instid0(SALU_CYCLE_1)
	s_and_b32 vcc_lo, exec_lo, s9
	s_cbranch_vccz .LBB14_1717
; %bb.1700:
	s_cmp_gt_i32 s4, 22
	s_mov_b32 s2, -1
	s_cbranch_scc0 .LBB14_1710
; %bb.1701:
	s_cmp_lt_i32 s4, 24
	s_cbranch_scc1 .LBB14_1707
; %bb.1702:
	s_cmp_gt_i32 s4, 24
	s_cbranch_scc0 .LBB14_1704
; %bb.1703:
	s_wait_xcnt 0x0
	v_mov_b32_e32 v0, 0
	s_mov_b32 s2, 0
	global_store_b8 v[2:3], v0, off
.LBB14_1704:
	s_and_not1_b32 vcc_lo, exec_lo, s2
	s_cbranch_vccnz .LBB14_1706
; %bb.1705:
	s_wait_xcnt 0x0
	v_mov_b32_e32 v0, 0
	global_store_b8 v[2:3], v0, off
.LBB14_1706:
	s_mov_b32 s2, 0
.LBB14_1707:
	s_delay_alu instid0(SALU_CYCLE_1)
	s_and_not1_b32 vcc_lo, exec_lo, s2
	s_cbranch_vccnz .LBB14_1709
; %bb.1708:
	s_wait_xcnt 0x0
	v_mov_b32_e32 v0, 0
	global_store_b8 v[2:3], v0, off
.LBB14_1709:
	s_mov_b32 s2, 0
.LBB14_1710:
	s_delay_alu instid0(SALU_CYCLE_1)
	s_and_not1_b32 vcc_lo, exec_lo, s2
	s_mov_b32 s2, 0
	s_cbranch_vccnz .LBB14_1717
; %bb.1711:
	s_cmp_gt_i32 s4, 14
	s_mov_b32 s2, -1
	s_cbranch_scc0 .LBB14_1715
; %bb.1712:
	s_cmp_eq_u32 s4, 15
	s_mov_b32 s5, -1
	s_cbranch_scc0 .LBB14_1714
; %bb.1713:
	s_wait_xcnt 0x0
	v_mov_b32_e32 v0, 0
	s_mov_b32 s5, 0
	global_store_b16 v[2:3], v0, off
.LBB14_1714:
	s_mov_b32 s2, 0
.LBB14_1715:
	s_delay_alu instid0(SALU_CYCLE_1)
	s_and_b32 vcc_lo, exec_lo, s2
	s_mov_b32 s2, 0
	s_cbranch_vccz .LBB14_1717
; %bb.1716:
	s_cmp_lg_u32 s4, 11
	s_mov_b32 s2, -1
	s_cselect_b32 s5, -1, 0
.LBB14_1717:
	s_delay_alu instid0(SALU_CYCLE_1)
	s_and_b32 vcc_lo, exec_lo, s5
	s_cbranch_vccnz .LBB14_1779
.LBB14_1718:
	s_mov_b32 s4, 0
	s_branch .LBB14_1720
.LBB14_1719:
	s_mov_b32 s4, 0
	s_mov_b32 s2, 0
                                        ; implicit-def: $sgpr0
                                        ; implicit-def: $vgpr2_vgpr3
.LBB14_1720:
	s_and_b32 s9, s4, exec_lo
	s_and_not1_b32 s4, s6, exec_lo
	s_and_b32 s5, s8, exec_lo
	s_and_b32 s8, s2, exec_lo
	s_or_b32 s6, s4, s5
.LBB14_1721:
	s_wait_xcnt 0x0
	s_or_b32 exec_lo, exec_lo, s7
.LBB14_1722:
	s_delay_alu instid0(SALU_CYCLE_1)
	s_and_not1_b32 s2, s18, exec_lo
	s_and_b32 s4, s6, exec_lo
	s_and_b32 s22, s9, exec_lo
	;; [unrolled: 1-line block ×3, first 2 shown]
	s_or_b32 s18, s2, s4
.LBB14_1723:
	s_wait_xcnt 0x0
	s_or_b32 exec_lo, exec_lo, s19
.LBB14_1724:
	s_delay_alu instid0(SALU_CYCLE_1)
	s_and_not1_b32 s2, s3, exec_lo
	s_and_b32 s3, s18, exec_lo
	s_and_b32 s19, s22, exec_lo
	;; [unrolled: 1-line block ×3, first 2 shown]
	s_or_b32 s3, s2, s3
.LBB14_1725:
	s_wait_xcnt 0x0
	s_or_b32 exec_lo, exec_lo, s16
.LBB14_1726:
	s_delay_alu instid0(SALU_CYCLE_1)
	s_and_not1_b32 s1, s1, exec_lo
	s_and_b32 s2, s3, exec_lo
	s_and_b32 s19, s19, exec_lo
	;; [unrolled: 1-line block ×3, first 2 shown]
	s_or_b32 s1, s1, s2
.LBB14_1727:
	s_wait_xcnt 0x0
	s_or_b32 exec_lo, exec_lo, s13
.LBB14_1728:
	s_delay_alu instid0(SALU_CYCLE_1)
	s_and_not1_b32 s2, s15, exec_lo
	s_and_b32 s3, s1, exec_lo
	s_and_b32 s17, s19, exec_lo
	;; [unrolled: 1-line block ×3, first 2 shown]
	s_or_b32 s15, s2, s3
.LBB14_1729:
	s_wait_xcnt 0x0
	s_or_b32 exec_lo, exec_lo, s14
	s_and_saveexec_b32 s2, s15
	s_cbranch_execz .LBB14_1732
; %bb.1730:
	; divergent unreachable
	s_or_b32 exec_lo, exec_lo, s2
	s_and_saveexec_b32 s2, s1
	s_delay_alu instid0(SALU_CYCLE_1)
	s_xor_b32 s1, exec_lo, s2
	s_cbranch_execnz .LBB14_1733
.LBB14_1731:
	s_or_b32 exec_lo, exec_lo, s1
	s_and_saveexec_b32 s1, s17
	s_cbranch_execnz .LBB14_1734
	s_branch .LBB14_1771
.LBB14_1732:
	s_or_b32 exec_lo, exec_lo, s2
	s_and_saveexec_b32 s2, s1
	s_delay_alu instid0(SALU_CYCLE_1)
	s_xor_b32 s1, exec_lo, s2
	s_cbranch_execz .LBB14_1731
.LBB14_1733:
	v_mov_b32_e32 v0, 0
	s_wait_loadcnt 0x0
	global_store_b8 v[2:3], v0, off
	s_wait_xcnt 0x0
	s_or_b32 exec_lo, exec_lo, s1
	s_and_saveexec_b32 s1, s17
	s_cbranch_execz .LBB14_1771
.LBB14_1734:
	s_sext_i32_i16 s2, s0
	s_mov_b32 s1, -1
	s_cmp_lt_i32 s2, 5
	s_cbranch_scc1 .LBB14_1755
; %bb.1735:
	s_cmp_lt_i32 s2, 8
	s_cbranch_scc1 .LBB14_1745
; %bb.1736:
	;; [unrolled: 3-line block ×3, first 2 shown]
	s_cmp_gt_i32 s2, 9
	s_cbranch_scc0 .LBB14_1739
; %bb.1738:
	s_wait_loadcnt 0x0
	v_mov_b32_e32 v4, 0
	s_mov_b32 s1, 0
	s_delay_alu instid0(VALU_DEP_1)
	v_dual_mov_b32 v5, v4 :: v_dual_mov_b32 v6, v4
	v_mov_b32_e32 v7, v4
	global_store_b128 v[2:3], v[4:7], off
.LBB14_1739:
	s_and_not1_b32 vcc_lo, exec_lo, s1
	s_cbranch_vccnz .LBB14_1741
; %bb.1740:
	v_mov_b64_e32 v[0:1], 0
	s_wait_loadcnt 0x0
	global_store_b64 v[2:3], v[0:1], off
.LBB14_1741:
	s_mov_b32 s1, 0
.LBB14_1742:
	s_delay_alu instid0(SALU_CYCLE_1)
	s_and_not1_b32 vcc_lo, exec_lo, s1
	s_cbranch_vccnz .LBB14_1744
; %bb.1743:
	s_wait_xcnt 0x0
	v_mov_b32_e32 v0, 0
	s_wait_loadcnt 0x0
	global_store_b32 v[2:3], v0, off
.LBB14_1744:
	s_mov_b32 s1, 0
.LBB14_1745:
	s_delay_alu instid0(SALU_CYCLE_1)
	s_and_not1_b32 vcc_lo, exec_lo, s1
	s_cbranch_vccnz .LBB14_1754
; %bb.1746:
	s_sext_i32_i16 s2, s0
	s_mov_b32 s1, -1
	s_cmp_lt_i32 s2, 6
	s_cbranch_scc1 .LBB14_1752
; %bb.1747:
	s_cmp_gt_i32 s2, 6
	s_cbranch_scc0 .LBB14_1749
; %bb.1748:
	s_wait_xcnt 0x0
	v_mov_b64_e32 v[0:1], 0
	s_mov_b32 s1, 0
	s_wait_loadcnt 0x0
	global_store_b64 v[2:3], v[0:1], off
.LBB14_1749:
	s_and_not1_b32 vcc_lo, exec_lo, s1
	s_cbranch_vccnz .LBB14_1751
; %bb.1750:
	s_wait_xcnt 0x0
	v_mov_b32_e32 v0, 0
	s_wait_loadcnt 0x0
	global_store_b32 v[2:3], v0, off
.LBB14_1751:
	s_mov_b32 s1, 0
.LBB14_1752:
	s_delay_alu instid0(SALU_CYCLE_1)
	s_and_not1_b32 vcc_lo, exec_lo, s1
	s_cbranch_vccnz .LBB14_1754
; %bb.1753:
	s_wait_xcnt 0x0
	v_mov_b32_e32 v0, 0
	s_wait_loadcnt 0x0
	global_store_b16 v[2:3], v0, off
.LBB14_1754:
	s_mov_b32 s1, 0
.LBB14_1755:
	s_delay_alu instid0(SALU_CYCLE_1)
	s_and_not1_b32 vcc_lo, exec_lo, s1
	s_cbranch_vccnz .LBB14_1771
; %bb.1756:
	s_sext_i32_i16 s2, s0
	s_mov_b32 s1, -1
	s_cmp_lt_i32 s2, 2
	s_cbranch_scc1 .LBB14_1766
; %bb.1757:
	s_cmp_lt_i32 s2, 3
	s_cbranch_scc1 .LBB14_1763
; %bb.1758:
	s_cmp_gt_i32 s2, 3
	s_cbranch_scc0 .LBB14_1760
; %bb.1759:
	s_wait_xcnt 0x0
	v_mov_b64_e32 v[0:1], 0
	s_mov_b32 s1, 0
	s_wait_loadcnt 0x0
	global_store_b64 v[2:3], v[0:1], off
.LBB14_1760:
	s_and_not1_b32 vcc_lo, exec_lo, s1
	s_cbranch_vccnz .LBB14_1762
; %bb.1761:
	s_wait_xcnt 0x0
	v_mov_b32_e32 v0, 0
	s_wait_loadcnt 0x0
	global_store_b32 v[2:3], v0, off
.LBB14_1762:
	s_mov_b32 s1, 0
.LBB14_1763:
	s_delay_alu instid0(SALU_CYCLE_1)
	s_and_not1_b32 vcc_lo, exec_lo, s1
	s_cbranch_vccnz .LBB14_1765
; %bb.1764:
	s_wait_xcnt 0x0
	v_mov_b32_e32 v0, 0
	s_wait_loadcnt 0x0
	global_store_b16 v[2:3], v0, off
.LBB14_1765:
	s_mov_b32 s1, 0
.LBB14_1766:
	s_delay_alu instid0(SALU_CYCLE_1)
	s_and_not1_b32 vcc_lo, exec_lo, s1
	s_cbranch_vccnz .LBB14_1771
; %bb.1767:
	s_sext_i32_i16 s0, s0
	s_delay_alu instid0(SALU_CYCLE_1)
	s_cmp_gt_i32 s0, 0
	s_mov_b32 s0, -1
	s_cbranch_scc0 .LBB14_1769
; %bb.1768:
	s_wait_xcnt 0x0
	v_mov_b32_e32 v0, 0
	s_mov_b32 s0, 0
	s_wait_loadcnt 0x0
	global_store_b8 v[2:3], v0, off
.LBB14_1769:
	s_and_not1_b32 vcc_lo, exec_lo, s0
	s_cbranch_vccnz .LBB14_1771
; %bb.1770:
	s_wait_xcnt 0x0
	v_mov_b32_e32 v0, 0
	s_wait_loadcnt 0x0
	global_store_b8 v[2:3], v0, off
	s_endpgm
.LBB14_1771:
	s_endpgm
.LBB14_1772:
	s_or_b32 s6, s18, exec_lo
	s_trap 2
	s_cbranch_execz .LBB14_1351
	s_branch .LBB14_1352
.LBB14_1773:
	s_mov_b32 s2, 0
	s_mov_b32 s4, -1
	s_branch .LBB14_1720
.LBB14_1774:
	s_or_b32 s8, s6, exec_lo
	s_trap 2
	s_cbranch_execz .LBB14_1451
	s_branch .LBB14_1452
.LBB14_1775:
	s_or_b32 s3, s3, exec_lo
	s_trap 2
                                        ; implicit-def: $vgpr0
                                        ; implicit-def: $vgpr6
	s_branch .LBB14_918
.LBB14_1776:
	s_or_b32 s8, s8, exec_lo
	s_trap 2
	s_cbranch_execz .LBB14_1541
	s_branch .LBB14_1542
.LBB14_1777:
	s_or_b32 s8, s8, exec_lo
	s_trap 2
	s_cbranch_execz .LBB14_1630
	s_branch .LBB14_1631
.LBB14_1778:
	s_or_b32 s18, s18, exec_lo
	s_trap 2
                                        ; implicit-def: $vgpr0
                                        ; implicit-def: $vgpr6
	s_branch .LBB14_1273
.LBB14_1779:
	s_mov_b32 s2, 0
	s_or_b32 s8, s8, exec_lo
	s_trap 2
	s_branch .LBB14_1718
.LBB14_1780:
	s_or_b32 s6, s6, exec_lo
	s_trap 2
                                        ; implicit-def: $vgpr6
	s_branch .LBB14_1404
	.section	.rodata,"a",@progbits
	.p2align	6, 0x0
	.amdhsa_kernel _ZN2at6native32elementwise_kernel_manual_unrollILi128ELi4EZNS0_15gpu_kernel_implIZZZNS0_12_GLOBAL__N_142_validate_compressed_sparse_indices_kernelILNS3_8CDimNameE0ENS3_18CUDAKernelLauncherENS3_14EmptyVecKernelENS3_8DummyVecELm8EEEvRKNS_6TensorESB_lllENKUlvE0_clEvENKUlvE0_clEvEUllE_EEvRNS_18TensorIteratorBaseERKT_EUlibE_EEviT1_
		.amdhsa_group_segment_fixed_size 0
		.amdhsa_private_segment_fixed_size 0
		.amdhsa_kernarg_size 56
		.amdhsa_user_sgpr_count 2
		.amdhsa_user_sgpr_dispatch_ptr 0
		.amdhsa_user_sgpr_queue_ptr 0
		.amdhsa_user_sgpr_kernarg_segment_ptr 1
		.amdhsa_user_sgpr_dispatch_id 0
		.amdhsa_user_sgpr_kernarg_preload_length 0
		.amdhsa_user_sgpr_kernarg_preload_offset 0
		.amdhsa_user_sgpr_private_segment_size 0
		.amdhsa_wavefront_size32 1
		.amdhsa_uses_dynamic_stack 0
		.amdhsa_enable_private_segment 0
		.amdhsa_system_sgpr_workgroup_id_x 1
		.amdhsa_system_sgpr_workgroup_id_y 0
		.amdhsa_system_sgpr_workgroup_id_z 0
		.amdhsa_system_sgpr_workgroup_info 0
		.amdhsa_system_vgpr_workitem_id 0
		.amdhsa_next_free_vgpr 12
		.amdhsa_next_free_sgpr 35
		.amdhsa_named_barrier_count 0
		.amdhsa_reserve_vcc 1
		.amdhsa_float_round_mode_32 0
		.amdhsa_float_round_mode_16_64 0
		.amdhsa_float_denorm_mode_32 3
		.amdhsa_float_denorm_mode_16_64 3
		.amdhsa_fp16_overflow 0
		.amdhsa_memory_ordered 1
		.amdhsa_forward_progress 1
		.amdhsa_inst_pref_size 255
		.amdhsa_round_robin_scheduling 0
		.amdhsa_exception_fp_ieee_invalid_op 0
		.amdhsa_exception_fp_denorm_src 0
		.amdhsa_exception_fp_ieee_div_zero 0
		.amdhsa_exception_fp_ieee_overflow 0
		.amdhsa_exception_fp_ieee_underflow 0
		.amdhsa_exception_fp_ieee_inexact 0
		.amdhsa_exception_int_div_zero 0
	.end_amdhsa_kernel
	.section	.text._ZN2at6native32elementwise_kernel_manual_unrollILi128ELi4EZNS0_15gpu_kernel_implIZZZNS0_12_GLOBAL__N_142_validate_compressed_sparse_indices_kernelILNS3_8CDimNameE0ENS3_18CUDAKernelLauncherENS3_14EmptyVecKernelENS3_8DummyVecELm8EEEvRKNS_6TensorESB_lllENKUlvE0_clEvENKUlvE0_clEvEUllE_EEvRNS_18TensorIteratorBaseERKT_EUlibE_EEviT1_,"axG",@progbits,_ZN2at6native32elementwise_kernel_manual_unrollILi128ELi4EZNS0_15gpu_kernel_implIZZZNS0_12_GLOBAL__N_142_validate_compressed_sparse_indices_kernelILNS3_8CDimNameE0ENS3_18CUDAKernelLauncherENS3_14EmptyVecKernelENS3_8DummyVecELm8EEEvRKNS_6TensorESB_lllENKUlvE0_clEvENKUlvE0_clEvEUllE_EEvRNS_18TensorIteratorBaseERKT_EUlibE_EEviT1_,comdat
.Lfunc_end14:
	.size	_ZN2at6native32elementwise_kernel_manual_unrollILi128ELi4EZNS0_15gpu_kernel_implIZZZNS0_12_GLOBAL__N_142_validate_compressed_sparse_indices_kernelILNS3_8CDimNameE0ENS3_18CUDAKernelLauncherENS3_14EmptyVecKernelENS3_8DummyVecELm8EEEvRKNS_6TensorESB_lllENKUlvE0_clEvENKUlvE0_clEvEUllE_EEvRNS_18TensorIteratorBaseERKT_EUlibE_EEviT1_, .Lfunc_end14-_ZN2at6native32elementwise_kernel_manual_unrollILi128ELi4EZNS0_15gpu_kernel_implIZZZNS0_12_GLOBAL__N_142_validate_compressed_sparse_indices_kernelILNS3_8CDimNameE0ENS3_18CUDAKernelLauncherENS3_14EmptyVecKernelENS3_8DummyVecELm8EEEvRKNS_6TensorESB_lllENKUlvE0_clEvENKUlvE0_clEvEUllE_EEvRNS_18TensorIteratorBaseERKT_EUlibE_EEviT1_
                                        ; -- End function
	.set _ZN2at6native32elementwise_kernel_manual_unrollILi128ELi4EZNS0_15gpu_kernel_implIZZZNS0_12_GLOBAL__N_142_validate_compressed_sparse_indices_kernelILNS3_8CDimNameE0ENS3_18CUDAKernelLauncherENS3_14EmptyVecKernelENS3_8DummyVecELm8EEEvRKNS_6TensorESB_lllENKUlvE0_clEvENKUlvE0_clEvEUllE_EEvRNS_18TensorIteratorBaseERKT_EUlibE_EEviT1_.num_vgpr, 12
	.set _ZN2at6native32elementwise_kernel_manual_unrollILi128ELi4EZNS0_15gpu_kernel_implIZZZNS0_12_GLOBAL__N_142_validate_compressed_sparse_indices_kernelILNS3_8CDimNameE0ENS3_18CUDAKernelLauncherENS3_14EmptyVecKernelENS3_8DummyVecELm8EEEvRKNS_6TensorESB_lllENKUlvE0_clEvENKUlvE0_clEvEUllE_EEvRNS_18TensorIteratorBaseERKT_EUlibE_EEviT1_.num_agpr, 0
	.set _ZN2at6native32elementwise_kernel_manual_unrollILi128ELi4EZNS0_15gpu_kernel_implIZZZNS0_12_GLOBAL__N_142_validate_compressed_sparse_indices_kernelILNS3_8CDimNameE0ENS3_18CUDAKernelLauncherENS3_14EmptyVecKernelENS3_8DummyVecELm8EEEvRKNS_6TensorESB_lllENKUlvE0_clEvENKUlvE0_clEvEUllE_EEvRNS_18TensorIteratorBaseERKT_EUlibE_EEviT1_.numbered_sgpr, 35
	.set _ZN2at6native32elementwise_kernel_manual_unrollILi128ELi4EZNS0_15gpu_kernel_implIZZZNS0_12_GLOBAL__N_142_validate_compressed_sparse_indices_kernelILNS3_8CDimNameE0ENS3_18CUDAKernelLauncherENS3_14EmptyVecKernelENS3_8DummyVecELm8EEEvRKNS_6TensorESB_lllENKUlvE0_clEvENKUlvE0_clEvEUllE_EEvRNS_18TensorIteratorBaseERKT_EUlibE_EEviT1_.num_named_barrier, 0
	.set _ZN2at6native32elementwise_kernel_manual_unrollILi128ELi4EZNS0_15gpu_kernel_implIZZZNS0_12_GLOBAL__N_142_validate_compressed_sparse_indices_kernelILNS3_8CDimNameE0ENS3_18CUDAKernelLauncherENS3_14EmptyVecKernelENS3_8DummyVecELm8EEEvRKNS_6TensorESB_lllENKUlvE0_clEvENKUlvE0_clEvEUllE_EEvRNS_18TensorIteratorBaseERKT_EUlibE_EEviT1_.private_seg_size, 0
	.set _ZN2at6native32elementwise_kernel_manual_unrollILi128ELi4EZNS0_15gpu_kernel_implIZZZNS0_12_GLOBAL__N_142_validate_compressed_sparse_indices_kernelILNS3_8CDimNameE0ENS3_18CUDAKernelLauncherENS3_14EmptyVecKernelENS3_8DummyVecELm8EEEvRKNS_6TensorESB_lllENKUlvE0_clEvENKUlvE0_clEvEUllE_EEvRNS_18TensorIteratorBaseERKT_EUlibE_EEviT1_.uses_vcc, 1
	.set _ZN2at6native32elementwise_kernel_manual_unrollILi128ELi4EZNS0_15gpu_kernel_implIZZZNS0_12_GLOBAL__N_142_validate_compressed_sparse_indices_kernelILNS3_8CDimNameE0ENS3_18CUDAKernelLauncherENS3_14EmptyVecKernelENS3_8DummyVecELm8EEEvRKNS_6TensorESB_lllENKUlvE0_clEvENKUlvE0_clEvEUllE_EEvRNS_18TensorIteratorBaseERKT_EUlibE_EEviT1_.uses_flat_scratch, 0
	.set _ZN2at6native32elementwise_kernel_manual_unrollILi128ELi4EZNS0_15gpu_kernel_implIZZZNS0_12_GLOBAL__N_142_validate_compressed_sparse_indices_kernelILNS3_8CDimNameE0ENS3_18CUDAKernelLauncherENS3_14EmptyVecKernelENS3_8DummyVecELm8EEEvRKNS_6TensorESB_lllENKUlvE0_clEvENKUlvE0_clEvEUllE_EEvRNS_18TensorIteratorBaseERKT_EUlibE_EEviT1_.has_dyn_sized_stack, 0
	.set _ZN2at6native32elementwise_kernel_manual_unrollILi128ELi4EZNS0_15gpu_kernel_implIZZZNS0_12_GLOBAL__N_142_validate_compressed_sparse_indices_kernelILNS3_8CDimNameE0ENS3_18CUDAKernelLauncherENS3_14EmptyVecKernelENS3_8DummyVecELm8EEEvRKNS_6TensorESB_lllENKUlvE0_clEvENKUlvE0_clEvEUllE_EEvRNS_18TensorIteratorBaseERKT_EUlibE_EEviT1_.has_recursion, 0
	.set _ZN2at6native32elementwise_kernel_manual_unrollILi128ELi4EZNS0_15gpu_kernel_implIZZZNS0_12_GLOBAL__N_142_validate_compressed_sparse_indices_kernelILNS3_8CDimNameE0ENS3_18CUDAKernelLauncherENS3_14EmptyVecKernelENS3_8DummyVecELm8EEEvRKNS_6TensorESB_lllENKUlvE0_clEvENKUlvE0_clEvEUllE_EEvRNS_18TensorIteratorBaseERKT_EUlibE_EEviT1_.has_indirect_call, 0
	.section	.AMDGPU.csdata,"",@progbits
; Kernel info:
; codeLenInByte = 34852
; TotalNumSgprs: 37
; NumVgprs: 12
; ScratchSize: 0
; MemoryBound: 1
; FloatMode: 240
; IeeeMode: 1
; LDSByteSize: 0 bytes/workgroup (compile time only)
; SGPRBlocks: 0
; VGPRBlocks: 0
; NumSGPRsForWavesPerEU: 37
; NumVGPRsForWavesPerEU: 12
; NamedBarCnt: 0
; Occupancy: 16
; WaveLimiterHint : 0
; COMPUTE_PGM_RSRC2:SCRATCH_EN: 0
; COMPUTE_PGM_RSRC2:USER_SGPR: 2
; COMPUTE_PGM_RSRC2:TRAP_HANDLER: 0
; COMPUTE_PGM_RSRC2:TGID_X_EN: 1
; COMPUTE_PGM_RSRC2:TGID_Y_EN: 0
; COMPUTE_PGM_RSRC2:TGID_Z_EN: 0
; COMPUTE_PGM_RSRC2:TIDIG_COMP_CNT: 0
	.section	.text._ZN2at6native32elementwise_kernel_manual_unrollILi128ELi4EZNS0_15gpu_kernel_implIZZZNS0_12_GLOBAL__N_142_validate_compressed_sparse_indices_kernelILNS3_8CDimNameE0ENS3_18CUDAKernelLauncherENS3_14EmptyVecKernelENS3_8DummyVecELm8EEEvRKNS_6TensorESB_lllENKUlvE0_clEvENKUlvE0_clEvEUllE_EEvRNS_18TensorIteratorBaseERKT_EUlibE0_EEviT1_,"axG",@progbits,_ZN2at6native32elementwise_kernel_manual_unrollILi128ELi4EZNS0_15gpu_kernel_implIZZZNS0_12_GLOBAL__N_142_validate_compressed_sparse_indices_kernelILNS3_8CDimNameE0ENS3_18CUDAKernelLauncherENS3_14EmptyVecKernelENS3_8DummyVecELm8EEEvRKNS_6TensorESB_lllENKUlvE0_clEvENKUlvE0_clEvEUllE_EEvRNS_18TensorIteratorBaseERKT_EUlibE0_EEviT1_,comdat
	.globl	_ZN2at6native32elementwise_kernel_manual_unrollILi128ELi4EZNS0_15gpu_kernel_implIZZZNS0_12_GLOBAL__N_142_validate_compressed_sparse_indices_kernelILNS3_8CDimNameE0ENS3_18CUDAKernelLauncherENS3_14EmptyVecKernelENS3_8DummyVecELm8EEEvRKNS_6TensorESB_lllENKUlvE0_clEvENKUlvE0_clEvEUllE_EEvRNS_18TensorIteratorBaseERKT_EUlibE0_EEviT1_ ; -- Begin function _ZN2at6native32elementwise_kernel_manual_unrollILi128ELi4EZNS0_15gpu_kernel_implIZZZNS0_12_GLOBAL__N_142_validate_compressed_sparse_indices_kernelILNS3_8CDimNameE0ENS3_18CUDAKernelLauncherENS3_14EmptyVecKernelENS3_8DummyVecELm8EEEvRKNS_6TensorESB_lllENKUlvE0_clEvENKUlvE0_clEvEUllE_EEvRNS_18TensorIteratorBaseERKT_EUlibE0_EEviT1_
	.p2align	8
	.type	_ZN2at6native32elementwise_kernel_manual_unrollILi128ELi4EZNS0_15gpu_kernel_implIZZZNS0_12_GLOBAL__N_142_validate_compressed_sparse_indices_kernelILNS3_8CDimNameE0ENS3_18CUDAKernelLauncherENS3_14EmptyVecKernelENS3_8DummyVecELm8EEEvRKNS_6TensorESB_lllENKUlvE0_clEvENKUlvE0_clEvEUllE_EEvRNS_18TensorIteratorBaseERKT_EUlibE0_EEviT1_,@function
_ZN2at6native32elementwise_kernel_manual_unrollILi128ELi4EZNS0_15gpu_kernel_implIZZZNS0_12_GLOBAL__N_142_validate_compressed_sparse_indices_kernelILNS3_8CDimNameE0ENS3_18CUDAKernelLauncherENS3_14EmptyVecKernelENS3_8DummyVecELm8EEEvRKNS_6TensorESB_lllENKUlvE0_clEvENKUlvE0_clEvEUllE_EEvRNS_18TensorIteratorBaseERKT_EUlibE0_EEviT1_: ; @_ZN2at6native32elementwise_kernel_manual_unrollILi128ELi4EZNS0_15gpu_kernel_implIZZZNS0_12_GLOBAL__N_142_validate_compressed_sparse_indices_kernelILNS3_8CDimNameE0ENS3_18CUDAKernelLauncherENS3_14EmptyVecKernelENS3_8DummyVecELm8EEEvRKNS_6TensorESB_lllENKUlvE0_clEvENKUlvE0_clEvEUllE_EEvRNS_18TensorIteratorBaseERKT_EUlibE0_EEviT1_
; %bb.0:
	s_clause 0x1
	s_load_b32 s33, s[0:1], 0x8
	s_load_b32 s41, s[0:1], 0x0
	s_bfe_u32 s2, ttmp6, 0x4000c
	s_and_b32 s3, ttmp6, 15
	s_add_co_i32 s2, s2, 1
	s_getreg_b32 s4, hwreg(HW_REG_IB_STS2, 6, 4)
	s_mul_i32 s2, ttmp9, s2
	s_mov_b32 s35, 0
	s_add_co_i32 s3, s3, s2
	s_cmp_eq_u32 s4, 0
	s_mov_b32 s26, -1
	s_cselect_b32 s2, ttmp9, s3
	s_mov_b32 s12, 0
	v_lshl_or_b32 v0, s2, 9, v0
	s_add_nc_u64 s[2:3], s[0:1], 8
	s_wait_xcnt 0x0
	s_mov_b32 s0, exec_lo
	s_delay_alu instid0(VALU_DEP_1) | instskip(SKIP_2) | instid1(SALU_CYCLE_1)
	v_or_b32_e32 v9, 0x180, v0
	s_wait_kmcnt 0x0
	s_add_co_i32 s34, s33, -1
	s_cmp_gt_u32 s34, 1
	s_cselect_b32 s36, -1, 0
	v_cmpx_le_i32_e64 s41, v9
	s_xor_b32 s37, exec_lo, s0
	s_cbranch_execz .LBB15_958
; %bb.1:
	s_clause 0x4
	s_load_b128 s[12:15], s[2:3], 0x4
	s_load_b32 s38, s[2:3], 0x168
	s_load_b64 s[0:1], s[2:3], 0x14
	s_load_b128 s[16:19], s[2:3], 0xc4
	s_load_b256 s[4:11], s[2:3], 0x148
	s_cmp_lg_u32 s33, 0
	s_get_pc_i64 s[28:29]
	s_add_nc_u64 s[28:29], s[28:29], .str@rel64+4
	s_cselect_b32 s43, -1, 0
	s_min_u32 s42, s34, 15
	s_cmp_gt_u32 s33, 1
	s_mov_b32 s21, 0
	s_cselect_b32 s40, -1, 0
	s_add_nc_u64 s[24:25], s[2:3], 0xc4
	s_mov_b32 s23, s21
	s_mov_b32 s46, s21
	;; [unrolled: 1-line block ×4, first 2 shown]
	s_mov_b32 s47, exec_lo
	s_wait_kmcnt 0x0
	s_mov_b32 s20, s13
	s_bfe_u32 s39, s38, 0x80008
	s_cmp_lg_u64 s[28:29], 0
	s_mov_b32 s22, s0
	s_cselect_b32 s13, -1, 0
	v_cmpx_gt_i32_e64 s41, v0
	s_cbranch_execz .LBB15_236
; %bb.2:
	s_and_not1_b32 vcc_lo, exec_lo, s36
	s_cbranch_vccnz .LBB15_8
; %bb.3:
	s_and_not1_b32 vcc_lo, exec_lo, s43
	s_cbranch_vccnz .LBB15_9
; %bb.4:
	s_add_co_i32 s0, s42, 1
	s_cmp_eq_u32 s34, 2
	s_cbranch_scc1 .LBB15_10
; %bb.5:
	v_dual_mov_b32 v2, 0 :: v_dual_mov_b32 v4, 0
	v_mov_b32_e32 v1, v0
	s_and_b32 s26, s0, 28
	s_mov_b32 s27, 0
	s_mov_b64 s[28:29], s[2:3]
	s_mov_b64 s[30:31], s[24:25]
.LBB15_6:                               ; =>This Inner Loop Header: Depth=1
	s_clause 0x1
	s_load_b256 s[48:55], s[28:29], 0x4
	s_load_b128 s[64:67], s[28:29], 0x24
	s_load_b256 s[56:63], s[30:31], 0x0
	s_add_co_i32 s27, s27, 4
	s_wait_xcnt 0x0
	s_add_nc_u64 s[28:29], s[28:29], 48
	s_cmp_lg_u32 s26, s27
	s_add_nc_u64 s[30:31], s[30:31], 32
	s_wait_kmcnt 0x0
	v_mul_hi_u32 v3, s49, v1
	s_delay_alu instid0(VALU_DEP_1) | instskip(NEXT) | instid1(VALU_DEP_1)
	v_add_nc_u32_e32 v3, v1, v3
	v_lshrrev_b32_e32 v3, s50, v3
	s_delay_alu instid0(VALU_DEP_1) | instskip(NEXT) | instid1(VALU_DEP_1)
	v_mul_hi_u32 v5, s52, v3
	v_add_nc_u32_e32 v5, v3, v5
	s_delay_alu instid0(VALU_DEP_1) | instskip(NEXT) | instid1(VALU_DEP_1)
	v_lshrrev_b32_e32 v5, s53, v5
	v_mul_hi_u32 v6, s55, v5
	s_delay_alu instid0(VALU_DEP_1) | instskip(SKIP_1) | instid1(VALU_DEP_1)
	v_add_nc_u32_e32 v6, v5, v6
	v_mul_lo_u32 v7, v3, s48
	v_sub_nc_u32_e32 v1, v1, v7
	v_mul_lo_u32 v7, v5, s51
	s_delay_alu instid0(VALU_DEP_4) | instskip(NEXT) | instid1(VALU_DEP_3)
	v_lshrrev_b32_e32 v6, s64, v6
	v_mad_u32 v4, v1, s57, v4
	v_mad_u32 v1, v1, s56, v2
	s_delay_alu instid0(VALU_DEP_4) | instskip(NEXT) | instid1(VALU_DEP_4)
	v_sub_nc_u32_e32 v2, v3, v7
	v_mul_hi_u32 v8, s66, v6
	v_mul_lo_u32 v3, v6, s54
	s_delay_alu instid0(VALU_DEP_3) | instskip(SKIP_1) | instid1(VALU_DEP_3)
	v_mad_u32 v4, v2, s59, v4
	v_mad_u32 v2, v2, s58, v1
	v_dual_add_nc_u32 v7, v6, v8 :: v_dual_sub_nc_u32 v3, v5, v3
	s_delay_alu instid0(VALU_DEP_1) | instskip(NEXT) | instid1(VALU_DEP_2)
	v_lshrrev_b32_e32 v1, s67, v7
	v_mad_u32 v4, v3, s61, v4
	s_delay_alu instid0(VALU_DEP_4) | instskip(NEXT) | instid1(VALU_DEP_3)
	v_mad_u32 v2, v3, s60, v2
	v_mul_lo_u32 v5, v1, s65
	s_delay_alu instid0(VALU_DEP_1) | instskip(NEXT) | instid1(VALU_DEP_1)
	v_sub_nc_u32_e32 v3, v6, v5
	v_mad_u32 v4, v3, s63, v4
	s_delay_alu instid0(VALU_DEP_4)
	v_mad_u32 v2, v3, s62, v2
	s_cbranch_scc1 .LBB15_6
; %bb.7:
	s_delay_alu instid0(VALU_DEP_2)
	v_mov_b32_e32 v3, v4
	s_and_b32 s0, s0, 3
	s_mov_b32 s27, 0
	s_cmp_eq_u32 s0, 0
	s_cbranch_scc0 .LBB15_11
	s_branch .LBB15_14
.LBB15_8:
                                        ; implicit-def: $vgpr4
                                        ; implicit-def: $vgpr2
	s_branch .LBB15_15
.LBB15_9:
	v_dual_mov_b32 v4, 0 :: v_dual_mov_b32 v2, 0
	s_branch .LBB15_14
.LBB15_10:
	v_mov_b64_e32 v[2:3], 0
	v_mov_b32_e32 v1, v0
	s_mov_b32 s26, 0
                                        ; implicit-def: $vgpr4
	s_and_b32 s0, s0, 3
	s_mov_b32 s27, 0
	s_cmp_eq_u32 s0, 0
	s_cbranch_scc1 .LBB15_14
.LBB15_11:
	s_lshl_b32 s28, s26, 3
	s_mov_b32 s29, s27
	s_mul_u64 s[30:31], s[26:27], 12
	s_add_nc_u64 s[28:29], s[2:3], s[28:29]
	s_delay_alu instid0(SALU_CYCLE_1)
	s_add_nc_u64 s[26:27], s[28:29], 0xc4
	s_add_nc_u64 s[28:29], s[2:3], s[30:31]
.LBB15_12:                              ; =>This Inner Loop Header: Depth=1
	s_load_b96 s[44:46], s[28:29], 0x4
	s_load_b64 s[30:31], s[26:27], 0x0
	s_add_co_i32 s0, s0, -1
	s_wait_xcnt 0x0
	s_add_nc_u64 s[28:29], s[28:29], 12
	s_cmp_lg_u32 s0, 0
	s_add_nc_u64 s[26:27], s[26:27], 8
	s_wait_kmcnt 0x0
	v_mul_hi_u32 v4, s45, v1
	s_delay_alu instid0(VALU_DEP_1) | instskip(NEXT) | instid1(VALU_DEP_1)
	v_add_nc_u32_e32 v4, v1, v4
	v_lshrrev_b32_e32 v4, s46, v4
	s_delay_alu instid0(VALU_DEP_1) | instskip(NEXT) | instid1(VALU_DEP_1)
	v_mul_lo_u32 v5, v4, s44
	v_sub_nc_u32_e32 v1, v1, v5
	s_delay_alu instid0(VALU_DEP_1)
	v_mad_u32 v3, v1, s31, v3
	v_mad_u32 v2, v1, s30, v2
	v_mov_b32_e32 v1, v4
	s_cbranch_scc1 .LBB15_12
; %bb.13:
	s_delay_alu instid0(VALU_DEP_3)
	v_mov_b32_e32 v4, v3
.LBB15_14:
	s_cbranch_execnz .LBB15_17
.LBB15_15:
	v_mov_b32_e32 v1, 0
	s_and_not1_b32 vcc_lo, exec_lo, s40
	s_delay_alu instid0(VALU_DEP_1) | instskip(NEXT) | instid1(VALU_DEP_1)
	v_mul_u64_e32 v[2:3], s[20:21], v[0:1]
	v_add_nc_u32_e32 v2, v0, v3
	s_delay_alu instid0(VALU_DEP_1) | instskip(NEXT) | instid1(VALU_DEP_1)
	v_lshrrev_b32_e32 v6, s14, v2
	v_mul_lo_u32 v2, v6, s12
	s_delay_alu instid0(VALU_DEP_1) | instskip(NEXT) | instid1(VALU_DEP_1)
	v_sub_nc_u32_e32 v2, v0, v2
	v_mul_lo_u32 v4, v2, s17
	v_mul_lo_u32 v2, v2, s16
	s_cbranch_vccnz .LBB15_17
; %bb.16:
	v_mov_b32_e32 v7, v1
	s_delay_alu instid0(VALU_DEP_1) | instskip(NEXT) | instid1(VALU_DEP_1)
	v_mul_u64_e32 v[8:9], s[22:23], v[6:7]
	v_add_nc_u32_e32 v1, v6, v9
	s_delay_alu instid0(VALU_DEP_1) | instskip(NEXT) | instid1(VALU_DEP_1)
	v_lshrrev_b32_e32 v1, s1, v1
	v_mul_lo_u32 v1, v1, s15
	s_delay_alu instid0(VALU_DEP_1) | instskip(NEXT) | instid1(VALU_DEP_1)
	v_sub_nc_u32_e32 v1, v6, v1
	v_mad_u32 v2, v1, s18, v2
	v_mad_u32 v4, v1, s19, v4
.LBB15_17:
	v_mov_b32_e32 v5, 0
	s_and_b32 s0, 0xffff, s39
	s_delay_alu instid0(SALU_CYCLE_1) | instskip(NEXT) | instid1(VALU_DEP_1)
	s_cmp_lt_i32 s0, 11
	v_add_nc_u64_e32 v[4:5], s[6:7], v[4:5]
	s_cbranch_scc1 .LBB15_24
; %bb.18:
	s_cmp_gt_i32 s0, 25
	s_cbranch_scc0 .LBB15_34
; %bb.19:
	s_cmp_gt_i32 s0, 28
	s_cbranch_scc0 .LBB15_38
	;; [unrolled: 3-line block ×4, first 2 shown]
; %bb.22:
	s_cmp_eq_u32 s0, 46
	s_mov_b32 s28, 0
	s_cbranch_scc0 .LBB15_44
; %bb.23:
	global_load_b32 v1, v[4:5], off
	s_mov_b32 s27, -1
	s_mov_b32 s26, 0
	s_wait_loadcnt 0x0
	v_lshlrev_b32_e32 v1, 16, v1
	s_delay_alu instid0(VALU_DEP_1) | instskip(NEXT) | instid1(VALU_DEP_1)
	v_trunc_f32_e32 v1, v1
	v_mul_f32_e64 v3, 0x2f800000, |v1|
	v_ashrrev_i32_e32 v6, 31, v1
	s_delay_alu instid0(VALU_DEP_2) | instskip(NEXT) | instid1(VALU_DEP_1)
	v_floor_f32_e32 v3, v3
	v_fma_f32 v7, 0xcf800000, v3, |v1|
	v_cvt_u32_f32_e32 v1, v3
	s_delay_alu instid0(VALU_DEP_2) | instskip(NEXT) | instid1(VALU_DEP_2)
	v_cvt_u32_f32_e32 v3, v7
	v_dual_mov_b32 v7, v6 :: v_dual_bitop2_b32 v9, v1, v6 bitop3:0x14
	s_delay_alu instid0(VALU_DEP_2) | instskip(NEXT) | instid1(VALU_DEP_1)
	v_xor_b32_e32 v8, v3, v6
	v_sub_nc_u64_e32 v[6:7], v[8:9], v[6:7]
	s_branch .LBB15_46
.LBB15_24:
	s_mov_b32 s26, 0
	s_mov_b32 s27, 0
                                        ; implicit-def: $vgpr6_vgpr7
	s_cbranch_execnz .LBB15_106
.LBB15_25:
	s_and_not1_b32 vcc_lo, exec_lo, s27
	s_cbranch_vccnz .LBB15_153
.LBB15_26:
	s_wait_loadcnt 0x0
	s_delay_alu instid0(VALU_DEP_1)
	v_cmp_le_i64_e32 vcc_lo, s[8:9], v[6:7]
	v_cmp_gt_i64_e64 s0, s[10:11], v[6:7]
	s_mov_b32 s28, -1
	s_mov_b32 s27, 0
	s_mov_b32 s29, 0
	s_and_b32 s0, vcc_lo, s0
	s_delay_alu instid0(SALU_CYCLE_1) | instskip(NEXT) | instid1(SALU_CYCLE_1)
	s_and_b32 s30, s13, s0
	s_and_saveexec_b32 s0, s30
	s_cbranch_execz .LBB15_234
; %bb.27:
	v_mov_b32_e32 v3, 0
	s_and_b32 s28, s38, 0xff
	s_delay_alu instid0(SALU_CYCLE_1) | instskip(NEXT) | instid1(VALU_DEP_1)
	s_cmp_lt_i32 s28, 11
	v_add_nc_u64_e32 v[2:3], s[4:5], v[2:3]
	s_cbranch_scc1 .LBB15_35
; %bb.28:
	s_and_b32 s29, 0xffff, s28
	s_delay_alu instid0(SALU_CYCLE_1)
	s_cmp_gt_i32 s29, 25
	s_cbranch_scc0 .LBB15_39
; %bb.29:
	s_cmp_gt_i32 s29, 28
	s_cbranch_scc0 .LBB15_41
; %bb.30:
	;; [unrolled: 3-line block ×4, first 2 shown]
	s_mov_b32 s31, 0
	s_mov_b32 s27, -1
	s_cmp_eq_u32 s29, 46
	s_mov_b32 s30, 0
	s_cbranch_scc0 .LBB15_155
; %bb.33:
	v_mov_b32_e32 v1, 0
	s_mov_b32 s30, -1
	s_mov_b32 s27, 0
	global_store_b32 v[2:3], v1, off
	s_branch .LBB15_155
.LBB15_34:
	s_mov_b32 s26, 0
	s_mov_b32 s27, 0
                                        ; implicit-def: $vgpr6_vgpr7
	s_cbranch_execnz .LBB15_73
	s_branch .LBB15_105
.LBB15_35:
	s_mov_b32 s30, 0
	s_cbranch_execnz .LBB15_194
.LBB15_36:
	s_and_not1_b32 vcc_lo, exec_lo, s30
	s_cbranch_vccnz .LBB15_232
.LBB15_37:
	v_add_nc_u32_e32 v0, 0x80, v0
	s_mov_b32 s30, -1
	s_branch .LBB15_233
.LBB15_38:
	s_mov_b32 s28, -1
	s_mov_b32 s26, 0
	s_mov_b32 s27, 0
                                        ; implicit-def: $vgpr6_vgpr7
	s_branch .LBB15_56
.LBB15_39:
	s_mov_b32 s31, -1
	s_mov_b32 s30, 0
	s_branch .LBB15_174
.LBB15_40:
	s_mov_b32 s28, -1
	s_mov_b32 s26, 0
	s_mov_b32 s27, 0
                                        ; implicit-def: $vgpr6_vgpr7
	s_branch .LBB15_51
.LBB15_41:
	s_mov_b32 s31, -1
	s_mov_b32 s30, 0
	s_branch .LBB15_163
.LBB15_42:
	s_mov_b32 s28, -1
	s_mov_b32 s26, 0
	s_branch .LBB15_45
.LBB15_43:
	s_mov_b32 s31, -1
	s_mov_b32 s30, 0
	s_branch .LBB15_159
.LBB15_44:
	s_mov_b32 s26, -1
.LBB15_45:
	s_mov_b32 s27, 0
                                        ; implicit-def: $vgpr6_vgpr7
.LBB15_46:
	s_and_b32 vcc_lo, exec_lo, s28
	s_cbranch_vccz .LBB15_50
; %bb.47:
	s_cmp_eq_u32 s0, 44
	s_cbranch_scc0 .LBB15_49
; %bb.48:
	global_load_u8 v1, v[4:5], off
	s_mov_b32 s26, 0
	s_mov_b32 s27, -1
	s_wait_loadcnt 0x0
	v_lshlrev_b32_e32 v3, 23, v1
	v_cmp_ne_u32_e32 vcc_lo, 0, v1
	s_delay_alu instid0(VALU_DEP_2) | instskip(NEXT) | instid1(VALU_DEP_1)
	v_trunc_f32_e32 v3, v3
	v_mul_f32_e64 v6, 0x2f800000, |v3|
	s_delay_alu instid0(VALU_DEP_1) | instskip(SKIP_1) | instid1(VALU_DEP_2)
	v_floor_f32_e32 v7, v6
	v_ashrrev_i32_e32 v6, 31, v3
	v_fma_f32 v8, 0xcf800000, v7, |v3|
	v_cvt_u32_f32_e32 v3, v7
	s_delay_alu instid0(VALU_DEP_3) | instskip(NEXT) | instid1(VALU_DEP_3)
	v_mov_b32_e32 v7, v6
	v_cvt_u32_f32_e32 v8, v8
	s_delay_alu instid0(VALU_DEP_3) | instskip(NEXT) | instid1(VALU_DEP_2)
	v_xor_b32_e32 v9, v3, v6
	v_xor_b32_e32 v8, v8, v6
	s_delay_alu instid0(VALU_DEP_1) | instskip(NEXT) | instid1(VALU_DEP_1)
	v_sub_nc_u64_e32 v[6:7], v[8:9], v[6:7]
	v_dual_cndmask_b32 v7, 0, v7 :: v_dual_cndmask_b32 v6, 0, v6
	s_branch .LBB15_50
.LBB15_49:
	s_mov_b32 s26, -1
                                        ; implicit-def: $vgpr6_vgpr7
.LBB15_50:
	s_mov_b32 s28, 0
.LBB15_51:
	s_delay_alu instid0(SALU_CYCLE_1)
	s_and_b32 vcc_lo, exec_lo, s28
	s_cbranch_vccz .LBB15_55
; %bb.52:
	s_cmp_eq_u32 s0, 29
	s_cbranch_scc0 .LBB15_54
; %bb.53:
	global_load_b64 v[6:7], v[4:5], off
	s_mov_b32 s27, -1
	s_mov_b32 s26, 0
	s_branch .LBB15_55
.LBB15_54:
	s_mov_b32 s26, -1
                                        ; implicit-def: $vgpr6_vgpr7
.LBB15_55:
	s_mov_b32 s28, 0
.LBB15_56:
	s_delay_alu instid0(SALU_CYCLE_1)
	s_and_b32 vcc_lo, exec_lo, s28
	s_cbranch_vccz .LBB15_72
; %bb.57:
	s_cmp_lt_i32 s0, 27
	s_cbranch_scc1 .LBB15_60
; %bb.58:
	s_cmp_gt_i32 s0, 27
	s_cbranch_scc0 .LBB15_61
; %bb.59:
	s_wait_loadcnt 0x0
	global_load_b32 v6, v[4:5], off
	v_mov_b32_e32 v7, 0
	s_mov_b32 s27, 0
	s_branch .LBB15_62
.LBB15_60:
	s_mov_b32 s27, -1
                                        ; implicit-def: $vgpr6_vgpr7
	s_branch .LBB15_65
.LBB15_61:
	s_mov_b32 s27, -1
                                        ; implicit-def: $vgpr6_vgpr7
.LBB15_62:
	s_delay_alu instid0(SALU_CYCLE_1)
	s_and_not1_b32 vcc_lo, exec_lo, s27
	s_cbranch_vccnz .LBB15_64
; %bb.63:
	global_load_u16 v1, v[4:5], off
	s_mov_b32 s27, 0
	s_wait_loadcnt 0x1
	v_mov_b32_e32 v7, s27
	s_wait_loadcnt 0x0
	v_and_b32_e32 v6, 0xffff, v1
.LBB15_64:
	s_mov_b32 s27, 0
.LBB15_65:
	s_delay_alu instid0(SALU_CYCLE_1)
	s_and_not1_b32 vcc_lo, exec_lo, s27
	s_cbranch_vccnz .LBB15_71
; %bb.66:
	global_load_u8 v1, v[4:5], off
	s_mov_b32 s28, 0
	s_mov_b32 s27, exec_lo
	s_wait_loadcnt 0x0
	v_cmpx_lt_i16_e32 0x7f, v1
	s_xor_b32 s27, exec_lo, s27
	s_cbranch_execz .LBB15_82
; %bb.67:
	v_cmp_ne_u16_e32 vcc_lo, 0x80, v1
	s_and_b32 s28, vcc_lo, exec_lo
	s_and_not1_saveexec_b32 s27, s27
	s_cbranch_execnz .LBB15_83
.LBB15_68:
	s_or_b32 exec_lo, exec_lo, s27
	v_mov_b64_e32 v[6:7], 0
	s_and_saveexec_b32 s27, s28
	s_cbranch_execz .LBB15_70
.LBB15_69:
	v_and_b32_e32 v3, 0xffff, v1
	s_delay_alu instid0(VALU_DEP_1) | instskip(SKIP_1) | instid1(VALU_DEP_2)
	v_dual_lshlrev_b32 v1, 24, v1 :: v_dual_bitop2_b32 v6, 7, v3 bitop3:0x40
	v_bfe_u32 v9, v3, 3, 4
	v_and_b32_e32 v1, 0x80000000, v1
	s_delay_alu instid0(VALU_DEP_3) | instskip(NEXT) | instid1(VALU_DEP_3)
	v_clz_i32_u32_e32 v7, v6
	v_cmp_eq_u32_e32 vcc_lo, 0, v9
	s_delay_alu instid0(VALU_DEP_2) | instskip(NEXT) | instid1(VALU_DEP_1)
	v_min_u32_e32 v7, 32, v7
	v_subrev_nc_u32_e32 v8, 28, v7
	v_sub_nc_u32_e32 v7, 29, v7
	s_delay_alu instid0(VALU_DEP_2) | instskip(NEXT) | instid1(VALU_DEP_2)
	v_lshlrev_b32_e32 v3, v8, v3
	v_cndmask_b32_e32 v7, v9, v7, vcc_lo
	s_delay_alu instid0(VALU_DEP_2) | instskip(NEXT) | instid1(VALU_DEP_1)
	v_and_b32_e32 v3, 7, v3
	v_cndmask_b32_e32 v3, v6, v3, vcc_lo
	s_delay_alu instid0(VALU_DEP_3) | instskip(NEXT) | instid1(VALU_DEP_2)
	v_lshl_add_u32 v6, v7, 23, 0x3b800000
	v_lshlrev_b32_e32 v3, 20, v3
	s_delay_alu instid0(VALU_DEP_1) | instskip(NEXT) | instid1(VALU_DEP_1)
	v_or3_b32 v1, v1, v6, v3
	v_trunc_f32_e32 v1, v1
	s_delay_alu instid0(VALU_DEP_1) | instskip(SKIP_1) | instid1(VALU_DEP_2)
	v_mul_f32_e64 v3, 0x2f800000, |v1|
	v_ashrrev_i32_e32 v6, 31, v1
	v_floor_f32_e32 v3, v3
	s_delay_alu instid0(VALU_DEP_1) | instskip(SKIP_1) | instid1(VALU_DEP_2)
	v_fma_f32 v7, 0xcf800000, v3, |v1|
	v_cvt_u32_f32_e32 v1, v3
	v_cvt_u32_f32_e32 v3, v7
	s_delay_alu instid0(VALU_DEP_2) | instskip(NEXT) | instid1(VALU_DEP_2)
	v_dual_mov_b32 v7, v6 :: v_dual_bitop2_b32 v9, v1, v6 bitop3:0x14
	v_xor_b32_e32 v8, v3, v6
	s_delay_alu instid0(VALU_DEP_1)
	v_sub_nc_u64_e32 v[6:7], v[8:9], v[6:7]
.LBB15_70:
	s_or_b32 exec_lo, exec_lo, s27
.LBB15_71:
	s_mov_b32 s27, -1
.LBB15_72:
	s_branch .LBB15_105
.LBB15_73:
	s_cmp_gt_i32 s0, 22
	s_cbranch_scc0 .LBB15_81
; %bb.74:
	s_cmp_lt_i32 s0, 24
	s_cbranch_scc1 .LBB15_84
; %bb.75:
	s_cmp_gt_i32 s0, 24
	s_cbranch_scc0 .LBB15_85
; %bb.76:
	global_load_u8 v1, v[4:5], off
	s_mov_b32 s28, 0
	s_mov_b32 s27, exec_lo
	s_wait_loadcnt 0x0
	v_cmpx_lt_i16_e32 0x7f, v1
	s_xor_b32 s27, exec_lo, s27
	s_cbranch_execz .LBB15_97
; %bb.77:
	v_cmp_ne_u16_e32 vcc_lo, 0x80, v1
	s_and_b32 s28, vcc_lo, exec_lo
	s_and_not1_saveexec_b32 s27, s27
	s_cbranch_execnz .LBB15_98
.LBB15_78:
	s_or_b32 exec_lo, exec_lo, s27
	v_mov_b64_e32 v[6:7], 0
	s_and_saveexec_b32 s27, s28
	s_cbranch_execz .LBB15_80
.LBB15_79:
	v_and_b32_e32 v3, 0xffff, v1
	s_delay_alu instid0(VALU_DEP_1) | instskip(SKIP_1) | instid1(VALU_DEP_2)
	v_dual_lshlrev_b32 v1, 24, v1 :: v_dual_bitop2_b32 v6, 3, v3 bitop3:0x40
	v_bfe_u32 v9, v3, 2, 5
	v_and_b32_e32 v1, 0x80000000, v1
	s_delay_alu instid0(VALU_DEP_3) | instskip(NEXT) | instid1(VALU_DEP_3)
	v_clz_i32_u32_e32 v7, v6
	v_cmp_eq_u32_e32 vcc_lo, 0, v9
	s_delay_alu instid0(VALU_DEP_2) | instskip(NEXT) | instid1(VALU_DEP_1)
	v_min_u32_e32 v7, 32, v7
	v_subrev_nc_u32_e32 v8, 29, v7
	v_sub_nc_u32_e32 v7, 30, v7
	s_delay_alu instid0(VALU_DEP_2) | instskip(NEXT) | instid1(VALU_DEP_2)
	v_lshlrev_b32_e32 v3, v8, v3
	v_cndmask_b32_e32 v7, v9, v7, vcc_lo
	s_delay_alu instid0(VALU_DEP_2) | instskip(NEXT) | instid1(VALU_DEP_1)
	v_and_b32_e32 v3, 3, v3
	v_cndmask_b32_e32 v3, v6, v3, vcc_lo
	s_delay_alu instid0(VALU_DEP_3) | instskip(NEXT) | instid1(VALU_DEP_2)
	v_lshl_add_u32 v6, v7, 23, 0x37800000
	v_lshlrev_b32_e32 v3, 21, v3
	s_delay_alu instid0(VALU_DEP_1) | instskip(NEXT) | instid1(VALU_DEP_1)
	v_or3_b32 v1, v1, v6, v3
	v_trunc_f32_e32 v1, v1
	s_delay_alu instid0(VALU_DEP_1) | instskip(SKIP_1) | instid1(VALU_DEP_2)
	v_mul_f32_e64 v3, 0x2f800000, |v1|
	v_ashrrev_i32_e32 v6, 31, v1
	v_floor_f32_e32 v3, v3
	s_delay_alu instid0(VALU_DEP_1) | instskip(SKIP_1) | instid1(VALU_DEP_2)
	v_fma_f32 v7, 0xcf800000, v3, |v1|
	v_cvt_u32_f32_e32 v1, v3
	v_cvt_u32_f32_e32 v3, v7
	s_delay_alu instid0(VALU_DEP_2) | instskip(NEXT) | instid1(VALU_DEP_2)
	v_dual_mov_b32 v7, v6 :: v_dual_bitop2_b32 v9, v1, v6 bitop3:0x14
	v_xor_b32_e32 v8, v3, v6
	s_delay_alu instid0(VALU_DEP_1)
	v_sub_nc_u64_e32 v[6:7], v[8:9], v[6:7]
.LBB15_80:
	s_or_b32 exec_lo, exec_lo, s27
	s_mov_b32 s27, 0
	s_branch .LBB15_86
.LBB15_81:
	s_mov_b32 s28, -1
                                        ; implicit-def: $vgpr6_vgpr7
	s_branch .LBB15_92
.LBB15_82:
	s_and_not1_saveexec_b32 s27, s27
	s_cbranch_execz .LBB15_68
.LBB15_83:
	v_cmp_ne_u16_e32 vcc_lo, 0, v1
	s_and_not1_b32 s28, s28, exec_lo
	s_and_b32 s29, vcc_lo, exec_lo
	s_delay_alu instid0(SALU_CYCLE_1)
	s_or_b32 s28, s28, s29
	s_or_b32 exec_lo, exec_lo, s27
	v_mov_b64_e32 v[6:7], 0
	s_and_saveexec_b32 s27, s28
	s_cbranch_execnz .LBB15_69
	s_branch .LBB15_70
.LBB15_84:
	s_mov_b32 s27, -1
                                        ; implicit-def: $vgpr6_vgpr7
	s_branch .LBB15_89
.LBB15_85:
	s_mov_b32 s27, -1
                                        ; implicit-def: $vgpr6_vgpr7
.LBB15_86:
	s_delay_alu instid0(SALU_CYCLE_1)
	s_and_b32 vcc_lo, exec_lo, s27
	s_cbranch_vccz .LBB15_88
; %bb.87:
	global_load_u8 v1, v[4:5], off
	s_wait_loadcnt 0x0
	v_lshlrev_b32_e32 v1, 24, v1
	s_delay_alu instid0(VALU_DEP_1) | instskip(NEXT) | instid1(VALU_DEP_1)
	v_and_b32_e32 v3, 0x7f000000, v1
	v_clz_i32_u32_e32 v6, v3
	v_cmp_ne_u32_e32 vcc_lo, 0, v3
	v_add_nc_u32_e32 v8, 0x1000000, v3
	s_delay_alu instid0(VALU_DEP_3) | instskip(NEXT) | instid1(VALU_DEP_1)
	v_min_u32_e32 v6, 32, v6
	v_sub_nc_u32_e64 v6, v6, 4 clamp
	s_delay_alu instid0(VALU_DEP_1) | instskip(NEXT) | instid1(VALU_DEP_1)
	v_dual_lshlrev_b32 v7, v6, v3 :: v_dual_lshlrev_b32 v6, 23, v6
	v_lshrrev_b32_e32 v7, 4, v7
	s_delay_alu instid0(VALU_DEP_1) | instskip(NEXT) | instid1(VALU_DEP_1)
	v_dual_sub_nc_u32 v6, v7, v6 :: v_dual_ashrrev_i32 v7, 8, v8
	v_add_nc_u32_e32 v6, 0x3c000000, v6
	s_delay_alu instid0(VALU_DEP_1) | instskip(NEXT) | instid1(VALU_DEP_1)
	v_and_or_b32 v6, 0x7f800000, v7, v6
	v_cndmask_b32_e32 v3, 0, v6, vcc_lo
	s_delay_alu instid0(VALU_DEP_1) | instskip(NEXT) | instid1(VALU_DEP_1)
	v_and_or_b32 v1, 0x80000000, v1, v3
	v_trunc_f32_e32 v1, v1
	s_delay_alu instid0(VALU_DEP_1) | instskip(SKIP_1) | instid1(VALU_DEP_2)
	v_mul_f32_e64 v3, 0x2f800000, |v1|
	v_ashrrev_i32_e32 v6, 31, v1
	v_floor_f32_e32 v3, v3
	s_delay_alu instid0(VALU_DEP_1) | instskip(SKIP_1) | instid1(VALU_DEP_2)
	v_fma_f32 v7, 0xcf800000, v3, |v1|
	v_cvt_u32_f32_e32 v1, v3
	v_cvt_u32_f32_e32 v3, v7
	s_delay_alu instid0(VALU_DEP_2) | instskip(NEXT) | instid1(VALU_DEP_2)
	v_dual_mov_b32 v7, v6 :: v_dual_bitop2_b32 v9, v1, v6 bitop3:0x14
	v_xor_b32_e32 v8, v3, v6
	s_delay_alu instid0(VALU_DEP_1)
	v_sub_nc_u64_e32 v[6:7], v[8:9], v[6:7]
.LBB15_88:
	s_mov_b32 s27, 0
.LBB15_89:
	s_delay_alu instid0(SALU_CYCLE_1)
	s_and_not1_b32 vcc_lo, exec_lo, s27
	s_cbranch_vccnz .LBB15_91
; %bb.90:
	global_load_u8 v1, v[4:5], off
	s_wait_loadcnt 0x0
	v_lshlrev_b32_e32 v3, 25, v1
	v_lshlrev_b16 v1, 8, v1
	s_delay_alu instid0(VALU_DEP_1) | instskip(SKIP_1) | instid1(VALU_DEP_2)
	v_and_or_b32 v7, 0x7f00, v1, 0.5
	v_bfe_i32 v1, v1, 0, 16
	v_add_f32_e32 v7, -0.5, v7
	v_lshrrev_b32_e32 v6, 4, v3
	v_cmp_gt_u32_e32 vcc_lo, 0x8000000, v3
	s_delay_alu instid0(VALU_DEP_2) | instskip(NEXT) | instid1(VALU_DEP_1)
	v_or_b32_e32 v6, 0x70000000, v6
	v_mul_f32_e32 v6, 0x7800000, v6
	s_delay_alu instid0(VALU_DEP_1) | instskip(NEXT) | instid1(VALU_DEP_1)
	v_cndmask_b32_e32 v3, v6, v7, vcc_lo
	v_and_or_b32 v1, 0x80000000, v1, v3
	s_delay_alu instid0(VALU_DEP_1) | instskip(NEXT) | instid1(VALU_DEP_1)
	v_trunc_f32_e32 v1, v1
	v_mul_f32_e64 v3, 0x2f800000, |v1|
	v_ashrrev_i32_e32 v6, 31, v1
	s_delay_alu instid0(VALU_DEP_2) | instskip(NEXT) | instid1(VALU_DEP_1)
	v_floor_f32_e32 v3, v3
	v_fma_f32 v7, 0xcf800000, v3, |v1|
	v_cvt_u32_f32_e32 v1, v3
	s_delay_alu instid0(VALU_DEP_2) | instskip(NEXT) | instid1(VALU_DEP_2)
	v_cvt_u32_f32_e32 v3, v7
	v_dual_mov_b32 v7, v6 :: v_dual_bitop2_b32 v9, v1, v6 bitop3:0x14
	s_delay_alu instid0(VALU_DEP_2) | instskip(NEXT) | instid1(VALU_DEP_1)
	v_xor_b32_e32 v8, v3, v6
	v_sub_nc_u64_e32 v[6:7], v[8:9], v[6:7]
.LBB15_91:
	s_mov_b32 s28, 0
	s_mov_b32 s27, -1
.LBB15_92:
	s_and_not1_b32 vcc_lo, exec_lo, s28
	s_cbranch_vccnz .LBB15_105
; %bb.93:
	s_cmp_gt_i32 s0, 14
	s_cbranch_scc0 .LBB15_96
; %bb.94:
	s_cmp_eq_u32 s0, 15
	s_cbranch_scc0 .LBB15_99
; %bb.95:
	global_load_u16 v1, v[4:5], off
	s_mov_b32 s27, -1
	s_mov_b32 s26, 0
	s_wait_loadcnt 0x0
	v_lshlrev_b32_e32 v1, 16, v1
	s_delay_alu instid0(VALU_DEP_1) | instskip(NEXT) | instid1(VALU_DEP_1)
	v_trunc_f32_e32 v1, v1
	v_mul_f32_e64 v3, 0x2f800000, |v1|
	v_ashrrev_i32_e32 v6, 31, v1
	s_delay_alu instid0(VALU_DEP_2) | instskip(NEXT) | instid1(VALU_DEP_1)
	v_floor_f32_e32 v3, v3
	v_fma_f32 v7, 0xcf800000, v3, |v1|
	v_cvt_u32_f32_e32 v1, v3
	s_delay_alu instid0(VALU_DEP_2) | instskip(NEXT) | instid1(VALU_DEP_2)
	v_cvt_u32_f32_e32 v3, v7
	v_dual_mov_b32 v7, v6 :: v_dual_bitop2_b32 v9, v1, v6 bitop3:0x14
	s_delay_alu instid0(VALU_DEP_2) | instskip(NEXT) | instid1(VALU_DEP_1)
	v_xor_b32_e32 v8, v3, v6
	v_sub_nc_u64_e32 v[6:7], v[8:9], v[6:7]
	s_branch .LBB15_100
.LBB15_96:
	s_mov_b32 s28, -1
                                        ; implicit-def: $vgpr6_vgpr7
	s_branch .LBB15_101
.LBB15_97:
	s_and_not1_saveexec_b32 s27, s27
	s_cbranch_execz .LBB15_78
.LBB15_98:
	v_cmp_ne_u16_e32 vcc_lo, 0, v1
	s_and_not1_b32 s28, s28, exec_lo
	s_and_b32 s29, vcc_lo, exec_lo
	s_delay_alu instid0(SALU_CYCLE_1)
	s_or_b32 s28, s28, s29
	s_or_b32 exec_lo, exec_lo, s27
	v_mov_b64_e32 v[6:7], 0
	s_and_saveexec_b32 s27, s28
	s_cbranch_execnz .LBB15_79
	s_branch .LBB15_80
.LBB15_99:
	s_mov_b32 s26, -1
                                        ; implicit-def: $vgpr6_vgpr7
.LBB15_100:
	s_mov_b32 s28, 0
.LBB15_101:
	s_delay_alu instid0(SALU_CYCLE_1)
	s_and_b32 vcc_lo, exec_lo, s28
	s_cbranch_vccz .LBB15_105
; %bb.102:
	s_cmp_eq_u32 s0, 11
	s_cbranch_scc0 .LBB15_104
; %bb.103:
	global_load_u8 v1, v[4:5], off
	s_mov_b32 s26, 0
	s_mov_b32 s27, -1
	s_wait_loadcnt 0x1
	v_mov_b32_e32 v7, s26
	s_wait_loadcnt 0x0
	v_cmp_ne_u16_e32 vcc_lo, 0, v1
	v_cndmask_b32_e64 v6, 0, 1, vcc_lo
	s_branch .LBB15_105
.LBB15_104:
	s_mov_b32 s26, -1
                                        ; implicit-def: $vgpr6_vgpr7
.LBB15_105:
	s_branch .LBB15_25
.LBB15_106:
	s_cmp_lt_i32 s0, 5
	s_cbranch_scc1 .LBB15_111
; %bb.107:
	s_cmp_lt_i32 s0, 8
	s_cbranch_scc1 .LBB15_112
; %bb.108:
	;; [unrolled: 3-line block ×3, first 2 shown]
	s_cmp_gt_i32 s0, 9
	s_cbranch_scc0 .LBB15_114
; %bb.110:
	s_wait_loadcnt 0x0
	global_load_b64 v[6:7], v[4:5], off
	s_mov_b32 s27, 0
	s_wait_loadcnt 0x0
	v_trunc_f64_e32 v[6:7], v[6:7]
	s_delay_alu instid0(VALU_DEP_1) | instskip(NEXT) | instid1(VALU_DEP_1)
	v_ldexp_f64 v[8:9], v[6:7], 0xffffffe0
	v_floor_f64_e32 v[8:9], v[8:9]
	s_delay_alu instid0(VALU_DEP_1) | instskip(SKIP_1) | instid1(VALU_DEP_2)
	v_fmamk_f64 v[10:11], v[8:9], 0xc1f00000, v[6:7]
	v_cvt_i32_f64_e32 v7, v[8:9]
	v_cvt_u32_f64_e32 v6, v[10:11]
	s_branch .LBB15_115
.LBB15_111:
                                        ; implicit-def: $vgpr6_vgpr7
	s_branch .LBB15_133
.LBB15_112:
	s_mov_b32 s27, -1
                                        ; implicit-def: $vgpr6_vgpr7
	s_branch .LBB15_121
.LBB15_113:
	s_mov_b32 s27, -1
                                        ; implicit-def: $vgpr6_vgpr7
	s_branch .LBB15_118
.LBB15_114:
	s_mov_b32 s27, -1
                                        ; implicit-def: $vgpr6_vgpr7
.LBB15_115:
	s_delay_alu instid0(SALU_CYCLE_1)
	s_and_not1_b32 vcc_lo, exec_lo, s27
	s_cbranch_vccnz .LBB15_117
; %bb.116:
	global_load_b32 v1, v[4:5], off
	s_wait_loadcnt 0x0
	v_trunc_f32_e32 v1, v1
	s_delay_alu instid0(VALU_DEP_1) | instskip(SKIP_1) | instid1(VALU_DEP_2)
	v_mul_f32_e64 v3, 0x2f800000, |v1|
	v_ashrrev_i32_e32 v6, 31, v1
	v_floor_f32_e32 v3, v3
	s_delay_alu instid0(VALU_DEP_1) | instskip(SKIP_1) | instid1(VALU_DEP_2)
	v_fma_f32 v7, 0xcf800000, v3, |v1|
	v_cvt_u32_f32_e32 v1, v3
	v_cvt_u32_f32_e32 v3, v7
	s_delay_alu instid0(VALU_DEP_2) | instskip(NEXT) | instid1(VALU_DEP_2)
	v_dual_mov_b32 v7, v6 :: v_dual_bitop2_b32 v9, v1, v6 bitop3:0x14
	v_xor_b32_e32 v8, v3, v6
	s_delay_alu instid0(VALU_DEP_1)
	v_sub_nc_u64_e32 v[6:7], v[8:9], v[6:7]
.LBB15_117:
	s_mov_b32 s27, 0
.LBB15_118:
	s_delay_alu instid0(SALU_CYCLE_1)
	s_and_not1_b32 vcc_lo, exec_lo, s27
	s_cbranch_vccnz .LBB15_120
; %bb.119:
	global_load_b32 v1, v[4:5], off
	s_wait_loadcnt 0x0
	v_cvt_f32_f16_e32 v1, v1
	s_delay_alu instid0(VALU_DEP_1) | instskip(NEXT) | instid1(VALU_DEP_1)
	v_cvt_i32_f32_e32 v6, v1
	v_ashrrev_i32_e32 v7, 31, v6
.LBB15_120:
	s_mov_b32 s27, 0
.LBB15_121:
	s_delay_alu instid0(SALU_CYCLE_1)
	s_and_not1_b32 vcc_lo, exec_lo, s27
	s_cbranch_vccnz .LBB15_132
; %bb.122:
	s_cmp_lt_i32 s0, 6
	s_cbranch_scc1 .LBB15_125
; %bb.123:
	s_cmp_gt_i32 s0, 6
	s_cbranch_scc0 .LBB15_126
; %bb.124:
	s_wait_loadcnt 0x0
	global_load_b64 v[6:7], v[4:5], off
	s_mov_b32 s27, 0
	s_wait_loadcnt 0x0
	v_trunc_f64_e32 v[6:7], v[6:7]
	s_delay_alu instid0(VALU_DEP_1) | instskip(NEXT) | instid1(VALU_DEP_1)
	v_ldexp_f64 v[8:9], v[6:7], 0xffffffe0
	v_floor_f64_e32 v[8:9], v[8:9]
	s_delay_alu instid0(VALU_DEP_1) | instskip(SKIP_1) | instid1(VALU_DEP_2)
	v_fmamk_f64 v[10:11], v[8:9], 0xc1f00000, v[6:7]
	v_cvt_i32_f64_e32 v7, v[8:9]
	v_cvt_u32_f64_e32 v6, v[10:11]
	s_branch .LBB15_127
.LBB15_125:
	s_mov_b32 s27, -1
                                        ; implicit-def: $vgpr6_vgpr7
	s_branch .LBB15_130
.LBB15_126:
	s_mov_b32 s27, -1
                                        ; implicit-def: $vgpr6_vgpr7
.LBB15_127:
	s_delay_alu instid0(SALU_CYCLE_1)
	s_and_not1_b32 vcc_lo, exec_lo, s27
	s_cbranch_vccnz .LBB15_129
; %bb.128:
	global_load_b32 v1, v[4:5], off
	s_wait_loadcnt 0x0
	v_trunc_f32_e32 v1, v1
	s_delay_alu instid0(VALU_DEP_1) | instskip(SKIP_1) | instid1(VALU_DEP_2)
	v_mul_f32_e64 v3, 0x2f800000, |v1|
	v_ashrrev_i32_e32 v6, 31, v1
	v_floor_f32_e32 v3, v3
	s_delay_alu instid0(VALU_DEP_1) | instskip(SKIP_1) | instid1(VALU_DEP_2)
	v_fma_f32 v7, 0xcf800000, v3, |v1|
	v_cvt_u32_f32_e32 v1, v3
	v_cvt_u32_f32_e32 v3, v7
	s_delay_alu instid0(VALU_DEP_2) | instskip(NEXT) | instid1(VALU_DEP_2)
	v_dual_mov_b32 v7, v6 :: v_dual_bitop2_b32 v9, v1, v6 bitop3:0x14
	v_xor_b32_e32 v8, v3, v6
	s_delay_alu instid0(VALU_DEP_1)
	v_sub_nc_u64_e32 v[6:7], v[8:9], v[6:7]
.LBB15_129:
	s_mov_b32 s27, 0
.LBB15_130:
	s_delay_alu instid0(SALU_CYCLE_1)
	s_and_not1_b32 vcc_lo, exec_lo, s27
	s_cbranch_vccnz .LBB15_132
; %bb.131:
	global_load_u16 v1, v[4:5], off
	s_wait_loadcnt 0x0
	v_cvt_f32_f16_e32 v1, v1
	s_delay_alu instid0(VALU_DEP_1) | instskip(NEXT) | instid1(VALU_DEP_1)
	v_cvt_i32_f32_e32 v6, v1
	v_ashrrev_i32_e32 v7, 31, v6
.LBB15_132:
	s_cbranch_execnz .LBB15_152
.LBB15_133:
	s_cmp_lt_i32 s0, 2
	s_cbranch_scc1 .LBB15_137
; %bb.134:
	s_cmp_lt_i32 s0, 3
	s_cbranch_scc1 .LBB15_138
; %bb.135:
	s_cmp_gt_i32 s0, 3
	s_cbranch_scc0 .LBB15_139
; %bb.136:
	s_wait_loadcnt 0x0
	global_load_b64 v[6:7], v[4:5], off
	s_mov_b32 s27, 0
	s_branch .LBB15_140
.LBB15_137:
	s_mov_b32 s27, -1
                                        ; implicit-def: $vgpr6_vgpr7
	s_branch .LBB15_146
.LBB15_138:
	s_mov_b32 s27, -1
                                        ; implicit-def: $vgpr6_vgpr7
	s_branch .LBB15_143
.LBB15_139:
	s_mov_b32 s27, -1
                                        ; implicit-def: $vgpr6_vgpr7
.LBB15_140:
	s_delay_alu instid0(SALU_CYCLE_1)
	s_and_not1_b32 vcc_lo, exec_lo, s27
	s_cbranch_vccnz .LBB15_142
; %bb.141:
	s_wait_loadcnt 0x0
	global_load_b32 v6, v[4:5], off
	s_wait_loadcnt 0x0
	v_ashrrev_i32_e32 v7, 31, v6
.LBB15_142:
	s_mov_b32 s27, 0
.LBB15_143:
	s_delay_alu instid0(SALU_CYCLE_1)
	s_and_not1_b32 vcc_lo, exec_lo, s27
	s_cbranch_vccnz .LBB15_145
; %bb.144:
	global_load_u16 v1, v[4:5], off
	s_wait_loadcnt 0x0
	v_bfe_i32 v6, v1, 0, 16
	s_delay_alu instid0(VALU_DEP_1)
	v_ashrrev_i32_e32 v7, 31, v6
.LBB15_145:
	s_mov_b32 s27, 0
.LBB15_146:
	s_delay_alu instid0(SALU_CYCLE_1)
	s_and_not1_b32 vcc_lo, exec_lo, s27
	s_cbranch_vccnz .LBB15_152
; %bb.147:
	s_cmp_gt_i32 s0, 0
	s_mov_b32 s0, 0
	s_cbranch_scc0 .LBB15_149
; %bb.148:
	global_load_i8 v1, v[4:5], off
	s_wait_loadcnt 0x0
	v_bfe_i32 v6, v1, 0, 16
	s_delay_alu instid0(VALU_DEP_1)
	v_ashrrev_i32_e32 v7, 31, v6
	s_branch .LBB15_150
.LBB15_149:
	s_mov_b32 s0, -1
                                        ; implicit-def: $vgpr6_vgpr7
.LBB15_150:
	s_delay_alu instid0(SALU_CYCLE_1)
	s_and_not1_b32 vcc_lo, exec_lo, s0
	s_cbranch_vccnz .LBB15_152
; %bb.151:
	global_load_u8 v1, v[4:5], off
	s_mov_b32 s0, 0
	s_wait_loadcnt 0x1
	v_mov_b32_e32 v7, s0
	s_wait_loadcnt 0x0
	v_and_b32_e32 v6, 0xffff, v1
.LBB15_152:
	s_branch .LBB15_26
.LBB15_153:
	s_mov_b32 s27, 0
	s_mov_b32 s28, 0
	;; [unrolled: 1-line block ×3, first 2 shown]
                                        ; implicit-def: $vgpr0
	s_branch .LBB15_235
.LBB15_154:
	s_mov_b32 s31, -1
	s_mov_b32 s30, 0
.LBB15_155:
	s_and_b32 vcc_lo, exec_lo, s31
	s_cbranch_vccz .LBB15_158
; %bb.156:
	s_cmp_eq_u32 s29, 44
	s_mov_b32 s27, -1
	s_cbranch_scc0 .LBB15_158
; %bb.157:
	s_wait_xcnt 0x0
	v_mov_b32_e32 v1, 0
	s_mov_b32 s30, -1
	s_mov_b32 s27, 0
	s_mov_b32 s31, 0
	global_store_b8 v[2:3], v1, off
	s_branch .LBB15_159
.LBB15_158:
	s_mov_b32 s31, 0
.LBB15_159:
	s_delay_alu instid0(SALU_CYCLE_1)
	s_and_b32 vcc_lo, exec_lo, s31
	s_cbranch_vccz .LBB15_162
; %bb.160:
	s_cmp_eq_u32 s29, 29
	s_mov_b32 s27, -1
	s_cbranch_scc0 .LBB15_162
; %bb.161:
	v_mov_b64_e32 v[4:5], 0
	s_mov_b32 s30, -1
	s_mov_b32 s27, 0
	s_mov_b32 s31, 0
	global_store_b64 v[2:3], v[4:5], off
	s_branch .LBB15_163
.LBB15_162:
	s_mov_b32 s31, 0
.LBB15_163:
	s_delay_alu instid0(SALU_CYCLE_1)
	s_and_b32 vcc_lo, exec_lo, s31
	s_cbranch_vccz .LBB15_173
; %bb.164:
	s_cmp_lt_i32 s29, 27
	s_mov_b32 s30, -1
	s_cbranch_scc1 .LBB15_170
; %bb.165:
	s_cmp_gt_i32 s29, 27
	s_cbranch_scc0 .LBB15_167
; %bb.166:
	s_wait_xcnt 0x0
	v_mov_b32_e32 v1, 0
	s_mov_b32 s30, 0
	global_store_b32 v[2:3], v1, off
.LBB15_167:
	s_and_not1_b32 vcc_lo, exec_lo, s30
	s_cbranch_vccnz .LBB15_169
; %bb.168:
	s_wait_xcnt 0x0
	v_mov_b32_e32 v1, 0
	global_store_b16 v[2:3], v1, off
.LBB15_169:
	s_mov_b32 s30, 0
.LBB15_170:
	s_delay_alu instid0(SALU_CYCLE_1)
	s_and_not1_b32 vcc_lo, exec_lo, s30
	s_cbranch_vccnz .LBB15_172
; %bb.171:
	s_wait_xcnt 0x0
	v_mov_b32_e32 v1, 0
	global_store_b8 v[2:3], v1, off
.LBB15_172:
	s_mov_b32 s30, -1
.LBB15_173:
	s_mov_b32 s31, 0
.LBB15_174:
	s_delay_alu instid0(SALU_CYCLE_1)
	s_and_b32 vcc_lo, exec_lo, s31
	s_cbranch_vccz .LBB15_193
; %bb.175:
	s_cmp_gt_i32 s29, 22
	s_mov_b32 s31, -1
	s_cbranch_scc0 .LBB15_185
; %bb.176:
	s_cmp_lt_i32 s29, 24
	s_mov_b32 s30, -1
	s_cbranch_scc1 .LBB15_182
; %bb.177:
	s_cmp_gt_i32 s29, 24
	s_cbranch_scc0 .LBB15_179
; %bb.178:
	s_wait_xcnt 0x0
	v_mov_b32_e32 v1, 0
	s_mov_b32 s30, 0
	global_store_b8 v[2:3], v1, off
.LBB15_179:
	s_and_not1_b32 vcc_lo, exec_lo, s30
	s_cbranch_vccnz .LBB15_181
; %bb.180:
	s_wait_xcnt 0x0
	v_mov_b32_e32 v1, 0
	global_store_b8 v[2:3], v1, off
.LBB15_181:
	s_mov_b32 s30, 0
.LBB15_182:
	s_delay_alu instid0(SALU_CYCLE_1)
	s_and_not1_b32 vcc_lo, exec_lo, s30
	s_cbranch_vccnz .LBB15_184
; %bb.183:
	s_wait_xcnt 0x0
	v_mov_b32_e32 v1, 0
	global_store_b8 v[2:3], v1, off
.LBB15_184:
	s_mov_b32 s31, 0
	s_mov_b32 s30, -1
.LBB15_185:
	s_and_not1_b32 vcc_lo, exec_lo, s31
	s_cbranch_vccnz .LBB15_193
; %bb.186:
	s_cmp_gt_i32 s29, 14
	s_mov_b32 s31, -1
	s_cbranch_scc0 .LBB15_190
; %bb.187:
	s_cmp_eq_u32 s29, 15
	s_mov_b32 s27, -1
	s_cbranch_scc0 .LBB15_189
; %bb.188:
	s_wait_xcnt 0x0
	v_mov_b32_e32 v1, 0
	s_mov_b32 s30, -1
	s_mov_b32 s27, 0
	global_store_b16 v[2:3], v1, off
.LBB15_189:
	s_mov_b32 s31, 0
.LBB15_190:
	s_delay_alu instid0(SALU_CYCLE_1)
	s_and_b32 vcc_lo, exec_lo, s31
	s_cbranch_vccz .LBB15_193
; %bb.191:
	s_cmp_eq_u32 s29, 11
	s_mov_b32 s27, -1
	s_cbranch_scc0 .LBB15_193
; %bb.192:
	s_wait_xcnt 0x0
	v_mov_b32_e32 v1, 0
	s_mov_b32 s30, -1
	s_mov_b32 s27, 0
	global_store_b8 v[2:3], v1, off
.LBB15_193:
	s_branch .LBB15_36
.LBB15_194:
	s_and_b32 s28, 0xffff, s28
	s_mov_b32 s29, -1
	s_cmp_lt_i32 s28, 5
	s_cbranch_scc1 .LBB15_215
; %bb.195:
	s_cmp_lt_i32 s28, 8
	s_cbranch_scc1 .LBB15_205
; %bb.196:
	;; [unrolled: 3-line block ×3, first 2 shown]
	s_cmp_gt_i32 s28, 9
	s_cbranch_scc0 .LBB15_199
; %bb.198:
	s_wait_xcnt 0x0
	v_mov_b32_e32 v4, 0
	s_mov_b32 s29, 0
	s_delay_alu instid0(VALU_DEP_1)
	v_dual_mov_b32 v5, v4 :: v_dual_mov_b32 v6, v4
	v_mov_b32_e32 v7, v4
	global_store_b128 v[2:3], v[4:7], off
.LBB15_199:
	s_and_not1_b32 vcc_lo, exec_lo, s29
	s_cbranch_vccnz .LBB15_201
; %bb.200:
	s_wait_xcnt 0x0
	v_mov_b64_e32 v[4:5], 0
	global_store_b64 v[2:3], v[4:5], off
.LBB15_201:
	s_mov_b32 s29, 0
.LBB15_202:
	s_delay_alu instid0(SALU_CYCLE_1)
	s_and_not1_b32 vcc_lo, exec_lo, s29
	s_cbranch_vccnz .LBB15_204
; %bb.203:
	s_wait_xcnt 0x0
	v_mov_b32_e32 v1, 0
	global_store_b32 v[2:3], v1, off
.LBB15_204:
	s_mov_b32 s29, 0
.LBB15_205:
	s_delay_alu instid0(SALU_CYCLE_1)
	s_and_not1_b32 vcc_lo, exec_lo, s29
	s_cbranch_vccnz .LBB15_214
; %bb.206:
	s_cmp_lt_i32 s28, 6
	s_mov_b32 s29, -1
	s_cbranch_scc1 .LBB15_212
; %bb.207:
	s_cmp_gt_i32 s28, 6
	s_cbranch_scc0 .LBB15_209
; %bb.208:
	s_wait_xcnt 0x0
	v_mov_b64_e32 v[4:5], 0
	s_mov_b32 s29, 0
	global_store_b64 v[2:3], v[4:5], off
.LBB15_209:
	s_and_not1_b32 vcc_lo, exec_lo, s29
	s_cbranch_vccnz .LBB15_211
; %bb.210:
	s_wait_xcnt 0x0
	v_mov_b32_e32 v1, 0
	global_store_b32 v[2:3], v1, off
.LBB15_211:
	s_mov_b32 s29, 0
.LBB15_212:
	s_delay_alu instid0(SALU_CYCLE_1)
	s_and_not1_b32 vcc_lo, exec_lo, s29
	s_cbranch_vccnz .LBB15_214
; %bb.213:
	s_wait_xcnt 0x0
	v_mov_b32_e32 v1, 0
	global_store_b16 v[2:3], v1, off
.LBB15_214:
	s_mov_b32 s29, 0
.LBB15_215:
	s_delay_alu instid0(SALU_CYCLE_1)
	s_and_not1_b32 vcc_lo, exec_lo, s29
	s_cbranch_vccnz .LBB15_231
; %bb.216:
	s_cmp_lt_i32 s28, 2
	s_mov_b32 s29, -1
	s_cbranch_scc1 .LBB15_226
; %bb.217:
	s_cmp_lt_i32 s28, 3
	s_cbranch_scc1 .LBB15_223
; %bb.218:
	s_cmp_gt_i32 s28, 3
	s_cbranch_scc0 .LBB15_220
; %bb.219:
	s_wait_xcnt 0x0
	v_mov_b64_e32 v[4:5], 0
	s_mov_b32 s29, 0
	global_store_b64 v[2:3], v[4:5], off
.LBB15_220:
	s_and_not1_b32 vcc_lo, exec_lo, s29
	s_cbranch_vccnz .LBB15_222
; %bb.221:
	s_wait_xcnt 0x0
	v_mov_b32_e32 v1, 0
	global_store_b32 v[2:3], v1, off
.LBB15_222:
	s_mov_b32 s29, 0
.LBB15_223:
	s_delay_alu instid0(SALU_CYCLE_1)
	s_and_not1_b32 vcc_lo, exec_lo, s29
	s_cbranch_vccnz .LBB15_225
; %bb.224:
	s_wait_xcnt 0x0
	v_mov_b32_e32 v1, 0
	global_store_b16 v[2:3], v1, off
.LBB15_225:
	s_mov_b32 s29, 0
.LBB15_226:
	s_delay_alu instid0(SALU_CYCLE_1)
	s_and_not1_b32 vcc_lo, exec_lo, s29
	s_cbranch_vccnz .LBB15_231
; %bb.227:
	s_cmp_gt_i32 s28, 0
	s_mov_b32 s28, -1
	s_cbranch_scc0 .LBB15_229
; %bb.228:
	s_wait_xcnt 0x0
	v_mov_b32_e32 v1, 0
	s_mov_b32 s28, 0
	global_store_b8 v[2:3], v1, off
.LBB15_229:
	s_and_not1_b32 vcc_lo, exec_lo, s28
	s_cbranch_vccnz .LBB15_231
; %bb.230:
	s_wait_xcnt 0x0
	v_mov_b32_e32 v1, 0
	global_store_b8 v[2:3], v1, off
.LBB15_231:
	s_branch .LBB15_37
.LBB15_232:
	s_mov_b32 s30, 0
                                        ; implicit-def: $vgpr0
.LBB15_233:
	s_and_b32 s29, s27, exec_lo
	s_xor_b32 s28, exec_lo, -1
	s_and_b32 s27, s30, exec_lo
.LBB15_234:
	s_wait_xcnt 0x0
	s_or_b32 exec_lo, exec_lo, s0
.LBB15_235:
	s_delay_alu instid0(SALU_CYCLE_1)
	s_and_b32 s44, s29, exec_lo
	s_and_b32 s45, s28, exec_lo
	;; [unrolled: 1-line block ×3, first 2 shown]
	s_or_not1_b32 s26, s27, exec_lo
.LBB15_236:
	s_wait_xcnt 0x0
	s_or_b32 exec_lo, exec_lo, s47
	s_mov_b32 s27, 0
	s_mov_b32 s0, 0
                                        ; implicit-def: $vgpr4_vgpr5
                                        ; implicit-def: $vgpr2
                                        ; implicit-def: $vgpr6_vgpr7
	s_and_saveexec_b32 s47, s26
	s_cbranch_execz .LBB15_244
; %bb.237:
	s_mov_b32 s0, -1
	s_mov_b32 s48, s46
	s_mov_b32 s50, s45
	;; [unrolled: 1-line block ×3, first 2 shown]
	s_mov_b32 s51, exec_lo
	v_cmpx_gt_i32_e64 s41, v0
	s_cbranch_execz .LBB15_479
; %bb.238:
	s_and_not1_b32 vcc_lo, exec_lo, s36
	s_cbranch_vccnz .LBB15_247
; %bb.239:
	s_and_not1_b32 vcc_lo, exec_lo, s43
	s_cbranch_vccnz .LBB15_248
; %bb.240:
	s_add_co_i32 s0, s42, 1
	s_cmp_eq_u32 s34, 2
	s_cbranch_scc1 .LBB15_249
; %bb.241:
	v_dual_mov_b32 v2, 0 :: v_dual_mov_b32 v4, 0
	v_mov_b32_e32 v1, v0
	s_and_b32 s26, s0, 28
	s_mov_b64 s[28:29], s[2:3]
	s_mov_b64 s[30:31], s[24:25]
.LBB15_242:                             ; =>This Inner Loop Header: Depth=1
	s_clause 0x1
	s_load_b256 s[52:59], s[28:29], 0x4
	s_load_b128 s[68:71], s[28:29], 0x24
	s_load_b256 s[60:67], s[30:31], 0x0
	s_add_co_i32 s27, s27, 4
	s_wait_xcnt 0x0
	s_add_nc_u64 s[28:29], s[28:29], 48
	s_cmp_eq_u32 s26, s27
	s_add_nc_u64 s[30:31], s[30:31], 32
	s_wait_kmcnt 0x0
	v_mul_hi_u32 v3, s53, v1
	s_delay_alu instid0(VALU_DEP_1) | instskip(NEXT) | instid1(VALU_DEP_1)
	v_add_nc_u32_e32 v3, v1, v3
	v_lshrrev_b32_e32 v3, s54, v3
	s_delay_alu instid0(VALU_DEP_1) | instskip(NEXT) | instid1(VALU_DEP_1)
	v_mul_hi_u32 v5, s56, v3
	v_add_nc_u32_e32 v5, v3, v5
	s_delay_alu instid0(VALU_DEP_1) | instskip(SKIP_1) | instid1(VALU_DEP_1)
	v_lshrrev_b32_e32 v5, s57, v5
	s_wait_loadcnt 0x0
	v_mul_hi_u32 v6, s59, v5
	s_delay_alu instid0(VALU_DEP_1) | instskip(SKIP_1) | instid1(VALU_DEP_1)
	v_add_nc_u32_e32 v6, v5, v6
	v_mul_lo_u32 v7, v3, s52
	v_sub_nc_u32_e32 v1, v1, v7
	v_mul_lo_u32 v7, v5, s55
	s_delay_alu instid0(VALU_DEP_4) | instskip(NEXT) | instid1(VALU_DEP_3)
	v_lshrrev_b32_e32 v6, s68, v6
	v_mad_u32 v4, v1, s61, v4
	v_mad_u32 v1, v1, s60, v2
	s_delay_alu instid0(VALU_DEP_4) | instskip(NEXT) | instid1(VALU_DEP_4)
	v_sub_nc_u32_e32 v2, v3, v7
	v_mul_hi_u32 v8, s70, v6
	v_mul_lo_u32 v3, v6, s58
	s_delay_alu instid0(VALU_DEP_3) | instskip(SKIP_1) | instid1(VALU_DEP_3)
	v_mad_u32 v4, v2, s63, v4
	v_mad_u32 v2, v2, s62, v1
	v_dual_add_nc_u32 v7, v6, v8 :: v_dual_sub_nc_u32 v3, v5, v3
	s_delay_alu instid0(VALU_DEP_1) | instskip(NEXT) | instid1(VALU_DEP_2)
	v_lshrrev_b32_e32 v1, s71, v7
	v_mad_u32 v4, v3, s65, v4
	s_delay_alu instid0(VALU_DEP_4) | instskip(NEXT) | instid1(VALU_DEP_3)
	v_mad_u32 v2, v3, s64, v2
	v_mul_lo_u32 v5, v1, s69
	s_delay_alu instid0(VALU_DEP_1) | instskip(NEXT) | instid1(VALU_DEP_1)
	v_sub_nc_u32_e32 v3, v6, v5
	v_mad_u32 v4, v3, s67, v4
	s_delay_alu instid0(VALU_DEP_4)
	v_mad_u32 v2, v3, s66, v2
	s_cbranch_scc0 .LBB15_242
; %bb.243:
	s_delay_alu instid0(VALU_DEP_2)
	v_mov_b32_e32 v3, v4
	s_branch .LBB15_250
.LBB15_244:
	s_or_b32 exec_lo, exec_lo, s47
	s_mov_b32 s1, 0
	s_and_saveexec_b32 s6, s46
	s_cbranch_execnz .LBB15_817
.LBB15_245:
	s_or_b32 exec_lo, exec_lo, s6
	s_and_saveexec_b32 s6, s21
	s_delay_alu instid0(SALU_CYCLE_1)
	s_xor_b32 s6, exec_lo, s6
	s_cbranch_execz .LBB15_818
.LBB15_246:
	global_load_u8 v0, v[4:5], off
	s_mov_b32 s7, 0
	s_or_b32 s0, s0, exec_lo
	s_wait_loadcnt 0x1
	v_mov_b32_e32 v7, s7
	s_wait_loadcnt 0x0
	v_cmp_ne_u16_e32 vcc_lo, 0, v0
	v_cndmask_b32_e64 v6, 0, 1, vcc_lo
	s_wait_xcnt 0x0
	s_or_b32 exec_lo, exec_lo, s6
	s_and_saveexec_b32 s6, s27
	s_cbranch_execz .LBB15_864
	s_branch .LBB15_819
.LBB15_247:
                                        ; implicit-def: $vgpr4
                                        ; implicit-def: $vgpr2
	s_and_not1_b32 vcc_lo, exec_lo, s0
	s_cbranch_vccnz .LBB15_257
	s_branch .LBB15_255
.LBB15_248:
	v_dual_mov_b32 v4, 0 :: v_dual_mov_b32 v2, 0
	s_branch .LBB15_254
.LBB15_249:
	v_mov_b64_e32 v[2:3], 0
	v_mov_b32_e32 v1, v0
	s_mov_b32 s26, 0
                                        ; implicit-def: $vgpr4
.LBB15_250:
	s_and_b32 s0, s0, 3
	s_mov_b32 s27, 0
	s_cmp_eq_u32 s0, 0
	s_cbranch_scc1 .LBB15_254
; %bb.251:
	s_lshl_b32 s28, s26, 3
	s_mov_b32 s29, s27
	s_mul_u64 s[30:31], s[26:27], 12
	s_add_nc_u64 s[28:29], s[2:3], s[28:29]
	s_delay_alu instid0(SALU_CYCLE_1)
	s_add_nc_u64 s[26:27], s[28:29], 0xc4
	s_add_nc_u64 s[28:29], s[2:3], s[30:31]
.LBB15_252:                             ; =>This Inner Loop Header: Depth=1
	s_load_b96 s[48:50], s[28:29], 0x4
	s_load_b64 s[30:31], s[26:27], 0x0
	s_add_co_i32 s0, s0, -1
	s_wait_xcnt 0x0
	s_add_nc_u64 s[28:29], s[28:29], 12
	s_cmp_lg_u32 s0, 0
	s_add_nc_u64 s[26:27], s[26:27], 8
	s_wait_kmcnt 0x0
	v_mul_hi_u32 v4, s49, v1
	s_delay_alu instid0(VALU_DEP_1) | instskip(NEXT) | instid1(VALU_DEP_1)
	v_add_nc_u32_e32 v4, v1, v4
	v_lshrrev_b32_e32 v4, s50, v4
	s_delay_alu instid0(VALU_DEP_1) | instskip(NEXT) | instid1(VALU_DEP_1)
	v_mul_lo_u32 v5, v4, s48
	v_sub_nc_u32_e32 v1, v1, v5
	s_delay_alu instid0(VALU_DEP_1)
	v_mad_u32 v3, v1, s31, v3
	v_mad_u32 v2, v1, s30, v2
	v_mov_b32_e32 v1, v4
	s_cbranch_scc1 .LBB15_252
; %bb.253:
	s_delay_alu instid0(VALU_DEP_3)
	v_mov_b32_e32 v4, v3
.LBB15_254:
	s_cbranch_execnz .LBB15_257
.LBB15_255:
	v_mov_b32_e32 v1, 0
	s_and_not1_b32 vcc_lo, exec_lo, s40
	s_delay_alu instid0(VALU_DEP_1) | instskip(NEXT) | instid1(VALU_DEP_1)
	v_mul_u64_e32 v[2:3], s[20:21], v[0:1]
	v_add_nc_u32_e32 v2, v0, v3
	s_wait_loadcnt 0x0
	s_delay_alu instid0(VALU_DEP_1) | instskip(NEXT) | instid1(VALU_DEP_1)
	v_lshrrev_b32_e32 v6, s14, v2
	v_mul_lo_u32 v2, v6, s12
	s_delay_alu instid0(VALU_DEP_1) | instskip(NEXT) | instid1(VALU_DEP_1)
	v_sub_nc_u32_e32 v2, v0, v2
	v_mul_lo_u32 v4, v2, s17
	v_mul_lo_u32 v2, v2, s16
	s_cbranch_vccnz .LBB15_257
; %bb.256:
	v_mov_b32_e32 v7, v1
	s_delay_alu instid0(VALU_DEP_1) | instskip(NEXT) | instid1(VALU_DEP_1)
	v_mul_u64_e32 v[8:9], s[22:23], v[6:7]
	v_add_nc_u32_e32 v1, v6, v9
	s_delay_alu instid0(VALU_DEP_1) | instskip(NEXT) | instid1(VALU_DEP_1)
	v_lshrrev_b32_e32 v1, s1, v1
	v_mul_lo_u32 v1, v1, s15
	s_delay_alu instid0(VALU_DEP_1) | instskip(NEXT) | instid1(VALU_DEP_1)
	v_sub_nc_u32_e32 v1, v6, v1
	v_mad_u32 v2, v1, s18, v2
	v_mad_u32 v4, v1, s19, v4
.LBB15_257:
	v_mov_b32_e32 v5, 0
	s_and_b32 s0, 0xffff, s39
	s_delay_alu instid0(SALU_CYCLE_1) | instskip(NEXT) | instid1(VALU_DEP_1)
	s_cmp_lt_i32 s0, 11
	v_add_nc_u64_e32 v[4:5], s[6:7], v[4:5]
	s_cbranch_scc1 .LBB15_264
; %bb.258:
	s_cmp_gt_i32 s0, 25
	s_cbranch_scc0 .LBB15_274
; %bb.259:
	s_cmp_gt_i32 s0, 28
	s_cbranch_scc0 .LBB15_276
; %bb.260:
	s_cmp_gt_i32 s0, 43
	s_cbranch_scc0 .LBB15_278
; %bb.261:
	s_cmp_gt_i32 s0, 45
	s_cbranch_scc0 .LBB15_280
; %bb.262:
	s_cmp_eq_u32 s0, 46
	s_mov_b32 s28, 0
	s_cbranch_scc0 .LBB15_282
; %bb.263:
	global_load_b32 v1, v[4:5], off
	s_mov_b32 s27, -1
	s_mov_b32 s26, 0
	s_wait_loadcnt 0x0
	v_lshlrev_b32_e32 v1, 16, v1
	s_delay_alu instid0(VALU_DEP_1) | instskip(NEXT) | instid1(VALU_DEP_1)
	v_trunc_f32_e32 v1, v1
	v_mul_f32_e64 v3, 0x2f800000, |v1|
	v_ashrrev_i32_e32 v6, 31, v1
	s_delay_alu instid0(VALU_DEP_2) | instskip(NEXT) | instid1(VALU_DEP_1)
	v_floor_f32_e32 v3, v3
	v_fma_f32 v7, 0xcf800000, v3, |v1|
	v_cvt_u32_f32_e32 v1, v3
	s_delay_alu instid0(VALU_DEP_2) | instskip(NEXT) | instid1(VALU_DEP_2)
	v_cvt_u32_f32_e32 v3, v7
	v_dual_mov_b32 v7, v6 :: v_dual_bitop2_b32 v9, v1, v6 bitop3:0x14
	s_delay_alu instid0(VALU_DEP_2) | instskip(NEXT) | instid1(VALU_DEP_1)
	v_xor_b32_e32 v8, v3, v6
	v_sub_nc_u64_e32 v[6:7], v[8:9], v[6:7]
	s_branch .LBB15_284
.LBB15_264:
	s_mov_b32 s27, 0
	s_mov_b32 s26, s46
                                        ; implicit-def: $vgpr6_vgpr7
	s_cbranch_execnz .LBB15_345
.LBB15_265:
	s_and_not1_b32 vcc_lo, exec_lo, s27
	s_cbranch_vccnz .LBB15_393
.LBB15_266:
	s_wait_loadcnt 0x0
	s_delay_alu instid0(VALU_DEP_1)
	v_cmp_le_i64_e32 vcc_lo, s[8:9], v[6:7]
	v_cmp_gt_i64_e64 s0, s[10:11], v[6:7]
	s_mov_b32 s27, 0
	s_mov_b32 s28, -1
	s_mov_b32 s29, s44
	s_and_b32 s0, vcc_lo, s0
	s_delay_alu instid0(SALU_CYCLE_1)
	s_and_b32 s30, s13, s0
	s_wait_xcnt 0x0
	s_and_saveexec_b32 s0, s30
	s_cbranch_execz .LBB15_477
; %bb.267:
	v_mov_b32_e32 v3, 0
	s_and_b32 s28, s38, 0xff
	s_delay_alu instid0(SALU_CYCLE_1) | instskip(NEXT) | instid1(VALU_DEP_1)
	s_cmp_lt_i32 s28, 11
	v_add_nc_u64_e32 v[2:3], s[4:5], v[2:3]
	s_cbranch_scc1 .LBB15_275
; %bb.268:
	s_and_b32 s29, 0xffff, s28
	s_delay_alu instid0(SALU_CYCLE_1)
	s_cmp_gt_i32 s29, 25
	s_cbranch_scc0 .LBB15_277
; %bb.269:
	s_cmp_gt_i32 s29, 28
	s_cbranch_scc0 .LBB15_279
; %bb.270:
	;; [unrolled: 3-line block ×4, first 2 shown]
	s_mov_b32 s31, 0
	s_mov_b32 s27, -1
	s_cmp_eq_u32 s29, 46
	s_mov_b32 s30, 0
	s_cbranch_scc0 .LBB15_395
; %bb.273:
	v_mov_b32_e32 v1, 0
	s_mov_b32 s30, -1
	s_mov_b32 s27, 0
	global_store_b32 v[2:3], v1, off
	s_branch .LBB15_395
.LBB15_274:
	s_mov_b32 s28, -1
	s_mov_b32 s27, 0
	s_mov_b32 s26, s46
                                        ; implicit-def: $vgpr6_vgpr7
	s_branch .LBB15_311
.LBB15_275:
	s_mov_b32 s29, -1
	s_mov_b32 s30, 0
	s_mov_b32 s27, s44
	s_branch .LBB15_434
.LBB15_276:
	s_mov_b32 s28, -1
	s_mov_b32 s27, 0
	s_mov_b32 s26, s46
                                        ; implicit-def: $vgpr6_vgpr7
	s_branch .LBB15_294
.LBB15_277:
	s_mov_b32 s31, -1
	s_mov_b32 s30, 0
	s_mov_b32 s27, s44
	s_branch .LBB15_414
.LBB15_278:
	s_mov_b32 s28, -1
	s_mov_b32 s27, 0
	s_mov_b32 s26, s46
                                        ; implicit-def: $vgpr6_vgpr7
	s_branch .LBB15_289
.LBB15_279:
	s_mov_b32 s31, -1
	s_mov_b32 s30, 0
	s_mov_b32 s27, s44
	s_branch .LBB15_403
.LBB15_280:
	s_mov_b32 s28, -1
	s_mov_b32 s27, 0
	s_mov_b32 s26, s46
	s_branch .LBB15_283
.LBB15_281:
	s_mov_b32 s31, -1
	s_mov_b32 s30, 0
	s_mov_b32 s27, s44
	s_branch .LBB15_399
.LBB15_282:
	s_mov_b32 s26, -1
	s_mov_b32 s27, 0
.LBB15_283:
                                        ; implicit-def: $vgpr6_vgpr7
.LBB15_284:
	s_and_b32 vcc_lo, exec_lo, s28
	s_cbranch_vccz .LBB15_288
; %bb.285:
	s_cmp_eq_u32 s0, 44
	s_cbranch_scc0 .LBB15_287
; %bb.286:
	global_load_u8 v1, v[4:5], off
	s_mov_b32 s26, 0
	s_mov_b32 s27, -1
	s_wait_loadcnt 0x0
	v_lshlrev_b32_e32 v3, 23, v1
	v_cmp_ne_u32_e32 vcc_lo, 0, v1
	s_delay_alu instid0(VALU_DEP_2) | instskip(NEXT) | instid1(VALU_DEP_1)
	v_trunc_f32_e32 v3, v3
	v_mul_f32_e64 v6, 0x2f800000, |v3|
	s_delay_alu instid0(VALU_DEP_1) | instskip(SKIP_1) | instid1(VALU_DEP_2)
	v_floor_f32_e32 v7, v6
	v_ashrrev_i32_e32 v6, 31, v3
	v_fma_f32 v8, 0xcf800000, v7, |v3|
	v_cvt_u32_f32_e32 v3, v7
	s_delay_alu instid0(VALU_DEP_3) | instskip(NEXT) | instid1(VALU_DEP_3)
	v_mov_b32_e32 v7, v6
	v_cvt_u32_f32_e32 v8, v8
	s_delay_alu instid0(VALU_DEP_3) | instskip(NEXT) | instid1(VALU_DEP_2)
	v_xor_b32_e32 v9, v3, v6
	v_xor_b32_e32 v8, v8, v6
	s_delay_alu instid0(VALU_DEP_1) | instskip(NEXT) | instid1(VALU_DEP_1)
	v_sub_nc_u64_e32 v[6:7], v[8:9], v[6:7]
	v_dual_cndmask_b32 v7, 0, v7 :: v_dual_cndmask_b32 v6, 0, v6
	s_branch .LBB15_288
.LBB15_287:
	s_mov_b32 s26, -1
                                        ; implicit-def: $vgpr6_vgpr7
.LBB15_288:
	s_mov_b32 s28, 0
.LBB15_289:
	s_delay_alu instid0(SALU_CYCLE_1)
	s_and_b32 vcc_lo, exec_lo, s28
	s_cbranch_vccz .LBB15_293
; %bb.290:
	s_cmp_eq_u32 s0, 29
	s_cbranch_scc0 .LBB15_292
; %bb.291:
	s_wait_loadcnt 0x0
	global_load_b64 v[6:7], v[4:5], off
	s_mov_b32 s27, -1
	s_mov_b32 s26, 0
	s_branch .LBB15_293
.LBB15_292:
	s_mov_b32 s26, -1
                                        ; implicit-def: $vgpr6_vgpr7
.LBB15_293:
	s_mov_b32 s28, 0
.LBB15_294:
	s_delay_alu instid0(SALU_CYCLE_1)
	s_and_b32 vcc_lo, exec_lo, s28
	s_cbranch_vccz .LBB15_310
; %bb.295:
	s_cmp_lt_i32 s0, 27
	s_cbranch_scc1 .LBB15_298
; %bb.296:
	s_cmp_gt_i32 s0, 27
	s_cbranch_scc0 .LBB15_299
; %bb.297:
	s_wait_loadcnt 0x0
	global_load_b32 v6, v[4:5], off
	v_mov_b32_e32 v7, 0
	s_mov_b32 s27, 0
	s_branch .LBB15_300
.LBB15_298:
	s_mov_b32 s27, -1
                                        ; implicit-def: $vgpr6_vgpr7
	s_branch .LBB15_303
.LBB15_299:
	s_mov_b32 s27, -1
                                        ; implicit-def: $vgpr6_vgpr7
.LBB15_300:
	s_delay_alu instid0(SALU_CYCLE_1)
	s_and_not1_b32 vcc_lo, exec_lo, s27
	s_cbranch_vccnz .LBB15_302
; %bb.301:
	global_load_u16 v1, v[4:5], off
	s_mov_b32 s27, 0
	s_wait_loadcnt 0x1
	v_mov_b32_e32 v7, s27
	s_wait_loadcnt 0x0
	v_and_b32_e32 v6, 0xffff, v1
.LBB15_302:
	s_mov_b32 s27, 0
.LBB15_303:
	s_delay_alu instid0(SALU_CYCLE_1)
	s_and_not1_b32 vcc_lo, exec_lo, s27
	s_cbranch_vccnz .LBB15_309
; %bb.304:
	global_load_u8 v1, v[4:5], off
	s_mov_b32 s28, 0
	s_mov_b32 s27, exec_lo
	s_wait_loadcnt 0x0
	v_cmpx_lt_i16_e32 0x7f, v1
	s_xor_b32 s27, exec_lo, s27
	s_cbranch_execz .LBB15_321
; %bb.305:
	v_cmp_ne_u16_e32 vcc_lo, 0x80, v1
	s_and_b32 s28, vcc_lo, exec_lo
	s_and_not1_saveexec_b32 s27, s27
	s_cbranch_execnz .LBB15_322
.LBB15_306:
	s_or_b32 exec_lo, exec_lo, s27
	v_mov_b64_e32 v[6:7], 0
	s_and_saveexec_b32 s27, s28
	s_cbranch_execz .LBB15_308
.LBB15_307:
	v_and_b32_e32 v3, 0xffff, v1
	s_delay_alu instid0(VALU_DEP_1) | instskip(SKIP_1) | instid1(VALU_DEP_2)
	v_dual_lshlrev_b32 v1, 24, v1 :: v_dual_bitop2_b32 v6, 7, v3 bitop3:0x40
	v_bfe_u32 v9, v3, 3, 4
	v_and_b32_e32 v1, 0x80000000, v1
	s_delay_alu instid0(VALU_DEP_3) | instskip(NEXT) | instid1(VALU_DEP_3)
	v_clz_i32_u32_e32 v7, v6
	v_cmp_eq_u32_e32 vcc_lo, 0, v9
	s_delay_alu instid0(VALU_DEP_2) | instskip(NEXT) | instid1(VALU_DEP_1)
	v_min_u32_e32 v7, 32, v7
	v_subrev_nc_u32_e32 v8, 28, v7
	v_sub_nc_u32_e32 v7, 29, v7
	s_delay_alu instid0(VALU_DEP_2) | instskip(NEXT) | instid1(VALU_DEP_2)
	v_lshlrev_b32_e32 v3, v8, v3
	v_cndmask_b32_e32 v7, v9, v7, vcc_lo
	s_delay_alu instid0(VALU_DEP_2) | instskip(NEXT) | instid1(VALU_DEP_1)
	v_and_b32_e32 v3, 7, v3
	v_cndmask_b32_e32 v3, v6, v3, vcc_lo
	s_delay_alu instid0(VALU_DEP_3) | instskip(NEXT) | instid1(VALU_DEP_2)
	v_lshl_add_u32 v6, v7, 23, 0x3b800000
	v_lshlrev_b32_e32 v3, 20, v3
	s_delay_alu instid0(VALU_DEP_1) | instskip(NEXT) | instid1(VALU_DEP_1)
	v_or3_b32 v1, v1, v6, v3
	v_trunc_f32_e32 v1, v1
	s_delay_alu instid0(VALU_DEP_1) | instskip(SKIP_1) | instid1(VALU_DEP_2)
	v_mul_f32_e64 v3, 0x2f800000, |v1|
	v_ashrrev_i32_e32 v6, 31, v1
	v_floor_f32_e32 v3, v3
	s_delay_alu instid0(VALU_DEP_1) | instskip(SKIP_1) | instid1(VALU_DEP_2)
	v_fma_f32 v7, 0xcf800000, v3, |v1|
	v_cvt_u32_f32_e32 v1, v3
	v_cvt_u32_f32_e32 v3, v7
	s_delay_alu instid0(VALU_DEP_2) | instskip(NEXT) | instid1(VALU_DEP_2)
	v_dual_mov_b32 v7, v6 :: v_dual_bitop2_b32 v9, v1, v6 bitop3:0x14
	v_xor_b32_e32 v8, v3, v6
	s_delay_alu instid0(VALU_DEP_1)
	v_sub_nc_u64_e32 v[6:7], v[8:9], v[6:7]
.LBB15_308:
	s_or_b32 exec_lo, exec_lo, s27
.LBB15_309:
	s_mov_b32 s27, -1
.LBB15_310:
	s_mov_b32 s28, 0
.LBB15_311:
	s_delay_alu instid0(SALU_CYCLE_1)
	s_and_b32 vcc_lo, exec_lo, s28
	s_cbranch_vccz .LBB15_344
; %bb.312:
	s_cmp_gt_i32 s0, 22
	s_cbranch_scc0 .LBB15_320
; %bb.313:
	s_cmp_lt_i32 s0, 24
	s_cbranch_scc1 .LBB15_323
; %bb.314:
	s_cmp_gt_i32 s0, 24
	s_cbranch_scc0 .LBB15_324
; %bb.315:
	global_load_u8 v1, v[4:5], off
	s_mov_b32 s28, 0
	s_mov_b32 s27, exec_lo
	s_wait_loadcnt 0x0
	v_cmpx_lt_i16_e32 0x7f, v1
	s_xor_b32 s27, exec_lo, s27
	s_cbranch_execz .LBB15_336
; %bb.316:
	v_cmp_ne_u16_e32 vcc_lo, 0x80, v1
	s_and_b32 s28, vcc_lo, exec_lo
	s_and_not1_saveexec_b32 s27, s27
	s_cbranch_execnz .LBB15_337
.LBB15_317:
	s_or_b32 exec_lo, exec_lo, s27
	v_mov_b64_e32 v[6:7], 0
	s_and_saveexec_b32 s27, s28
	s_cbranch_execz .LBB15_319
.LBB15_318:
	v_and_b32_e32 v3, 0xffff, v1
	s_delay_alu instid0(VALU_DEP_1) | instskip(SKIP_1) | instid1(VALU_DEP_2)
	v_dual_lshlrev_b32 v1, 24, v1 :: v_dual_bitop2_b32 v6, 3, v3 bitop3:0x40
	v_bfe_u32 v9, v3, 2, 5
	v_and_b32_e32 v1, 0x80000000, v1
	s_delay_alu instid0(VALU_DEP_3) | instskip(NEXT) | instid1(VALU_DEP_3)
	v_clz_i32_u32_e32 v7, v6
	v_cmp_eq_u32_e32 vcc_lo, 0, v9
	s_delay_alu instid0(VALU_DEP_2) | instskip(NEXT) | instid1(VALU_DEP_1)
	v_min_u32_e32 v7, 32, v7
	v_subrev_nc_u32_e32 v8, 29, v7
	v_sub_nc_u32_e32 v7, 30, v7
	s_delay_alu instid0(VALU_DEP_2) | instskip(NEXT) | instid1(VALU_DEP_2)
	v_lshlrev_b32_e32 v3, v8, v3
	v_cndmask_b32_e32 v7, v9, v7, vcc_lo
	s_delay_alu instid0(VALU_DEP_2) | instskip(NEXT) | instid1(VALU_DEP_1)
	v_and_b32_e32 v3, 3, v3
	v_cndmask_b32_e32 v3, v6, v3, vcc_lo
	s_delay_alu instid0(VALU_DEP_3) | instskip(NEXT) | instid1(VALU_DEP_2)
	v_lshl_add_u32 v6, v7, 23, 0x37800000
	v_lshlrev_b32_e32 v3, 21, v3
	s_delay_alu instid0(VALU_DEP_1) | instskip(NEXT) | instid1(VALU_DEP_1)
	v_or3_b32 v1, v1, v6, v3
	v_trunc_f32_e32 v1, v1
	s_delay_alu instid0(VALU_DEP_1) | instskip(SKIP_1) | instid1(VALU_DEP_2)
	v_mul_f32_e64 v3, 0x2f800000, |v1|
	v_ashrrev_i32_e32 v6, 31, v1
	v_floor_f32_e32 v3, v3
	s_delay_alu instid0(VALU_DEP_1) | instskip(SKIP_1) | instid1(VALU_DEP_2)
	v_fma_f32 v7, 0xcf800000, v3, |v1|
	v_cvt_u32_f32_e32 v1, v3
	v_cvt_u32_f32_e32 v3, v7
	s_delay_alu instid0(VALU_DEP_2) | instskip(NEXT) | instid1(VALU_DEP_2)
	v_dual_mov_b32 v7, v6 :: v_dual_bitop2_b32 v9, v1, v6 bitop3:0x14
	v_xor_b32_e32 v8, v3, v6
	s_delay_alu instid0(VALU_DEP_1)
	v_sub_nc_u64_e32 v[6:7], v[8:9], v[6:7]
.LBB15_319:
	s_or_b32 exec_lo, exec_lo, s27
	s_mov_b32 s27, 0
	s_branch .LBB15_325
.LBB15_320:
	s_mov_b32 s28, -1
                                        ; implicit-def: $vgpr6_vgpr7
	s_branch .LBB15_331
.LBB15_321:
	s_and_not1_saveexec_b32 s27, s27
	s_cbranch_execz .LBB15_306
.LBB15_322:
	v_cmp_ne_u16_e32 vcc_lo, 0, v1
	s_and_not1_b32 s28, s28, exec_lo
	s_and_b32 s29, vcc_lo, exec_lo
	s_delay_alu instid0(SALU_CYCLE_1)
	s_or_b32 s28, s28, s29
	s_or_b32 exec_lo, exec_lo, s27
	v_mov_b64_e32 v[6:7], 0
	s_and_saveexec_b32 s27, s28
	s_cbranch_execnz .LBB15_307
	s_branch .LBB15_308
.LBB15_323:
	s_mov_b32 s27, -1
                                        ; implicit-def: $vgpr6_vgpr7
	s_branch .LBB15_328
.LBB15_324:
	s_mov_b32 s27, -1
                                        ; implicit-def: $vgpr6_vgpr7
.LBB15_325:
	s_delay_alu instid0(SALU_CYCLE_1)
	s_and_b32 vcc_lo, exec_lo, s27
	s_cbranch_vccz .LBB15_327
; %bb.326:
	global_load_u8 v1, v[4:5], off
	s_wait_loadcnt 0x0
	v_lshlrev_b32_e32 v1, 24, v1
	s_delay_alu instid0(VALU_DEP_1) | instskip(NEXT) | instid1(VALU_DEP_1)
	v_and_b32_e32 v3, 0x7f000000, v1
	v_clz_i32_u32_e32 v6, v3
	v_cmp_ne_u32_e32 vcc_lo, 0, v3
	v_add_nc_u32_e32 v8, 0x1000000, v3
	s_delay_alu instid0(VALU_DEP_3) | instskip(NEXT) | instid1(VALU_DEP_1)
	v_min_u32_e32 v6, 32, v6
	v_sub_nc_u32_e64 v6, v6, 4 clamp
	s_delay_alu instid0(VALU_DEP_1) | instskip(NEXT) | instid1(VALU_DEP_1)
	v_dual_lshlrev_b32 v7, v6, v3 :: v_dual_lshlrev_b32 v6, 23, v6
	v_lshrrev_b32_e32 v7, 4, v7
	s_delay_alu instid0(VALU_DEP_1) | instskip(NEXT) | instid1(VALU_DEP_1)
	v_dual_sub_nc_u32 v6, v7, v6 :: v_dual_ashrrev_i32 v7, 8, v8
	v_add_nc_u32_e32 v6, 0x3c000000, v6
	s_delay_alu instid0(VALU_DEP_1) | instskip(NEXT) | instid1(VALU_DEP_1)
	v_and_or_b32 v6, 0x7f800000, v7, v6
	v_cndmask_b32_e32 v3, 0, v6, vcc_lo
	s_delay_alu instid0(VALU_DEP_1) | instskip(NEXT) | instid1(VALU_DEP_1)
	v_and_or_b32 v1, 0x80000000, v1, v3
	v_trunc_f32_e32 v1, v1
	s_delay_alu instid0(VALU_DEP_1) | instskip(SKIP_1) | instid1(VALU_DEP_2)
	v_mul_f32_e64 v3, 0x2f800000, |v1|
	v_ashrrev_i32_e32 v6, 31, v1
	v_floor_f32_e32 v3, v3
	s_delay_alu instid0(VALU_DEP_1) | instskip(SKIP_1) | instid1(VALU_DEP_2)
	v_fma_f32 v7, 0xcf800000, v3, |v1|
	v_cvt_u32_f32_e32 v1, v3
	v_cvt_u32_f32_e32 v3, v7
	s_delay_alu instid0(VALU_DEP_2) | instskip(NEXT) | instid1(VALU_DEP_2)
	v_dual_mov_b32 v7, v6 :: v_dual_bitop2_b32 v9, v1, v6 bitop3:0x14
	v_xor_b32_e32 v8, v3, v6
	s_delay_alu instid0(VALU_DEP_1)
	v_sub_nc_u64_e32 v[6:7], v[8:9], v[6:7]
.LBB15_327:
	s_mov_b32 s27, 0
.LBB15_328:
	s_delay_alu instid0(SALU_CYCLE_1)
	s_and_not1_b32 vcc_lo, exec_lo, s27
	s_cbranch_vccnz .LBB15_330
; %bb.329:
	global_load_u8 v1, v[4:5], off
	s_wait_loadcnt 0x0
	v_lshlrev_b32_e32 v3, 25, v1
	v_lshlrev_b16 v1, 8, v1
	s_delay_alu instid0(VALU_DEP_1) | instskip(SKIP_1) | instid1(VALU_DEP_2)
	v_and_or_b32 v7, 0x7f00, v1, 0.5
	v_bfe_i32 v1, v1, 0, 16
	v_add_f32_e32 v7, -0.5, v7
	v_lshrrev_b32_e32 v6, 4, v3
	v_cmp_gt_u32_e32 vcc_lo, 0x8000000, v3
	s_delay_alu instid0(VALU_DEP_2) | instskip(NEXT) | instid1(VALU_DEP_1)
	v_or_b32_e32 v6, 0x70000000, v6
	v_mul_f32_e32 v6, 0x7800000, v6
	s_delay_alu instid0(VALU_DEP_1) | instskip(NEXT) | instid1(VALU_DEP_1)
	v_cndmask_b32_e32 v3, v6, v7, vcc_lo
	v_and_or_b32 v1, 0x80000000, v1, v3
	s_delay_alu instid0(VALU_DEP_1) | instskip(NEXT) | instid1(VALU_DEP_1)
	v_trunc_f32_e32 v1, v1
	v_mul_f32_e64 v3, 0x2f800000, |v1|
	v_ashrrev_i32_e32 v6, 31, v1
	s_delay_alu instid0(VALU_DEP_2) | instskip(NEXT) | instid1(VALU_DEP_1)
	v_floor_f32_e32 v3, v3
	v_fma_f32 v7, 0xcf800000, v3, |v1|
	v_cvt_u32_f32_e32 v1, v3
	s_delay_alu instid0(VALU_DEP_2) | instskip(NEXT) | instid1(VALU_DEP_2)
	v_cvt_u32_f32_e32 v3, v7
	v_dual_mov_b32 v7, v6 :: v_dual_bitop2_b32 v9, v1, v6 bitop3:0x14
	s_delay_alu instid0(VALU_DEP_2) | instskip(NEXT) | instid1(VALU_DEP_1)
	v_xor_b32_e32 v8, v3, v6
	v_sub_nc_u64_e32 v[6:7], v[8:9], v[6:7]
.LBB15_330:
	s_mov_b32 s28, 0
	s_mov_b32 s27, -1
.LBB15_331:
	s_and_not1_b32 vcc_lo, exec_lo, s28
	s_cbranch_vccnz .LBB15_344
; %bb.332:
	s_cmp_gt_i32 s0, 14
	s_cbranch_scc0 .LBB15_335
; %bb.333:
	s_cmp_eq_u32 s0, 15
	s_cbranch_scc0 .LBB15_338
; %bb.334:
	global_load_u16 v1, v[4:5], off
	s_mov_b32 s27, -1
	s_mov_b32 s26, 0
	s_wait_loadcnt 0x0
	v_lshlrev_b32_e32 v1, 16, v1
	s_delay_alu instid0(VALU_DEP_1) | instskip(NEXT) | instid1(VALU_DEP_1)
	v_trunc_f32_e32 v1, v1
	v_mul_f32_e64 v3, 0x2f800000, |v1|
	v_ashrrev_i32_e32 v6, 31, v1
	s_delay_alu instid0(VALU_DEP_2) | instskip(NEXT) | instid1(VALU_DEP_1)
	v_floor_f32_e32 v3, v3
	v_fma_f32 v7, 0xcf800000, v3, |v1|
	v_cvt_u32_f32_e32 v1, v3
	s_delay_alu instid0(VALU_DEP_2) | instskip(NEXT) | instid1(VALU_DEP_2)
	v_cvt_u32_f32_e32 v3, v7
	v_dual_mov_b32 v7, v6 :: v_dual_bitop2_b32 v9, v1, v6 bitop3:0x14
	s_delay_alu instid0(VALU_DEP_2) | instskip(NEXT) | instid1(VALU_DEP_1)
	v_xor_b32_e32 v8, v3, v6
	v_sub_nc_u64_e32 v[6:7], v[8:9], v[6:7]
	s_branch .LBB15_339
.LBB15_335:
	s_mov_b32 s28, -1
                                        ; implicit-def: $vgpr6_vgpr7
	s_branch .LBB15_340
.LBB15_336:
	s_and_not1_saveexec_b32 s27, s27
	s_cbranch_execz .LBB15_317
.LBB15_337:
	v_cmp_ne_u16_e32 vcc_lo, 0, v1
	s_and_not1_b32 s28, s28, exec_lo
	s_and_b32 s29, vcc_lo, exec_lo
	s_delay_alu instid0(SALU_CYCLE_1)
	s_or_b32 s28, s28, s29
	s_or_b32 exec_lo, exec_lo, s27
	v_mov_b64_e32 v[6:7], 0
	s_and_saveexec_b32 s27, s28
	s_cbranch_execnz .LBB15_318
	s_branch .LBB15_319
.LBB15_338:
	s_mov_b32 s26, -1
                                        ; implicit-def: $vgpr6_vgpr7
.LBB15_339:
	s_mov_b32 s28, 0
.LBB15_340:
	s_delay_alu instid0(SALU_CYCLE_1)
	s_and_b32 vcc_lo, exec_lo, s28
	s_cbranch_vccz .LBB15_344
; %bb.341:
	s_cmp_eq_u32 s0, 11
	s_cbranch_scc0 .LBB15_343
; %bb.342:
	global_load_u8 v1, v[4:5], off
	s_mov_b32 s26, 0
	s_mov_b32 s27, -1
	s_wait_loadcnt 0x1
	v_mov_b32_e32 v7, s26
	s_wait_loadcnt 0x0
	v_cmp_ne_u16_e32 vcc_lo, 0, v1
	v_cndmask_b32_e64 v6, 0, 1, vcc_lo
	s_branch .LBB15_344
.LBB15_343:
	s_mov_b32 s26, -1
                                        ; implicit-def: $vgpr6_vgpr7
.LBB15_344:
	s_branch .LBB15_265
.LBB15_345:
	s_cmp_lt_i32 s0, 5
	s_cbranch_scc1 .LBB15_350
; %bb.346:
	s_cmp_lt_i32 s0, 8
	s_cbranch_scc1 .LBB15_351
; %bb.347:
	;; [unrolled: 3-line block ×3, first 2 shown]
	s_cmp_gt_i32 s0, 9
	s_cbranch_scc0 .LBB15_353
; %bb.349:
	s_wait_loadcnt 0x0
	global_load_b64 v[6:7], v[4:5], off
	s_mov_b32 s27, 0
	s_wait_loadcnt 0x0
	v_trunc_f64_e32 v[6:7], v[6:7]
	s_delay_alu instid0(VALU_DEP_1) | instskip(NEXT) | instid1(VALU_DEP_1)
	v_ldexp_f64 v[8:9], v[6:7], 0xffffffe0
	v_floor_f64_e32 v[8:9], v[8:9]
	s_delay_alu instid0(VALU_DEP_1) | instskip(SKIP_1) | instid1(VALU_DEP_2)
	v_fmamk_f64 v[10:11], v[8:9], 0xc1f00000, v[6:7]
	v_cvt_i32_f64_e32 v7, v[8:9]
	v_cvt_u32_f64_e32 v6, v[10:11]
	s_branch .LBB15_354
.LBB15_350:
	s_mov_b32 s27, -1
                                        ; implicit-def: $vgpr6_vgpr7
	s_branch .LBB15_372
.LBB15_351:
	s_mov_b32 s27, -1
                                        ; implicit-def: $vgpr6_vgpr7
	s_branch .LBB15_360
.LBB15_352:
	s_mov_b32 s27, -1
                                        ; implicit-def: $vgpr6_vgpr7
	s_branch .LBB15_357
.LBB15_353:
	s_mov_b32 s27, -1
                                        ; implicit-def: $vgpr6_vgpr7
.LBB15_354:
	s_delay_alu instid0(SALU_CYCLE_1)
	s_and_not1_b32 vcc_lo, exec_lo, s27
	s_cbranch_vccnz .LBB15_356
; %bb.355:
	global_load_b32 v1, v[4:5], off
	s_wait_loadcnt 0x0
	v_trunc_f32_e32 v1, v1
	s_delay_alu instid0(VALU_DEP_1) | instskip(SKIP_1) | instid1(VALU_DEP_2)
	v_mul_f32_e64 v3, 0x2f800000, |v1|
	v_ashrrev_i32_e32 v6, 31, v1
	v_floor_f32_e32 v3, v3
	s_delay_alu instid0(VALU_DEP_1) | instskip(SKIP_1) | instid1(VALU_DEP_2)
	v_fma_f32 v7, 0xcf800000, v3, |v1|
	v_cvt_u32_f32_e32 v1, v3
	v_cvt_u32_f32_e32 v3, v7
	s_delay_alu instid0(VALU_DEP_2) | instskip(NEXT) | instid1(VALU_DEP_2)
	v_dual_mov_b32 v7, v6 :: v_dual_bitop2_b32 v9, v1, v6 bitop3:0x14
	v_xor_b32_e32 v8, v3, v6
	s_delay_alu instid0(VALU_DEP_1)
	v_sub_nc_u64_e32 v[6:7], v[8:9], v[6:7]
.LBB15_356:
	s_mov_b32 s27, 0
.LBB15_357:
	s_delay_alu instid0(SALU_CYCLE_1)
	s_and_not1_b32 vcc_lo, exec_lo, s27
	s_cbranch_vccnz .LBB15_359
; %bb.358:
	global_load_b32 v1, v[4:5], off
	s_wait_loadcnt 0x0
	v_cvt_f32_f16_e32 v1, v1
	s_delay_alu instid0(VALU_DEP_1) | instskip(NEXT) | instid1(VALU_DEP_1)
	v_cvt_i32_f32_e32 v6, v1
	v_ashrrev_i32_e32 v7, 31, v6
.LBB15_359:
	s_mov_b32 s27, 0
.LBB15_360:
	s_delay_alu instid0(SALU_CYCLE_1)
	s_and_not1_b32 vcc_lo, exec_lo, s27
	s_cbranch_vccnz .LBB15_371
; %bb.361:
	s_cmp_lt_i32 s0, 6
	s_cbranch_scc1 .LBB15_364
; %bb.362:
	s_cmp_gt_i32 s0, 6
	s_cbranch_scc0 .LBB15_365
; %bb.363:
	s_wait_loadcnt 0x0
	global_load_b64 v[6:7], v[4:5], off
	s_mov_b32 s27, 0
	s_wait_loadcnt 0x0
	v_trunc_f64_e32 v[6:7], v[6:7]
	s_delay_alu instid0(VALU_DEP_1) | instskip(NEXT) | instid1(VALU_DEP_1)
	v_ldexp_f64 v[8:9], v[6:7], 0xffffffe0
	v_floor_f64_e32 v[8:9], v[8:9]
	s_delay_alu instid0(VALU_DEP_1) | instskip(SKIP_1) | instid1(VALU_DEP_2)
	v_fmamk_f64 v[10:11], v[8:9], 0xc1f00000, v[6:7]
	v_cvt_i32_f64_e32 v7, v[8:9]
	v_cvt_u32_f64_e32 v6, v[10:11]
	s_branch .LBB15_366
.LBB15_364:
	s_mov_b32 s27, -1
                                        ; implicit-def: $vgpr6_vgpr7
	s_branch .LBB15_369
.LBB15_365:
	s_mov_b32 s27, -1
                                        ; implicit-def: $vgpr6_vgpr7
.LBB15_366:
	s_delay_alu instid0(SALU_CYCLE_1)
	s_and_not1_b32 vcc_lo, exec_lo, s27
	s_cbranch_vccnz .LBB15_368
; %bb.367:
	global_load_b32 v1, v[4:5], off
	s_wait_loadcnt 0x0
	v_trunc_f32_e32 v1, v1
	s_delay_alu instid0(VALU_DEP_1) | instskip(SKIP_1) | instid1(VALU_DEP_2)
	v_mul_f32_e64 v3, 0x2f800000, |v1|
	v_ashrrev_i32_e32 v6, 31, v1
	v_floor_f32_e32 v3, v3
	s_delay_alu instid0(VALU_DEP_1) | instskip(SKIP_1) | instid1(VALU_DEP_2)
	v_fma_f32 v7, 0xcf800000, v3, |v1|
	v_cvt_u32_f32_e32 v1, v3
	v_cvt_u32_f32_e32 v3, v7
	s_delay_alu instid0(VALU_DEP_2) | instskip(NEXT) | instid1(VALU_DEP_2)
	v_dual_mov_b32 v7, v6 :: v_dual_bitop2_b32 v9, v1, v6 bitop3:0x14
	v_xor_b32_e32 v8, v3, v6
	s_delay_alu instid0(VALU_DEP_1)
	v_sub_nc_u64_e32 v[6:7], v[8:9], v[6:7]
.LBB15_368:
	s_mov_b32 s27, 0
.LBB15_369:
	s_delay_alu instid0(SALU_CYCLE_1)
	s_and_not1_b32 vcc_lo, exec_lo, s27
	s_cbranch_vccnz .LBB15_371
; %bb.370:
	global_load_u16 v1, v[4:5], off
	s_wait_loadcnt 0x0
	v_cvt_f32_f16_e32 v1, v1
	s_delay_alu instid0(VALU_DEP_1) | instskip(NEXT) | instid1(VALU_DEP_1)
	v_cvt_i32_f32_e32 v6, v1
	v_ashrrev_i32_e32 v7, 31, v6
.LBB15_371:
	s_mov_b32 s27, 0
.LBB15_372:
	s_delay_alu instid0(SALU_CYCLE_1)
	s_and_not1_b32 vcc_lo, exec_lo, s27
	s_cbranch_vccnz .LBB15_392
; %bb.373:
	s_cmp_lt_i32 s0, 2
	s_cbranch_scc1 .LBB15_377
; %bb.374:
	s_cmp_lt_i32 s0, 3
	s_cbranch_scc1 .LBB15_378
; %bb.375:
	s_cmp_gt_i32 s0, 3
	s_cbranch_scc0 .LBB15_379
; %bb.376:
	s_wait_loadcnt 0x0
	global_load_b64 v[6:7], v[4:5], off
	s_mov_b32 s27, 0
	s_branch .LBB15_380
.LBB15_377:
	s_mov_b32 s27, -1
                                        ; implicit-def: $vgpr6_vgpr7
	s_branch .LBB15_386
.LBB15_378:
	s_mov_b32 s27, -1
                                        ; implicit-def: $vgpr6_vgpr7
	s_branch .LBB15_383
.LBB15_379:
	s_mov_b32 s27, -1
                                        ; implicit-def: $vgpr6_vgpr7
.LBB15_380:
	s_delay_alu instid0(SALU_CYCLE_1)
	s_and_not1_b32 vcc_lo, exec_lo, s27
	s_cbranch_vccnz .LBB15_382
; %bb.381:
	s_wait_loadcnt 0x0
	global_load_b32 v6, v[4:5], off
	s_wait_loadcnt 0x0
	v_ashrrev_i32_e32 v7, 31, v6
.LBB15_382:
	s_mov_b32 s27, 0
.LBB15_383:
	s_delay_alu instid0(SALU_CYCLE_1)
	s_and_not1_b32 vcc_lo, exec_lo, s27
	s_cbranch_vccnz .LBB15_385
; %bb.384:
	global_load_u16 v1, v[4:5], off
	s_wait_loadcnt 0x0
	v_bfe_i32 v6, v1, 0, 16
	s_delay_alu instid0(VALU_DEP_1)
	v_ashrrev_i32_e32 v7, 31, v6
.LBB15_385:
	s_mov_b32 s27, 0
.LBB15_386:
	s_delay_alu instid0(SALU_CYCLE_1)
	s_and_not1_b32 vcc_lo, exec_lo, s27
	s_cbranch_vccnz .LBB15_392
; %bb.387:
	s_cmp_gt_i32 s0, 0
	s_mov_b32 s0, 0
	s_cbranch_scc0 .LBB15_389
; %bb.388:
	global_load_i8 v1, v[4:5], off
	s_wait_loadcnt 0x0
	v_bfe_i32 v6, v1, 0, 16
	s_delay_alu instid0(VALU_DEP_1)
	v_ashrrev_i32_e32 v7, 31, v6
	s_branch .LBB15_390
.LBB15_389:
	s_mov_b32 s0, -1
                                        ; implicit-def: $vgpr6_vgpr7
.LBB15_390:
	s_delay_alu instid0(SALU_CYCLE_1)
	s_and_not1_b32 vcc_lo, exec_lo, s0
	s_cbranch_vccnz .LBB15_392
; %bb.391:
	global_load_u8 v1, v[4:5], off
	s_mov_b32 s0, 0
	s_wait_loadcnt 0x1
	v_mov_b32_e32 v7, s0
	s_wait_loadcnt 0x0
	v_and_b32_e32 v6, 0xffff, v1
.LBB15_392:
	s_branch .LBB15_266
.LBB15_393:
	s_mov_b32 s27, 0
	s_mov_b32 s29, s44
	s_mov_b32 s28, s45
                                        ; implicit-def: $vgpr0
	s_branch .LBB15_478
.LBB15_394:
	s_mov_b32 s31, -1
	s_mov_b32 s30, 0
	s_mov_b32 s27, s44
.LBB15_395:
	s_and_b32 vcc_lo, exec_lo, s31
	s_cbranch_vccz .LBB15_398
; %bb.396:
	s_cmp_eq_u32 s29, 44
	s_mov_b32 s27, -1
	s_cbranch_scc0 .LBB15_398
; %bb.397:
	s_wait_xcnt 0x0
	v_mov_b32_e32 v1, 0
	s_mov_b32 s30, -1
	s_mov_b32 s27, 0
	global_store_b8 v[2:3], v1, off
.LBB15_398:
	s_mov_b32 s31, 0
.LBB15_399:
	s_delay_alu instid0(SALU_CYCLE_1)
	s_and_b32 vcc_lo, exec_lo, s31
	s_cbranch_vccz .LBB15_402
; %bb.400:
	s_cmp_eq_u32 s29, 29
	s_mov_b32 s27, -1
	s_cbranch_scc0 .LBB15_402
; %bb.401:
	v_mov_b64_e32 v[4:5], 0
	s_mov_b32 s30, -1
	s_mov_b32 s27, 0
	s_mov_b32 s31, 0
	global_store_b64 v[2:3], v[4:5], off
	s_branch .LBB15_403
.LBB15_402:
	s_mov_b32 s31, 0
.LBB15_403:
	s_delay_alu instid0(SALU_CYCLE_1)
	s_and_b32 vcc_lo, exec_lo, s31
	s_cbranch_vccz .LBB15_413
; %bb.404:
	s_cmp_lt_i32 s29, 27
	s_mov_b32 s30, -1
	s_cbranch_scc1 .LBB15_410
; %bb.405:
	s_cmp_gt_i32 s29, 27
	s_cbranch_scc0 .LBB15_407
; %bb.406:
	s_wait_xcnt 0x0
	v_mov_b32_e32 v1, 0
	s_mov_b32 s30, 0
	global_store_b32 v[2:3], v1, off
.LBB15_407:
	s_and_not1_b32 vcc_lo, exec_lo, s30
	s_cbranch_vccnz .LBB15_409
; %bb.408:
	s_wait_xcnt 0x0
	v_mov_b32_e32 v1, 0
	global_store_b16 v[2:3], v1, off
.LBB15_409:
	s_mov_b32 s30, 0
.LBB15_410:
	s_delay_alu instid0(SALU_CYCLE_1)
	s_and_not1_b32 vcc_lo, exec_lo, s30
	s_cbranch_vccnz .LBB15_412
; %bb.411:
	s_wait_xcnt 0x0
	v_mov_b32_e32 v1, 0
	global_store_b8 v[2:3], v1, off
.LBB15_412:
	s_mov_b32 s30, -1
.LBB15_413:
	s_mov_b32 s31, 0
.LBB15_414:
	s_delay_alu instid0(SALU_CYCLE_1)
	s_and_b32 vcc_lo, exec_lo, s31
	s_cbranch_vccz .LBB15_433
; %bb.415:
	s_cmp_gt_i32 s29, 22
	s_mov_b32 s31, -1
	s_cbranch_scc0 .LBB15_425
; %bb.416:
	s_cmp_lt_i32 s29, 24
	s_mov_b32 s30, -1
	s_cbranch_scc1 .LBB15_422
; %bb.417:
	s_cmp_gt_i32 s29, 24
	s_cbranch_scc0 .LBB15_419
; %bb.418:
	s_wait_xcnt 0x0
	v_mov_b32_e32 v1, 0
	s_mov_b32 s30, 0
	global_store_b8 v[2:3], v1, off
.LBB15_419:
	s_and_not1_b32 vcc_lo, exec_lo, s30
	s_cbranch_vccnz .LBB15_421
; %bb.420:
	s_wait_xcnt 0x0
	v_mov_b32_e32 v1, 0
	global_store_b8 v[2:3], v1, off
.LBB15_421:
	s_mov_b32 s30, 0
.LBB15_422:
	s_delay_alu instid0(SALU_CYCLE_1)
	s_and_not1_b32 vcc_lo, exec_lo, s30
	s_cbranch_vccnz .LBB15_424
; %bb.423:
	s_wait_xcnt 0x0
	v_mov_b32_e32 v1, 0
	global_store_b8 v[2:3], v1, off
.LBB15_424:
	s_mov_b32 s31, 0
	s_mov_b32 s30, -1
.LBB15_425:
	s_and_not1_b32 vcc_lo, exec_lo, s31
	s_cbranch_vccnz .LBB15_433
; %bb.426:
	s_cmp_gt_i32 s29, 14
	s_mov_b32 s31, -1
	s_cbranch_scc0 .LBB15_430
; %bb.427:
	s_cmp_eq_u32 s29, 15
	s_mov_b32 s27, -1
	s_cbranch_scc0 .LBB15_429
; %bb.428:
	s_wait_xcnt 0x0
	v_mov_b32_e32 v1, 0
	s_mov_b32 s30, -1
	s_mov_b32 s27, 0
	global_store_b16 v[2:3], v1, off
.LBB15_429:
	s_mov_b32 s31, 0
.LBB15_430:
	s_delay_alu instid0(SALU_CYCLE_1)
	s_and_b32 vcc_lo, exec_lo, s31
	s_cbranch_vccz .LBB15_433
; %bb.431:
	s_cmp_eq_u32 s29, 11
	s_mov_b32 s27, -1
	s_cbranch_scc0 .LBB15_433
; %bb.432:
	s_wait_xcnt 0x0
	v_mov_b32_e32 v1, 0
	s_mov_b32 s30, -1
	s_mov_b32 s27, 0
	global_store_b8 v[2:3], v1, off
.LBB15_433:
	s_mov_b32 s29, 0
.LBB15_434:
	s_delay_alu instid0(SALU_CYCLE_1)
	s_and_b32 vcc_lo, exec_lo, s29
	s_cbranch_vccz .LBB15_473
; %bb.435:
	s_and_b32 s28, 0xffff, s28
	s_mov_b32 s29, -1
	s_cmp_lt_i32 s28, 5
	s_cbranch_scc1 .LBB15_456
; %bb.436:
	s_cmp_lt_i32 s28, 8
	s_cbranch_scc1 .LBB15_446
; %bb.437:
	;; [unrolled: 3-line block ×3, first 2 shown]
	s_cmp_gt_i32 s28, 9
	s_cbranch_scc0 .LBB15_440
; %bb.439:
	s_wait_xcnt 0x0
	v_mov_b32_e32 v4, 0
	s_mov_b32 s29, 0
	s_delay_alu instid0(VALU_DEP_1)
	v_dual_mov_b32 v5, v4 :: v_dual_mov_b32 v6, v4
	v_mov_b32_e32 v7, v4
	global_store_b128 v[2:3], v[4:7], off
.LBB15_440:
	s_and_not1_b32 vcc_lo, exec_lo, s29
	s_cbranch_vccnz .LBB15_442
; %bb.441:
	s_wait_xcnt 0x0
	v_mov_b64_e32 v[4:5], 0
	global_store_b64 v[2:3], v[4:5], off
.LBB15_442:
	s_mov_b32 s29, 0
.LBB15_443:
	s_delay_alu instid0(SALU_CYCLE_1)
	s_and_not1_b32 vcc_lo, exec_lo, s29
	s_cbranch_vccnz .LBB15_445
; %bb.444:
	s_wait_xcnt 0x0
	v_mov_b32_e32 v1, 0
	global_store_b32 v[2:3], v1, off
.LBB15_445:
	s_mov_b32 s29, 0
.LBB15_446:
	s_delay_alu instid0(SALU_CYCLE_1)
	s_and_not1_b32 vcc_lo, exec_lo, s29
	s_cbranch_vccnz .LBB15_455
; %bb.447:
	s_cmp_lt_i32 s28, 6
	s_mov_b32 s29, -1
	s_cbranch_scc1 .LBB15_453
; %bb.448:
	s_cmp_gt_i32 s28, 6
	s_cbranch_scc0 .LBB15_450
; %bb.449:
	s_wait_xcnt 0x0
	v_mov_b64_e32 v[4:5], 0
	s_mov_b32 s29, 0
	global_store_b64 v[2:3], v[4:5], off
.LBB15_450:
	s_and_not1_b32 vcc_lo, exec_lo, s29
	s_cbranch_vccnz .LBB15_452
; %bb.451:
	s_wait_xcnt 0x0
	v_mov_b32_e32 v1, 0
	global_store_b32 v[2:3], v1, off
.LBB15_452:
	s_mov_b32 s29, 0
.LBB15_453:
	s_delay_alu instid0(SALU_CYCLE_1)
	s_and_not1_b32 vcc_lo, exec_lo, s29
	s_cbranch_vccnz .LBB15_455
; %bb.454:
	s_wait_xcnt 0x0
	v_mov_b32_e32 v1, 0
	global_store_b16 v[2:3], v1, off
.LBB15_455:
	s_mov_b32 s29, 0
.LBB15_456:
	s_delay_alu instid0(SALU_CYCLE_1)
	s_and_not1_b32 vcc_lo, exec_lo, s29
	s_cbranch_vccnz .LBB15_472
; %bb.457:
	s_cmp_lt_i32 s28, 2
	s_mov_b32 s29, -1
	s_cbranch_scc1 .LBB15_467
; %bb.458:
	s_cmp_lt_i32 s28, 3
	s_cbranch_scc1 .LBB15_464
; %bb.459:
	s_cmp_gt_i32 s28, 3
	s_cbranch_scc0 .LBB15_461
; %bb.460:
	s_wait_xcnt 0x0
	v_mov_b64_e32 v[4:5], 0
	s_mov_b32 s29, 0
	global_store_b64 v[2:3], v[4:5], off
.LBB15_461:
	s_and_not1_b32 vcc_lo, exec_lo, s29
	s_cbranch_vccnz .LBB15_463
; %bb.462:
	s_wait_xcnt 0x0
	v_mov_b32_e32 v1, 0
	global_store_b32 v[2:3], v1, off
.LBB15_463:
	s_mov_b32 s29, 0
.LBB15_464:
	s_delay_alu instid0(SALU_CYCLE_1)
	s_and_not1_b32 vcc_lo, exec_lo, s29
	s_cbranch_vccnz .LBB15_466
; %bb.465:
	s_wait_xcnt 0x0
	v_mov_b32_e32 v1, 0
	global_store_b16 v[2:3], v1, off
.LBB15_466:
	s_mov_b32 s29, 0
.LBB15_467:
	s_delay_alu instid0(SALU_CYCLE_1)
	s_and_not1_b32 vcc_lo, exec_lo, s29
	s_cbranch_vccnz .LBB15_472
; %bb.468:
	s_cmp_gt_i32 s28, 0
	s_mov_b32 s28, -1
	s_cbranch_scc0 .LBB15_470
; %bb.469:
	s_wait_xcnt 0x0
	v_mov_b32_e32 v1, 0
	s_mov_b32 s28, 0
	global_store_b8 v[2:3], v1, off
.LBB15_470:
	s_and_not1_b32 vcc_lo, exec_lo, s28
	s_cbranch_vccnz .LBB15_472
; %bb.471:
	s_wait_xcnt 0x0
	v_mov_b32_e32 v1, 0
	global_store_b8 v[2:3], v1, off
.LBB15_472:
	s_mov_b32 s30, -1
.LBB15_473:
	s_delay_alu instid0(SALU_CYCLE_1)
	s_and_not1_b32 vcc_lo, exec_lo, s30
	s_cbranch_vccnz .LBB15_475
; %bb.474:
	v_add_nc_u32_e32 v0, 0x80, v0
	s_mov_b32 s30, -1
	s_branch .LBB15_476
.LBB15_475:
	s_mov_b32 s30, 0
                                        ; implicit-def: $vgpr0
.LBB15_476:
	s_and_not1_b32 s28, s44, exec_lo
	s_and_b32 s27, s27, exec_lo
	s_delay_alu instid0(SALU_CYCLE_1)
	s_or_b32 s29, s28, s27
	s_xor_b32 s28, exec_lo, -1
	s_and_b32 s27, s30, exec_lo
.LBB15_477:
	s_wait_xcnt 0x0
	s_or_b32 exec_lo, exec_lo, s0
.LBB15_478:
	s_delay_alu instid0(SALU_CYCLE_1)
	s_and_not1_b32 s0, s44, exec_lo
	s_and_b32 s29, s29, exec_lo
	s_and_b32 s28, s28, exec_lo
	s_or_b32 s49, s0, s29
	s_and_not1_b32 s0, s45, exec_lo
	s_and_not1_b32 s29, s46, exec_lo
	s_and_b32 s26, s26, exec_lo
	s_or_b32 s50, s0, s28
	s_or_b32 s48, s29, s26
	s_or_not1_b32 s0, s27, exec_lo
.LBB15_479:
	s_wait_xcnt 0x0
	s_or_b32 exec_lo, exec_lo, s51
	s_mov_b32 s26, 0
	s_mov_b32 s27, 0
	;; [unrolled: 1-line block ×3, first 2 shown]
                                        ; implicit-def: $vgpr4_vgpr5
                                        ; implicit-def: $vgpr2
                                        ; implicit-def: $vgpr6_vgpr7
	s_and_saveexec_b32 s51, s0
	s_cbranch_execz .LBB15_816
; %bb.480:
	s_mov_b32 s29, -1
	s_mov_b32 s0, s48
	s_mov_b32 s31, s50
	;; [unrolled: 1-line block ×3, first 2 shown]
	s_mov_b32 s52, exec_lo
	v_cmpx_gt_i32_e64 s41, v0
	s_cbranch_execz .LBB15_721
; %bb.481:
	s_and_not1_b32 vcc_lo, exec_lo, s36
	s_cbranch_vccnz .LBB15_487
; %bb.482:
	s_and_not1_b32 vcc_lo, exec_lo, s43
	s_cbranch_vccnz .LBB15_488
; %bb.483:
	s_add_co_i32 s0, s42, 1
	s_cmp_eq_u32 s34, 2
	s_cbranch_scc1 .LBB15_489
; %bb.484:
	v_dual_mov_b32 v2, 0 :: v_dual_mov_b32 v4, 0
	v_mov_b32_e32 v1, v0
	s_and_b32 s26, s0, 28
	s_mov_b64 s[28:29], s[2:3]
	s_mov_b64 s[30:31], s[24:25]
.LBB15_485:                             ; =>This Inner Loop Header: Depth=1
	s_clause 0x1
	s_load_b256 s[56:63], s[28:29], 0x4
	s_load_b128 s[72:75], s[28:29], 0x24
	s_load_b256 s[64:71], s[30:31], 0x0
	s_add_co_i32 s27, s27, 4
	s_wait_xcnt 0x0
	s_add_nc_u64 s[28:29], s[28:29], 48
	s_cmp_eq_u32 s26, s27
	s_add_nc_u64 s[30:31], s[30:31], 32
	s_wait_kmcnt 0x0
	v_mul_hi_u32 v3, s57, v1
	s_delay_alu instid0(VALU_DEP_1) | instskip(NEXT) | instid1(VALU_DEP_1)
	v_add_nc_u32_e32 v3, v1, v3
	v_lshrrev_b32_e32 v3, s58, v3
	s_delay_alu instid0(VALU_DEP_1) | instskip(NEXT) | instid1(VALU_DEP_1)
	v_mul_hi_u32 v5, s60, v3
	v_add_nc_u32_e32 v5, v3, v5
	s_delay_alu instid0(VALU_DEP_1) | instskip(SKIP_1) | instid1(VALU_DEP_1)
	v_lshrrev_b32_e32 v5, s61, v5
	s_wait_loadcnt 0x0
	v_mul_hi_u32 v6, s63, v5
	s_delay_alu instid0(VALU_DEP_1) | instskip(SKIP_1) | instid1(VALU_DEP_1)
	v_add_nc_u32_e32 v6, v5, v6
	v_mul_lo_u32 v7, v3, s56
	v_sub_nc_u32_e32 v1, v1, v7
	v_mul_lo_u32 v7, v5, s59
	s_delay_alu instid0(VALU_DEP_4) | instskip(NEXT) | instid1(VALU_DEP_3)
	v_lshrrev_b32_e32 v6, s72, v6
	v_mad_u32 v4, v1, s65, v4
	v_mad_u32 v1, v1, s64, v2
	s_delay_alu instid0(VALU_DEP_4) | instskip(NEXT) | instid1(VALU_DEP_4)
	v_sub_nc_u32_e32 v2, v3, v7
	v_mul_hi_u32 v8, s74, v6
	v_mul_lo_u32 v3, v6, s62
	s_delay_alu instid0(VALU_DEP_3) | instskip(SKIP_1) | instid1(VALU_DEP_3)
	v_mad_u32 v4, v2, s67, v4
	v_mad_u32 v2, v2, s66, v1
	v_dual_add_nc_u32 v7, v6, v8 :: v_dual_sub_nc_u32 v3, v5, v3
	s_delay_alu instid0(VALU_DEP_1) | instskip(NEXT) | instid1(VALU_DEP_2)
	v_lshrrev_b32_e32 v1, s75, v7
	v_mad_u32 v4, v3, s69, v4
	s_delay_alu instid0(VALU_DEP_4) | instskip(NEXT) | instid1(VALU_DEP_3)
	v_mad_u32 v2, v3, s68, v2
	v_mul_lo_u32 v5, v1, s73
	s_delay_alu instid0(VALU_DEP_1) | instskip(NEXT) | instid1(VALU_DEP_1)
	v_sub_nc_u32_e32 v3, v6, v5
	v_mad_u32 v4, v3, s71, v4
	s_delay_alu instid0(VALU_DEP_4)
	v_mad_u32 v2, v3, s70, v2
	s_cbranch_scc0 .LBB15_485
; %bb.486:
	s_delay_alu instid0(VALU_DEP_2)
	v_mov_b32_e32 v3, v4
	s_branch .LBB15_490
.LBB15_487:
	s_mov_b32 s0, -1
                                        ; implicit-def: $vgpr4
                                        ; implicit-def: $vgpr2
	s_branch .LBB15_495
.LBB15_488:
	v_dual_mov_b32 v4, 0 :: v_dual_mov_b32 v2, 0
	s_branch .LBB15_494
.LBB15_489:
	v_mov_b64_e32 v[2:3], 0
	v_mov_b32_e32 v1, v0
                                        ; implicit-def: $vgpr4
.LBB15_490:
	s_and_b32 s0, s0, 3
	s_mov_b32 s27, 0
	s_cmp_eq_u32 s0, 0
	s_cbranch_scc1 .LBB15_494
; %bb.491:
	s_lshl_b32 s28, s26, 3
	s_mov_b32 s29, s27
	s_mul_u64 s[30:31], s[26:27], 12
	s_add_nc_u64 s[28:29], s[2:3], s[28:29]
	s_delay_alu instid0(SALU_CYCLE_1)
	s_add_nc_u64 s[26:27], s[28:29], 0xc4
	s_add_nc_u64 s[28:29], s[2:3], s[30:31]
.LBB15_492:                             ; =>This Inner Loop Header: Depth=1
	s_load_b96 s[56:58], s[28:29], 0x4
	s_load_b64 s[30:31], s[26:27], 0x0
	s_add_co_i32 s0, s0, -1
	s_wait_xcnt 0x0
	s_add_nc_u64 s[28:29], s[28:29], 12
	s_cmp_lg_u32 s0, 0
	s_add_nc_u64 s[26:27], s[26:27], 8
	s_wait_kmcnt 0x0
	v_mul_hi_u32 v4, s57, v1
	s_delay_alu instid0(VALU_DEP_1) | instskip(NEXT) | instid1(VALU_DEP_1)
	v_add_nc_u32_e32 v4, v1, v4
	v_lshrrev_b32_e32 v4, s58, v4
	s_delay_alu instid0(VALU_DEP_1) | instskip(NEXT) | instid1(VALU_DEP_1)
	v_mul_lo_u32 v5, v4, s56
	v_sub_nc_u32_e32 v1, v1, v5
	s_delay_alu instid0(VALU_DEP_1)
	v_mad_u32 v3, v1, s31, v3
	v_mad_u32 v2, v1, s30, v2
	v_mov_b32_e32 v1, v4
	s_cbranch_scc1 .LBB15_492
; %bb.493:
	s_delay_alu instid0(VALU_DEP_3)
	v_mov_b32_e32 v4, v3
.LBB15_494:
	s_mov_b32 s0, 0
.LBB15_495:
	s_delay_alu instid0(SALU_CYCLE_1)
	s_and_not1_b32 vcc_lo, exec_lo, s0
	s_cbranch_vccnz .LBB15_498
; %bb.496:
	v_mov_b32_e32 v1, 0
	s_and_not1_b32 vcc_lo, exec_lo, s40
	s_delay_alu instid0(VALU_DEP_1) | instskip(NEXT) | instid1(VALU_DEP_1)
	v_mul_u64_e32 v[2:3], s[20:21], v[0:1]
	v_add_nc_u32_e32 v2, v0, v3
	s_wait_loadcnt 0x0
	s_delay_alu instid0(VALU_DEP_1) | instskip(NEXT) | instid1(VALU_DEP_1)
	v_lshrrev_b32_e32 v6, s14, v2
	v_mul_lo_u32 v2, v6, s12
	s_delay_alu instid0(VALU_DEP_1) | instskip(NEXT) | instid1(VALU_DEP_1)
	v_sub_nc_u32_e32 v2, v0, v2
	v_mul_lo_u32 v4, v2, s17
	v_mul_lo_u32 v2, v2, s16
	s_cbranch_vccnz .LBB15_498
; %bb.497:
	v_mov_b32_e32 v7, v1
	s_delay_alu instid0(VALU_DEP_1) | instskip(NEXT) | instid1(VALU_DEP_1)
	v_mul_u64_e32 v[8:9], s[22:23], v[6:7]
	v_add_nc_u32_e32 v1, v6, v9
	s_delay_alu instid0(VALU_DEP_1) | instskip(NEXT) | instid1(VALU_DEP_1)
	v_lshrrev_b32_e32 v1, s1, v1
	v_mul_lo_u32 v1, v1, s15
	s_delay_alu instid0(VALU_DEP_1) | instskip(NEXT) | instid1(VALU_DEP_1)
	v_sub_nc_u32_e32 v1, v6, v1
	v_mad_u32 v2, v1, s18, v2
	v_mad_u32 v4, v1, s19, v4
.LBB15_498:
	v_mov_b32_e32 v5, 0
	s_and_b32 s0, 0xffff, s39
	s_delay_alu instid0(SALU_CYCLE_1) | instskip(NEXT) | instid1(VALU_DEP_1)
	s_cmp_lt_i32 s0, 11
	v_add_nc_u64_e32 v[4:5], s[6:7], v[4:5]
	s_cbranch_scc1 .LBB15_505
; %bb.499:
	s_cmp_gt_i32 s0, 25
	s_cbranch_scc0 .LBB15_506
; %bb.500:
	s_cmp_gt_i32 s0, 28
	s_cbranch_scc0 .LBB15_507
	;; [unrolled: 3-line block ×4, first 2 shown]
; %bb.503:
	s_cmp_eq_u32 s0, 46
	s_mov_b32 s28, 0
	s_cbranch_scc0 .LBB15_510
; %bb.504:
	global_load_b32 v1, v[4:5], off
	s_mov_b32 s27, -1
	s_mov_b32 s26, 0
	s_wait_loadcnt 0x0
	v_lshlrev_b32_e32 v1, 16, v1
	s_delay_alu instid0(VALU_DEP_1) | instskip(NEXT) | instid1(VALU_DEP_1)
	v_trunc_f32_e32 v1, v1
	v_mul_f32_e64 v3, 0x2f800000, |v1|
	v_ashrrev_i32_e32 v6, 31, v1
	s_delay_alu instid0(VALU_DEP_2) | instskip(NEXT) | instid1(VALU_DEP_1)
	v_floor_f32_e32 v3, v3
	v_fma_f32 v7, 0xcf800000, v3, |v1|
	v_cvt_u32_f32_e32 v1, v3
	s_delay_alu instid0(VALU_DEP_2) | instskip(NEXT) | instid1(VALU_DEP_2)
	v_cvt_u32_f32_e32 v3, v7
	v_dual_mov_b32 v7, v6 :: v_dual_bitop2_b32 v9, v1, v6 bitop3:0x14
	s_delay_alu instid0(VALU_DEP_2) | instskip(NEXT) | instid1(VALU_DEP_1)
	v_xor_b32_e32 v8, v3, v6
	v_sub_nc_u64_e32 v[6:7], v[8:9], v[6:7]
	s_branch .LBB15_512
.LBB15_505:
	s_mov_b32 s28, -1
	s_mov_b32 s27, 0
	s_mov_b32 s26, s48
                                        ; implicit-def: $vgpr6_vgpr7
	s_branch .LBB15_573
.LBB15_506:
	s_mov_b32 s28, -1
	s_mov_b32 s27, 0
	s_mov_b32 s26, s48
                                        ; implicit-def: $vgpr6_vgpr7
	s_branch .LBB15_539
.LBB15_507:
	s_mov_b32 s28, -1
	s_mov_b32 s27, 0
	s_mov_b32 s26, s48
                                        ; implicit-def: $vgpr6_vgpr7
	s_branch .LBB15_522
.LBB15_508:
	s_mov_b32 s28, -1
	s_mov_b32 s27, 0
	s_mov_b32 s26, s48
                                        ; implicit-def: $vgpr6_vgpr7
	s_branch .LBB15_517
.LBB15_509:
	s_mov_b32 s28, -1
	s_mov_b32 s27, 0
	s_mov_b32 s26, s48
	s_branch .LBB15_511
.LBB15_510:
	s_mov_b32 s26, -1
	s_mov_b32 s27, 0
.LBB15_511:
                                        ; implicit-def: $vgpr6_vgpr7
.LBB15_512:
	s_and_b32 vcc_lo, exec_lo, s28
	s_cbranch_vccz .LBB15_516
; %bb.513:
	s_cmp_eq_u32 s0, 44
	s_cbranch_scc0 .LBB15_515
; %bb.514:
	global_load_u8 v1, v[4:5], off
	s_mov_b32 s26, 0
	s_mov_b32 s27, -1
	s_wait_loadcnt 0x0
	v_lshlrev_b32_e32 v3, 23, v1
	v_cmp_ne_u32_e32 vcc_lo, 0, v1
	s_delay_alu instid0(VALU_DEP_2) | instskip(NEXT) | instid1(VALU_DEP_1)
	v_trunc_f32_e32 v3, v3
	v_mul_f32_e64 v6, 0x2f800000, |v3|
	s_delay_alu instid0(VALU_DEP_1) | instskip(SKIP_1) | instid1(VALU_DEP_2)
	v_floor_f32_e32 v7, v6
	v_ashrrev_i32_e32 v6, 31, v3
	v_fma_f32 v8, 0xcf800000, v7, |v3|
	v_cvt_u32_f32_e32 v3, v7
	s_delay_alu instid0(VALU_DEP_3) | instskip(NEXT) | instid1(VALU_DEP_3)
	v_mov_b32_e32 v7, v6
	v_cvt_u32_f32_e32 v8, v8
	s_delay_alu instid0(VALU_DEP_3) | instskip(NEXT) | instid1(VALU_DEP_2)
	v_xor_b32_e32 v9, v3, v6
	v_xor_b32_e32 v8, v8, v6
	s_delay_alu instid0(VALU_DEP_1) | instskip(NEXT) | instid1(VALU_DEP_1)
	v_sub_nc_u64_e32 v[6:7], v[8:9], v[6:7]
	v_dual_cndmask_b32 v7, 0, v7 :: v_dual_cndmask_b32 v6, 0, v6
	s_branch .LBB15_516
.LBB15_515:
	s_mov_b32 s26, -1
                                        ; implicit-def: $vgpr6_vgpr7
.LBB15_516:
	s_mov_b32 s28, 0
.LBB15_517:
	s_delay_alu instid0(SALU_CYCLE_1)
	s_and_b32 vcc_lo, exec_lo, s28
	s_cbranch_vccz .LBB15_521
; %bb.518:
	s_cmp_eq_u32 s0, 29
	s_cbranch_scc0 .LBB15_520
; %bb.519:
	s_wait_loadcnt 0x0
	global_load_b64 v[6:7], v[4:5], off
	s_mov_b32 s27, -1
	s_mov_b32 s26, 0
	s_branch .LBB15_521
.LBB15_520:
	s_mov_b32 s26, -1
                                        ; implicit-def: $vgpr6_vgpr7
.LBB15_521:
	s_mov_b32 s28, 0
.LBB15_522:
	s_delay_alu instid0(SALU_CYCLE_1)
	s_and_b32 vcc_lo, exec_lo, s28
	s_cbranch_vccz .LBB15_538
; %bb.523:
	s_cmp_lt_i32 s0, 27
	s_cbranch_scc1 .LBB15_526
; %bb.524:
	s_cmp_gt_i32 s0, 27
	s_cbranch_scc0 .LBB15_527
; %bb.525:
	s_wait_loadcnt 0x0
	global_load_b32 v6, v[4:5], off
	v_mov_b32_e32 v7, 0
	s_mov_b32 s27, 0
	s_branch .LBB15_528
.LBB15_526:
	s_mov_b32 s27, -1
                                        ; implicit-def: $vgpr6_vgpr7
	s_branch .LBB15_531
.LBB15_527:
	s_mov_b32 s27, -1
                                        ; implicit-def: $vgpr6_vgpr7
.LBB15_528:
	s_delay_alu instid0(SALU_CYCLE_1)
	s_and_not1_b32 vcc_lo, exec_lo, s27
	s_cbranch_vccnz .LBB15_530
; %bb.529:
	global_load_u16 v1, v[4:5], off
	s_mov_b32 s27, 0
	s_wait_loadcnt 0x1
	v_mov_b32_e32 v7, s27
	s_wait_loadcnt 0x0
	v_and_b32_e32 v6, 0xffff, v1
.LBB15_530:
	s_mov_b32 s27, 0
.LBB15_531:
	s_delay_alu instid0(SALU_CYCLE_1)
	s_and_not1_b32 vcc_lo, exec_lo, s27
	s_cbranch_vccnz .LBB15_537
; %bb.532:
	global_load_u8 v1, v[4:5], off
	s_mov_b32 s28, 0
	s_mov_b32 s27, exec_lo
	s_wait_loadcnt 0x0
	v_cmpx_lt_i16_e32 0x7f, v1
	s_xor_b32 s27, exec_lo, s27
	s_cbranch_execz .LBB15_549
; %bb.533:
	v_cmp_ne_u16_e32 vcc_lo, 0x80, v1
	s_and_b32 s28, vcc_lo, exec_lo
	s_and_not1_saveexec_b32 s27, s27
	s_cbranch_execnz .LBB15_550
.LBB15_534:
	s_or_b32 exec_lo, exec_lo, s27
	v_mov_b64_e32 v[6:7], 0
	s_and_saveexec_b32 s27, s28
	s_cbranch_execz .LBB15_536
.LBB15_535:
	v_and_b32_e32 v3, 0xffff, v1
	s_delay_alu instid0(VALU_DEP_1) | instskip(SKIP_1) | instid1(VALU_DEP_2)
	v_dual_lshlrev_b32 v1, 24, v1 :: v_dual_bitop2_b32 v6, 7, v3 bitop3:0x40
	v_bfe_u32 v9, v3, 3, 4
	v_and_b32_e32 v1, 0x80000000, v1
	s_delay_alu instid0(VALU_DEP_3) | instskip(NEXT) | instid1(VALU_DEP_3)
	v_clz_i32_u32_e32 v7, v6
	v_cmp_eq_u32_e32 vcc_lo, 0, v9
	s_delay_alu instid0(VALU_DEP_2) | instskip(NEXT) | instid1(VALU_DEP_1)
	v_min_u32_e32 v7, 32, v7
	v_subrev_nc_u32_e32 v8, 28, v7
	v_sub_nc_u32_e32 v7, 29, v7
	s_delay_alu instid0(VALU_DEP_2) | instskip(NEXT) | instid1(VALU_DEP_2)
	v_lshlrev_b32_e32 v3, v8, v3
	v_cndmask_b32_e32 v7, v9, v7, vcc_lo
	s_delay_alu instid0(VALU_DEP_2) | instskip(NEXT) | instid1(VALU_DEP_1)
	v_and_b32_e32 v3, 7, v3
	v_cndmask_b32_e32 v3, v6, v3, vcc_lo
	s_delay_alu instid0(VALU_DEP_3) | instskip(NEXT) | instid1(VALU_DEP_2)
	v_lshl_add_u32 v6, v7, 23, 0x3b800000
	v_lshlrev_b32_e32 v3, 20, v3
	s_delay_alu instid0(VALU_DEP_1) | instskip(NEXT) | instid1(VALU_DEP_1)
	v_or3_b32 v1, v1, v6, v3
	v_trunc_f32_e32 v1, v1
	s_delay_alu instid0(VALU_DEP_1) | instskip(SKIP_1) | instid1(VALU_DEP_2)
	v_mul_f32_e64 v3, 0x2f800000, |v1|
	v_ashrrev_i32_e32 v6, 31, v1
	v_floor_f32_e32 v3, v3
	s_delay_alu instid0(VALU_DEP_1) | instskip(SKIP_1) | instid1(VALU_DEP_2)
	v_fma_f32 v7, 0xcf800000, v3, |v1|
	v_cvt_u32_f32_e32 v1, v3
	v_cvt_u32_f32_e32 v3, v7
	s_delay_alu instid0(VALU_DEP_2) | instskip(NEXT) | instid1(VALU_DEP_2)
	v_dual_mov_b32 v7, v6 :: v_dual_bitop2_b32 v9, v1, v6 bitop3:0x14
	v_xor_b32_e32 v8, v3, v6
	s_delay_alu instid0(VALU_DEP_1)
	v_sub_nc_u64_e32 v[6:7], v[8:9], v[6:7]
.LBB15_536:
	s_or_b32 exec_lo, exec_lo, s27
.LBB15_537:
	s_mov_b32 s27, -1
.LBB15_538:
	s_mov_b32 s28, 0
.LBB15_539:
	s_delay_alu instid0(SALU_CYCLE_1)
	s_and_b32 vcc_lo, exec_lo, s28
	s_cbranch_vccz .LBB15_572
; %bb.540:
	s_cmp_gt_i32 s0, 22
	s_cbranch_scc0 .LBB15_548
; %bb.541:
	s_cmp_lt_i32 s0, 24
	s_cbranch_scc1 .LBB15_551
; %bb.542:
	s_cmp_gt_i32 s0, 24
	s_cbranch_scc0 .LBB15_552
; %bb.543:
	global_load_u8 v1, v[4:5], off
	s_mov_b32 s28, 0
	s_mov_b32 s27, exec_lo
	s_wait_loadcnt 0x0
	v_cmpx_lt_i16_e32 0x7f, v1
	s_xor_b32 s27, exec_lo, s27
	s_cbranch_execz .LBB15_564
; %bb.544:
	v_cmp_ne_u16_e32 vcc_lo, 0x80, v1
	s_and_b32 s28, vcc_lo, exec_lo
	s_and_not1_saveexec_b32 s27, s27
	s_cbranch_execnz .LBB15_565
.LBB15_545:
	s_or_b32 exec_lo, exec_lo, s27
	v_mov_b64_e32 v[6:7], 0
	s_and_saveexec_b32 s27, s28
	s_cbranch_execz .LBB15_547
.LBB15_546:
	v_and_b32_e32 v3, 0xffff, v1
	s_delay_alu instid0(VALU_DEP_1) | instskip(SKIP_1) | instid1(VALU_DEP_2)
	v_dual_lshlrev_b32 v1, 24, v1 :: v_dual_bitop2_b32 v6, 3, v3 bitop3:0x40
	v_bfe_u32 v9, v3, 2, 5
	v_and_b32_e32 v1, 0x80000000, v1
	s_delay_alu instid0(VALU_DEP_3) | instskip(NEXT) | instid1(VALU_DEP_3)
	v_clz_i32_u32_e32 v7, v6
	v_cmp_eq_u32_e32 vcc_lo, 0, v9
	s_delay_alu instid0(VALU_DEP_2) | instskip(NEXT) | instid1(VALU_DEP_1)
	v_min_u32_e32 v7, 32, v7
	v_subrev_nc_u32_e32 v8, 29, v7
	v_sub_nc_u32_e32 v7, 30, v7
	s_delay_alu instid0(VALU_DEP_2) | instskip(NEXT) | instid1(VALU_DEP_2)
	v_lshlrev_b32_e32 v3, v8, v3
	v_cndmask_b32_e32 v7, v9, v7, vcc_lo
	s_delay_alu instid0(VALU_DEP_2) | instskip(NEXT) | instid1(VALU_DEP_1)
	v_and_b32_e32 v3, 3, v3
	v_cndmask_b32_e32 v3, v6, v3, vcc_lo
	s_delay_alu instid0(VALU_DEP_3) | instskip(NEXT) | instid1(VALU_DEP_2)
	v_lshl_add_u32 v6, v7, 23, 0x37800000
	v_lshlrev_b32_e32 v3, 21, v3
	s_delay_alu instid0(VALU_DEP_1) | instskip(NEXT) | instid1(VALU_DEP_1)
	v_or3_b32 v1, v1, v6, v3
	v_trunc_f32_e32 v1, v1
	s_delay_alu instid0(VALU_DEP_1) | instskip(SKIP_1) | instid1(VALU_DEP_2)
	v_mul_f32_e64 v3, 0x2f800000, |v1|
	v_ashrrev_i32_e32 v6, 31, v1
	v_floor_f32_e32 v3, v3
	s_delay_alu instid0(VALU_DEP_1) | instskip(SKIP_1) | instid1(VALU_DEP_2)
	v_fma_f32 v7, 0xcf800000, v3, |v1|
	v_cvt_u32_f32_e32 v1, v3
	v_cvt_u32_f32_e32 v3, v7
	s_delay_alu instid0(VALU_DEP_2) | instskip(NEXT) | instid1(VALU_DEP_2)
	v_dual_mov_b32 v7, v6 :: v_dual_bitop2_b32 v9, v1, v6 bitop3:0x14
	v_xor_b32_e32 v8, v3, v6
	s_delay_alu instid0(VALU_DEP_1)
	v_sub_nc_u64_e32 v[6:7], v[8:9], v[6:7]
.LBB15_547:
	s_or_b32 exec_lo, exec_lo, s27
	s_mov_b32 s27, 0
	s_branch .LBB15_553
.LBB15_548:
	s_mov_b32 s28, -1
                                        ; implicit-def: $vgpr6_vgpr7
	s_branch .LBB15_559
.LBB15_549:
	s_and_not1_saveexec_b32 s27, s27
	s_cbranch_execz .LBB15_534
.LBB15_550:
	v_cmp_ne_u16_e32 vcc_lo, 0, v1
	s_and_not1_b32 s28, s28, exec_lo
	s_and_b32 s29, vcc_lo, exec_lo
	s_delay_alu instid0(SALU_CYCLE_1)
	s_or_b32 s28, s28, s29
	s_or_b32 exec_lo, exec_lo, s27
	v_mov_b64_e32 v[6:7], 0
	s_and_saveexec_b32 s27, s28
	s_cbranch_execnz .LBB15_535
	s_branch .LBB15_536
.LBB15_551:
	s_mov_b32 s27, -1
                                        ; implicit-def: $vgpr6_vgpr7
	s_branch .LBB15_556
.LBB15_552:
	s_mov_b32 s27, -1
                                        ; implicit-def: $vgpr6_vgpr7
.LBB15_553:
	s_delay_alu instid0(SALU_CYCLE_1)
	s_and_b32 vcc_lo, exec_lo, s27
	s_cbranch_vccz .LBB15_555
; %bb.554:
	global_load_u8 v1, v[4:5], off
	s_wait_loadcnt 0x0
	v_lshlrev_b32_e32 v1, 24, v1
	s_delay_alu instid0(VALU_DEP_1) | instskip(NEXT) | instid1(VALU_DEP_1)
	v_and_b32_e32 v3, 0x7f000000, v1
	v_clz_i32_u32_e32 v6, v3
	v_cmp_ne_u32_e32 vcc_lo, 0, v3
	v_add_nc_u32_e32 v8, 0x1000000, v3
	s_delay_alu instid0(VALU_DEP_3) | instskip(NEXT) | instid1(VALU_DEP_1)
	v_min_u32_e32 v6, 32, v6
	v_sub_nc_u32_e64 v6, v6, 4 clamp
	s_delay_alu instid0(VALU_DEP_1) | instskip(NEXT) | instid1(VALU_DEP_1)
	v_dual_lshlrev_b32 v7, v6, v3 :: v_dual_lshlrev_b32 v6, 23, v6
	v_lshrrev_b32_e32 v7, 4, v7
	s_delay_alu instid0(VALU_DEP_1) | instskip(NEXT) | instid1(VALU_DEP_1)
	v_dual_sub_nc_u32 v6, v7, v6 :: v_dual_ashrrev_i32 v7, 8, v8
	v_add_nc_u32_e32 v6, 0x3c000000, v6
	s_delay_alu instid0(VALU_DEP_1) | instskip(NEXT) | instid1(VALU_DEP_1)
	v_and_or_b32 v6, 0x7f800000, v7, v6
	v_cndmask_b32_e32 v3, 0, v6, vcc_lo
	s_delay_alu instid0(VALU_DEP_1) | instskip(NEXT) | instid1(VALU_DEP_1)
	v_and_or_b32 v1, 0x80000000, v1, v3
	v_trunc_f32_e32 v1, v1
	s_delay_alu instid0(VALU_DEP_1) | instskip(SKIP_1) | instid1(VALU_DEP_2)
	v_mul_f32_e64 v3, 0x2f800000, |v1|
	v_ashrrev_i32_e32 v6, 31, v1
	v_floor_f32_e32 v3, v3
	s_delay_alu instid0(VALU_DEP_1) | instskip(SKIP_1) | instid1(VALU_DEP_2)
	v_fma_f32 v7, 0xcf800000, v3, |v1|
	v_cvt_u32_f32_e32 v1, v3
	v_cvt_u32_f32_e32 v3, v7
	s_delay_alu instid0(VALU_DEP_2) | instskip(NEXT) | instid1(VALU_DEP_2)
	v_dual_mov_b32 v7, v6 :: v_dual_bitop2_b32 v9, v1, v6 bitop3:0x14
	v_xor_b32_e32 v8, v3, v6
	s_delay_alu instid0(VALU_DEP_1)
	v_sub_nc_u64_e32 v[6:7], v[8:9], v[6:7]
.LBB15_555:
	s_mov_b32 s27, 0
.LBB15_556:
	s_delay_alu instid0(SALU_CYCLE_1)
	s_and_not1_b32 vcc_lo, exec_lo, s27
	s_cbranch_vccnz .LBB15_558
; %bb.557:
	global_load_u8 v1, v[4:5], off
	s_wait_loadcnt 0x0
	v_lshlrev_b32_e32 v3, 25, v1
	v_lshlrev_b16 v1, 8, v1
	s_delay_alu instid0(VALU_DEP_1) | instskip(SKIP_1) | instid1(VALU_DEP_2)
	v_and_or_b32 v7, 0x7f00, v1, 0.5
	v_bfe_i32 v1, v1, 0, 16
	v_add_f32_e32 v7, -0.5, v7
	v_lshrrev_b32_e32 v6, 4, v3
	v_cmp_gt_u32_e32 vcc_lo, 0x8000000, v3
	s_delay_alu instid0(VALU_DEP_2) | instskip(NEXT) | instid1(VALU_DEP_1)
	v_or_b32_e32 v6, 0x70000000, v6
	v_mul_f32_e32 v6, 0x7800000, v6
	s_delay_alu instid0(VALU_DEP_1) | instskip(NEXT) | instid1(VALU_DEP_1)
	v_cndmask_b32_e32 v3, v6, v7, vcc_lo
	v_and_or_b32 v1, 0x80000000, v1, v3
	s_delay_alu instid0(VALU_DEP_1) | instskip(NEXT) | instid1(VALU_DEP_1)
	v_trunc_f32_e32 v1, v1
	v_mul_f32_e64 v3, 0x2f800000, |v1|
	v_ashrrev_i32_e32 v6, 31, v1
	s_delay_alu instid0(VALU_DEP_2) | instskip(NEXT) | instid1(VALU_DEP_1)
	v_floor_f32_e32 v3, v3
	v_fma_f32 v7, 0xcf800000, v3, |v1|
	v_cvt_u32_f32_e32 v1, v3
	s_delay_alu instid0(VALU_DEP_2) | instskip(NEXT) | instid1(VALU_DEP_2)
	v_cvt_u32_f32_e32 v3, v7
	v_dual_mov_b32 v7, v6 :: v_dual_bitop2_b32 v9, v1, v6 bitop3:0x14
	s_delay_alu instid0(VALU_DEP_2) | instskip(NEXT) | instid1(VALU_DEP_1)
	v_xor_b32_e32 v8, v3, v6
	v_sub_nc_u64_e32 v[6:7], v[8:9], v[6:7]
.LBB15_558:
	s_mov_b32 s28, 0
	s_mov_b32 s27, -1
.LBB15_559:
	s_and_not1_b32 vcc_lo, exec_lo, s28
	s_cbranch_vccnz .LBB15_572
; %bb.560:
	s_cmp_gt_i32 s0, 14
	s_cbranch_scc0 .LBB15_563
; %bb.561:
	s_cmp_eq_u32 s0, 15
	s_cbranch_scc0 .LBB15_566
; %bb.562:
	global_load_u16 v1, v[4:5], off
	s_mov_b32 s27, -1
	s_mov_b32 s26, 0
	s_wait_loadcnt 0x0
	v_lshlrev_b32_e32 v1, 16, v1
	s_delay_alu instid0(VALU_DEP_1) | instskip(NEXT) | instid1(VALU_DEP_1)
	v_trunc_f32_e32 v1, v1
	v_mul_f32_e64 v3, 0x2f800000, |v1|
	v_ashrrev_i32_e32 v6, 31, v1
	s_delay_alu instid0(VALU_DEP_2) | instskip(NEXT) | instid1(VALU_DEP_1)
	v_floor_f32_e32 v3, v3
	v_fma_f32 v7, 0xcf800000, v3, |v1|
	v_cvt_u32_f32_e32 v1, v3
	s_delay_alu instid0(VALU_DEP_2) | instskip(NEXT) | instid1(VALU_DEP_2)
	v_cvt_u32_f32_e32 v3, v7
	v_dual_mov_b32 v7, v6 :: v_dual_bitop2_b32 v9, v1, v6 bitop3:0x14
	s_delay_alu instid0(VALU_DEP_2) | instskip(NEXT) | instid1(VALU_DEP_1)
	v_xor_b32_e32 v8, v3, v6
	v_sub_nc_u64_e32 v[6:7], v[8:9], v[6:7]
	s_branch .LBB15_567
.LBB15_563:
	s_mov_b32 s28, -1
                                        ; implicit-def: $vgpr6_vgpr7
	s_branch .LBB15_568
.LBB15_564:
	s_and_not1_saveexec_b32 s27, s27
	s_cbranch_execz .LBB15_545
.LBB15_565:
	v_cmp_ne_u16_e32 vcc_lo, 0, v1
	s_and_not1_b32 s28, s28, exec_lo
	s_and_b32 s29, vcc_lo, exec_lo
	s_delay_alu instid0(SALU_CYCLE_1)
	s_or_b32 s28, s28, s29
	s_or_b32 exec_lo, exec_lo, s27
	v_mov_b64_e32 v[6:7], 0
	s_and_saveexec_b32 s27, s28
	s_cbranch_execnz .LBB15_546
	s_branch .LBB15_547
.LBB15_566:
	s_mov_b32 s26, -1
                                        ; implicit-def: $vgpr6_vgpr7
.LBB15_567:
	s_mov_b32 s28, 0
.LBB15_568:
	s_delay_alu instid0(SALU_CYCLE_1)
	s_and_b32 vcc_lo, exec_lo, s28
	s_cbranch_vccz .LBB15_572
; %bb.569:
	s_cmp_eq_u32 s0, 11
	s_cbranch_scc0 .LBB15_571
; %bb.570:
	global_load_u8 v1, v[4:5], off
	s_mov_b32 s26, 0
	s_mov_b32 s27, -1
	s_wait_loadcnt 0x1
	v_mov_b32_e32 v7, s26
	s_wait_loadcnt 0x0
	v_cmp_ne_u16_e32 vcc_lo, 0, v1
	v_cndmask_b32_e64 v6, 0, 1, vcc_lo
	s_branch .LBB15_572
.LBB15_571:
	s_mov_b32 s26, -1
                                        ; implicit-def: $vgpr6_vgpr7
.LBB15_572:
	s_mov_b32 s28, 0
.LBB15_573:
	s_delay_alu instid0(SALU_CYCLE_1)
	s_and_b32 vcc_lo, exec_lo, s28
	s_cbranch_vccz .LBB15_622
; %bb.574:
	s_cmp_lt_i32 s0, 5
	s_cbranch_scc1 .LBB15_579
; %bb.575:
	s_cmp_lt_i32 s0, 8
	s_cbranch_scc1 .LBB15_580
	;; [unrolled: 3-line block ×3, first 2 shown]
; %bb.577:
	s_cmp_gt_i32 s0, 9
	s_cbranch_scc0 .LBB15_582
; %bb.578:
	s_wait_loadcnt 0x0
	global_load_b64 v[6:7], v[4:5], off
	s_mov_b32 s27, 0
	s_wait_loadcnt 0x0
	v_trunc_f64_e32 v[6:7], v[6:7]
	s_delay_alu instid0(VALU_DEP_1) | instskip(NEXT) | instid1(VALU_DEP_1)
	v_ldexp_f64 v[8:9], v[6:7], 0xffffffe0
	v_floor_f64_e32 v[8:9], v[8:9]
	s_delay_alu instid0(VALU_DEP_1) | instskip(SKIP_1) | instid1(VALU_DEP_2)
	v_fmamk_f64 v[10:11], v[8:9], 0xc1f00000, v[6:7]
	v_cvt_i32_f64_e32 v7, v[8:9]
	v_cvt_u32_f64_e32 v6, v[10:11]
	s_branch .LBB15_583
.LBB15_579:
	s_mov_b32 s27, -1
                                        ; implicit-def: $vgpr6_vgpr7
	s_branch .LBB15_601
.LBB15_580:
	s_mov_b32 s27, -1
                                        ; implicit-def: $vgpr6_vgpr7
	s_branch .LBB15_589
.LBB15_581:
	s_mov_b32 s27, -1
                                        ; implicit-def: $vgpr6_vgpr7
	s_branch .LBB15_586
.LBB15_582:
	s_mov_b32 s27, -1
                                        ; implicit-def: $vgpr6_vgpr7
.LBB15_583:
	s_delay_alu instid0(SALU_CYCLE_1)
	s_and_not1_b32 vcc_lo, exec_lo, s27
	s_cbranch_vccnz .LBB15_585
; %bb.584:
	global_load_b32 v1, v[4:5], off
	s_wait_loadcnt 0x0
	v_trunc_f32_e32 v1, v1
	s_delay_alu instid0(VALU_DEP_1) | instskip(SKIP_1) | instid1(VALU_DEP_2)
	v_mul_f32_e64 v3, 0x2f800000, |v1|
	v_ashrrev_i32_e32 v6, 31, v1
	v_floor_f32_e32 v3, v3
	s_delay_alu instid0(VALU_DEP_1) | instskip(SKIP_1) | instid1(VALU_DEP_2)
	v_fma_f32 v7, 0xcf800000, v3, |v1|
	v_cvt_u32_f32_e32 v1, v3
	v_cvt_u32_f32_e32 v3, v7
	s_delay_alu instid0(VALU_DEP_2) | instskip(NEXT) | instid1(VALU_DEP_2)
	v_dual_mov_b32 v7, v6 :: v_dual_bitop2_b32 v9, v1, v6 bitop3:0x14
	v_xor_b32_e32 v8, v3, v6
	s_delay_alu instid0(VALU_DEP_1)
	v_sub_nc_u64_e32 v[6:7], v[8:9], v[6:7]
.LBB15_585:
	s_mov_b32 s27, 0
.LBB15_586:
	s_delay_alu instid0(SALU_CYCLE_1)
	s_and_not1_b32 vcc_lo, exec_lo, s27
	s_cbranch_vccnz .LBB15_588
; %bb.587:
	global_load_b32 v1, v[4:5], off
	s_wait_loadcnt 0x0
	v_cvt_f32_f16_e32 v1, v1
	s_delay_alu instid0(VALU_DEP_1) | instskip(NEXT) | instid1(VALU_DEP_1)
	v_cvt_i32_f32_e32 v6, v1
	v_ashrrev_i32_e32 v7, 31, v6
.LBB15_588:
	s_mov_b32 s27, 0
.LBB15_589:
	s_delay_alu instid0(SALU_CYCLE_1)
	s_and_not1_b32 vcc_lo, exec_lo, s27
	s_cbranch_vccnz .LBB15_600
; %bb.590:
	s_cmp_lt_i32 s0, 6
	s_cbranch_scc1 .LBB15_593
; %bb.591:
	s_cmp_gt_i32 s0, 6
	s_cbranch_scc0 .LBB15_594
; %bb.592:
	s_wait_loadcnt 0x0
	global_load_b64 v[6:7], v[4:5], off
	s_mov_b32 s27, 0
	s_wait_loadcnt 0x0
	v_trunc_f64_e32 v[6:7], v[6:7]
	s_delay_alu instid0(VALU_DEP_1) | instskip(NEXT) | instid1(VALU_DEP_1)
	v_ldexp_f64 v[8:9], v[6:7], 0xffffffe0
	v_floor_f64_e32 v[8:9], v[8:9]
	s_delay_alu instid0(VALU_DEP_1) | instskip(SKIP_1) | instid1(VALU_DEP_2)
	v_fmamk_f64 v[10:11], v[8:9], 0xc1f00000, v[6:7]
	v_cvt_i32_f64_e32 v7, v[8:9]
	v_cvt_u32_f64_e32 v6, v[10:11]
	s_branch .LBB15_595
.LBB15_593:
	s_mov_b32 s27, -1
                                        ; implicit-def: $vgpr6_vgpr7
	s_branch .LBB15_598
.LBB15_594:
	s_mov_b32 s27, -1
                                        ; implicit-def: $vgpr6_vgpr7
.LBB15_595:
	s_delay_alu instid0(SALU_CYCLE_1)
	s_and_not1_b32 vcc_lo, exec_lo, s27
	s_cbranch_vccnz .LBB15_597
; %bb.596:
	global_load_b32 v1, v[4:5], off
	s_wait_loadcnt 0x0
	v_trunc_f32_e32 v1, v1
	s_delay_alu instid0(VALU_DEP_1) | instskip(SKIP_1) | instid1(VALU_DEP_2)
	v_mul_f32_e64 v3, 0x2f800000, |v1|
	v_ashrrev_i32_e32 v6, 31, v1
	v_floor_f32_e32 v3, v3
	s_delay_alu instid0(VALU_DEP_1) | instskip(SKIP_1) | instid1(VALU_DEP_2)
	v_fma_f32 v7, 0xcf800000, v3, |v1|
	v_cvt_u32_f32_e32 v1, v3
	v_cvt_u32_f32_e32 v3, v7
	s_delay_alu instid0(VALU_DEP_2) | instskip(NEXT) | instid1(VALU_DEP_2)
	v_dual_mov_b32 v7, v6 :: v_dual_bitop2_b32 v9, v1, v6 bitop3:0x14
	v_xor_b32_e32 v8, v3, v6
	s_delay_alu instid0(VALU_DEP_1)
	v_sub_nc_u64_e32 v[6:7], v[8:9], v[6:7]
.LBB15_597:
	s_mov_b32 s27, 0
.LBB15_598:
	s_delay_alu instid0(SALU_CYCLE_1)
	s_and_not1_b32 vcc_lo, exec_lo, s27
	s_cbranch_vccnz .LBB15_600
; %bb.599:
	global_load_u16 v1, v[4:5], off
	s_wait_loadcnt 0x0
	v_cvt_f32_f16_e32 v1, v1
	s_delay_alu instid0(VALU_DEP_1) | instskip(NEXT) | instid1(VALU_DEP_1)
	v_cvt_i32_f32_e32 v6, v1
	v_ashrrev_i32_e32 v7, 31, v6
.LBB15_600:
	s_mov_b32 s27, 0
.LBB15_601:
	s_delay_alu instid0(SALU_CYCLE_1)
	s_and_not1_b32 vcc_lo, exec_lo, s27
	s_cbranch_vccnz .LBB15_621
; %bb.602:
	s_cmp_lt_i32 s0, 2
	s_cbranch_scc1 .LBB15_606
; %bb.603:
	s_cmp_lt_i32 s0, 3
	s_cbranch_scc1 .LBB15_607
; %bb.604:
	s_cmp_gt_i32 s0, 3
	s_cbranch_scc0 .LBB15_608
; %bb.605:
	s_wait_loadcnt 0x0
	global_load_b64 v[6:7], v[4:5], off
	s_mov_b32 s27, 0
	s_branch .LBB15_609
.LBB15_606:
	s_mov_b32 s27, -1
                                        ; implicit-def: $vgpr6_vgpr7
	s_branch .LBB15_615
.LBB15_607:
	s_mov_b32 s27, -1
                                        ; implicit-def: $vgpr6_vgpr7
	s_branch .LBB15_612
.LBB15_608:
	s_mov_b32 s27, -1
                                        ; implicit-def: $vgpr6_vgpr7
.LBB15_609:
	s_delay_alu instid0(SALU_CYCLE_1)
	s_and_not1_b32 vcc_lo, exec_lo, s27
	s_cbranch_vccnz .LBB15_611
; %bb.610:
	s_wait_loadcnt 0x0
	global_load_b32 v6, v[4:5], off
	s_wait_loadcnt 0x0
	v_ashrrev_i32_e32 v7, 31, v6
.LBB15_611:
	s_mov_b32 s27, 0
.LBB15_612:
	s_delay_alu instid0(SALU_CYCLE_1)
	s_and_not1_b32 vcc_lo, exec_lo, s27
	s_cbranch_vccnz .LBB15_614
; %bb.613:
	global_load_u16 v1, v[4:5], off
	s_wait_loadcnt 0x0
	v_bfe_i32 v6, v1, 0, 16
	s_delay_alu instid0(VALU_DEP_1)
	v_ashrrev_i32_e32 v7, 31, v6
.LBB15_614:
	s_mov_b32 s27, 0
.LBB15_615:
	s_delay_alu instid0(SALU_CYCLE_1)
	s_and_not1_b32 vcc_lo, exec_lo, s27
	s_cbranch_vccnz .LBB15_621
; %bb.616:
	s_cmp_gt_i32 s0, 0
	s_mov_b32 s0, 0
	s_cbranch_scc0 .LBB15_618
; %bb.617:
	global_load_i8 v1, v[4:5], off
	s_wait_loadcnt 0x0
	v_bfe_i32 v6, v1, 0, 16
	s_delay_alu instid0(VALU_DEP_1)
	v_ashrrev_i32_e32 v7, 31, v6
	s_branch .LBB15_619
.LBB15_618:
	s_mov_b32 s0, -1
                                        ; implicit-def: $vgpr6_vgpr7
.LBB15_619:
	s_delay_alu instid0(SALU_CYCLE_1)
	s_and_not1_b32 vcc_lo, exec_lo, s0
	s_cbranch_vccnz .LBB15_621
; %bb.620:
	global_load_u8 v1, v[4:5], off
	s_mov_b32 s0, 0
	s_wait_loadcnt 0x1
	v_mov_b32_e32 v7, s0
	s_wait_loadcnt 0x0
	v_and_b32_e32 v6, 0xffff, v1
.LBB15_621:
	s_mov_b32 s27, -1
.LBB15_622:
	s_delay_alu instid0(SALU_CYCLE_1)
	s_and_not1_b32 vcc_lo, exec_lo, s27
	s_cbranch_vccnz .LBB15_631
; %bb.623:
	s_wait_loadcnt 0x0
	s_delay_alu instid0(VALU_DEP_1)
	v_cmp_le_i64_e32 vcc_lo, s[8:9], v[6:7]
	v_cmp_gt_i64_e64 s0, s[10:11], v[6:7]
	s_mov_b32 s27, 0
	s_mov_b32 s28, -1
	s_mov_b32 s29, s49
	s_and_b32 s0, vcc_lo, s0
	s_delay_alu instid0(SALU_CYCLE_1)
	s_and_b32 s30, s13, s0
	s_wait_xcnt 0x0
	s_and_saveexec_b32 s0, s30
	s_cbranch_execz .LBB15_719
; %bb.624:
	v_mov_b32_e32 v3, 0
	s_and_b32 s28, s38, 0xff
	s_delay_alu instid0(SALU_CYCLE_1) | instskip(NEXT) | instid1(VALU_DEP_1)
	s_cmp_lt_i32 s28, 11
	v_add_nc_u64_e32 v[2:3], s[4:5], v[2:3]
	s_cbranch_scc1 .LBB15_632
; %bb.625:
	s_and_b32 s29, 0xffff, s28
	s_delay_alu instid0(SALU_CYCLE_1)
	s_cmp_gt_i32 s29, 25
	s_cbranch_scc0 .LBB15_633
; %bb.626:
	s_cmp_gt_i32 s29, 28
	s_cbranch_scc0 .LBB15_634
; %bb.627:
	;; [unrolled: 3-line block ×4, first 2 shown]
	s_mov_b32 s31, 0
	s_mov_b32 s27, -1
	s_cmp_eq_u32 s29, 46
	s_mov_b32 s30, 0
	s_cbranch_scc0 .LBB15_637
; %bb.630:
	v_mov_b32_e32 v1, 0
	s_mov_b32 s30, -1
	s_mov_b32 s27, 0
	global_store_b32 v[2:3], v1, off
	s_branch .LBB15_637
.LBB15_631:
	s_mov_b32 s27, 0
	s_mov_b32 s29, s49
	;; [unrolled: 1-line block ×3, first 2 shown]
                                        ; implicit-def: $vgpr0
	s_branch .LBB15_720
.LBB15_632:
	s_mov_b32 s29, -1
	s_mov_b32 s30, 0
	s_mov_b32 s27, s49
	s_branch .LBB15_676
.LBB15_633:
	s_mov_b32 s31, -1
	s_mov_b32 s30, 0
	s_mov_b32 s27, s49
	s_branch .LBB15_656
.LBB15_634:
	s_mov_b32 s31, -1
	s_mov_b32 s30, 0
	s_mov_b32 s27, s49
	s_branch .LBB15_645
.LBB15_635:
	s_mov_b32 s31, -1
	s_mov_b32 s30, 0
	s_mov_b32 s27, s49
	s_branch .LBB15_641
.LBB15_636:
	s_mov_b32 s31, -1
	s_mov_b32 s30, 0
	s_mov_b32 s27, s49
.LBB15_637:
	s_and_b32 vcc_lo, exec_lo, s31
	s_cbranch_vccz .LBB15_640
; %bb.638:
	s_cmp_eq_u32 s29, 44
	s_mov_b32 s27, -1
	s_cbranch_scc0 .LBB15_640
; %bb.639:
	s_wait_xcnt 0x0
	v_mov_b32_e32 v1, 0
	s_mov_b32 s30, -1
	s_mov_b32 s27, 0
	global_store_b8 v[2:3], v1, off
.LBB15_640:
	s_mov_b32 s31, 0
.LBB15_641:
	s_delay_alu instid0(SALU_CYCLE_1)
	s_and_b32 vcc_lo, exec_lo, s31
	s_cbranch_vccz .LBB15_644
; %bb.642:
	s_cmp_eq_u32 s29, 29
	s_mov_b32 s27, -1
	s_cbranch_scc0 .LBB15_644
; %bb.643:
	v_mov_b64_e32 v[4:5], 0
	s_mov_b32 s30, -1
	s_mov_b32 s27, 0
	s_mov_b32 s31, 0
	global_store_b64 v[2:3], v[4:5], off
	s_branch .LBB15_645
.LBB15_644:
	s_mov_b32 s31, 0
.LBB15_645:
	s_delay_alu instid0(SALU_CYCLE_1)
	s_and_b32 vcc_lo, exec_lo, s31
	s_cbranch_vccz .LBB15_655
; %bb.646:
	s_cmp_lt_i32 s29, 27
	s_mov_b32 s30, -1
	s_cbranch_scc1 .LBB15_652
; %bb.647:
	s_cmp_gt_i32 s29, 27
	s_cbranch_scc0 .LBB15_649
; %bb.648:
	s_wait_xcnt 0x0
	v_mov_b32_e32 v1, 0
	s_mov_b32 s30, 0
	global_store_b32 v[2:3], v1, off
.LBB15_649:
	s_and_not1_b32 vcc_lo, exec_lo, s30
	s_cbranch_vccnz .LBB15_651
; %bb.650:
	s_wait_xcnt 0x0
	v_mov_b32_e32 v1, 0
	global_store_b16 v[2:3], v1, off
.LBB15_651:
	s_mov_b32 s30, 0
.LBB15_652:
	s_delay_alu instid0(SALU_CYCLE_1)
	s_and_not1_b32 vcc_lo, exec_lo, s30
	s_cbranch_vccnz .LBB15_654
; %bb.653:
	s_wait_xcnt 0x0
	v_mov_b32_e32 v1, 0
	global_store_b8 v[2:3], v1, off
.LBB15_654:
	s_mov_b32 s30, -1
.LBB15_655:
	s_mov_b32 s31, 0
.LBB15_656:
	s_delay_alu instid0(SALU_CYCLE_1)
	s_and_b32 vcc_lo, exec_lo, s31
	s_cbranch_vccz .LBB15_675
; %bb.657:
	s_cmp_gt_i32 s29, 22
	s_mov_b32 s31, -1
	s_cbranch_scc0 .LBB15_667
; %bb.658:
	s_cmp_lt_i32 s29, 24
	s_mov_b32 s30, -1
	s_cbranch_scc1 .LBB15_664
; %bb.659:
	s_cmp_gt_i32 s29, 24
	s_cbranch_scc0 .LBB15_661
; %bb.660:
	s_wait_xcnt 0x0
	v_mov_b32_e32 v1, 0
	s_mov_b32 s30, 0
	global_store_b8 v[2:3], v1, off
.LBB15_661:
	s_and_not1_b32 vcc_lo, exec_lo, s30
	s_cbranch_vccnz .LBB15_663
; %bb.662:
	s_wait_xcnt 0x0
	v_mov_b32_e32 v1, 0
	global_store_b8 v[2:3], v1, off
.LBB15_663:
	s_mov_b32 s30, 0
.LBB15_664:
	s_delay_alu instid0(SALU_CYCLE_1)
	s_and_not1_b32 vcc_lo, exec_lo, s30
	s_cbranch_vccnz .LBB15_666
; %bb.665:
	s_wait_xcnt 0x0
	v_mov_b32_e32 v1, 0
	global_store_b8 v[2:3], v1, off
.LBB15_666:
	s_mov_b32 s31, 0
	s_mov_b32 s30, -1
.LBB15_667:
	s_and_not1_b32 vcc_lo, exec_lo, s31
	s_cbranch_vccnz .LBB15_675
; %bb.668:
	s_cmp_gt_i32 s29, 14
	s_mov_b32 s31, -1
	s_cbranch_scc0 .LBB15_672
; %bb.669:
	s_cmp_eq_u32 s29, 15
	s_mov_b32 s27, -1
	s_cbranch_scc0 .LBB15_671
; %bb.670:
	s_wait_xcnt 0x0
	v_mov_b32_e32 v1, 0
	s_mov_b32 s30, -1
	s_mov_b32 s27, 0
	global_store_b16 v[2:3], v1, off
.LBB15_671:
	s_mov_b32 s31, 0
.LBB15_672:
	s_delay_alu instid0(SALU_CYCLE_1)
	s_and_b32 vcc_lo, exec_lo, s31
	s_cbranch_vccz .LBB15_675
; %bb.673:
	s_cmp_eq_u32 s29, 11
	s_mov_b32 s27, -1
	s_cbranch_scc0 .LBB15_675
; %bb.674:
	s_wait_xcnt 0x0
	v_mov_b32_e32 v1, 0
	s_mov_b32 s30, -1
	s_mov_b32 s27, 0
	global_store_b8 v[2:3], v1, off
.LBB15_675:
	s_mov_b32 s29, 0
.LBB15_676:
	s_delay_alu instid0(SALU_CYCLE_1)
	s_and_b32 vcc_lo, exec_lo, s29
	s_cbranch_vccz .LBB15_715
; %bb.677:
	s_and_b32 s28, 0xffff, s28
	s_mov_b32 s29, -1
	s_cmp_lt_i32 s28, 5
	s_cbranch_scc1 .LBB15_698
; %bb.678:
	s_cmp_lt_i32 s28, 8
	s_cbranch_scc1 .LBB15_688
; %bb.679:
	;; [unrolled: 3-line block ×3, first 2 shown]
	s_cmp_gt_i32 s28, 9
	s_cbranch_scc0 .LBB15_682
; %bb.681:
	s_wait_xcnt 0x0
	v_mov_b32_e32 v4, 0
	s_mov_b32 s29, 0
	s_delay_alu instid0(VALU_DEP_1)
	v_dual_mov_b32 v5, v4 :: v_dual_mov_b32 v6, v4
	v_mov_b32_e32 v7, v4
	global_store_b128 v[2:3], v[4:7], off
.LBB15_682:
	s_and_not1_b32 vcc_lo, exec_lo, s29
	s_cbranch_vccnz .LBB15_684
; %bb.683:
	s_wait_xcnt 0x0
	v_mov_b64_e32 v[4:5], 0
	global_store_b64 v[2:3], v[4:5], off
.LBB15_684:
	s_mov_b32 s29, 0
.LBB15_685:
	s_delay_alu instid0(SALU_CYCLE_1)
	s_and_not1_b32 vcc_lo, exec_lo, s29
	s_cbranch_vccnz .LBB15_687
; %bb.686:
	s_wait_xcnt 0x0
	v_mov_b32_e32 v1, 0
	global_store_b32 v[2:3], v1, off
.LBB15_687:
	s_mov_b32 s29, 0
.LBB15_688:
	s_delay_alu instid0(SALU_CYCLE_1)
	s_and_not1_b32 vcc_lo, exec_lo, s29
	s_cbranch_vccnz .LBB15_697
; %bb.689:
	s_cmp_lt_i32 s28, 6
	s_mov_b32 s29, -1
	s_cbranch_scc1 .LBB15_695
; %bb.690:
	s_cmp_gt_i32 s28, 6
	s_cbranch_scc0 .LBB15_692
; %bb.691:
	s_wait_xcnt 0x0
	v_mov_b64_e32 v[4:5], 0
	s_mov_b32 s29, 0
	global_store_b64 v[2:3], v[4:5], off
.LBB15_692:
	s_and_not1_b32 vcc_lo, exec_lo, s29
	s_cbranch_vccnz .LBB15_694
; %bb.693:
	s_wait_xcnt 0x0
	v_mov_b32_e32 v1, 0
	global_store_b32 v[2:3], v1, off
.LBB15_694:
	s_mov_b32 s29, 0
.LBB15_695:
	s_delay_alu instid0(SALU_CYCLE_1)
	s_and_not1_b32 vcc_lo, exec_lo, s29
	s_cbranch_vccnz .LBB15_697
; %bb.696:
	s_wait_xcnt 0x0
	v_mov_b32_e32 v1, 0
	global_store_b16 v[2:3], v1, off
.LBB15_697:
	s_mov_b32 s29, 0
.LBB15_698:
	s_delay_alu instid0(SALU_CYCLE_1)
	s_and_not1_b32 vcc_lo, exec_lo, s29
	s_cbranch_vccnz .LBB15_714
; %bb.699:
	s_cmp_lt_i32 s28, 2
	s_mov_b32 s29, -1
	s_cbranch_scc1 .LBB15_709
; %bb.700:
	s_cmp_lt_i32 s28, 3
	s_cbranch_scc1 .LBB15_706
; %bb.701:
	s_cmp_gt_i32 s28, 3
	s_cbranch_scc0 .LBB15_703
; %bb.702:
	s_wait_xcnt 0x0
	v_mov_b64_e32 v[4:5], 0
	s_mov_b32 s29, 0
	global_store_b64 v[2:3], v[4:5], off
.LBB15_703:
	s_and_not1_b32 vcc_lo, exec_lo, s29
	s_cbranch_vccnz .LBB15_705
; %bb.704:
	s_wait_xcnt 0x0
	v_mov_b32_e32 v1, 0
	global_store_b32 v[2:3], v1, off
.LBB15_705:
	s_mov_b32 s29, 0
.LBB15_706:
	s_delay_alu instid0(SALU_CYCLE_1)
	s_and_not1_b32 vcc_lo, exec_lo, s29
	s_cbranch_vccnz .LBB15_708
; %bb.707:
	s_wait_xcnt 0x0
	v_mov_b32_e32 v1, 0
	global_store_b16 v[2:3], v1, off
.LBB15_708:
	s_mov_b32 s29, 0
.LBB15_709:
	s_delay_alu instid0(SALU_CYCLE_1)
	s_and_not1_b32 vcc_lo, exec_lo, s29
	s_cbranch_vccnz .LBB15_714
; %bb.710:
	s_cmp_gt_i32 s28, 0
	s_mov_b32 s28, -1
	s_cbranch_scc0 .LBB15_712
; %bb.711:
	s_wait_xcnt 0x0
	v_mov_b32_e32 v1, 0
	s_mov_b32 s28, 0
	global_store_b8 v[2:3], v1, off
.LBB15_712:
	s_and_not1_b32 vcc_lo, exec_lo, s28
	s_cbranch_vccnz .LBB15_714
; %bb.713:
	s_wait_xcnt 0x0
	v_mov_b32_e32 v1, 0
	global_store_b8 v[2:3], v1, off
.LBB15_714:
	s_mov_b32 s30, -1
.LBB15_715:
	s_delay_alu instid0(SALU_CYCLE_1)
	s_and_not1_b32 vcc_lo, exec_lo, s30
	s_cbranch_vccnz .LBB15_717
; %bb.716:
	v_add_nc_u32_e32 v0, 0x80, v0
	s_mov_b32 s30, -1
	s_branch .LBB15_718
.LBB15_717:
	s_mov_b32 s30, 0
                                        ; implicit-def: $vgpr0
.LBB15_718:
	s_and_not1_b32 s28, s49, exec_lo
	s_and_b32 s27, s27, exec_lo
	s_delay_alu instid0(SALU_CYCLE_1)
	s_or_b32 s29, s28, s27
	s_xor_b32 s28, exec_lo, -1
	s_and_b32 s27, s30, exec_lo
.LBB15_719:
	s_wait_xcnt 0x0
	s_or_b32 exec_lo, exec_lo, s0
.LBB15_720:
	s_delay_alu instid0(SALU_CYCLE_1)
	s_and_not1_b32 s0, s49, exec_lo
	s_and_b32 s29, s29, exec_lo
	s_and_b32 s28, s28, exec_lo
	s_or_b32 s30, s0, s29
	s_and_not1_b32 s0, s50, exec_lo
	s_and_not1_b32 s29, s48, exec_lo
	s_and_b32 s26, s26, exec_lo
	s_or_b32 s31, s0, s28
	s_or_b32 s0, s29, s26
	s_or_not1_b32 s29, s27, exec_lo
.LBB15_721:
	s_wait_xcnt 0x0
	s_or_b32 exec_lo, exec_lo, s52
	s_mov_b32 s26, 0
	s_mov_b32 s27, 0
	;; [unrolled: 1-line block ×3, first 2 shown]
                                        ; implicit-def: $vgpr4_vgpr5
                                        ; implicit-def: $vgpr2
                                        ; implicit-def: $vgpr6_vgpr7
	s_and_saveexec_b32 s52, s29
	s_cbranch_execz .LBB15_815
; %bb.722:
	v_cmp_gt_i32_e32 vcc_lo, s41, v0
	s_mov_b32 s29, s0
                                        ; implicit-def: $vgpr4_vgpr5
                                        ; implicit-def: $vgpr2
                                        ; implicit-def: $vgpr6_vgpr7
	s_and_saveexec_b32 s41, vcc_lo
	s_cbranch_execz .LBB15_814
; %bb.723:
	s_and_not1_b32 vcc_lo, exec_lo, s36
	s_cbranch_vccnz .LBB15_729
; %bb.724:
	s_and_not1_b32 vcc_lo, exec_lo, s43
	s_cbranch_vccnz .LBB15_730
; %bb.725:
	s_add_co_i32 s42, s42, 1
	s_cmp_eq_u32 s34, 2
	s_cbranch_scc1 .LBB15_731
; %bb.726:
	v_dual_mov_b32 v2, 0 :: v_dual_mov_b32 v4, 0
	v_mov_b32_e32 v1, v0
	s_and_b32 s26, s42, 28
	s_mov_b64 s[28:29], s[2:3]
.LBB15_727:                             ; =>This Inner Loop Header: Depth=1
	s_clause 0x1
	s_load_b256 s[56:63], s[28:29], 0x4
	s_load_b128 s[72:75], s[28:29], 0x24
	s_load_b256 s[64:71], s[24:25], 0x0
	s_add_co_i32 s27, s27, 4
	s_wait_xcnt 0x0
	s_add_nc_u64 s[28:29], s[28:29], 48
	s_cmp_eq_u32 s26, s27
	s_add_nc_u64 s[24:25], s[24:25], 32
	s_wait_kmcnt 0x0
	v_mul_hi_u32 v3, s57, v1
	s_delay_alu instid0(VALU_DEP_1) | instskip(NEXT) | instid1(VALU_DEP_1)
	v_add_nc_u32_e32 v3, v1, v3
	v_lshrrev_b32_e32 v3, s58, v3
	s_delay_alu instid0(VALU_DEP_1) | instskip(NEXT) | instid1(VALU_DEP_1)
	v_mul_hi_u32 v5, s60, v3
	v_add_nc_u32_e32 v5, v3, v5
	s_delay_alu instid0(VALU_DEP_1) | instskip(SKIP_1) | instid1(VALU_DEP_1)
	v_lshrrev_b32_e32 v5, s61, v5
	s_wait_loadcnt 0x0
	v_mul_hi_u32 v6, s63, v5
	s_delay_alu instid0(VALU_DEP_1) | instskip(SKIP_1) | instid1(VALU_DEP_1)
	v_add_nc_u32_e32 v6, v5, v6
	v_mul_lo_u32 v7, v3, s56
	v_sub_nc_u32_e32 v1, v1, v7
	v_mul_lo_u32 v7, v5, s59
	s_delay_alu instid0(VALU_DEP_4) | instskip(NEXT) | instid1(VALU_DEP_3)
	v_lshrrev_b32_e32 v6, s72, v6
	v_mad_u32 v4, v1, s65, v4
	v_mad_u32 v1, v1, s64, v2
	s_delay_alu instid0(VALU_DEP_4) | instskip(NEXT) | instid1(VALU_DEP_4)
	v_sub_nc_u32_e32 v2, v3, v7
	v_mul_hi_u32 v8, s74, v6
	v_mul_lo_u32 v3, v6, s62
	s_delay_alu instid0(VALU_DEP_3) | instskip(SKIP_1) | instid1(VALU_DEP_3)
	v_mad_u32 v4, v2, s67, v4
	v_mad_u32 v2, v2, s66, v1
	v_dual_add_nc_u32 v7, v6, v8 :: v_dual_sub_nc_u32 v3, v5, v3
	s_delay_alu instid0(VALU_DEP_1) | instskip(NEXT) | instid1(VALU_DEP_2)
	v_lshrrev_b32_e32 v1, s75, v7
	v_mad_u32 v4, v3, s69, v4
	s_delay_alu instid0(VALU_DEP_4) | instskip(NEXT) | instid1(VALU_DEP_3)
	v_mad_u32 v2, v3, s68, v2
	v_mul_lo_u32 v5, v1, s73
	s_delay_alu instid0(VALU_DEP_1) | instskip(NEXT) | instid1(VALU_DEP_1)
	v_sub_nc_u32_e32 v3, v6, v5
	v_mad_u32 v4, v3, s71, v4
	s_delay_alu instid0(VALU_DEP_4)
	v_mad_u32 v2, v3, s70, v2
	s_cbranch_scc0 .LBB15_727
; %bb.728:
	s_delay_alu instid0(VALU_DEP_2)
	v_mov_b32_e32 v3, v4
	s_branch .LBB15_732
.LBB15_729:
	s_mov_b32 s24, -1
                                        ; implicit-def: $vgpr4
                                        ; implicit-def: $vgpr2
	s_branch .LBB15_737
.LBB15_730:
	v_dual_mov_b32 v4, 0 :: v_dual_mov_b32 v2, 0
	s_branch .LBB15_736
.LBB15_731:
	v_mov_b64_e32 v[2:3], 0
	v_mov_b32_e32 v1, v0
                                        ; implicit-def: $vgpr4
.LBB15_732:
	s_and_b32 s28, s42, 3
	s_mov_b32 s27, 0
	s_cmp_eq_u32 s28, 0
	s_cbranch_scc1 .LBB15_736
; %bb.733:
	s_lshl_b32 s24, s26, 3
	s_mov_b32 s25, s27
	s_mul_u64 s[26:27], s[26:27], 12
	s_add_nc_u64 s[24:25], s[2:3], s[24:25]
	s_add_nc_u64 s[26:27], s[2:3], s[26:27]
	;; [unrolled: 1-line block ×3, first 2 shown]
.LBB15_734:                             ; =>This Inner Loop Header: Depth=1
	s_load_b96 s[56:58], s[26:27], 0x4
	s_load_b64 s[42:43], s[24:25], 0x0
	s_add_co_i32 s28, s28, -1
	s_wait_xcnt 0x0
	s_add_nc_u64 s[26:27], s[26:27], 12
	s_cmp_lg_u32 s28, 0
	s_add_nc_u64 s[24:25], s[24:25], 8
	s_wait_kmcnt 0x0
	v_mul_hi_u32 v4, s57, v1
	s_delay_alu instid0(VALU_DEP_1) | instskip(NEXT) | instid1(VALU_DEP_1)
	v_add_nc_u32_e32 v4, v1, v4
	v_lshrrev_b32_e32 v4, s58, v4
	s_delay_alu instid0(VALU_DEP_1) | instskip(NEXT) | instid1(VALU_DEP_1)
	v_mul_lo_u32 v5, v4, s56
	v_sub_nc_u32_e32 v1, v1, v5
	s_delay_alu instid0(VALU_DEP_1)
	v_mad_u32 v3, v1, s43, v3
	v_mad_u32 v2, v1, s42, v2
	v_mov_b32_e32 v1, v4
	s_cbranch_scc1 .LBB15_734
; %bb.735:
	s_delay_alu instid0(VALU_DEP_3)
	v_mov_b32_e32 v4, v3
.LBB15_736:
	s_mov_b32 s24, 0
.LBB15_737:
	s_delay_alu instid0(SALU_CYCLE_1)
	s_and_not1_b32 vcc_lo, exec_lo, s24
	s_cbranch_vccnz .LBB15_740
; %bb.738:
	v_mov_b32_e32 v1, 0
	s_and_not1_b32 vcc_lo, exec_lo, s40
	s_delay_alu instid0(VALU_DEP_1) | instskip(NEXT) | instid1(VALU_DEP_1)
	v_mul_u64_e32 v[2:3], s[20:21], v[0:1]
	v_add_nc_u32_e32 v2, v0, v3
	s_wait_loadcnt 0x0
	s_delay_alu instid0(VALU_DEP_1) | instskip(NEXT) | instid1(VALU_DEP_1)
	v_lshrrev_b32_e32 v6, s14, v2
	v_mul_lo_u32 v2, v6, s12
	s_delay_alu instid0(VALU_DEP_1) | instskip(NEXT) | instid1(VALU_DEP_1)
	v_sub_nc_u32_e32 v0, v0, v2
	v_mul_lo_u32 v4, v0, s17
	v_mul_lo_u32 v2, v0, s16
	s_cbranch_vccnz .LBB15_740
; %bb.739:
	v_mov_b32_e32 v7, v1
	s_delay_alu instid0(VALU_DEP_1) | instskip(NEXT) | instid1(VALU_DEP_1)
	v_mul_u64_e32 v[0:1], s[22:23], v[6:7]
	v_add_nc_u32_e32 v0, v6, v1
	s_delay_alu instid0(VALU_DEP_1) | instskip(NEXT) | instid1(VALU_DEP_1)
	v_lshrrev_b32_e32 v0, s1, v0
	v_mul_lo_u32 v0, v0, s15
	s_delay_alu instid0(VALU_DEP_1) | instskip(NEXT) | instid1(VALU_DEP_1)
	v_sub_nc_u32_e32 v0, v6, v0
	v_mad_u32 v2, v0, s18, v2
	v_mad_u32 v4, v0, s19, v4
.LBB15_740:
	v_mov_b32_e32 v5, 0
	s_and_b32 s1, 0xffff, s39
	s_delay_alu instid0(SALU_CYCLE_1) | instskip(NEXT) | instid1(VALU_DEP_1)
	s_cmp_lt_i32 s1, 11
	v_add_nc_u64_e32 v[4:5], s[6:7], v[4:5]
	s_cbranch_scc1 .LBB15_747
; %bb.741:
	s_cmp_gt_i32 s1, 25
	s_mov_b32 s7, 0
	s_cbranch_scc0 .LBB15_748
; %bb.742:
	s_cmp_gt_i32 s1, 28
	s_cbranch_scc0 .LBB15_749
; %bb.743:
	s_cmp_gt_i32 s1, 43
	;; [unrolled: 3-line block ×3, first 2 shown]
	s_cbranch_scc0 .LBB15_751
; %bb.745:
	s_cmp_eq_u32 s1, 46
	s_mov_b32 s14, 0
	s_cbranch_scc0 .LBB15_752
; %bb.746:
	global_load_b32 v0, v[4:5], off
	s_mov_b32 s6, 0
	s_mov_b32 s12, -1
	s_wait_loadcnt 0x0
	v_lshlrev_b32_e32 v0, 16, v0
	s_delay_alu instid0(VALU_DEP_1) | instskip(NEXT) | instid1(VALU_DEP_1)
	v_trunc_f32_e32 v0, v0
	v_mul_f32_e64 v1, 0x2f800000, |v0|
	s_delay_alu instid0(VALU_DEP_1) | instskip(NEXT) | instid1(VALU_DEP_1)
	v_floor_f32_e32 v1, v1
	v_fma_f32 v3, 0xcf800000, v1, |v0|
	v_ashrrev_i32_e32 v0, 31, v0
	v_cvt_u32_f32_e32 v6, v1
	s_delay_alu instid0(VALU_DEP_3) | instskip(NEXT) | instid1(VALU_DEP_2)
	v_cvt_u32_f32_e32 v3, v3
	v_dual_mov_b32 v1, v0 :: v_dual_bitop2_b32 v7, v6, v0 bitop3:0x14
	s_delay_alu instid0(VALU_DEP_2) | instskip(NEXT) | instid1(VALU_DEP_1)
	v_xor_b32_e32 v6, v3, v0
	v_sub_nc_u64_e32 v[6:7], v[6:7], v[0:1]
	s_branch .LBB15_754
.LBB15_747:
	s_mov_b32 s1, -1
	s_mov_b32 s12, 0
	s_mov_b32 s7, 0
	;; [unrolled: 1-line block ×3, first 2 shown]
                                        ; implicit-def: $vgpr6_vgpr7
	s_branch .LBB15_813
.LBB15_748:
	s_mov_b32 s14, -1
	s_mov_b32 s12, 0
	s_mov_b32 s6, s0
                                        ; implicit-def: $vgpr6_vgpr7
	s_branch .LBB15_781
.LBB15_749:
	s_mov_b32 s14, -1
	s_mov_b32 s12, 0
	s_mov_b32 s6, s0
                                        ; implicit-def: $vgpr6_vgpr7
	s_branch .LBB15_764
.LBB15_750:
	s_mov_b32 s14, -1
	s_mov_b32 s12, 0
	s_mov_b32 s6, s0
                                        ; implicit-def: $vgpr6_vgpr7
	s_branch .LBB15_759
.LBB15_751:
	s_mov_b32 s14, -1
	s_mov_b32 s12, 0
	s_mov_b32 s6, s0
	s_branch .LBB15_753
.LBB15_752:
	s_mov_b32 s6, -1
	s_mov_b32 s12, 0
.LBB15_753:
                                        ; implicit-def: $vgpr6_vgpr7
.LBB15_754:
	s_and_b32 vcc_lo, exec_lo, s14
	s_cbranch_vccz .LBB15_758
; %bb.755:
	s_cmp_eq_u32 s1, 44
	s_cbranch_scc0 .LBB15_757
; %bb.756:
	global_load_u8 v3, v[4:5], off
	s_mov_b32 s6, 0
	s_mov_b32 s12, -1
	s_wait_loadcnt 0x0
	v_cmp_ne_u32_e32 vcc_lo, 0, v3
	v_lshlrev_b32_e32 v0, 23, v3
	s_delay_alu instid0(VALU_DEP_1) | instskip(NEXT) | instid1(VALU_DEP_1)
	v_trunc_f32_e32 v0, v0
	v_mul_f32_e64 v1, 0x2f800000, |v0|
	s_delay_alu instid0(VALU_DEP_1) | instskip(NEXT) | instid1(VALU_DEP_1)
	v_floor_f32_e32 v1, v1
	v_fma_f32 v6, 0xcf800000, v1, |v0|
	v_ashrrev_i32_e32 v0, 31, v0
	v_cvt_u32_f32_e32 v7, v1
	s_delay_alu instid0(VALU_DEP_3) | instskip(NEXT) | instid1(VALU_DEP_2)
	v_cvt_u32_f32_e32 v6, v6
	v_dual_mov_b32 v1, v0 :: v_dual_bitop2_b32 v7, v7, v0 bitop3:0x14
	s_delay_alu instid0(VALU_DEP_2) | instskip(NEXT) | instid1(VALU_DEP_1)
	v_xor_b32_e32 v6, v6, v0
	v_sub_nc_u64_e32 v[0:1], v[6:7], v[0:1]
	s_delay_alu instid0(VALU_DEP_1)
	v_dual_cndmask_b32 v7, 0, v1 :: v_dual_cndmask_b32 v6, 0, v0
	s_branch .LBB15_758
.LBB15_757:
	s_mov_b32 s6, -1
                                        ; implicit-def: $vgpr6_vgpr7
.LBB15_758:
	s_mov_b32 s14, 0
.LBB15_759:
	s_delay_alu instid0(SALU_CYCLE_1)
	s_and_b32 vcc_lo, exec_lo, s14
	s_cbranch_vccz .LBB15_763
; %bb.760:
	s_cmp_eq_u32 s1, 29
	s_cbranch_scc0 .LBB15_762
; %bb.761:
	s_wait_loadcnt 0x0
	global_load_b64 v[6:7], v[4:5], off
	s_mov_b32 s6, 0
	s_mov_b32 s12, -1
	s_branch .LBB15_763
.LBB15_762:
	s_mov_b32 s6, -1
                                        ; implicit-def: $vgpr6_vgpr7
.LBB15_763:
	s_mov_b32 s14, 0
.LBB15_764:
	s_delay_alu instid0(SALU_CYCLE_1)
	s_and_b32 vcc_lo, exec_lo, s14
	s_cbranch_vccz .LBB15_780
; %bb.765:
	s_cmp_lt_i32 s1, 27
	s_cbranch_scc1 .LBB15_768
; %bb.766:
	s_cmp_gt_i32 s1, 27
	s_cbranch_scc0 .LBB15_769
; %bb.767:
	s_wait_loadcnt 0x0
	global_load_b32 v6, v[4:5], off
	v_mov_b32_e32 v7, 0
	s_mov_b32 s12, 0
	s_branch .LBB15_770
.LBB15_768:
	s_mov_b32 s12, -1
                                        ; implicit-def: $vgpr6_vgpr7
	s_branch .LBB15_773
.LBB15_769:
	s_mov_b32 s12, -1
                                        ; implicit-def: $vgpr6_vgpr7
.LBB15_770:
	s_delay_alu instid0(SALU_CYCLE_1)
	s_and_not1_b32 vcc_lo, exec_lo, s12
	s_cbranch_vccnz .LBB15_772
; %bb.771:
	global_load_u16 v0, v[4:5], off
	s_mov_b32 s12, 0
	s_wait_loadcnt 0x1
	v_mov_b32_e32 v7, s12
	s_wait_loadcnt 0x0
	v_and_b32_e32 v6, 0xffff, v0
.LBB15_772:
	s_mov_b32 s12, 0
.LBB15_773:
	s_delay_alu instid0(SALU_CYCLE_1)
	s_and_not1_b32 vcc_lo, exec_lo, s12
	s_cbranch_vccnz .LBB15_779
; %bb.774:
	global_load_u8 v0, v[4:5], off
	s_mov_b32 s14, 0
	s_mov_b32 s12, exec_lo
	s_wait_loadcnt 0x0
	v_cmpx_lt_i16_e32 0x7f, v0
	s_xor_b32 s12, exec_lo, s12
	s_cbranch_execz .LBB15_791
; %bb.775:
	v_cmp_ne_u16_e32 vcc_lo, 0x80, v0
	s_and_b32 s14, vcc_lo, exec_lo
	s_and_not1_saveexec_b32 s12, s12
	s_cbranch_execnz .LBB15_792
.LBB15_776:
	s_or_b32 exec_lo, exec_lo, s12
	v_mov_b64_e32 v[6:7], 0
	s_and_saveexec_b32 s12, s14
	s_cbranch_execz .LBB15_778
.LBB15_777:
	v_and_b32_e32 v1, 0xffff, v0
	s_delay_alu instid0(VALU_DEP_1) | instskip(SKIP_1) | instid1(VALU_DEP_2)
	v_and_b32_e32 v3, 7, v1
	v_bfe_u32 v8, v1, 3, 4
	v_clz_i32_u32_e32 v6, v3
	s_delay_alu instid0(VALU_DEP_2) | instskip(NEXT) | instid1(VALU_DEP_2)
	v_cmp_eq_u32_e32 vcc_lo, 0, v8
	v_min_u32_e32 v6, 32, v6
	s_delay_alu instid0(VALU_DEP_1) | instskip(NEXT) | instid1(VALU_DEP_1)
	v_subrev_nc_u32_e32 v7, 28, v6
	v_dual_lshlrev_b32 v1, v7, v1 :: v_dual_sub_nc_u32 v6, 29, v6
	s_delay_alu instid0(VALU_DEP_1) | instskip(NEXT) | instid1(VALU_DEP_1)
	v_dual_lshlrev_b32 v0, 24, v0 :: v_dual_bitop2_b32 v1, 7, v1 bitop3:0x40
	v_dual_cndmask_b32 v6, v8, v6 :: v_dual_cndmask_b32 v1, v3, v1
	s_delay_alu instid0(VALU_DEP_2) | instskip(NEXT) | instid1(VALU_DEP_2)
	v_and_b32_e32 v0, 0x80000000, v0
	v_lshl_add_u32 v3, v6, 23, 0x3b800000
	s_delay_alu instid0(VALU_DEP_3) | instskip(NEXT) | instid1(VALU_DEP_1)
	v_lshlrev_b32_e32 v1, 20, v1
	v_or3_b32 v0, v0, v3, v1
	s_delay_alu instid0(VALU_DEP_1) | instskip(NEXT) | instid1(VALU_DEP_1)
	v_trunc_f32_e32 v0, v0
	v_mul_f32_e64 v1, 0x2f800000, |v0|
	s_delay_alu instid0(VALU_DEP_1) | instskip(NEXT) | instid1(VALU_DEP_1)
	v_floor_f32_e32 v1, v1
	v_fma_f32 v3, 0xcf800000, v1, |v0|
	v_ashrrev_i32_e32 v0, 31, v0
	v_cvt_u32_f32_e32 v6, v1
	s_delay_alu instid0(VALU_DEP_3) | instskip(NEXT) | instid1(VALU_DEP_2)
	v_cvt_u32_f32_e32 v3, v3
	v_dual_mov_b32 v1, v0 :: v_dual_bitop2_b32 v7, v6, v0 bitop3:0x14
	s_delay_alu instid0(VALU_DEP_2) | instskip(NEXT) | instid1(VALU_DEP_1)
	v_xor_b32_e32 v6, v3, v0
	v_sub_nc_u64_e32 v[6:7], v[6:7], v[0:1]
.LBB15_778:
	s_or_b32 exec_lo, exec_lo, s12
.LBB15_779:
	s_mov_b32 s12, -1
.LBB15_780:
	s_mov_b32 s14, 0
.LBB15_781:
	s_delay_alu instid0(SALU_CYCLE_1)
	s_and_b32 vcc_lo, exec_lo, s14
	s_cbranch_vccz .LBB15_812
; %bb.782:
	s_cmp_gt_i32 s1, 22
	s_cbranch_scc0 .LBB15_790
; %bb.783:
	s_cmp_lt_i32 s1, 24
	s_cbranch_scc1 .LBB15_793
; %bb.784:
	s_cmp_gt_i32 s1, 24
	s_cbranch_scc0 .LBB15_794
; %bb.785:
	global_load_u8 v0, v[4:5], off
	s_mov_b32 s12, 0
	s_mov_b32 s7, exec_lo
	s_wait_loadcnt 0x0
	v_cmpx_lt_i16_e32 0x7f, v0
	s_xor_b32 s7, exec_lo, s7
	s_cbranch_execz .LBB15_806
; %bb.786:
	v_cmp_ne_u16_e32 vcc_lo, 0x80, v0
	s_and_b32 s12, vcc_lo, exec_lo
	s_and_not1_saveexec_b32 s7, s7
	s_cbranch_execnz .LBB15_807
.LBB15_787:
	s_or_b32 exec_lo, exec_lo, s7
	v_mov_b64_e32 v[6:7], 0
	s_and_saveexec_b32 s7, s12
	s_cbranch_execz .LBB15_789
.LBB15_788:
	v_and_b32_e32 v1, 0xffff, v0
	s_delay_alu instid0(VALU_DEP_1) | instskip(SKIP_1) | instid1(VALU_DEP_2)
	v_and_b32_e32 v3, 3, v1
	v_bfe_u32 v8, v1, 2, 5
	v_clz_i32_u32_e32 v6, v3
	s_delay_alu instid0(VALU_DEP_2) | instskip(NEXT) | instid1(VALU_DEP_2)
	v_cmp_eq_u32_e32 vcc_lo, 0, v8
	v_min_u32_e32 v6, 32, v6
	s_delay_alu instid0(VALU_DEP_1) | instskip(NEXT) | instid1(VALU_DEP_1)
	v_subrev_nc_u32_e32 v7, 29, v6
	v_dual_lshlrev_b32 v1, v7, v1 :: v_dual_sub_nc_u32 v6, 30, v6
	s_delay_alu instid0(VALU_DEP_1) | instskip(NEXT) | instid1(VALU_DEP_1)
	v_dual_lshlrev_b32 v0, 24, v0 :: v_dual_bitop2_b32 v1, 3, v1 bitop3:0x40
	v_dual_cndmask_b32 v6, v8, v6 :: v_dual_cndmask_b32 v1, v3, v1
	s_delay_alu instid0(VALU_DEP_2) | instskip(NEXT) | instid1(VALU_DEP_2)
	v_and_b32_e32 v0, 0x80000000, v0
	v_lshl_add_u32 v3, v6, 23, 0x37800000
	s_delay_alu instid0(VALU_DEP_3) | instskip(NEXT) | instid1(VALU_DEP_1)
	v_lshlrev_b32_e32 v1, 21, v1
	v_or3_b32 v0, v0, v3, v1
	s_delay_alu instid0(VALU_DEP_1) | instskip(NEXT) | instid1(VALU_DEP_1)
	v_trunc_f32_e32 v0, v0
	v_mul_f32_e64 v1, 0x2f800000, |v0|
	s_delay_alu instid0(VALU_DEP_1) | instskip(NEXT) | instid1(VALU_DEP_1)
	v_floor_f32_e32 v1, v1
	v_fma_f32 v3, 0xcf800000, v1, |v0|
	v_ashrrev_i32_e32 v0, 31, v0
	v_cvt_u32_f32_e32 v6, v1
	s_delay_alu instid0(VALU_DEP_3) | instskip(NEXT) | instid1(VALU_DEP_2)
	v_cvt_u32_f32_e32 v3, v3
	v_dual_mov_b32 v1, v0 :: v_dual_bitop2_b32 v7, v6, v0 bitop3:0x14
	s_delay_alu instid0(VALU_DEP_2) | instskip(NEXT) | instid1(VALU_DEP_1)
	v_xor_b32_e32 v6, v3, v0
	v_sub_nc_u64_e32 v[6:7], v[6:7], v[0:1]
.LBB15_789:
	s_or_b32 exec_lo, exec_lo, s7
	s_mov_b32 s7, 0
	s_branch .LBB15_795
.LBB15_790:
	s_mov_b32 s7, -1
                                        ; implicit-def: $vgpr6_vgpr7
	s_branch .LBB15_801
.LBB15_791:
	s_and_not1_saveexec_b32 s12, s12
	s_cbranch_execz .LBB15_776
.LBB15_792:
	v_cmp_ne_u16_e32 vcc_lo, 0, v0
	s_and_not1_b32 s14, s14, exec_lo
	s_and_b32 s15, vcc_lo, exec_lo
	s_delay_alu instid0(SALU_CYCLE_1)
	s_or_b32 s14, s14, s15
	s_or_b32 exec_lo, exec_lo, s12
	v_mov_b64_e32 v[6:7], 0
	s_and_saveexec_b32 s12, s14
	s_cbranch_execnz .LBB15_777
	s_branch .LBB15_778
.LBB15_793:
	s_mov_b32 s7, -1
                                        ; implicit-def: $vgpr6_vgpr7
	s_branch .LBB15_798
.LBB15_794:
	s_mov_b32 s7, -1
                                        ; implicit-def: $vgpr6_vgpr7
.LBB15_795:
	s_delay_alu instid0(SALU_CYCLE_1)
	s_and_b32 vcc_lo, exec_lo, s7
	s_cbranch_vccz .LBB15_797
; %bb.796:
	global_load_u8 v0, v[4:5], off
	s_wait_loadcnt 0x0
	v_lshlrev_b32_e32 v0, 24, v0
	s_delay_alu instid0(VALU_DEP_1) | instskip(NEXT) | instid1(VALU_DEP_1)
	v_and_b32_e32 v1, 0x7f000000, v0
	v_clz_i32_u32_e32 v3, v1
	v_add_nc_u32_e32 v7, 0x1000000, v1
	v_cmp_ne_u32_e32 vcc_lo, 0, v1
	s_delay_alu instid0(VALU_DEP_3) | instskip(NEXT) | instid1(VALU_DEP_1)
	v_min_u32_e32 v3, 32, v3
	v_sub_nc_u32_e64 v3, v3, 4 clamp
	s_delay_alu instid0(VALU_DEP_1) | instskip(NEXT) | instid1(VALU_DEP_1)
	v_dual_lshlrev_b32 v6, v3, v1 :: v_dual_lshlrev_b32 v3, 23, v3
	v_lshrrev_b32_e32 v6, 4, v6
	s_delay_alu instid0(VALU_DEP_1) | instskip(SKIP_1) | instid1(VALU_DEP_2)
	v_sub_nc_u32_e32 v3, v6, v3
	v_ashrrev_i32_e32 v6, 8, v7
	v_add_nc_u32_e32 v3, 0x3c000000, v3
	s_delay_alu instid0(VALU_DEP_1) | instskip(NEXT) | instid1(VALU_DEP_1)
	v_and_or_b32 v3, 0x7f800000, v6, v3
	v_cndmask_b32_e32 v1, 0, v3, vcc_lo
	s_delay_alu instid0(VALU_DEP_1) | instskip(NEXT) | instid1(VALU_DEP_1)
	v_and_or_b32 v0, 0x80000000, v0, v1
	v_trunc_f32_e32 v0, v0
	s_delay_alu instid0(VALU_DEP_1) | instskip(NEXT) | instid1(VALU_DEP_1)
	v_mul_f32_e64 v1, 0x2f800000, |v0|
	v_floor_f32_e32 v1, v1
	s_delay_alu instid0(VALU_DEP_1) | instskip(SKIP_2) | instid1(VALU_DEP_3)
	v_fma_f32 v3, 0xcf800000, v1, |v0|
	v_ashrrev_i32_e32 v0, 31, v0
	v_cvt_u32_f32_e32 v6, v1
	v_cvt_u32_f32_e32 v3, v3
	s_delay_alu instid0(VALU_DEP_2) | instskip(NEXT) | instid1(VALU_DEP_2)
	v_dual_mov_b32 v1, v0 :: v_dual_bitop2_b32 v7, v6, v0 bitop3:0x14
	v_xor_b32_e32 v6, v3, v0
	s_delay_alu instid0(VALU_DEP_1)
	v_sub_nc_u64_e32 v[6:7], v[6:7], v[0:1]
.LBB15_797:
	s_mov_b32 s7, 0
.LBB15_798:
	s_delay_alu instid0(SALU_CYCLE_1)
	s_and_not1_b32 vcc_lo, exec_lo, s7
	s_cbranch_vccnz .LBB15_800
; %bb.799:
	global_load_u8 v0, v[4:5], off
	s_wait_loadcnt 0x0
	v_lshlrev_b32_e32 v1, 25, v0
	v_lshlrev_b16 v0, 8, v0
	s_delay_alu instid0(VALU_DEP_1) | instskip(SKIP_1) | instid1(VALU_DEP_2)
	v_and_or_b32 v6, 0x7f00, v0, 0.5
	v_bfe_i32 v0, v0, 0, 16
	v_dual_add_f32 v6, -0.5, v6 :: v_dual_lshrrev_b32 v3, 4, v1
	v_cmp_gt_u32_e32 vcc_lo, 0x8000000, v1
	s_delay_alu instid0(VALU_DEP_2) | instskip(NEXT) | instid1(VALU_DEP_1)
	v_or_b32_e32 v3, 0x70000000, v3
	v_mul_f32_e32 v3, 0x7800000, v3
	s_delay_alu instid0(VALU_DEP_1) | instskip(NEXT) | instid1(VALU_DEP_1)
	v_cndmask_b32_e32 v1, v3, v6, vcc_lo
	v_and_or_b32 v0, 0x80000000, v0, v1
	s_delay_alu instid0(VALU_DEP_1) | instskip(NEXT) | instid1(VALU_DEP_1)
	v_trunc_f32_e32 v0, v0
	v_mul_f32_e64 v1, 0x2f800000, |v0|
	s_delay_alu instid0(VALU_DEP_1) | instskip(NEXT) | instid1(VALU_DEP_1)
	v_floor_f32_e32 v1, v1
	v_fma_f32 v3, 0xcf800000, v1, |v0|
	v_ashrrev_i32_e32 v0, 31, v0
	v_cvt_u32_f32_e32 v6, v1
	s_delay_alu instid0(VALU_DEP_3) | instskip(NEXT) | instid1(VALU_DEP_2)
	v_cvt_u32_f32_e32 v3, v3
	v_dual_mov_b32 v1, v0 :: v_dual_bitop2_b32 v7, v6, v0 bitop3:0x14
	s_delay_alu instid0(VALU_DEP_2) | instskip(NEXT) | instid1(VALU_DEP_1)
	v_xor_b32_e32 v6, v3, v0
	v_sub_nc_u64_e32 v[6:7], v[6:7], v[0:1]
.LBB15_800:
	s_mov_b32 s7, 0
	s_mov_b32 s12, -1
.LBB15_801:
	s_and_not1_b32 vcc_lo, exec_lo, s7
	s_mov_b32 s7, 0
	s_cbranch_vccnz .LBB15_812
; %bb.802:
	s_cmp_gt_i32 s1, 14
	s_cbranch_scc0 .LBB15_805
; %bb.803:
	s_cmp_eq_u32 s1, 15
	s_cbranch_scc0 .LBB15_808
; %bb.804:
	global_load_u16 v0, v[4:5], off
	s_mov_b32 s6, 0
	s_mov_b32 s12, -1
	s_wait_loadcnt 0x0
	v_lshlrev_b32_e32 v0, 16, v0
	s_delay_alu instid0(VALU_DEP_1) | instskip(NEXT) | instid1(VALU_DEP_1)
	v_trunc_f32_e32 v0, v0
	v_mul_f32_e64 v1, 0x2f800000, |v0|
	s_delay_alu instid0(VALU_DEP_1) | instskip(NEXT) | instid1(VALU_DEP_1)
	v_floor_f32_e32 v1, v1
	v_fma_f32 v3, 0xcf800000, v1, |v0|
	v_ashrrev_i32_e32 v0, 31, v0
	v_cvt_u32_f32_e32 v6, v1
	s_delay_alu instid0(VALU_DEP_3) | instskip(NEXT) | instid1(VALU_DEP_2)
	v_cvt_u32_f32_e32 v3, v3
	v_dual_mov_b32 v1, v0 :: v_dual_bitop2_b32 v7, v6, v0 bitop3:0x14
	s_delay_alu instid0(VALU_DEP_2) | instskip(NEXT) | instid1(VALU_DEP_1)
	v_xor_b32_e32 v6, v3, v0
	v_sub_nc_u64_e32 v[6:7], v[6:7], v[0:1]
	s_branch .LBB15_810
.LBB15_805:
	s_mov_b32 s7, -1
	s_branch .LBB15_809
.LBB15_806:
	s_and_not1_saveexec_b32 s7, s7
	s_cbranch_execz .LBB15_787
.LBB15_807:
	v_cmp_ne_u16_e32 vcc_lo, 0, v0
	s_and_not1_b32 s12, s12, exec_lo
	s_and_b32 s14, vcc_lo, exec_lo
	s_delay_alu instid0(SALU_CYCLE_1)
	s_or_b32 s12, s12, s14
	s_or_b32 exec_lo, exec_lo, s7
	v_mov_b64_e32 v[6:7], 0
	s_and_saveexec_b32 s7, s12
	s_cbranch_execnz .LBB15_788
	s_branch .LBB15_789
.LBB15_808:
	s_mov_b32 s6, -1
.LBB15_809:
                                        ; implicit-def: $vgpr6_vgpr7
.LBB15_810:
	s_and_b32 vcc_lo, exec_lo, s7
	s_mov_b32 s7, 0
	s_cbranch_vccz .LBB15_812
; %bb.811:
	s_cmp_lg_u32 s1, 11
	s_mov_b32 s7, -1
	s_cselect_b32 s1, -1, 0
	s_and_not1_b32 s6, s6, exec_lo
	s_and_b32 s1, s1, exec_lo
	s_delay_alu instid0(SALU_CYCLE_1)
	s_or_b32 s6, s6, s1
.LBB15_812:
	s_mov_b32 s1, 0
.LBB15_813:
	s_delay_alu instid0(SALU_CYCLE_1)
	s_and_b32 s27, s1, exec_lo
	s_and_not1_b32 s1, s0, exec_lo
	s_and_b32 s6, s6, exec_lo
	s_and_b32 s28, s12, exec_lo
	;; [unrolled: 1-line block ×3, first 2 shown]
	s_or_b32 s29, s1, s6
.LBB15_814:
	s_wait_xcnt 0x0
	s_or_b32 exec_lo, exec_lo, s41
	s_delay_alu instid0(SALU_CYCLE_1)
	s_and_not1_b32 s0, s0, exec_lo
	s_and_b32 s1, s29, exec_lo
	s_and_b32 s28, s28, exec_lo
	;; [unrolled: 1-line block ×4, first 2 shown]
	s_or_b32 s0, s0, s1
.LBB15_815:
	s_or_b32 exec_lo, exec_lo, s52
	s_delay_alu instid0(SALU_CYCLE_1)
	s_and_not1_b32 s1, s49, exec_lo
	s_and_b32 s6, s30, exec_lo
	s_and_not1_b32 s7, s50, exec_lo
	s_and_b32 s12, s31, exec_lo
	s_or_b32 s49, s1, s6
	s_and_not1_b32 s1, s48, exec_lo
	s_and_b32 s0, s0, exec_lo
	s_or_b32 s50, s7, s12
	s_and_b32 s28, s28, exec_lo
	s_and_b32 s27, s27, exec_lo
	;; [unrolled: 1-line block ×3, first 2 shown]
	s_or_b32 s48, s1, s0
.LBB15_816:
	s_or_b32 exec_lo, exec_lo, s51
	s_delay_alu instid0(SALU_CYCLE_1)
	s_and_not1_b32 s0, s44, exec_lo
	s_and_b32 s1, s49, exec_lo
	s_and_not1_b32 s6, s45, exec_lo
	s_and_b32 s7, s50, exec_lo
	s_or_b32 s44, s0, s1
	s_or_b32 s45, s6, s7
	s_and_not1_b32 s1, s46, exec_lo
	s_and_b32 s6, s48, exec_lo
	s_and_b32 s0, s28, exec_lo
	;; [unrolled: 1-line block ×4, first 2 shown]
	s_or_b32 s46, s1, s6
	s_or_b32 exec_lo, exec_lo, s47
	s_mov_b32 s1, 0
	s_and_saveexec_b32 s6, s46
	s_cbranch_execz .LBB15_245
.LBB15_817:
	s_mov_b32 s1, exec_lo
	s_and_not1_b32 s21, s21, exec_lo
	s_trap 2
	s_or_b32 exec_lo, exec_lo, s6
	s_and_saveexec_b32 s6, s21
	s_delay_alu instid0(SALU_CYCLE_1)
	s_xor_b32 s6, exec_lo, s6
	s_cbranch_execnz .LBB15_246
.LBB15_818:
	s_or_b32 exec_lo, exec_lo, s6
	s_and_saveexec_b32 s6, s27
	s_cbranch_execz .LBB15_864
.LBB15_819:
	s_sext_i32_i16 s7, s39
	s_delay_alu instid0(SALU_CYCLE_1)
	s_cmp_lt_i32 s7, 5
	s_cbranch_scc1 .LBB15_824
; %bb.820:
	s_cmp_lt_i32 s7, 8
	s_cbranch_scc1 .LBB15_825
; %bb.821:
	;; [unrolled: 3-line block ×3, first 2 shown]
	s_cmp_gt_i32 s7, 9
	s_cbranch_scc0 .LBB15_827
; %bb.823:
	global_load_b64 v[0:1], v[4:5], off
	s_mov_b32 s7, 0
	s_wait_loadcnt 0x0
	v_trunc_f64_e32 v[0:1], v[0:1]
	s_delay_alu instid0(VALU_DEP_1) | instskip(NEXT) | instid1(VALU_DEP_1)
	v_ldexp_f64 v[6:7], v[0:1], 0xffffffe0
	v_floor_f64_e32 v[6:7], v[6:7]
	s_delay_alu instid0(VALU_DEP_1) | instskip(SKIP_1) | instid1(VALU_DEP_2)
	v_fmamk_f64 v[0:1], v[6:7], 0xc1f00000, v[0:1]
	v_cvt_i32_f64_e32 v7, v[6:7]
	v_cvt_u32_f64_e32 v6, v[0:1]
	s_branch .LBB15_828
.LBB15_824:
                                        ; implicit-def: $vgpr6_vgpr7
	s_branch .LBB15_845
.LBB15_825:
                                        ; implicit-def: $vgpr6_vgpr7
	s_branch .LBB15_834
.LBB15_826:
	s_mov_b32 s7, -1
                                        ; implicit-def: $vgpr6_vgpr7
	s_branch .LBB15_831
.LBB15_827:
	s_mov_b32 s7, -1
                                        ; implicit-def: $vgpr6_vgpr7
.LBB15_828:
	s_delay_alu instid0(SALU_CYCLE_1)
	s_and_not1_b32 vcc_lo, exec_lo, s7
	s_cbranch_vccnz .LBB15_830
; %bb.829:
	global_load_b32 v0, v[4:5], off
	s_wait_loadcnt 0x0
	v_trunc_f32_e32 v0, v0
	s_delay_alu instid0(VALU_DEP_1) | instskip(NEXT) | instid1(VALU_DEP_1)
	v_mul_f32_e64 v1, 0x2f800000, |v0|
	v_floor_f32_e32 v1, v1
	s_delay_alu instid0(VALU_DEP_1) | instskip(SKIP_2) | instid1(VALU_DEP_3)
	v_fma_f32 v3, 0xcf800000, v1, |v0|
	v_ashrrev_i32_e32 v0, 31, v0
	v_cvt_u32_f32_e32 v6, v1
	v_cvt_u32_f32_e32 v3, v3
	s_delay_alu instid0(VALU_DEP_2) | instskip(NEXT) | instid1(VALU_DEP_2)
	v_dual_mov_b32 v1, v0 :: v_dual_bitop2_b32 v7, v6, v0 bitop3:0x14
	v_xor_b32_e32 v6, v3, v0
	s_delay_alu instid0(VALU_DEP_1)
	v_sub_nc_u64_e32 v[6:7], v[6:7], v[0:1]
.LBB15_830:
	s_mov_b32 s7, 0
.LBB15_831:
	s_delay_alu instid0(SALU_CYCLE_1)
	s_and_not1_b32 vcc_lo, exec_lo, s7
	s_cbranch_vccnz .LBB15_833
; %bb.832:
	global_load_b32 v0, v[4:5], off
	s_wait_loadcnt 0x0
	v_cvt_f32_f16_e32 v0, v0
	s_delay_alu instid0(VALU_DEP_1) | instskip(NEXT) | instid1(VALU_DEP_1)
	v_cvt_i32_f32_e32 v6, v0
	v_ashrrev_i32_e32 v7, 31, v6
.LBB15_833:
	s_cbranch_execnz .LBB15_844
.LBB15_834:
	s_sext_i32_i16 s7, s39
	s_delay_alu instid0(SALU_CYCLE_1)
	s_cmp_lt_i32 s7, 6
	s_cbranch_scc1 .LBB15_837
; %bb.835:
	s_cmp_gt_i32 s7, 6
	s_cbranch_scc0 .LBB15_838
; %bb.836:
	global_load_b64 v[0:1], v[4:5], off
	s_mov_b32 s7, 0
	s_wait_loadcnt 0x0
	v_trunc_f64_e32 v[0:1], v[0:1]
	s_delay_alu instid0(VALU_DEP_1) | instskip(NEXT) | instid1(VALU_DEP_1)
	v_ldexp_f64 v[6:7], v[0:1], 0xffffffe0
	v_floor_f64_e32 v[6:7], v[6:7]
	s_delay_alu instid0(VALU_DEP_1) | instskip(SKIP_1) | instid1(VALU_DEP_2)
	v_fmamk_f64 v[0:1], v[6:7], 0xc1f00000, v[0:1]
	v_cvt_i32_f64_e32 v7, v[6:7]
	v_cvt_u32_f64_e32 v6, v[0:1]
	s_branch .LBB15_839
.LBB15_837:
	s_mov_b32 s7, -1
                                        ; implicit-def: $vgpr6_vgpr7
	s_branch .LBB15_842
.LBB15_838:
	s_mov_b32 s7, -1
                                        ; implicit-def: $vgpr6_vgpr7
.LBB15_839:
	s_delay_alu instid0(SALU_CYCLE_1)
	s_and_not1_b32 vcc_lo, exec_lo, s7
	s_cbranch_vccnz .LBB15_841
; %bb.840:
	global_load_b32 v0, v[4:5], off
	s_wait_loadcnt 0x0
	v_trunc_f32_e32 v0, v0
	s_delay_alu instid0(VALU_DEP_1) | instskip(NEXT) | instid1(VALU_DEP_1)
	v_mul_f32_e64 v1, 0x2f800000, |v0|
	v_floor_f32_e32 v1, v1
	s_delay_alu instid0(VALU_DEP_1) | instskip(SKIP_2) | instid1(VALU_DEP_3)
	v_fma_f32 v3, 0xcf800000, v1, |v0|
	v_ashrrev_i32_e32 v0, 31, v0
	v_cvt_u32_f32_e32 v6, v1
	v_cvt_u32_f32_e32 v3, v3
	s_delay_alu instid0(VALU_DEP_2) | instskip(NEXT) | instid1(VALU_DEP_2)
	v_dual_mov_b32 v1, v0 :: v_dual_bitop2_b32 v7, v6, v0 bitop3:0x14
	v_xor_b32_e32 v6, v3, v0
	s_delay_alu instid0(VALU_DEP_1)
	v_sub_nc_u64_e32 v[6:7], v[6:7], v[0:1]
.LBB15_841:
	s_mov_b32 s7, 0
.LBB15_842:
	s_delay_alu instid0(SALU_CYCLE_1)
	s_and_not1_b32 vcc_lo, exec_lo, s7
	s_cbranch_vccnz .LBB15_844
; %bb.843:
	global_load_u16 v0, v[4:5], off
	s_wait_loadcnt 0x0
	v_cvt_f32_f16_e32 v0, v0
	s_delay_alu instid0(VALU_DEP_1) | instskip(NEXT) | instid1(VALU_DEP_1)
	v_cvt_i32_f32_e32 v6, v0
	v_ashrrev_i32_e32 v7, 31, v6
.LBB15_844:
	s_cbranch_execnz .LBB15_863
.LBB15_845:
	s_sext_i32_i16 s7, s39
	s_delay_alu instid0(SALU_CYCLE_1)
	s_cmp_lt_i32 s7, 2
	s_cbranch_scc1 .LBB15_849
; %bb.846:
	s_cmp_lt_i32 s7, 3
	s_cbranch_scc1 .LBB15_850
; %bb.847:
	s_cmp_gt_i32 s7, 3
	s_cbranch_scc0 .LBB15_851
; %bb.848:
	s_wait_loadcnt 0x0
	global_load_b64 v[6:7], v[4:5], off
	s_mov_b32 s7, 0
	s_branch .LBB15_852
.LBB15_849:
                                        ; implicit-def: $vgpr6_vgpr7
	s_branch .LBB15_858
.LBB15_850:
	s_mov_b32 s7, -1
                                        ; implicit-def: $vgpr6_vgpr7
	s_branch .LBB15_855
.LBB15_851:
	s_mov_b32 s7, -1
                                        ; implicit-def: $vgpr6_vgpr7
.LBB15_852:
	s_delay_alu instid0(SALU_CYCLE_1)
	s_and_not1_b32 vcc_lo, exec_lo, s7
	s_cbranch_vccnz .LBB15_854
; %bb.853:
	s_wait_loadcnt 0x0
	global_load_b32 v6, v[4:5], off
	s_wait_loadcnt 0x0
	v_ashrrev_i32_e32 v7, 31, v6
.LBB15_854:
	s_mov_b32 s7, 0
.LBB15_855:
	s_delay_alu instid0(SALU_CYCLE_1)
	s_and_not1_b32 vcc_lo, exec_lo, s7
	s_cbranch_vccnz .LBB15_857
; %bb.856:
	global_load_u16 v0, v[4:5], off
	s_wait_loadcnt 0x0
	v_bfe_i32 v6, v0, 0, 16
	s_delay_alu instid0(VALU_DEP_1)
	v_ashrrev_i32_e32 v7, 31, v6
.LBB15_857:
	s_cbranch_execnz .LBB15_863
.LBB15_858:
	s_sext_i32_i16 s7, s39
	s_delay_alu instid0(SALU_CYCLE_1)
	s_cmp_gt_i32 s7, 0
	s_mov_b32 s7, 0
	s_cbranch_scc0 .LBB15_860
; %bb.859:
	global_load_i8 v0, v[4:5], off
	s_wait_loadcnt 0x0
	v_bfe_i32 v6, v0, 0, 16
	s_delay_alu instid0(VALU_DEP_1)
	v_ashrrev_i32_e32 v7, 31, v6
	s_branch .LBB15_861
.LBB15_860:
	s_mov_b32 s7, -1
                                        ; implicit-def: $vgpr6_vgpr7
.LBB15_861:
	s_delay_alu instid0(SALU_CYCLE_1)
	s_and_not1_b32 vcc_lo, exec_lo, s7
	s_cbranch_vccnz .LBB15_863
; %bb.862:
	global_load_u8 v0, v[4:5], off
	s_mov_b32 s7, 0
	s_wait_loadcnt 0x1
	v_mov_b32_e32 v7, s7
	s_wait_loadcnt 0x0
	v_and_b32_e32 v6, 0xffff, v0
.LBB15_863:
	s_or_b32 s0, s0, exec_lo
.LBB15_864:
	s_wait_xcnt 0x0
	s_or_b32 exec_lo, exec_lo, s6
	s_mov_b32 s12, 0
	s_and_saveexec_b32 s6, s0
	s_delay_alu instid0(SALU_CYCLE_1)
	s_xor_b32 s6, exec_lo, s6
	s_cbranch_execz .LBB15_866
; %bb.865:
	s_wait_loadcnt 0x0
	s_delay_alu instid0(VALU_DEP_1) | instskip(SKIP_4) | instid1(SALU_CYCLE_1)
	v_cmp_le_i64_e32 vcc_lo, s[8:9], v[6:7]
	v_cmp_gt_i64_e64 s0, s[10:11], v[6:7]
	s_and_not1_b32 s7, s45, exec_lo
	s_mov_b32 s12, exec_lo
	s_and_b32 s0, vcc_lo, s0
	s_and_b32 s0, s13, s0
	s_delay_alu instid0(SALU_CYCLE_1) | instskip(NEXT) | instid1(SALU_CYCLE_1)
	s_xor_b32 s0, s0, -1
	s_and_b32 s0, s0, exec_lo
	s_delay_alu instid0(SALU_CYCLE_1)
	s_or_b32 s45, s7, s0
.LBB15_866:
	s_or_b32 exec_lo, exec_lo, s6
	s_and_saveexec_b32 s0, s45
	s_cbranch_execnz .LBB15_879
.LBB15_867:
	s_or_b32 exec_lo, exec_lo, s0
	s_mov_b32 s8, 0
	s_mov_b32 s7, 0
                                        ; implicit-def: $sgpr0
                                        ; implicit-def: $vgpr0_vgpr1
	s_and_saveexec_b32 s6, s12
	s_cbranch_execz .LBB15_875
; %bb.868:
	v_mov_b32_e32 v3, 0
	s_and_b32 s0, s38, 0xff
	s_delay_alu instid0(SALU_CYCLE_1) | instskip(NEXT) | instid1(VALU_DEP_1)
	s_cmp_lt_i32 s0, 11
	v_add_nc_u64_e32 v[0:1], s[4:5], v[2:3]
	s_cbranch_scc1 .LBB15_878
; %bb.869:
	s_and_b32 s5, 0xffff, s0
	s_mov_b32 s7, -1
	s_cmp_gt_i32 s5, 25
	s_mov_b32 s4, s44
	s_cbranch_scc0 .LBB15_899
; %bb.870:
	s_cmp_gt_i32 s5, 28
	s_mov_b32 s4, s44
	s_cbranch_scc0 .LBB15_889
; %bb.871:
	;; [unrolled: 4-line block ×4, first 2 shown]
	s_cmp_eq_u32 s5, 46
	s_mov_b32 s4, -1
	s_cbranch_scc0 .LBB15_880
; %bb.874:
	v_mov_b32_e32 v2, 0
	s_mov_b32 s4, 0
	s_mov_b32 s7, 0
	global_store_b32 v[0:1], v2, off
	s_branch .LBB15_881
.LBB15_875:
	s_or_b32 exec_lo, exec_lo, s6
	s_and_saveexec_b32 s4, s44
	s_cbranch_execnz .LBB15_918
.LBB15_876:
	s_or_b32 exec_lo, exec_lo, s4
	s_and_saveexec_b32 s4, s8
	s_delay_alu instid0(SALU_CYCLE_1)
	s_xor_b32 s4, exec_lo, s4
	s_cbranch_execz .LBB15_919
.LBB15_877:
	v_mov_b32_e32 v2, 0
	global_store_b8 v[0:1], v2, off
	s_wait_xcnt 0x0
	s_or_b32 exec_lo, exec_lo, s4
	s_and_saveexec_b32 s4, s7
	s_delay_alu instid0(SALU_CYCLE_1)
	s_xor_b32 s4, exec_lo, s4
	s_cbranch_execz .LBB15_957
	s_branch .LBB15_920
.LBB15_878:
	s_mov_b32 s7, -1
	s_mov_b32 s4, s44
	s_branch .LBB15_917
.LBB15_879:
	s_or_b32 s1, s1, exec_lo
	s_and_not1_b32 s12, s12, exec_lo
	s_trap 2
	s_branch .LBB15_867
.LBB15_880:
	s_mov_b32 s7, 0
.LBB15_881:
	s_delay_alu instid0(SALU_CYCLE_1)
	s_and_b32 vcc_lo, exec_lo, s7
	s_cbranch_vccz .LBB15_884
; %bb.882:
	s_cmp_eq_u32 s5, 44
	s_mov_b32 s4, -1
	s_cbranch_scc0 .LBB15_884
; %bb.883:
	s_wait_xcnt 0x0
	v_mov_b32_e32 v2, 0
	s_mov_b32 s4, 0
	s_mov_b32 s7, 0
	global_store_b8 v[0:1], v2, off
	s_branch .LBB15_885
.LBB15_884:
	s_mov_b32 s7, 0
.LBB15_885:
	s_delay_alu instid0(SALU_CYCLE_1)
	s_and_b32 vcc_lo, exec_lo, s7
	s_cbranch_vccz .LBB15_888
; %bb.886:
	s_cmp_eq_u32 s5, 29
	s_mov_b32 s4, -1
	s_cbranch_scc0 .LBB15_888
; %bb.887:
	s_wait_xcnt 0x0
	v_mov_b64_e32 v[2:3], 0
	s_mov_b32 s4, 0
	s_mov_b32 s7, 0
	global_store_b64 v[0:1], v[2:3], off
	s_branch .LBB15_889
.LBB15_888:
	s_mov_b32 s7, 0
.LBB15_889:
	s_delay_alu instid0(SALU_CYCLE_1)
	s_and_b32 vcc_lo, exec_lo, s7
	s_cbranch_vccz .LBB15_898
; %bb.890:
	s_cmp_lt_i32 s5, 27
	s_mov_b32 s7, -1
	s_cbranch_scc1 .LBB15_896
; %bb.891:
	s_cmp_gt_i32 s5, 27
	s_cbranch_scc0 .LBB15_893
; %bb.892:
	s_wait_xcnt 0x0
	v_mov_b32_e32 v2, 0
	s_mov_b32 s7, 0
	global_store_b32 v[0:1], v2, off
.LBB15_893:
	s_and_not1_b32 vcc_lo, exec_lo, s7
	s_cbranch_vccnz .LBB15_895
; %bb.894:
	s_wait_xcnt 0x0
	v_mov_b32_e32 v2, 0
	global_store_b16 v[0:1], v2, off
.LBB15_895:
	s_mov_b32 s7, 0
.LBB15_896:
	s_delay_alu instid0(SALU_CYCLE_1)
	s_and_not1_b32 vcc_lo, exec_lo, s7
	s_cbranch_vccnz .LBB15_898
; %bb.897:
	s_wait_xcnt 0x0
	v_mov_b32_e32 v2, 0
	global_store_b8 v[0:1], v2, off
.LBB15_898:
	s_mov_b32 s7, 0
.LBB15_899:
	s_delay_alu instid0(SALU_CYCLE_1)
	s_and_b32 vcc_lo, exec_lo, s7
	s_mov_b32 s7, 0
	s_cbranch_vccz .LBB15_917
; %bb.900:
	s_cmp_gt_i32 s5, 22
	s_mov_b32 s8, -1
	s_cbranch_scc0 .LBB15_910
; %bb.901:
	s_cmp_lt_i32 s5, 24
	s_cbranch_scc1 .LBB15_907
; %bb.902:
	s_cmp_gt_i32 s5, 24
	s_cbranch_scc0 .LBB15_904
; %bb.903:
	s_wait_xcnt 0x0
	v_mov_b32_e32 v2, 0
	s_mov_b32 s8, 0
	global_store_b8 v[0:1], v2, off
.LBB15_904:
	s_and_not1_b32 vcc_lo, exec_lo, s8
	s_cbranch_vccnz .LBB15_906
; %bb.905:
	s_wait_xcnt 0x0
	v_mov_b32_e32 v2, 0
	global_store_b8 v[0:1], v2, off
.LBB15_906:
	s_mov_b32 s8, 0
.LBB15_907:
	s_delay_alu instid0(SALU_CYCLE_1)
	s_and_not1_b32 vcc_lo, exec_lo, s8
	s_cbranch_vccnz .LBB15_909
; %bb.908:
	s_wait_xcnt 0x0
	v_mov_b32_e32 v2, 0
	global_store_b8 v[0:1], v2, off
.LBB15_909:
	s_mov_b32 s8, 0
.LBB15_910:
	s_delay_alu instid0(SALU_CYCLE_1)
	s_and_not1_b32 vcc_lo, exec_lo, s8
	s_mov_b32 s8, 0
	s_cbranch_vccnz .LBB15_917
; %bb.911:
	s_cmp_gt_i32 s5, 14
	s_mov_b32 s8, -1
	s_cbranch_scc0 .LBB15_915
; %bb.912:
	s_cmp_eq_u32 s5, 15
	s_mov_b32 s4, -1
	s_cbranch_scc0 .LBB15_914
; %bb.913:
	s_wait_xcnt 0x0
	v_mov_b32_e32 v2, 0
	s_mov_b32 s4, 0
	global_store_b16 v[0:1], v2, off
.LBB15_914:
	s_mov_b32 s8, 0
.LBB15_915:
	s_delay_alu instid0(SALU_CYCLE_1)
	s_and_b32 vcc_lo, exec_lo, s8
	s_mov_b32 s8, 0
	s_cbranch_vccz .LBB15_917
; %bb.916:
	s_cmp_lg_u32 s5, 11
	s_mov_b32 s8, -1
	s_cselect_b32 s5, -1, 0
	s_and_not1_b32 s4, s4, exec_lo
	s_and_b32 s5, s5, exec_lo
	s_delay_alu instid0(SALU_CYCLE_1)
	s_or_b32 s4, s4, s5
.LBB15_917:
	s_and_not1_b32 s5, s44, exec_lo
	s_and_b32 s4, s4, exec_lo
	s_and_b32 s7, s7, exec_lo
	;; [unrolled: 1-line block ×3, first 2 shown]
	s_or_b32 s44, s5, s4
	s_wait_xcnt 0x0
	s_or_b32 exec_lo, exec_lo, s6
	s_and_saveexec_b32 s4, s44
	s_cbranch_execz .LBB15_876
.LBB15_918:
	s_or_b32 s1, s1, exec_lo
	s_and_not1_b32 s8, s8, exec_lo
	s_trap 2
	s_or_b32 exec_lo, exec_lo, s4
	s_and_saveexec_b32 s4, s8
	s_delay_alu instid0(SALU_CYCLE_1)
	s_xor_b32 s4, exec_lo, s4
	s_cbranch_execnz .LBB15_877
.LBB15_919:
	s_or_b32 exec_lo, exec_lo, s4
	s_and_saveexec_b32 s4, s7
	s_delay_alu instid0(SALU_CYCLE_1)
	s_xor_b32 s4, exec_lo, s4
	s_cbranch_execz .LBB15_957
.LBB15_920:
	s_sext_i32_i16 s6, s0
	s_mov_b32 s5, -1
	s_cmp_lt_i32 s6, 5
	s_cbranch_scc1 .LBB15_941
; %bb.921:
	s_cmp_lt_i32 s6, 8
	s_cbranch_scc1 .LBB15_931
; %bb.922:
	;; [unrolled: 3-line block ×3, first 2 shown]
	s_cmp_gt_i32 s6, 9
	s_cbranch_scc0 .LBB15_925
; %bb.924:
	v_mov_b32_e32 v2, 0
	s_mov_b32 s5, 0
	s_delay_alu instid0(VALU_DEP_1)
	v_dual_mov_b32 v3, v2 :: v_dual_mov_b32 v4, v2
	v_mov_b32_e32 v5, v2
	global_store_b128 v[0:1], v[2:5], off
.LBB15_925:
	s_and_not1_b32 vcc_lo, exec_lo, s5
	s_cbranch_vccnz .LBB15_927
; %bb.926:
	s_wait_xcnt 0x0
	v_mov_b64_e32 v[2:3], 0
	global_store_b64 v[0:1], v[2:3], off
.LBB15_927:
	s_mov_b32 s5, 0
.LBB15_928:
	s_delay_alu instid0(SALU_CYCLE_1)
	s_and_not1_b32 vcc_lo, exec_lo, s5
	s_cbranch_vccnz .LBB15_930
; %bb.929:
	s_wait_xcnt 0x0
	v_mov_b32_e32 v2, 0
	global_store_b32 v[0:1], v2, off
.LBB15_930:
	s_mov_b32 s5, 0
.LBB15_931:
	s_delay_alu instid0(SALU_CYCLE_1)
	s_and_not1_b32 vcc_lo, exec_lo, s5
	s_cbranch_vccnz .LBB15_940
; %bb.932:
	s_sext_i32_i16 s6, s0
	s_mov_b32 s5, -1
	s_cmp_lt_i32 s6, 6
	s_cbranch_scc1 .LBB15_938
; %bb.933:
	s_cmp_gt_i32 s6, 6
	s_cbranch_scc0 .LBB15_935
; %bb.934:
	s_wait_xcnt 0x0
	v_mov_b64_e32 v[2:3], 0
	s_mov_b32 s5, 0
	global_store_b64 v[0:1], v[2:3], off
.LBB15_935:
	s_and_not1_b32 vcc_lo, exec_lo, s5
	s_cbranch_vccnz .LBB15_937
; %bb.936:
	s_wait_xcnt 0x0
	v_mov_b32_e32 v2, 0
	global_store_b32 v[0:1], v2, off
.LBB15_937:
	s_mov_b32 s5, 0
.LBB15_938:
	s_delay_alu instid0(SALU_CYCLE_1)
	s_and_not1_b32 vcc_lo, exec_lo, s5
	s_cbranch_vccnz .LBB15_940
; %bb.939:
	s_wait_xcnt 0x0
	v_mov_b32_e32 v2, 0
	global_store_b16 v[0:1], v2, off
.LBB15_940:
	s_mov_b32 s5, 0
.LBB15_941:
	s_delay_alu instid0(SALU_CYCLE_1)
	s_and_not1_b32 vcc_lo, exec_lo, s5
	s_cbranch_vccnz .LBB15_957
; %bb.942:
	s_sext_i32_i16 s6, s0
	s_mov_b32 s5, -1
	s_cmp_lt_i32 s6, 2
	s_cbranch_scc1 .LBB15_952
; %bb.943:
	s_cmp_lt_i32 s6, 3
	s_cbranch_scc1 .LBB15_949
; %bb.944:
	s_cmp_gt_i32 s6, 3
	s_cbranch_scc0 .LBB15_946
; %bb.945:
	s_wait_xcnt 0x0
	v_mov_b64_e32 v[2:3], 0
	s_mov_b32 s5, 0
	global_store_b64 v[0:1], v[2:3], off
.LBB15_946:
	s_and_not1_b32 vcc_lo, exec_lo, s5
	s_cbranch_vccnz .LBB15_948
; %bb.947:
	s_wait_xcnt 0x0
	v_mov_b32_e32 v2, 0
	global_store_b32 v[0:1], v2, off
.LBB15_948:
	s_mov_b32 s5, 0
.LBB15_949:
	s_delay_alu instid0(SALU_CYCLE_1)
	s_and_not1_b32 vcc_lo, exec_lo, s5
	s_cbranch_vccnz .LBB15_951
; %bb.950:
	s_wait_xcnt 0x0
	v_mov_b32_e32 v2, 0
	global_store_b16 v[0:1], v2, off
.LBB15_951:
	s_mov_b32 s5, 0
.LBB15_952:
	s_delay_alu instid0(SALU_CYCLE_1)
	s_and_not1_b32 vcc_lo, exec_lo, s5
	s_cbranch_vccnz .LBB15_957
; %bb.953:
	s_sext_i32_i16 s0, s0
	s_delay_alu instid0(SALU_CYCLE_1)
	s_cmp_gt_i32 s0, 0
	s_mov_b32 s0, -1
	s_cbranch_scc0 .LBB15_955
; %bb.954:
	s_wait_xcnt 0x0
	v_mov_b32_e32 v2, 0
	s_mov_b32 s0, 0
	global_store_b8 v[0:1], v2, off
.LBB15_955:
	s_and_not1_b32 vcc_lo, exec_lo, s0
	s_cbranch_vccnz .LBB15_957
; %bb.956:
	s_wait_xcnt 0x0
	v_mov_b32_e32 v2, 0
	global_store_b8 v[0:1], v2, off
.LBB15_957:
	s_wait_xcnt 0x0
	s_or_b32 exec_lo, exec_lo, s4
	s_delay_alu instid0(SALU_CYCLE_1)
	s_and_b32 s12, s1, exec_lo
                                        ; implicit-def: $vgpr9
                                        ; implicit-def: $vgpr0
.LBB15_958:
	s_or_saveexec_b32 s13, s37
	s_mov_b32 s4, 0
                                        ; implicit-def: $vgpr14_vgpr15
                                        ; implicit-def: $sgpr0
	s_xor_b32 exec_lo, exec_lo, s13
	s_cbranch_execz .LBB15_1853
; %bb.959:
	v_cndmask_b32_e64 v1, 0, 1, s36
	s_and_not1_b32 vcc_lo, exec_lo, s36
	s_cbranch_vccnz .LBB15_965
; %bb.960:
	s_cmp_lg_u32 s33, 0
	s_mov_b32 s8, 0
	s_cbranch_scc0 .LBB15_966
; %bb.961:
	s_min_u32 s1, s34, 15
	s_delay_alu instid0(SALU_CYCLE_1)
	s_add_co_i32 s1, s1, 1
	s_cmp_eq_u32 s34, 2
	s_cbranch_scc1 .LBB15_967
; %bb.962:
	s_wait_loadcnt 0x0
	v_dual_mov_b32 v6, 0 :: v_dual_mov_b32 v14, 0
	v_mov_b32_e32 v2, v0
	s_and_b32 s0, s1, 28
	s_add_nc_u64 s[4:5], s[2:3], 0xc4
	s_mov_b32 s9, 0
	s_mov_b64 s[6:7], s[2:3]
.LBB15_963:                             ; =>This Inner Loop Header: Depth=1
	s_clause 0x1
	s_load_b256 s[16:23], s[6:7], 0x4
	s_load_b128 s[36:39], s[6:7], 0x24
	s_load_b256 s[24:31], s[4:5], 0x0
	s_add_co_i32 s9, s9, 4
	s_wait_xcnt 0x0
	s_add_nc_u64 s[6:7], s[6:7], 48
	s_cmp_lg_u32 s0, s9
	s_add_nc_u64 s[4:5], s[4:5], 32
	s_wait_kmcnt 0x0
	v_mul_hi_u32 v3, s17, v2
	s_delay_alu instid0(VALU_DEP_1) | instskip(NEXT) | instid1(VALU_DEP_1)
	v_add_nc_u32_e32 v3, v2, v3
	v_lshrrev_b32_e32 v3, s18, v3
	s_delay_alu instid0(VALU_DEP_1) | instskip(NEXT) | instid1(VALU_DEP_1)
	v_mul_hi_u32 v4, s20, v3
	v_add_nc_u32_e32 v4, v3, v4
	s_delay_alu instid0(VALU_DEP_1) | instskip(NEXT) | instid1(VALU_DEP_1)
	v_lshrrev_b32_e32 v4, s21, v4
	v_mul_hi_u32 v5, s23, v4
	s_delay_alu instid0(VALU_DEP_1) | instskip(SKIP_1) | instid1(VALU_DEP_1)
	v_add_nc_u32_e32 v5, v4, v5
	v_mul_lo_u32 v7, v3, s16
	v_sub_nc_u32_e32 v2, v2, v7
	v_mul_lo_u32 v7, v4, s19
	s_delay_alu instid0(VALU_DEP_4) | instskip(NEXT) | instid1(VALU_DEP_3)
	v_lshrrev_b32_e32 v5, s36, v5
	v_mad_u32 v10, v2, s25, v14
	v_mad_u32 v2, v2, s24, v6
	s_delay_alu instid0(VALU_DEP_4) | instskip(NEXT) | instid1(VALU_DEP_4)
	v_sub_nc_u32_e32 v3, v3, v7
	v_mul_hi_u32 v8, s38, v5
	v_mul_lo_u32 v6, v5, s22
	s_delay_alu instid0(VALU_DEP_1) | instskip(NEXT) | instid1(VALU_DEP_4)
	v_dual_add_nc_u32 v7, v5, v8 :: v_dual_sub_nc_u32 v4, v4, v6
	v_mad_u32 v8, v3, s27, v10
	v_mad_u32 v3, v3, s26, v2
	s_delay_alu instid0(VALU_DEP_3) | instskip(NEXT) | instid1(VALU_DEP_1)
	v_lshrrev_b32_e32 v2, s39, v7
	v_mul_lo_u32 v6, v2, s37
	s_delay_alu instid0(VALU_DEP_4) | instskip(NEXT) | instid1(VALU_DEP_4)
	v_mad_u32 v7, v4, s29, v8
	v_mad_u32 v3, v4, s28, v3
	s_delay_alu instid0(VALU_DEP_3) | instskip(NEXT) | instid1(VALU_DEP_1)
	v_sub_nc_u32_e32 v4, v5, v6
	v_mad_u32 v14, v4, s31, v7
	s_delay_alu instid0(VALU_DEP_3)
	v_mad_u32 v6, v4, s30, v3
	s_cbranch_scc1 .LBB15_963
; %bb.964:
	s_delay_alu instid0(VALU_DEP_2)
	v_mov_b32_e32 v7, v14
	s_and_b32 s6, s1, 3
	s_mov_b32 s1, 0
	s_cmp_eq_u32 s6, 0
	s_cbranch_scc0 .LBB15_968
	s_branch .LBB15_971
.LBB15_965:
	s_mov_b32 s8, -1
                                        ; implicit-def: $vgpr14
                                        ; implicit-def: $vgpr6
	s_branch .LBB15_971
.LBB15_966:
	s_wait_loadcnt 0x0
	v_dual_mov_b32 v14, 0 :: v_dual_mov_b32 v6, 0
	s_branch .LBB15_971
.LBB15_967:
	s_wait_loadcnt 0x0
	v_mov_b64_e32 v[6:7], 0
	v_mov_b32_e32 v2, v0
	s_mov_b32 s0, 0
                                        ; implicit-def: $vgpr14
	s_and_b32 s6, s1, 3
	s_mov_b32 s1, 0
	s_cmp_eq_u32 s6, 0
	s_cbranch_scc1 .LBB15_971
.LBB15_968:
	s_lshl_b32 s4, s0, 3
	s_mov_b32 s5, s1
	s_mul_u64 s[10:11], s[0:1], 12
	s_add_nc_u64 s[4:5], s[2:3], s[4:5]
	s_delay_alu instid0(SALU_CYCLE_1)
	s_add_nc_u64 s[0:1], s[4:5], 0xc4
	s_add_nc_u64 s[4:5], s[2:3], s[10:11]
.LBB15_969:                             ; =>This Inner Loop Header: Depth=1
	s_load_b96 s[16:18], s[4:5], 0x4
	s_load_b64 s[10:11], s[0:1], 0x0
	s_add_co_i32 s6, s6, -1
	s_wait_xcnt 0x0
	s_add_nc_u64 s[4:5], s[4:5], 12
	s_cmp_lg_u32 s6, 0
	s_add_nc_u64 s[0:1], s[0:1], 8
	s_wait_kmcnt 0x0
	v_mul_hi_u32 v3, s17, v2
	s_delay_alu instid0(VALU_DEP_1) | instskip(NEXT) | instid1(VALU_DEP_1)
	v_add_nc_u32_e32 v3, v2, v3
	v_lshrrev_b32_e32 v3, s18, v3
	s_delay_alu instid0(VALU_DEP_1) | instskip(NEXT) | instid1(VALU_DEP_1)
	v_mul_lo_u32 v4, v3, s16
	v_sub_nc_u32_e32 v2, v2, v4
	s_delay_alu instid0(VALU_DEP_1)
	v_mad_u32 v7, v2, s11, v7
	v_mad_u32 v6, v2, s10, v6
	v_mov_b32_e32 v2, v3
	s_cbranch_scc1 .LBB15_969
; %bb.970:
	s_delay_alu instid0(VALU_DEP_3)
	v_mov_b32_e32 v14, v7
.LBB15_971:
	s_and_not1_b32 vcc_lo, exec_lo, s8
	s_cbranch_vccnz .LBB15_974
; %bb.972:
	s_clause 0x1
	s_load_b96 s[4:6], s[2:3], 0x4
	s_load_b64 s[0:1], s[2:3], 0xc4
	s_cmp_lt_u32 s33, 2
	s_wait_kmcnt 0x0
	v_mul_hi_u32 v2, s5, v0
	s_delay_alu instid0(VALU_DEP_1) | instskip(NEXT) | instid1(VALU_DEP_1)
	v_add_nc_u32_e32 v2, v0, v2
	v_lshrrev_b32_e32 v2, s6, v2
	s_delay_alu instid0(VALU_DEP_1) | instskip(NEXT) | instid1(VALU_DEP_1)
	v_mul_lo_u32 v3, v2, s4
	v_sub_nc_u32_e32 v3, v0, v3
	s_delay_alu instid0(VALU_DEP_1)
	v_mul_lo_u32 v14, v3, s1
	s_wait_loadcnt 0x0
	v_mul_lo_u32 v6, v3, s0
	s_cbranch_scc1 .LBB15_974
; %bb.973:
	s_clause 0x1
	s_load_b96 s[4:6], s[2:3], 0x10
	s_load_b64 s[0:1], s[2:3], 0xcc
	s_wait_kmcnt 0x0
	v_mul_hi_u32 v3, s5, v2
	s_delay_alu instid0(VALU_DEP_1) | instskip(NEXT) | instid1(VALU_DEP_1)
	v_add_nc_u32_e32 v3, v2, v3
	v_lshrrev_b32_e32 v3, s6, v3
	s_delay_alu instid0(VALU_DEP_1) | instskip(NEXT) | instid1(VALU_DEP_1)
	v_mul_lo_u32 v3, v3, s4
	v_sub_nc_u32_e32 v2, v2, v3
	s_delay_alu instid0(VALU_DEP_1)
	v_mad_u32 v6, v2, s0, v6
	v_mad_u32 v14, v2, s1, v14
.LBB15_974:
	v_cmp_ne_u32_e32 vcc_lo, 1, v1
	v_add_nc_u32_e32 v2, 0x80, v0
	s_cbranch_vccnz .LBB15_980
; %bb.975:
	s_cmp_lg_u32 s33, 0
	s_mov_b32 s8, 0
	s_cbranch_scc0 .LBB15_981
; %bb.976:
	s_min_u32 s1, s34, 15
	s_delay_alu instid0(SALU_CYCLE_1)
	s_add_co_i32 s1, s1, 1
	s_cmp_eq_u32 s34, 2
	s_cbranch_scc1 .LBB15_982
; %bb.977:
	v_dual_mov_b32 v4, 0 :: v_dual_mov_b32 v12, 0
	v_mov_b32_e32 v3, v2
	s_and_b32 s0, s1, 28
	s_add_nc_u64 s[4:5], s[2:3], 0xc4
	s_mov_b32 s9, 0
	s_mov_b64 s[6:7], s[2:3]
.LBB15_978:                             ; =>This Inner Loop Header: Depth=1
	s_clause 0x1
	s_load_b256 s[16:23], s[6:7], 0x4
	s_load_b128 s[36:39], s[6:7], 0x24
	s_load_b256 s[24:31], s[4:5], 0x0
	s_add_co_i32 s9, s9, 4
	s_wait_xcnt 0x0
	s_add_nc_u64 s[6:7], s[6:7], 48
	s_cmp_lg_u32 s0, s9
	s_add_nc_u64 s[4:5], s[4:5], 32
	s_wait_kmcnt 0x0
	v_mul_hi_u32 v5, s17, v3
	s_delay_alu instid0(VALU_DEP_1) | instskip(NEXT) | instid1(VALU_DEP_1)
	v_add_nc_u32_e32 v5, v3, v5
	v_lshrrev_b32_e32 v5, s18, v5
	s_wait_loadcnt 0x0
	s_delay_alu instid0(VALU_DEP_1) | instskip(NEXT) | instid1(VALU_DEP_1)
	v_mul_hi_u32 v7, s20, v5
	v_add_nc_u32_e32 v7, v5, v7
	s_delay_alu instid0(VALU_DEP_1) | instskip(NEXT) | instid1(VALU_DEP_1)
	v_lshrrev_b32_e32 v7, s21, v7
	v_mul_hi_u32 v8, s23, v7
	s_delay_alu instid0(VALU_DEP_1) | instskip(SKIP_1) | instid1(VALU_DEP_1)
	v_add_nc_u32_e32 v8, v7, v8
	v_mul_lo_u32 v10, v5, s16
	v_sub_nc_u32_e32 v3, v3, v10
	v_mul_lo_u32 v10, v7, s19
	s_delay_alu instid0(VALU_DEP_4) | instskip(NEXT) | instid1(VALU_DEP_3)
	v_lshrrev_b32_e32 v8, s36, v8
	v_mad_u32 v12, v3, s25, v12
	v_mad_u32 v3, v3, s24, v4
	s_delay_alu instid0(VALU_DEP_4) | instskip(NEXT) | instid1(VALU_DEP_4)
	v_sub_nc_u32_e32 v4, v5, v10
	v_mul_hi_u32 v11, s38, v8
	v_mul_lo_u32 v5, v8, s22
	s_delay_alu instid0(VALU_DEP_1) | instskip(NEXT) | instid1(VALU_DEP_4)
	v_dual_add_nc_u32 v10, v8, v11 :: v_dual_sub_nc_u32 v5, v7, v5
	v_mad_u32 v11, v4, s27, v12
	v_mad_u32 v4, v4, s26, v3
	s_delay_alu instid0(VALU_DEP_3) | instskip(NEXT) | instid1(VALU_DEP_1)
	v_lshrrev_b32_e32 v3, s39, v10
	v_mul_lo_u32 v7, v3, s37
	s_delay_alu instid0(VALU_DEP_4) | instskip(NEXT) | instid1(VALU_DEP_4)
	v_mad_u32 v10, v5, s29, v11
	v_mad_u32 v4, v5, s28, v4
	s_delay_alu instid0(VALU_DEP_3) | instskip(NEXT) | instid1(VALU_DEP_1)
	v_sub_nc_u32_e32 v5, v8, v7
	v_mad_u32 v12, v5, s31, v10
	s_delay_alu instid0(VALU_DEP_3)
	v_mad_u32 v4, v5, s30, v4
	s_cbranch_scc1 .LBB15_978
; %bb.979:
	s_delay_alu instid0(VALU_DEP_2)
	v_mov_b32_e32 v5, v12
	s_and_b32 s6, s1, 3
	s_mov_b32 s1, 0
	s_cmp_eq_u32 s6, 0
	s_cbranch_scc0 .LBB15_983
	s_branch .LBB15_986
.LBB15_980:
	s_mov_b32 s8, -1
                                        ; implicit-def: $vgpr12
                                        ; implicit-def: $vgpr4
	s_branch .LBB15_986
.LBB15_981:
	v_dual_mov_b32 v12, 0 :: v_dual_mov_b32 v4, 0
	s_branch .LBB15_986
.LBB15_982:
	v_mov_b64_e32 v[4:5], 0
	v_mov_b32_e32 v3, v2
	s_mov_b32 s0, 0
                                        ; implicit-def: $vgpr12
	s_and_b32 s6, s1, 3
	s_mov_b32 s1, 0
	s_cmp_eq_u32 s6, 0
	s_cbranch_scc1 .LBB15_986
.LBB15_983:
	s_lshl_b32 s4, s0, 3
	s_mov_b32 s5, s1
	s_mul_u64 s[10:11], s[0:1], 12
	s_add_nc_u64 s[4:5], s[2:3], s[4:5]
	s_delay_alu instid0(SALU_CYCLE_1)
	s_add_nc_u64 s[0:1], s[4:5], 0xc4
	s_add_nc_u64 s[4:5], s[2:3], s[10:11]
.LBB15_984:                             ; =>This Inner Loop Header: Depth=1
	s_load_b96 s[16:18], s[4:5], 0x4
	s_load_b64 s[10:11], s[0:1], 0x0
	s_add_co_i32 s6, s6, -1
	s_wait_xcnt 0x0
	s_add_nc_u64 s[4:5], s[4:5], 12
	s_cmp_lg_u32 s6, 0
	s_add_nc_u64 s[0:1], s[0:1], 8
	s_wait_loadcnt 0x0
	s_wait_kmcnt 0x0
	v_mul_hi_u32 v7, s17, v3
	s_delay_alu instid0(VALU_DEP_1) | instskip(NEXT) | instid1(VALU_DEP_1)
	v_add_nc_u32_e32 v7, v3, v7
	v_lshrrev_b32_e32 v7, s18, v7
	s_delay_alu instid0(VALU_DEP_1) | instskip(NEXT) | instid1(VALU_DEP_1)
	v_mul_lo_u32 v8, v7, s16
	v_sub_nc_u32_e32 v3, v3, v8
	s_delay_alu instid0(VALU_DEP_1)
	v_mad_u32 v5, v3, s11, v5
	v_mad_u32 v4, v3, s10, v4
	v_mov_b32_e32 v3, v7
	s_cbranch_scc1 .LBB15_984
; %bb.985:
	s_delay_alu instid0(VALU_DEP_3)
	v_mov_b32_e32 v12, v5
.LBB15_986:
	s_and_not1_b32 vcc_lo, exec_lo, s8
	s_cbranch_vccnz .LBB15_989
; %bb.987:
	s_clause 0x1
	s_load_b96 s[4:6], s[2:3], 0x4
	s_load_b64 s[0:1], s[2:3], 0xc4
	s_cmp_lt_u32 s33, 2
	s_wait_kmcnt 0x0
	v_mul_hi_u32 v3, s5, v2
	s_delay_alu instid0(VALU_DEP_1) | instskip(NEXT) | instid1(VALU_DEP_1)
	v_add_nc_u32_e32 v3, v2, v3
	v_lshrrev_b32_e32 v3, s6, v3
	s_delay_alu instid0(VALU_DEP_1) | instskip(NEXT) | instid1(VALU_DEP_1)
	v_mul_lo_u32 v4, v3, s4
	v_sub_nc_u32_e32 v2, v2, v4
	s_delay_alu instid0(VALU_DEP_1)
	v_mul_lo_u32 v12, v2, s1
	v_mul_lo_u32 v4, v2, s0
	s_cbranch_scc1 .LBB15_989
; %bb.988:
	s_clause 0x1
	s_load_b96 s[4:6], s[2:3], 0x10
	s_load_b64 s[0:1], s[2:3], 0xcc
	s_wait_kmcnt 0x0
	v_mul_hi_u32 v2, s5, v3
	s_delay_alu instid0(VALU_DEP_1) | instskip(NEXT) | instid1(VALU_DEP_1)
	v_add_nc_u32_e32 v2, v3, v2
	v_lshrrev_b32_e32 v2, s6, v2
	s_delay_alu instid0(VALU_DEP_1) | instskip(NEXT) | instid1(VALU_DEP_1)
	v_mul_lo_u32 v2, v2, s4
	v_sub_nc_u32_e32 v2, v3, v2
	s_delay_alu instid0(VALU_DEP_1)
	v_mad_u32 v4, v2, s0, v4
	v_mad_u32 v12, v2, s1, v12
.LBB15_989:
	v_cmp_ne_u32_e32 vcc_lo, 1, v1
	v_add_nc_u32_e32 v0, 0x100, v0
	s_cbranch_vccnz .LBB15_995
; %bb.990:
	s_cmp_lg_u32 s33, 0
	s_mov_b32 s8, 0
	s_cbranch_scc0 .LBB15_996
; %bb.991:
	s_min_u32 s1, s34, 15
	s_delay_alu instid0(SALU_CYCLE_1)
	s_add_co_i32 s1, s1, 1
	s_cmp_eq_u32 s34, 2
	s_cbranch_scc1 .LBB15_997
; %bb.992:
	v_dual_mov_b32 v2, 0 :: v_dual_mov_b32 v10, 0
	v_mov_b32_e32 v5, v0
	s_and_b32 s0, s1, 28
	s_add_nc_u64 s[4:5], s[2:3], 0xc4
	s_mov_b32 s9, 0
	s_mov_b64 s[6:7], s[2:3]
.LBB15_993:                             ; =>This Inner Loop Header: Depth=1
	s_clause 0x1
	s_load_b256 s[16:23], s[6:7], 0x4
	s_load_b128 s[36:39], s[6:7], 0x24
	s_load_b256 s[24:31], s[4:5], 0x0
	s_add_co_i32 s9, s9, 4
	s_wait_xcnt 0x0
	s_add_nc_u64 s[6:7], s[6:7], 48
	s_cmp_lg_u32 s0, s9
	s_add_nc_u64 s[4:5], s[4:5], 32
	s_wait_kmcnt 0x0
	v_mul_hi_u32 v3, s17, v5
	s_delay_alu instid0(VALU_DEP_1) | instskip(NEXT) | instid1(VALU_DEP_1)
	v_add_nc_u32_e32 v3, v5, v3
	v_lshrrev_b32_e32 v3, s18, v3
	s_wait_loadcnt 0x0
	s_delay_alu instid0(VALU_DEP_1) | instskip(NEXT) | instid1(VALU_DEP_1)
	v_mul_hi_u32 v7, s20, v3
	v_add_nc_u32_e32 v7, v3, v7
	s_delay_alu instid0(VALU_DEP_1) | instskip(NEXT) | instid1(VALU_DEP_1)
	v_lshrrev_b32_e32 v7, s21, v7
	v_mul_hi_u32 v8, s23, v7
	s_delay_alu instid0(VALU_DEP_1) | instskip(NEXT) | instid1(VALU_DEP_1)
	v_add_nc_u32_e32 v8, v7, v8
	v_lshrrev_b32_e32 v8, s36, v8
	v_mul_lo_u32 v11, v3, s16
	s_delay_alu instid0(VALU_DEP_2) | instskip(NEXT) | instid1(VALU_DEP_2)
	v_mul_hi_u32 v13, s38, v8
	v_sub_nc_u32_e32 v5, v5, v11
	s_delay_alu instid0(VALU_DEP_1) | instskip(SKIP_1) | instid1(VALU_DEP_4)
	v_mad_u32 v10, v5, s25, v10
	v_mad_u32 v2, v5, s24, v2
	v_add_nc_u32_e32 v5, v8, v13
	s_delay_alu instid0(VALU_DEP_1) | instskip(SKIP_1) | instid1(VALU_DEP_1)
	v_lshrrev_b32_e32 v5, s39, v5
	v_mul_lo_u32 v11, v7, s19
	v_sub_nc_u32_e32 v3, v3, v11
	v_mul_lo_u32 v11, v8, s22
	s_delay_alu instid0(VALU_DEP_2) | instskip(SKIP_1) | instid1(VALU_DEP_3)
	v_mad_u32 v10, v3, s27, v10
	v_mad_u32 v2, v3, s26, v2
	v_sub_nc_u32_e32 v3, v7, v11
	v_mul_lo_u32 v7, v5, s37
	s_delay_alu instid0(VALU_DEP_2) | instskip(NEXT) | instid1(VALU_DEP_4)
	v_mad_u32 v10, v3, s29, v10
	v_mad_u32 v2, v3, s28, v2
	s_delay_alu instid0(VALU_DEP_3) | instskip(NEXT) | instid1(VALU_DEP_1)
	v_sub_nc_u32_e32 v3, v8, v7
	v_mad_u32 v10, v3, s31, v10
	s_delay_alu instid0(VALU_DEP_3)
	v_mad_u32 v2, v3, s30, v2
	s_cbranch_scc1 .LBB15_993
; %bb.994:
	s_delay_alu instid0(VALU_DEP_2)
	v_mov_b32_e32 v3, v10
	s_and_b32 s6, s1, 3
	s_mov_b32 s1, 0
	s_cmp_eq_u32 s6, 0
	s_cbranch_scc0 .LBB15_998
	s_branch .LBB15_1001
.LBB15_995:
	s_mov_b32 s8, -1
                                        ; implicit-def: $vgpr10
                                        ; implicit-def: $vgpr2
	s_branch .LBB15_1001
.LBB15_996:
	v_dual_mov_b32 v10, 0 :: v_dual_mov_b32 v2, 0
	s_branch .LBB15_1001
.LBB15_997:
	v_mov_b64_e32 v[2:3], 0
	v_mov_b32_e32 v5, v0
	s_mov_b32 s0, 0
                                        ; implicit-def: $vgpr10
	s_and_b32 s6, s1, 3
	s_mov_b32 s1, 0
	s_cmp_eq_u32 s6, 0
	s_cbranch_scc1 .LBB15_1001
.LBB15_998:
	s_lshl_b32 s4, s0, 3
	s_mov_b32 s5, s1
	s_mul_u64 s[10:11], s[0:1], 12
	s_add_nc_u64 s[4:5], s[2:3], s[4:5]
	s_delay_alu instid0(SALU_CYCLE_1)
	s_add_nc_u64 s[0:1], s[4:5], 0xc4
	s_add_nc_u64 s[4:5], s[2:3], s[10:11]
.LBB15_999:                             ; =>This Inner Loop Header: Depth=1
	s_load_b96 s[16:18], s[4:5], 0x4
	s_load_b64 s[10:11], s[0:1], 0x0
	s_add_co_i32 s6, s6, -1
	s_wait_xcnt 0x0
	s_add_nc_u64 s[4:5], s[4:5], 12
	s_cmp_lg_u32 s6, 0
	s_add_nc_u64 s[0:1], s[0:1], 8
	s_wait_loadcnt 0x0
	s_wait_kmcnt 0x0
	v_mul_hi_u32 v7, s17, v5
	s_delay_alu instid0(VALU_DEP_1) | instskip(NEXT) | instid1(VALU_DEP_1)
	v_add_nc_u32_e32 v7, v5, v7
	v_lshrrev_b32_e32 v7, s18, v7
	s_delay_alu instid0(VALU_DEP_1) | instskip(NEXT) | instid1(VALU_DEP_1)
	v_mul_lo_u32 v8, v7, s16
	v_sub_nc_u32_e32 v5, v5, v8
	s_delay_alu instid0(VALU_DEP_1)
	v_mad_u32 v3, v5, s11, v3
	v_mad_u32 v2, v5, s10, v2
	v_mov_b32_e32 v5, v7
	s_cbranch_scc1 .LBB15_999
; %bb.1000:
	s_delay_alu instid0(VALU_DEP_3)
	v_mov_b32_e32 v10, v3
.LBB15_1001:
	s_and_not1_b32 vcc_lo, exec_lo, s8
	s_cbranch_vccnz .LBB15_1004
; %bb.1002:
	s_clause 0x1
	s_load_b96 s[4:6], s[2:3], 0x4
	s_load_b64 s[0:1], s[2:3], 0xc4
	s_cmp_lt_u32 s33, 2
	s_wait_kmcnt 0x0
	v_mul_hi_u32 v2, s5, v0
	s_delay_alu instid0(VALU_DEP_1) | instskip(NEXT) | instid1(VALU_DEP_1)
	v_add_nc_u32_e32 v2, v0, v2
	v_lshrrev_b32_e32 v3, s6, v2
	s_delay_alu instid0(VALU_DEP_1) | instskip(NEXT) | instid1(VALU_DEP_1)
	v_mul_lo_u32 v2, v3, s4
	v_sub_nc_u32_e32 v0, v0, v2
	s_delay_alu instid0(VALU_DEP_1)
	v_mul_lo_u32 v10, v0, s1
	v_mul_lo_u32 v2, v0, s0
	s_cbranch_scc1 .LBB15_1004
; %bb.1003:
	s_clause 0x1
	s_load_b96 s[4:6], s[2:3], 0x10
	s_load_b64 s[0:1], s[2:3], 0xcc
	s_wait_kmcnt 0x0
	v_mul_hi_u32 v0, s5, v3
	s_delay_alu instid0(VALU_DEP_1) | instskip(NEXT) | instid1(VALU_DEP_1)
	v_add_nc_u32_e32 v0, v3, v0
	v_lshrrev_b32_e32 v0, s6, v0
	s_delay_alu instid0(VALU_DEP_1) | instskip(NEXT) | instid1(VALU_DEP_1)
	v_mul_lo_u32 v0, v0, s4
	v_sub_nc_u32_e32 v0, v3, v0
	s_delay_alu instid0(VALU_DEP_1)
	v_mad_u32 v2, v0, s0, v2
	v_mad_u32 v10, v0, s1, v10
.LBB15_1004:
	v_cmp_ne_u32_e32 vcc_lo, 1, v1
	s_cbranch_vccnz .LBB15_1010
; %bb.1005:
	s_cmp_lg_u32 s33, 0
	s_mov_b32 s8, 0
	s_cbranch_scc0 .LBB15_1011
; %bb.1006:
	s_min_u32 s1, s34, 15
	s_delay_alu instid0(SALU_CYCLE_1)
	s_add_co_i32 s1, s1, 1
	s_cmp_eq_u32 s34, 2
	s_cbranch_scc1 .LBB15_1012
; %bb.1007:
	v_dual_mov_b32 v0, 0 :: v_dual_mov_b32 v8, 0
	v_mov_b32_e32 v3, v9
	s_and_b32 s0, s1, 28
	s_add_nc_u64 s[4:5], s[2:3], 0xc4
	s_mov_b32 s9, 0
	s_mov_b64 s[6:7], s[2:3]
.LBB15_1008:                            ; =>This Inner Loop Header: Depth=1
	s_clause 0x1
	s_load_b256 s[16:23], s[6:7], 0x4
	s_load_b128 s[36:39], s[6:7], 0x24
	s_load_b256 s[24:31], s[4:5], 0x0
	s_add_co_i32 s9, s9, 4
	s_wait_xcnt 0x0
	s_add_nc_u64 s[6:7], s[6:7], 48
	s_cmp_lg_u32 s0, s9
	s_add_nc_u64 s[4:5], s[4:5], 32
	s_wait_kmcnt 0x0
	v_mul_hi_u32 v1, s17, v3
	s_delay_alu instid0(VALU_DEP_1) | instskip(NEXT) | instid1(VALU_DEP_1)
	v_add_nc_u32_e32 v1, v3, v1
	v_lshrrev_b32_e32 v1, s18, v1
	s_delay_alu instid0(VALU_DEP_1) | instskip(NEXT) | instid1(VALU_DEP_1)
	v_mul_lo_u32 v11, v1, s16
	v_sub_nc_u32_e32 v3, v3, v11
	v_mul_hi_u32 v5, s20, v1
	s_delay_alu instid0(VALU_DEP_2) | instskip(SKIP_1) | instid1(VALU_DEP_3)
	v_mad_u32 v8, v3, s25, v8
	v_mad_u32 v0, v3, s24, v0
	v_add_nc_u32_e32 v5, v1, v5
	s_delay_alu instid0(VALU_DEP_1) | instskip(NEXT) | instid1(VALU_DEP_1)
	v_lshrrev_b32_e32 v5, s21, v5
	v_mul_lo_u32 v11, v5, s19
	s_delay_alu instid0(VALU_DEP_1) | instskip(SKIP_2) | instid1(VALU_DEP_2)
	v_sub_nc_u32_e32 v1, v1, v11
	s_wait_loadcnt 0x0
	v_mul_hi_u32 v7, s23, v5
	v_mad_u32 v8, v1, s27, v8
	v_mad_u32 v0, v1, s26, v0
	s_delay_alu instid0(VALU_DEP_3) | instskip(NEXT) | instid1(VALU_DEP_1)
	v_add_nc_u32_e32 v7, v5, v7
	v_lshrrev_b32_e32 v7, s36, v7
	s_delay_alu instid0(VALU_DEP_1) | instskip(SKIP_1) | instid1(VALU_DEP_1)
	v_mul_hi_u32 v13, s38, v7
	v_mul_lo_u32 v11, v7, s22
	v_dual_add_nc_u32 v3, v7, v13 :: v_dual_sub_nc_u32 v1, v5, v11
	s_delay_alu instid0(VALU_DEP_1) | instskip(NEXT) | instid1(VALU_DEP_2)
	v_lshrrev_b32_e32 v3, s39, v3
	v_mad_u32 v8, v1, s29, v8
	v_mad_u32 v0, v1, s28, v0
	s_delay_alu instid0(VALU_DEP_3) | instskip(NEXT) | instid1(VALU_DEP_1)
	v_mul_lo_u32 v5, v3, s37
	v_sub_nc_u32_e32 v1, v7, v5
	s_delay_alu instid0(VALU_DEP_1) | instskip(NEXT) | instid1(VALU_DEP_4)
	v_mad_u32 v8, v1, s31, v8
	v_mad_u32 v0, v1, s30, v0
	s_cbranch_scc1 .LBB15_1008
; %bb.1009:
	s_delay_alu instid0(VALU_DEP_2)
	v_mov_b32_e32 v1, v8
	s_and_b32 s6, s1, 3
	s_mov_b32 s1, 0
	s_cmp_eq_u32 s6, 0
	s_cbranch_scc0 .LBB15_1013
	s_branch .LBB15_1016
.LBB15_1010:
	s_mov_b32 s8, -1
                                        ; implicit-def: $vgpr8
                                        ; implicit-def: $vgpr0
	s_branch .LBB15_1016
.LBB15_1011:
	v_dual_mov_b32 v8, 0 :: v_dual_mov_b32 v0, 0
	s_branch .LBB15_1016
.LBB15_1012:
	v_mov_b64_e32 v[0:1], 0
	v_mov_b32_e32 v3, v9
	s_mov_b32 s0, 0
                                        ; implicit-def: $vgpr8
	s_and_b32 s6, s1, 3
	s_mov_b32 s1, 0
	s_cmp_eq_u32 s6, 0
	s_cbranch_scc1 .LBB15_1016
.LBB15_1013:
	s_lshl_b32 s4, s0, 3
	s_mov_b32 s5, s1
	s_mul_u64 s[10:11], s[0:1], 12
	s_add_nc_u64 s[4:5], s[2:3], s[4:5]
	s_delay_alu instid0(SALU_CYCLE_1)
	s_add_nc_u64 s[0:1], s[4:5], 0xc4
	s_add_nc_u64 s[4:5], s[2:3], s[10:11]
.LBB15_1014:                            ; =>This Inner Loop Header: Depth=1
	s_load_b96 s[16:18], s[4:5], 0x4
	s_load_b64 s[10:11], s[0:1], 0x0
	s_add_co_i32 s6, s6, -1
	s_wait_xcnt 0x0
	s_add_nc_u64 s[4:5], s[4:5], 12
	s_cmp_lg_u32 s6, 0
	s_add_nc_u64 s[0:1], s[0:1], 8
	s_wait_kmcnt 0x0
	v_mul_hi_u32 v5, s17, v3
	s_delay_alu instid0(VALU_DEP_1) | instskip(NEXT) | instid1(VALU_DEP_1)
	v_add_nc_u32_e32 v5, v3, v5
	v_lshrrev_b32_e32 v5, s18, v5
	s_wait_loadcnt 0x0
	s_delay_alu instid0(VALU_DEP_1) | instskip(NEXT) | instid1(VALU_DEP_1)
	v_mul_lo_u32 v7, v5, s16
	v_sub_nc_u32_e32 v3, v3, v7
	s_delay_alu instid0(VALU_DEP_1)
	v_mad_u32 v1, v3, s11, v1
	v_mad_u32 v0, v3, s10, v0
	v_mov_b32_e32 v3, v5
	s_cbranch_scc1 .LBB15_1014
; %bb.1015:
	s_delay_alu instid0(VALU_DEP_3)
	v_mov_b32_e32 v8, v1
.LBB15_1016:
	s_and_not1_b32 vcc_lo, exec_lo, s8
	s_cbranch_vccnz .LBB15_1019
; %bb.1017:
	s_clause 0x1
	s_load_b96 s[4:6], s[2:3], 0x4
	s_load_b64 s[0:1], s[2:3], 0xc4
	s_cmp_lt_u32 s33, 2
	s_wait_kmcnt 0x0
	v_mul_hi_u32 v0, s5, v9
	s_delay_alu instid0(VALU_DEP_1) | instskip(NEXT) | instid1(VALU_DEP_1)
	v_add_nc_u32_e32 v0, v9, v0
	v_lshrrev_b32_e32 v1, s6, v0
	s_delay_alu instid0(VALU_DEP_1) | instskip(NEXT) | instid1(VALU_DEP_1)
	v_mul_lo_u32 v0, v1, s4
	v_sub_nc_u32_e32 v0, v9, v0
	s_delay_alu instid0(VALU_DEP_1)
	v_mul_lo_u32 v8, v0, s1
	v_mul_lo_u32 v0, v0, s0
	s_cbranch_scc1 .LBB15_1019
; %bb.1018:
	s_clause 0x1
	s_load_b96 s[4:6], s[2:3], 0x10
	s_load_b64 s[0:1], s[2:3], 0xcc
	s_wait_kmcnt 0x0
	v_mul_hi_u32 v3, s5, v1
	s_delay_alu instid0(VALU_DEP_1) | instskip(NEXT) | instid1(VALU_DEP_1)
	v_add_nc_u32_e32 v3, v1, v3
	v_lshrrev_b32_e32 v3, s6, v3
	s_delay_alu instid0(VALU_DEP_1) | instskip(NEXT) | instid1(VALU_DEP_1)
	v_mul_lo_u32 v3, v3, s4
	v_sub_nc_u32_e32 v1, v1, v3
	s_delay_alu instid0(VALU_DEP_1)
	v_mad_u32 v0, v1, s0, v0
	v_mad_u32 v8, v1, s1, v8
.LBB15_1019:
	v_mov_b32_e32 v15, 0
	s_load_b256 s[4:11], s[2:3], 0x148
	global_load_u8 v1, v15, s[2:3] offset:361
	s_wait_kmcnt 0x0
	v_add_nc_u64_e32 v[14:15], s[6:7], v[14:15]
	s_wait_loadcnt 0x0
	v_and_b32_e32 v3, 0xffff, v1
	v_readfirstlane_b32 s15, v1
	s_delay_alu instid0(VALU_DEP_2)
	v_cmp_gt_i32_e32 vcc_lo, 11, v3
	s_cbranch_vccnz .LBB15_1026
; %bb.1020:
	s_and_b32 s0, 0xffff, s15
	s_mov_b32 s14, 0
	s_cmp_gt_i32 s0, 25
	s_cbranch_scc0 .LBB15_1037
; %bb.1021:
	s_cmp_gt_i32 s0, 28
	s_cbranch_scc0 .LBB15_1038
; %bb.1022:
	;; [unrolled: 3-line block ×4, first 2 shown]
	s_cmp_eq_u32 s0, 46
	s_mov_b32 s17, 0
	s_cbranch_scc0 .LBB15_1055
; %bb.1025:
	global_load_b32 v1, v[14:15], off
	s_mov_b32 s1, 0
	s_mov_b32 s16, -1
	s_wait_loadcnt 0x0
	v_lshlrev_b32_e32 v1, 16, v1
	s_delay_alu instid0(VALU_DEP_1) | instskip(NEXT) | instid1(VALU_DEP_1)
	v_trunc_f32_e32 v1, v1
	v_mul_f32_e64 v3, 0x2f800000, |v1|
	v_ashrrev_i32_e32 v16, 31, v1
	s_delay_alu instid0(VALU_DEP_2) | instskip(NEXT) | instid1(VALU_DEP_2)
	v_floor_f32_e32 v3, v3
	v_mov_b32_e32 v17, v16
	s_delay_alu instid0(VALU_DEP_2) | instskip(SKIP_1) | instid1(VALU_DEP_2)
	v_fma_f32 v5, 0xcf800000, v3, |v1|
	v_cvt_u32_f32_e32 v1, v3
	v_cvt_u32_f32_e32 v3, v5
	s_delay_alu instid0(VALU_DEP_2) | instskip(NEXT) | instid1(VALU_DEP_2)
	v_xor_b32_e32 v19, v1, v16
	v_xor_b32_e32 v18, v3, v16
	s_delay_alu instid0(VALU_DEP_1)
	v_sub_nc_u64_e32 v[16:17], v[18:19], v[16:17]
	s_branch .LBB15_1057
.LBB15_1026:
	s_mov_b32 s16, 0
	s_mov_b32 s1, s12
                                        ; implicit-def: $vgpr16_vgpr17
	s_cbranch_execnz .LBB15_1117
.LBB15_1027:
	s_and_not1_b32 vcc_lo, exec_lo, s16
	s_cbranch_vccnz .LBB15_1162
.LBB15_1028:
	s_wait_loadcnt 0x0
	s_delay_alu instid0(VALU_DEP_1)
	v_cmp_gt_i64_e32 vcc_lo, s[8:9], v[16:17]
	v_cmp_le_i64_e64 s0, s[10:11], v[16:17]
	s_get_pc_i64 s[16:17]
	s_add_nc_u64 s[16:17], s[16:17], .str@rel64+4
	s_or_b32 s0, vcc_lo, s0
	s_cmp_eq_u64 s[16:17], 0
	s_cselect_b32 s14, -1, 0
	s_delay_alu instid0(SALU_CYCLE_1) | instskip(SKIP_2) | instid1(SALU_CYCLE_1)
	s_or_b32 s0, s14, s0
	s_wait_xcnt 0x0
	s_and_saveexec_b32 s14, s0
	s_xor_b32 s0, exec_lo, s14
	s_cbranch_execnz .LBB15_1412
.LBB15_1029:
	s_or_saveexec_b32 s14, s0
	s_mov_b32 s16, 0
	s_mov_b32 s18, 0
                                        ; implicit-def: $vgpr14_vgpr15
                                        ; implicit-def: $sgpr0
	s_xor_b32 exec_lo, exec_lo, s14
	s_cbranch_execz .LBB15_1851
; %bb.1030:
	v_mov_b32_e32 v13, 0
	s_and_b32 s19, 0xffff, s15
	s_delay_alu instid0(SALU_CYCLE_1) | instskip(NEXT) | instid1(VALU_DEP_1)
	s_cmp_lt_i32 s19, 11
	v_add_nc_u64_e32 v[12:13], s[6:7], v[12:13]
	s_cbranch_scc1 .LBB15_1039
; %bb.1031:
	s_cmp_gt_i32 s19, 25
	s_cbranch_scc0 .LBB15_1051
; %bb.1032:
	s_cmp_gt_i32 s19, 28
	s_cbranch_scc0 .LBB15_1053
	;; [unrolled: 3-line block ×4, first 2 shown]
; %bb.1035:
	s_cmp_eq_u32 s19, 46
	s_mov_b32 s15, 0
	s_cbranch_scc0 .LBB15_1166
; %bb.1036:
	global_load_b32 v1, v[12:13], off
	s_mov_b32 s0, 0
	s_mov_b32 s17, -1
	s_wait_loadcnt 0x0
	v_lshlrev_b32_e32 v1, 16, v1
	s_delay_alu instid0(VALU_DEP_1) | instskip(NEXT) | instid1(VALU_DEP_1)
	v_trunc_f32_e32 v1, v1
	v_mul_f32_e64 v3, 0x2f800000, |v1|
	v_ashrrev_i32_e32 v14, 31, v1
	s_delay_alu instid0(VALU_DEP_2) | instskip(NEXT) | instid1(VALU_DEP_2)
	v_floor_f32_e32 v3, v3
	v_mov_b32_e32 v15, v14
	s_delay_alu instid0(VALU_DEP_2) | instskip(SKIP_1) | instid1(VALU_DEP_2)
	v_fma_f32 v5, 0xcf800000, v3, |v1|
	v_cvt_u32_f32_e32 v1, v3
	v_cvt_u32_f32_e32 v3, v5
	s_delay_alu instid0(VALU_DEP_2) | instskip(NEXT) | instid1(VALU_DEP_2)
	v_xor_b32_e32 v17, v1, v14
	v_xor_b32_e32 v16, v3, v14
	s_delay_alu instid0(VALU_DEP_1)
	v_sub_nc_u64_e32 v[14:15], v[16:17], v[14:15]
	s_branch .LBB15_1168
.LBB15_1037:
	s_mov_b32 s16, 0
	s_mov_b32 s1, 0
                                        ; implicit-def: $vgpr16_vgpr17
	s_cbranch_execnz .LBB15_1084
	s_branch .LBB15_1113
.LBB15_1038:
	s_mov_b32 s16, 0
	s_mov_b32 s1, 0
                                        ; implicit-def: $vgpr16_vgpr17
	s_cbranch_execz .LBB15_1083
	s_branch .LBB15_1068
.LBB15_1039:
	s_mov_b32 s17, 0
	s_mov_b32 s15, s1
                                        ; implicit-def: $vgpr14_vgpr15
	s_cbranch_execnz .LBB15_1231
.LBB15_1040:
	s_and_not1_b32 vcc_lo, exec_lo, s17
	s_cbranch_vccnz .LBB15_1279
.LBB15_1041:
	s_wait_loadcnt 0x0
	s_delay_alu instid0(VALU_DEP_1) | instskip(SKIP_4) | instid1(SALU_CYCLE_1)
	v_cmp_gt_i64_e32 vcc_lo, s[8:9], v[14:15]
	v_cmp_le_i64_e64 s0, s[10:11], v[14:15]
	s_or_b32 s0, vcc_lo, s0
	s_wait_xcnt 0x0
	s_and_saveexec_b32 s16, s0
	s_xor_b32 s0, exec_lo, s16
	s_cbranch_execnz .LBB15_1899
.LBB15_1042:
	s_or_saveexec_b32 s16, s0
	s_mov_b32 s17, 0
	s_mov_b32 s18, 0
                                        ; implicit-def: $vgpr14_vgpr15
                                        ; implicit-def: $sgpr0
	s_xor_b32 exec_lo, exec_lo, s16
	s_cbranch_execz .LBB15_1849
; %bb.1043:
	v_mov_b32_e32 v11, 0
	s_cmp_lt_i32 s19, 11
	s_delay_alu instid0(VALU_DEP_1)
	v_add_nc_u64_e32 v[10:11], s[6:7], v[10:11]
	s_cbranch_scc1 .LBB15_1054
; %bb.1044:
	s_cmp_gt_i32 s19, 25
	s_cbranch_scc0 .LBB15_1062
; %bb.1045:
	s_cmp_gt_i32 s19, 28
	s_cbranch_scc0 .LBB15_1165
	;; [unrolled: 3-line block ×4, first 2 shown]
; %bb.1048:
	s_cmp_eq_u32 s19, 46
	s_cbranch_scc0 .LBB15_1282
; %bb.1049:
	global_load_b32 v1, v[10:11], off
	s_mov_b32 s0, 0
	s_mov_b32 s20, -1
	s_wait_loadcnt 0x0
	v_lshlrev_b32_e32 v1, 16, v1
	s_delay_alu instid0(VALU_DEP_1) | instskip(NEXT) | instid1(VALU_DEP_1)
	v_trunc_f32_e32 v1, v1
	v_mul_f32_e64 v3, 0x2f800000, |v1|
	v_ashrrev_i32_e32 v12, 31, v1
	s_delay_alu instid0(VALU_DEP_2) | instskip(NEXT) | instid1(VALU_DEP_2)
	v_floor_f32_e32 v3, v3
	v_mov_b32_e32 v13, v12
	s_delay_alu instid0(VALU_DEP_2) | instskip(SKIP_1) | instid1(VALU_DEP_2)
	v_fma_f32 v5, 0xcf800000, v3, |v1|
	v_cvt_u32_f32_e32 v1, v3
	v_cvt_u32_f32_e32 v3, v5
	s_delay_alu instid0(VALU_DEP_2) | instskip(NEXT) | instid1(VALU_DEP_2)
	v_xor_b32_e32 v15, v1, v12
	v_xor_b32_e32 v14, v3, v12
	s_delay_alu instid0(VALU_DEP_1)
	v_sub_nc_u64_e32 v[12:13], v[14:15], v[12:13]
	s_branch .LBB15_1284
.LBB15_1050:
	s_mov_b32 s16, 0
	s_mov_b32 s1, 0
                                        ; implicit-def: $vgpr16_vgpr17
	s_cbranch_execnz .LBB15_1064
	s_branch .LBB15_1067
.LBB15_1051:
	s_mov_b32 s15, -1
	s_mov_b32 s17, 0
	s_mov_b32 s0, 0
                                        ; implicit-def: $vgpr14_vgpr15
	s_branch .LBB15_1196
.LBB15_1052:
	s_mov_b32 s17, -1
	s_mov_b32 s16, 0
	s_mov_b32 s1, 0
	s_branch .LBB15_1056
.LBB15_1053:
	s_mov_b32 s15, -1
	s_mov_b32 s17, 0
	s_mov_b32 s0, 0
                                        ; implicit-def: $vgpr14_vgpr15
	s_branch .LBB15_1179
.LBB15_1054:
	s_mov_b32 s0, -1
	s_mov_b32 s20, 0
	s_mov_b32 s17, s15
                                        ; implicit-def: $vgpr12_vgpr13
	s_branch .LBB15_1346
.LBB15_1055:
	s_mov_b32 s1, -1
	s_mov_b32 s16, 0
.LBB15_1056:
                                        ; implicit-def: $vgpr16_vgpr17
.LBB15_1057:
	s_and_b32 vcc_lo, exec_lo, s17
	s_cbranch_vccz .LBB15_1060
; %bb.1058:
	s_cmp_eq_u32 s0, 44
	s_cbranch_scc0 .LBB15_1063
; %bb.1059:
	global_load_u8 v1, v[14:15], off
	s_mov_b32 s1, 0
	s_mov_b32 s16, -1
	s_wait_loadcnt 0x0
	v_lshlrev_b32_e32 v3, 23, v1
	v_cmp_ne_u32_e32 vcc_lo, 0, v1
	s_delay_alu instid0(VALU_DEP_2) | instskip(NEXT) | instid1(VALU_DEP_1)
	v_trunc_f32_e32 v3, v3
	v_mul_f32_e64 v5, 0x2f800000, |v3|
	v_ashrrev_i32_e32 v16, 31, v3
	s_delay_alu instid0(VALU_DEP_2) | instskip(NEXT) | instid1(VALU_DEP_2)
	v_floor_f32_e32 v5, v5
	v_mov_b32_e32 v17, v16
	s_delay_alu instid0(VALU_DEP_2) | instskip(SKIP_1) | instid1(VALU_DEP_2)
	v_fma_f32 v7, 0xcf800000, v5, |v3|
	v_cvt_u32_f32_e32 v3, v5
	v_cvt_u32_f32_e32 v5, v7
	s_delay_alu instid0(VALU_DEP_2) | instskip(NEXT) | instid1(VALU_DEP_2)
	v_xor_b32_e32 v19, v3, v16
	v_xor_b32_e32 v18, v5, v16
	s_delay_alu instid0(VALU_DEP_1) | instskip(NEXT) | instid1(VALU_DEP_1)
	v_sub_nc_u64_e32 v[16:17], v[18:19], v[16:17]
	v_dual_cndmask_b32 v17, 0, v17 :: v_dual_cndmask_b32 v16, 0, v16
.LBB15_1060:
	s_branch .LBB15_1067
.LBB15_1061:
	s_mov_b32 s15, -1
	s_mov_b32 s17, 0
	s_mov_b32 s0, 0
                                        ; implicit-def: $vgpr14_vgpr15
	s_branch .LBB15_1174
.LBB15_1062:
	s_mov_b32 s17, -1
	s_mov_b32 s20, 0
	s_mov_b32 s0, 0
                                        ; implicit-def: $vgpr12_vgpr13
	s_branch .LBB15_1311
.LBB15_1063:
	s_mov_b32 s1, -1
                                        ; implicit-def: $vgpr16_vgpr17
	s_branch .LBB15_1067
.LBB15_1064:
	s_cmp_eq_u32 s0, 29
	s_cbranch_scc0 .LBB15_1066
; %bb.1065:
	global_load_b64 v[16:17], v[14:15], off
	s_mov_b32 s1, 0
	s_mov_b32 s16, -1
	s_branch .LBB15_1067
.LBB15_1066:
	s_mov_b32 s1, -1
                                        ; implicit-def: $vgpr16_vgpr17
.LBB15_1067:
	s_branch .LBB15_1083
.LBB15_1068:
	s_cmp_lt_i32 s0, 27
	s_cbranch_scc1 .LBB15_1071
; %bb.1069:
	s_cmp_gt_i32 s0, 27
	s_cbranch_scc0 .LBB15_1072
; %bb.1070:
	s_wait_loadcnt 0x0
	global_load_b32 v16, v[14:15], off
	v_mov_b32_e32 v17, 0
	s_mov_b32 s16, 0
	s_branch .LBB15_1073
.LBB15_1071:
	s_mov_b32 s16, -1
                                        ; implicit-def: $vgpr16_vgpr17
	s_branch .LBB15_1076
.LBB15_1072:
	s_mov_b32 s16, -1
                                        ; implicit-def: $vgpr16_vgpr17
.LBB15_1073:
	s_delay_alu instid0(SALU_CYCLE_1)
	s_and_not1_b32 vcc_lo, exec_lo, s16
	s_cbranch_vccnz .LBB15_1075
; %bb.1074:
	global_load_u16 v1, v[14:15], off
	s_mov_b32 s16, 0
	s_wait_loadcnt 0x1
	v_mov_b32_e32 v17, s16
	s_wait_loadcnt 0x0
	v_and_b32_e32 v16, 0xffff, v1
.LBB15_1075:
	s_mov_b32 s16, 0
.LBB15_1076:
	s_delay_alu instid0(SALU_CYCLE_1)
	s_and_not1_b32 vcc_lo, exec_lo, s16
	s_cbranch_vccnz .LBB15_1082
; %bb.1077:
	global_load_u8 v1, v[14:15], off
	s_mov_b32 s17, 0
	s_mov_b32 s16, exec_lo
	s_wait_loadcnt 0x0
	v_cmpx_lt_i16_e32 0x7f, v1
	s_xor_b32 s16, exec_lo, s16
	s_cbranch_execz .LBB15_1093
; %bb.1078:
	v_cmp_ne_u16_e32 vcc_lo, 0x80, v1
	s_and_b32 s17, vcc_lo, exec_lo
	s_and_not1_saveexec_b32 s16, s16
	s_cbranch_execnz .LBB15_1094
.LBB15_1079:
	s_or_b32 exec_lo, exec_lo, s16
	v_mov_b64_e32 v[16:17], 0
	s_and_saveexec_b32 s16, s17
	s_cbranch_execz .LBB15_1081
.LBB15_1080:
	v_and_b32_e32 v3, 0xffff, v1
	s_delay_alu instid0(VALU_DEP_1) | instskip(SKIP_1) | instid1(VALU_DEP_2)
	v_dual_lshlrev_b32 v1, 24, v1 :: v_dual_bitop2_b32 v5, 7, v3 bitop3:0x40
	v_bfe_u32 v11, v3, 3, 4
	v_and_b32_e32 v1, 0x80000000, v1
	s_delay_alu instid0(VALU_DEP_3) | instskip(NEXT) | instid1(VALU_DEP_3)
	v_clz_i32_u32_e32 v7, v5
	v_cmp_eq_u32_e32 vcc_lo, 0, v11
	s_delay_alu instid0(VALU_DEP_2) | instskip(NEXT) | instid1(VALU_DEP_1)
	v_min_u32_e32 v7, 32, v7
	v_subrev_nc_u32_e32 v9, 28, v7
	v_sub_nc_u32_e32 v7, 29, v7
	s_delay_alu instid0(VALU_DEP_2) | instskip(NEXT) | instid1(VALU_DEP_2)
	v_lshlrev_b32_e32 v3, v9, v3
	v_cndmask_b32_e32 v7, v11, v7, vcc_lo
	s_delay_alu instid0(VALU_DEP_2) | instskip(NEXT) | instid1(VALU_DEP_1)
	v_and_b32_e32 v3, 7, v3
	v_cndmask_b32_e32 v3, v5, v3, vcc_lo
	s_delay_alu instid0(VALU_DEP_3) | instskip(NEXT) | instid1(VALU_DEP_2)
	v_lshl_add_u32 v5, v7, 23, 0x3b800000
	v_lshlrev_b32_e32 v3, 20, v3
	s_delay_alu instid0(VALU_DEP_1) | instskip(NEXT) | instid1(VALU_DEP_1)
	v_or3_b32 v1, v1, v5, v3
	v_trunc_f32_e32 v1, v1
	s_delay_alu instid0(VALU_DEP_1) | instskip(SKIP_1) | instid1(VALU_DEP_2)
	v_mul_f32_e64 v3, 0x2f800000, |v1|
	v_ashrrev_i32_e32 v16, 31, v1
	v_floor_f32_e32 v3, v3
	s_delay_alu instid0(VALU_DEP_2) | instskip(NEXT) | instid1(VALU_DEP_2)
	v_mov_b32_e32 v17, v16
	v_fma_f32 v5, 0xcf800000, v3, |v1|
	v_cvt_u32_f32_e32 v1, v3
	s_delay_alu instid0(VALU_DEP_2) | instskip(NEXT) | instid1(VALU_DEP_2)
	v_cvt_u32_f32_e32 v3, v5
	v_xor_b32_e32 v19, v1, v16
	s_delay_alu instid0(VALU_DEP_2) | instskip(NEXT) | instid1(VALU_DEP_1)
	v_xor_b32_e32 v18, v3, v16
	v_sub_nc_u64_e32 v[16:17], v[18:19], v[16:17]
.LBB15_1081:
	s_or_b32 exec_lo, exec_lo, s16
.LBB15_1082:
	s_mov_b32 s16, -1
.LBB15_1083:
	s_branch .LBB15_1113
.LBB15_1084:
	s_cmp_gt_i32 s0, 22
	s_cbranch_scc0 .LBB15_1092
; %bb.1085:
	s_cmp_lt_i32 s0, 24
	s_cbranch_scc1 .LBB15_1095
; %bb.1086:
	s_cmp_gt_i32 s0, 24
	s_cbranch_scc0 .LBB15_1096
; %bb.1087:
	global_load_u8 v1, v[14:15], off
	s_mov_b32 s16, 0
	s_mov_b32 s14, exec_lo
	s_wait_loadcnt 0x0
	v_cmpx_lt_i16_e32 0x7f, v1
	s_xor_b32 s14, exec_lo, s14
	s_cbranch_execz .LBB15_1107
; %bb.1088:
	v_cmp_ne_u16_e32 vcc_lo, 0x80, v1
	s_and_b32 s16, vcc_lo, exec_lo
	s_and_not1_saveexec_b32 s14, s14
	s_cbranch_execnz .LBB15_1108
.LBB15_1089:
	s_or_b32 exec_lo, exec_lo, s14
	v_mov_b64_e32 v[16:17], 0
	s_and_saveexec_b32 s14, s16
	s_cbranch_execz .LBB15_1091
.LBB15_1090:
	v_and_b32_e32 v3, 0xffff, v1
	s_delay_alu instid0(VALU_DEP_1) | instskip(SKIP_1) | instid1(VALU_DEP_2)
	v_dual_lshlrev_b32 v1, 24, v1 :: v_dual_bitop2_b32 v5, 3, v3 bitop3:0x40
	v_bfe_u32 v11, v3, 2, 5
	v_and_b32_e32 v1, 0x80000000, v1
	s_delay_alu instid0(VALU_DEP_3) | instskip(NEXT) | instid1(VALU_DEP_3)
	v_clz_i32_u32_e32 v7, v5
	v_cmp_eq_u32_e32 vcc_lo, 0, v11
	s_delay_alu instid0(VALU_DEP_2) | instskip(NEXT) | instid1(VALU_DEP_1)
	v_min_u32_e32 v7, 32, v7
	v_subrev_nc_u32_e32 v9, 29, v7
	v_sub_nc_u32_e32 v7, 30, v7
	s_delay_alu instid0(VALU_DEP_2) | instskip(NEXT) | instid1(VALU_DEP_2)
	v_lshlrev_b32_e32 v3, v9, v3
	v_cndmask_b32_e32 v7, v11, v7, vcc_lo
	s_delay_alu instid0(VALU_DEP_2) | instskip(NEXT) | instid1(VALU_DEP_1)
	v_and_b32_e32 v3, 3, v3
	v_cndmask_b32_e32 v3, v5, v3, vcc_lo
	s_delay_alu instid0(VALU_DEP_3) | instskip(NEXT) | instid1(VALU_DEP_2)
	v_lshl_add_u32 v5, v7, 23, 0x37800000
	v_lshlrev_b32_e32 v3, 21, v3
	s_delay_alu instid0(VALU_DEP_1) | instskip(NEXT) | instid1(VALU_DEP_1)
	v_or3_b32 v1, v1, v5, v3
	v_trunc_f32_e32 v1, v1
	s_delay_alu instid0(VALU_DEP_1) | instskip(SKIP_1) | instid1(VALU_DEP_2)
	v_mul_f32_e64 v3, 0x2f800000, |v1|
	v_ashrrev_i32_e32 v16, 31, v1
	v_floor_f32_e32 v3, v3
	s_delay_alu instid0(VALU_DEP_2) | instskip(NEXT) | instid1(VALU_DEP_2)
	v_mov_b32_e32 v17, v16
	v_fma_f32 v5, 0xcf800000, v3, |v1|
	v_cvt_u32_f32_e32 v1, v3
	s_delay_alu instid0(VALU_DEP_2) | instskip(NEXT) | instid1(VALU_DEP_2)
	v_cvt_u32_f32_e32 v3, v5
	v_xor_b32_e32 v19, v1, v16
	s_delay_alu instid0(VALU_DEP_2) | instskip(NEXT) | instid1(VALU_DEP_1)
	v_xor_b32_e32 v18, v3, v16
	v_sub_nc_u64_e32 v[16:17], v[18:19], v[16:17]
.LBB15_1091:
	s_or_b32 exec_lo, exec_lo, s14
	s_mov_b32 s14, 0
	s_branch .LBB15_1097
.LBB15_1092:
                                        ; implicit-def: $vgpr16_vgpr17
	s_mov_b32 s14, 0
	s_branch .LBB15_1103
.LBB15_1093:
	s_and_not1_saveexec_b32 s16, s16
	s_cbranch_execz .LBB15_1079
.LBB15_1094:
	v_cmp_ne_u16_e32 vcc_lo, 0, v1
	s_and_not1_b32 s17, s17, exec_lo
	s_and_b32 s18, vcc_lo, exec_lo
	s_delay_alu instid0(SALU_CYCLE_1)
	s_or_b32 s17, s17, s18
	s_or_b32 exec_lo, exec_lo, s16
	v_mov_b64_e32 v[16:17], 0
	s_and_saveexec_b32 s16, s17
	s_cbranch_execnz .LBB15_1080
	s_branch .LBB15_1081
.LBB15_1095:
	s_mov_b32 s14, -1
                                        ; implicit-def: $vgpr16_vgpr17
	s_branch .LBB15_1100
.LBB15_1096:
	s_mov_b32 s14, -1
                                        ; implicit-def: $vgpr16_vgpr17
.LBB15_1097:
	s_delay_alu instid0(SALU_CYCLE_1)
	s_and_b32 vcc_lo, exec_lo, s14
	s_cbranch_vccz .LBB15_1099
; %bb.1098:
	global_load_u8 v1, v[14:15], off
	s_wait_loadcnt 0x0
	v_lshlrev_b32_e32 v1, 24, v1
	s_delay_alu instid0(VALU_DEP_1) | instskip(NEXT) | instid1(VALU_DEP_1)
	v_and_b32_e32 v3, 0x7f000000, v1
	v_clz_i32_u32_e32 v5, v3
	v_add_nc_u32_e32 v9, 0x1000000, v3
	v_cmp_ne_u32_e32 vcc_lo, 0, v3
	s_delay_alu instid0(VALU_DEP_3) | instskip(NEXT) | instid1(VALU_DEP_1)
	v_min_u32_e32 v5, 32, v5
	v_sub_nc_u32_e64 v5, v5, 4 clamp
	s_delay_alu instid0(VALU_DEP_1) | instskip(NEXT) | instid1(VALU_DEP_1)
	v_dual_lshlrev_b32 v7, v5, v3 :: v_dual_lshlrev_b32 v5, 23, v5
	v_lshrrev_b32_e32 v7, 4, v7
	s_delay_alu instid0(VALU_DEP_1) | instskip(SKIP_1) | instid1(VALU_DEP_2)
	v_sub_nc_u32_e32 v5, v7, v5
	v_ashrrev_i32_e32 v7, 8, v9
	v_add_nc_u32_e32 v5, 0x3c000000, v5
	s_delay_alu instid0(VALU_DEP_1) | instskip(NEXT) | instid1(VALU_DEP_1)
	v_and_or_b32 v5, 0x7f800000, v7, v5
	v_cndmask_b32_e32 v3, 0, v5, vcc_lo
	s_delay_alu instid0(VALU_DEP_1) | instskip(NEXT) | instid1(VALU_DEP_1)
	v_and_or_b32 v1, 0x80000000, v1, v3
	v_trunc_f32_e32 v1, v1
	s_delay_alu instid0(VALU_DEP_1) | instskip(SKIP_1) | instid1(VALU_DEP_2)
	v_mul_f32_e64 v3, 0x2f800000, |v1|
	v_ashrrev_i32_e32 v16, 31, v1
	v_floor_f32_e32 v3, v3
	s_delay_alu instid0(VALU_DEP_2) | instskip(NEXT) | instid1(VALU_DEP_2)
	v_mov_b32_e32 v17, v16
	v_fma_f32 v5, 0xcf800000, v3, |v1|
	v_cvt_u32_f32_e32 v1, v3
	s_delay_alu instid0(VALU_DEP_2) | instskip(NEXT) | instid1(VALU_DEP_2)
	v_cvt_u32_f32_e32 v3, v5
	v_xor_b32_e32 v19, v1, v16
	s_delay_alu instid0(VALU_DEP_2) | instskip(NEXT) | instid1(VALU_DEP_1)
	v_xor_b32_e32 v18, v3, v16
	v_sub_nc_u64_e32 v[16:17], v[18:19], v[16:17]
.LBB15_1099:
	s_mov_b32 s14, 0
.LBB15_1100:
	s_delay_alu instid0(SALU_CYCLE_1)
	s_and_not1_b32 vcc_lo, exec_lo, s14
	s_cbranch_vccnz .LBB15_1102
; %bb.1101:
	global_load_u8 v1, v[14:15], off
	s_wait_loadcnt 0x0
	v_lshlrev_b32_e32 v3, 25, v1
	v_lshlrev_b16 v1, 8, v1
	s_delay_alu instid0(VALU_DEP_1) | instskip(SKIP_1) | instid1(VALU_DEP_2)
	v_and_or_b32 v7, 0x7f00, v1, 0.5
	v_bfe_i32 v1, v1, 0, 16
	v_add_f32_e32 v7, -0.5, v7
	v_lshrrev_b32_e32 v5, 4, v3
	v_cmp_gt_u32_e32 vcc_lo, 0x8000000, v3
	s_delay_alu instid0(VALU_DEP_2) | instskip(NEXT) | instid1(VALU_DEP_1)
	v_or_b32_e32 v5, 0x70000000, v5
	v_mul_f32_e32 v5, 0x7800000, v5
	s_delay_alu instid0(VALU_DEP_1) | instskip(NEXT) | instid1(VALU_DEP_1)
	v_cndmask_b32_e32 v3, v5, v7, vcc_lo
	v_and_or_b32 v1, 0x80000000, v1, v3
	s_delay_alu instid0(VALU_DEP_1) | instskip(NEXT) | instid1(VALU_DEP_1)
	v_trunc_f32_e32 v1, v1
	v_mul_f32_e64 v3, 0x2f800000, |v1|
	v_ashrrev_i32_e32 v16, 31, v1
	s_delay_alu instid0(VALU_DEP_2) | instskip(NEXT) | instid1(VALU_DEP_2)
	v_floor_f32_e32 v3, v3
	v_mov_b32_e32 v17, v16
	s_delay_alu instid0(VALU_DEP_2) | instskip(SKIP_1) | instid1(VALU_DEP_2)
	v_fma_f32 v5, 0xcf800000, v3, |v1|
	v_cvt_u32_f32_e32 v1, v3
	v_cvt_u32_f32_e32 v3, v5
	s_delay_alu instid0(VALU_DEP_2) | instskip(NEXT) | instid1(VALU_DEP_2)
	v_xor_b32_e32 v19, v1, v16
	v_xor_b32_e32 v18, v3, v16
	s_delay_alu instid0(VALU_DEP_1)
	v_sub_nc_u64_e32 v[16:17], v[18:19], v[16:17]
.LBB15_1102:
	s_mov_b32 s16, -1
	s_mov_b32 s14, 0
	s_cbranch_execnz .LBB15_1113
.LBB15_1103:
	s_cmp_gt_i32 s0, 14
	s_cbranch_scc0 .LBB15_1106
; %bb.1104:
	s_cmp_eq_u32 s0, 15
	s_cbranch_scc0 .LBB15_1109
; %bb.1105:
	global_load_u16 v1, v[14:15], off
	s_mov_b32 s1, 0
	s_mov_b32 s16, -1
	s_wait_loadcnt 0x0
	v_lshlrev_b32_e32 v1, 16, v1
	s_delay_alu instid0(VALU_DEP_1) | instskip(NEXT) | instid1(VALU_DEP_1)
	v_trunc_f32_e32 v1, v1
	v_mul_f32_e64 v3, 0x2f800000, |v1|
	v_ashrrev_i32_e32 v16, 31, v1
	s_delay_alu instid0(VALU_DEP_2) | instskip(NEXT) | instid1(VALU_DEP_2)
	v_floor_f32_e32 v3, v3
	v_mov_b32_e32 v17, v16
	s_delay_alu instid0(VALU_DEP_2) | instskip(SKIP_1) | instid1(VALU_DEP_2)
	v_fma_f32 v5, 0xcf800000, v3, |v1|
	v_cvt_u32_f32_e32 v1, v3
	v_cvt_u32_f32_e32 v3, v5
	s_delay_alu instid0(VALU_DEP_2) | instskip(NEXT) | instid1(VALU_DEP_2)
	v_xor_b32_e32 v19, v1, v16
	v_xor_b32_e32 v18, v3, v16
	s_delay_alu instid0(VALU_DEP_1)
	v_sub_nc_u64_e32 v[16:17], v[18:19], v[16:17]
	s_branch .LBB15_1111
.LBB15_1106:
	s_mov_b32 s14, -1
	s_branch .LBB15_1110
.LBB15_1107:
	s_and_not1_saveexec_b32 s14, s14
	s_cbranch_execz .LBB15_1089
.LBB15_1108:
	v_cmp_ne_u16_e32 vcc_lo, 0, v1
	s_and_not1_b32 s16, s16, exec_lo
	s_and_b32 s17, vcc_lo, exec_lo
	s_delay_alu instid0(SALU_CYCLE_1)
	s_or_b32 s16, s16, s17
	s_or_b32 exec_lo, exec_lo, s14
	v_mov_b64_e32 v[16:17], 0
	s_and_saveexec_b32 s14, s16
	s_cbranch_execnz .LBB15_1090
	s_branch .LBB15_1091
.LBB15_1109:
	s_mov_b32 s1, -1
.LBB15_1110:
                                        ; implicit-def: $vgpr16_vgpr17
.LBB15_1111:
	s_and_b32 vcc_lo, exec_lo, s14
	s_mov_b32 s14, 0
	s_cbranch_vccz .LBB15_1113
; %bb.1112:
	s_cmp_lg_u32 s0, 11
	s_mov_b32 s14, -1
	s_cselect_b32 s1, -1, 0
.LBB15_1113:
	s_delay_alu instid0(SALU_CYCLE_1)
	s_and_b32 vcc_lo, exec_lo, s1
	s_mov_b32 s1, s12
	s_cbranch_vccnz .LBB15_1163
; %bb.1114:
	s_and_not1_b32 vcc_lo, exec_lo, s14
	s_cbranch_vccnz .LBB15_1116
.LBB15_1115:
	global_load_u8 v1, v[14:15], off
	s_mov_b32 s0, 0
	s_mov_b32 s16, -1
	s_wait_loadcnt 0x1
	v_mov_b32_e32 v17, s0
	s_wait_loadcnt 0x0
	v_cmp_ne_u16_e32 vcc_lo, 0, v1
	v_cndmask_b32_e64 v16, 0, 1, vcc_lo
.LBB15_1116:
	s_branch .LBB15_1027
.LBB15_1117:
	s_and_b32 s0, 0xffff, s15
	s_delay_alu instid0(SALU_CYCLE_1)
	s_cmp_lt_i32 s0, 5
	s_cbranch_scc1 .LBB15_1122
; %bb.1118:
	s_cmp_lt_i32 s0, 8
	s_cbranch_scc1 .LBB15_1123
; %bb.1119:
	;; [unrolled: 3-line block ×3, first 2 shown]
	s_cmp_gt_i32 s0, 9
	s_cbranch_scc0 .LBB15_1125
; %bb.1121:
	s_wait_loadcnt 0x0
	global_load_b64 v[16:17], v[14:15], off
	s_mov_b32 s14, 0
	s_wait_loadcnt 0x0
	v_trunc_f64_e32 v[16:17], v[16:17]
	s_delay_alu instid0(VALU_DEP_1) | instskip(NEXT) | instid1(VALU_DEP_1)
	v_ldexp_f64 v[18:19], v[16:17], 0xffffffe0
	v_floor_f64_e32 v[18:19], v[18:19]
	s_delay_alu instid0(VALU_DEP_1) | instskip(SKIP_1) | instid1(VALU_DEP_2)
	v_fmamk_f64 v[20:21], v[18:19], 0xc1f00000, v[16:17]
	v_cvt_i32_f64_e32 v17, v[18:19]
	v_cvt_u32_f64_e32 v16, v[20:21]
	s_branch .LBB15_1126
.LBB15_1122:
                                        ; implicit-def: $vgpr16_vgpr17
	s_branch .LBB15_1143
.LBB15_1123:
                                        ; implicit-def: $vgpr16_vgpr17
	s_branch .LBB15_1132
.LBB15_1124:
	s_mov_b32 s14, -1
                                        ; implicit-def: $vgpr16_vgpr17
	s_branch .LBB15_1129
.LBB15_1125:
	s_mov_b32 s14, -1
                                        ; implicit-def: $vgpr16_vgpr17
.LBB15_1126:
	s_delay_alu instid0(SALU_CYCLE_1)
	s_and_not1_b32 vcc_lo, exec_lo, s14
	s_cbranch_vccnz .LBB15_1128
; %bb.1127:
	global_load_b32 v1, v[14:15], off
	s_wait_loadcnt 0x0
	v_trunc_f32_e32 v1, v1
	s_delay_alu instid0(VALU_DEP_1) | instskip(SKIP_1) | instid1(VALU_DEP_2)
	v_mul_f32_e64 v3, 0x2f800000, |v1|
	v_ashrrev_i32_e32 v16, 31, v1
	v_floor_f32_e32 v3, v3
	s_delay_alu instid0(VALU_DEP_1) | instskip(SKIP_1) | instid1(VALU_DEP_4)
	v_fma_f32 v5, 0xcf800000, v3, |v1|
	v_cvt_u32_f32_e32 v1, v3
	v_mov_b32_e32 v17, v16
	s_delay_alu instid0(VALU_DEP_3) | instskip(NEXT) | instid1(VALU_DEP_3)
	v_cvt_u32_f32_e32 v3, v5
	v_xor_b32_e32 v19, v1, v16
	s_delay_alu instid0(VALU_DEP_2) | instskip(NEXT) | instid1(VALU_DEP_1)
	v_xor_b32_e32 v18, v3, v16
	v_sub_nc_u64_e32 v[16:17], v[18:19], v[16:17]
.LBB15_1128:
	s_mov_b32 s14, 0
.LBB15_1129:
	s_delay_alu instid0(SALU_CYCLE_1)
	s_and_not1_b32 vcc_lo, exec_lo, s14
	s_cbranch_vccnz .LBB15_1131
; %bb.1130:
	global_load_b32 v1, v[14:15], off
	s_wait_loadcnt 0x0
	v_cvt_f32_f16_e32 v1, v1
	s_delay_alu instid0(VALU_DEP_1) | instskip(NEXT) | instid1(VALU_DEP_1)
	v_cvt_i32_f32_e32 v16, v1
	v_ashrrev_i32_e32 v17, 31, v16
.LBB15_1131:
	s_cbranch_execnz .LBB15_1142
.LBB15_1132:
	s_cmp_lt_i32 s0, 6
	s_cbranch_scc1 .LBB15_1135
; %bb.1133:
	s_cmp_gt_i32 s0, 6
	s_cbranch_scc0 .LBB15_1136
; %bb.1134:
	s_wait_loadcnt 0x0
	global_load_b64 v[16:17], v[14:15], off
	s_mov_b32 s14, 0
	s_wait_loadcnt 0x0
	v_trunc_f64_e32 v[16:17], v[16:17]
	s_delay_alu instid0(VALU_DEP_1) | instskip(NEXT) | instid1(VALU_DEP_1)
	v_ldexp_f64 v[18:19], v[16:17], 0xffffffe0
	v_floor_f64_e32 v[18:19], v[18:19]
	s_delay_alu instid0(VALU_DEP_1) | instskip(SKIP_1) | instid1(VALU_DEP_2)
	v_fmamk_f64 v[20:21], v[18:19], 0xc1f00000, v[16:17]
	v_cvt_i32_f64_e32 v17, v[18:19]
	v_cvt_u32_f64_e32 v16, v[20:21]
	s_branch .LBB15_1137
.LBB15_1135:
	s_mov_b32 s14, -1
                                        ; implicit-def: $vgpr16_vgpr17
	s_branch .LBB15_1140
.LBB15_1136:
	s_mov_b32 s14, -1
                                        ; implicit-def: $vgpr16_vgpr17
.LBB15_1137:
	s_delay_alu instid0(SALU_CYCLE_1)
	s_and_not1_b32 vcc_lo, exec_lo, s14
	s_cbranch_vccnz .LBB15_1139
; %bb.1138:
	global_load_b32 v1, v[14:15], off
	s_wait_loadcnt 0x0
	v_trunc_f32_e32 v1, v1
	s_delay_alu instid0(VALU_DEP_1) | instskip(SKIP_1) | instid1(VALU_DEP_2)
	v_mul_f32_e64 v3, 0x2f800000, |v1|
	v_ashrrev_i32_e32 v16, 31, v1
	v_floor_f32_e32 v3, v3
	s_delay_alu instid0(VALU_DEP_1) | instskip(SKIP_1) | instid1(VALU_DEP_4)
	v_fma_f32 v5, 0xcf800000, v3, |v1|
	v_cvt_u32_f32_e32 v1, v3
	v_mov_b32_e32 v17, v16
	s_delay_alu instid0(VALU_DEP_3) | instskip(NEXT) | instid1(VALU_DEP_3)
	v_cvt_u32_f32_e32 v3, v5
	v_xor_b32_e32 v19, v1, v16
	s_delay_alu instid0(VALU_DEP_2) | instskip(NEXT) | instid1(VALU_DEP_1)
	v_xor_b32_e32 v18, v3, v16
	v_sub_nc_u64_e32 v[16:17], v[18:19], v[16:17]
.LBB15_1139:
	s_mov_b32 s14, 0
.LBB15_1140:
	s_delay_alu instid0(SALU_CYCLE_1)
	s_and_not1_b32 vcc_lo, exec_lo, s14
	s_cbranch_vccnz .LBB15_1142
; %bb.1141:
	global_load_u16 v1, v[14:15], off
	s_wait_loadcnt 0x0
	v_cvt_f32_f16_e32 v1, v1
	s_delay_alu instid0(VALU_DEP_1) | instskip(NEXT) | instid1(VALU_DEP_1)
	v_cvt_i32_f32_e32 v16, v1
	v_ashrrev_i32_e32 v17, 31, v16
.LBB15_1142:
	s_cbranch_execnz .LBB15_1161
.LBB15_1143:
	s_cmp_lt_i32 s0, 2
	s_cbranch_scc1 .LBB15_1147
; %bb.1144:
	s_cmp_lt_i32 s0, 3
	s_cbranch_scc1 .LBB15_1148
; %bb.1145:
	s_cmp_gt_i32 s0, 3
	s_cbranch_scc0 .LBB15_1149
; %bb.1146:
	s_wait_loadcnt 0x0
	global_load_b64 v[16:17], v[14:15], off
	s_mov_b32 s14, 0
	s_branch .LBB15_1150
.LBB15_1147:
                                        ; implicit-def: $vgpr16_vgpr17
	s_branch .LBB15_1156
.LBB15_1148:
	s_mov_b32 s14, -1
                                        ; implicit-def: $vgpr16_vgpr17
	s_branch .LBB15_1153
.LBB15_1149:
	s_mov_b32 s14, -1
                                        ; implicit-def: $vgpr16_vgpr17
.LBB15_1150:
	s_delay_alu instid0(SALU_CYCLE_1)
	s_and_not1_b32 vcc_lo, exec_lo, s14
	s_cbranch_vccnz .LBB15_1152
; %bb.1151:
	s_wait_loadcnt 0x0
	global_load_b32 v16, v[14:15], off
	s_wait_loadcnt 0x0
	v_ashrrev_i32_e32 v17, 31, v16
.LBB15_1152:
	s_mov_b32 s14, 0
.LBB15_1153:
	s_delay_alu instid0(SALU_CYCLE_1)
	s_and_not1_b32 vcc_lo, exec_lo, s14
	s_cbranch_vccnz .LBB15_1155
; %bb.1154:
	global_load_u16 v1, v[14:15], off
	s_wait_loadcnt 0x0
	v_bfe_i32 v16, v1, 0, 16
	s_delay_alu instid0(VALU_DEP_1)
	v_ashrrev_i32_e32 v17, 31, v16
.LBB15_1155:
	s_cbranch_execnz .LBB15_1161
.LBB15_1156:
	s_cmp_gt_i32 s0, 0
	s_mov_b32 s0, 0
	s_cbranch_scc0 .LBB15_1158
; %bb.1157:
	global_load_i8 v1, v[14:15], off
	s_wait_loadcnt 0x0
	v_bfe_i32 v16, v1, 0, 16
	s_delay_alu instid0(VALU_DEP_1)
	v_ashrrev_i32_e32 v17, 31, v16
	s_branch .LBB15_1159
.LBB15_1158:
	s_mov_b32 s0, -1
                                        ; implicit-def: $vgpr16_vgpr17
.LBB15_1159:
	s_delay_alu instid0(SALU_CYCLE_1)
	s_and_not1_b32 vcc_lo, exec_lo, s0
	s_cbranch_vccnz .LBB15_1161
; %bb.1160:
	global_load_u8 v1, v[14:15], off
	s_mov_b32 s0, 0
	s_wait_loadcnt 0x1
	v_mov_b32_e32 v17, s0
	s_wait_loadcnt 0x0
	v_and_b32_e32 v16, 0xffff, v1
.LBB15_1161:
	s_branch .LBB15_1028
.LBB15_1162:
	s_mov_b32 s16, 0
	s_mov_b32 s18, 0
                                        ; implicit-def: $vgpr14_vgpr15
                                        ; implicit-def: $sgpr0
	s_branch .LBB15_1852
.LBB15_1163:
	s_or_b32 s1, s12, exec_lo
	s_trap 2
	s_cbranch_execz .LBB15_1115
	s_branch .LBB15_1116
.LBB15_1164:
	s_mov_b32 s15, -1
	s_mov_b32 s17, 0
	s_mov_b32 s0, 0
	s_branch .LBB15_1167
.LBB15_1165:
	s_mov_b32 s17, -1
	s_mov_b32 s20, 0
	s_mov_b32 s0, 0
                                        ; implicit-def: $vgpr12_vgpr13
	s_branch .LBB15_1294
.LBB15_1166:
	s_mov_b32 s0, -1
	s_mov_b32 s17, 0
.LBB15_1167:
                                        ; implicit-def: $vgpr14_vgpr15
.LBB15_1168:
	s_and_b32 vcc_lo, exec_lo, s15
	s_cbranch_vccz .LBB15_1173
; %bb.1169:
	s_cmp_eq_u32 s19, 44
	s_cbranch_scc0 .LBB15_1172
; %bb.1170:
	global_load_u8 v1, v[12:13], off
	s_mov_b32 s0, 0
	s_mov_b32 s17, -1
	s_wait_loadcnt 0x0
	v_lshlrev_b32_e32 v3, 23, v1
	v_cmp_ne_u32_e32 vcc_lo, 0, v1
	s_delay_alu instid0(VALU_DEP_2) | instskip(NEXT) | instid1(VALU_DEP_1)
	v_trunc_f32_e32 v3, v3
	v_mul_f32_e64 v5, 0x2f800000, |v3|
	v_ashrrev_i32_e32 v14, 31, v3
	s_delay_alu instid0(VALU_DEP_2) | instskip(NEXT) | instid1(VALU_DEP_2)
	v_floor_f32_e32 v5, v5
	v_mov_b32_e32 v15, v14
	s_delay_alu instid0(VALU_DEP_2) | instskip(SKIP_1) | instid1(VALU_DEP_2)
	v_fma_f32 v7, 0xcf800000, v5, |v3|
	v_cvt_u32_f32_e32 v3, v5
	v_cvt_u32_f32_e32 v5, v7
	s_delay_alu instid0(VALU_DEP_2) | instskip(NEXT) | instid1(VALU_DEP_2)
	v_xor_b32_e32 v17, v3, v14
	v_xor_b32_e32 v16, v5, v14
	s_delay_alu instid0(VALU_DEP_1) | instskip(NEXT) | instid1(VALU_DEP_1)
	v_sub_nc_u64_e32 v[14:15], v[16:17], v[14:15]
	v_dual_cndmask_b32 v15, 0, v15 :: v_dual_cndmask_b32 v14, 0, v14
	s_branch .LBB15_1173
.LBB15_1171:
	s_mov_b32 s17, -1
	s_mov_b32 s20, 0
	s_mov_b32 s0, 0
                                        ; implicit-def: $vgpr12_vgpr13
	s_branch .LBB15_1289
.LBB15_1172:
	s_mov_b32 s0, -1
                                        ; implicit-def: $vgpr14_vgpr15
.LBB15_1173:
	s_mov_b32 s15, 0
.LBB15_1174:
	s_delay_alu instid0(SALU_CYCLE_1)
	s_and_b32 vcc_lo, exec_lo, s15
	s_cbranch_vccz .LBB15_1178
; %bb.1175:
	s_cmp_eq_u32 s19, 29
	s_cbranch_scc0 .LBB15_1177
; %bb.1176:
	global_load_b64 v[14:15], v[12:13], off
	s_mov_b32 s0, 0
	s_mov_b32 s17, -1
	s_branch .LBB15_1178
.LBB15_1177:
	s_mov_b32 s0, -1
                                        ; implicit-def: $vgpr14_vgpr15
.LBB15_1178:
	s_mov_b32 s15, 0
.LBB15_1179:
	s_delay_alu instid0(SALU_CYCLE_1)
	s_and_b32 vcc_lo, exec_lo, s15
	s_cbranch_vccz .LBB15_1195
; %bb.1180:
	s_cmp_lt_i32 s19, 27
	s_cbranch_scc1 .LBB15_1183
; %bb.1181:
	s_cmp_gt_i32 s19, 27
	s_cbranch_scc0 .LBB15_1184
; %bb.1182:
	s_wait_loadcnt 0x0
	global_load_b32 v14, v[12:13], off
	v_mov_b32_e32 v15, 0
	s_mov_b32 s15, 0
	s_branch .LBB15_1185
.LBB15_1183:
	s_mov_b32 s15, -1
                                        ; implicit-def: $vgpr14_vgpr15
	s_branch .LBB15_1188
.LBB15_1184:
	s_mov_b32 s15, -1
                                        ; implicit-def: $vgpr14_vgpr15
.LBB15_1185:
	s_delay_alu instid0(SALU_CYCLE_1)
	s_and_not1_b32 vcc_lo, exec_lo, s15
	s_cbranch_vccnz .LBB15_1187
; %bb.1186:
	global_load_u16 v1, v[12:13], off
	s_mov_b32 s15, 0
	s_wait_loadcnt 0x1
	v_mov_b32_e32 v15, s15
	s_wait_loadcnt 0x0
	v_and_b32_e32 v14, 0xffff, v1
.LBB15_1187:
	s_mov_b32 s15, 0
.LBB15_1188:
	s_delay_alu instid0(SALU_CYCLE_1)
	s_and_not1_b32 vcc_lo, exec_lo, s15
	s_cbranch_vccnz .LBB15_1194
; %bb.1189:
	global_load_u8 v1, v[12:13], off
	s_mov_b32 s17, 0
	s_mov_b32 s15, exec_lo
	s_wait_loadcnt 0x0
	v_cmpx_lt_i16_e32 0x7f, v1
	s_xor_b32 s15, exec_lo, s15
	s_cbranch_execz .LBB15_1206
; %bb.1190:
	v_cmp_ne_u16_e32 vcc_lo, 0x80, v1
	s_and_b32 s17, vcc_lo, exec_lo
	s_and_not1_saveexec_b32 s15, s15
	s_cbranch_execnz .LBB15_1207
.LBB15_1191:
	s_or_b32 exec_lo, exec_lo, s15
	v_mov_b64_e32 v[14:15], 0
	s_and_saveexec_b32 s15, s17
	s_cbranch_execz .LBB15_1193
.LBB15_1192:
	v_and_b32_e32 v3, 0xffff, v1
	s_delay_alu instid0(VALU_DEP_1) | instskip(SKIP_1) | instid1(VALU_DEP_2)
	v_dual_lshlrev_b32 v1, 24, v1 :: v_dual_bitop2_b32 v5, 7, v3 bitop3:0x40
	v_bfe_u32 v11, v3, 3, 4
	v_and_b32_e32 v1, 0x80000000, v1
	s_delay_alu instid0(VALU_DEP_3) | instskip(NEXT) | instid1(VALU_DEP_3)
	v_clz_i32_u32_e32 v7, v5
	v_cmp_eq_u32_e32 vcc_lo, 0, v11
	s_delay_alu instid0(VALU_DEP_2) | instskip(NEXT) | instid1(VALU_DEP_1)
	v_min_u32_e32 v7, 32, v7
	v_subrev_nc_u32_e32 v9, 28, v7
	v_sub_nc_u32_e32 v7, 29, v7
	s_delay_alu instid0(VALU_DEP_2) | instskip(NEXT) | instid1(VALU_DEP_2)
	v_lshlrev_b32_e32 v3, v9, v3
	v_cndmask_b32_e32 v7, v11, v7, vcc_lo
	s_delay_alu instid0(VALU_DEP_2) | instskip(NEXT) | instid1(VALU_DEP_1)
	v_and_b32_e32 v3, 7, v3
	v_cndmask_b32_e32 v3, v5, v3, vcc_lo
	s_delay_alu instid0(VALU_DEP_3) | instskip(NEXT) | instid1(VALU_DEP_2)
	v_lshl_add_u32 v5, v7, 23, 0x3b800000
	v_lshlrev_b32_e32 v3, 20, v3
	s_delay_alu instid0(VALU_DEP_1) | instskip(NEXT) | instid1(VALU_DEP_1)
	v_or3_b32 v1, v1, v5, v3
	v_trunc_f32_e32 v1, v1
	s_delay_alu instid0(VALU_DEP_1) | instskip(SKIP_1) | instid1(VALU_DEP_2)
	v_mul_f32_e64 v3, 0x2f800000, |v1|
	v_ashrrev_i32_e32 v14, 31, v1
	v_floor_f32_e32 v3, v3
	s_delay_alu instid0(VALU_DEP_2) | instskip(NEXT) | instid1(VALU_DEP_2)
	v_mov_b32_e32 v15, v14
	v_fma_f32 v5, 0xcf800000, v3, |v1|
	v_cvt_u32_f32_e32 v1, v3
	s_delay_alu instid0(VALU_DEP_2) | instskip(NEXT) | instid1(VALU_DEP_2)
	v_cvt_u32_f32_e32 v3, v5
	v_xor_b32_e32 v17, v1, v14
	s_delay_alu instid0(VALU_DEP_2) | instskip(NEXT) | instid1(VALU_DEP_1)
	v_xor_b32_e32 v16, v3, v14
	v_sub_nc_u64_e32 v[14:15], v[16:17], v[14:15]
.LBB15_1193:
	s_or_b32 exec_lo, exec_lo, s15
.LBB15_1194:
	s_mov_b32 s17, -1
.LBB15_1195:
	s_mov_b32 s15, 0
.LBB15_1196:
	s_delay_alu instid0(SALU_CYCLE_1)
	s_and_b32 vcc_lo, exec_lo, s15
	s_cbranch_vccz .LBB15_1227
; %bb.1197:
	s_cmp_gt_i32 s19, 22
	s_cbranch_scc0 .LBB15_1205
; %bb.1198:
	s_cmp_lt_i32 s19, 24
	s_cbranch_scc1 .LBB15_1208
; %bb.1199:
	s_cmp_gt_i32 s19, 24
	s_cbranch_scc0 .LBB15_1209
; %bb.1200:
	global_load_u8 v1, v[12:13], off
	s_mov_b32 s15, exec_lo
	s_wait_loadcnt 0x0
	v_cmpx_lt_i16_e32 0x7f, v1
	s_xor_b32 s15, exec_lo, s15
	s_cbranch_execz .LBB15_1221
; %bb.1201:
	v_cmp_ne_u16_e32 vcc_lo, 0x80, v1
	s_and_b32 s16, vcc_lo, exec_lo
	s_and_not1_saveexec_b32 s15, s15
	s_cbranch_execnz .LBB15_1222
.LBB15_1202:
	s_or_b32 exec_lo, exec_lo, s15
	v_mov_b64_e32 v[14:15], 0
	s_and_saveexec_b32 s15, s16
	s_cbranch_execz .LBB15_1204
.LBB15_1203:
	v_and_b32_e32 v3, 0xffff, v1
	s_delay_alu instid0(VALU_DEP_1) | instskip(SKIP_1) | instid1(VALU_DEP_2)
	v_dual_lshlrev_b32 v1, 24, v1 :: v_dual_bitop2_b32 v5, 3, v3 bitop3:0x40
	v_bfe_u32 v11, v3, 2, 5
	v_and_b32_e32 v1, 0x80000000, v1
	s_delay_alu instid0(VALU_DEP_3) | instskip(NEXT) | instid1(VALU_DEP_3)
	v_clz_i32_u32_e32 v7, v5
	v_cmp_eq_u32_e32 vcc_lo, 0, v11
	s_delay_alu instid0(VALU_DEP_2) | instskip(NEXT) | instid1(VALU_DEP_1)
	v_min_u32_e32 v7, 32, v7
	v_subrev_nc_u32_e32 v9, 29, v7
	v_sub_nc_u32_e32 v7, 30, v7
	s_delay_alu instid0(VALU_DEP_2) | instskip(NEXT) | instid1(VALU_DEP_2)
	v_lshlrev_b32_e32 v3, v9, v3
	v_cndmask_b32_e32 v7, v11, v7, vcc_lo
	s_delay_alu instid0(VALU_DEP_2) | instskip(NEXT) | instid1(VALU_DEP_1)
	v_and_b32_e32 v3, 3, v3
	v_cndmask_b32_e32 v3, v5, v3, vcc_lo
	s_delay_alu instid0(VALU_DEP_3) | instskip(NEXT) | instid1(VALU_DEP_2)
	v_lshl_add_u32 v5, v7, 23, 0x37800000
	v_lshlrev_b32_e32 v3, 21, v3
	s_delay_alu instid0(VALU_DEP_1) | instskip(NEXT) | instid1(VALU_DEP_1)
	v_or3_b32 v1, v1, v5, v3
	v_trunc_f32_e32 v1, v1
	s_delay_alu instid0(VALU_DEP_1) | instskip(SKIP_1) | instid1(VALU_DEP_2)
	v_mul_f32_e64 v3, 0x2f800000, |v1|
	v_ashrrev_i32_e32 v14, 31, v1
	v_floor_f32_e32 v3, v3
	s_delay_alu instid0(VALU_DEP_2) | instskip(NEXT) | instid1(VALU_DEP_2)
	v_mov_b32_e32 v15, v14
	v_fma_f32 v5, 0xcf800000, v3, |v1|
	v_cvt_u32_f32_e32 v1, v3
	s_delay_alu instid0(VALU_DEP_2) | instskip(NEXT) | instid1(VALU_DEP_2)
	v_cvt_u32_f32_e32 v3, v5
	v_xor_b32_e32 v17, v1, v14
	s_delay_alu instid0(VALU_DEP_2) | instskip(NEXT) | instid1(VALU_DEP_1)
	v_xor_b32_e32 v16, v3, v14
	v_sub_nc_u64_e32 v[14:15], v[16:17], v[14:15]
.LBB15_1204:
	s_or_b32 exec_lo, exec_lo, s15
	s_mov_b32 s15, 0
	s_branch .LBB15_1210
.LBB15_1205:
	s_mov_b32 s15, -1
                                        ; implicit-def: $vgpr14_vgpr15
	s_branch .LBB15_1216
.LBB15_1206:
	s_and_not1_saveexec_b32 s15, s15
	s_cbranch_execz .LBB15_1191
.LBB15_1207:
	v_cmp_ne_u16_e32 vcc_lo, 0, v1
	s_and_not1_b32 s17, s17, exec_lo
	s_and_b32 s18, vcc_lo, exec_lo
	s_delay_alu instid0(SALU_CYCLE_1)
	s_or_b32 s17, s17, s18
	s_or_b32 exec_lo, exec_lo, s15
	v_mov_b64_e32 v[14:15], 0
	s_and_saveexec_b32 s15, s17
	s_cbranch_execnz .LBB15_1192
	s_branch .LBB15_1193
.LBB15_1208:
	s_mov_b32 s15, -1
                                        ; implicit-def: $vgpr14_vgpr15
	s_branch .LBB15_1213
.LBB15_1209:
	s_mov_b32 s15, -1
                                        ; implicit-def: $vgpr14_vgpr15
.LBB15_1210:
	s_delay_alu instid0(SALU_CYCLE_1)
	s_and_b32 vcc_lo, exec_lo, s15
	s_cbranch_vccz .LBB15_1212
; %bb.1211:
	global_load_u8 v1, v[12:13], off
	s_wait_loadcnt 0x0
	v_lshlrev_b32_e32 v1, 24, v1
	s_delay_alu instid0(VALU_DEP_1) | instskip(NEXT) | instid1(VALU_DEP_1)
	v_and_b32_e32 v3, 0x7f000000, v1
	v_clz_i32_u32_e32 v5, v3
	v_add_nc_u32_e32 v9, 0x1000000, v3
	v_cmp_ne_u32_e32 vcc_lo, 0, v3
	s_delay_alu instid0(VALU_DEP_3) | instskip(NEXT) | instid1(VALU_DEP_1)
	v_min_u32_e32 v5, 32, v5
	v_sub_nc_u32_e64 v5, v5, 4 clamp
	s_delay_alu instid0(VALU_DEP_1) | instskip(NEXT) | instid1(VALU_DEP_1)
	v_dual_lshlrev_b32 v7, v5, v3 :: v_dual_lshlrev_b32 v5, 23, v5
	v_lshrrev_b32_e32 v7, 4, v7
	s_delay_alu instid0(VALU_DEP_1) | instskip(SKIP_1) | instid1(VALU_DEP_2)
	v_sub_nc_u32_e32 v5, v7, v5
	v_ashrrev_i32_e32 v7, 8, v9
	v_add_nc_u32_e32 v5, 0x3c000000, v5
	s_delay_alu instid0(VALU_DEP_1) | instskip(NEXT) | instid1(VALU_DEP_1)
	v_and_or_b32 v5, 0x7f800000, v7, v5
	v_cndmask_b32_e32 v3, 0, v5, vcc_lo
	s_delay_alu instid0(VALU_DEP_1) | instskip(NEXT) | instid1(VALU_DEP_1)
	v_and_or_b32 v1, 0x80000000, v1, v3
	v_trunc_f32_e32 v1, v1
	s_delay_alu instid0(VALU_DEP_1) | instskip(SKIP_1) | instid1(VALU_DEP_2)
	v_mul_f32_e64 v3, 0x2f800000, |v1|
	v_ashrrev_i32_e32 v14, 31, v1
	v_floor_f32_e32 v3, v3
	s_delay_alu instid0(VALU_DEP_2) | instskip(NEXT) | instid1(VALU_DEP_2)
	v_mov_b32_e32 v15, v14
	v_fma_f32 v5, 0xcf800000, v3, |v1|
	v_cvt_u32_f32_e32 v1, v3
	s_delay_alu instid0(VALU_DEP_2) | instskip(NEXT) | instid1(VALU_DEP_2)
	v_cvt_u32_f32_e32 v3, v5
	v_xor_b32_e32 v17, v1, v14
	s_delay_alu instid0(VALU_DEP_2) | instskip(NEXT) | instid1(VALU_DEP_1)
	v_xor_b32_e32 v16, v3, v14
	v_sub_nc_u64_e32 v[14:15], v[16:17], v[14:15]
.LBB15_1212:
	s_mov_b32 s15, 0
.LBB15_1213:
	s_delay_alu instid0(SALU_CYCLE_1)
	s_and_not1_b32 vcc_lo, exec_lo, s15
	s_cbranch_vccnz .LBB15_1215
; %bb.1214:
	global_load_u8 v1, v[12:13], off
	s_wait_loadcnt 0x0
	v_lshlrev_b32_e32 v3, 25, v1
	v_lshlrev_b16 v1, 8, v1
	s_delay_alu instid0(VALU_DEP_1) | instskip(SKIP_1) | instid1(VALU_DEP_2)
	v_and_or_b32 v7, 0x7f00, v1, 0.5
	v_bfe_i32 v1, v1, 0, 16
	v_add_f32_e32 v7, -0.5, v7
	v_lshrrev_b32_e32 v5, 4, v3
	v_cmp_gt_u32_e32 vcc_lo, 0x8000000, v3
	s_delay_alu instid0(VALU_DEP_2) | instskip(NEXT) | instid1(VALU_DEP_1)
	v_or_b32_e32 v5, 0x70000000, v5
	v_mul_f32_e32 v5, 0x7800000, v5
	s_delay_alu instid0(VALU_DEP_1) | instskip(NEXT) | instid1(VALU_DEP_1)
	v_cndmask_b32_e32 v3, v5, v7, vcc_lo
	v_and_or_b32 v1, 0x80000000, v1, v3
	s_delay_alu instid0(VALU_DEP_1) | instskip(NEXT) | instid1(VALU_DEP_1)
	v_trunc_f32_e32 v1, v1
	v_mul_f32_e64 v3, 0x2f800000, |v1|
	v_ashrrev_i32_e32 v14, 31, v1
	s_delay_alu instid0(VALU_DEP_2) | instskip(NEXT) | instid1(VALU_DEP_2)
	v_floor_f32_e32 v3, v3
	v_mov_b32_e32 v15, v14
	s_delay_alu instid0(VALU_DEP_2) | instskip(SKIP_1) | instid1(VALU_DEP_2)
	v_fma_f32 v5, 0xcf800000, v3, |v1|
	v_cvt_u32_f32_e32 v1, v3
	v_cvt_u32_f32_e32 v3, v5
	s_delay_alu instid0(VALU_DEP_2) | instskip(NEXT) | instid1(VALU_DEP_2)
	v_xor_b32_e32 v17, v1, v14
	v_xor_b32_e32 v16, v3, v14
	s_delay_alu instid0(VALU_DEP_1)
	v_sub_nc_u64_e32 v[14:15], v[16:17], v[14:15]
.LBB15_1215:
	s_mov_b32 s15, 0
	s_mov_b32 s17, -1
.LBB15_1216:
	s_and_not1_b32 vcc_lo, exec_lo, s15
	s_mov_b32 s16, 0
	s_cbranch_vccnz .LBB15_1227
; %bb.1217:
	s_cmp_gt_i32 s19, 14
	s_cbranch_scc0 .LBB15_1220
; %bb.1218:
	s_cmp_eq_u32 s19, 15
	s_cbranch_scc0 .LBB15_1223
; %bb.1219:
	global_load_u16 v1, v[12:13], off
	s_mov_b32 s0, 0
	s_mov_b32 s17, -1
	s_wait_loadcnt 0x0
	v_lshlrev_b32_e32 v1, 16, v1
	s_delay_alu instid0(VALU_DEP_1) | instskip(NEXT) | instid1(VALU_DEP_1)
	v_trunc_f32_e32 v1, v1
	v_mul_f32_e64 v3, 0x2f800000, |v1|
	v_ashrrev_i32_e32 v14, 31, v1
	s_delay_alu instid0(VALU_DEP_2) | instskip(NEXT) | instid1(VALU_DEP_2)
	v_floor_f32_e32 v3, v3
	v_mov_b32_e32 v15, v14
	s_delay_alu instid0(VALU_DEP_2) | instskip(SKIP_1) | instid1(VALU_DEP_2)
	v_fma_f32 v5, 0xcf800000, v3, |v1|
	v_cvt_u32_f32_e32 v1, v3
	v_cvt_u32_f32_e32 v3, v5
	s_delay_alu instid0(VALU_DEP_2) | instskip(NEXT) | instid1(VALU_DEP_2)
	v_xor_b32_e32 v17, v1, v14
	v_xor_b32_e32 v16, v3, v14
	s_delay_alu instid0(VALU_DEP_1)
	v_sub_nc_u64_e32 v[14:15], v[16:17], v[14:15]
	s_branch .LBB15_1224
.LBB15_1220:
	s_mov_b32 s15, -1
                                        ; implicit-def: $vgpr14_vgpr15
	s_branch .LBB15_1225
.LBB15_1221:
	s_and_not1_saveexec_b32 s15, s15
	s_cbranch_execz .LBB15_1202
.LBB15_1222:
	v_cmp_ne_u16_e32 vcc_lo, 0, v1
	s_and_not1_b32 s16, s16, exec_lo
	s_and_b32 s17, vcc_lo, exec_lo
	s_delay_alu instid0(SALU_CYCLE_1)
	s_or_b32 s16, s16, s17
	s_or_b32 exec_lo, exec_lo, s15
	v_mov_b64_e32 v[14:15], 0
	s_and_saveexec_b32 s15, s16
	s_cbranch_execnz .LBB15_1203
	s_branch .LBB15_1204
.LBB15_1223:
	s_mov_b32 s0, -1
                                        ; implicit-def: $vgpr14_vgpr15
.LBB15_1224:
	s_mov_b32 s15, 0
.LBB15_1225:
	s_delay_alu instid0(SALU_CYCLE_1)
	s_and_b32 vcc_lo, exec_lo, s15
	s_cbranch_vccz .LBB15_1227
; %bb.1226:
	s_cmp_lg_u32 s19, 11
	s_mov_b32 s16, -1
	s_cselect_b32 s0, -1, 0
.LBB15_1227:
	s_delay_alu instid0(SALU_CYCLE_1)
	s_and_b32 vcc_lo, exec_lo, s0
	s_mov_b32 s15, s1
	s_cbranch_vccnz .LBB15_1280
; %bb.1228:
	s_and_not1_b32 vcc_lo, exec_lo, s16
	s_cbranch_vccnz .LBB15_1230
.LBB15_1229:
	global_load_u8 v1, v[12:13], off
	s_mov_b32 s0, 0
	s_mov_b32 s17, -1
	s_wait_loadcnt 0x1
	v_mov_b32_e32 v15, s0
	s_wait_loadcnt 0x0
	v_cmp_ne_u16_e32 vcc_lo, 0, v1
	v_cndmask_b32_e64 v14, 0, 1, vcc_lo
.LBB15_1230:
	s_branch .LBB15_1040
.LBB15_1231:
	s_cmp_lt_i32 s19, 5
	s_cbranch_scc1 .LBB15_1236
; %bb.1232:
	s_cmp_lt_i32 s19, 8
	s_cbranch_scc1 .LBB15_1237
; %bb.1233:
	;; [unrolled: 3-line block ×3, first 2 shown]
	s_cmp_gt_i32 s19, 9
	s_cbranch_scc0 .LBB15_1239
; %bb.1235:
	s_wait_loadcnt 0x0
	global_load_b64 v[14:15], v[12:13], off
	s_mov_b32 s0, 0
	s_wait_loadcnt 0x0
	v_trunc_f64_e32 v[14:15], v[14:15]
	s_delay_alu instid0(VALU_DEP_1) | instskip(NEXT) | instid1(VALU_DEP_1)
	v_ldexp_f64 v[16:17], v[14:15], 0xffffffe0
	v_floor_f64_e32 v[16:17], v[16:17]
	s_delay_alu instid0(VALU_DEP_1) | instskip(SKIP_1) | instid1(VALU_DEP_2)
	v_fmamk_f64 v[18:19], v[16:17], 0xc1f00000, v[14:15]
	v_cvt_i32_f64_e32 v15, v[16:17]
	v_cvt_u32_f64_e32 v14, v[18:19]
	s_branch .LBB15_1240
.LBB15_1236:
	s_mov_b32 s0, -1
                                        ; implicit-def: $vgpr14_vgpr15
	s_branch .LBB15_1258
.LBB15_1237:
	s_mov_b32 s0, -1
                                        ; implicit-def: $vgpr14_vgpr15
	s_branch .LBB15_1246
.LBB15_1238:
	s_mov_b32 s0, -1
                                        ; implicit-def: $vgpr14_vgpr15
	s_branch .LBB15_1243
.LBB15_1239:
	s_mov_b32 s0, -1
                                        ; implicit-def: $vgpr14_vgpr15
.LBB15_1240:
	s_delay_alu instid0(SALU_CYCLE_1)
	s_and_not1_b32 vcc_lo, exec_lo, s0
	s_cbranch_vccnz .LBB15_1242
; %bb.1241:
	global_load_b32 v1, v[12:13], off
	s_wait_loadcnt 0x0
	v_trunc_f32_e32 v1, v1
	s_delay_alu instid0(VALU_DEP_1) | instskip(SKIP_1) | instid1(VALU_DEP_2)
	v_mul_f32_e64 v3, 0x2f800000, |v1|
	v_ashrrev_i32_e32 v14, 31, v1
	v_floor_f32_e32 v3, v3
	s_delay_alu instid0(VALU_DEP_1) | instskip(SKIP_1) | instid1(VALU_DEP_4)
	v_fma_f32 v5, 0xcf800000, v3, |v1|
	v_cvt_u32_f32_e32 v1, v3
	v_mov_b32_e32 v15, v14
	s_delay_alu instid0(VALU_DEP_3) | instskip(NEXT) | instid1(VALU_DEP_3)
	v_cvt_u32_f32_e32 v3, v5
	v_xor_b32_e32 v17, v1, v14
	s_delay_alu instid0(VALU_DEP_2) | instskip(NEXT) | instid1(VALU_DEP_1)
	v_xor_b32_e32 v16, v3, v14
	v_sub_nc_u64_e32 v[14:15], v[16:17], v[14:15]
.LBB15_1242:
	s_mov_b32 s0, 0
.LBB15_1243:
	s_delay_alu instid0(SALU_CYCLE_1)
	s_and_not1_b32 vcc_lo, exec_lo, s0
	s_cbranch_vccnz .LBB15_1245
; %bb.1244:
	global_load_b32 v1, v[12:13], off
	s_wait_loadcnt 0x0
	v_cvt_f32_f16_e32 v1, v1
	s_delay_alu instid0(VALU_DEP_1) | instskip(NEXT) | instid1(VALU_DEP_1)
	v_cvt_i32_f32_e32 v14, v1
	v_ashrrev_i32_e32 v15, 31, v14
.LBB15_1245:
	s_mov_b32 s0, 0
.LBB15_1246:
	s_delay_alu instid0(SALU_CYCLE_1)
	s_and_not1_b32 vcc_lo, exec_lo, s0
	s_cbranch_vccnz .LBB15_1257
; %bb.1247:
	s_cmp_lt_i32 s19, 6
	s_cbranch_scc1 .LBB15_1250
; %bb.1248:
	s_cmp_gt_i32 s19, 6
	s_cbranch_scc0 .LBB15_1251
; %bb.1249:
	s_wait_loadcnt 0x0
	global_load_b64 v[14:15], v[12:13], off
	s_mov_b32 s0, 0
	s_wait_loadcnt 0x0
	v_trunc_f64_e32 v[14:15], v[14:15]
	s_delay_alu instid0(VALU_DEP_1) | instskip(NEXT) | instid1(VALU_DEP_1)
	v_ldexp_f64 v[16:17], v[14:15], 0xffffffe0
	v_floor_f64_e32 v[16:17], v[16:17]
	s_delay_alu instid0(VALU_DEP_1) | instskip(SKIP_1) | instid1(VALU_DEP_2)
	v_fmamk_f64 v[18:19], v[16:17], 0xc1f00000, v[14:15]
	v_cvt_i32_f64_e32 v15, v[16:17]
	v_cvt_u32_f64_e32 v14, v[18:19]
	s_branch .LBB15_1252
.LBB15_1250:
	s_mov_b32 s0, -1
                                        ; implicit-def: $vgpr14_vgpr15
	s_branch .LBB15_1255
.LBB15_1251:
	s_mov_b32 s0, -1
                                        ; implicit-def: $vgpr14_vgpr15
.LBB15_1252:
	s_delay_alu instid0(SALU_CYCLE_1)
	s_and_not1_b32 vcc_lo, exec_lo, s0
	s_cbranch_vccnz .LBB15_1254
; %bb.1253:
	global_load_b32 v1, v[12:13], off
	s_wait_loadcnt 0x0
	v_trunc_f32_e32 v1, v1
	s_delay_alu instid0(VALU_DEP_1) | instskip(SKIP_1) | instid1(VALU_DEP_2)
	v_mul_f32_e64 v3, 0x2f800000, |v1|
	v_ashrrev_i32_e32 v14, 31, v1
	v_floor_f32_e32 v3, v3
	s_delay_alu instid0(VALU_DEP_1) | instskip(SKIP_1) | instid1(VALU_DEP_4)
	v_fma_f32 v5, 0xcf800000, v3, |v1|
	v_cvt_u32_f32_e32 v1, v3
	v_mov_b32_e32 v15, v14
	s_delay_alu instid0(VALU_DEP_3) | instskip(NEXT) | instid1(VALU_DEP_3)
	v_cvt_u32_f32_e32 v3, v5
	v_xor_b32_e32 v17, v1, v14
	s_delay_alu instid0(VALU_DEP_2) | instskip(NEXT) | instid1(VALU_DEP_1)
	v_xor_b32_e32 v16, v3, v14
	v_sub_nc_u64_e32 v[14:15], v[16:17], v[14:15]
.LBB15_1254:
	s_mov_b32 s0, 0
.LBB15_1255:
	s_delay_alu instid0(SALU_CYCLE_1)
	s_and_not1_b32 vcc_lo, exec_lo, s0
	s_cbranch_vccnz .LBB15_1257
; %bb.1256:
	global_load_u16 v1, v[12:13], off
	s_wait_loadcnt 0x0
	v_cvt_f32_f16_e32 v1, v1
	s_delay_alu instid0(VALU_DEP_1) | instskip(NEXT) | instid1(VALU_DEP_1)
	v_cvt_i32_f32_e32 v14, v1
	v_ashrrev_i32_e32 v15, 31, v14
.LBB15_1257:
	s_mov_b32 s0, 0
.LBB15_1258:
	s_delay_alu instid0(SALU_CYCLE_1)
	s_and_not1_b32 vcc_lo, exec_lo, s0
	s_cbranch_vccnz .LBB15_1278
; %bb.1259:
	s_cmp_lt_i32 s19, 2
	s_cbranch_scc1 .LBB15_1263
; %bb.1260:
	s_cmp_lt_i32 s19, 3
	s_cbranch_scc1 .LBB15_1264
; %bb.1261:
	s_cmp_gt_i32 s19, 3
	s_cbranch_scc0 .LBB15_1265
; %bb.1262:
	s_wait_loadcnt 0x0
	global_load_b64 v[14:15], v[12:13], off
	s_mov_b32 s0, 0
	s_branch .LBB15_1266
.LBB15_1263:
	s_mov_b32 s0, -1
                                        ; implicit-def: $vgpr14_vgpr15
	s_branch .LBB15_1272
.LBB15_1264:
	s_mov_b32 s0, -1
                                        ; implicit-def: $vgpr14_vgpr15
	s_branch .LBB15_1269
.LBB15_1265:
	s_mov_b32 s0, -1
                                        ; implicit-def: $vgpr14_vgpr15
.LBB15_1266:
	s_delay_alu instid0(SALU_CYCLE_1)
	s_and_not1_b32 vcc_lo, exec_lo, s0
	s_cbranch_vccnz .LBB15_1268
; %bb.1267:
	s_wait_loadcnt 0x0
	global_load_b32 v14, v[12:13], off
	s_wait_loadcnt 0x0
	v_ashrrev_i32_e32 v15, 31, v14
.LBB15_1268:
	s_mov_b32 s0, 0
.LBB15_1269:
	s_delay_alu instid0(SALU_CYCLE_1)
	s_and_not1_b32 vcc_lo, exec_lo, s0
	s_cbranch_vccnz .LBB15_1271
; %bb.1270:
	global_load_u16 v1, v[12:13], off
	s_wait_loadcnt 0x0
	v_bfe_i32 v14, v1, 0, 16
	s_delay_alu instid0(VALU_DEP_1)
	v_ashrrev_i32_e32 v15, 31, v14
.LBB15_1271:
	s_mov_b32 s0, 0
.LBB15_1272:
	s_delay_alu instid0(SALU_CYCLE_1)
	s_and_not1_b32 vcc_lo, exec_lo, s0
	s_cbranch_vccnz .LBB15_1278
; %bb.1273:
	s_cmp_gt_i32 s19, 0
	s_mov_b32 s0, 0
	s_cbranch_scc0 .LBB15_1275
; %bb.1274:
	global_load_i8 v1, v[12:13], off
	s_wait_loadcnt 0x0
	v_bfe_i32 v14, v1, 0, 16
	s_delay_alu instid0(VALU_DEP_1)
	v_ashrrev_i32_e32 v15, 31, v14
	s_branch .LBB15_1276
.LBB15_1275:
	s_mov_b32 s0, -1
                                        ; implicit-def: $vgpr14_vgpr15
.LBB15_1276:
	s_delay_alu instid0(SALU_CYCLE_1)
	s_and_not1_b32 vcc_lo, exec_lo, s0
	s_cbranch_vccnz .LBB15_1278
; %bb.1277:
	global_load_u8 v1, v[12:13], off
	s_mov_b32 s0, 0
	s_wait_loadcnt 0x1
	v_mov_b32_e32 v15, s0
	s_wait_loadcnt 0x0
	v_and_b32_e32 v14, 0xffff, v1
.LBB15_1278:
	s_branch .LBB15_1041
.LBB15_1279:
	s_mov_b32 s17, 0
	s_mov_b32 s18, 0
                                        ; implicit-def: $vgpr14_vgpr15
                                        ; implicit-def: $sgpr0
	s_branch .LBB15_1850
.LBB15_1280:
	s_or_b32 s15, s1, exec_lo
	s_trap 2
	s_cbranch_execz .LBB15_1229
	s_branch .LBB15_1230
.LBB15_1281:
	s_mov_b32 s17, -1
	s_mov_b32 s20, 0
	s_mov_b32 s0, 0
	s_branch .LBB15_1283
.LBB15_1282:
	s_mov_b32 s0, -1
	s_mov_b32 s20, 0
.LBB15_1283:
                                        ; implicit-def: $vgpr12_vgpr13
.LBB15_1284:
	s_and_b32 vcc_lo, exec_lo, s17
	s_cbranch_vccz .LBB15_1288
; %bb.1285:
	s_cmp_eq_u32 s19, 44
	s_cbranch_scc0 .LBB15_1287
; %bb.1286:
	global_load_u8 v1, v[10:11], off
	s_mov_b32 s0, 0
	s_mov_b32 s20, -1
	s_wait_loadcnt 0x0
	v_lshlrev_b32_e32 v3, 23, v1
	v_cmp_ne_u32_e32 vcc_lo, 0, v1
	s_delay_alu instid0(VALU_DEP_2) | instskip(NEXT) | instid1(VALU_DEP_1)
	v_trunc_f32_e32 v3, v3
	v_mul_f32_e64 v5, 0x2f800000, |v3|
	v_ashrrev_i32_e32 v12, 31, v3
	s_delay_alu instid0(VALU_DEP_2) | instskip(NEXT) | instid1(VALU_DEP_2)
	v_floor_f32_e32 v5, v5
	v_mov_b32_e32 v13, v12
	s_delay_alu instid0(VALU_DEP_2) | instskip(SKIP_1) | instid1(VALU_DEP_2)
	v_fma_f32 v7, 0xcf800000, v5, |v3|
	v_cvt_u32_f32_e32 v3, v5
	v_cvt_u32_f32_e32 v5, v7
	s_delay_alu instid0(VALU_DEP_2) | instskip(NEXT) | instid1(VALU_DEP_2)
	v_xor_b32_e32 v15, v3, v12
	v_xor_b32_e32 v14, v5, v12
	s_delay_alu instid0(VALU_DEP_1) | instskip(NEXT) | instid1(VALU_DEP_1)
	v_sub_nc_u64_e32 v[12:13], v[14:15], v[12:13]
	v_dual_cndmask_b32 v13, 0, v13 :: v_dual_cndmask_b32 v12, 0, v12
	s_branch .LBB15_1288
.LBB15_1287:
	s_mov_b32 s0, -1
                                        ; implicit-def: $vgpr12_vgpr13
.LBB15_1288:
	s_mov_b32 s17, 0
.LBB15_1289:
	s_delay_alu instid0(SALU_CYCLE_1)
	s_and_b32 vcc_lo, exec_lo, s17
	s_cbranch_vccz .LBB15_1293
; %bb.1290:
	s_cmp_eq_u32 s19, 29
	s_cbranch_scc0 .LBB15_1292
; %bb.1291:
	global_load_b64 v[12:13], v[10:11], off
	s_mov_b32 s0, 0
	s_mov_b32 s20, -1
	s_branch .LBB15_1293
.LBB15_1292:
	s_mov_b32 s0, -1
                                        ; implicit-def: $vgpr12_vgpr13
.LBB15_1293:
	s_mov_b32 s17, 0
.LBB15_1294:
	s_delay_alu instid0(SALU_CYCLE_1)
	s_and_b32 vcc_lo, exec_lo, s17
	s_cbranch_vccz .LBB15_1310
; %bb.1295:
	s_cmp_lt_i32 s19, 27
	s_cbranch_scc1 .LBB15_1298
; %bb.1296:
	s_cmp_gt_i32 s19, 27
	s_cbranch_scc0 .LBB15_1299
; %bb.1297:
	s_wait_loadcnt 0x0
	global_load_b32 v12, v[10:11], off
	v_mov_b32_e32 v13, 0
	s_mov_b32 s17, 0
	s_branch .LBB15_1300
.LBB15_1298:
	s_mov_b32 s17, -1
                                        ; implicit-def: $vgpr12_vgpr13
	s_branch .LBB15_1303
.LBB15_1299:
	s_mov_b32 s17, -1
                                        ; implicit-def: $vgpr12_vgpr13
.LBB15_1300:
	s_delay_alu instid0(SALU_CYCLE_1)
	s_and_not1_b32 vcc_lo, exec_lo, s17
	s_cbranch_vccnz .LBB15_1302
; %bb.1301:
	global_load_u16 v1, v[10:11], off
	s_mov_b32 s17, 0
	s_wait_loadcnt 0x1
	v_mov_b32_e32 v13, s17
	s_wait_loadcnt 0x0
	v_and_b32_e32 v12, 0xffff, v1
.LBB15_1302:
	s_mov_b32 s17, 0
.LBB15_1303:
	s_delay_alu instid0(SALU_CYCLE_1)
	s_and_not1_b32 vcc_lo, exec_lo, s17
	s_cbranch_vccnz .LBB15_1309
; %bb.1304:
	global_load_u8 v1, v[10:11], off
	s_mov_b32 s20, 0
	s_mov_b32 s17, exec_lo
	s_wait_loadcnt 0x0
	v_cmpx_lt_i16_e32 0x7f, v1
	s_xor_b32 s17, exec_lo, s17
	s_cbranch_execz .LBB15_1321
; %bb.1305:
	v_cmp_ne_u16_e32 vcc_lo, 0x80, v1
	s_and_b32 s20, vcc_lo, exec_lo
	s_and_not1_saveexec_b32 s17, s17
	s_cbranch_execnz .LBB15_1322
.LBB15_1306:
	s_or_b32 exec_lo, exec_lo, s17
	v_mov_b64_e32 v[12:13], 0
	s_and_saveexec_b32 s17, s20
	s_cbranch_execz .LBB15_1308
.LBB15_1307:
	v_and_b32_e32 v3, 0xffff, v1
	s_delay_alu instid0(VALU_DEP_1) | instskip(SKIP_1) | instid1(VALU_DEP_2)
	v_dual_lshlrev_b32 v1, 24, v1 :: v_dual_bitop2_b32 v5, 7, v3 bitop3:0x40
	v_bfe_u32 v12, v3, 3, 4
	v_and_b32_e32 v1, 0x80000000, v1
	s_delay_alu instid0(VALU_DEP_3) | instskip(NEXT) | instid1(VALU_DEP_3)
	v_clz_i32_u32_e32 v7, v5
	v_cmp_eq_u32_e32 vcc_lo, 0, v12
	s_delay_alu instid0(VALU_DEP_2) | instskip(NEXT) | instid1(VALU_DEP_1)
	v_min_u32_e32 v7, 32, v7
	v_subrev_nc_u32_e32 v9, 28, v7
	v_sub_nc_u32_e32 v7, 29, v7
	s_delay_alu instid0(VALU_DEP_2) | instskip(NEXT) | instid1(VALU_DEP_2)
	v_lshlrev_b32_e32 v3, v9, v3
	v_cndmask_b32_e32 v7, v12, v7, vcc_lo
	s_delay_alu instid0(VALU_DEP_2) | instskip(NEXT) | instid1(VALU_DEP_1)
	v_and_b32_e32 v3, 7, v3
	v_cndmask_b32_e32 v3, v5, v3, vcc_lo
	s_delay_alu instid0(VALU_DEP_3) | instskip(NEXT) | instid1(VALU_DEP_2)
	v_lshl_add_u32 v5, v7, 23, 0x3b800000
	v_lshlrev_b32_e32 v3, 20, v3
	s_delay_alu instid0(VALU_DEP_1) | instskip(NEXT) | instid1(VALU_DEP_1)
	v_or3_b32 v1, v1, v5, v3
	v_trunc_f32_e32 v1, v1
	s_delay_alu instid0(VALU_DEP_1) | instskip(SKIP_1) | instid1(VALU_DEP_2)
	v_mul_f32_e64 v3, 0x2f800000, |v1|
	v_ashrrev_i32_e32 v12, 31, v1
	v_floor_f32_e32 v3, v3
	s_delay_alu instid0(VALU_DEP_2) | instskip(NEXT) | instid1(VALU_DEP_2)
	v_mov_b32_e32 v13, v12
	v_fma_f32 v5, 0xcf800000, v3, |v1|
	v_cvt_u32_f32_e32 v1, v3
	s_delay_alu instid0(VALU_DEP_2) | instskip(NEXT) | instid1(VALU_DEP_2)
	v_cvt_u32_f32_e32 v3, v5
	v_xor_b32_e32 v15, v1, v12
	s_delay_alu instid0(VALU_DEP_2) | instskip(NEXT) | instid1(VALU_DEP_1)
	v_xor_b32_e32 v14, v3, v12
	v_sub_nc_u64_e32 v[12:13], v[14:15], v[12:13]
.LBB15_1308:
	s_or_b32 exec_lo, exec_lo, s17
.LBB15_1309:
	s_mov_b32 s20, -1
.LBB15_1310:
	s_mov_b32 s17, 0
.LBB15_1311:
	s_delay_alu instid0(SALU_CYCLE_1)
	s_and_b32 vcc_lo, exec_lo, s17
	s_cbranch_vccz .LBB15_1342
; %bb.1312:
	s_cmp_gt_i32 s19, 22
	s_cbranch_scc0 .LBB15_1320
; %bb.1313:
	s_cmp_lt_i32 s19, 24
	s_cbranch_scc1 .LBB15_1323
; %bb.1314:
	s_cmp_gt_i32 s19, 24
	s_cbranch_scc0 .LBB15_1324
; %bb.1315:
	global_load_u8 v1, v[10:11], off
	s_mov_b32 s17, exec_lo
	s_wait_loadcnt 0x0
	v_cmpx_lt_i16_e32 0x7f, v1
	s_xor_b32 s17, exec_lo, s17
	s_cbranch_execz .LBB15_1336
; %bb.1316:
	v_cmp_ne_u16_e32 vcc_lo, 0x80, v1
	s_and_b32 s18, vcc_lo, exec_lo
	s_and_not1_saveexec_b32 s17, s17
	s_cbranch_execnz .LBB15_1337
.LBB15_1317:
	s_or_b32 exec_lo, exec_lo, s17
	v_mov_b64_e32 v[12:13], 0
	s_and_saveexec_b32 s17, s18
	s_cbranch_execz .LBB15_1319
.LBB15_1318:
	v_and_b32_e32 v3, 0xffff, v1
	s_delay_alu instid0(VALU_DEP_1) | instskip(SKIP_1) | instid1(VALU_DEP_2)
	v_dual_lshlrev_b32 v1, 24, v1 :: v_dual_bitop2_b32 v5, 3, v3 bitop3:0x40
	v_bfe_u32 v12, v3, 2, 5
	v_and_b32_e32 v1, 0x80000000, v1
	s_delay_alu instid0(VALU_DEP_3) | instskip(NEXT) | instid1(VALU_DEP_3)
	v_clz_i32_u32_e32 v7, v5
	v_cmp_eq_u32_e32 vcc_lo, 0, v12
	s_delay_alu instid0(VALU_DEP_2) | instskip(NEXT) | instid1(VALU_DEP_1)
	v_min_u32_e32 v7, 32, v7
	v_subrev_nc_u32_e32 v9, 29, v7
	v_sub_nc_u32_e32 v7, 30, v7
	s_delay_alu instid0(VALU_DEP_2) | instskip(NEXT) | instid1(VALU_DEP_2)
	v_lshlrev_b32_e32 v3, v9, v3
	v_cndmask_b32_e32 v7, v12, v7, vcc_lo
	s_delay_alu instid0(VALU_DEP_2) | instskip(NEXT) | instid1(VALU_DEP_1)
	v_and_b32_e32 v3, 3, v3
	v_cndmask_b32_e32 v3, v5, v3, vcc_lo
	s_delay_alu instid0(VALU_DEP_3) | instskip(NEXT) | instid1(VALU_DEP_2)
	v_lshl_add_u32 v5, v7, 23, 0x37800000
	v_lshlrev_b32_e32 v3, 21, v3
	s_delay_alu instid0(VALU_DEP_1) | instskip(NEXT) | instid1(VALU_DEP_1)
	v_or3_b32 v1, v1, v5, v3
	v_trunc_f32_e32 v1, v1
	s_delay_alu instid0(VALU_DEP_1) | instskip(SKIP_1) | instid1(VALU_DEP_2)
	v_mul_f32_e64 v3, 0x2f800000, |v1|
	v_ashrrev_i32_e32 v12, 31, v1
	v_floor_f32_e32 v3, v3
	s_delay_alu instid0(VALU_DEP_2) | instskip(NEXT) | instid1(VALU_DEP_2)
	v_mov_b32_e32 v13, v12
	v_fma_f32 v5, 0xcf800000, v3, |v1|
	v_cvt_u32_f32_e32 v1, v3
	s_delay_alu instid0(VALU_DEP_2) | instskip(NEXT) | instid1(VALU_DEP_2)
	v_cvt_u32_f32_e32 v3, v5
	v_xor_b32_e32 v15, v1, v12
	s_delay_alu instid0(VALU_DEP_2) | instskip(NEXT) | instid1(VALU_DEP_1)
	v_xor_b32_e32 v14, v3, v12
	v_sub_nc_u64_e32 v[12:13], v[14:15], v[12:13]
.LBB15_1319:
	s_or_b32 exec_lo, exec_lo, s17
	s_mov_b32 s17, 0
	s_branch .LBB15_1325
.LBB15_1320:
	s_mov_b32 s17, -1
                                        ; implicit-def: $vgpr12_vgpr13
	s_branch .LBB15_1331
.LBB15_1321:
	s_and_not1_saveexec_b32 s17, s17
	s_cbranch_execz .LBB15_1306
.LBB15_1322:
	v_cmp_ne_u16_e32 vcc_lo, 0, v1
	s_and_not1_b32 s20, s20, exec_lo
	s_and_b32 s21, vcc_lo, exec_lo
	s_delay_alu instid0(SALU_CYCLE_1)
	s_or_b32 s20, s20, s21
	s_or_b32 exec_lo, exec_lo, s17
	v_mov_b64_e32 v[12:13], 0
	s_and_saveexec_b32 s17, s20
	s_cbranch_execnz .LBB15_1307
	s_branch .LBB15_1308
.LBB15_1323:
	s_mov_b32 s17, -1
                                        ; implicit-def: $vgpr12_vgpr13
	s_branch .LBB15_1328
.LBB15_1324:
	s_mov_b32 s17, -1
                                        ; implicit-def: $vgpr12_vgpr13
.LBB15_1325:
	s_delay_alu instid0(SALU_CYCLE_1)
	s_and_b32 vcc_lo, exec_lo, s17
	s_cbranch_vccz .LBB15_1327
; %bb.1326:
	global_load_u8 v1, v[10:11], off
	s_wait_loadcnt 0x0
	v_lshlrev_b32_e32 v1, 24, v1
	s_delay_alu instid0(VALU_DEP_1) | instskip(NEXT) | instid1(VALU_DEP_1)
	v_and_b32_e32 v3, 0x7f000000, v1
	v_clz_i32_u32_e32 v5, v3
	v_add_nc_u32_e32 v9, 0x1000000, v3
	v_cmp_ne_u32_e32 vcc_lo, 0, v3
	s_delay_alu instid0(VALU_DEP_3) | instskip(NEXT) | instid1(VALU_DEP_1)
	v_min_u32_e32 v5, 32, v5
	v_sub_nc_u32_e64 v5, v5, 4 clamp
	s_delay_alu instid0(VALU_DEP_1) | instskip(NEXT) | instid1(VALU_DEP_1)
	v_dual_lshlrev_b32 v7, v5, v3 :: v_dual_lshlrev_b32 v5, 23, v5
	v_lshrrev_b32_e32 v7, 4, v7
	s_delay_alu instid0(VALU_DEP_1) | instskip(SKIP_1) | instid1(VALU_DEP_2)
	v_sub_nc_u32_e32 v5, v7, v5
	v_ashrrev_i32_e32 v7, 8, v9
	v_add_nc_u32_e32 v5, 0x3c000000, v5
	s_delay_alu instid0(VALU_DEP_1) | instskip(NEXT) | instid1(VALU_DEP_1)
	v_and_or_b32 v5, 0x7f800000, v7, v5
	v_cndmask_b32_e32 v3, 0, v5, vcc_lo
	s_delay_alu instid0(VALU_DEP_1) | instskip(NEXT) | instid1(VALU_DEP_1)
	v_and_or_b32 v1, 0x80000000, v1, v3
	v_trunc_f32_e32 v1, v1
	s_delay_alu instid0(VALU_DEP_1) | instskip(SKIP_1) | instid1(VALU_DEP_2)
	v_mul_f32_e64 v3, 0x2f800000, |v1|
	v_ashrrev_i32_e32 v12, 31, v1
	v_floor_f32_e32 v3, v3
	s_delay_alu instid0(VALU_DEP_2) | instskip(NEXT) | instid1(VALU_DEP_2)
	v_mov_b32_e32 v13, v12
	v_fma_f32 v5, 0xcf800000, v3, |v1|
	v_cvt_u32_f32_e32 v1, v3
	s_delay_alu instid0(VALU_DEP_2) | instskip(NEXT) | instid1(VALU_DEP_2)
	v_cvt_u32_f32_e32 v3, v5
	v_xor_b32_e32 v15, v1, v12
	s_delay_alu instid0(VALU_DEP_2) | instskip(NEXT) | instid1(VALU_DEP_1)
	v_xor_b32_e32 v14, v3, v12
	v_sub_nc_u64_e32 v[12:13], v[14:15], v[12:13]
.LBB15_1327:
	s_mov_b32 s17, 0
.LBB15_1328:
	s_delay_alu instid0(SALU_CYCLE_1)
	s_and_not1_b32 vcc_lo, exec_lo, s17
	s_cbranch_vccnz .LBB15_1330
; %bb.1329:
	global_load_u8 v1, v[10:11], off
	s_wait_loadcnt 0x0
	v_lshlrev_b32_e32 v3, 25, v1
	v_lshlrev_b16 v1, 8, v1
	s_delay_alu instid0(VALU_DEP_1) | instskip(SKIP_1) | instid1(VALU_DEP_2)
	v_and_or_b32 v7, 0x7f00, v1, 0.5
	v_bfe_i32 v1, v1, 0, 16
	v_add_f32_e32 v7, -0.5, v7
	v_lshrrev_b32_e32 v5, 4, v3
	v_cmp_gt_u32_e32 vcc_lo, 0x8000000, v3
	s_delay_alu instid0(VALU_DEP_2) | instskip(NEXT) | instid1(VALU_DEP_1)
	v_or_b32_e32 v5, 0x70000000, v5
	v_mul_f32_e32 v5, 0x7800000, v5
	s_delay_alu instid0(VALU_DEP_1) | instskip(NEXT) | instid1(VALU_DEP_1)
	v_cndmask_b32_e32 v3, v5, v7, vcc_lo
	v_and_or_b32 v1, 0x80000000, v1, v3
	s_delay_alu instid0(VALU_DEP_1) | instskip(NEXT) | instid1(VALU_DEP_1)
	v_trunc_f32_e32 v1, v1
	v_mul_f32_e64 v3, 0x2f800000, |v1|
	v_ashrrev_i32_e32 v12, 31, v1
	s_delay_alu instid0(VALU_DEP_2) | instskip(NEXT) | instid1(VALU_DEP_2)
	v_floor_f32_e32 v3, v3
	v_mov_b32_e32 v13, v12
	s_delay_alu instid0(VALU_DEP_2) | instskip(SKIP_1) | instid1(VALU_DEP_2)
	v_fma_f32 v5, 0xcf800000, v3, |v1|
	v_cvt_u32_f32_e32 v1, v3
	v_cvt_u32_f32_e32 v3, v5
	s_delay_alu instid0(VALU_DEP_2) | instskip(NEXT) | instid1(VALU_DEP_2)
	v_xor_b32_e32 v15, v1, v12
	v_xor_b32_e32 v14, v3, v12
	s_delay_alu instid0(VALU_DEP_1)
	v_sub_nc_u64_e32 v[12:13], v[14:15], v[12:13]
.LBB15_1330:
	s_mov_b32 s17, 0
	s_mov_b32 s20, -1
.LBB15_1331:
	s_and_not1_b32 vcc_lo, exec_lo, s17
	s_mov_b32 s18, 0
	s_cbranch_vccnz .LBB15_1342
; %bb.1332:
	s_cmp_gt_i32 s19, 14
	s_cbranch_scc0 .LBB15_1335
; %bb.1333:
	s_cmp_eq_u32 s19, 15
	s_cbranch_scc0 .LBB15_1338
; %bb.1334:
	global_load_u16 v1, v[10:11], off
	s_mov_b32 s0, 0
	s_mov_b32 s20, -1
	s_wait_loadcnt 0x0
	v_lshlrev_b32_e32 v1, 16, v1
	s_delay_alu instid0(VALU_DEP_1) | instskip(NEXT) | instid1(VALU_DEP_1)
	v_trunc_f32_e32 v1, v1
	v_mul_f32_e64 v3, 0x2f800000, |v1|
	v_ashrrev_i32_e32 v12, 31, v1
	s_delay_alu instid0(VALU_DEP_2) | instskip(NEXT) | instid1(VALU_DEP_2)
	v_floor_f32_e32 v3, v3
	v_mov_b32_e32 v13, v12
	s_delay_alu instid0(VALU_DEP_2) | instskip(SKIP_1) | instid1(VALU_DEP_2)
	v_fma_f32 v5, 0xcf800000, v3, |v1|
	v_cvt_u32_f32_e32 v1, v3
	v_cvt_u32_f32_e32 v3, v5
	s_delay_alu instid0(VALU_DEP_2) | instskip(NEXT) | instid1(VALU_DEP_2)
	v_xor_b32_e32 v15, v1, v12
	v_xor_b32_e32 v14, v3, v12
	s_delay_alu instid0(VALU_DEP_1)
	v_sub_nc_u64_e32 v[12:13], v[14:15], v[12:13]
	s_branch .LBB15_1339
.LBB15_1335:
	s_mov_b32 s17, -1
                                        ; implicit-def: $vgpr12_vgpr13
	s_branch .LBB15_1340
.LBB15_1336:
	s_and_not1_saveexec_b32 s17, s17
	s_cbranch_execz .LBB15_1317
.LBB15_1337:
	v_cmp_ne_u16_e32 vcc_lo, 0, v1
	s_and_not1_b32 s18, s18, exec_lo
	s_and_b32 s20, vcc_lo, exec_lo
	s_delay_alu instid0(SALU_CYCLE_1)
	s_or_b32 s18, s18, s20
	s_or_b32 exec_lo, exec_lo, s17
	v_mov_b64_e32 v[12:13], 0
	s_and_saveexec_b32 s17, s18
	s_cbranch_execnz .LBB15_1318
	s_branch .LBB15_1319
.LBB15_1338:
	s_mov_b32 s0, -1
                                        ; implicit-def: $vgpr12_vgpr13
.LBB15_1339:
	s_mov_b32 s17, 0
.LBB15_1340:
	s_delay_alu instid0(SALU_CYCLE_1)
	s_and_b32 vcc_lo, exec_lo, s17
	s_cbranch_vccz .LBB15_1342
; %bb.1341:
	s_cmp_lg_u32 s19, 11
	s_mov_b32 s18, -1
	s_cselect_b32 s0, -1, 0
.LBB15_1342:
	s_delay_alu instid0(SALU_CYCLE_1)
	s_and_b32 vcc_lo, exec_lo, s0
	s_mov_b32 s17, s15
	s_cbranch_vccnz .LBB15_1409
; %bb.1343:
	s_and_not1_b32 vcc_lo, exec_lo, s18
	s_cbranch_vccnz .LBB15_1345
.LBB15_1344:
	global_load_u8 v1, v[10:11], off
	s_mov_b32 s0, 0
	s_mov_b32 s20, -1
	s_wait_loadcnt 0x1
	v_mov_b32_e32 v13, s0
	s_wait_loadcnt 0x0
	v_cmp_ne_u16_e32 vcc_lo, 0, v1
	v_cndmask_b32_e64 v12, 0, 1, vcc_lo
.LBB15_1345:
	s_mov_b32 s0, 0
.LBB15_1346:
	s_delay_alu instid0(SALU_CYCLE_1)
	s_and_b32 vcc_lo, exec_lo, s0
	s_cbranch_vccz .LBB15_1395
; %bb.1347:
	s_cmp_lt_i32 s19, 5
	s_cbranch_scc1 .LBB15_1352
; %bb.1348:
	s_cmp_lt_i32 s19, 8
	s_cbranch_scc1 .LBB15_1353
	;; [unrolled: 3-line block ×3, first 2 shown]
; %bb.1350:
	s_cmp_gt_i32 s19, 9
	s_cbranch_scc0 .LBB15_1355
; %bb.1351:
	s_wait_loadcnt 0x0
	global_load_b64 v[12:13], v[10:11], off
	s_mov_b32 s0, 0
	s_wait_loadcnt 0x0
	v_trunc_f64_e32 v[12:13], v[12:13]
	s_delay_alu instid0(VALU_DEP_1) | instskip(NEXT) | instid1(VALU_DEP_1)
	v_ldexp_f64 v[14:15], v[12:13], 0xffffffe0
	v_floor_f64_e32 v[14:15], v[14:15]
	s_delay_alu instid0(VALU_DEP_1) | instskip(SKIP_1) | instid1(VALU_DEP_2)
	v_fmamk_f64 v[16:17], v[14:15], 0xc1f00000, v[12:13]
	v_cvt_i32_f64_e32 v13, v[14:15]
	v_cvt_u32_f64_e32 v12, v[16:17]
	s_branch .LBB15_1356
.LBB15_1352:
	s_mov_b32 s0, -1
                                        ; implicit-def: $vgpr12_vgpr13
	s_branch .LBB15_1374
.LBB15_1353:
	s_mov_b32 s0, -1
                                        ; implicit-def: $vgpr12_vgpr13
	s_branch .LBB15_1362
.LBB15_1354:
	s_mov_b32 s0, -1
                                        ; implicit-def: $vgpr12_vgpr13
	s_branch .LBB15_1359
.LBB15_1355:
	s_mov_b32 s0, -1
                                        ; implicit-def: $vgpr12_vgpr13
.LBB15_1356:
	s_delay_alu instid0(SALU_CYCLE_1)
	s_and_not1_b32 vcc_lo, exec_lo, s0
	s_cbranch_vccnz .LBB15_1358
; %bb.1357:
	global_load_b32 v1, v[10:11], off
	s_wait_loadcnt 0x0
	v_trunc_f32_e32 v1, v1
	s_delay_alu instid0(VALU_DEP_1) | instskip(SKIP_1) | instid1(VALU_DEP_2)
	v_mul_f32_e64 v3, 0x2f800000, |v1|
	v_ashrrev_i32_e32 v12, 31, v1
	v_floor_f32_e32 v3, v3
	s_delay_alu instid0(VALU_DEP_1) | instskip(SKIP_1) | instid1(VALU_DEP_4)
	v_fma_f32 v5, 0xcf800000, v3, |v1|
	v_cvt_u32_f32_e32 v1, v3
	v_mov_b32_e32 v13, v12
	s_delay_alu instid0(VALU_DEP_3) | instskip(NEXT) | instid1(VALU_DEP_3)
	v_cvt_u32_f32_e32 v3, v5
	v_xor_b32_e32 v15, v1, v12
	s_delay_alu instid0(VALU_DEP_2) | instskip(NEXT) | instid1(VALU_DEP_1)
	v_xor_b32_e32 v14, v3, v12
	v_sub_nc_u64_e32 v[12:13], v[14:15], v[12:13]
.LBB15_1358:
	s_mov_b32 s0, 0
.LBB15_1359:
	s_delay_alu instid0(SALU_CYCLE_1)
	s_and_not1_b32 vcc_lo, exec_lo, s0
	s_cbranch_vccnz .LBB15_1361
; %bb.1360:
	global_load_b32 v1, v[10:11], off
	s_wait_loadcnt 0x0
	v_cvt_f32_f16_e32 v1, v1
	s_delay_alu instid0(VALU_DEP_1) | instskip(NEXT) | instid1(VALU_DEP_1)
	v_cvt_i32_f32_e32 v12, v1
	v_ashrrev_i32_e32 v13, 31, v12
.LBB15_1361:
	s_mov_b32 s0, 0
.LBB15_1362:
	s_delay_alu instid0(SALU_CYCLE_1)
	s_and_not1_b32 vcc_lo, exec_lo, s0
	s_cbranch_vccnz .LBB15_1373
; %bb.1363:
	s_cmp_lt_i32 s19, 6
	s_cbranch_scc1 .LBB15_1366
; %bb.1364:
	s_cmp_gt_i32 s19, 6
	s_cbranch_scc0 .LBB15_1367
; %bb.1365:
	s_wait_loadcnt 0x0
	global_load_b64 v[12:13], v[10:11], off
	s_mov_b32 s0, 0
	s_wait_loadcnt 0x0
	v_trunc_f64_e32 v[12:13], v[12:13]
	s_delay_alu instid0(VALU_DEP_1) | instskip(NEXT) | instid1(VALU_DEP_1)
	v_ldexp_f64 v[14:15], v[12:13], 0xffffffe0
	v_floor_f64_e32 v[14:15], v[14:15]
	s_delay_alu instid0(VALU_DEP_1) | instskip(SKIP_1) | instid1(VALU_DEP_2)
	v_fmamk_f64 v[16:17], v[14:15], 0xc1f00000, v[12:13]
	v_cvt_i32_f64_e32 v13, v[14:15]
	v_cvt_u32_f64_e32 v12, v[16:17]
	s_branch .LBB15_1368
.LBB15_1366:
	s_mov_b32 s0, -1
                                        ; implicit-def: $vgpr12_vgpr13
	s_branch .LBB15_1371
.LBB15_1367:
	s_mov_b32 s0, -1
                                        ; implicit-def: $vgpr12_vgpr13
.LBB15_1368:
	s_delay_alu instid0(SALU_CYCLE_1)
	s_and_not1_b32 vcc_lo, exec_lo, s0
	s_cbranch_vccnz .LBB15_1370
; %bb.1369:
	global_load_b32 v1, v[10:11], off
	s_wait_loadcnt 0x0
	v_trunc_f32_e32 v1, v1
	s_delay_alu instid0(VALU_DEP_1) | instskip(SKIP_1) | instid1(VALU_DEP_2)
	v_mul_f32_e64 v3, 0x2f800000, |v1|
	v_ashrrev_i32_e32 v12, 31, v1
	v_floor_f32_e32 v3, v3
	s_delay_alu instid0(VALU_DEP_1) | instskip(SKIP_1) | instid1(VALU_DEP_4)
	v_fma_f32 v5, 0xcf800000, v3, |v1|
	v_cvt_u32_f32_e32 v1, v3
	v_mov_b32_e32 v13, v12
	s_delay_alu instid0(VALU_DEP_3) | instskip(NEXT) | instid1(VALU_DEP_3)
	v_cvt_u32_f32_e32 v3, v5
	v_xor_b32_e32 v15, v1, v12
	s_delay_alu instid0(VALU_DEP_2) | instskip(NEXT) | instid1(VALU_DEP_1)
	v_xor_b32_e32 v14, v3, v12
	v_sub_nc_u64_e32 v[12:13], v[14:15], v[12:13]
.LBB15_1370:
	s_mov_b32 s0, 0
.LBB15_1371:
	s_delay_alu instid0(SALU_CYCLE_1)
	s_and_not1_b32 vcc_lo, exec_lo, s0
	s_cbranch_vccnz .LBB15_1373
; %bb.1372:
	global_load_u16 v1, v[10:11], off
	s_wait_loadcnt 0x0
	v_cvt_f32_f16_e32 v1, v1
	s_delay_alu instid0(VALU_DEP_1) | instskip(NEXT) | instid1(VALU_DEP_1)
	v_cvt_i32_f32_e32 v12, v1
	v_ashrrev_i32_e32 v13, 31, v12
.LBB15_1373:
	s_mov_b32 s0, 0
.LBB15_1374:
	s_delay_alu instid0(SALU_CYCLE_1)
	s_and_not1_b32 vcc_lo, exec_lo, s0
	s_cbranch_vccnz .LBB15_1394
; %bb.1375:
	s_cmp_lt_i32 s19, 2
	s_cbranch_scc1 .LBB15_1379
; %bb.1376:
	s_cmp_lt_i32 s19, 3
	s_cbranch_scc1 .LBB15_1380
; %bb.1377:
	s_cmp_gt_i32 s19, 3
	s_cbranch_scc0 .LBB15_1381
; %bb.1378:
	s_wait_loadcnt 0x0
	global_load_b64 v[12:13], v[10:11], off
	s_mov_b32 s0, 0
	s_branch .LBB15_1382
.LBB15_1379:
	s_mov_b32 s0, -1
                                        ; implicit-def: $vgpr12_vgpr13
	s_branch .LBB15_1388
.LBB15_1380:
	s_mov_b32 s0, -1
                                        ; implicit-def: $vgpr12_vgpr13
	s_branch .LBB15_1385
.LBB15_1381:
	s_mov_b32 s0, -1
                                        ; implicit-def: $vgpr12_vgpr13
.LBB15_1382:
	s_delay_alu instid0(SALU_CYCLE_1)
	s_and_not1_b32 vcc_lo, exec_lo, s0
	s_cbranch_vccnz .LBB15_1384
; %bb.1383:
	s_wait_loadcnt 0x0
	global_load_b32 v12, v[10:11], off
	s_wait_loadcnt 0x0
	v_ashrrev_i32_e32 v13, 31, v12
.LBB15_1384:
	s_mov_b32 s0, 0
.LBB15_1385:
	s_delay_alu instid0(SALU_CYCLE_1)
	s_and_not1_b32 vcc_lo, exec_lo, s0
	s_cbranch_vccnz .LBB15_1387
; %bb.1386:
	global_load_u16 v1, v[10:11], off
	s_wait_loadcnt 0x0
	v_bfe_i32 v12, v1, 0, 16
	s_delay_alu instid0(VALU_DEP_1)
	v_ashrrev_i32_e32 v13, 31, v12
.LBB15_1387:
	s_mov_b32 s0, 0
.LBB15_1388:
	s_delay_alu instid0(SALU_CYCLE_1)
	s_and_not1_b32 vcc_lo, exec_lo, s0
	s_cbranch_vccnz .LBB15_1394
; %bb.1389:
	s_cmp_gt_i32 s19, 0
	s_mov_b32 s0, 0
	s_cbranch_scc0 .LBB15_1391
; %bb.1390:
	global_load_i8 v1, v[10:11], off
	s_wait_loadcnt 0x0
	v_bfe_i32 v12, v1, 0, 16
	s_delay_alu instid0(VALU_DEP_1)
	v_ashrrev_i32_e32 v13, 31, v12
	s_branch .LBB15_1392
.LBB15_1391:
	s_mov_b32 s0, -1
                                        ; implicit-def: $vgpr12_vgpr13
.LBB15_1392:
	s_delay_alu instid0(SALU_CYCLE_1)
	s_and_not1_b32 vcc_lo, exec_lo, s0
	s_cbranch_vccnz .LBB15_1394
; %bb.1393:
	global_load_u8 v1, v[10:11], off
	s_mov_b32 s0, 0
	s_wait_loadcnt 0x1
	v_mov_b32_e32 v13, s0
	s_wait_loadcnt 0x0
	v_and_b32_e32 v12, 0xffff, v1
.LBB15_1394:
	s_mov_b32 s20, -1
.LBB15_1395:
	s_delay_alu instid0(SALU_CYCLE_1)
	s_and_not1_b32 vcc_lo, exec_lo, s20
	s_cbranch_vccnz .LBB15_1405
; %bb.1396:
	s_wait_loadcnt 0x0
	s_delay_alu instid0(VALU_DEP_1) | instskip(SKIP_4) | instid1(SALU_CYCLE_1)
	v_cmp_gt_i64_e32 vcc_lo, s[8:9], v[12:13]
	v_cmp_le_i64_e64 s0, s[10:11], v[12:13]
	s_or_b32 s0, vcc_lo, s0
	s_wait_xcnt 0x0
	s_and_saveexec_b32 s18, s0
	s_xor_b32 s0, exec_lo, s18
	s_cbranch_execnz .LBB15_1902
.LBB15_1397:
	s_or_saveexec_b32 s18, s0
	s_mov_b32 s20, 0
	s_mov_b32 s21, 0
                                        ; implicit-def: $vgpr14_vgpr15
                                        ; implicit-def: $sgpr0
	s_xor_b32 exec_lo, exec_lo, s18
	s_cbranch_execz .LBB15_1847
; %bb.1398:
	v_mov_b32_e32 v9, 0
	s_cmp_lt_i32 s19, 11
	s_delay_alu instid0(VALU_DEP_1)
	v_add_nc_u64_e32 v[8:9], s[6:7], v[8:9]
	s_cbranch_scc1 .LBB15_1406
; %bb.1399:
	s_cmp_gt_i32 s19, 25
	s_mov_b32 s7, 0
	s_cbranch_scc0 .LBB15_1407
; %bb.1400:
	s_cmp_gt_i32 s19, 28
	s_cbranch_scc0 .LBB15_1408
; %bb.1401:
	s_cmp_gt_i32 s19, 43
	;; [unrolled: 3-line block ×3, first 2 shown]
	s_cbranch_scc0 .LBB15_1411
; %bb.1403:
	s_cmp_eq_u32 s19, 46
	s_mov_b32 s6, 0
	s_cbranch_scc0 .LBB15_1413
; %bb.1404:
	global_load_b32 v1, v[8:9], off
	s_mov_b32 s0, 0
	s_mov_b32 s20, -1
	s_wait_loadcnt 0x0
	v_lshlrev_b32_e32 v1, 16, v1
	s_delay_alu instid0(VALU_DEP_1) | instskip(NEXT) | instid1(VALU_DEP_1)
	v_trunc_f32_e32 v1, v1
	v_mul_f32_e64 v3, 0x2f800000, |v1|
	v_ashrrev_i32_e32 v10, 31, v1
	s_delay_alu instid0(VALU_DEP_2) | instskip(NEXT) | instid1(VALU_DEP_2)
	v_floor_f32_e32 v3, v3
	v_mov_b32_e32 v11, v10
	s_delay_alu instid0(VALU_DEP_2) | instskip(SKIP_1) | instid1(VALU_DEP_2)
	v_fma_f32 v5, 0xcf800000, v3, |v1|
	v_cvt_u32_f32_e32 v1, v3
	v_cvt_u32_f32_e32 v3, v5
	s_delay_alu instid0(VALU_DEP_2) | instskip(NEXT) | instid1(VALU_DEP_2)
	v_xor_b32_e32 v13, v1, v10
	v_xor_b32_e32 v12, v3, v10
	s_delay_alu instid0(VALU_DEP_1)
	v_sub_nc_u64_e32 v[10:11], v[12:13], v[10:11]
	s_branch .LBB15_1415
.LBB15_1405:
	s_mov_b32 s20, 0
	s_mov_b32 s21, 0
                                        ; implicit-def: $vgpr14_vgpr15
                                        ; implicit-def: $sgpr0
	s_branch .LBB15_1848
.LBB15_1406:
	s_mov_b32 s0, -1
	s_mov_b32 s6, s17
                                        ; implicit-def: $vgpr10_vgpr11
	s_branch .LBB15_1477
.LBB15_1407:
	s_mov_b32 s6, -1
	s_mov_b32 s0, 0
                                        ; implicit-def: $vgpr10_vgpr11
	s_branch .LBB15_1442
.LBB15_1408:
	s_mov_b32 s6, -1
	s_mov_b32 s0, 0
                                        ; implicit-def: $vgpr10_vgpr11
	s_branch .LBB15_1425
.LBB15_1409:
	s_or_b32 s17, s15, exec_lo
	s_trap 2
	s_cbranch_execz .LBB15_1344
	s_branch .LBB15_1345
.LBB15_1410:
	s_mov_b32 s6, -1
	s_mov_b32 s0, 0
                                        ; implicit-def: $vgpr10_vgpr11
	s_branch .LBB15_1420
.LBB15_1411:
	s_mov_b32 s6, -1
	s_mov_b32 s0, 0
	s_branch .LBB15_1414
.LBB15_1412:
	s_or_b32 s1, s1, exec_lo
	s_trap 2
                                        ; implicit-def: $vgpr12
                                        ; implicit-def: $vgpr10
                                        ; implicit-def: $vgpr8
                                        ; implicit-def: $vgpr0
                                        ; implicit-def: $vgpr6
                                        ; implicit-def: $vgpr4
                                        ; implicit-def: $vgpr2
	s_branch .LBB15_1029
.LBB15_1413:
	s_mov_b32 s0, -1
.LBB15_1414:
                                        ; implicit-def: $vgpr10_vgpr11
.LBB15_1415:
	s_and_b32 vcc_lo, exec_lo, s6
	s_cbranch_vccz .LBB15_1419
; %bb.1416:
	s_cmp_eq_u32 s19, 44
	s_cbranch_scc0 .LBB15_1418
; %bb.1417:
	global_load_u8 v1, v[8:9], off
	s_mov_b32 s0, 0
	s_mov_b32 s20, -1
	s_wait_loadcnt 0x0
	v_lshlrev_b32_e32 v3, 23, v1
	v_cmp_ne_u32_e32 vcc_lo, 0, v1
	s_delay_alu instid0(VALU_DEP_2) | instskip(NEXT) | instid1(VALU_DEP_1)
	v_trunc_f32_e32 v3, v3
	v_mul_f32_e64 v5, 0x2f800000, |v3|
	v_ashrrev_i32_e32 v10, 31, v3
	s_delay_alu instid0(VALU_DEP_2) | instskip(NEXT) | instid1(VALU_DEP_2)
	v_floor_f32_e32 v5, v5
	v_mov_b32_e32 v11, v10
	s_delay_alu instid0(VALU_DEP_2) | instskip(SKIP_1) | instid1(VALU_DEP_2)
	v_fma_f32 v7, 0xcf800000, v5, |v3|
	v_cvt_u32_f32_e32 v3, v5
	v_cvt_u32_f32_e32 v5, v7
	s_delay_alu instid0(VALU_DEP_2) | instskip(NEXT) | instid1(VALU_DEP_2)
	v_xor_b32_e32 v13, v3, v10
	v_xor_b32_e32 v12, v5, v10
	s_delay_alu instid0(VALU_DEP_1) | instskip(NEXT) | instid1(VALU_DEP_1)
	v_sub_nc_u64_e32 v[10:11], v[12:13], v[10:11]
	v_dual_cndmask_b32 v11, 0, v11 :: v_dual_cndmask_b32 v10, 0, v10
	s_branch .LBB15_1419
.LBB15_1418:
	s_mov_b32 s0, -1
                                        ; implicit-def: $vgpr10_vgpr11
.LBB15_1419:
	s_mov_b32 s6, 0
.LBB15_1420:
	s_delay_alu instid0(SALU_CYCLE_1)
	s_and_b32 vcc_lo, exec_lo, s6
	s_cbranch_vccz .LBB15_1424
; %bb.1421:
	s_cmp_eq_u32 s19, 29
	s_cbranch_scc0 .LBB15_1423
; %bb.1422:
	global_load_b64 v[10:11], v[8:9], off
	s_mov_b32 s0, 0
	s_mov_b32 s20, -1
	s_branch .LBB15_1424
.LBB15_1423:
	s_mov_b32 s0, -1
                                        ; implicit-def: $vgpr10_vgpr11
.LBB15_1424:
	s_mov_b32 s6, 0
.LBB15_1425:
	s_delay_alu instid0(SALU_CYCLE_1)
	s_and_b32 vcc_lo, exec_lo, s6
	s_cbranch_vccz .LBB15_1441
; %bb.1426:
	s_cmp_lt_i32 s19, 27
	s_cbranch_scc1 .LBB15_1429
; %bb.1427:
	s_cmp_gt_i32 s19, 27
	s_cbranch_scc0 .LBB15_1430
; %bb.1428:
	s_wait_loadcnt 0x0
	global_load_b32 v10, v[8:9], off
	v_mov_b32_e32 v11, 0
	s_mov_b32 s6, 0
	s_branch .LBB15_1431
.LBB15_1429:
	s_mov_b32 s6, -1
                                        ; implicit-def: $vgpr10_vgpr11
	s_branch .LBB15_1434
.LBB15_1430:
	s_mov_b32 s6, -1
                                        ; implicit-def: $vgpr10_vgpr11
.LBB15_1431:
	s_delay_alu instid0(SALU_CYCLE_1)
	s_and_not1_b32 vcc_lo, exec_lo, s6
	s_cbranch_vccnz .LBB15_1433
; %bb.1432:
	global_load_u16 v1, v[8:9], off
	s_mov_b32 s6, 0
	s_wait_loadcnt 0x1
	v_mov_b32_e32 v11, s6
	s_wait_loadcnt 0x0
	v_and_b32_e32 v10, 0xffff, v1
.LBB15_1433:
	s_mov_b32 s6, 0
.LBB15_1434:
	s_delay_alu instid0(SALU_CYCLE_1)
	s_and_not1_b32 vcc_lo, exec_lo, s6
	s_cbranch_vccnz .LBB15_1440
; %bb.1435:
	global_load_u8 v1, v[8:9], off
	s_mov_b32 s20, 0
	s_mov_b32 s6, exec_lo
	s_wait_loadcnt 0x0
	v_cmpx_lt_i16_e32 0x7f, v1
	s_xor_b32 s6, exec_lo, s6
	s_cbranch_execz .LBB15_1452
; %bb.1436:
	v_cmp_ne_u16_e32 vcc_lo, 0x80, v1
	s_and_b32 s20, vcc_lo, exec_lo
	s_and_not1_saveexec_b32 s6, s6
	s_cbranch_execnz .LBB15_1453
.LBB15_1437:
	s_or_b32 exec_lo, exec_lo, s6
	v_mov_b64_e32 v[10:11], 0
	s_and_saveexec_b32 s6, s20
	s_cbranch_execz .LBB15_1439
.LBB15_1438:
	v_and_b32_e32 v3, 0xffff, v1
	s_delay_alu instid0(VALU_DEP_1) | instskip(SKIP_1) | instid1(VALU_DEP_2)
	v_dual_lshlrev_b32 v1, 24, v1 :: v_dual_bitop2_b32 v5, 7, v3 bitop3:0x40
	v_bfe_u32 v11, v3, 3, 4
	v_and_b32_e32 v1, 0x80000000, v1
	s_delay_alu instid0(VALU_DEP_3) | instskip(NEXT) | instid1(VALU_DEP_3)
	v_clz_i32_u32_e32 v7, v5
	v_cmp_eq_u32_e32 vcc_lo, 0, v11
	s_delay_alu instid0(VALU_DEP_2) | instskip(NEXT) | instid1(VALU_DEP_1)
	v_min_u32_e32 v7, 32, v7
	v_subrev_nc_u32_e32 v10, 28, v7
	v_sub_nc_u32_e32 v7, 29, v7
	s_delay_alu instid0(VALU_DEP_2) | instskip(NEXT) | instid1(VALU_DEP_2)
	v_lshlrev_b32_e32 v3, v10, v3
	v_cndmask_b32_e32 v7, v11, v7, vcc_lo
	s_delay_alu instid0(VALU_DEP_2) | instskip(NEXT) | instid1(VALU_DEP_1)
	v_and_b32_e32 v3, 7, v3
	v_cndmask_b32_e32 v3, v5, v3, vcc_lo
	s_delay_alu instid0(VALU_DEP_3) | instskip(NEXT) | instid1(VALU_DEP_2)
	v_lshl_add_u32 v5, v7, 23, 0x3b800000
	v_lshlrev_b32_e32 v3, 20, v3
	s_delay_alu instid0(VALU_DEP_1) | instskip(NEXT) | instid1(VALU_DEP_1)
	v_or3_b32 v1, v1, v5, v3
	v_trunc_f32_e32 v1, v1
	s_delay_alu instid0(VALU_DEP_1) | instskip(SKIP_1) | instid1(VALU_DEP_2)
	v_mul_f32_e64 v3, 0x2f800000, |v1|
	v_ashrrev_i32_e32 v10, 31, v1
	v_floor_f32_e32 v3, v3
	s_delay_alu instid0(VALU_DEP_2) | instskip(NEXT) | instid1(VALU_DEP_2)
	v_mov_b32_e32 v11, v10
	v_fma_f32 v5, 0xcf800000, v3, |v1|
	v_cvt_u32_f32_e32 v1, v3
	s_delay_alu instid0(VALU_DEP_2) | instskip(NEXT) | instid1(VALU_DEP_2)
	v_cvt_u32_f32_e32 v3, v5
	v_xor_b32_e32 v13, v1, v10
	s_delay_alu instid0(VALU_DEP_2) | instskip(NEXT) | instid1(VALU_DEP_1)
	v_xor_b32_e32 v12, v3, v10
	v_sub_nc_u64_e32 v[10:11], v[12:13], v[10:11]
.LBB15_1439:
	s_or_b32 exec_lo, exec_lo, s6
.LBB15_1440:
	s_mov_b32 s20, -1
.LBB15_1441:
	s_mov_b32 s6, 0
.LBB15_1442:
	s_delay_alu instid0(SALU_CYCLE_1)
	s_and_b32 vcc_lo, exec_lo, s6
	s_cbranch_vccz .LBB15_1473
; %bb.1443:
	s_cmp_gt_i32 s19, 22
	s_cbranch_scc0 .LBB15_1451
; %bb.1444:
	s_cmp_lt_i32 s19, 24
	s_cbranch_scc1 .LBB15_1454
; %bb.1445:
	s_cmp_gt_i32 s19, 24
	s_cbranch_scc0 .LBB15_1455
; %bb.1446:
	global_load_u8 v1, v[8:9], off
	s_mov_b32 s6, exec_lo
	s_wait_loadcnt 0x0
	v_cmpx_lt_i16_e32 0x7f, v1
	s_xor_b32 s6, exec_lo, s6
	s_cbranch_execz .LBB15_1467
; %bb.1447:
	v_cmp_ne_u16_e32 vcc_lo, 0x80, v1
	s_and_b32 s7, vcc_lo, exec_lo
	s_and_not1_saveexec_b32 s6, s6
	s_cbranch_execnz .LBB15_1468
.LBB15_1448:
	s_or_b32 exec_lo, exec_lo, s6
	v_mov_b64_e32 v[10:11], 0
	s_and_saveexec_b32 s6, s7
	s_cbranch_execz .LBB15_1450
.LBB15_1449:
	v_and_b32_e32 v3, 0xffff, v1
	s_delay_alu instid0(VALU_DEP_1) | instskip(SKIP_1) | instid1(VALU_DEP_2)
	v_dual_lshlrev_b32 v1, 24, v1 :: v_dual_bitop2_b32 v5, 3, v3 bitop3:0x40
	v_bfe_u32 v11, v3, 2, 5
	v_and_b32_e32 v1, 0x80000000, v1
	s_delay_alu instid0(VALU_DEP_3) | instskip(NEXT) | instid1(VALU_DEP_3)
	v_clz_i32_u32_e32 v7, v5
	v_cmp_eq_u32_e32 vcc_lo, 0, v11
	s_delay_alu instid0(VALU_DEP_2) | instskip(NEXT) | instid1(VALU_DEP_1)
	v_min_u32_e32 v7, 32, v7
	v_subrev_nc_u32_e32 v10, 29, v7
	v_sub_nc_u32_e32 v7, 30, v7
	s_delay_alu instid0(VALU_DEP_2) | instskip(NEXT) | instid1(VALU_DEP_2)
	v_lshlrev_b32_e32 v3, v10, v3
	v_cndmask_b32_e32 v7, v11, v7, vcc_lo
	s_delay_alu instid0(VALU_DEP_2) | instskip(NEXT) | instid1(VALU_DEP_1)
	v_and_b32_e32 v3, 3, v3
	v_cndmask_b32_e32 v3, v5, v3, vcc_lo
	s_delay_alu instid0(VALU_DEP_3) | instskip(NEXT) | instid1(VALU_DEP_2)
	v_lshl_add_u32 v5, v7, 23, 0x37800000
	v_lshlrev_b32_e32 v3, 21, v3
	s_delay_alu instid0(VALU_DEP_1) | instskip(NEXT) | instid1(VALU_DEP_1)
	v_or3_b32 v1, v1, v5, v3
	v_trunc_f32_e32 v1, v1
	s_delay_alu instid0(VALU_DEP_1) | instskip(SKIP_1) | instid1(VALU_DEP_2)
	v_mul_f32_e64 v3, 0x2f800000, |v1|
	v_ashrrev_i32_e32 v10, 31, v1
	v_floor_f32_e32 v3, v3
	s_delay_alu instid0(VALU_DEP_2) | instskip(NEXT) | instid1(VALU_DEP_2)
	v_mov_b32_e32 v11, v10
	v_fma_f32 v5, 0xcf800000, v3, |v1|
	v_cvt_u32_f32_e32 v1, v3
	s_delay_alu instid0(VALU_DEP_2) | instskip(NEXT) | instid1(VALU_DEP_2)
	v_cvt_u32_f32_e32 v3, v5
	v_xor_b32_e32 v13, v1, v10
	s_delay_alu instid0(VALU_DEP_2) | instskip(NEXT) | instid1(VALU_DEP_1)
	v_xor_b32_e32 v12, v3, v10
	v_sub_nc_u64_e32 v[10:11], v[12:13], v[10:11]
.LBB15_1450:
	s_or_b32 exec_lo, exec_lo, s6
	s_mov_b32 s6, 0
	s_branch .LBB15_1456
.LBB15_1451:
	s_mov_b32 s6, -1
                                        ; implicit-def: $vgpr10_vgpr11
	s_branch .LBB15_1462
.LBB15_1452:
	s_and_not1_saveexec_b32 s6, s6
	s_cbranch_execz .LBB15_1437
.LBB15_1453:
	v_cmp_ne_u16_e32 vcc_lo, 0, v1
	s_and_not1_b32 s20, s20, exec_lo
	s_and_b32 s21, vcc_lo, exec_lo
	s_delay_alu instid0(SALU_CYCLE_1)
	s_or_b32 s20, s20, s21
	s_or_b32 exec_lo, exec_lo, s6
	v_mov_b64_e32 v[10:11], 0
	s_and_saveexec_b32 s6, s20
	s_cbranch_execnz .LBB15_1438
	s_branch .LBB15_1439
.LBB15_1454:
	s_mov_b32 s6, -1
                                        ; implicit-def: $vgpr10_vgpr11
	s_branch .LBB15_1459
.LBB15_1455:
	s_mov_b32 s6, -1
                                        ; implicit-def: $vgpr10_vgpr11
.LBB15_1456:
	s_delay_alu instid0(SALU_CYCLE_1)
	s_and_b32 vcc_lo, exec_lo, s6
	s_cbranch_vccz .LBB15_1458
; %bb.1457:
	global_load_u8 v1, v[8:9], off
	s_wait_loadcnt 0x0
	v_lshlrev_b32_e32 v1, 24, v1
	s_delay_alu instid0(VALU_DEP_1) | instskip(NEXT) | instid1(VALU_DEP_1)
	v_and_b32_e32 v3, 0x7f000000, v1
	v_clz_i32_u32_e32 v5, v3
	v_cmp_ne_u32_e32 vcc_lo, 0, v3
	v_add_nc_u32_e32 v10, 0x1000000, v3
	s_delay_alu instid0(VALU_DEP_3) | instskip(NEXT) | instid1(VALU_DEP_1)
	v_min_u32_e32 v5, 32, v5
	v_sub_nc_u32_e64 v5, v5, 4 clamp
	s_delay_alu instid0(VALU_DEP_1) | instskip(NEXT) | instid1(VALU_DEP_1)
	v_dual_lshlrev_b32 v7, v5, v3 :: v_dual_lshlrev_b32 v5, 23, v5
	v_lshrrev_b32_e32 v7, 4, v7
	s_delay_alu instid0(VALU_DEP_1) | instskip(NEXT) | instid1(VALU_DEP_1)
	v_dual_sub_nc_u32 v5, v7, v5 :: v_dual_ashrrev_i32 v7, 8, v10
	v_add_nc_u32_e32 v5, 0x3c000000, v5
	s_delay_alu instid0(VALU_DEP_1) | instskip(NEXT) | instid1(VALU_DEP_1)
	v_and_or_b32 v5, 0x7f800000, v7, v5
	v_cndmask_b32_e32 v3, 0, v5, vcc_lo
	s_delay_alu instid0(VALU_DEP_1) | instskip(NEXT) | instid1(VALU_DEP_1)
	v_and_or_b32 v1, 0x80000000, v1, v3
	v_trunc_f32_e32 v1, v1
	s_delay_alu instid0(VALU_DEP_1) | instskip(SKIP_1) | instid1(VALU_DEP_2)
	v_mul_f32_e64 v3, 0x2f800000, |v1|
	v_ashrrev_i32_e32 v10, 31, v1
	v_floor_f32_e32 v3, v3
	s_delay_alu instid0(VALU_DEP_1) | instskip(SKIP_1) | instid1(VALU_DEP_4)
	v_fma_f32 v5, 0xcf800000, v3, |v1|
	v_cvt_u32_f32_e32 v1, v3
	v_mov_b32_e32 v11, v10
	s_delay_alu instid0(VALU_DEP_3) | instskip(NEXT) | instid1(VALU_DEP_3)
	v_cvt_u32_f32_e32 v3, v5
	v_xor_b32_e32 v13, v1, v10
	s_delay_alu instid0(VALU_DEP_2) | instskip(NEXT) | instid1(VALU_DEP_1)
	v_xor_b32_e32 v12, v3, v10
	v_sub_nc_u64_e32 v[10:11], v[12:13], v[10:11]
.LBB15_1458:
	s_mov_b32 s6, 0
.LBB15_1459:
	s_delay_alu instid0(SALU_CYCLE_1)
	s_and_not1_b32 vcc_lo, exec_lo, s6
	s_cbranch_vccnz .LBB15_1461
; %bb.1460:
	global_load_u8 v1, v[8:9], off
	s_wait_loadcnt 0x0
	v_lshlrev_b32_e32 v3, 25, v1
	v_lshlrev_b16 v1, 8, v1
	s_delay_alu instid0(VALU_DEP_1) | instskip(SKIP_1) | instid1(VALU_DEP_2)
	v_and_or_b32 v7, 0x7f00, v1, 0.5
	v_bfe_i32 v1, v1, 0, 16
	v_add_f32_e32 v7, -0.5, v7
	v_lshrrev_b32_e32 v5, 4, v3
	v_cmp_gt_u32_e32 vcc_lo, 0x8000000, v3
	s_delay_alu instid0(VALU_DEP_2) | instskip(NEXT) | instid1(VALU_DEP_1)
	v_or_b32_e32 v5, 0x70000000, v5
	v_mul_f32_e32 v5, 0x7800000, v5
	s_delay_alu instid0(VALU_DEP_1) | instskip(NEXT) | instid1(VALU_DEP_1)
	v_cndmask_b32_e32 v3, v5, v7, vcc_lo
	v_and_or_b32 v1, 0x80000000, v1, v3
	s_delay_alu instid0(VALU_DEP_1) | instskip(NEXT) | instid1(VALU_DEP_1)
	v_trunc_f32_e32 v1, v1
	v_mul_f32_e64 v3, 0x2f800000, |v1|
	v_ashrrev_i32_e32 v10, 31, v1
	s_delay_alu instid0(VALU_DEP_2) | instskip(NEXT) | instid1(VALU_DEP_2)
	v_floor_f32_e32 v3, v3
	v_mov_b32_e32 v11, v10
	s_delay_alu instid0(VALU_DEP_2) | instskip(SKIP_1) | instid1(VALU_DEP_2)
	v_fma_f32 v5, 0xcf800000, v3, |v1|
	v_cvt_u32_f32_e32 v1, v3
	v_cvt_u32_f32_e32 v3, v5
	s_delay_alu instid0(VALU_DEP_2) | instskip(NEXT) | instid1(VALU_DEP_2)
	v_xor_b32_e32 v13, v1, v10
	v_xor_b32_e32 v12, v3, v10
	s_delay_alu instid0(VALU_DEP_1)
	v_sub_nc_u64_e32 v[10:11], v[12:13], v[10:11]
.LBB15_1461:
	s_mov_b32 s6, 0
	s_mov_b32 s20, -1
.LBB15_1462:
	s_and_not1_b32 vcc_lo, exec_lo, s6
	s_mov_b32 s7, 0
	s_cbranch_vccnz .LBB15_1473
; %bb.1463:
	s_cmp_gt_i32 s19, 14
	s_cbranch_scc0 .LBB15_1466
; %bb.1464:
	s_cmp_eq_u32 s19, 15
	s_cbranch_scc0 .LBB15_1469
; %bb.1465:
	global_load_u16 v1, v[8:9], off
	s_mov_b32 s0, 0
	s_mov_b32 s20, -1
	s_wait_loadcnt 0x0
	v_lshlrev_b32_e32 v1, 16, v1
	s_delay_alu instid0(VALU_DEP_1) | instskip(NEXT) | instid1(VALU_DEP_1)
	v_trunc_f32_e32 v1, v1
	v_mul_f32_e64 v3, 0x2f800000, |v1|
	v_ashrrev_i32_e32 v10, 31, v1
	s_delay_alu instid0(VALU_DEP_2) | instskip(NEXT) | instid1(VALU_DEP_2)
	v_floor_f32_e32 v3, v3
	v_mov_b32_e32 v11, v10
	s_delay_alu instid0(VALU_DEP_2) | instskip(SKIP_1) | instid1(VALU_DEP_2)
	v_fma_f32 v5, 0xcf800000, v3, |v1|
	v_cvt_u32_f32_e32 v1, v3
	v_cvt_u32_f32_e32 v3, v5
	s_delay_alu instid0(VALU_DEP_2) | instskip(NEXT) | instid1(VALU_DEP_2)
	v_xor_b32_e32 v13, v1, v10
	v_xor_b32_e32 v12, v3, v10
	s_delay_alu instid0(VALU_DEP_1)
	v_sub_nc_u64_e32 v[10:11], v[12:13], v[10:11]
	s_branch .LBB15_1470
.LBB15_1466:
	s_mov_b32 s6, -1
                                        ; implicit-def: $vgpr10_vgpr11
	s_branch .LBB15_1471
.LBB15_1467:
	s_and_not1_saveexec_b32 s6, s6
	s_cbranch_execz .LBB15_1448
.LBB15_1468:
	v_cmp_ne_u16_e32 vcc_lo, 0, v1
	s_and_not1_b32 s7, s7, exec_lo
	s_and_b32 s20, vcc_lo, exec_lo
	s_delay_alu instid0(SALU_CYCLE_1)
	s_or_b32 s7, s7, s20
	s_or_b32 exec_lo, exec_lo, s6
	v_mov_b64_e32 v[10:11], 0
	s_and_saveexec_b32 s6, s7
	s_cbranch_execnz .LBB15_1449
	s_branch .LBB15_1450
.LBB15_1469:
	s_mov_b32 s0, -1
                                        ; implicit-def: $vgpr10_vgpr11
.LBB15_1470:
	s_mov_b32 s6, 0
.LBB15_1471:
	s_delay_alu instid0(SALU_CYCLE_1)
	s_and_b32 vcc_lo, exec_lo, s6
	s_cbranch_vccz .LBB15_1473
; %bb.1472:
	s_cmp_lg_u32 s19, 11
	s_mov_b32 s7, -1
	s_cselect_b32 s0, -1, 0
.LBB15_1473:
	s_delay_alu instid0(SALU_CYCLE_1)
	s_and_b32 vcc_lo, exec_lo, s0
	s_mov_b32 s6, s17
	s_cbranch_vccnz .LBB15_1896
; %bb.1474:
	s_and_not1_b32 vcc_lo, exec_lo, s7
	s_cbranch_vccnz .LBB15_1476
.LBB15_1475:
	global_load_u8 v1, v[8:9], off
	s_mov_b32 s0, 0
	s_mov_b32 s20, -1
	s_wait_loadcnt 0x1
	v_mov_b32_e32 v11, s0
	s_wait_loadcnt 0x0
	v_cmp_ne_u16_e32 vcc_lo, 0, v1
	v_cndmask_b32_e64 v10, 0, 1, vcc_lo
.LBB15_1476:
	s_mov_b32 s0, 0
.LBB15_1477:
	s_delay_alu instid0(SALU_CYCLE_1)
	s_and_b32 vcc_lo, exec_lo, s0
	s_cbranch_vccz .LBB15_1526
; %bb.1478:
	s_cmp_lt_i32 s19, 5
	s_cbranch_scc1 .LBB15_1483
; %bb.1479:
	s_cmp_lt_i32 s19, 8
	s_cbranch_scc1 .LBB15_1484
	;; [unrolled: 3-line block ×3, first 2 shown]
; %bb.1481:
	s_cmp_gt_i32 s19, 9
	s_cbranch_scc0 .LBB15_1486
; %bb.1482:
	s_wait_loadcnt 0x0
	global_load_b64 v[10:11], v[8:9], off
	s_mov_b32 s0, 0
	s_wait_loadcnt 0x0
	v_trunc_f64_e32 v[10:11], v[10:11]
	s_delay_alu instid0(VALU_DEP_1) | instskip(NEXT) | instid1(VALU_DEP_1)
	v_ldexp_f64 v[12:13], v[10:11], 0xffffffe0
	v_floor_f64_e32 v[12:13], v[12:13]
	s_delay_alu instid0(VALU_DEP_1) | instskip(SKIP_1) | instid1(VALU_DEP_2)
	v_fmamk_f64 v[14:15], v[12:13], 0xc1f00000, v[10:11]
	v_cvt_i32_f64_e32 v11, v[12:13]
	v_cvt_u32_f64_e32 v10, v[14:15]
	s_branch .LBB15_1487
.LBB15_1483:
	s_mov_b32 s0, -1
                                        ; implicit-def: $vgpr10_vgpr11
	s_branch .LBB15_1505
.LBB15_1484:
	s_mov_b32 s0, -1
                                        ; implicit-def: $vgpr10_vgpr11
	s_branch .LBB15_1493
.LBB15_1485:
	s_mov_b32 s0, -1
                                        ; implicit-def: $vgpr10_vgpr11
	s_branch .LBB15_1490
.LBB15_1486:
	s_mov_b32 s0, -1
                                        ; implicit-def: $vgpr10_vgpr11
.LBB15_1487:
	s_delay_alu instid0(SALU_CYCLE_1)
	s_and_not1_b32 vcc_lo, exec_lo, s0
	s_cbranch_vccnz .LBB15_1489
; %bb.1488:
	global_load_b32 v1, v[8:9], off
	s_wait_loadcnt 0x0
	v_trunc_f32_e32 v1, v1
	s_delay_alu instid0(VALU_DEP_1) | instskip(SKIP_1) | instid1(VALU_DEP_2)
	v_mul_f32_e64 v3, 0x2f800000, |v1|
	v_ashrrev_i32_e32 v10, 31, v1
	v_floor_f32_e32 v3, v3
	s_delay_alu instid0(VALU_DEP_1) | instskip(SKIP_1) | instid1(VALU_DEP_4)
	v_fma_f32 v5, 0xcf800000, v3, |v1|
	v_cvt_u32_f32_e32 v1, v3
	v_mov_b32_e32 v11, v10
	s_delay_alu instid0(VALU_DEP_3) | instskip(NEXT) | instid1(VALU_DEP_3)
	v_cvt_u32_f32_e32 v3, v5
	v_xor_b32_e32 v13, v1, v10
	s_delay_alu instid0(VALU_DEP_2) | instskip(NEXT) | instid1(VALU_DEP_1)
	v_xor_b32_e32 v12, v3, v10
	v_sub_nc_u64_e32 v[10:11], v[12:13], v[10:11]
.LBB15_1489:
	s_mov_b32 s0, 0
.LBB15_1490:
	s_delay_alu instid0(SALU_CYCLE_1)
	s_and_not1_b32 vcc_lo, exec_lo, s0
	s_cbranch_vccnz .LBB15_1492
; %bb.1491:
	global_load_b32 v1, v[8:9], off
	s_wait_loadcnt 0x0
	v_cvt_f32_f16_e32 v1, v1
	s_delay_alu instid0(VALU_DEP_1) | instskip(NEXT) | instid1(VALU_DEP_1)
	v_cvt_i32_f32_e32 v10, v1
	v_ashrrev_i32_e32 v11, 31, v10
.LBB15_1492:
	s_mov_b32 s0, 0
.LBB15_1493:
	s_delay_alu instid0(SALU_CYCLE_1)
	s_and_not1_b32 vcc_lo, exec_lo, s0
	s_cbranch_vccnz .LBB15_1504
; %bb.1494:
	s_cmp_lt_i32 s19, 6
	s_cbranch_scc1 .LBB15_1497
; %bb.1495:
	s_cmp_gt_i32 s19, 6
	s_cbranch_scc0 .LBB15_1498
; %bb.1496:
	s_wait_loadcnt 0x0
	global_load_b64 v[10:11], v[8:9], off
	s_mov_b32 s0, 0
	s_wait_loadcnt 0x0
	v_trunc_f64_e32 v[10:11], v[10:11]
	s_delay_alu instid0(VALU_DEP_1) | instskip(NEXT) | instid1(VALU_DEP_1)
	v_ldexp_f64 v[12:13], v[10:11], 0xffffffe0
	v_floor_f64_e32 v[12:13], v[12:13]
	s_delay_alu instid0(VALU_DEP_1) | instskip(SKIP_1) | instid1(VALU_DEP_2)
	v_fmamk_f64 v[14:15], v[12:13], 0xc1f00000, v[10:11]
	v_cvt_i32_f64_e32 v11, v[12:13]
	v_cvt_u32_f64_e32 v10, v[14:15]
	s_branch .LBB15_1499
.LBB15_1497:
	s_mov_b32 s0, -1
                                        ; implicit-def: $vgpr10_vgpr11
	s_branch .LBB15_1502
.LBB15_1498:
	s_mov_b32 s0, -1
                                        ; implicit-def: $vgpr10_vgpr11
.LBB15_1499:
	s_delay_alu instid0(SALU_CYCLE_1)
	s_and_not1_b32 vcc_lo, exec_lo, s0
	s_cbranch_vccnz .LBB15_1501
; %bb.1500:
	global_load_b32 v1, v[8:9], off
	s_wait_loadcnt 0x0
	v_trunc_f32_e32 v1, v1
	s_delay_alu instid0(VALU_DEP_1) | instskip(SKIP_1) | instid1(VALU_DEP_2)
	v_mul_f32_e64 v3, 0x2f800000, |v1|
	v_ashrrev_i32_e32 v10, 31, v1
	v_floor_f32_e32 v3, v3
	s_delay_alu instid0(VALU_DEP_1) | instskip(SKIP_1) | instid1(VALU_DEP_4)
	v_fma_f32 v5, 0xcf800000, v3, |v1|
	v_cvt_u32_f32_e32 v1, v3
	v_mov_b32_e32 v11, v10
	s_delay_alu instid0(VALU_DEP_3) | instskip(NEXT) | instid1(VALU_DEP_3)
	v_cvt_u32_f32_e32 v3, v5
	v_xor_b32_e32 v13, v1, v10
	s_delay_alu instid0(VALU_DEP_2) | instskip(NEXT) | instid1(VALU_DEP_1)
	v_xor_b32_e32 v12, v3, v10
	v_sub_nc_u64_e32 v[10:11], v[12:13], v[10:11]
.LBB15_1501:
	s_mov_b32 s0, 0
.LBB15_1502:
	s_delay_alu instid0(SALU_CYCLE_1)
	s_and_not1_b32 vcc_lo, exec_lo, s0
	s_cbranch_vccnz .LBB15_1504
; %bb.1503:
	global_load_u16 v1, v[8:9], off
	s_wait_loadcnt 0x0
	v_cvt_f32_f16_e32 v1, v1
	s_delay_alu instid0(VALU_DEP_1) | instskip(NEXT) | instid1(VALU_DEP_1)
	v_cvt_i32_f32_e32 v10, v1
	v_ashrrev_i32_e32 v11, 31, v10
.LBB15_1504:
	s_mov_b32 s0, 0
.LBB15_1505:
	s_delay_alu instid0(SALU_CYCLE_1)
	s_and_not1_b32 vcc_lo, exec_lo, s0
	s_cbranch_vccnz .LBB15_1525
; %bb.1506:
	s_cmp_lt_i32 s19, 2
	s_cbranch_scc1 .LBB15_1510
; %bb.1507:
	s_cmp_lt_i32 s19, 3
	s_cbranch_scc1 .LBB15_1511
; %bb.1508:
	s_cmp_gt_i32 s19, 3
	s_cbranch_scc0 .LBB15_1512
; %bb.1509:
	s_wait_loadcnt 0x0
	global_load_b64 v[10:11], v[8:9], off
	s_mov_b32 s0, 0
	s_branch .LBB15_1513
.LBB15_1510:
	s_mov_b32 s0, -1
                                        ; implicit-def: $vgpr10_vgpr11
	s_branch .LBB15_1519
.LBB15_1511:
	s_mov_b32 s0, -1
                                        ; implicit-def: $vgpr10_vgpr11
	s_branch .LBB15_1516
.LBB15_1512:
	s_mov_b32 s0, -1
                                        ; implicit-def: $vgpr10_vgpr11
.LBB15_1513:
	s_delay_alu instid0(SALU_CYCLE_1)
	s_and_not1_b32 vcc_lo, exec_lo, s0
	s_cbranch_vccnz .LBB15_1515
; %bb.1514:
	s_wait_loadcnt 0x0
	global_load_b32 v10, v[8:9], off
	s_wait_loadcnt 0x0
	v_ashrrev_i32_e32 v11, 31, v10
.LBB15_1515:
	s_mov_b32 s0, 0
.LBB15_1516:
	s_delay_alu instid0(SALU_CYCLE_1)
	s_and_not1_b32 vcc_lo, exec_lo, s0
	s_cbranch_vccnz .LBB15_1518
; %bb.1517:
	global_load_u16 v1, v[8:9], off
	s_wait_loadcnt 0x0
	v_bfe_i32 v10, v1, 0, 16
	s_delay_alu instid0(VALU_DEP_1)
	v_ashrrev_i32_e32 v11, 31, v10
.LBB15_1518:
	s_mov_b32 s0, 0
.LBB15_1519:
	s_delay_alu instid0(SALU_CYCLE_1)
	s_and_not1_b32 vcc_lo, exec_lo, s0
	s_cbranch_vccnz .LBB15_1525
; %bb.1520:
	s_cmp_gt_i32 s19, 0
	s_mov_b32 s0, 0
	s_cbranch_scc0 .LBB15_1522
; %bb.1521:
	global_load_i8 v1, v[8:9], off
	s_wait_loadcnt 0x0
	v_bfe_i32 v10, v1, 0, 16
	s_delay_alu instid0(VALU_DEP_1)
	v_ashrrev_i32_e32 v11, 31, v10
	s_branch .LBB15_1523
.LBB15_1522:
	s_mov_b32 s0, -1
                                        ; implicit-def: $vgpr10_vgpr11
.LBB15_1523:
	s_delay_alu instid0(SALU_CYCLE_1)
	s_and_not1_b32 vcc_lo, exec_lo, s0
	s_cbranch_vccnz .LBB15_1525
; %bb.1524:
	global_load_u8 v1, v[8:9], off
	s_mov_b32 s0, 0
	s_wait_loadcnt 0x1
	v_mov_b32_e32 v11, s0
	s_wait_loadcnt 0x0
	v_and_b32_e32 v10, 0xffff, v1
.LBB15_1525:
	s_mov_b32 s20, -1
.LBB15_1526:
	s_delay_alu instid0(SALU_CYCLE_1)
	s_and_not1_b32 vcc_lo, exec_lo, s20
	s_cbranch_vccnz .LBB15_1577
; %bb.1527:
	s_wait_loadcnt 0x0
	s_delay_alu instid0(VALU_DEP_1) | instskip(SKIP_4) | instid1(SALU_CYCLE_1)
	v_cmp_gt_i64_e32 vcc_lo, s[8:9], v[10:11]
	v_cmp_le_i64_e64 s0, s[10:11], v[10:11]
	s_or_b32 s0, vcc_lo, s0
	s_wait_xcnt 0x0
	s_and_saveexec_b32 s7, s0
	s_xor_b32 s0, exec_lo, s7
	s_cbranch_execnz .LBB15_1904
.LBB15_1528:
	s_or_saveexec_b32 s7, s0
	s_mov_b32 s8, 0
	s_mov_b32 s9, 0
                                        ; implicit-def: $vgpr14_vgpr15
                                        ; implicit-def: $sgpr0
	s_xor_b32 exec_lo, exec_lo, s7
	s_cbranch_execz .LBB15_1845
; %bb.1529:
	s_load_b32 s0, s[2:3], 0x168
	v_mov_b32_e32 v7, 0
	s_delay_alu instid0(VALU_DEP_1) | instskip(SKIP_2) | instid1(SALU_CYCLE_1)
	v_add_nc_u64_e32 v[6:7], s[4:5], v[6:7]
	s_wait_kmcnt 0x0
	s_and_b32 s0, s0, 0xff
	s_cmp_lt_i32 s0, 11
	s_cbranch_scc1 .LBB15_1578
; %bb.1530:
	s_and_b32 s2, 0xffff, s0
	s_mov_b32 s10, -1
	s_cmp_gt_i32 s2, 25
	s_mov_b32 s3, 0
	s_cbranch_scc0 .LBB15_1555
; %bb.1531:
	s_cmp_gt_i32 s2, 28
	s_cbranch_scc0 .LBB15_1544
; %bb.1532:
	s_cmp_gt_i32 s2, 43
	;; [unrolled: 3-line block ×3, first 2 shown]
	s_cbranch_scc0 .LBB15_1536
; %bb.1534:
	s_mov_b32 s3, -1
	s_mov_b32 s10, 0
	s_cmp_eq_u32 s2, 46
	s_cbranch_scc0 .LBB15_1536
; %bb.1535:
	v_mov_b32_e32 v1, 0
	s_mov_b32 s3, 0
	s_mov_b32 s8, -1
	global_store_b32 v[6:7], v1, off
.LBB15_1536:
	s_and_b32 vcc_lo, exec_lo, s10
	s_cbranch_vccz .LBB15_1539
; %bb.1537:
	s_cmp_eq_u32 s2, 44
	s_mov_b32 s3, -1
	s_cbranch_scc0 .LBB15_1539
; %bb.1538:
	s_wait_xcnt 0x0
	v_mov_b32_e32 v1, 0
	s_mov_b32 s3, 0
	s_mov_b32 s8, -1
	global_store_b8 v[6:7], v1, off
.LBB15_1539:
	s_mov_b32 s10, 0
.LBB15_1540:
	s_delay_alu instid0(SALU_CYCLE_1)
	s_and_b32 vcc_lo, exec_lo, s10
	s_cbranch_vccz .LBB15_1543
; %bb.1541:
	s_cmp_eq_u32 s2, 29
	s_mov_b32 s3, -1
	s_cbranch_scc0 .LBB15_1543
; %bb.1542:
	v_mov_b64_e32 v[8:9], 0
	s_mov_b32 s3, 0
	s_mov_b32 s8, -1
	global_store_b64 v[6:7], v[8:9], off
.LBB15_1543:
	s_mov_b32 s10, 0
.LBB15_1544:
	s_delay_alu instid0(SALU_CYCLE_1)
	s_and_b32 vcc_lo, exec_lo, s10
	s_cbranch_vccz .LBB15_1554
; %bb.1545:
	s_cmp_lt_i32 s2, 27
	s_mov_b32 s8, -1
	s_cbranch_scc1 .LBB15_1551
; %bb.1546:
	s_cmp_gt_i32 s2, 27
	s_cbranch_scc0 .LBB15_1548
; %bb.1547:
	s_wait_xcnt 0x0
	v_mov_b32_e32 v1, 0
	s_mov_b32 s8, 0
	global_store_b32 v[6:7], v1, off
.LBB15_1548:
	s_and_not1_b32 vcc_lo, exec_lo, s8
	s_cbranch_vccnz .LBB15_1550
; %bb.1549:
	s_wait_xcnt 0x0
	v_mov_b32_e32 v1, 0
	global_store_b16 v[6:7], v1, off
.LBB15_1550:
	s_mov_b32 s8, 0
.LBB15_1551:
	s_delay_alu instid0(SALU_CYCLE_1)
	s_and_not1_b32 vcc_lo, exec_lo, s8
	s_cbranch_vccnz .LBB15_1553
; %bb.1552:
	s_wait_xcnt 0x0
	v_mov_b32_e32 v1, 0
	global_store_b8 v[6:7], v1, off
.LBB15_1553:
	s_mov_b32 s8, -1
.LBB15_1554:
	s_mov_b32 s10, 0
.LBB15_1555:
	s_delay_alu instid0(SALU_CYCLE_1)
	s_and_b32 vcc_lo, exec_lo, s10
	s_cbranch_vccz .LBB15_1573
; %bb.1556:
	s_cmp_gt_i32 s2, 22
	s_mov_b32 s9, -1
	s_cbranch_scc0 .LBB15_1566
; %bb.1557:
	s_cmp_lt_i32 s2, 24
	s_mov_b32 s8, -1
	s_cbranch_scc1 .LBB15_1563
; %bb.1558:
	s_cmp_gt_i32 s2, 24
	s_cbranch_scc0 .LBB15_1560
; %bb.1559:
	s_wait_xcnt 0x0
	v_mov_b32_e32 v1, 0
	s_mov_b32 s8, 0
	global_store_b8 v[6:7], v1, off
.LBB15_1560:
	s_and_not1_b32 vcc_lo, exec_lo, s8
	s_cbranch_vccnz .LBB15_1562
; %bb.1561:
	s_wait_xcnt 0x0
	v_mov_b32_e32 v1, 0
	global_store_b8 v[6:7], v1, off
.LBB15_1562:
	s_mov_b32 s8, 0
.LBB15_1563:
	s_delay_alu instid0(SALU_CYCLE_1)
	s_and_not1_b32 vcc_lo, exec_lo, s8
	s_cbranch_vccnz .LBB15_1565
; %bb.1564:
	s_wait_xcnt 0x0
	v_mov_b32_e32 v1, 0
	global_store_b8 v[6:7], v1, off
.LBB15_1565:
	s_mov_b32 s9, 0
	s_mov_b32 s8, -1
.LBB15_1566:
	s_and_not1_b32 vcc_lo, exec_lo, s9
	s_mov_b32 s9, 0
	s_cbranch_vccnz .LBB15_1573
; %bb.1567:
	s_cmp_gt_i32 s2, 14
	s_mov_b32 s9, -1
	s_cbranch_scc0 .LBB15_1571
; %bb.1568:
	s_cmp_eq_u32 s2, 15
	s_mov_b32 s3, -1
	s_cbranch_scc0 .LBB15_1570
; %bb.1569:
	s_wait_xcnt 0x0
	v_mov_b32_e32 v1, 0
	s_mov_b32 s3, 0
	s_mov_b32 s8, -1
	global_store_b16 v[6:7], v1, off
.LBB15_1570:
	s_mov_b32 s9, 0
.LBB15_1571:
	s_delay_alu instid0(SALU_CYCLE_1)
	s_and_b32 vcc_lo, exec_lo, s9
	s_mov_b32 s9, 0
	s_cbranch_vccz .LBB15_1573
; %bb.1572:
	s_cmp_lg_u32 s2, 11
	s_mov_b32 s9, -1
	s_cselect_b32 s3, -1, 0
.LBB15_1573:
	s_delay_alu instid0(SALU_CYCLE_1)
	s_and_b32 vcc_lo, exec_lo, s3
	s_mov_b32 s2, s6
	s_cbranch_vccnz .LBB15_1898
; %bb.1574:
	s_and_not1_b32 vcc_lo, exec_lo, s9
	s_cbranch_vccnz .LBB15_1576
.LBB15_1575:
	s_wait_xcnt 0x0
	v_mov_b32_e32 v1, 0
	s_mov_b32 s8, -1
	global_store_b8 v[6:7], v1, off
.LBB15_1576:
	s_mov_b32 s3, 0
	s_branch .LBB15_1579
.LBB15_1577:
	s_mov_b32 s8, 0
	s_mov_b32 s9, 0
                                        ; implicit-def: $vgpr14_vgpr15
                                        ; implicit-def: $sgpr0
	s_branch .LBB15_1846
.LBB15_1578:
	s_mov_b32 s3, -1
	s_mov_b32 s2, s6
.LBB15_1579:
	s_and_b32 vcc_lo, exec_lo, s3
	s_cbranch_vccz .LBB15_1618
; %bb.1580:
	s_and_b32 s3, 0xffff, s0
	s_mov_b32 s8, -1
	s_cmp_lt_i32 s3, 5
	s_cbranch_scc1 .LBB15_1601
; %bb.1581:
	s_cmp_lt_i32 s3, 8
	s_cbranch_scc1 .LBB15_1591
; %bb.1582:
	;; [unrolled: 3-line block ×3, first 2 shown]
	s_cmp_gt_i32 s3, 9
	s_cbranch_scc0 .LBB15_1585
; %bb.1584:
	s_wait_xcnt 0x0
	v_mov_b32_e32 v8, 0
	s_mov_b32 s8, 0
	s_delay_alu instid0(VALU_DEP_1)
	v_dual_mov_b32 v9, v8 :: v_dual_mov_b32 v10, v8
	v_mov_b32_e32 v11, v8
	global_store_b128 v[6:7], v[8:11], off
.LBB15_1585:
	s_and_not1_b32 vcc_lo, exec_lo, s8
	s_cbranch_vccnz .LBB15_1587
; %bb.1586:
	s_wait_xcnt 0x0
	v_mov_b64_e32 v[8:9], 0
	global_store_b64 v[6:7], v[8:9], off
.LBB15_1587:
	s_mov_b32 s8, 0
.LBB15_1588:
	s_delay_alu instid0(SALU_CYCLE_1)
	s_and_not1_b32 vcc_lo, exec_lo, s8
	s_cbranch_vccnz .LBB15_1590
; %bb.1589:
	s_wait_xcnt 0x0
	v_mov_b32_e32 v1, 0
	global_store_b32 v[6:7], v1, off
.LBB15_1590:
	s_mov_b32 s8, 0
.LBB15_1591:
	s_delay_alu instid0(SALU_CYCLE_1)
	s_and_not1_b32 vcc_lo, exec_lo, s8
	s_cbranch_vccnz .LBB15_1600
; %bb.1592:
	s_cmp_lt_i32 s3, 6
	s_mov_b32 s8, -1
	s_cbranch_scc1 .LBB15_1598
; %bb.1593:
	s_cmp_gt_i32 s3, 6
	s_cbranch_scc0 .LBB15_1595
; %bb.1594:
	s_wait_xcnt 0x0
	v_mov_b64_e32 v[8:9], 0
	s_mov_b32 s8, 0
	global_store_b64 v[6:7], v[8:9], off
.LBB15_1595:
	s_and_not1_b32 vcc_lo, exec_lo, s8
	s_cbranch_vccnz .LBB15_1597
; %bb.1596:
	s_wait_xcnt 0x0
	v_mov_b32_e32 v1, 0
	global_store_b32 v[6:7], v1, off
.LBB15_1597:
	s_mov_b32 s8, 0
.LBB15_1598:
	s_delay_alu instid0(SALU_CYCLE_1)
	s_and_not1_b32 vcc_lo, exec_lo, s8
	s_cbranch_vccnz .LBB15_1600
; %bb.1599:
	s_wait_xcnt 0x0
	v_mov_b32_e32 v1, 0
	global_store_b16 v[6:7], v1, off
.LBB15_1600:
	s_mov_b32 s8, 0
.LBB15_1601:
	s_delay_alu instid0(SALU_CYCLE_1)
	s_and_not1_b32 vcc_lo, exec_lo, s8
	s_cbranch_vccnz .LBB15_1617
; %bb.1602:
	s_cmp_lt_i32 s3, 2
	s_mov_b32 s8, -1
	s_cbranch_scc1 .LBB15_1612
; %bb.1603:
	s_cmp_lt_i32 s3, 3
	s_cbranch_scc1 .LBB15_1609
; %bb.1604:
	s_cmp_gt_i32 s3, 3
	s_cbranch_scc0 .LBB15_1606
; %bb.1605:
	s_wait_xcnt 0x0
	v_mov_b64_e32 v[8:9], 0
	s_mov_b32 s8, 0
	global_store_b64 v[6:7], v[8:9], off
.LBB15_1606:
	s_and_not1_b32 vcc_lo, exec_lo, s8
	s_cbranch_vccnz .LBB15_1608
; %bb.1607:
	s_wait_xcnt 0x0
	v_mov_b32_e32 v1, 0
	global_store_b32 v[6:7], v1, off
.LBB15_1608:
	s_mov_b32 s8, 0
.LBB15_1609:
	s_delay_alu instid0(SALU_CYCLE_1)
	s_and_not1_b32 vcc_lo, exec_lo, s8
	s_cbranch_vccnz .LBB15_1611
; %bb.1610:
	s_wait_xcnt 0x0
	v_mov_b32_e32 v1, 0
	global_store_b16 v[6:7], v1, off
.LBB15_1611:
	s_mov_b32 s8, 0
.LBB15_1612:
	s_delay_alu instid0(SALU_CYCLE_1)
	s_and_not1_b32 vcc_lo, exec_lo, s8
	s_cbranch_vccnz .LBB15_1617
; %bb.1613:
	s_cmp_gt_i32 s3, 0
	s_mov_b32 s3, -1
	s_cbranch_scc0 .LBB15_1615
; %bb.1614:
	s_wait_xcnt 0x0
	v_mov_b32_e32 v1, 0
	s_mov_b32 s3, 0
	global_store_b8 v[6:7], v1, off
.LBB15_1615:
	s_and_not1_b32 vcc_lo, exec_lo, s3
	s_cbranch_vccnz .LBB15_1617
; %bb.1616:
	s_wait_xcnt 0x0
	v_mov_b32_e32 v1, 0
	global_store_b8 v[6:7], v1, off
.LBB15_1617:
	s_mov_b32 s8, -1
.LBB15_1618:
	s_delay_alu instid0(SALU_CYCLE_1)
	s_and_not1_b32 vcc_lo, exec_lo, s8
	s_cbranch_vccnz .LBB15_1843
; %bb.1619:
	v_mov_b32_e32 v5, 0
	s_and_b32 s3, 0xffff, s0
	s_delay_alu instid0(SALU_CYCLE_1) | instskip(NEXT) | instid1(VALU_DEP_1)
	s_cmp_lt_i32 s3, 11
	v_add_nc_u64_e32 v[4:5], s[4:5], v[4:5]
	s_cbranch_scc1 .LBB15_1667
; %bb.1620:
	s_mov_b32 s11, -1
	s_mov_b32 s10, 0
	s_cmp_gt_i32 s3, 25
	s_mov_b32 s9, 0
	s_mov_b32 s8, 0
	s_cbranch_scc0 .LBB15_1645
; %bb.1621:
	s_cmp_gt_i32 s3, 28
	s_cbranch_scc0 .LBB15_1634
; %bb.1622:
	s_cmp_gt_i32 s3, 43
	;; [unrolled: 3-line block ×3, first 2 shown]
	s_cbranch_scc0 .LBB15_1626
; %bb.1624:
	s_mov_b32 s8, -1
	s_mov_b32 s11, 0
	s_cmp_eq_u32 s3, 46
	s_cbranch_scc0 .LBB15_1626
; %bb.1625:
	s_wait_xcnt 0x0
	v_mov_b32_e32 v1, 0
	s_mov_b32 s8, 0
	s_mov_b32 s9, -1
	global_store_b32 v[4:5], v1, off
.LBB15_1626:
	s_and_b32 vcc_lo, exec_lo, s11
	s_cbranch_vccz .LBB15_1629
; %bb.1627:
	s_cmp_eq_u32 s3, 44
	s_mov_b32 s8, -1
	s_cbranch_scc0 .LBB15_1629
; %bb.1628:
	s_wait_xcnt 0x0
	v_mov_b32_e32 v1, 0
	s_mov_b32 s8, 0
	s_mov_b32 s9, -1
	global_store_b8 v[4:5], v1, off
.LBB15_1629:
	s_mov_b32 s11, 0
.LBB15_1630:
	s_delay_alu instid0(SALU_CYCLE_1)
	s_and_b32 vcc_lo, exec_lo, s11
	s_cbranch_vccz .LBB15_1633
; %bb.1631:
	s_cmp_eq_u32 s3, 29
	s_mov_b32 s8, -1
	s_cbranch_scc0 .LBB15_1633
; %bb.1632:
	s_wait_xcnt 0x0
	v_mov_b64_e32 v[6:7], 0
	s_mov_b32 s8, 0
	s_mov_b32 s9, -1
	global_store_b64 v[4:5], v[6:7], off
.LBB15_1633:
	s_mov_b32 s11, 0
.LBB15_1634:
	s_delay_alu instid0(SALU_CYCLE_1)
	s_and_b32 vcc_lo, exec_lo, s11
	s_cbranch_vccz .LBB15_1644
; %bb.1635:
	s_cmp_lt_i32 s3, 27
	s_mov_b32 s9, -1
	s_cbranch_scc1 .LBB15_1641
; %bb.1636:
	s_cmp_gt_i32 s3, 27
	s_cbranch_scc0 .LBB15_1638
; %bb.1637:
	s_wait_xcnt 0x0
	v_mov_b32_e32 v1, 0
	s_mov_b32 s9, 0
	global_store_b32 v[4:5], v1, off
.LBB15_1638:
	s_and_not1_b32 vcc_lo, exec_lo, s9
	s_cbranch_vccnz .LBB15_1640
; %bb.1639:
	s_wait_xcnt 0x0
	v_mov_b32_e32 v1, 0
	global_store_b16 v[4:5], v1, off
.LBB15_1640:
	s_mov_b32 s9, 0
.LBB15_1641:
	s_delay_alu instid0(SALU_CYCLE_1)
	s_and_not1_b32 vcc_lo, exec_lo, s9
	s_cbranch_vccnz .LBB15_1643
; %bb.1642:
	s_wait_xcnt 0x0
	v_mov_b32_e32 v1, 0
	global_store_b8 v[4:5], v1, off
.LBB15_1643:
	s_mov_b32 s9, -1
.LBB15_1644:
	s_mov_b32 s11, 0
.LBB15_1645:
	s_delay_alu instid0(SALU_CYCLE_1)
	s_and_b32 vcc_lo, exec_lo, s11
	s_cbranch_vccz .LBB15_1663
; %bb.1646:
	s_cmp_gt_i32 s3, 22
	s_mov_b32 s10, -1
	s_cbranch_scc0 .LBB15_1656
; %bb.1647:
	s_cmp_lt_i32 s3, 24
	s_mov_b32 s9, -1
	s_cbranch_scc1 .LBB15_1653
; %bb.1648:
	s_cmp_gt_i32 s3, 24
	s_cbranch_scc0 .LBB15_1650
; %bb.1649:
	s_wait_xcnt 0x0
	v_mov_b32_e32 v1, 0
	s_mov_b32 s9, 0
	global_store_b8 v[4:5], v1, off
.LBB15_1650:
	s_and_not1_b32 vcc_lo, exec_lo, s9
	s_cbranch_vccnz .LBB15_1652
; %bb.1651:
	s_wait_xcnt 0x0
	v_mov_b32_e32 v1, 0
	global_store_b8 v[4:5], v1, off
.LBB15_1652:
	s_mov_b32 s9, 0
.LBB15_1653:
	s_delay_alu instid0(SALU_CYCLE_1)
	s_and_not1_b32 vcc_lo, exec_lo, s9
	s_cbranch_vccnz .LBB15_1655
; %bb.1654:
	s_wait_xcnt 0x0
	v_mov_b32_e32 v1, 0
	global_store_b8 v[4:5], v1, off
.LBB15_1655:
	s_mov_b32 s10, 0
	s_mov_b32 s9, -1
.LBB15_1656:
	s_and_not1_b32 vcc_lo, exec_lo, s10
	s_mov_b32 s10, 0
	s_cbranch_vccnz .LBB15_1663
; %bb.1657:
	s_cmp_gt_i32 s3, 14
	s_mov_b32 s10, -1
	s_cbranch_scc0 .LBB15_1661
; %bb.1658:
	s_cmp_eq_u32 s3, 15
	s_mov_b32 s8, -1
	s_cbranch_scc0 .LBB15_1660
; %bb.1659:
	s_wait_xcnt 0x0
	v_mov_b32_e32 v1, 0
	s_mov_b32 s8, 0
	s_mov_b32 s9, -1
	global_store_b16 v[4:5], v1, off
.LBB15_1660:
	s_mov_b32 s10, 0
.LBB15_1661:
	s_delay_alu instid0(SALU_CYCLE_1)
	s_and_b32 vcc_lo, exec_lo, s10
	s_mov_b32 s10, 0
	s_cbranch_vccz .LBB15_1663
; %bb.1662:
	s_cmp_lg_u32 s3, 11
	s_mov_b32 s10, -1
	s_cselect_b32 s8, -1, 0
.LBB15_1663:
	s_delay_alu instid0(SALU_CYCLE_1)
	s_and_b32 vcc_lo, exec_lo, s8
	s_cbranch_vccnz .LBB15_1900
; %bb.1664:
	s_and_not1_b32 vcc_lo, exec_lo, s10
	s_cbranch_vccnz .LBB15_1666
.LBB15_1665:
	s_wait_xcnt 0x0
	v_mov_b32_e32 v1, 0
	s_mov_b32 s9, -1
	global_store_b8 v[4:5], v1, off
.LBB15_1666:
	s_mov_b32 s8, 0
	s_branch .LBB15_1668
.LBB15_1667:
	s_mov_b32 s8, -1
	s_mov_b32 s9, 0
.LBB15_1668:
	s_and_b32 vcc_lo, exec_lo, s8
	s_cbranch_vccz .LBB15_1707
; %bb.1669:
	s_cmp_lt_i32 s3, 5
	s_mov_b32 s8, -1
	s_cbranch_scc1 .LBB15_1690
; %bb.1670:
	s_cmp_lt_i32 s3, 8
	s_cbranch_scc1 .LBB15_1680
; %bb.1671:
	s_cmp_lt_i32 s3, 9
	s_cbranch_scc1 .LBB15_1677
; %bb.1672:
	s_cmp_gt_i32 s3, 9
	s_cbranch_scc0 .LBB15_1674
; %bb.1673:
	s_wait_xcnt 0x0
	v_mov_b32_e32 v6, 0
	s_mov_b32 s8, 0
	s_delay_alu instid0(VALU_DEP_1)
	v_dual_mov_b32 v7, v6 :: v_dual_mov_b32 v8, v6
	v_mov_b32_e32 v9, v6
	global_store_b128 v[4:5], v[6:9], off
.LBB15_1674:
	s_and_not1_b32 vcc_lo, exec_lo, s8
	s_cbranch_vccnz .LBB15_1676
; %bb.1675:
	s_wait_xcnt 0x0
	v_mov_b64_e32 v[6:7], 0
	global_store_b64 v[4:5], v[6:7], off
.LBB15_1676:
	s_mov_b32 s8, 0
.LBB15_1677:
	s_delay_alu instid0(SALU_CYCLE_1)
	s_and_not1_b32 vcc_lo, exec_lo, s8
	s_cbranch_vccnz .LBB15_1679
; %bb.1678:
	s_wait_xcnt 0x0
	v_mov_b32_e32 v1, 0
	global_store_b32 v[4:5], v1, off
.LBB15_1679:
	s_mov_b32 s8, 0
.LBB15_1680:
	s_delay_alu instid0(SALU_CYCLE_1)
	s_and_not1_b32 vcc_lo, exec_lo, s8
	s_cbranch_vccnz .LBB15_1689
; %bb.1681:
	s_cmp_lt_i32 s3, 6
	s_mov_b32 s8, -1
	s_cbranch_scc1 .LBB15_1687
; %bb.1682:
	s_cmp_gt_i32 s3, 6
	s_cbranch_scc0 .LBB15_1684
; %bb.1683:
	s_wait_xcnt 0x0
	v_mov_b64_e32 v[6:7], 0
	s_mov_b32 s8, 0
	global_store_b64 v[4:5], v[6:7], off
.LBB15_1684:
	s_and_not1_b32 vcc_lo, exec_lo, s8
	s_cbranch_vccnz .LBB15_1686
; %bb.1685:
	s_wait_xcnt 0x0
	v_mov_b32_e32 v1, 0
	global_store_b32 v[4:5], v1, off
.LBB15_1686:
	s_mov_b32 s8, 0
.LBB15_1687:
	s_delay_alu instid0(SALU_CYCLE_1)
	s_and_not1_b32 vcc_lo, exec_lo, s8
	s_cbranch_vccnz .LBB15_1689
; %bb.1688:
	s_wait_xcnt 0x0
	v_mov_b32_e32 v1, 0
	global_store_b16 v[4:5], v1, off
.LBB15_1689:
	s_mov_b32 s8, 0
.LBB15_1690:
	s_delay_alu instid0(SALU_CYCLE_1)
	s_and_not1_b32 vcc_lo, exec_lo, s8
	s_cbranch_vccnz .LBB15_1706
; %bb.1691:
	s_cmp_lt_i32 s3, 2
	s_mov_b32 s8, -1
	s_cbranch_scc1 .LBB15_1701
; %bb.1692:
	s_cmp_lt_i32 s3, 3
	s_cbranch_scc1 .LBB15_1698
; %bb.1693:
	s_cmp_gt_i32 s3, 3
	s_cbranch_scc0 .LBB15_1695
; %bb.1694:
	s_wait_xcnt 0x0
	v_mov_b64_e32 v[6:7], 0
	s_mov_b32 s8, 0
	global_store_b64 v[4:5], v[6:7], off
.LBB15_1695:
	s_and_not1_b32 vcc_lo, exec_lo, s8
	s_cbranch_vccnz .LBB15_1697
; %bb.1696:
	s_wait_xcnt 0x0
	v_mov_b32_e32 v1, 0
	global_store_b32 v[4:5], v1, off
.LBB15_1697:
	s_mov_b32 s8, 0
.LBB15_1698:
	s_delay_alu instid0(SALU_CYCLE_1)
	s_and_not1_b32 vcc_lo, exec_lo, s8
	s_cbranch_vccnz .LBB15_1700
; %bb.1699:
	s_wait_xcnt 0x0
	v_mov_b32_e32 v1, 0
	global_store_b16 v[4:5], v1, off
.LBB15_1700:
	s_mov_b32 s8, 0
.LBB15_1701:
	s_delay_alu instid0(SALU_CYCLE_1)
	s_and_not1_b32 vcc_lo, exec_lo, s8
	s_cbranch_vccnz .LBB15_1706
; %bb.1702:
	s_cmp_gt_i32 s3, 0
	s_mov_b32 s8, -1
	s_cbranch_scc0 .LBB15_1704
; %bb.1703:
	s_wait_xcnt 0x0
	v_mov_b32_e32 v1, 0
	s_mov_b32 s8, 0
	global_store_b8 v[4:5], v1, off
.LBB15_1704:
	s_and_not1_b32 vcc_lo, exec_lo, s8
	s_cbranch_vccnz .LBB15_1706
; %bb.1705:
	s_wait_xcnt 0x0
	v_mov_b32_e32 v1, 0
	global_store_b8 v[4:5], v1, off
.LBB15_1706:
	s_mov_b32 s9, -1
.LBB15_1707:
	s_delay_alu instid0(SALU_CYCLE_1)
	s_and_not1_b32 vcc_lo, exec_lo, s9
	s_cbranch_vccnz .LBB15_1843
; %bb.1708:
	v_mov_b32_e32 v3, 0
	s_cmp_lt_i32 s3, 11
	s_delay_alu instid0(VALU_DEP_1)
	v_add_nc_u64_e32 v[2:3], s[4:5], v[2:3]
	s_cbranch_scc1 .LBB15_1756
; %bb.1709:
	s_mov_b32 s11, -1
	s_mov_b32 s10, 0
	s_cmp_gt_i32 s3, 25
	s_mov_b32 s9, 0
	s_mov_b32 s8, 0
	s_cbranch_scc0 .LBB15_1734
; %bb.1710:
	s_cmp_gt_i32 s3, 28
	s_cbranch_scc0 .LBB15_1723
; %bb.1711:
	s_cmp_gt_i32 s3, 43
	;; [unrolled: 3-line block ×3, first 2 shown]
	s_cbranch_scc0 .LBB15_1715
; %bb.1713:
	s_mov_b32 s8, -1
	s_mov_b32 s11, 0
	s_cmp_eq_u32 s3, 46
	s_cbranch_scc0 .LBB15_1715
; %bb.1714:
	s_wait_xcnt 0x0
	v_mov_b32_e32 v1, 0
	s_mov_b32 s8, 0
	s_mov_b32 s9, -1
	global_store_b32 v[2:3], v1, off
.LBB15_1715:
	s_and_b32 vcc_lo, exec_lo, s11
	s_cbranch_vccz .LBB15_1718
; %bb.1716:
	s_cmp_eq_u32 s3, 44
	s_mov_b32 s8, -1
	s_cbranch_scc0 .LBB15_1718
; %bb.1717:
	s_wait_xcnt 0x0
	v_mov_b32_e32 v1, 0
	s_mov_b32 s8, 0
	s_mov_b32 s9, -1
	global_store_b8 v[2:3], v1, off
.LBB15_1718:
	s_mov_b32 s11, 0
.LBB15_1719:
	s_delay_alu instid0(SALU_CYCLE_1)
	s_and_b32 vcc_lo, exec_lo, s11
	s_cbranch_vccz .LBB15_1722
; %bb.1720:
	s_cmp_eq_u32 s3, 29
	s_mov_b32 s8, -1
	s_cbranch_scc0 .LBB15_1722
; %bb.1721:
	s_wait_xcnt 0x0
	v_mov_b64_e32 v[4:5], 0
	s_mov_b32 s8, 0
	s_mov_b32 s9, -1
	global_store_b64 v[2:3], v[4:5], off
.LBB15_1722:
	s_mov_b32 s11, 0
.LBB15_1723:
	s_delay_alu instid0(SALU_CYCLE_1)
	s_and_b32 vcc_lo, exec_lo, s11
	s_cbranch_vccz .LBB15_1733
; %bb.1724:
	s_cmp_lt_i32 s3, 27
	s_mov_b32 s9, -1
	s_cbranch_scc1 .LBB15_1730
; %bb.1725:
	s_cmp_gt_i32 s3, 27
	s_cbranch_scc0 .LBB15_1727
; %bb.1726:
	s_wait_xcnt 0x0
	v_mov_b32_e32 v1, 0
	s_mov_b32 s9, 0
	global_store_b32 v[2:3], v1, off
.LBB15_1727:
	s_and_not1_b32 vcc_lo, exec_lo, s9
	s_cbranch_vccnz .LBB15_1729
; %bb.1728:
	s_wait_xcnt 0x0
	v_mov_b32_e32 v1, 0
	global_store_b16 v[2:3], v1, off
.LBB15_1729:
	s_mov_b32 s9, 0
.LBB15_1730:
	s_delay_alu instid0(SALU_CYCLE_1)
	s_and_not1_b32 vcc_lo, exec_lo, s9
	s_cbranch_vccnz .LBB15_1732
; %bb.1731:
	s_wait_xcnt 0x0
	v_mov_b32_e32 v1, 0
	global_store_b8 v[2:3], v1, off
.LBB15_1732:
	s_mov_b32 s9, -1
.LBB15_1733:
	s_mov_b32 s11, 0
.LBB15_1734:
	s_delay_alu instid0(SALU_CYCLE_1)
	s_and_b32 vcc_lo, exec_lo, s11
	s_cbranch_vccz .LBB15_1752
; %bb.1735:
	s_cmp_gt_i32 s3, 22
	s_mov_b32 s10, -1
	s_cbranch_scc0 .LBB15_1745
; %bb.1736:
	s_cmp_lt_i32 s3, 24
	s_mov_b32 s9, -1
	s_cbranch_scc1 .LBB15_1742
; %bb.1737:
	s_cmp_gt_i32 s3, 24
	s_cbranch_scc0 .LBB15_1739
; %bb.1738:
	s_wait_xcnt 0x0
	v_mov_b32_e32 v1, 0
	s_mov_b32 s9, 0
	global_store_b8 v[2:3], v1, off
.LBB15_1739:
	s_and_not1_b32 vcc_lo, exec_lo, s9
	s_cbranch_vccnz .LBB15_1741
; %bb.1740:
	s_wait_xcnt 0x0
	v_mov_b32_e32 v1, 0
	global_store_b8 v[2:3], v1, off
.LBB15_1741:
	s_mov_b32 s9, 0
.LBB15_1742:
	s_delay_alu instid0(SALU_CYCLE_1)
	s_and_not1_b32 vcc_lo, exec_lo, s9
	s_cbranch_vccnz .LBB15_1744
; %bb.1743:
	s_wait_xcnt 0x0
	v_mov_b32_e32 v1, 0
	global_store_b8 v[2:3], v1, off
.LBB15_1744:
	s_mov_b32 s10, 0
	s_mov_b32 s9, -1
.LBB15_1745:
	s_and_not1_b32 vcc_lo, exec_lo, s10
	s_mov_b32 s10, 0
	s_cbranch_vccnz .LBB15_1752
; %bb.1746:
	s_cmp_gt_i32 s3, 14
	s_mov_b32 s10, -1
	s_cbranch_scc0 .LBB15_1750
; %bb.1747:
	s_cmp_eq_u32 s3, 15
	s_mov_b32 s8, -1
	s_cbranch_scc0 .LBB15_1749
; %bb.1748:
	s_wait_xcnt 0x0
	v_mov_b32_e32 v1, 0
	s_mov_b32 s8, 0
	s_mov_b32 s9, -1
	global_store_b16 v[2:3], v1, off
.LBB15_1749:
	s_mov_b32 s10, 0
.LBB15_1750:
	s_delay_alu instid0(SALU_CYCLE_1)
	s_and_b32 vcc_lo, exec_lo, s10
	s_mov_b32 s10, 0
	s_cbranch_vccz .LBB15_1752
; %bb.1751:
	s_cmp_lg_u32 s3, 11
	s_mov_b32 s10, -1
	s_cselect_b32 s8, -1, 0
.LBB15_1752:
	s_delay_alu instid0(SALU_CYCLE_1)
	s_and_b32 vcc_lo, exec_lo, s8
	s_cbranch_vccnz .LBB15_1901
; %bb.1753:
	s_and_not1_b32 vcc_lo, exec_lo, s10
	s_cbranch_vccnz .LBB15_1755
.LBB15_1754:
	s_wait_xcnt 0x0
	v_mov_b32_e32 v1, 0
	s_mov_b32 s9, -1
	global_store_b8 v[2:3], v1, off
.LBB15_1755:
	s_mov_b32 s8, 0
	s_branch .LBB15_1757
.LBB15_1756:
	s_mov_b32 s8, -1
	s_mov_b32 s9, 0
.LBB15_1757:
	s_and_b32 vcc_lo, exec_lo, s8
	s_cbranch_vccz .LBB15_1796
; %bb.1758:
	s_cmp_lt_i32 s3, 5
	s_mov_b32 s8, -1
	s_cbranch_scc1 .LBB15_1779
; %bb.1759:
	s_cmp_lt_i32 s3, 8
	s_cbranch_scc1 .LBB15_1769
; %bb.1760:
	s_cmp_lt_i32 s3, 9
	s_cbranch_scc1 .LBB15_1766
; %bb.1761:
	s_cmp_gt_i32 s3, 9
	s_cbranch_scc0 .LBB15_1763
; %bb.1762:
	s_wait_xcnt 0x0
	v_mov_b32_e32 v4, 0
	s_mov_b32 s8, 0
	s_delay_alu instid0(VALU_DEP_1)
	v_dual_mov_b32 v5, v4 :: v_dual_mov_b32 v6, v4
	v_mov_b32_e32 v7, v4
	global_store_b128 v[2:3], v[4:7], off
.LBB15_1763:
	s_and_not1_b32 vcc_lo, exec_lo, s8
	s_cbranch_vccnz .LBB15_1765
; %bb.1764:
	s_wait_xcnt 0x0
	v_mov_b64_e32 v[4:5], 0
	global_store_b64 v[2:3], v[4:5], off
.LBB15_1765:
	s_mov_b32 s8, 0
.LBB15_1766:
	s_delay_alu instid0(SALU_CYCLE_1)
	s_and_not1_b32 vcc_lo, exec_lo, s8
	s_cbranch_vccnz .LBB15_1768
; %bb.1767:
	s_wait_xcnt 0x0
	v_mov_b32_e32 v1, 0
	global_store_b32 v[2:3], v1, off
.LBB15_1768:
	s_mov_b32 s8, 0
.LBB15_1769:
	s_delay_alu instid0(SALU_CYCLE_1)
	s_and_not1_b32 vcc_lo, exec_lo, s8
	s_cbranch_vccnz .LBB15_1778
; %bb.1770:
	s_cmp_lt_i32 s3, 6
	s_mov_b32 s8, -1
	s_cbranch_scc1 .LBB15_1776
; %bb.1771:
	s_cmp_gt_i32 s3, 6
	s_cbranch_scc0 .LBB15_1773
; %bb.1772:
	s_wait_xcnt 0x0
	v_mov_b64_e32 v[4:5], 0
	s_mov_b32 s8, 0
	global_store_b64 v[2:3], v[4:5], off
.LBB15_1773:
	s_and_not1_b32 vcc_lo, exec_lo, s8
	s_cbranch_vccnz .LBB15_1775
; %bb.1774:
	s_wait_xcnt 0x0
	v_mov_b32_e32 v1, 0
	global_store_b32 v[2:3], v1, off
.LBB15_1775:
	s_mov_b32 s8, 0
.LBB15_1776:
	s_delay_alu instid0(SALU_CYCLE_1)
	s_and_not1_b32 vcc_lo, exec_lo, s8
	s_cbranch_vccnz .LBB15_1778
; %bb.1777:
	s_wait_xcnt 0x0
	v_mov_b32_e32 v1, 0
	global_store_b16 v[2:3], v1, off
.LBB15_1778:
	s_mov_b32 s8, 0
.LBB15_1779:
	s_delay_alu instid0(SALU_CYCLE_1)
	s_and_not1_b32 vcc_lo, exec_lo, s8
	s_cbranch_vccnz .LBB15_1795
; %bb.1780:
	s_cmp_lt_i32 s3, 2
	s_mov_b32 s8, -1
	s_cbranch_scc1 .LBB15_1790
; %bb.1781:
	s_cmp_lt_i32 s3, 3
	s_cbranch_scc1 .LBB15_1787
; %bb.1782:
	s_cmp_gt_i32 s3, 3
	s_cbranch_scc0 .LBB15_1784
; %bb.1783:
	s_wait_xcnt 0x0
	v_mov_b64_e32 v[4:5], 0
	s_mov_b32 s8, 0
	global_store_b64 v[2:3], v[4:5], off
.LBB15_1784:
	s_and_not1_b32 vcc_lo, exec_lo, s8
	s_cbranch_vccnz .LBB15_1786
; %bb.1785:
	s_wait_xcnt 0x0
	v_mov_b32_e32 v1, 0
	global_store_b32 v[2:3], v1, off
.LBB15_1786:
	s_mov_b32 s8, 0
.LBB15_1787:
	s_delay_alu instid0(SALU_CYCLE_1)
	s_and_not1_b32 vcc_lo, exec_lo, s8
	s_cbranch_vccnz .LBB15_1789
; %bb.1788:
	s_wait_xcnt 0x0
	v_mov_b32_e32 v1, 0
	global_store_b16 v[2:3], v1, off
.LBB15_1789:
	s_mov_b32 s8, 0
.LBB15_1790:
	s_delay_alu instid0(SALU_CYCLE_1)
	s_and_not1_b32 vcc_lo, exec_lo, s8
	s_cbranch_vccnz .LBB15_1795
; %bb.1791:
	s_cmp_gt_i32 s3, 0
	s_mov_b32 s8, -1
	s_cbranch_scc0 .LBB15_1793
; %bb.1792:
	s_wait_xcnt 0x0
	v_mov_b32_e32 v1, 0
	s_mov_b32 s8, 0
	global_store_b8 v[2:3], v1, off
.LBB15_1793:
	s_and_not1_b32 vcc_lo, exec_lo, s8
	s_cbranch_vccnz .LBB15_1795
; %bb.1794:
	s_wait_xcnt 0x0
	v_mov_b32_e32 v1, 0
	global_store_b8 v[2:3], v1, off
.LBB15_1795:
	s_mov_b32 s9, -1
.LBB15_1796:
	s_delay_alu instid0(SALU_CYCLE_1)
	s_and_not1_b32 vcc_lo, exec_lo, s9
	s_cbranch_vccnz .LBB15_1843
; %bb.1797:
	s_wait_xcnt 0x0
	v_mov_b32_e32 v1, 0
	s_cmp_lt_i32 s3, 11
	s_delay_alu instid0(VALU_DEP_1)
	v_add_nc_u64_e32 v[14:15], s[4:5], v[0:1]
	s_cbranch_scc1 .LBB15_1897
; %bb.1798:
	s_mov_b32 s8, -1
	s_mov_b32 s4, 0
	s_cmp_gt_i32 s3, 25
	s_mov_b32 s5, 0
	s_cbranch_scc0 .LBB15_1823
; %bb.1799:
	s_cmp_gt_i32 s3, 28
	s_cbranch_scc0 .LBB15_1813
; %bb.1800:
	s_cmp_gt_i32 s3, 43
	;; [unrolled: 3-line block ×3, first 2 shown]
	s_cbranch_scc0 .LBB15_1805
; %bb.1802:
	s_cmp_eq_u32 s3, 46
	s_mov_b32 s5, -1
	s_cbranch_scc0 .LBB15_1804
; %bb.1803:
	v_mov_b32_e32 v0, 0
	s_mov_b32 s5, 0
	global_store_b32 v[14:15], v0, off
.LBB15_1804:
	s_mov_b32 s8, 0
.LBB15_1805:
	s_delay_alu instid0(SALU_CYCLE_1)
	s_and_b32 vcc_lo, exec_lo, s8
	s_cbranch_vccz .LBB15_1808
; %bb.1806:
	s_cmp_eq_u32 s3, 44
	s_mov_b32 s5, -1
	s_cbranch_scc0 .LBB15_1808
; %bb.1807:
	s_wait_xcnt 0x0
	v_mov_b32_e32 v0, 0
	s_mov_b32 s5, 0
	global_store_b8 v[14:15], v0, off
.LBB15_1808:
	s_mov_b32 s8, 0
.LBB15_1809:
	s_delay_alu instid0(SALU_CYCLE_1)
	s_and_b32 vcc_lo, exec_lo, s8
	s_cbranch_vccz .LBB15_1812
; %bb.1810:
	s_cmp_eq_u32 s3, 29
	s_mov_b32 s5, -1
	s_cbranch_scc0 .LBB15_1812
; %bb.1811:
	s_wait_xcnt 0x0
	v_mov_b64_e32 v[0:1], 0
	s_mov_b32 s5, 0
	global_store_b64 v[14:15], v[0:1], off
.LBB15_1812:
	s_mov_b32 s8, 0
.LBB15_1813:
	s_delay_alu instid0(SALU_CYCLE_1)
	s_and_b32 vcc_lo, exec_lo, s8
	s_cbranch_vccz .LBB15_1822
; %bb.1814:
	s_cmp_lt_i32 s3, 27
	s_mov_b32 s8, -1
	s_cbranch_scc1 .LBB15_1820
; %bb.1815:
	s_cmp_gt_i32 s3, 27
	s_cbranch_scc0 .LBB15_1817
; %bb.1816:
	s_wait_xcnt 0x0
	v_mov_b32_e32 v0, 0
	s_mov_b32 s8, 0
	global_store_b32 v[14:15], v0, off
.LBB15_1817:
	s_and_not1_b32 vcc_lo, exec_lo, s8
	s_cbranch_vccnz .LBB15_1819
; %bb.1818:
	s_wait_xcnt 0x0
	v_mov_b32_e32 v0, 0
	global_store_b16 v[14:15], v0, off
.LBB15_1819:
	s_mov_b32 s8, 0
.LBB15_1820:
	s_delay_alu instid0(SALU_CYCLE_1)
	s_and_not1_b32 vcc_lo, exec_lo, s8
	s_cbranch_vccnz .LBB15_1822
; %bb.1821:
	s_wait_xcnt 0x0
	v_mov_b32_e32 v0, 0
	global_store_b8 v[14:15], v0, off
.LBB15_1822:
	s_mov_b32 s8, 0
.LBB15_1823:
	s_delay_alu instid0(SALU_CYCLE_1)
	s_and_b32 vcc_lo, exec_lo, s8
	s_cbranch_vccz .LBB15_1841
; %bb.1824:
	s_cmp_gt_i32 s3, 22
	s_mov_b32 s4, -1
	s_cbranch_scc0 .LBB15_1834
; %bb.1825:
	s_cmp_lt_i32 s3, 24
	s_cbranch_scc1 .LBB15_1831
; %bb.1826:
	s_cmp_gt_i32 s3, 24
	s_cbranch_scc0 .LBB15_1828
; %bb.1827:
	s_wait_xcnt 0x0
	v_mov_b32_e32 v0, 0
	s_mov_b32 s4, 0
	global_store_b8 v[14:15], v0, off
.LBB15_1828:
	s_and_not1_b32 vcc_lo, exec_lo, s4
	s_cbranch_vccnz .LBB15_1830
; %bb.1829:
	s_wait_xcnt 0x0
	v_mov_b32_e32 v0, 0
	global_store_b8 v[14:15], v0, off
.LBB15_1830:
	s_mov_b32 s4, 0
.LBB15_1831:
	s_delay_alu instid0(SALU_CYCLE_1)
	s_and_not1_b32 vcc_lo, exec_lo, s4
	s_cbranch_vccnz .LBB15_1833
; %bb.1832:
	s_wait_xcnt 0x0
	v_mov_b32_e32 v0, 0
	global_store_b8 v[14:15], v0, off
.LBB15_1833:
	s_mov_b32 s4, 0
.LBB15_1834:
	s_delay_alu instid0(SALU_CYCLE_1)
	s_and_not1_b32 vcc_lo, exec_lo, s4
	s_mov_b32 s4, 0
	s_cbranch_vccnz .LBB15_1841
; %bb.1835:
	s_cmp_gt_i32 s3, 14
	s_mov_b32 s4, -1
	s_cbranch_scc0 .LBB15_1839
; %bb.1836:
	s_cmp_eq_u32 s3, 15
	s_mov_b32 s5, -1
	s_cbranch_scc0 .LBB15_1838
; %bb.1837:
	s_wait_xcnt 0x0
	v_mov_b32_e32 v0, 0
	s_mov_b32 s5, 0
	global_store_b16 v[14:15], v0, off
.LBB15_1838:
	s_mov_b32 s4, 0
.LBB15_1839:
	s_delay_alu instid0(SALU_CYCLE_1)
	s_and_b32 vcc_lo, exec_lo, s4
	s_mov_b32 s4, 0
	s_cbranch_vccz .LBB15_1841
; %bb.1840:
	s_cmp_lg_u32 s3, 11
	s_mov_b32 s4, -1
	s_cselect_b32 s5, -1, 0
.LBB15_1841:
	s_delay_alu instid0(SALU_CYCLE_1)
	s_and_b32 vcc_lo, exec_lo, s5
	s_cbranch_vccnz .LBB15_1903
.LBB15_1842:
	s_mov_b32 s3, 0
	s_branch .LBB15_1844
.LBB15_1843:
	s_mov_b32 s3, 0
	s_mov_b32 s4, 0
                                        ; implicit-def: $vgpr14_vgpr15
                                        ; implicit-def: $sgpr0
.LBB15_1844:
	s_and_b32 s9, s3, exec_lo
	s_and_not1_b32 s3, s6, exec_lo
	s_and_b32 s2, s2, exec_lo
	s_and_b32 s8, s4, exec_lo
	s_or_b32 s6, s3, s2
.LBB15_1845:
	s_wait_xcnt 0x0
	s_or_b32 exec_lo, exec_lo, s7
.LBB15_1846:
	s_delay_alu instid0(SALU_CYCLE_1)
	s_and_not1_b32 s2, s17, exec_lo
	s_and_b32 s3, s6, exec_lo
	s_and_b32 s21, s9, exec_lo
	s_and_b32 s20, s8, exec_lo
	s_or_b32 s17, s2, s3
.LBB15_1847:
	s_wait_xcnt 0x0
	s_or_b32 exec_lo, exec_lo, s18
.LBB15_1848:
	s_delay_alu instid0(SALU_CYCLE_1)
	s_and_not1_b32 s2, s15, exec_lo
	s_and_b32 s3, s17, exec_lo
	s_and_b32 s18, s21, exec_lo
	;; [unrolled: 1-line block ×3, first 2 shown]
	s_or_b32 s15, s2, s3
.LBB15_1849:
	s_wait_xcnt 0x0
	s_or_b32 exec_lo, exec_lo, s16
.LBB15_1850:
	s_delay_alu instid0(SALU_CYCLE_1)
	s_and_not1_b32 s1, s1, exec_lo
	s_and_b32 s2, s15, exec_lo
	s_and_b32 s18, s18, exec_lo
	;; [unrolled: 1-line block ×3, first 2 shown]
	s_or_b32 s1, s1, s2
.LBB15_1851:
	s_wait_xcnt 0x0
	s_or_b32 exec_lo, exec_lo, s14
.LBB15_1852:
	s_delay_alu instid0(SALU_CYCLE_1)
	s_and_not1_b32 s2, s12, exec_lo
	s_and_b32 s1, s1, exec_lo
	s_and_b32 s4, s18, exec_lo
	s_and_b32 s35, s16, exec_lo
	s_or_b32 s12, s2, s1
.LBB15_1853:
	s_wait_xcnt 0x0
	s_or_b32 exec_lo, exec_lo, s13
	s_and_saveexec_b32 s1, s12
	s_cbranch_execz .LBB15_1856
; %bb.1854:
	; divergent unreachable
	s_or_b32 exec_lo, exec_lo, s1
	s_and_saveexec_b32 s1, s35
	s_delay_alu instid0(SALU_CYCLE_1)
	s_xor_b32 s1, exec_lo, s1
	s_cbranch_execnz .LBB15_1857
.LBB15_1855:
	s_or_b32 exec_lo, exec_lo, s1
	s_and_saveexec_b32 s1, s4
	s_cbranch_execnz .LBB15_1858
	s_branch .LBB15_1895
.LBB15_1856:
	s_or_b32 exec_lo, exec_lo, s1
	s_and_saveexec_b32 s1, s35
	s_delay_alu instid0(SALU_CYCLE_1)
	s_xor_b32 s1, exec_lo, s1
	s_cbranch_execz .LBB15_1855
.LBB15_1857:
	v_mov_b32_e32 v0, 0
	s_wait_loadcnt 0x0
	global_store_b8 v[14:15], v0, off
	s_wait_xcnt 0x0
	s_or_b32 exec_lo, exec_lo, s1
	s_and_saveexec_b32 s1, s4
	s_cbranch_execz .LBB15_1895
.LBB15_1858:
	s_sext_i32_i16 s2, s0
	s_mov_b32 s1, -1
	s_cmp_lt_i32 s2, 5
	s_cbranch_scc1 .LBB15_1879
; %bb.1859:
	s_cmp_lt_i32 s2, 8
	s_cbranch_scc1 .LBB15_1869
; %bb.1860:
	;; [unrolled: 3-line block ×3, first 2 shown]
	s_cmp_gt_i32 s2, 9
	s_cbranch_scc0 .LBB15_1863
; %bb.1862:
	v_mov_b32_e32 v0, 0
	s_mov_b32 s1, 0
	s_delay_alu instid0(VALU_DEP_1)
	v_dual_mov_b32 v1, v0 :: v_dual_mov_b32 v2, v0
	v_mov_b32_e32 v3, v0
	s_wait_loadcnt 0x0
	global_store_b128 v[14:15], v[0:3], off
.LBB15_1863:
	s_and_not1_b32 vcc_lo, exec_lo, s1
	s_cbranch_vccnz .LBB15_1865
; %bb.1864:
	s_wait_xcnt 0x0
	v_mov_b64_e32 v[0:1], 0
	s_wait_loadcnt 0x0
	global_store_b64 v[14:15], v[0:1], off
.LBB15_1865:
	s_mov_b32 s1, 0
.LBB15_1866:
	s_delay_alu instid0(SALU_CYCLE_1)
	s_and_not1_b32 vcc_lo, exec_lo, s1
	s_cbranch_vccnz .LBB15_1868
; %bb.1867:
	s_wait_xcnt 0x0
	v_mov_b32_e32 v0, 0
	s_wait_loadcnt 0x0
	global_store_b32 v[14:15], v0, off
.LBB15_1868:
	s_mov_b32 s1, 0
.LBB15_1869:
	s_delay_alu instid0(SALU_CYCLE_1)
	s_and_not1_b32 vcc_lo, exec_lo, s1
	s_cbranch_vccnz .LBB15_1878
; %bb.1870:
	s_sext_i32_i16 s2, s0
	s_mov_b32 s1, -1
	s_cmp_lt_i32 s2, 6
	s_cbranch_scc1 .LBB15_1876
; %bb.1871:
	s_cmp_gt_i32 s2, 6
	s_cbranch_scc0 .LBB15_1873
; %bb.1872:
	s_wait_xcnt 0x0
	v_mov_b64_e32 v[0:1], 0
	s_mov_b32 s1, 0
	s_wait_loadcnt 0x0
	global_store_b64 v[14:15], v[0:1], off
.LBB15_1873:
	s_and_not1_b32 vcc_lo, exec_lo, s1
	s_cbranch_vccnz .LBB15_1875
; %bb.1874:
	s_wait_xcnt 0x0
	v_mov_b32_e32 v0, 0
	s_wait_loadcnt 0x0
	global_store_b32 v[14:15], v0, off
.LBB15_1875:
	s_mov_b32 s1, 0
.LBB15_1876:
	s_delay_alu instid0(SALU_CYCLE_1)
	s_and_not1_b32 vcc_lo, exec_lo, s1
	s_cbranch_vccnz .LBB15_1878
; %bb.1877:
	s_wait_xcnt 0x0
	v_mov_b32_e32 v0, 0
	s_wait_loadcnt 0x0
	global_store_b16 v[14:15], v0, off
.LBB15_1878:
	s_mov_b32 s1, 0
.LBB15_1879:
	s_delay_alu instid0(SALU_CYCLE_1)
	s_and_not1_b32 vcc_lo, exec_lo, s1
	s_cbranch_vccnz .LBB15_1895
; %bb.1880:
	s_sext_i32_i16 s2, s0
	s_mov_b32 s1, -1
	s_cmp_lt_i32 s2, 2
	s_cbranch_scc1 .LBB15_1890
; %bb.1881:
	s_cmp_lt_i32 s2, 3
	s_cbranch_scc1 .LBB15_1887
; %bb.1882:
	s_cmp_gt_i32 s2, 3
	s_cbranch_scc0 .LBB15_1884
; %bb.1883:
	s_wait_xcnt 0x0
	v_mov_b64_e32 v[0:1], 0
	s_mov_b32 s1, 0
	s_wait_loadcnt 0x0
	global_store_b64 v[14:15], v[0:1], off
.LBB15_1884:
	s_and_not1_b32 vcc_lo, exec_lo, s1
	s_cbranch_vccnz .LBB15_1886
; %bb.1885:
	s_wait_xcnt 0x0
	v_mov_b32_e32 v0, 0
	s_wait_loadcnt 0x0
	global_store_b32 v[14:15], v0, off
.LBB15_1886:
	s_mov_b32 s1, 0
.LBB15_1887:
	s_delay_alu instid0(SALU_CYCLE_1)
	s_and_not1_b32 vcc_lo, exec_lo, s1
	s_cbranch_vccnz .LBB15_1889
; %bb.1888:
	s_wait_xcnt 0x0
	v_mov_b32_e32 v0, 0
	s_wait_loadcnt 0x0
	global_store_b16 v[14:15], v0, off
.LBB15_1889:
	s_mov_b32 s1, 0
.LBB15_1890:
	s_delay_alu instid0(SALU_CYCLE_1)
	s_and_not1_b32 vcc_lo, exec_lo, s1
	s_cbranch_vccnz .LBB15_1895
; %bb.1891:
	s_sext_i32_i16 s0, s0
	s_delay_alu instid0(SALU_CYCLE_1)
	s_cmp_gt_i32 s0, 0
	s_mov_b32 s0, -1
	s_cbranch_scc0 .LBB15_1893
; %bb.1892:
	s_wait_xcnt 0x0
	v_mov_b32_e32 v0, 0
	s_mov_b32 s0, 0
	s_wait_loadcnt 0x0
	global_store_b8 v[14:15], v0, off
.LBB15_1893:
	s_and_not1_b32 vcc_lo, exec_lo, s0
	s_cbranch_vccnz .LBB15_1895
; %bb.1894:
	s_wait_xcnt 0x0
	v_mov_b32_e32 v0, 0
	s_wait_loadcnt 0x0
	global_store_b8 v[14:15], v0, off
	s_endpgm
.LBB15_1895:
	s_endpgm
.LBB15_1896:
	s_or_b32 s6, s17, exec_lo
	s_trap 2
	s_cbranch_execz .LBB15_1475
	s_branch .LBB15_1476
.LBB15_1897:
	s_mov_b32 s4, 0
	s_mov_b32 s3, -1
	s_branch .LBB15_1844
.LBB15_1898:
	s_or_b32 s2, s6, exec_lo
	s_trap 2
	s_cbranch_execz .LBB15_1575
	s_branch .LBB15_1576
.LBB15_1899:
	s_or_b32 s15, s15, exec_lo
	s_trap 2
                                        ; implicit-def: $vgpr10
                                        ; implicit-def: $vgpr8
                                        ; implicit-def: $vgpr0
                                        ; implicit-def: $vgpr6
                                        ; implicit-def: $vgpr4
                                        ; implicit-def: $vgpr2
	s_branch .LBB15_1042
.LBB15_1900:
	s_or_b32 s2, s2, exec_lo
	s_trap 2
	s_cbranch_execz .LBB15_1665
	s_branch .LBB15_1666
.LBB15_1901:
	s_or_b32 s2, s2, exec_lo
	s_trap 2
	s_cbranch_execz .LBB15_1754
	s_branch .LBB15_1755
.LBB15_1902:
	s_or_b32 s17, s17, exec_lo
	s_trap 2
                                        ; implicit-def: $vgpr8
                                        ; implicit-def: $vgpr0
                                        ; implicit-def: $vgpr6
                                        ; implicit-def: $vgpr4
                                        ; implicit-def: $vgpr2
	s_branch .LBB15_1397
.LBB15_1903:
	s_mov_b32 s4, 0
	s_or_b32 s2, s2, exec_lo
	s_trap 2
	s_branch .LBB15_1842
.LBB15_1904:
	s_or_b32 s6, s6, exec_lo
	s_trap 2
                                        ; implicit-def: $vgpr0
                                        ; implicit-def: $vgpr6
                                        ; implicit-def: $vgpr4
                                        ; implicit-def: $vgpr2
	s_branch .LBB15_1528
	.section	.rodata,"a",@progbits
	.p2align	6, 0x0
	.amdhsa_kernel _ZN2at6native32elementwise_kernel_manual_unrollILi128ELi4EZNS0_15gpu_kernel_implIZZZNS0_12_GLOBAL__N_142_validate_compressed_sparse_indices_kernelILNS3_8CDimNameE0ENS3_18CUDAKernelLauncherENS3_14EmptyVecKernelENS3_8DummyVecELm8EEEvRKNS_6TensorESB_lllENKUlvE0_clEvENKUlvE0_clEvEUllE_EEvRNS_18TensorIteratorBaseERKT_EUlibE0_EEviT1_
		.amdhsa_group_segment_fixed_size 0
		.amdhsa_private_segment_fixed_size 0
		.amdhsa_kernarg_size 376
		.amdhsa_user_sgpr_count 2
		.amdhsa_user_sgpr_dispatch_ptr 0
		.amdhsa_user_sgpr_queue_ptr 0
		.amdhsa_user_sgpr_kernarg_segment_ptr 1
		.amdhsa_user_sgpr_dispatch_id 0
		.amdhsa_user_sgpr_kernarg_preload_length 0
		.amdhsa_user_sgpr_kernarg_preload_offset 0
		.amdhsa_user_sgpr_private_segment_size 0
		.amdhsa_wavefront_size32 1
		.amdhsa_uses_dynamic_stack 0
		.amdhsa_enable_private_segment 0
		.amdhsa_system_sgpr_workgroup_id_x 1
		.amdhsa_system_sgpr_workgroup_id_y 0
		.amdhsa_system_sgpr_workgroup_id_z 0
		.amdhsa_system_sgpr_workgroup_info 0
		.amdhsa_system_vgpr_workitem_id 0
		.amdhsa_next_free_vgpr 22
		.amdhsa_next_free_sgpr 76
		.amdhsa_named_barrier_count 0
		.amdhsa_reserve_vcc 1
		.amdhsa_float_round_mode_32 0
		.amdhsa_float_round_mode_16_64 0
		.amdhsa_float_denorm_mode_32 3
		.amdhsa_float_denorm_mode_16_64 3
		.amdhsa_fp16_overflow 0
		.amdhsa_memory_ordered 1
		.amdhsa_forward_progress 1
		.amdhsa_inst_pref_size 255
		.amdhsa_round_robin_scheduling 0
		.amdhsa_exception_fp_ieee_invalid_op 0
		.amdhsa_exception_fp_denorm_src 0
		.amdhsa_exception_fp_ieee_div_zero 0
		.amdhsa_exception_fp_ieee_overflow 0
		.amdhsa_exception_fp_ieee_underflow 0
		.amdhsa_exception_fp_ieee_inexact 0
		.amdhsa_exception_int_div_zero 0
	.end_amdhsa_kernel
	.section	.text._ZN2at6native32elementwise_kernel_manual_unrollILi128ELi4EZNS0_15gpu_kernel_implIZZZNS0_12_GLOBAL__N_142_validate_compressed_sparse_indices_kernelILNS3_8CDimNameE0ENS3_18CUDAKernelLauncherENS3_14EmptyVecKernelENS3_8DummyVecELm8EEEvRKNS_6TensorESB_lllENKUlvE0_clEvENKUlvE0_clEvEUllE_EEvRNS_18TensorIteratorBaseERKT_EUlibE0_EEviT1_,"axG",@progbits,_ZN2at6native32elementwise_kernel_manual_unrollILi128ELi4EZNS0_15gpu_kernel_implIZZZNS0_12_GLOBAL__N_142_validate_compressed_sparse_indices_kernelILNS3_8CDimNameE0ENS3_18CUDAKernelLauncherENS3_14EmptyVecKernelENS3_8DummyVecELm8EEEvRKNS_6TensorESB_lllENKUlvE0_clEvENKUlvE0_clEvEUllE_EEvRNS_18TensorIteratorBaseERKT_EUlibE0_EEviT1_,comdat
.Lfunc_end15:
	.size	_ZN2at6native32elementwise_kernel_manual_unrollILi128ELi4EZNS0_15gpu_kernel_implIZZZNS0_12_GLOBAL__N_142_validate_compressed_sparse_indices_kernelILNS3_8CDimNameE0ENS3_18CUDAKernelLauncherENS3_14EmptyVecKernelENS3_8DummyVecELm8EEEvRKNS_6TensorESB_lllENKUlvE0_clEvENKUlvE0_clEvEUllE_EEvRNS_18TensorIteratorBaseERKT_EUlibE0_EEviT1_, .Lfunc_end15-_ZN2at6native32elementwise_kernel_manual_unrollILi128ELi4EZNS0_15gpu_kernel_implIZZZNS0_12_GLOBAL__N_142_validate_compressed_sparse_indices_kernelILNS3_8CDimNameE0ENS3_18CUDAKernelLauncherENS3_14EmptyVecKernelENS3_8DummyVecELm8EEEvRKNS_6TensorESB_lllENKUlvE0_clEvENKUlvE0_clEvEUllE_EEvRNS_18TensorIteratorBaseERKT_EUlibE0_EEviT1_
                                        ; -- End function
	.set _ZN2at6native32elementwise_kernel_manual_unrollILi128ELi4EZNS0_15gpu_kernel_implIZZZNS0_12_GLOBAL__N_142_validate_compressed_sparse_indices_kernelILNS3_8CDimNameE0ENS3_18CUDAKernelLauncherENS3_14EmptyVecKernelENS3_8DummyVecELm8EEEvRKNS_6TensorESB_lllENKUlvE0_clEvENKUlvE0_clEvEUllE_EEvRNS_18TensorIteratorBaseERKT_EUlibE0_EEviT1_.num_vgpr, 22
	.set _ZN2at6native32elementwise_kernel_manual_unrollILi128ELi4EZNS0_15gpu_kernel_implIZZZNS0_12_GLOBAL__N_142_validate_compressed_sparse_indices_kernelILNS3_8CDimNameE0ENS3_18CUDAKernelLauncherENS3_14EmptyVecKernelENS3_8DummyVecELm8EEEvRKNS_6TensorESB_lllENKUlvE0_clEvENKUlvE0_clEvEUllE_EEvRNS_18TensorIteratorBaseERKT_EUlibE0_EEviT1_.num_agpr, 0
	.set _ZN2at6native32elementwise_kernel_manual_unrollILi128ELi4EZNS0_15gpu_kernel_implIZZZNS0_12_GLOBAL__N_142_validate_compressed_sparse_indices_kernelILNS3_8CDimNameE0ENS3_18CUDAKernelLauncherENS3_14EmptyVecKernelENS3_8DummyVecELm8EEEvRKNS_6TensorESB_lllENKUlvE0_clEvENKUlvE0_clEvEUllE_EEvRNS_18TensorIteratorBaseERKT_EUlibE0_EEviT1_.numbered_sgpr, 76
	.set _ZN2at6native32elementwise_kernel_manual_unrollILi128ELi4EZNS0_15gpu_kernel_implIZZZNS0_12_GLOBAL__N_142_validate_compressed_sparse_indices_kernelILNS3_8CDimNameE0ENS3_18CUDAKernelLauncherENS3_14EmptyVecKernelENS3_8DummyVecELm8EEEvRKNS_6TensorESB_lllENKUlvE0_clEvENKUlvE0_clEvEUllE_EEvRNS_18TensorIteratorBaseERKT_EUlibE0_EEviT1_.num_named_barrier, 0
	.set _ZN2at6native32elementwise_kernel_manual_unrollILi128ELi4EZNS0_15gpu_kernel_implIZZZNS0_12_GLOBAL__N_142_validate_compressed_sparse_indices_kernelILNS3_8CDimNameE0ENS3_18CUDAKernelLauncherENS3_14EmptyVecKernelENS3_8DummyVecELm8EEEvRKNS_6TensorESB_lllENKUlvE0_clEvENKUlvE0_clEvEUllE_EEvRNS_18TensorIteratorBaseERKT_EUlibE0_EEviT1_.private_seg_size, 0
	.set _ZN2at6native32elementwise_kernel_manual_unrollILi128ELi4EZNS0_15gpu_kernel_implIZZZNS0_12_GLOBAL__N_142_validate_compressed_sparse_indices_kernelILNS3_8CDimNameE0ENS3_18CUDAKernelLauncherENS3_14EmptyVecKernelENS3_8DummyVecELm8EEEvRKNS_6TensorESB_lllENKUlvE0_clEvENKUlvE0_clEvEUllE_EEvRNS_18TensorIteratorBaseERKT_EUlibE0_EEviT1_.uses_vcc, 1
	.set _ZN2at6native32elementwise_kernel_manual_unrollILi128ELi4EZNS0_15gpu_kernel_implIZZZNS0_12_GLOBAL__N_142_validate_compressed_sparse_indices_kernelILNS3_8CDimNameE0ENS3_18CUDAKernelLauncherENS3_14EmptyVecKernelENS3_8DummyVecELm8EEEvRKNS_6TensorESB_lllENKUlvE0_clEvENKUlvE0_clEvEUllE_EEvRNS_18TensorIteratorBaseERKT_EUlibE0_EEviT1_.uses_flat_scratch, 0
	.set _ZN2at6native32elementwise_kernel_manual_unrollILi128ELi4EZNS0_15gpu_kernel_implIZZZNS0_12_GLOBAL__N_142_validate_compressed_sparse_indices_kernelILNS3_8CDimNameE0ENS3_18CUDAKernelLauncherENS3_14EmptyVecKernelENS3_8DummyVecELm8EEEvRKNS_6TensorESB_lllENKUlvE0_clEvENKUlvE0_clEvEUllE_EEvRNS_18TensorIteratorBaseERKT_EUlibE0_EEviT1_.has_dyn_sized_stack, 0
	.set _ZN2at6native32elementwise_kernel_manual_unrollILi128ELi4EZNS0_15gpu_kernel_implIZZZNS0_12_GLOBAL__N_142_validate_compressed_sparse_indices_kernelILNS3_8CDimNameE0ENS3_18CUDAKernelLauncherENS3_14EmptyVecKernelENS3_8DummyVecELm8EEEvRKNS_6TensorESB_lllENKUlvE0_clEvENKUlvE0_clEvEUllE_EEvRNS_18TensorIteratorBaseERKT_EUlibE0_EEviT1_.has_recursion, 0
	.set _ZN2at6native32elementwise_kernel_manual_unrollILi128ELi4EZNS0_15gpu_kernel_implIZZZNS0_12_GLOBAL__N_142_validate_compressed_sparse_indices_kernelILNS3_8CDimNameE0ENS3_18CUDAKernelLauncherENS3_14EmptyVecKernelENS3_8DummyVecELm8EEEvRKNS_6TensorESB_lllENKUlvE0_clEvENKUlvE0_clEvEUllE_EEvRNS_18TensorIteratorBaseERKT_EUlibE0_EEviT1_.has_indirect_call, 0
	.section	.AMDGPU.csdata,"",@progbits
; Kernel info:
; codeLenInByte = 40364
; TotalNumSgprs: 78
; NumVgprs: 22
; ScratchSize: 0
; MemoryBound: 1
; FloatMode: 240
; IeeeMode: 1
; LDSByteSize: 0 bytes/workgroup (compile time only)
; SGPRBlocks: 0
; VGPRBlocks: 1
; NumSGPRsForWavesPerEU: 78
; NumVGPRsForWavesPerEU: 22
; NamedBarCnt: 0
; Occupancy: 16
; WaveLimiterHint : 1
; COMPUTE_PGM_RSRC2:SCRATCH_EN: 0
; COMPUTE_PGM_RSRC2:USER_SGPR: 2
; COMPUTE_PGM_RSRC2:TRAP_HANDLER: 0
; COMPUTE_PGM_RSRC2:TGID_X_EN: 1
; COMPUTE_PGM_RSRC2:TGID_Y_EN: 0
; COMPUTE_PGM_RSRC2:TGID_Z_EN: 0
; COMPUTE_PGM_RSRC2:TIDIG_COMP_CNT: 0
	.section	.text._ZN2at6native29vectorized_elementwise_kernelILi16EZZZNS0_12_GLOBAL__N_142_validate_compressed_sparse_indices_kernelILNS2_8CDimNameE0ENS2_18CUDAKernelLauncherENS2_14EmptyVecKernelENS2_8DummyVecELm8EEEvRKNS_6TensorESA_lllENKUlvE1_clEvENKUlvE_clEvEUliiiiiE_St5arrayIPcLm6EEEEviT0_T1_,"axG",@progbits,_ZN2at6native29vectorized_elementwise_kernelILi16EZZZNS0_12_GLOBAL__N_142_validate_compressed_sparse_indices_kernelILNS2_8CDimNameE0ENS2_18CUDAKernelLauncherENS2_14EmptyVecKernelENS2_8DummyVecELm8EEEvRKNS_6TensorESA_lllENKUlvE1_clEvENKUlvE_clEvEUliiiiiE_St5arrayIPcLm6EEEEviT0_T1_,comdat
	.globl	_ZN2at6native29vectorized_elementwise_kernelILi16EZZZNS0_12_GLOBAL__N_142_validate_compressed_sparse_indices_kernelILNS2_8CDimNameE0ENS2_18CUDAKernelLauncherENS2_14EmptyVecKernelENS2_8DummyVecELm8EEEvRKNS_6TensorESA_lllENKUlvE1_clEvENKUlvE_clEvEUliiiiiE_St5arrayIPcLm6EEEEviT0_T1_ ; -- Begin function _ZN2at6native29vectorized_elementwise_kernelILi16EZZZNS0_12_GLOBAL__N_142_validate_compressed_sparse_indices_kernelILNS2_8CDimNameE0ENS2_18CUDAKernelLauncherENS2_14EmptyVecKernelENS2_8DummyVecELm8EEEvRKNS_6TensorESA_lllENKUlvE1_clEvENKUlvE_clEvEUliiiiiE_St5arrayIPcLm6EEEEviT0_T1_
	.p2align	8
	.type	_ZN2at6native29vectorized_elementwise_kernelILi16EZZZNS0_12_GLOBAL__N_142_validate_compressed_sparse_indices_kernelILNS2_8CDimNameE0ENS2_18CUDAKernelLauncherENS2_14EmptyVecKernelENS2_8DummyVecELm8EEEvRKNS_6TensorESA_lllENKUlvE1_clEvENKUlvE_clEvEUliiiiiE_St5arrayIPcLm6EEEEviT0_T1_,@function
_ZN2at6native29vectorized_elementwise_kernelILi16EZZZNS0_12_GLOBAL__N_142_validate_compressed_sparse_indices_kernelILNS2_8CDimNameE0ENS2_18CUDAKernelLauncherENS2_14EmptyVecKernelENS2_8DummyVecELm8EEEvRKNS_6TensorESA_lllENKUlvE1_clEvENKUlvE_clEvEUliiiiiE_St5arrayIPcLm6EEEEviT0_T1_: ; @_ZN2at6native29vectorized_elementwise_kernelILi16EZZZNS0_12_GLOBAL__N_142_validate_compressed_sparse_indices_kernelILNS2_8CDimNameE0ENS2_18CUDAKernelLauncherENS2_14EmptyVecKernelENS2_8DummyVecELm8EEEvRKNS_6TensorESA_lllENKUlvE1_clEvENKUlvE_clEvEUliiiiiE_St5arrayIPcLm6EEEEviT0_T1_
; %bb.0:
	s_clause 0x2
	s_load_b32 s3, s[0:1], 0x0
	s_load_b128 s[12:15], s[0:1], 0xd0
	s_load_b256 s[4:11], s[0:1], 0xb0
	s_bfe_u32 s2, ttmp6, 0x4000c
	s_and_b32 s16, ttmp6, 15
	s_add_co_i32 s2, s2, 1
	s_getreg_b32 s17, hwreg(HW_REG_IB_STS2, 6, 4)
	s_mul_i32 s2, ttmp9, s2
	s_or_b64 s[20:21], s[0:1], 8
	s_add_co_i32 s16, s16, s2
	s_cmp_eq_u32 s17, 0
	s_mov_b32 s44, 0
	s_wait_xcnt 0x0
	s_cselect_b32 s0, ttmp9, s16
	s_get_pc_i64 s[22:23]
	s_add_nc_u64 s[22:23], s[22:23], .str.1@rel64+4
	s_lshl_b32 s2, s0, 10
	s_mov_b32 s0, -1
	s_wait_kmcnt 0x0
	s_sub_co_i32 s33, s3, s2
	s_mov_b32 s3, 0
	s_cmp_gt_i32 s33, 0x3ff
	s_cbranch_scc0 .LBB16_75
; %bb.1:
	s_ashr_i32 s3, s2, 31
	s_mov_b32 s34, -1
	s_lshl_b64 s[24:25], s[2:3], 2
	s_cmp_lg_u64 s[22:23], 0
	s_add_nc_u64 s[0:1], s[6:7], s[24:25]
	s_cselect_b32 s16, -1, 0
	global_load_b128 v[10:13], v0, s[0:1] scale_offset
	s_wait_xcnt 0x0
	s_load_b32 s0, s[20:21], 0x0
	s_mov_b32 s3, 0
	s_mov_b32 s31, 0
	;; [unrolled: 1-line block ×4, first 2 shown]
                                        ; implicit-def: $sgpr27
                                        ; implicit-def: $sgpr17
                                        ; implicit-def: $sgpr30
                                        ; implicit-def: $sgpr26
                                        ; implicit-def: $sgpr28_sgpr29
                                        ; implicit-def: $vgpr14_vgpr15_vgpr16_vgpr17
                                        ; implicit-def: $vgpr2_vgpr3_vgpr4_vgpr5
                                        ; implicit-def: $vgpr6_vgpr7_vgpr8_vgpr9
                                        ; implicit-def: $vgpr18
	s_wait_loadcnt 0x0
	s_wait_kmcnt 0x0
	v_cmp_eq_u32_e32 vcc_lo, s0, v10
	s_mov_b32 s0, 0
	s_and_b32 s18, s16, vcc_lo
                                        ; implicit-def: $sgpr16
	s_delay_alu instid0(SALU_CYCLE_1)
	s_and_saveexec_b32 s45, s18
	s_cbranch_execz .LBB16_64
; %bb.2:
	s_add_nc_u64 s[0:1], s[8:9], s[24:25]
	s_load_b128 s[16:19], s[20:21], 0x8
	global_load_b128 v[18:21], v0, s[0:1] scale_offset
	s_get_pc_i64 s[26:27]
	s_add_nc_u64 s[26:27], s[26:27], .str.2@rel64+4
	s_wait_xcnt 0x0
	s_mov_b32 s0, -1
	s_cmp_lg_u64 s[26:27], 0
	s_mov_b32 s34, 0
	s_wait_kmcnt 0x0
	s_cselect_b32 s17, -1, 0
	s_mov_b32 s1, 0
	s_mov_b32 s35, 0
                                        ; implicit-def: $sgpr27
                                        ; implicit-def: $sgpr30
                                        ; implicit-def: $sgpr26
                                        ; implicit-def: $sgpr28_sgpr29
                                        ; implicit-def: $vgpr14_vgpr15_vgpr16_vgpr17
                                        ; implicit-def: $vgpr2_vgpr3_vgpr4_vgpr5
                                        ; implicit-def: $vgpr6_vgpr7_vgpr8_vgpr9
	s_wait_loadcnt 0x0
	v_cmp_eq_u32_e32 vcc_lo, s18, v18
	s_and_b32 s36, s17, vcc_lo
                                        ; implicit-def: $sgpr17
	s_delay_alu instid0(SALU_CYCLE_1)
	s_and_saveexec_b32 s46, s36
	s_cbranch_execz .LBB16_63
; %bb.3:
	s_add_nc_u64 s[0:1], s[10:11], s[24:25]
	s_add_nc_u64 s[26:27], s[12:13], s[24:25]
	s_clause 0x1
	global_load_b128 v[6:9], v0, s[0:1] scale_offset
	global_load_b128 v[2:5], v0, s[26:27] scale_offset
	s_wait_xcnt 0x0
	s_load_b64 s[26:27], s[20:21], 0x18
	s_get_pc_i64 s[28:29]
	s_add_nc_u64 s[28:29], s[28:29], .str.3@rel64+4
	s_mov_b32 s1, -1
	s_cmp_lg_u64 s[28:29], 0
	s_mov_b32 s36, 0
	s_cselect_b32 s17, -1, 0
                                        ; implicit-def: $sgpr27
                                        ; implicit-def: $sgpr30
                                        ; implicit-def: $sgpr28_sgpr29
                                        ; implicit-def: $vgpr14_vgpr15_vgpr16_vgpr17
	s_wait_loadcnt 0x0
	v_sub_nc_u32_e32 v1, v2, v6
	s_delay_alu instid0(VALU_DEP_1) | instskip(SKIP_2) | instid1(SALU_CYCLE_1)
	v_cmp_le_i32_e32 vcc_lo, v10, v1
	v_cmp_ge_i32_e64 s0, s16, v1
	s_and_b32 s0, vcc_lo, s0
	s_and_b32 s0, s17, s0
                                        ; implicit-def: $sgpr17
	s_delay_alu instid0(SALU_CYCLE_1)
	s_and_saveexec_b32 s47, s0
	s_cbranch_execz .LBB16_62
; %bb.4:
	s_add_nc_u64 s[0:1], s[14:15], s[24:25]
	s_load_b64 s[28:29], s[20:21], 0xa0
	global_load_b128 v[14:17], v0, s[0:1] scale_offset
	s_wait_xcnt 0x0
	v_cmp_gt_i64_e64 s0, s[18:19], 0
	s_wait_kmcnt 0x0
	s_add_co_i32 s30, s26, -1
	v_mov_b64_e32 v[22:23], 0
	s_cmp_gt_i32 s30, -1
	s_cselect_b32 s1, -1, 0
	s_delay_alu instid0(SALU_CYCLE_1) | instskip(NEXT) | instid1(SALU_CYCLE_1)
	s_and_b32 s17, s0, s1
	s_and_not1_b32 vcc_lo, exec_lo, s17
	s_cbranch_vccnz .LBB16_11
; %bb.5:
	s_wait_loadcnt 0x0
	v_dual_mov_b32 v22, v14 :: v_dual_ashrrev_i32 v23, 31, v14
	s_ashr_i32 s31, s30, 31
	v_mov_b32_e32 v24, 0
	s_lshl_b64 s[0:1], s[30:31], 3
	s_mov_b64 s[34:35], 0xffffffff
	v_mul_u64_e32 v[26:27], s[18:19], v[22:23]
	v_mov_b64_e32 v[22:23], 0
	s_add_nc_u64 s[0:1], s[20:21], s[0:1]
	s_mov_b32 s27, s26
	s_add_nc_u64 s[36:37], s[0:1], 32
	s_mov_b32 s1, 0
	s_branch .LBB16_7
.LBB16_6:                               ;   in Loop: Header=BB16_7 Depth=1
	s_or_b32 exec_lo, exec_lo, s0
	s_delay_alu instid0(VALU_DEP_1)
	v_mul_u64_e32 v[30:31], s[38:39], v[28:29]
	s_load_b64 s[38:39], s[36:37], 0x40
	s_add_co_i32 s27, s27, -1
	s_wait_xcnt 0x0
	s_add_nc_u64 s[36:37], s[36:37], -8
	s_cmp_eq_u32 s27, 0
	s_delay_alu instid0(VALU_DEP_1) | instskip(SKIP_1) | instid1(VALU_DEP_1)
	v_sub_nc_u64_e32 v[26:27], v[26:27], v[30:31]
	s_wait_kmcnt 0x0
	v_mad_nc_u64_u32 v[22:23], v26, s38, v[22:23]
	s_delay_alu instid0(VALU_DEP_1) | instskip(NEXT) | instid1(VALU_DEP_1)
	v_mad_u32 v1, v27, s38, v23
	v_mad_u32 v23, v26, s39, v1
	v_mov_b64_e32 v[26:27], v[28:29]
	s_cbranch_scc1 .LBB16_11
.LBB16_7:                               ; =>This Inner Loop Header: Depth=1
	s_load_b64 s[38:39], s[36:37], 0x0
                                        ; implicit-def: $vgpr28_vgpr29
	s_mov_b32 s0, exec_lo
	s_wait_kmcnt 0x0
	s_delay_alu instid0(VALU_DEP_1) | instskip(NEXT) | instid1(VALU_DEP_1)
	v_or_b32_e32 v25, s39, v27
	v_cmpx_ne_u64_e32 0, v[24:25]
	s_xor_b32 s31, exec_lo, s0
	s_cbranch_execz .LBB16_9
; %bb.8:                                ;   in Loop: Header=BB16_7 Depth=1
	s_ashr_i32 s40, s39, 31
	v_dual_mov_b32 v33, v24 :: v_dual_ashrrev_i32 v28, 31, v27
	s_mov_b32 s41, s40
	v_mov_b32_e32 v41, v24
	s_add_nc_u64 s[42:43], s[38:39], s[40:41]
	s_delay_alu instid0(VALU_DEP_2) | instskip(SKIP_1) | instid1(SALU_CYCLE_1)
	v_mov_b32_e32 v29, v28
	s_xor_b64 s[42:43], s[42:43], s[40:41]
	s_cvt_f32_u32 s0, s42
	s_cvt_f32_u32 s41, s43
	s_sub_nc_u64 s[50:51], 0, s[42:43]
	v_add_nc_u64_e32 v[30:31], v[26:27], v[28:29]
	v_mov_b32_e32 v37, v24
	s_fmamk_f32 s0, s41, 0x4f800000, s0
	s_delay_alu instid0(SALU_CYCLE_3) | instskip(NEXT) | instid1(VALU_DEP_2)
	v_s_rcp_f32 s0, s0
	v_xor_b32_e32 v32, v30, v28
	s_delay_alu instid0(VALU_DEP_3) | instskip(NEXT) | instid1(TRANS32_DEP_1)
	v_xor_b32_e32 v36, v31, v28
	s_mul_f32 s0, s0, 0x5f7ffffc
	s_delay_alu instid0(SALU_CYCLE_3) | instskip(NEXT) | instid1(SALU_CYCLE_3)
	s_mul_f32 s41, s0, 0x2f800000
	s_trunc_f32 s41, s41
	s_delay_alu instid0(SALU_CYCLE_3) | instskip(SKIP_1) | instid1(SALU_CYCLE_2)
	s_fmamk_f32 s0, s41, 0xcf800000, s0
	s_cvt_u32_f32 s49, s41
	s_cvt_u32_f32 s48, s0
	s_delay_alu instid0(SALU_CYCLE_3) | instskip(NEXT) | instid1(SALU_CYCLE_1)
	s_mul_u64 s[52:53], s[50:51], s[48:49]
	s_mul_hi_u32 s55, s48, s53
	s_mul_i32 s54, s48, s53
	s_mul_hi_u32 s0, s48, s52
	s_mul_i32 s56, s49, s52
	s_add_nc_u64 s[54:55], s[0:1], s[54:55]
	s_mul_hi_u32 s41, s49, s52
	s_mul_hi_u32 s57, s49, s53
	s_add_co_u32 s0, s54, s56
	s_add_co_ci_u32 s0, s55, s41
	s_mul_i32 s52, s49, s53
	s_add_co_ci_u32 s53, s57, 0
	s_delay_alu instid0(SALU_CYCLE_1) | instskip(NEXT) | instid1(SALU_CYCLE_1)
	s_add_nc_u64 s[52:53], s[0:1], s[52:53]
	s_add_co_u32 s48, s48, s52
	s_cselect_b32 s0, -1, 0
	s_delay_alu instid0(SALU_CYCLE_1) | instskip(SKIP_1) | instid1(SALU_CYCLE_1)
	s_cmp_lg_u32 s0, 0
	s_add_co_ci_u32 s49, s49, s53
	s_mul_u64 s[50:51], s[50:51], s[48:49]
	s_delay_alu instid0(SALU_CYCLE_1)
	s_mul_hi_u32 s53, s48, s51
	s_mul_i32 s52, s48, s51
	s_mul_hi_u32 s0, s48, s50
	s_mul_i32 s54, s49, s50
	s_add_nc_u64 s[52:53], s[0:1], s[52:53]
	s_mul_hi_u32 s41, s49, s50
	s_mul_hi_u32 s55, s49, s51
	s_add_co_u32 s0, s52, s54
	s_add_co_ci_u32 s0, s53, s41
	s_mul_i32 s50, s49, s51
	s_add_co_ci_u32 s51, s55, 0
	s_delay_alu instid0(SALU_CYCLE_1) | instskip(NEXT) | instid1(SALU_CYCLE_1)
	s_add_nc_u64 s[50:51], s[0:1], s[50:51]
	s_add_co_u32 s48, s48, s50
	s_cselect_b32 s0, -1, 0
	v_mul_hi_u32 v40, v32, s48
	s_cmp_lg_u32 s0, 0
	s_add_co_ci_u32 s0, s49, s51
	s_and_b64 s[50:51], s[48:49], s[34:35]
	v_mul_u64_e32 v[34:35], s[0:1], v[32:33]
	v_mul_u64_e32 v[30:31], s[50:51], v[36:37]
	;; [unrolled: 1-line block ×3, first 2 shown]
	s_delay_alu instid0(VALU_DEP_3) | instskip(NEXT) | instid1(VALU_DEP_1)
	v_add_nc_u64_e32 v[34:35], v[40:41], v[34:35]
	v_add_co_u32 v1, vcc_lo, v34, v30
	s_delay_alu instid0(VALU_DEP_2) | instskip(NEXT) | instid1(VALU_DEP_4)
	v_add_co_ci_u32_e32 v40, vcc_lo, v35, v31, vcc_lo
	v_add_co_ci_u32_e32 v39, vcc_lo, 0, v39, vcc_lo
	s_delay_alu instid0(VALU_DEP_1) | instskip(NEXT) | instid1(VALU_DEP_1)
	v_add_nc_u64_e32 v[30:31], v[40:41], v[38:39]
	v_mul_u64_e32 v[34:35], s[42:43], v[30:31]
	s_delay_alu instid0(VALU_DEP_1) | instskip(NEXT) | instid1(VALU_DEP_2)
	v_sub_nc_u32_e32 v1, v36, v35
	v_sub_co_u32 v14, vcc_lo, v32, v34
	s_delay_alu instid0(VALU_DEP_1) | instskip(NEXT) | instid1(VALU_DEP_3)
	v_sub_co_ci_u32_e64 v29, null, v36, v35, vcc_lo
	v_subrev_co_ci_u32_e64 v1, null, s43, v1, vcc_lo
	s_delay_alu instid0(VALU_DEP_3) | instskip(SKIP_1) | instid1(VALU_DEP_3)
	v_sub_co_u32 v25, s0, v14, s42
	v_add_nc_u64_e32 v[34:35], 1, v[30:31]
	v_subrev_co_ci_u32_e64 v1, null, 0, v1, s0
	s_delay_alu instid0(VALU_DEP_3) | instskip(SKIP_1) | instid1(VALU_DEP_3)
	v_cmp_le_u32_e32 vcc_lo, s42, v25
	v_cndmask_b32_e64 v25, 0, -1, vcc_lo
	v_cmp_le_u32_e32 vcc_lo, s43, v1
	v_cndmask_b32_e64 v32, 0, -1, vcc_lo
	;; [unrolled: 2-line block ×4, first 2 shown]
	v_cmp_eq_u32_e32 vcc_lo, s43, v1
	v_cndmask_b32_e32 v1, v32, v25, vcc_lo
	v_cmp_eq_u32_e32 vcc_lo, s43, v29
	v_add_nc_u64_e32 v[32:33], 2, v[30:31]
	v_cndmask_b32_e32 v14, v36, v14, vcc_lo
	s_delay_alu instid0(VALU_DEP_4) | instskip(NEXT) | instid1(VALU_DEP_2)
	v_cmp_ne_u32_e32 vcc_lo, 0, v1
	v_cmp_ne_u32_e64 s0, 0, v14
	s_delay_alu instid0(VALU_DEP_4) | instskip(NEXT) | instid1(VALU_DEP_1)
	v_dual_cndmask_b32 v1, v35, v33 :: v_dual_cndmask_b32 v14, v34, v32
	v_dual_cndmask_b32 v1, v31, v1, s0 :: v_dual_bitop2_b32 v28, s40, v28 bitop3:0x14
	s_delay_alu instid0(VALU_DEP_1) | instskip(NEXT) | instid1(VALU_DEP_2)
	v_dual_cndmask_b32 v14, v30, v14, s0 :: v_dual_mov_b32 v29, v28
	v_xor_b32_e32 v31, v1, v28
	s_delay_alu instid0(VALU_DEP_2) | instskip(NEXT) | instid1(VALU_DEP_1)
	v_xor_b32_e32 v30, v14, v28
	v_sub_nc_u64_e32 v[28:29], v[30:31], v[28:29]
.LBB16_9:                               ;   in Loop: Header=BB16_7 Depth=1
	s_and_not1_saveexec_b32 s0, s31
	s_cbranch_execz .LBB16_6
; %bb.10:                               ;   in Loop: Header=BB16_7 Depth=1
	v_cvt_f32_u32_e32 v1, s38
	s_sub_co_i32 s31, 0, s38
	v_mov_b32_e32 v29, v24
	s_delay_alu instid0(VALU_DEP_2) | instskip(SKIP_1) | instid1(TRANS32_DEP_1)
	v_rcp_iflag_f32_e32 v1, v1
	v_nop
	v_mul_f32_e32 v1, 0x4f7ffffe, v1
	s_delay_alu instid0(VALU_DEP_1) | instskip(NEXT) | instid1(VALU_DEP_1)
	v_cvt_u32_f32_e32 v1, v1
	v_mul_lo_u32 v14, s31, v1
	s_delay_alu instid0(VALU_DEP_1) | instskip(NEXT) | instid1(VALU_DEP_1)
	v_mul_hi_u32 v14, v1, v14
	v_add_nc_u32_e32 v1, v1, v14
	s_delay_alu instid0(VALU_DEP_1) | instskip(NEXT) | instid1(VALU_DEP_1)
	v_mul_hi_u32 v1, v26, v1
	v_mul_lo_u32 v14, v1, s38
	s_delay_alu instid0(VALU_DEP_1) | instskip(NEXT) | instid1(VALU_DEP_1)
	v_dual_add_nc_u32 v25, 1, v1 :: v_dual_sub_nc_u32 v14, v26, v14
	v_subrev_nc_u32_e32 v28, s38, v14
	v_cmp_le_u32_e32 vcc_lo, s38, v14
	s_delay_alu instid0(VALU_DEP_2) | instskip(NEXT) | instid1(VALU_DEP_1)
	v_dual_cndmask_b32 v14, v14, v28 :: v_dual_cndmask_b32 v1, v1, v25
	v_cmp_le_u32_e32 vcc_lo, s38, v14
	s_delay_alu instid0(VALU_DEP_2) | instskip(NEXT) | instid1(VALU_DEP_1)
	v_add_nc_u32_e32 v25, 1, v1
	v_cndmask_b32_e32 v28, v1, v25, vcc_lo
	s_branch .LBB16_6
.LBB16_11:
	s_get_pc_i64 s[0:1]
	s_add_nc_u64 s[0:1], s[0:1], .str.4@rel64+4
	s_mov_b32 s35, -1
	s_cmp_lg_u64 s[0:1], 0
	s_mov_b32 s0, 0
	s_cselect_b32 s27, -1, 0
	s_mov_b32 s48, 0
	s_mov_b32 s1, exec_lo
	v_cmpx_gt_i32_e64 v2, v6
	s_cbranch_execz .LBB16_17
; %bb.12:
	v_lshlrev_b64_e32 v[22:23], 2, v[22:23]
	v_dual_mov_b32 v24, v6 :: v_dual_ashrrev_i32 v25, 31, v6
	v_dual_mov_b32 v28, v2 :: v_dual_ashrrev_i32 v29, 31, v2
	s_mov_b32 s31, 0
	s_xor_b32 s35, s27, -1
	s_delay_alu instid0(VALU_DEP_2) | instskip(SKIP_1) | instid1(VALU_DEP_2)
	v_lshl_add_u64 v[24:25], v[24:25], 2, v[22:23]
	v_add_nc_u64_e32 v[26:27], s[28:29], v[22:23]
                                        ; implicit-def: $sgpr34
                                        ; implicit-def: $sgpr37
                                        ; implicit-def: $sgpr36
	v_add_nc_u64_e32 v[24:25], s[28:29], v[24:25]
	s_delay_alu instid0(VALU_DEP_1) | instskip(NEXT) | instid1(VALU_DEP_3)
	v_add_nc_u64_e32 v[22:23], 4, v[24:25]
	v_lshl_add_u64 v[24:25], v[28:29], 2, v[26:27]
	s_branch .LBB16_14
.LBB16_13:                              ;   in Loop: Header=BB16_14 Depth=1
	s_or_b32 exec_lo, exec_lo, s38
	s_delay_alu instid0(SALU_CYCLE_1) | instskip(NEXT) | instid1(SALU_CYCLE_1)
	s_and_b32 s38, exec_lo, s37
	s_or_b32 s31, s38, s31
	s_and_not1_b32 s34, s34, exec_lo
	s_and_b32 s38, s36, exec_lo
	s_delay_alu instid0(SALU_CYCLE_1)
	s_or_b32 s34, s34, s38
	s_and_not1_b32 exec_lo, exec_lo, s31
	s_cbranch_execz .LBB16_16
.LBB16_14:                              ; =>This Inner Loop Header: Depth=1
	s_or_b32 s36, s36, exec_lo
	s_or_b32 s37, s37, exec_lo
	s_mov_b32 s38, exec_lo
	s_delay_alu instid0(VALU_DEP_2)
	v_cmpx_lt_u64_e64 v[22:23], v[24:25]
	s_cbranch_execz .LBB16_13
; %bb.15:                               ;   in Loop: Header=BB16_14 Depth=1
	global_load_b64 v[26:27], v[22:23], off offset:-4
	s_wait_xcnt 0x0
	v_add_nc_u64_e32 v[22:23], 4, v[22:23]
	s_and_not1_b32 s37, s37, exec_lo
	s_and_not1_b32 s36, s36, exec_lo
	s_wait_loadcnt 0x0
	v_cmp_ge_i32_e32 vcc_lo, v26, v27
	s_or_b32 s39, s35, vcc_lo
	s_delay_alu instid0(SALU_CYCLE_1) | instskip(NEXT) | instid1(SALU_CYCLE_1)
	s_and_b32 s39, s39, exec_lo
	s_or_b32 s37, s37, s39
	s_branch .LBB16_13
.LBB16_16:
	s_or_b32 exec_lo, exec_lo, s31
	s_delay_alu instid0(SALU_CYCLE_1)
	s_mov_b32 s48, exec_lo
	s_or_not1_b32 s35, s34, exec_lo
.LBB16_17:
	s_or_b32 exec_lo, exec_lo, s1
	s_mov_b32 s31, 0
	s_mov_b32 s34, 0
	;; [unrolled: 1-line block ×3, first 2 shown]
	s_and_saveexec_b32 s49, s35
	s_cbranch_execz .LBB16_61
; %bb.18:
	s_mov_b32 s0, -1
	s_mov_b32 s1, 0
	s_mov_b32 s35, 0
	s_mov_b32 s50, exec_lo
	v_cmpx_eq_u32_e64 v11, v10
	s_cbranch_execz .LBB16_60
; %bb.19:
	s_mov_b32 s1, -1
	s_mov_b32 s0, 0
	s_mov_b32 s37, 0
	s_mov_b32 s51, exec_lo
	v_cmpx_eq_u32_e64 v19, v18
	s_cbranch_execz .LBB16_59
; %bb.20:
	v_sub_nc_u32_e32 v1, v3, v7
	s_delay_alu instid0(VALU_DEP_1) | instskip(SKIP_2) | instid1(SALU_CYCLE_1)
	v_cmp_le_i32_e32 vcc_lo, v10, v1
	v_cmp_ge_i32_e64 s0, s16, v1
	s_and_b32 s0, vcc_lo, s0
	s_and_saveexec_b32 s52, s0
	s_cbranch_execz .LBB16_58
; %bb.21:
	v_mov_b64_e32 v[22:23], 0
	s_and_not1_b32 vcc_lo, exec_lo, s17
	s_cbranch_vccnz .LBB16_28
; %bb.22:
	s_wait_loadcnt 0x0
	v_dual_mov_b32 v22, v15 :: v_dual_ashrrev_i32 v23, 31, v15
	s_ashr_i32 s31, s30, 31
	v_mov_b32_e32 v14, 0
	s_lshl_b64 s[0:1], s[30:31], 3
	s_mov_b64 s[34:35], 0xffffffff
	v_mul_u64_e32 v[24:25], s[18:19], v[22:23]
	v_mov_b64_e32 v[22:23], 0
	s_add_nc_u64 s[0:1], s[20:21], s[0:1]
	s_mov_b32 s31, s26
	s_add_nc_u64 s[36:37], s[0:1], 32
	s_mov_b32 s1, 0
	s_branch .LBB16_24
.LBB16_23:                              ;   in Loop: Header=BB16_24 Depth=1
	s_or_b32 exec_lo, exec_lo, s0
	s_delay_alu instid0(VALU_DEP_1)
	v_mul_u64_e32 v[28:29], s[38:39], v[26:27]
	s_load_b64 s[38:39], s[36:37], 0x40
	s_add_co_i32 s31, s31, -1
	s_wait_xcnt 0x0
	s_add_nc_u64 s[36:37], s[36:37], -8
	s_cmp_lg_u32 s31, 0
	s_delay_alu instid0(VALU_DEP_1) | instskip(SKIP_1) | instid1(VALU_DEP_1)
	v_sub_nc_u64_e32 v[24:25], v[24:25], v[28:29]
	s_wait_kmcnt 0x0
	v_mad_nc_u64_u32 v[22:23], v24, s38, v[22:23]
	s_delay_alu instid0(VALU_DEP_1) | instskip(NEXT) | instid1(VALU_DEP_1)
	v_mad_u32 v1, v25, s38, v23
	v_mad_u32 v23, v24, s39, v1
	v_mov_b64_e32 v[24:25], v[26:27]
	s_cbranch_scc0 .LBB16_28
.LBB16_24:                              ; =>This Inner Loop Header: Depth=1
	s_load_b64 s[38:39], s[36:37], 0x0
                                        ; implicit-def: $vgpr26_vgpr27
	s_mov_b32 s0, exec_lo
	s_wait_kmcnt 0x0
	s_delay_alu instid0(VALU_DEP_1) | instskip(NEXT) | instid1(VALU_DEP_1)
	v_or_b32_e32 v15, s39, v25
	v_cmpx_ne_u64_e32 0, v[14:15]
	s_xor_b32 s53, exec_lo, s0
	s_cbranch_execz .LBB16_26
; %bb.25:                               ;   in Loop: Header=BB16_24 Depth=1
	s_ashr_i32 s40, s39, 31
	v_dual_mov_b32 v31, v14 :: v_dual_ashrrev_i32 v26, 31, v25
	s_mov_b32 s41, s40
	v_mov_b32_e32 v39, v14
	s_add_nc_u64 s[42:43], s[38:39], s[40:41]
	s_delay_alu instid0(VALU_DEP_2) | instskip(SKIP_1) | instid1(SALU_CYCLE_1)
	v_mov_b32_e32 v27, v26
	s_xor_b64 s[42:43], s[42:43], s[40:41]
	s_cvt_f32_u32 s0, s42
	s_cvt_f32_u32 s41, s43
	s_sub_nc_u64 s[56:57], 0, s[42:43]
	v_add_nc_u64_e32 v[28:29], v[24:25], v[26:27]
	v_mov_b32_e32 v35, v14
	s_fmamk_f32 s0, s41, 0x4f800000, s0
	s_delay_alu instid0(SALU_CYCLE_3) | instskip(NEXT) | instid1(VALU_DEP_2)
	v_s_rcp_f32 s0, s0
	v_xor_b32_e32 v30, v28, v26
	s_delay_alu instid0(VALU_DEP_3) | instskip(NEXT) | instid1(TRANS32_DEP_1)
	v_xor_b32_e32 v34, v29, v26
	s_mul_f32 s0, s0, 0x5f7ffffc
	s_delay_alu instid0(SALU_CYCLE_3) | instskip(NEXT) | instid1(SALU_CYCLE_3)
	s_mul_f32 s41, s0, 0x2f800000
	s_trunc_f32 s41, s41
	s_delay_alu instid0(SALU_CYCLE_3) | instskip(SKIP_1) | instid1(SALU_CYCLE_2)
	s_fmamk_f32 s0, s41, 0xcf800000, s0
	s_cvt_u32_f32 s55, s41
	s_cvt_u32_f32 s54, s0
	s_delay_alu instid0(SALU_CYCLE_3) | instskip(NEXT) | instid1(SALU_CYCLE_1)
	s_mul_u64 s[58:59], s[56:57], s[54:55]
	s_mul_hi_u32 s61, s54, s59
	s_mul_i32 s60, s54, s59
	s_mul_hi_u32 s0, s54, s58
	s_mul_i32 s62, s55, s58
	s_add_nc_u64 s[60:61], s[0:1], s[60:61]
	s_mul_hi_u32 s41, s55, s58
	s_mul_hi_u32 s63, s55, s59
	s_add_co_u32 s0, s60, s62
	s_add_co_ci_u32 s0, s61, s41
	s_mul_i32 s58, s55, s59
	s_add_co_ci_u32 s59, s63, 0
	s_delay_alu instid0(SALU_CYCLE_1) | instskip(NEXT) | instid1(SALU_CYCLE_1)
	s_add_nc_u64 s[58:59], s[0:1], s[58:59]
	s_add_co_u32 s54, s54, s58
	s_cselect_b32 s0, -1, 0
	s_delay_alu instid0(SALU_CYCLE_1) | instskip(SKIP_1) | instid1(SALU_CYCLE_1)
	s_cmp_lg_u32 s0, 0
	s_add_co_ci_u32 s55, s55, s59
	s_mul_u64 s[56:57], s[56:57], s[54:55]
	s_delay_alu instid0(SALU_CYCLE_1)
	s_mul_hi_u32 s59, s54, s57
	s_mul_i32 s58, s54, s57
	s_mul_hi_u32 s0, s54, s56
	s_mul_i32 s60, s55, s56
	s_add_nc_u64 s[58:59], s[0:1], s[58:59]
	s_mul_hi_u32 s41, s55, s56
	s_mul_hi_u32 s61, s55, s57
	s_add_co_u32 s0, s58, s60
	s_add_co_ci_u32 s0, s59, s41
	s_mul_i32 s56, s55, s57
	s_add_co_ci_u32 s57, s61, 0
	s_delay_alu instid0(SALU_CYCLE_1) | instskip(NEXT) | instid1(SALU_CYCLE_1)
	s_add_nc_u64 s[56:57], s[0:1], s[56:57]
	s_add_co_u32 s54, s54, s56
	s_cselect_b32 s0, -1, 0
	v_mul_hi_u32 v38, v30, s54
	s_cmp_lg_u32 s0, 0
	s_add_co_ci_u32 s0, s55, s57
	s_and_b64 s[56:57], s[54:55], s[34:35]
	v_mul_u64_e32 v[32:33], s[0:1], v[30:31]
	v_mul_u64_e32 v[28:29], s[56:57], v[34:35]
	;; [unrolled: 1-line block ×3, first 2 shown]
	s_delay_alu instid0(VALU_DEP_3) | instskip(NEXT) | instid1(VALU_DEP_1)
	v_add_nc_u64_e32 v[32:33], v[38:39], v[32:33]
	v_add_co_u32 v1, vcc_lo, v32, v28
	s_delay_alu instid0(VALU_DEP_2) | instskip(NEXT) | instid1(VALU_DEP_4)
	v_add_co_ci_u32_e32 v38, vcc_lo, v33, v29, vcc_lo
	v_add_co_ci_u32_e32 v37, vcc_lo, 0, v37, vcc_lo
	s_delay_alu instid0(VALU_DEP_1) | instskip(NEXT) | instid1(VALU_DEP_1)
	v_add_nc_u64_e32 v[28:29], v[38:39], v[36:37]
	v_mul_u64_e32 v[32:33], s[42:43], v[28:29]
	s_delay_alu instid0(VALU_DEP_1) | instskip(NEXT) | instid1(VALU_DEP_2)
	v_sub_nc_u32_e32 v1, v34, v33
	v_sub_co_u32 v2, vcc_lo, v30, v32
	s_delay_alu instid0(VALU_DEP_1) | instskip(NEXT) | instid1(VALU_DEP_3)
	v_sub_co_ci_u32_e64 v11, null, v34, v33, vcc_lo
	v_subrev_co_ci_u32_e64 v1, null, s43, v1, vcc_lo
	s_delay_alu instid0(VALU_DEP_3) | instskip(SKIP_1) | instid1(VALU_DEP_3)
	v_sub_co_u32 v6, s0, v2, s42
	v_add_nc_u64_e32 v[30:31], 2, v[28:29]
	v_subrev_co_ci_u32_e64 v1, null, 0, v1, s0
	s_delay_alu instid0(VALU_DEP_3) | instskip(SKIP_2) | instid1(VALU_DEP_4)
	v_cmp_le_u32_e32 vcc_lo, s42, v6
	v_add_nc_u64_e32 v[32:33], 1, v[28:29]
	v_cndmask_b32_e64 v6, 0, -1, vcc_lo
	v_cmp_le_u32_e32 vcc_lo, s43, v1
	v_cndmask_b32_e64 v15, 0, -1, vcc_lo
	v_cmp_le_u32_e32 vcc_lo, s42, v2
	;; [unrolled: 2-line block ×3, first 2 shown]
	v_cndmask_b32_e64 v19, 0, -1, vcc_lo
	v_cmp_eq_u32_e32 vcc_lo, s43, v1
	v_cndmask_b32_e32 v1, v15, v6, vcc_lo
	v_cmp_eq_u32_e32 vcc_lo, s43, v11
	s_delay_alu instid0(VALU_DEP_4) | instskip(NEXT) | instid1(VALU_DEP_3)
	v_cndmask_b32_e32 v2, v19, v2, vcc_lo
	v_cmp_ne_u32_e32 vcc_lo, 0, v1
	s_delay_alu instid0(VALU_DEP_2) | instskip(SKIP_1) | instid1(VALU_DEP_1)
	v_cmp_ne_u32_e64 s0, 0, v2
	v_dual_cndmask_b32 v1, v33, v31 :: v_dual_cndmask_b32 v2, v32, v30
	v_dual_cndmask_b32 v1, v29, v1, s0 :: v_dual_bitop2_b32 v26, s40, v26 bitop3:0x14
	s_delay_alu instid0(VALU_DEP_1) | instskip(NEXT) | instid1(VALU_DEP_2)
	v_dual_cndmask_b32 v2, v28, v2, s0 :: v_dual_mov_b32 v27, v26
	v_xor_b32_e32 v29, v1, v26
	s_delay_alu instid0(VALU_DEP_2) | instskip(NEXT) | instid1(VALU_DEP_1)
	v_xor_b32_e32 v28, v2, v26
	v_sub_nc_u64_e32 v[26:27], v[28:29], v[26:27]
.LBB16_26:                              ;   in Loop: Header=BB16_24 Depth=1
	s_and_not1_saveexec_b32 s0, s53
	s_cbranch_execz .LBB16_23
; %bb.27:                               ;   in Loop: Header=BB16_24 Depth=1
	v_cvt_f32_u32_e32 v1, s38
	s_sub_co_i32 s40, 0, s38
	v_mov_b32_e32 v27, v14
	s_delay_alu instid0(VALU_DEP_2) | instskip(SKIP_1) | instid1(TRANS32_DEP_1)
	v_rcp_iflag_f32_e32 v1, v1
	v_nop
	v_mul_f32_e32 v1, 0x4f7ffffe, v1
	s_delay_alu instid0(VALU_DEP_1) | instskip(NEXT) | instid1(VALU_DEP_1)
	v_cvt_u32_f32_e32 v1, v1
	v_mul_lo_u32 v2, s40, v1
	s_delay_alu instid0(VALU_DEP_1) | instskip(NEXT) | instid1(VALU_DEP_1)
	v_mul_hi_u32 v2, v1, v2
	v_add_nc_u32_e32 v1, v1, v2
	s_delay_alu instid0(VALU_DEP_1) | instskip(NEXT) | instid1(VALU_DEP_1)
	v_mul_hi_u32 v1, v24, v1
	v_mul_lo_u32 v2, v1, s38
	s_delay_alu instid0(VALU_DEP_1) | instskip(NEXT) | instid1(VALU_DEP_1)
	v_dual_add_nc_u32 v6, 1, v1 :: v_dual_sub_nc_u32 v2, v24, v2
	v_subrev_nc_u32_e32 v11, s38, v2
	v_cmp_le_u32_e32 vcc_lo, s38, v2
	s_delay_alu instid0(VALU_DEP_2) | instskip(NEXT) | instid1(VALU_DEP_1)
	v_dual_cndmask_b32 v2, v2, v11 :: v_dual_cndmask_b32 v1, v1, v6
	v_cmp_le_u32_e32 vcc_lo, s38, v2
	s_delay_alu instid0(VALU_DEP_2) | instskip(NEXT) | instid1(VALU_DEP_1)
	v_add_nc_u32_e32 v6, 1, v1
	v_cndmask_b32_e32 v26, v1, v6, vcc_lo
	s_branch .LBB16_23
.LBB16_28:
	s_mov_b32 s36, -1
	s_mov_b32 s0, 0
	s_mov_b32 s53, 0
	s_mov_b32 s1, exec_lo
	v_cmpx_gt_i32_e64 v3, v7
	s_cbranch_execz .LBB16_34
; %bb.29:
	s_wait_loadcnt 0x0
	s_delay_alu instid0(VALU_DEP_2) | instskip(SKIP_3) | instid1(VALU_DEP_1)
	v_lshlrev_b64_e32 v[14:15], 2, v[22:23]
	v_dual_mov_b32 v22, v7 :: v_dual_ashrrev_i32 v23, 31, v7
	s_mov_b32 s31, 0
	s_xor_b32 s35, s27, -1
                                        ; implicit-def: $sgpr34
                                        ; implicit-def: $sgpr37
                                        ; implicit-def: $sgpr36
	v_lshl_add_u64 v[6:7], v[22:23], 2, v[14:15]
	v_add_nc_u64_e32 v[14:15], s[28:29], v[14:15]
	v_dual_mov_b32 v22, v3 :: v_dual_ashrrev_i32 v23, 31, v3
	s_delay_alu instid0(VALU_DEP_3) | instskip(NEXT) | instid1(VALU_DEP_1)
	v_add_nc_u64_e32 v[6:7], s[28:29], v[6:7]
	v_add_nc_u64_e32 v[2:3], 4, v[6:7]
	s_delay_alu instid0(VALU_DEP_3)
	v_lshl_add_u64 v[6:7], v[22:23], 2, v[14:15]
	s_branch .LBB16_31
.LBB16_30:                              ;   in Loop: Header=BB16_31 Depth=1
	s_or_b32 exec_lo, exec_lo, s38
	s_delay_alu instid0(SALU_CYCLE_1) | instskip(NEXT) | instid1(SALU_CYCLE_1)
	s_and_b32 s38, exec_lo, s37
	s_or_b32 s31, s38, s31
	s_and_not1_b32 s34, s34, exec_lo
	s_and_b32 s38, s36, exec_lo
	s_delay_alu instid0(SALU_CYCLE_1)
	s_or_b32 s34, s34, s38
	s_and_not1_b32 exec_lo, exec_lo, s31
	s_cbranch_execz .LBB16_33
.LBB16_31:                              ; =>This Inner Loop Header: Depth=1
	s_or_b32 s36, s36, exec_lo
	s_or_b32 s37, s37, exec_lo
	s_mov_b32 s38, exec_lo
	s_delay_alu instid0(VALU_DEP_2)
	v_cmpx_lt_u64_e64 v[2:3], v[6:7]
	s_cbranch_execz .LBB16_30
; %bb.32:                               ;   in Loop: Header=BB16_31 Depth=1
	global_load_b64 v[14:15], v[2:3], off offset:-4
	s_and_not1_b32 s37, s37, exec_lo
	s_wait_xcnt 0x0
	v_add_nc_u64_e32 v[2:3], 4, v[2:3]
	s_and_not1_b32 s36, s36, exec_lo
	s_wait_loadcnt 0x0
	v_cmp_ge_i32_e32 vcc_lo, v14, v15
	s_or_b32 s39, s35, vcc_lo
	s_delay_alu instid0(SALU_CYCLE_1) | instskip(NEXT) | instid1(SALU_CYCLE_1)
	s_and_b32 s39, s39, exec_lo
	s_or_b32 s37, s37, s39
	s_branch .LBB16_30
.LBB16_33:
	s_or_b32 exec_lo, exec_lo, s31
	s_delay_alu instid0(SALU_CYCLE_1)
	s_mov_b32 s53, exec_lo
	s_or_not1_b32 s36, s34, exec_lo
.LBB16_34:
	s_or_b32 exec_lo, exec_lo, s1
	s_mov_b32 s31, 0
	s_mov_b32 s34, 0
	;; [unrolled: 1-line block ×3, first 2 shown]
	s_and_saveexec_b32 s54, s36
	s_cbranch_execz .LBB16_57
; %bb.35:
	s_mov_b32 s0, -1
	s_mov_b32 s1, 0
	s_mov_b32 s36, 0
	s_mov_b32 s55, exec_lo
	v_cmpx_eq_u32_e64 v12, v10
	s_cbranch_execz .LBB16_56
; %bb.36:
	s_mov_b32 s1, -1
	s_mov_b32 s0, 0
	s_mov_b32 s56, exec_lo
	v_cmpx_eq_u32_e64 v20, v18
	s_cbranch_execz .LBB16_55
; %bb.37:
	v_sub_nc_u32_e32 v1, v4, v8
	s_delay_alu instid0(VALU_DEP_1) | instskip(SKIP_2) | instid1(SALU_CYCLE_1)
	v_cmp_le_i32_e32 vcc_lo, v10, v1
	v_cmp_ge_i32_e64 s0, s16, v1
	s_and_b32 s0, vcc_lo, s0
	s_and_saveexec_b32 s57, s0
	s_cbranch_execz .LBB16_54
; %bb.38:
	v_mov_b64_e32 v[2:3], 0
	s_and_not1_b32 vcc_lo, exec_lo, s17
	s_cbranch_vccnz .LBB16_45
; %bb.39:
	s_wait_loadcnt 0x0
	v_dual_mov_b32 v2, v16 :: v_dual_ashrrev_i32 v3, 31, v16
	s_ashr_i32 s31, s30, 31
	v_mov_b32_e32 v6, 0
	s_lshl_b64 s[0:1], s[30:31], 3
	s_mov_b64 s[34:35], 0xffffffff
	v_mul_u64_e32 v[14:15], s[18:19], v[2:3]
	v_mov_b64_e32 v[2:3], 0
	s_add_nc_u64 s[0:1], s[20:21], s[0:1]
	s_mov_b32 s31, s26
	s_add_nc_u64 s[36:37], s[0:1], 32
	s_mov_b32 s1, 0
	s_branch .LBB16_41
.LBB16_40:                              ;   in Loop: Header=BB16_41 Depth=1
	s_or_b32 exec_lo, exec_lo, s0
	s_delay_alu instid0(VALU_DEP_1)
	v_mul_u64_e32 v[24:25], s[38:39], v[22:23]
	s_load_b64 s[38:39], s[36:37], 0x40
	s_add_co_i32 s31, s31, -1
	s_wait_xcnt 0x0
	s_add_nc_u64 s[36:37], s[36:37], -8
	s_cmp_lg_u32 s31, 0
	s_delay_alu instid0(VALU_DEP_1) | instskip(SKIP_1) | instid1(VALU_DEP_1)
	v_sub_nc_u64_e32 v[14:15], v[14:15], v[24:25]
	s_wait_kmcnt 0x0
	v_mad_nc_u64_u32 v[2:3], v14, s38, v[2:3]
	s_delay_alu instid0(VALU_DEP_1) | instskip(NEXT) | instid1(VALU_DEP_1)
	v_mad_u32 v1, v15, s38, v3
	v_mad_u32 v3, v14, s39, v1
	v_mov_b64_e32 v[14:15], v[22:23]
	s_cbranch_scc0 .LBB16_45
.LBB16_41:                              ; =>This Inner Loop Header: Depth=1
	s_load_b64 s[38:39], s[36:37], 0x0
                                        ; implicit-def: $vgpr22_vgpr23
	s_mov_b32 s0, exec_lo
	s_wait_kmcnt 0x0
	s_delay_alu instid0(VALU_DEP_1) | instskip(NEXT) | instid1(VALU_DEP_1)
	v_or_b32_e32 v7, s39, v15
	v_cmpx_ne_u64_e32 0, v[6:7]
	s_xor_b32 s58, exec_lo, s0
	s_cbranch_execz .LBB16_43
; %bb.42:                               ;   in Loop: Header=BB16_41 Depth=1
	s_ashr_i32 s40, s39, 31
	v_dual_mov_b32 v27, v6 :: v_dual_ashrrev_i32 v22, 31, v15
	s_mov_b32 s41, s40
	v_mov_b32_e32 v35, v6
	s_add_nc_u64 s[42:43], s[38:39], s[40:41]
	s_delay_alu instid0(VALU_DEP_2) | instskip(SKIP_1) | instid1(SALU_CYCLE_1)
	v_mov_b32_e32 v23, v22
	s_xor_b64 s[42:43], s[42:43], s[40:41]
	s_cvt_f32_u32 s0, s42
	s_cvt_f32_u32 s41, s43
	s_sub_nc_u64 s[62:63], 0, s[42:43]
	v_add_nc_u64_e32 v[24:25], v[14:15], v[22:23]
	v_mov_b32_e32 v31, v6
	s_fmamk_f32 s0, s41, 0x4f800000, s0
	s_delay_alu instid0(SALU_CYCLE_3) | instskip(NEXT) | instid1(VALU_DEP_2)
	v_s_rcp_f32 s0, s0
	v_xor_b32_e32 v26, v24, v22
	s_delay_alu instid0(VALU_DEP_3) | instskip(NEXT) | instid1(TRANS32_DEP_1)
	v_xor_b32_e32 v30, v25, v22
	s_mul_f32 s0, s0, 0x5f7ffffc
	s_delay_alu instid0(SALU_CYCLE_3) | instskip(NEXT) | instid1(SALU_CYCLE_3)
	s_mul_f32 s41, s0, 0x2f800000
	s_trunc_f32 s41, s41
	s_delay_alu instid0(SALU_CYCLE_3) | instskip(SKIP_1) | instid1(SALU_CYCLE_2)
	s_fmamk_f32 s0, s41, 0xcf800000, s0
	s_cvt_u32_f32 s61, s41
	s_cvt_u32_f32 s60, s0
	s_delay_alu instid0(SALU_CYCLE_3) | instskip(NEXT) | instid1(SALU_CYCLE_1)
	s_mul_u64 s[64:65], s[62:63], s[60:61]
	s_mul_hi_u32 s67, s60, s65
	s_mul_i32 s66, s60, s65
	s_mul_hi_u32 s0, s60, s64
	s_mul_i32 s59, s61, s64
	s_add_nc_u64 s[66:67], s[0:1], s[66:67]
	s_mul_hi_u32 s41, s61, s64
	s_mul_hi_u32 s68, s61, s65
	s_add_co_u32 s0, s66, s59
	s_add_co_ci_u32 s0, s67, s41
	s_mul_i32 s64, s61, s65
	s_add_co_ci_u32 s65, s68, 0
	s_delay_alu instid0(SALU_CYCLE_1) | instskip(NEXT) | instid1(SALU_CYCLE_1)
	s_add_nc_u64 s[64:65], s[0:1], s[64:65]
	s_add_co_u32 s60, s60, s64
	s_cselect_b32 s0, -1, 0
	s_delay_alu instid0(SALU_CYCLE_1) | instskip(SKIP_1) | instid1(SALU_CYCLE_1)
	s_cmp_lg_u32 s0, 0
	s_add_co_ci_u32 s61, s61, s65
	s_mul_u64 s[62:63], s[62:63], s[60:61]
	s_delay_alu instid0(SALU_CYCLE_1)
	s_mul_hi_u32 s65, s60, s63
	s_mul_i32 s64, s60, s63
	s_mul_hi_u32 s0, s60, s62
	s_mul_i32 s59, s61, s62
	s_add_nc_u64 s[64:65], s[0:1], s[64:65]
	s_mul_hi_u32 s41, s61, s62
	s_mul_hi_u32 s66, s61, s63
	s_add_co_u32 s0, s64, s59
	s_add_co_ci_u32 s0, s65, s41
	s_mul_i32 s62, s61, s63
	s_add_co_ci_u32 s63, s66, 0
	s_delay_alu instid0(SALU_CYCLE_1) | instskip(NEXT) | instid1(SALU_CYCLE_1)
	s_add_nc_u64 s[62:63], s[0:1], s[62:63]
	s_add_co_u32 s60, s60, s62
	s_cselect_b32 s0, -1, 0
	v_mul_hi_u32 v34, v26, s60
	s_cmp_lg_u32 s0, 0
	s_add_co_ci_u32 s0, s61, s63
	s_and_b64 s[62:63], s[60:61], s[34:35]
	v_mul_u64_e32 v[28:29], s[0:1], v[26:27]
	v_mul_u64_e32 v[24:25], s[62:63], v[30:31]
	;; [unrolled: 1-line block ×3, first 2 shown]
	s_delay_alu instid0(VALU_DEP_3) | instskip(NEXT) | instid1(VALU_DEP_1)
	v_add_nc_u64_e32 v[28:29], v[34:35], v[28:29]
	v_add_co_u32 v1, vcc_lo, v28, v24
	s_delay_alu instid0(VALU_DEP_2) | instskip(NEXT) | instid1(VALU_DEP_4)
	v_add_co_ci_u32_e32 v34, vcc_lo, v29, v25, vcc_lo
	v_add_co_ci_u32_e32 v33, vcc_lo, 0, v33, vcc_lo
	s_delay_alu instid0(VALU_DEP_1) | instskip(NEXT) | instid1(VALU_DEP_1)
	v_add_nc_u64_e32 v[24:25], v[34:35], v[32:33]
	v_mul_u64_e32 v[28:29], s[42:43], v[24:25]
	s_delay_alu instid0(VALU_DEP_1) | instskip(NEXT) | instid1(VALU_DEP_2)
	v_sub_nc_u32_e32 v1, v30, v29
	v_sub_co_u32 v7, vcc_lo, v26, v28
	s_delay_alu instid0(VALU_DEP_1) | instskip(NEXT) | instid1(VALU_DEP_3)
	v_sub_co_ci_u32_e64 v12, null, v30, v29, vcc_lo
	v_subrev_co_ci_u32_e64 v1, null, s43, v1, vcc_lo
	s_delay_alu instid0(VALU_DEP_3) | instskip(SKIP_1) | instid1(VALU_DEP_3)
	v_sub_co_u32 v11, s0, v7, s42
	v_add_nc_u64_e32 v[26:27], 2, v[24:25]
	v_subrev_co_ci_u32_e64 v1, null, 0, v1, s0
	s_delay_alu instid0(VALU_DEP_3) | instskip(SKIP_2) | instid1(VALU_DEP_4)
	v_cmp_le_u32_e32 vcc_lo, s42, v11
	v_add_nc_u64_e32 v[28:29], 1, v[24:25]
	v_cndmask_b32_e64 v11, 0, -1, vcc_lo
	v_cmp_le_u32_e32 vcc_lo, s43, v1
	v_cndmask_b32_e64 v16, 0, -1, vcc_lo
	v_cmp_le_u32_e32 vcc_lo, s42, v7
	;; [unrolled: 2-line block ×3, first 2 shown]
	v_cndmask_b32_e64 v19, 0, -1, vcc_lo
	v_cmp_eq_u32_e32 vcc_lo, s43, v1
	v_cndmask_b32_e32 v1, v16, v11, vcc_lo
	v_cmp_eq_u32_e32 vcc_lo, s43, v12
	s_delay_alu instid0(VALU_DEP_4) | instskip(NEXT) | instid1(VALU_DEP_3)
	v_cndmask_b32_e32 v7, v19, v7, vcc_lo
	v_cmp_ne_u32_e32 vcc_lo, 0, v1
	s_delay_alu instid0(VALU_DEP_2) | instskip(SKIP_1) | instid1(VALU_DEP_1)
	v_cmp_ne_u32_e64 s0, 0, v7
	v_dual_cndmask_b32 v1, v29, v27, vcc_lo :: v_dual_cndmask_b32 v7, v28, v26, vcc_lo
	v_dual_cndmask_b32 v1, v25, v1, s0 :: v_dual_bitop2_b32 v22, s40, v22 bitop3:0x14
	s_delay_alu instid0(VALU_DEP_1) | instskip(NEXT) | instid1(VALU_DEP_2)
	v_dual_cndmask_b32 v7, v24, v7, s0 :: v_dual_mov_b32 v23, v22
	v_xor_b32_e32 v25, v1, v22
	s_delay_alu instid0(VALU_DEP_2) | instskip(NEXT) | instid1(VALU_DEP_1)
	v_xor_b32_e32 v24, v7, v22
	v_sub_nc_u64_e32 v[22:23], v[24:25], v[22:23]
.LBB16_43:                              ;   in Loop: Header=BB16_41 Depth=1
	s_and_not1_saveexec_b32 s0, s58
	s_cbranch_execz .LBB16_40
; %bb.44:                               ;   in Loop: Header=BB16_41 Depth=1
	v_cvt_f32_u32_e32 v1, s38
	s_sub_co_i32 s40, 0, s38
	v_mov_b32_e32 v23, v6
	s_delay_alu instid0(VALU_DEP_2) | instskip(SKIP_1) | instid1(TRANS32_DEP_1)
	v_rcp_iflag_f32_e32 v1, v1
	v_nop
	v_mul_f32_e32 v1, 0x4f7ffffe, v1
	s_delay_alu instid0(VALU_DEP_1) | instskip(NEXT) | instid1(VALU_DEP_1)
	v_cvt_u32_f32_e32 v1, v1
	v_mul_lo_u32 v7, s40, v1
	s_delay_alu instid0(VALU_DEP_1) | instskip(NEXT) | instid1(VALU_DEP_1)
	v_mul_hi_u32 v7, v1, v7
	v_add_nc_u32_e32 v1, v1, v7
	s_delay_alu instid0(VALU_DEP_1) | instskip(NEXT) | instid1(VALU_DEP_1)
	v_mul_hi_u32 v1, v14, v1
	v_mul_lo_u32 v7, v1, s38
	s_delay_alu instid0(VALU_DEP_1) | instskip(NEXT) | instid1(VALU_DEP_1)
	v_sub_nc_u32_e32 v7, v14, v7
	v_subrev_nc_u32_e32 v12, s38, v7
	v_cmp_le_u32_e32 vcc_lo, s38, v7
	s_delay_alu instid0(VALU_DEP_2) | instskip(NEXT) | instid1(VALU_DEP_1)
	v_dual_add_nc_u32 v11, 1, v1 :: v_dual_cndmask_b32 v7, v7, v12, vcc_lo
	v_cndmask_b32_e32 v1, v1, v11, vcc_lo
	s_delay_alu instid0(VALU_DEP_2) | instskip(NEXT) | instid1(VALU_DEP_2)
	v_cmp_le_u32_e32 vcc_lo, s38, v7
	v_add_nc_u32_e32 v11, 1, v1
	s_delay_alu instid0(VALU_DEP_1)
	v_cndmask_b32_e32 v22, v1, v11, vcc_lo
	s_branch .LBB16_40
.LBB16_45:
	s_mov_b32 s35, -1
	s_mov_b32 s0, 0
	s_mov_b32 s31, 0
	s_mov_b32 s1, exec_lo
	v_cmpx_gt_i32_e64 v4, v8
	s_cbranch_execz .LBB16_51
; %bb.46:
	s_delay_alu instid0(VALU_DEP_2) | instskip(SKIP_3) | instid1(VALU_DEP_2)
	v_lshlrev_b64_e32 v[2:3], 2, v[2:3]
	v_dual_mov_b32 v6, v8 :: v_dual_ashrrev_i32 v7, 31, v8
	v_dual_mov_b32 v22, v4 :: v_dual_ashrrev_i32 v23, 31, v4
	s_xor_b32 s35, s27, -1
                                        ; implicit-def: $sgpr34
                                        ; implicit-def: $sgpr37
                                        ; implicit-def: $sgpr36
	v_lshl_add_u64 v[6:7], v[6:7], 2, v[2:3]
	s_wait_loadcnt 0x0
	v_add_nc_u64_e32 v[14:15], s[28:29], v[2:3]
	s_delay_alu instid0(VALU_DEP_2) | instskip(NEXT) | instid1(VALU_DEP_1)
	v_add_nc_u64_e32 v[6:7], s[28:29], v[6:7]
	v_add_nc_u64_e32 v[2:3], 4, v[6:7]
	s_delay_alu instid0(VALU_DEP_3)
	v_lshl_add_u64 v[6:7], v[22:23], 2, v[14:15]
	s_branch .LBB16_48
.LBB16_47:                              ;   in Loop: Header=BB16_48 Depth=1
	s_or_b32 exec_lo, exec_lo, s38
	s_delay_alu instid0(SALU_CYCLE_1) | instskip(NEXT) | instid1(SALU_CYCLE_1)
	s_and_b32 s38, exec_lo, s37
	s_or_b32 s31, s38, s31
	s_and_not1_b32 s34, s34, exec_lo
	s_and_b32 s38, s36, exec_lo
	s_delay_alu instid0(SALU_CYCLE_1)
	s_or_b32 s34, s34, s38
	s_and_not1_b32 exec_lo, exec_lo, s31
	s_cbranch_execz .LBB16_50
.LBB16_48:                              ; =>This Inner Loop Header: Depth=1
	s_or_b32 s36, s36, exec_lo
	s_or_b32 s37, s37, exec_lo
	s_mov_b32 s38, exec_lo
	s_delay_alu instid0(VALU_DEP_2)
	v_cmpx_lt_u64_e64 v[2:3], v[6:7]
	s_cbranch_execz .LBB16_47
; %bb.49:                               ;   in Loop: Header=BB16_48 Depth=1
	global_load_b64 v[14:15], v[2:3], off offset:-4
	s_and_not1_b32 s37, s37, exec_lo
	s_wait_xcnt 0x0
	v_add_nc_u64_e32 v[2:3], 4, v[2:3]
	s_and_not1_b32 s36, s36, exec_lo
	s_wait_loadcnt 0x0
	v_cmp_ge_i32_e32 vcc_lo, v14, v15
	s_or_b32 s39, s35, vcc_lo
	s_delay_alu instid0(SALU_CYCLE_1) | instskip(NEXT) | instid1(SALU_CYCLE_1)
	s_and_b32 s39, s39, exec_lo
	s_or_b32 s37, s37, s39
	s_branch .LBB16_47
.LBB16_50:
	s_or_b32 exec_lo, exec_lo, s31
	s_delay_alu instid0(SALU_CYCLE_1)
	s_mov_b32 s31, exec_lo
	s_or_not1_b32 s35, s34, exec_lo
.LBB16_51:
	s_or_b32 exec_lo, exec_lo, s1
	s_mov_b32 s34, 0
	s_and_saveexec_b32 s1, s35
	s_delay_alu instid0(SALU_CYCLE_1)
	s_xor_b32 s1, exec_lo, s1
; %bb.52:
	v_cmp_ne_u32_e32 vcc_lo, v13, v10
	s_mov_b32 s34, exec_lo
	s_and_not1_b32 s31, s31, exec_lo
	s_and_b32 s0, vcc_lo, exec_lo
; %bb.53:
	s_or_b32 exec_lo, exec_lo, s1
	s_delay_alu instid0(SALU_CYCLE_1)
	s_and_b32 s35, s31, exec_lo
	s_xor_b32 s1, exec_lo, -1
	s_and_b32 s31, s34, exec_lo
	s_and_b32 s34, s0, exec_lo
.LBB16_54:
	s_or_b32 exec_lo, exec_lo, s57
	s_delay_alu instid0(SALU_CYCLE_1)
	s_and_b32 s36, s35, exec_lo
	s_and_b32 s35, s1, exec_lo
	s_xor_b32 s1, exec_lo, -1
	s_and_b32 s31, s31, exec_lo
	s_and_b32 s0, s34, exec_lo
.LBB16_55:
	s_or_b32 exec_lo, exec_lo, s56
	s_delay_alu instid0(SALU_CYCLE_1)
	s_and_b32 s36, s36, exec_lo
	s_and_b32 s35, s35, exec_lo
	;; [unrolled: 1-line block ×4, first 2 shown]
	s_or_not1_b32 s0, s0, exec_lo
.LBB16_56:
	s_or_b32 exec_lo, exec_lo, s55
	s_delay_alu instid0(SALU_CYCLE_1)
	s_and_not1_b32 s31, s53, exec_lo
	s_and_b32 s36, s36, exec_lo
	s_and_b32 s35, s35, exec_lo
	s_or_b32 s53, s31, s36
	s_and_b32 s34, s34, exec_lo
	s_and_b32 s31, s1, exec_lo
	;; [unrolled: 1-line block ×3, first 2 shown]
.LBB16_57:
	s_or_b32 exec_lo, exec_lo, s54
	s_delay_alu instid0(SALU_CYCLE_1)
	s_and_b32 s36, s53, exec_lo
	s_or_not1_b32 s1, s35, exec_lo
	s_and_b32 s35, s34, exec_lo
	s_and_b32 s34, s31, exec_lo
	;; [unrolled: 1-line block ×3, first 2 shown]
.LBB16_58:
	s_or_b32 exec_lo, exec_lo, s52
	s_delay_alu instid0(SALU_CYCLE_1)
	s_and_b32 s36, s36, exec_lo
	s_and_b32 s37, s1, exec_lo
	s_or_not1_b32 s1, s35, exec_lo
	s_and_b32 s34, s34, exec_lo
	s_and_b32 s0, s31, exec_lo
.LBB16_59:
	s_or_b32 exec_lo, exec_lo, s51
	s_delay_alu instid0(SALU_CYCLE_1)
	s_and_b32 s36, s36, exec_lo
	s_and_b32 s35, s37, exec_lo
	;; [unrolled: 1-line block ×4, first 2 shown]
	s_or_not1_b32 s0, s0, exec_lo
.LBB16_60:
	s_or_b32 exec_lo, exec_lo, s50
	s_delay_alu instid0(SALU_CYCLE_1)
	s_and_not1_b32 s34, s48, exec_lo
	s_and_b32 s36, s36, exec_lo
	s_and_b32 s0, s0, exec_lo
	s_or_b32 s48, s34, s36
	s_and_b32 s36, s35, exec_lo
	s_and_b32 s34, s31, exec_lo
	;; [unrolled: 1-line block ×3, first 2 shown]
.LBB16_61:
	s_or_b32 exec_lo, exec_lo, s49
	s_delay_alu instid0(SALU_CYCLE_1)
	s_and_b32 s35, s48, exec_lo
	s_or_not1_b32 s1, s36, exec_lo
	s_and_b32 s36, s34, exec_lo
	s_and_b32 s31, s31, exec_lo
	;; [unrolled: 1-line block ×3, first 2 shown]
.LBB16_62:
	s_or_b32 exec_lo, exec_lo, s47
	s_delay_alu instid0(SALU_CYCLE_1)
	s_and_b32 s35, s35, exec_lo
	s_and_b32 s1, s1, exec_lo
	s_or_not1_b32 s0, s36, exec_lo
	s_and_b32 s31, s31, exec_lo
	s_and_b32 s34, s34, exec_lo
.LBB16_63:
	s_or_b32 exec_lo, exec_lo, s46
	s_delay_alu instid0(SALU_CYCLE_1)
	s_and_b32 s38, s35, exec_lo
	s_and_b32 s1, s1, exec_lo
	;; [unrolled: 1-line block ×4, first 2 shown]
	s_or_not1_b32 s34, s34, exec_lo
.LBB16_64:
	s_or_b32 exec_lo, exec_lo, s45
	s_and_saveexec_b32 s35, s34
	s_cbranch_execnz .LBB16_208
.LBB16_65:
	s_or_b32 exec_lo, exec_lo, s35
	s_mov_b32 s34, 0
	s_and_saveexec_b32 s35, s31
	s_delay_alu instid0(SALU_CYCLE_1)
	s_xor_b32 s31, exec_lo, s35
; %bb.66:
	v_cmp_ne_u32_e32 vcc_lo, v21, v18
	s_and_not1_b32 s0, s0, exec_lo
	s_mov_b32 s34, exec_lo
	s_and_b32 s35, vcc_lo, exec_lo
	s_delay_alu instid0(SALU_CYCLE_1)
	s_or_b32 s0, s0, s35
; %bb.67:
	s_or_b32 exec_lo, exec_lo, s31
	s_and_saveexec_b32 s31, s0
	s_cbranch_execnz .LBB16_209
.LBB16_68:
	s_or_b32 exec_lo, exec_lo, s31
	s_mov_b32 s31, 0
	s_and_saveexec_b32 s0, s34
	s_delay_alu instid0(SALU_CYCLE_1)
	s_xor_b32 s34, exec_lo, s0
	s_cbranch_execz .LBB16_95
; %bb.69:
	v_sub_nc_u32_e32 v1, v5, v9
	s_and_not1_b32 s1, s1, exec_lo
	s_mov_b32 s31, exec_lo
	s_delay_alu instid0(VALU_DEP_1) | instskip(SKIP_2) | instid1(SALU_CYCLE_1)
	v_cmp_gt_i32_e32 vcc_lo, v10, v1
	v_cmp_lt_i32_e64 s0, s16, v1
	s_or_b32 s0, vcc_lo, s0
	s_and_b32 s0, s0, exec_lo
	s_delay_alu instid0(SALU_CYCLE_1)
	s_or_b32 s1, s1, s0
	s_or_b32 exec_lo, exec_lo, s34
	s_and_saveexec_b32 s0, s1
	s_cbranch_execz .LBB16_96
.LBB16_70:
	s_or_b32 s3, s3, exec_lo
	s_and_not1_b32 s31, s31, exec_lo
	s_trap 2
	s_or_b32 exec_lo, exec_lo, s0
	s_mov_b32 s0, 0
	s_and_saveexec_b32 s39, s31
	s_cbranch_execnz .LBB16_97
.LBB16_71:
	s_or_b32 exec_lo, exec_lo, s39
	s_and_saveexec_b32 s1, s38
	s_cbranch_execnz .LBB16_125
.LBB16_72:
	s_or_b32 exec_lo, exec_lo, s1
	s_and_saveexec_b32 s1, s0
	s_delay_alu instid0(SALU_CYCLE_1)
	s_xor_b32 s0, exec_lo, s1
	s_cbranch_execz .LBB16_74
.LBB16_73:
	v_mov_b32_e32 v2, 0
	s_add_nc_u64 s[16:17], s[4:5], s[24:25]
	s_delay_alu instid0(VALU_DEP_1)
	v_dual_mov_b32 v3, v2 :: v_dual_mov_b32 v4, v2
	v_mov_b32_e32 v5, v2
	global_store_b128 v0, v[2:5], s[16:17] scale_offset
.LBB16_74:
	s_wait_xcnt 0x0
	s_or_b32 exec_lo, exec_lo, s0
	s_mov_b32 s0, 0
.LBB16_75:
	s_delay_alu instid0(SALU_CYCLE_1)
	s_and_b32 vcc_lo, exec_lo, s0
	s_cbranch_vccz .LBB16_104
; %bb.76:
	v_mov_b64_e32 v[6:7], 0
	v_cmp_gt_i32_e64 s0, s33, v0
	v_dual_mov_b32 v1, 0 :: v_dual_mov_b32 v3, 0
	s_wait_loadcnt 0x0
	v_or_b32_e32 v17, 0x100, v0
	v_dual_mov_b32 v2, 0 :: v_dual_mov_b32 v4, 0
	v_dual_mov_b32 v9, 0 :: v_dual_mov_b32 v11, 0
	;; [unrolled: 1-line block ×8, first 2 shown]
	v_mov_b32_e32 v24, 0
	s_and_saveexec_b32 s1, s0
	s_cbranch_execz .LBB16_84
; %bb.77:
	v_dual_mov_b32 v18, 0 :: v_dual_bitop2_b32 v1, s2, v0 bitop3:0x54
	v_mov_b64_e32 v[6:7], 0
	v_dual_mov_b32 v14, 0 :: v_dual_mov_b32 v16, 0
	s_clause 0x4
	global_load_b32 v21, v1, s[6:7] scale_offset
	global_load_b32 v23, v1, s[8:9] scale_offset
	;; [unrolled: 1-line block ×5, first 2 shown]
	v_dual_mov_b32 v19, 0 :: v_dual_mov_b32 v15, 0
	v_dual_mov_b32 v13, 0 :: v_dual_mov_b32 v8, 0
	;; [unrolled: 1-line block ×5, first 2 shown]
	s_wait_xcnt 0x0
	v_mov_b32_e32 v1, 0
	s_mov_b32 s16, exec_lo
	v_cmpx_gt_u32_e64 s33, v17
	s_cbranch_execz .LBB16_83
; %bb.78:
	v_dual_mov_b32 v13, 0 :: v_dual_add_nc_u32 v12, s2, v0
	v_or_b32_e32 v1, 0x200, v0
	v_mov_b64_e32 v[6:7], 0
	v_dual_mov_b32 v8, 0 :: v_dual_mov_b32 v10, 0
	s_clause 0x4
	global_load_b32 v15, v12, s[6:7] offset:1024 scale_offset
	global_load_b32 v19, v12, s[8:9] offset:1024 scale_offset
	global_load_b32 v16, v12, s[10:11] offset:1024 scale_offset
	global_load_b32 v14, v12, s[12:13] offset:1024 scale_offset
	global_load_b32 v18, v12, s[14:15] offset:1024 scale_offset
	v_cmp_gt_u32_e32 vcc_lo, s33, v1
	v_dual_mov_b32 v11, 0 :: v_dual_mov_b32 v9, 0
	v_dual_mov_b32 v4, 0 :: v_dual_mov_b32 v2, 0
	;; [unrolled: 1-line block ×3, first 2 shown]
	s_wait_xcnt 0x0
	s_and_saveexec_b32 s17, vcc_lo
	s_cbranch_execz .LBB16_82
; %bb.79:
	v_lshlrev_b64_e32 v[2:3], 2, v[12:13]
	v_or_b32_e32 v1, 0x300, v0
	v_mov_b64_e32 v[6:7], 0
	s_delay_alu instid0(VALU_DEP_2) | instskip(NEXT) | instid1(VALU_DEP_4)
	v_cmp_gt_u32_e32 vcc_lo, s33, v1
	v_add_nc_u64_e32 v[4:5], s[6:7], v[2:3]
	v_add_nc_u64_e32 v[26:27], s[8:9], v[2:3]
	;; [unrolled: 1-line block ×5, first 2 shown]
	v_dual_mov_b32 v2, 0 :: v_dual_mov_b32 v3, 0
	global_load_b32 v9, v[4:5], off offset:2048
	global_load_b32 v11, v[26:27], off offset:2048
	global_load_b32 v10, v[30:31], off offset:2048
	global_load_b32 v8, v[32:33], off offset:2048
	global_load_b32 v12, v[28:29], off offset:2048
	v_mov_b32_e32 v1, 0
	s_wait_xcnt 0x0
	s_and_saveexec_b32 s6, vcc_lo
	s_cbranch_execz .LBB16_81
; %bb.80:
	global_load_b32 v6, v[28:29], off offset:3072
	global_load_b32 v1, v[4:5], off offset:3072
	;; [unrolled: 1-line block ×5, first 2 shown]
	s_wait_loadcnt 0x4
	v_ashrrev_i32_e32 v7, 31, v6
.LBB16_81:
	s_wait_xcnt 0x0
	s_or_b32 exec_lo, exec_lo, s6
	s_wait_loadcnt 0x0
	v_dual_mov_b32 v4, v13 :: v_dual_mov_b32 v13, v12
.LBB16_82:
	s_or_b32 exec_lo, exec_lo, s17
.LBB16_83:
	s_delay_alu instid0(SALU_CYCLE_1)
	s_or_b32 exec_lo, exec_lo, s16
.LBB16_84:
	s_delay_alu instid0(SALU_CYCLE_1)
	s_or_b32 exec_lo, exec_lo, s1
	s_clause 0x3
	s_load_b128 s[8:11], s[20:21], 0x8
	s_load_b32 s28, s[20:21], 0x18
	s_load_b32 s36, s[20:21], 0x0
	s_load_b64 s[6:7], s[20:21], 0xa0
	s_cmp_lg_u64 s[22:23], 0
	s_get_pc_i64 s[12:13]
	s_add_nc_u64 s[12:13], s[12:13], .str.2@rel64+4
	s_get_pc_i64 s[14:15]
	s_add_nc_u64 s[14:15], s[14:15], .str.3@rel64+4
	s_cselect_b32 s37, -1, 0
	s_cmp_lg_u64 s[12:13], 0
	s_mov_b32 s1, -1
	s_cselect_b32 s34, -1, 0
	s_cmp_lg_u64 s[14:15], 0
	s_get_pc_i64 s[14:15]
	s_add_nc_u64 s[14:15], s[14:15], .str.4@rel64+4
	s_cselect_b32 s30, -1, 0
	s_mov_b32 s43, 0
	s_mov_b32 s41, 0
	;; [unrolled: 1-line block ×5, first 2 shown]
	s_wait_kmcnt 0x0
	v_cmp_gt_i64_e64 s9, s[10:11], 0
	s_add_co_i32 s12, s28, -1
	s_delay_alu instid0(SALU_CYCLE_1) | instskip(SKIP_1) | instid1(SALU_CYCLE_1)
	s_cmp_gt_i32 s12, -1
	s_cselect_b32 s13, -1, 0
	s_and_b32 s9, s9, s13
	s_cmp_lg_u64 s[14:15], 0
	s_cselect_b32 s29, -1, 0
	s_and_saveexec_b32 s31, s0
	s_cbranch_execz .LBB16_131
; %bb.85:
	s_wait_loadcnt 0x4
	v_cmp_eq_u32_e32 vcc_lo, s36, v21
	s_mov_b32 s13, -1
	s_mov_b32 s1, 0
	s_mov_b32 s14, 0
	;; [unrolled: 1-line block ×3, first 2 shown]
	s_and_b32 s17, s37, vcc_lo
	s_mov_b32 s16, 0
	s_and_saveexec_b32 s35, s17
	s_cbranch_execz .LBB16_130
; %bb.86:
	s_wait_loadcnt 0x3
	v_cmp_eq_u32_e32 vcc_lo, s10, v23
	s_and_b32 s16, s34, vcc_lo
	s_delay_alu instid0(SALU_CYCLE_1)
	s_and_saveexec_b32 s38, s16
	s_cbranch_execz .LBB16_129
; %bb.87:
	s_wait_loadcnt 0x1
	v_sub_nc_u32_e32 v5, v20, v22
	s_delay_alu instid0(VALU_DEP_1)
	v_cmp_le_i32_e32 vcc_lo, v21, v5
	v_cmp_ge_i32_e64 s1, s8, v5
	s_and_b32 s14, vcc_lo, s1
	s_mov_b32 s1, 0
	s_and_b32 s15, s30, s14
	s_mov_b32 s14, 0
	s_and_saveexec_b32 s39, s15
	s_cbranch_execz .LBB16_128
; %bb.88:
	v_mov_b64_e32 v[26:27], 0
	s_and_not1_b32 vcc_lo, exec_lo, s9
	s_cbranch_vccnz .LBB16_118
; %bb.89:
	s_wait_loadcnt 0x0
	v_ashrrev_i32_e32 v25, 31, v24
	s_ashr_i32 s13, s12, 31
	v_mov_b64_e32 v[26:27], 0
	s_lshl_b64 s[16:17], s[12:13], 3
	s_mov_b64 s[14:15], 0xffffffff
	v_mul_u64_e32 v[28:29], s[10:11], v[24:25]
	v_mov_b32_e32 v24, 0
	s_add_nc_u64 s[16:17], s[20:21], s[16:17]
	s_mov_b32 s19, 0
	s_add_nc_u64 s[16:17], s[16:17], 32
	s_mov_b32 s13, s28
	s_branch .LBB16_91
.LBB16_90:                              ;   in Loop: Header=BB16_91 Depth=1
	s_or_b32 exec_lo, exec_lo, s1
	s_delay_alu instid0(VALU_DEP_1)
	v_mul_u64_e32 v[32:33], s[22:23], v[30:31]
	s_load_b64 s[22:23], s[16:17], 0x40
	s_add_co_i32 s13, s13, -1
	s_wait_xcnt 0x0
	s_add_nc_u64 s[16:17], s[16:17], -8
	s_cmp_eq_u32 s13, 0
	s_delay_alu instid0(VALU_DEP_1) | instskip(SKIP_1) | instid1(VALU_DEP_1)
	v_sub_nc_u64_e32 v[28:29], v[28:29], v[32:33]
	s_wait_kmcnt 0x0
	v_mad_nc_u64_u32 v[26:27], v28, s22, v[26:27]
	s_delay_alu instid0(VALU_DEP_1) | instskip(NEXT) | instid1(VALU_DEP_1)
	v_mad_u32 v5, v29, s22, v27
	v_mad_u32 v27, v28, s23, v5
	v_mov_b64_e32 v[28:29], v[30:31]
	s_cbranch_scc1 .LBB16_118
.LBB16_91:                              ; =>This Inner Loop Header: Depth=1
	s_load_b64 s[22:23], s[16:17], 0x0
                                        ; implicit-def: $vgpr30_vgpr31
	s_mov_b32 s1, exec_lo
	s_wait_kmcnt 0x0
	s_delay_alu instid0(VALU_DEP_1) | instskip(NEXT) | instid1(VALU_DEP_1)
	v_or_b32_e32 v25, s23, v29
	v_cmpx_ne_u64_e32 0, v[24:25]
	s_xor_b32 s40, exec_lo, s1
	s_cbranch_execz .LBB16_93
; %bb.92:                               ;   in Loop: Header=BB16_91 Depth=1
	s_ashr_i32 s24, s23, 31
	v_dual_mov_b32 v35, v24 :: v_dual_ashrrev_i32 v30, 31, v29
	s_mov_b32 s25, s24
	s_delay_alu instid0(SALU_CYCLE_1) | instskip(NEXT) | instid1(VALU_DEP_1)
	s_add_nc_u64 s[26:27], s[22:23], s[24:25]
	v_mov_b32_e32 v31, v30
	s_xor_b64 s[26:27], s[26:27], s[24:25]
	s_delay_alu instid0(SALU_CYCLE_1)
	s_cvt_f32_u32 s1, s26
	s_cvt_f32_u32 s18, s27
	s_sub_nc_u64 s[46:47], 0, s[26:27]
	v_add_nc_u64_e32 v[32:33], v[28:29], v[30:31]
	v_mov_b32_e32 v39, v24
	s_fmamk_f32 s1, s18, 0x4f800000, s1
	s_delay_alu instid0(SALU_CYCLE_3) | instskip(NEXT) | instid1(VALU_DEP_2)
	v_s_rcp_f32 s1, s1
	v_xor_b32_e32 v34, v32, v30
	s_delay_alu instid0(VALU_DEP_3) | instskip(NEXT) | instid1(TRANS32_DEP_1)
	v_dual_mov_b32 v43, v24 :: v_dual_bitop2_b32 v38, v33, v30 bitop3:0x14
	s_mul_f32 s1, s1, 0x5f7ffffc
	s_delay_alu instid0(SALU_CYCLE_3) | instskip(NEXT) | instid1(SALU_CYCLE_3)
	s_mul_f32 s18, s1, 0x2f800000
	s_trunc_f32 s18, s18
	s_delay_alu instid0(SALU_CYCLE_3) | instskip(SKIP_1) | instid1(SALU_CYCLE_2)
	s_fmamk_f32 s1, s18, 0xcf800000, s1
	s_cvt_u32_f32 s45, s18
	s_cvt_u32_f32 s44, s1
	s_delay_alu instid0(SALU_CYCLE_3) | instskip(NEXT) | instid1(SALU_CYCLE_1)
	s_mul_u64 s[48:49], s[46:47], s[44:45]
	s_mul_hi_u32 s51, s44, s49
	s_mul_i32 s50, s44, s49
	s_mul_hi_u32 s18, s44, s48
	s_mul_i32 s25, s45, s48
	s_add_nc_u64 s[50:51], s[18:19], s[50:51]
	s_mul_hi_u32 s1, s45, s48
	s_mul_hi_u32 s41, s45, s49
	s_add_co_u32 s18, s50, s25
	s_add_co_ci_u32 s18, s51, s1
	s_mul_i32 s48, s45, s49
	s_add_co_ci_u32 s49, s41, 0
	s_delay_alu instid0(SALU_CYCLE_1) | instskip(NEXT) | instid1(SALU_CYCLE_1)
	s_add_nc_u64 s[48:49], s[18:19], s[48:49]
	s_add_co_u32 s44, s44, s48
	s_cselect_b32 s1, -1, 0
	s_delay_alu instid0(SALU_CYCLE_1) | instskip(SKIP_1) | instid1(SALU_CYCLE_1)
	s_cmp_lg_u32 s1, 0
	s_add_co_ci_u32 s45, s45, s49
	s_mul_u64 s[46:47], s[46:47], s[44:45]
	s_delay_alu instid0(SALU_CYCLE_1)
	s_mul_hi_u32 s49, s44, s47
	s_mul_i32 s48, s44, s47
	s_mul_hi_u32 s18, s44, s46
	s_mul_i32 s25, s45, s46
	s_add_nc_u64 s[48:49], s[18:19], s[48:49]
	s_mul_hi_u32 s1, s45, s46
	s_mul_hi_u32 s41, s45, s47
	s_add_co_u32 s18, s48, s25
	s_add_co_ci_u32 s18, s49, s1
	s_mul_i32 s46, s45, s47
	s_add_co_ci_u32 s47, s41, 0
	s_delay_alu instid0(SALU_CYCLE_1) | instskip(NEXT) | instid1(SALU_CYCLE_1)
	s_add_nc_u64 s[46:47], s[18:19], s[46:47]
	s_add_co_u32 s42, s44, s46
	s_cselect_b32 s1, -1, 0
	v_mul_hi_u32 v42, v34, s42
	s_cmp_lg_u32 s1, 0
	s_add_co_ci_u32 s18, s45, s47
	s_and_b64 s[44:45], s[42:43], s[14:15]
	v_mul_u64_e32 v[36:37], s[18:19], v[34:35]
	v_mul_u64_e32 v[32:33], s[44:45], v[38:39]
	;; [unrolled: 1-line block ×3, first 2 shown]
	s_delay_alu instid0(VALU_DEP_3) | instskip(NEXT) | instid1(VALU_DEP_1)
	v_add_nc_u64_e32 v[36:37], v[42:43], v[36:37]
	v_add_co_u32 v5, vcc_lo, v36, v32
	s_delay_alu instid0(VALU_DEP_2) | instskip(NEXT) | instid1(VALU_DEP_4)
	v_add_co_ci_u32_e32 v42, vcc_lo, v37, v33, vcc_lo
	v_add_co_ci_u32_e32 v41, vcc_lo, 0, v41, vcc_lo
	s_delay_alu instid0(VALU_DEP_1) | instskip(NEXT) | instid1(VALU_DEP_1)
	v_add_nc_u64_e32 v[32:33], v[42:43], v[40:41]
	v_mul_u64_e32 v[36:37], s[26:27], v[32:33]
	s_delay_alu instid0(VALU_DEP_1) | instskip(NEXT) | instid1(VALU_DEP_2)
	v_sub_nc_u32_e32 v5, v38, v37
	v_sub_co_u32 v12, vcc_lo, v34, v36
	s_delay_alu instid0(VALU_DEP_1) | instskip(NEXT) | instid1(VALU_DEP_3)
	v_sub_co_ci_u32_e64 v23, null, v38, v37, vcc_lo
	v_subrev_co_ci_u32_e64 v5, null, s27, v5, vcc_lo
	s_delay_alu instid0(VALU_DEP_3) | instskip(SKIP_1) | instid1(VALU_DEP_3)
	v_sub_co_u32 v21, s1, v12, s26
	v_add_nc_u64_e32 v[34:35], 2, v[32:33]
	v_subrev_co_ci_u32_e64 v5, null, 0, v5, s1
	s_delay_alu instid0(VALU_DEP_3) | instskip(SKIP_2) | instid1(VALU_DEP_4)
	v_cmp_le_u32_e32 vcc_lo, s26, v21
	v_add_nc_u64_e32 v[36:37], 1, v[32:33]
	v_cndmask_b32_e64 v21, 0, -1, vcc_lo
	v_cmp_le_u32_e32 vcc_lo, s27, v5
	v_cndmask_b32_e64 v25, 0, -1, vcc_lo
	v_cmp_le_u32_e32 vcc_lo, s26, v12
	;; [unrolled: 2-line block ×3, first 2 shown]
	v_cndmask_b32_e64 v31, 0, -1, vcc_lo
	v_cmp_eq_u32_e32 vcc_lo, s27, v5
	v_cndmask_b32_e32 v5, v25, v21, vcc_lo
	v_cmp_eq_u32_e32 vcc_lo, s27, v23
	s_delay_alu instid0(VALU_DEP_4) | instskip(NEXT) | instid1(VALU_DEP_3)
	v_cndmask_b32_e32 v12, v31, v12, vcc_lo
	v_cmp_ne_u32_e32 vcc_lo, 0, v5
	s_delay_alu instid0(VALU_DEP_2) | instskip(SKIP_1) | instid1(VALU_DEP_1)
	v_cmp_ne_u32_e64 s1, 0, v12
	v_dual_cndmask_b32 v5, v37, v35 :: v_dual_cndmask_b32 v12, v36, v34
	v_dual_cndmask_b32 v5, v33, v5, s1 :: v_dual_bitop2_b32 v30, s24, v30 bitop3:0x14
	s_delay_alu instid0(VALU_DEP_1) | instskip(NEXT) | instid1(VALU_DEP_2)
	v_dual_cndmask_b32 v12, v32, v12, s1 :: v_dual_mov_b32 v31, v30
	v_xor_b32_e32 v33, v5, v30
	s_delay_alu instid0(VALU_DEP_2) | instskip(NEXT) | instid1(VALU_DEP_1)
	v_xor_b32_e32 v32, v12, v30
	v_sub_nc_u64_e32 v[30:31], v[32:33], v[30:31]
.LBB16_93:                              ;   in Loop: Header=BB16_91 Depth=1
	s_and_not1_saveexec_b32 s1, s40
	s_cbranch_execz .LBB16_90
; %bb.94:                               ;   in Loop: Header=BB16_91 Depth=1
	v_cvt_f32_u32_e32 v5, s22
	s_sub_co_i32 s18, 0, s22
	v_mov_b32_e32 v31, v24
	s_delay_alu instid0(VALU_DEP_2) | instskip(SKIP_1) | instid1(TRANS32_DEP_1)
	v_rcp_iflag_f32_e32 v5, v5
	v_nop
	v_mul_f32_e32 v5, 0x4f7ffffe, v5
	s_delay_alu instid0(VALU_DEP_1) | instskip(NEXT) | instid1(VALU_DEP_1)
	v_cvt_u32_f32_e32 v5, v5
	v_mul_lo_u32 v12, s18, v5
	s_delay_alu instid0(VALU_DEP_1) | instskip(NEXT) | instid1(VALU_DEP_1)
	v_mul_hi_u32 v12, v5, v12
	v_add_nc_u32_e32 v5, v5, v12
	s_delay_alu instid0(VALU_DEP_1) | instskip(NEXT) | instid1(VALU_DEP_1)
	v_mul_hi_u32 v5, v28, v5
	v_mul_lo_u32 v12, v5, s22
	s_delay_alu instid0(VALU_DEP_1) | instskip(NEXT) | instid1(VALU_DEP_1)
	v_dual_add_nc_u32 v21, 1, v5 :: v_dual_sub_nc_u32 v12, v28, v12
	v_subrev_nc_u32_e32 v23, s22, v12
	v_cmp_le_u32_e32 vcc_lo, s22, v12
	s_delay_alu instid0(VALU_DEP_2) | instskip(NEXT) | instid1(VALU_DEP_1)
	v_dual_cndmask_b32 v12, v12, v23 :: v_dual_cndmask_b32 v5, v5, v21
	v_cmp_le_u32_e32 vcc_lo, s22, v12
	s_delay_alu instid0(VALU_DEP_2) | instskip(NEXT) | instid1(VALU_DEP_1)
	v_add_nc_u32_e32 v21, 1, v5
	v_cndmask_b32_e32 v30, v5, v21, vcc_lo
	s_branch .LBB16_90
.LBB16_95:
	s_or_b32 exec_lo, exec_lo, s34
	s_and_saveexec_b32 s0, s1
	s_cbranch_execnz .LBB16_70
.LBB16_96:
	s_or_b32 exec_lo, exec_lo, s0
	s_mov_b32 s0, 0
	s_and_saveexec_b32 s39, s31
	s_cbranch_execz .LBB16_71
.LBB16_97:
	v_mov_b64_e32 v[2:3], 0
	s_and_not1_b32 vcc_lo, exec_lo, s17
	s_cbranch_vccnz .LBB16_113
; %bb.98:
	s_wait_loadcnt 0x0
	v_dual_mov_b32 v2, v17 :: v_dual_ashrrev_i32 v3, 31, v17
	s_ashr_i32 s31, s30, 31
	v_mov_b32_e32 v6, 0
	s_lshl_b64 s[0:1], s[30:31], 3
	s_mov_b64 s[16:17], 0xffffffff
	v_mul_u64_e32 v[10:11], s[18:19], v[2:3]
	v_mov_b64_e32 v[2:3], 0
	s_add_nc_u64 s[0:1], s[20:21], s[0:1]
	s_delay_alu instid0(SALU_CYCLE_1)
	s_add_nc_u64 s[18:19], s[0:1], 32
	s_mov_b32 s1, 0
	s_branch .LBB16_100
.LBB16_99:                              ;   in Loop: Header=BB16_100 Depth=1
	s_or_b32 exec_lo, exec_lo, s0
	s_delay_alu instid0(VALU_DEP_1)
	v_mul_u64_e32 v[14:15], s[30:31], v[12:13]
	s_load_b64 s[30:31], s[18:19], 0x40
	s_add_co_i32 s26, s26, -1
	s_wait_xcnt 0x0
	s_add_nc_u64 s[18:19], s[18:19], -8
	s_cmp_lg_u32 s26, 0
	s_delay_alu instid0(VALU_DEP_1) | instskip(SKIP_1) | instid1(VALU_DEP_1)
	v_sub_nc_u64_e32 v[10:11], v[10:11], v[14:15]
	s_wait_kmcnt 0x0
	v_mad_nc_u64_u32 v[2:3], v10, s30, v[2:3]
	s_delay_alu instid0(VALU_DEP_1) | instskip(NEXT) | instid1(VALU_DEP_1)
	v_mad_u32 v1, v11, s30, v3
	v_mad_u32 v3, v10, s31, v1
	v_mov_b64_e32 v[10:11], v[12:13]
	s_cbranch_scc0 .LBB16_113
.LBB16_100:                             ; =>This Inner Loop Header: Depth=1
	s_load_b64 s[30:31], s[18:19], 0x0
                                        ; implicit-def: $vgpr12_vgpr13
	s_mov_b32 s0, exec_lo
	s_wait_kmcnt 0x0
	s_delay_alu instid0(VALU_DEP_1) | instskip(NEXT) | instid1(VALU_DEP_1)
	v_or_b32_e32 v7, s31, v11
	v_cmpx_ne_u64_e32 0, v[6:7]
	s_xor_b32 s40, exec_lo, s0
	s_cbranch_execz .LBB16_102
; %bb.101:                              ;   in Loop: Header=BB16_100 Depth=1
	s_ashr_i32 s34, s31, 31
	v_dual_mov_b32 v17, v6 :: v_dual_ashrrev_i32 v12, 31, v11
	s_mov_b32 s35, s34
	s_delay_alu instid0(SALU_CYCLE_1) | instskip(NEXT) | instid1(VALU_DEP_1)
	s_add_nc_u64 s[36:37], s[30:31], s[34:35]
	v_mov_b32_e32 v13, v12
	s_xor_b64 s[36:37], s[36:37], s[34:35]
	s_delay_alu instid0(SALU_CYCLE_1)
	s_cvt_f32_u32 s0, s36
	s_cvt_f32_u32 s35, s37
	s_sub_nc_u64 s[46:47], 0, s[36:37]
	v_add_nc_u64_e32 v[14:15], v[10:11], v[12:13]
	v_mov_b32_e32 v21, v6
	s_fmamk_f32 s0, s35, 0x4f800000, s0
	s_delay_alu instid0(SALU_CYCLE_3) | instskip(NEXT) | instid1(VALU_DEP_2)
	v_s_rcp_f32 s0, s0
	v_xor_b32_e32 v16, v14, v12
	s_delay_alu instid0(VALU_DEP_3) | instskip(NEXT) | instid1(TRANS32_DEP_1)
	v_dual_mov_b32 v25, v6 :: v_dual_bitop2_b32 v20, v15, v12 bitop3:0x14
	s_mul_f32 s0, s0, 0x5f7ffffc
	s_delay_alu instid0(SALU_CYCLE_3) | instskip(NEXT) | instid1(SALU_CYCLE_3)
	s_mul_f32 s35, s0, 0x2f800000
	s_trunc_f32 s35, s35
	s_delay_alu instid0(SALU_CYCLE_3) | instskip(SKIP_1) | instid1(SALU_CYCLE_2)
	s_fmamk_f32 s0, s35, 0xcf800000, s0
	s_cvt_u32_f32 s43, s35
	s_cvt_u32_f32 s42, s0
	s_delay_alu instid0(SALU_CYCLE_3) | instskip(NEXT) | instid1(SALU_CYCLE_1)
	s_mul_u64 s[48:49], s[46:47], s[42:43]
	s_mul_hi_u32 s51, s42, s49
	s_mul_i32 s50, s42, s49
	s_mul_hi_u32 s0, s42, s48
	s_mul_i32 s41, s43, s48
	s_add_nc_u64 s[50:51], s[0:1], s[50:51]
	s_mul_hi_u32 s35, s43, s48
	s_mul_hi_u32 s45, s43, s49
	s_add_co_u32 s0, s50, s41
	s_add_co_ci_u32 s0, s51, s35
	s_mul_i32 s48, s43, s49
	s_add_co_ci_u32 s49, s45, 0
	s_delay_alu instid0(SALU_CYCLE_1) | instskip(NEXT) | instid1(SALU_CYCLE_1)
	s_add_nc_u64 s[48:49], s[0:1], s[48:49]
	s_add_co_u32 s42, s42, s48
	s_cselect_b32 s0, -1, 0
	s_delay_alu instid0(SALU_CYCLE_1) | instskip(SKIP_1) | instid1(SALU_CYCLE_1)
	s_cmp_lg_u32 s0, 0
	s_add_co_ci_u32 s43, s43, s49
	s_mul_u64 s[46:47], s[46:47], s[42:43]
	s_delay_alu instid0(SALU_CYCLE_1)
	s_mul_hi_u32 s49, s42, s47
	s_mul_i32 s48, s42, s47
	s_mul_hi_u32 s0, s42, s46
	s_mul_i32 s41, s43, s46
	s_add_nc_u64 s[48:49], s[0:1], s[48:49]
	s_mul_hi_u32 s35, s43, s46
	s_mul_hi_u32 s45, s43, s47
	s_add_co_u32 s0, s48, s41
	s_add_co_ci_u32 s0, s49, s35
	s_mul_i32 s46, s43, s47
	s_add_co_ci_u32 s47, s45, 0
	s_delay_alu instid0(SALU_CYCLE_1) | instskip(NEXT) | instid1(SALU_CYCLE_1)
	s_add_nc_u64 s[46:47], s[0:1], s[46:47]
	s_add_co_u32 s42, s42, s46
	s_cselect_b32 s0, -1, 0
	v_mul_hi_u32 v24, v16, s42
	s_cmp_lg_u32 s0, 0
	s_add_co_ci_u32 s0, s43, s47
	s_and_b64 s[46:47], s[42:43], s[16:17]
	v_mul_u64_e32 v[18:19], s[0:1], v[16:17]
	v_mul_u64_e32 v[14:15], s[46:47], v[20:21]
	;; [unrolled: 1-line block ×3, first 2 shown]
	s_delay_alu instid0(VALU_DEP_3) | instskip(NEXT) | instid1(VALU_DEP_1)
	v_add_nc_u64_e32 v[18:19], v[24:25], v[18:19]
	v_add_co_u32 v1, vcc_lo, v18, v14
	s_delay_alu instid0(VALU_DEP_2) | instskip(NEXT) | instid1(VALU_DEP_4)
	v_add_co_ci_u32_e32 v24, vcc_lo, v19, v15, vcc_lo
	v_add_co_ci_u32_e32 v23, vcc_lo, 0, v23, vcc_lo
	s_delay_alu instid0(VALU_DEP_1) | instskip(NEXT) | instid1(VALU_DEP_1)
	v_add_nc_u64_e32 v[14:15], v[24:25], v[22:23]
	v_mul_u64_e32 v[18:19], s[36:37], v[14:15]
	s_delay_alu instid0(VALU_DEP_1) | instskip(NEXT) | instid1(VALU_DEP_2)
	v_sub_nc_u32_e32 v1, v20, v19
	v_sub_co_u32 v4, vcc_lo, v16, v18
	s_delay_alu instid0(VALU_DEP_1) | instskip(NEXT) | instid1(VALU_DEP_3)
	v_sub_co_ci_u32_e64 v8, null, v20, v19, vcc_lo
	v_subrev_co_ci_u32_e64 v1, null, s37, v1, vcc_lo
	s_delay_alu instid0(VALU_DEP_3) | instskip(SKIP_1) | instid1(VALU_DEP_3)
	v_sub_co_u32 v7, s0, v4, s36
	v_add_nc_u64_e32 v[16:17], 2, v[14:15]
	v_subrev_co_ci_u32_e64 v1, null, 0, v1, s0
	s_delay_alu instid0(VALU_DEP_3) | instskip(SKIP_2) | instid1(VALU_DEP_4)
	v_cmp_le_u32_e32 vcc_lo, s36, v7
	v_add_nc_u64_e32 v[18:19], 1, v[14:15]
	v_cndmask_b32_e64 v7, 0, -1, vcc_lo
	v_cmp_le_u32_e32 vcc_lo, s37, v1
	v_cndmask_b32_e64 v13, 0, -1, vcc_lo
	v_cmp_le_u32_e32 vcc_lo, s36, v4
	;; [unrolled: 2-line block ×3, first 2 shown]
	v_cndmask_b32_e64 v20, 0, -1, vcc_lo
	v_cmp_eq_u32_e32 vcc_lo, s37, v1
	v_cndmask_b32_e32 v1, v13, v7, vcc_lo
	v_cmp_eq_u32_e32 vcc_lo, s37, v8
	s_delay_alu instid0(VALU_DEP_4) | instskip(NEXT) | instid1(VALU_DEP_3)
	v_cndmask_b32_e32 v4, v20, v4, vcc_lo
	v_cmp_ne_u32_e32 vcc_lo, 0, v1
	s_delay_alu instid0(VALU_DEP_2) | instskip(SKIP_1) | instid1(VALU_DEP_1)
	v_cmp_ne_u32_e64 s0, 0, v4
	v_dual_cndmask_b32 v1, v19, v17 :: v_dual_cndmask_b32 v4, v18, v16
	v_dual_cndmask_b32 v1, v15, v1, s0 :: v_dual_bitop2_b32 v12, s34, v12 bitop3:0x14
	s_delay_alu instid0(VALU_DEP_1) | instskip(NEXT) | instid1(VALU_DEP_2)
	v_dual_cndmask_b32 v4, v14, v4, s0 :: v_dual_mov_b32 v13, v12
	v_xor_b32_e32 v15, v1, v12
	s_delay_alu instid0(VALU_DEP_2) | instskip(NEXT) | instid1(VALU_DEP_1)
	v_xor_b32_e32 v14, v4, v12
	v_sub_nc_u64_e32 v[12:13], v[14:15], v[12:13]
.LBB16_102:                             ;   in Loop: Header=BB16_100 Depth=1
	s_and_not1_saveexec_b32 s0, s40
	s_cbranch_execz .LBB16_99
; %bb.103:                              ;   in Loop: Header=BB16_100 Depth=1
	v_cvt_f32_u32_e32 v1, s30
	s_sub_co_i32 s34, 0, s30
	v_mov_b32_e32 v13, v6
	s_delay_alu instid0(VALU_DEP_2) | instskip(SKIP_1) | instid1(TRANS32_DEP_1)
	v_rcp_iflag_f32_e32 v1, v1
	v_nop
	v_mul_f32_e32 v1, 0x4f7ffffe, v1
	s_delay_alu instid0(VALU_DEP_1) | instskip(NEXT) | instid1(VALU_DEP_1)
	v_cvt_u32_f32_e32 v1, v1
	v_mul_lo_u32 v4, s34, v1
	s_delay_alu instid0(VALU_DEP_1) | instskip(NEXT) | instid1(VALU_DEP_1)
	v_mul_hi_u32 v4, v1, v4
	v_add_nc_u32_e32 v1, v1, v4
	s_delay_alu instid0(VALU_DEP_1) | instskip(NEXT) | instid1(VALU_DEP_1)
	v_mul_hi_u32 v1, v10, v1
	v_mul_lo_u32 v4, v1, s30
	s_delay_alu instid0(VALU_DEP_1) | instskip(NEXT) | instid1(VALU_DEP_1)
	v_sub_nc_u32_e32 v4, v10, v4
	v_subrev_nc_u32_e32 v8, s30, v4
	v_cmp_le_u32_e32 vcc_lo, s30, v4
	s_delay_alu instid0(VALU_DEP_2) | instskip(NEXT) | instid1(VALU_DEP_1)
	v_dual_cndmask_b32 v4, v4, v8 :: v_dual_add_nc_u32 v7, 1, v1
	v_cndmask_b32_e32 v1, v1, v7, vcc_lo
	s_delay_alu instid0(VALU_DEP_2) | instskip(NEXT) | instid1(VALU_DEP_2)
	v_cmp_le_u32_e32 vcc_lo, s30, v4
	v_add_nc_u32_e32 v7, 1, v1
	s_delay_alu instid0(VALU_DEP_1)
	v_cndmask_b32_e32 v12, v1, v7, vcc_lo
	s_branch .LBB16_99
.LBB16_104:
                                        ; implicit-def: $sgpr0
                                        ; implicit-def: $sgpr31
                                        ; implicit-def: $sgpr40
                                        ; implicit-def: $sgpr22
                                        ; implicit-def: $vgpr0
	s_and_saveexec_b32 s1, s3
.LBB16_105:
	; divergent unreachable
.LBB16_106:
	s_delay_alu instid0(SALU_CYCLE_1)
	s_or_b32 exec_lo, exec_lo, s1
	s_and_saveexec_b32 s1, s44
	s_cbranch_execz .LBB16_112
; %bb.107:
	s_and_b32 exec_lo, exec_lo, s0
	s_cbranch_execz .LBB16_112
; %bb.108:
	v_dual_mov_b32 v1, 0 :: v_dual_bitop2_b32 v2, s2, v0 bitop3:0x54
	global_store_b32 v2, v1, s[4:5] scale_offset
	s_wait_xcnt 0x0
	s_and_b32 exec_lo, exec_lo, s31
	s_cbranch_execz .LBB16_112
; %bb.109:
	v_add_nc_u32_e32 v0, s2, v0
	global_store_b32 v0, v1, s[4:5] offset:1024 scale_offset
	s_wait_xcnt 0x0
	s_and_b32 exec_lo, exec_lo, s40
	s_cbranch_execz .LBB16_112
; %bb.110:
	v_lshl_add_u64 v[0:1], v[0:1], 2, s[4:5]
	v_mov_b32_e32 v2, 0
	global_store_b32 v[0:1], v2, off offset:2048
	s_wait_xcnt 0x0
	s_and_b32 exec_lo, exec_lo, s22
	s_cbranch_execz .LBB16_112
; %bb.111:
	global_store_b32 v[0:1], v2, off offset:3072
.LBB16_112:
	s_endpgm
.LBB16_113:
	s_mov_b32 s1, s38
	s_mov_b32 s0, exec_lo
	v_cmpx_gt_i32_e64 v5, v9
	s_cbranch_execz .LBB16_124
; %bb.114:
	s_delay_alu instid0(VALU_DEP_2)
	v_lshlrev_b64_e32 v[2:3], 2, v[2:3]
	v_dual_mov_b32 v6, v9 :: v_dual_ashrrev_i32 v7, 31, v9
	v_dual_mov_b32 v10, v5 :: v_dual_ashrrev_i32 v11, 31, v5
	s_mov_b32 s1, 0
	s_wait_kmcnt 0x0
	s_xor_b32 s17, s27, -1
	s_delay_alu instid0(VALU_DEP_3) | instskip(SKIP_1) | instid1(VALU_DEP_2)
	v_lshl_add_u64 v[6:7], v[6:7], 2, v[2:3]
	v_add_nc_u64_e32 v[8:9], s[28:29], v[2:3]
                                        ; implicit-def: $sgpr16
                                        ; implicit-def: $sgpr19
                                        ; implicit-def: $sgpr18
	v_add_nc_u64_e32 v[6:7], s[28:29], v[6:7]
	s_delay_alu instid0(VALU_DEP_2) | instskip(NEXT) | instid1(VALU_DEP_2)
	v_lshl_add_u64 v[4:5], v[10:11], 2, v[8:9]
	v_add_nc_u64_e32 v[2:3], 4, v[6:7]
	s_branch .LBB16_116
.LBB16_115:                             ;   in Loop: Header=BB16_116 Depth=1
	s_or_b32 exec_lo, exec_lo, s26
	s_xor_b32 s26, s18, -1
	s_and_b32 s27, exec_lo, s19
	s_delay_alu instid0(SALU_CYCLE_1) | instskip(SKIP_2) | instid1(SALU_CYCLE_1)
	s_or_b32 s1, s27, s1
	s_and_not1_b32 s16, s16, exec_lo
	s_and_b32 s26, s26, exec_lo
	s_or_b32 s16, s16, s26
	s_and_not1_b32 exec_lo, exec_lo, s1
	s_cbranch_execz .LBB16_123
.LBB16_116:                             ; =>This Inner Loop Header: Depth=1
	s_or_b32 s18, s18, exec_lo
	s_or_b32 s19, s19, exec_lo
	s_mov_b32 s26, exec_lo
	s_delay_alu instid0(VALU_DEP_1)
	v_cmpx_lt_u64_e64 v[2:3], v[4:5]
	s_cbranch_execz .LBB16_115
; %bb.117:                              ;   in Loop: Header=BB16_116 Depth=1
	global_load_b64 v[6:7], v[2:3], off offset:-4
	s_wait_xcnt 0x0
	v_add_nc_u64_e32 v[2:3], 4, v[2:3]
	s_and_not1_b32 s19, s19, exec_lo
	s_and_not1_b32 s18, s18, exec_lo
	s_wait_loadcnt 0x0
	v_cmp_ge_i32_e32 vcc_lo, v6, v7
	s_or_b32 s27, s17, vcc_lo
	s_delay_alu instid0(SALU_CYCLE_1) | instskip(NEXT) | instid1(SALU_CYCLE_1)
	s_and_b32 s27, s27, exec_lo
	s_or_b32 s19, s19, s27
	s_branch .LBB16_115
.LBB16_118:
	s_mov_b32 s15, -1
	s_mov_b32 s13, 0
	s_mov_b32 s1, exec_lo
	v_cmpx_gt_i32_e64 v20, v22
	s_cbranch_execz .LBB16_127
; %bb.119:
	s_wait_loadcnt 0x0
	s_delay_alu instid0(VALU_DEP_2) | instskip(SKIP_2) | instid1(VALU_DEP_1)
	v_lshlrev_b64_e32 v[24:25], 2, v[26:27]
	v_dual_ashrrev_i32 v23, 31, v22 :: v_dual_ashrrev_i32 v21, 31, v20
	s_xor_b32 s15, s29, -1
                                        ; implicit-def: $sgpr14
                                        ; implicit-def: $sgpr17
                                        ; implicit-def: $sgpr16
	v_lshl_add_u64 v[22:23], v[22:23], 2, v[24:25]
	v_add_nc_u64_e32 v[24:25], s[6:7], v[24:25]
	s_delay_alu instid0(VALU_DEP_2) | instskip(NEXT) | instid1(VALU_DEP_2)
	v_add_nc_u64_e32 v[22:23], s[6:7], v[22:23]
	v_lshl_add_u64 v[20:21], v[20:21], 2, v[24:25]
	s_delay_alu instid0(VALU_DEP_2)
	v_add_nc_u64_e32 v[22:23], 4, v[22:23]
	s_branch .LBB16_121
.LBB16_120:                             ;   in Loop: Header=BB16_121 Depth=1
	s_or_b32 exec_lo, exec_lo, s18
	s_delay_alu instid0(SALU_CYCLE_1) | instskip(NEXT) | instid1(SALU_CYCLE_1)
	s_and_b32 s18, exec_lo, s17
	s_or_b32 s13, s18, s13
	s_and_not1_b32 s14, s14, exec_lo
	s_and_b32 s18, s16, exec_lo
	s_delay_alu instid0(SALU_CYCLE_1)
	s_or_b32 s14, s14, s18
	s_and_not1_b32 exec_lo, exec_lo, s13
	s_cbranch_execz .LBB16_126
.LBB16_121:                             ; =>This Inner Loop Header: Depth=1
	s_or_b32 s16, s16, exec_lo
	s_or_b32 s17, s17, exec_lo
	s_mov_b32 s18, exec_lo
	s_delay_alu instid0(VALU_DEP_1)
	v_cmpx_lt_u64_e64 v[22:23], v[20:21]
	s_cbranch_execz .LBB16_120
; %bb.122:                              ;   in Loop: Header=BB16_121 Depth=1
	global_load_b64 v[24:25], v[22:23], off offset:-4
	s_wait_xcnt 0x0
	v_add_nc_u64_e32 v[22:23], 4, v[22:23]
	s_and_not1_b32 s17, s17, exec_lo
	s_and_not1_b32 s16, s16, exec_lo
	s_wait_loadcnt 0x0
	v_cmp_ge_i32_e32 vcc_lo, v24, v25
	s_or_b32 s19, s15, vcc_lo
	s_delay_alu instid0(SALU_CYCLE_1) | instskip(NEXT) | instid1(SALU_CYCLE_1)
	s_and_b32 s19, s19, exec_lo
	s_or_b32 s17, s17, s19
	s_branch .LBB16_120
.LBB16_123:
	s_or_b32 exec_lo, exec_lo, s1
	s_delay_alu instid0(SALU_CYCLE_1) | instskip(SKIP_1) | instid1(SALU_CYCLE_1)
	s_and_not1_b32 s1, s38, exec_lo
	s_and_b32 s16, s16, exec_lo
	s_or_b32 s1, s1, s16
.LBB16_124:
	s_or_b32 exec_lo, exec_lo, s0
	s_delay_alu instid0(SALU_CYCLE_1)
	s_and_not1_b32 s16, s38, exec_lo
	s_and_b32 s1, s1, exec_lo
	s_mov_b32 s0, exec_lo
	s_or_b32 s38, s16, s1
	s_or_b32 exec_lo, exec_lo, s39
	s_and_saveexec_b32 s1, s38
	s_cbranch_execz .LBB16_72
.LBB16_125:
	s_or_b32 s3, s3, exec_lo
	s_and_not1_b32 s0, s0, exec_lo
	s_trap 2
	s_or_b32 exec_lo, exec_lo, s1
	s_and_saveexec_b32 s1, s0
	s_delay_alu instid0(SALU_CYCLE_1)
	s_xor_b32 s0, exec_lo, s1
	s_cbranch_execnz .LBB16_73
	s_branch .LBB16_74
.LBB16_126:
	s_or_b32 exec_lo, exec_lo, s13
	s_delay_alu instid0(SALU_CYCLE_1)
	s_mov_b32 s13, exec_lo
	s_or_not1_b32 s15, s14, exec_lo
.LBB16_127:
	s_or_b32 exec_lo, exec_lo, s1
	s_delay_alu instid0(SALU_CYCLE_1)
	s_and_b32 s14, s13, exec_lo
	s_xor_b32 s13, exec_lo, -1
	s_and_b32 s1, s15, exec_lo
.LBB16_128:
	s_or_b32 exec_lo, exec_lo, s39
	s_delay_alu instid0(SALU_CYCLE_1)
	s_and_b32 s15, s14, exec_lo
	s_and_b32 s14, s13, exec_lo
	s_xor_b32 s13, exec_lo, -1
	s_and_b32 s1, s1, exec_lo
.LBB16_129:
	s_or_b32 exec_lo, exec_lo, s38
	s_delay_alu instid0(SALU_CYCLE_1)
	s_and_b32 s16, s15, exec_lo
	s_and_b32 s15, s14, exec_lo
	;; [unrolled: 1-line block ×3, first 2 shown]
	s_xor_b32 s13, exec_lo, -1
	s_and_b32 s1, s1, exec_lo
.LBB16_130:
	s_or_b32 exec_lo, exec_lo, s35
	s_delay_alu instid0(SALU_CYCLE_1)
	s_and_b32 s35, s16, exec_lo
	s_and_b32 s38, s15, exec_lo
	;; [unrolled: 1-line block ×4, first 2 shown]
	s_or_not1_b32 s1, s1, exec_lo
.LBB16_131:
	s_or_b32 exec_lo, exec_lo, s31
	s_mov_b32 s44, 0
                                        ; implicit-def: $sgpr31
                                        ; implicit-def: $sgpr40
                                        ; implicit-def: $sgpr22
	s_and_saveexec_b32 s42, s1
	s_cbranch_execz .LBB16_143
; %bb.132:
	v_cmp_gt_i32_e64 s31, s33, v17
	s_mov_b32 s1, -1
	s_mov_b32 s48, 0
	s_mov_b32 s43, s41
	;; [unrolled: 1-line block ×4, first 2 shown]
	s_and_saveexec_b32 s40, s31
	s_cbranch_execz .LBB16_179
; %bb.133:
	s_wait_loadcnt 0x4
	v_cmp_eq_u32_e32 vcc_lo, s36, v15
	s_mov_b32 s13, -1
	s_mov_b32 s1, 0
	s_mov_b32 s15, s39
	;; [unrolled: 1-line block ×3, first 2 shown]
	s_and_b32 s17, s37, vcc_lo
	s_mov_b32 s14, 0
	s_and_saveexec_b32 s43, s17
	s_cbranch_execz .LBB16_178
; %bb.134:
	s_wait_loadcnt 0x3
	v_cmp_eq_u32_e32 vcc_lo, s10, v19
	s_mov_b32 s15, s38
	s_and_b32 s16, s34, vcc_lo
	s_delay_alu instid0(SALU_CYCLE_1)
	s_and_saveexec_b32 s44, s16
	s_cbranch_execz .LBB16_177
; %bb.135:
	s_wait_loadcnt 0x1
	v_sub_nc_u32_e32 v5, v14, v16
	s_delay_alu instid0(VALU_DEP_1)
	v_cmp_le_i32_e32 vcc_lo, v15, v5
	v_cmp_ge_i32_e64 s1, s8, v5
	s_and_b32 s14, vcc_lo, s1
	s_mov_b32 s1, 0
	s_and_b32 s15, s30, s14
	s_mov_b32 s14, 0
	s_and_saveexec_b32 s45, s15
	s_cbranch_execz .LBB16_176
; %bb.136:
	v_mov_b64_e32 v[20:21], 0
	s_and_not1_b32 vcc_lo, exec_lo, s9
	s_cbranch_vccnz .LBB16_169
; %bb.137:
	s_wait_loadcnt 0x0
	v_ashrrev_i32_e32 v19, 31, v18
	s_ashr_i32 s13, s12, 31
	v_mov_b64_e32 v[20:21], 0
	s_lshl_b64 s[16:17], s[12:13], 3
	s_mov_b64 s[14:15], 0xffffffff
	v_mul_u64_e32 v[22:23], s[10:11], v[18:19]
	v_mov_b32_e32 v18, 0
	s_add_nc_u64 s[16:17], s[20:21], s[16:17]
	s_mov_b32 s19, 0
	s_add_nc_u64 s[16:17], s[16:17], 32
	s_mov_b32 s13, s28
	s_branch .LBB16_139
.LBB16_138:                             ;   in Loop: Header=BB16_139 Depth=1
	s_or_b32 exec_lo, exec_lo, s1
	s_delay_alu instid0(VALU_DEP_1)
	v_mul_u64_e32 v[26:27], s[22:23], v[24:25]
	s_load_b64 s[22:23], s[16:17], 0x40
	s_add_co_i32 s13, s13, -1
	s_wait_xcnt 0x0
	s_add_nc_u64 s[16:17], s[16:17], -8
	s_cmp_lg_u32 s13, 0
	s_delay_alu instid0(VALU_DEP_1) | instskip(SKIP_1) | instid1(VALU_DEP_1)
	v_sub_nc_u64_e32 v[22:23], v[22:23], v[26:27]
	s_wait_kmcnt 0x0
	v_mad_nc_u64_u32 v[20:21], v22, s22, v[20:21]
	s_delay_alu instid0(VALU_DEP_1) | instskip(NEXT) | instid1(VALU_DEP_1)
	v_mad_u32 v5, v23, s22, v21
	v_mad_u32 v21, v22, s23, v5
	v_mov_b64_e32 v[22:23], v[24:25]
	s_cbranch_scc0 .LBB16_169
.LBB16_139:                             ; =>This Inner Loop Header: Depth=1
	s_load_b64 s[22:23], s[16:17], 0x0
                                        ; implicit-def: $vgpr24_vgpr25
	s_mov_b32 s1, exec_lo
	s_wait_kmcnt 0x0
	s_delay_alu instid0(VALU_DEP_1) | instskip(NEXT) | instid1(VALU_DEP_1)
	v_or_b32_e32 v19, s23, v23
	v_cmpx_ne_u64_e32 0, v[18:19]
	s_xor_b32 s46, exec_lo, s1
	s_cbranch_execz .LBB16_141
; %bb.140:                              ;   in Loop: Header=BB16_139 Depth=1
	s_ashr_i32 s24, s23, 31
	v_dual_mov_b32 v29, v18 :: v_dual_ashrrev_i32 v24, 31, v23
	s_mov_b32 s25, s24
	s_delay_alu instid0(SALU_CYCLE_1) | instskip(NEXT) | instid1(VALU_DEP_1)
	s_add_nc_u64 s[26:27], s[22:23], s[24:25]
	v_mov_b32_e32 v25, v24
	s_xor_b64 s[26:27], s[26:27], s[24:25]
	s_delay_alu instid0(SALU_CYCLE_1)
	s_cvt_f32_u32 s1, s26
	s_cvt_f32_u32 s18, s27
	s_sub_nc_u64 s[52:53], 0, s[26:27]
	v_add_nc_u64_e32 v[26:27], v[22:23], v[24:25]
	v_mov_b32_e32 v33, v18
	s_fmamk_f32 s1, s18, 0x4f800000, s1
	s_delay_alu instid0(SALU_CYCLE_3) | instskip(NEXT) | instid1(VALU_DEP_2)
	v_s_rcp_f32 s1, s1
	v_xor_b32_e32 v28, v26, v24
	s_delay_alu instid0(VALU_DEP_3) | instskip(NEXT) | instid1(TRANS32_DEP_1)
	v_dual_mov_b32 v37, v18 :: v_dual_bitop2_b32 v32, v27, v24 bitop3:0x14
	s_mul_f32 s1, s1, 0x5f7ffffc
	s_delay_alu instid0(SALU_CYCLE_3) | instskip(NEXT) | instid1(SALU_CYCLE_3)
	s_mul_f32 s18, s1, 0x2f800000
	s_trunc_f32 s18, s18
	s_delay_alu instid0(SALU_CYCLE_3) | instskip(SKIP_1) | instid1(SALU_CYCLE_2)
	s_fmamk_f32 s1, s18, 0xcf800000, s1
	s_cvt_u32_f32 s51, s18
	s_cvt_u32_f32 s50, s1
	s_delay_alu instid0(SALU_CYCLE_3) | instskip(NEXT) | instid1(SALU_CYCLE_1)
	s_mul_u64 s[54:55], s[52:53], s[50:51]
	s_mul_hi_u32 s57, s50, s55
	s_mul_i32 s56, s50, s55
	s_mul_hi_u32 s18, s50, s54
	s_mul_i32 s25, s51, s54
	s_add_nc_u64 s[56:57], s[18:19], s[56:57]
	s_mul_hi_u32 s1, s51, s54
	s_mul_hi_u32 s47, s51, s55
	s_add_co_u32 s18, s56, s25
	s_add_co_ci_u32 s18, s57, s1
	s_mul_i32 s54, s51, s55
	s_add_co_ci_u32 s55, s47, 0
	s_delay_alu instid0(SALU_CYCLE_1) | instskip(NEXT) | instid1(SALU_CYCLE_1)
	s_add_nc_u64 s[54:55], s[18:19], s[54:55]
	s_add_co_u32 s50, s50, s54
	s_cselect_b32 s1, -1, 0
	s_delay_alu instid0(SALU_CYCLE_1) | instskip(SKIP_1) | instid1(SALU_CYCLE_1)
	s_cmp_lg_u32 s1, 0
	s_add_co_ci_u32 s51, s51, s55
	s_mul_u64 s[52:53], s[52:53], s[50:51]
	s_delay_alu instid0(SALU_CYCLE_1)
	s_mul_hi_u32 s55, s50, s53
	s_mul_i32 s54, s50, s53
	s_mul_hi_u32 s18, s50, s52
	s_mul_i32 s25, s51, s52
	s_add_nc_u64 s[54:55], s[18:19], s[54:55]
	s_mul_hi_u32 s1, s51, s52
	s_mul_hi_u32 s47, s51, s53
	s_add_co_u32 s18, s54, s25
	s_add_co_ci_u32 s18, s55, s1
	s_mul_i32 s52, s51, s53
	s_add_co_ci_u32 s53, s47, 0
	s_delay_alu instid0(SALU_CYCLE_1) | instskip(NEXT) | instid1(SALU_CYCLE_1)
	s_add_nc_u64 s[52:53], s[18:19], s[52:53]
	s_add_co_u32 s50, s50, s52
	s_cselect_b32 s1, -1, 0
	v_mul_hi_u32 v36, v28, s50
	s_cmp_lg_u32 s1, 0
	s_add_co_ci_u32 s18, s51, s53
	s_and_b64 s[52:53], s[50:51], s[14:15]
	v_mul_u64_e32 v[30:31], s[18:19], v[28:29]
	v_mul_u64_e32 v[26:27], s[52:53], v[32:33]
	;; [unrolled: 1-line block ×3, first 2 shown]
	s_delay_alu instid0(VALU_DEP_3) | instskip(NEXT) | instid1(VALU_DEP_1)
	v_add_nc_u64_e32 v[30:31], v[36:37], v[30:31]
	v_add_co_u32 v5, vcc_lo, v30, v26
	s_delay_alu instid0(VALU_DEP_2) | instskip(NEXT) | instid1(VALU_DEP_4)
	v_add_co_ci_u32_e32 v36, vcc_lo, v31, v27, vcc_lo
	v_add_co_ci_u32_e32 v35, vcc_lo, 0, v35, vcc_lo
	s_delay_alu instid0(VALU_DEP_1) | instskip(NEXT) | instid1(VALU_DEP_1)
	v_add_nc_u64_e32 v[26:27], v[36:37], v[34:35]
	v_mul_u64_e32 v[30:31], s[26:27], v[26:27]
	s_delay_alu instid0(VALU_DEP_1) | instskip(NEXT) | instid1(VALU_DEP_2)
	v_sub_nc_u32_e32 v5, v32, v31
	v_sub_co_u32 v12, vcc_lo, v28, v30
	s_delay_alu instid0(VALU_DEP_1) | instskip(NEXT) | instid1(VALU_DEP_3)
	v_sub_co_ci_u32_e64 v17, null, v32, v31, vcc_lo
	v_subrev_co_ci_u32_e64 v5, null, s27, v5, vcc_lo
	s_delay_alu instid0(VALU_DEP_3) | instskip(SKIP_1) | instid1(VALU_DEP_3)
	v_sub_co_u32 v15, s1, v12, s26
	v_add_nc_u64_e32 v[28:29], 2, v[26:27]
	v_subrev_co_ci_u32_e64 v5, null, 0, v5, s1
	s_delay_alu instid0(VALU_DEP_3) | instskip(SKIP_2) | instid1(VALU_DEP_4)
	v_cmp_le_u32_e32 vcc_lo, s26, v15
	v_add_nc_u64_e32 v[30:31], 1, v[26:27]
	v_cndmask_b32_e64 v15, 0, -1, vcc_lo
	v_cmp_le_u32_e32 vcc_lo, s27, v5
	v_cndmask_b32_e64 v19, 0, -1, vcc_lo
	v_cmp_le_u32_e32 vcc_lo, s26, v12
	;; [unrolled: 2-line block ×3, first 2 shown]
	v_cndmask_b32_e64 v25, 0, -1, vcc_lo
	v_cmp_eq_u32_e32 vcc_lo, s27, v5
	v_cndmask_b32_e32 v5, v19, v15, vcc_lo
	v_cmp_eq_u32_e32 vcc_lo, s27, v17
	s_delay_alu instid0(VALU_DEP_4) | instskip(NEXT) | instid1(VALU_DEP_3)
	v_cndmask_b32_e32 v12, v25, v12, vcc_lo
	v_cmp_ne_u32_e32 vcc_lo, 0, v5
	s_delay_alu instid0(VALU_DEP_2) | instskip(SKIP_1) | instid1(VALU_DEP_1)
	v_cmp_ne_u32_e64 s1, 0, v12
	v_dual_cndmask_b32 v5, v31, v29 :: v_dual_cndmask_b32 v12, v30, v28
	v_dual_cndmask_b32 v5, v27, v5, s1 :: v_dual_bitop2_b32 v24, s24, v24 bitop3:0x14
	s_delay_alu instid0(VALU_DEP_1) | instskip(NEXT) | instid1(VALU_DEP_2)
	v_dual_cndmask_b32 v12, v26, v12, s1 :: v_dual_mov_b32 v25, v24
	v_xor_b32_e32 v27, v5, v24
	s_delay_alu instid0(VALU_DEP_2) | instskip(NEXT) | instid1(VALU_DEP_1)
	v_xor_b32_e32 v26, v12, v24
	v_sub_nc_u64_e32 v[24:25], v[26:27], v[24:25]
.LBB16_141:                             ;   in Loop: Header=BB16_139 Depth=1
	s_and_not1_saveexec_b32 s1, s46
	s_cbranch_execz .LBB16_138
; %bb.142:                              ;   in Loop: Header=BB16_139 Depth=1
	v_cvt_f32_u32_e32 v5, s22
	s_sub_co_i32 s18, 0, s22
	v_mov_b32_e32 v25, v18
	s_delay_alu instid0(VALU_DEP_2) | instskip(SKIP_1) | instid1(TRANS32_DEP_1)
	v_rcp_iflag_f32_e32 v5, v5
	v_nop
	v_mul_f32_e32 v5, 0x4f7ffffe, v5
	s_delay_alu instid0(VALU_DEP_1) | instskip(NEXT) | instid1(VALU_DEP_1)
	v_cvt_u32_f32_e32 v5, v5
	v_mul_lo_u32 v12, s18, v5
	s_delay_alu instid0(VALU_DEP_1) | instskip(NEXT) | instid1(VALU_DEP_1)
	v_mul_hi_u32 v12, v5, v12
	v_add_nc_u32_e32 v5, v5, v12
	s_delay_alu instid0(VALU_DEP_1) | instskip(NEXT) | instid1(VALU_DEP_1)
	v_mul_hi_u32 v5, v22, v5
	v_mul_lo_u32 v12, v5, s22
	s_delay_alu instid0(VALU_DEP_1) | instskip(NEXT) | instid1(VALU_DEP_1)
	v_dual_add_nc_u32 v15, 1, v5 :: v_dual_sub_nc_u32 v12, v22, v12
	v_subrev_nc_u32_e32 v17, s22, v12
	v_cmp_le_u32_e32 vcc_lo, s22, v12
	s_delay_alu instid0(VALU_DEP_2) | instskip(NEXT) | instid1(VALU_DEP_1)
	v_dual_cndmask_b32 v12, v12, v17 :: v_dual_cndmask_b32 v5, v5, v15
	v_cmp_le_u32_e32 vcc_lo, s22, v12
	s_delay_alu instid0(VALU_DEP_2) | instskip(NEXT) | instid1(VALU_DEP_1)
	v_add_nc_u32_e32 v15, 1, v5
	v_cndmask_b32_e32 v24, v5, v15, vcc_lo
	s_branch .LBB16_138
.LBB16_143:
	s_or_b32 exec_lo, exec_lo, s42
	s_and_saveexec_b32 s1, s41
	s_cbranch_execnz .LBB16_207
.LBB16_144:
	s_or_b32 exec_lo, exec_lo, s1
	s_mov_b32 s1, 0
	s_and_saveexec_b32 s13, s43
	s_delay_alu instid0(SALU_CYCLE_1)
	s_xor_b32 s13, exec_lo, s13
; %bb.145:
	v_cmp_ne_u32_e32 vcc_lo, s10, v3
	s_xor_b32 s14, s34, -1
	s_and_not1_b32 s15, s39, exec_lo
	s_mov_b32 s1, exec_lo
	s_or_b32 s14, s14, vcc_lo
	s_delay_alu instid0(SALU_CYCLE_1) | instskip(NEXT) | instid1(SALU_CYCLE_1)
	s_and_b32 s14, s14, exec_lo
	s_or_b32 s39, s15, s14
; %bb.146:
	s_or_b32 exec_lo, exec_lo, s13
	s_and_saveexec_b32 s13, s39
	s_cbranch_execnz .LBB16_210
.LBB16_147:
	s_or_b32 exec_lo, exec_lo, s13
	s_mov_b32 s13, 0
	s_and_saveexec_b32 s14, s1
	s_delay_alu instid0(SALU_CYCLE_1)
	s_xor_b32 s14, exec_lo, s14
	s_cbranch_execz .LBB16_152
; %bb.148:
	v_sub_nc_u32_e32 v3, v4, v2
	s_mov_b32 s13, exec_lo
	s_delay_alu instid0(VALU_DEP_1) | instskip(SKIP_3) | instid1(SALU_CYCLE_1)
	v_cmp_le_i32_e32 vcc_lo, v1, v3
	v_cmp_ge_i32_e64 s1, s8, v3
	s_and_not1_b32 s8, s38, exec_lo
	s_and_b32 s1, vcc_lo, s1
	s_and_b32 s1, s30, s1
	s_delay_alu instid0(SALU_CYCLE_1) | instskip(NEXT) | instid1(SALU_CYCLE_1)
	s_xor_b32 s1, s1, -1
	s_and_b32 s1, s1, exec_lo
	s_delay_alu instid0(SALU_CYCLE_1)
	s_or_b32 s38, s8, s1
	s_or_b32 exec_lo, exec_lo, s14
	s_and_saveexec_b32 s1, s38
	s_cbranch_execz .LBB16_153
.LBB16_149:
	s_or_b32 s3, s3, exec_lo
	s_and_not1_b32 s13, s13, exec_lo
	s_trap 2
	s_or_b32 exec_lo, exec_lo, s1
	s_and_saveexec_b32 s23, s13
	s_cbranch_execnz .LBB16_154
.LBB16_150:
	s_or_b32 exec_lo, exec_lo, s23
	s_and_saveexec_b32 s1, s35
	s_cbranch_execnz .LBB16_168
.LBB16_151:
	s_or_b32 exec_lo, exec_lo, s1
	s_and_saveexec_b32 s1, s3
	s_cbranch_execnz .LBB16_105
	s_branch .LBB16_106
.LBB16_152:
	s_or_b32 exec_lo, exec_lo, s14
	s_and_saveexec_b32 s1, s38
	s_cbranch_execnz .LBB16_149
.LBB16_153:
	s_or_b32 exec_lo, exec_lo, s1
	s_and_saveexec_b32 s23, s13
	s_cbranch_execz .LBB16_150
.LBB16_154:
	v_mov_b64_e32 v[8:9], 0
	s_and_not1_b32 vcc_lo, exec_lo, s9
	s_cbranch_vccnz .LBB16_161
; %bb.155:
	v_mul_u64_e32 v[10:11], s[10:11], v[6:7]
	s_ashr_i32 s13, s12, 31
	v_mov_b64_e32 v[8:9], 0
	s_lshl_b64 s[10:11], s[12:13], 3
	v_mov_b32_e32 v6, 0
	s_add_nc_u64 s[10:11], s[20:21], s[10:11]
	s_mov_b64 s[8:9], 0xffffffff
	s_add_nc_u64 s[10:11], s[10:11], 32
	s_mov_b32 s13, 0
	s_branch .LBB16_157
.LBB16_156:                             ;   in Loop: Header=BB16_157 Depth=1
	s_or_b32 exec_lo, exec_lo, s1
	s_wait_loadcnt 0x1
	s_delay_alu instid0(VALU_DEP_1)
	v_mul_u64_e32 v[14:15], s[14:15], v[12:13]
	s_load_b64 s[14:15], s[10:11], 0x40
	s_add_co_i32 s28, s28, -1
	s_wait_xcnt 0x0
	s_add_nc_u64 s[10:11], s[10:11], -8
	s_cmp_lg_u32 s28, 0
	s_delay_alu instid0(VALU_DEP_1) | instskip(SKIP_1) | instid1(VALU_DEP_1)
	v_sub_nc_u64_e32 v[10:11], v[10:11], v[14:15]
	s_wait_kmcnt 0x0
	v_mad_nc_u64_u32 v[8:9], v10, s14, v[8:9]
	s_delay_alu instid0(VALU_DEP_1) | instskip(NEXT) | instid1(VALU_DEP_1)
	v_mad_u32 v1, v11, s14, v9
	v_mad_u32 v9, v10, s15, v1
	v_mov_b64_e32 v[10:11], v[12:13]
	s_cbranch_scc0 .LBB16_161
.LBB16_157:                             ; =>This Inner Loop Header: Depth=1
	s_load_b64 s[14:15], s[10:11], 0x0
                                        ; implicit-def: $vgpr12_vgpr13
	s_mov_b32 s1, exec_lo
	s_wait_kmcnt 0x0
	s_delay_alu instid0(VALU_DEP_1) | instskip(NEXT) | instid1(VALU_DEP_1)
	v_or_b32_e32 v7, s15, v11
	v_cmpx_ne_u64_e32 0, v[6:7]
	s_xor_b32 s20, exec_lo, s1
	s_cbranch_execz .LBB16_159
; %bb.158:                              ;   in Loop: Header=BB16_157 Depth=1
	s_ashr_i32 s16, s15, 31
	v_dual_mov_b32 v17, v6 :: v_dual_ashrrev_i32 v12, 31, v11
	s_mov_b32 s17, s16
	s_delay_alu instid0(SALU_CYCLE_1) | instskip(NEXT) | instid1(VALU_DEP_1)
	s_add_nc_u64 s[18:19], s[14:15], s[16:17]
	v_mov_b32_e32 v13, v12
	s_xor_b64 s[18:19], s[18:19], s[16:17]
	s_delay_alu instid0(SALU_CYCLE_1)
	s_cvt_f32_u32 s1, s18
	s_cvt_f32_u32 s12, s19
	s_sub_nc_u64 s[26:27], 0, s[18:19]
	s_wait_loadcnt 0x1
	v_add_nc_u64_e32 v[14:15], v[10:11], v[12:13]
	v_mov_b32_e32 v21, v6
	s_fmamk_f32 s1, s12, 0x4f800000, s1
	s_delay_alu instid0(SALU_CYCLE_3) | instskip(NEXT) | instid1(VALU_DEP_2)
	v_s_rcp_f32 s1, s1
	v_xor_b32_e32 v16, v14, v12
	s_delay_alu instid0(VALU_DEP_3) | instskip(NEXT) | instid1(TRANS32_DEP_1)
	v_dual_mov_b32 v25, v6 :: v_dual_bitop2_b32 v20, v15, v12 bitop3:0x14
	s_mul_f32 s1, s1, 0x5f7ffffc
	s_delay_alu instid0(SALU_CYCLE_3) | instskip(NEXT) | instid1(SALU_CYCLE_3)
	s_mul_f32 s12, s1, 0x2f800000
	s_trunc_f32 s12, s12
	s_delay_alu instid0(SALU_CYCLE_3) | instskip(SKIP_1) | instid1(SALU_CYCLE_2)
	s_fmamk_f32 s1, s12, 0xcf800000, s1
	s_cvt_u32_f32 s25, s12
	s_cvt_u32_f32 s24, s1
	s_delay_alu instid0(SALU_CYCLE_3) | instskip(NEXT) | instid1(SALU_CYCLE_1)
	s_mul_u64 s[36:37], s[26:27], s[24:25]
	s_mul_hi_u32 s39, s24, s37
	s_mul_i32 s38, s24, s37
	s_mul_hi_u32 s12, s24, s36
	s_mul_i32 s17, s25, s36
	s_add_nc_u64 s[38:39], s[12:13], s[38:39]
	s_mul_hi_u32 s1, s25, s36
	s_mul_hi_u32 s21, s25, s37
	s_add_co_u32 s12, s38, s17
	s_add_co_ci_u32 s12, s39, s1
	s_mul_i32 s36, s25, s37
	s_add_co_ci_u32 s37, s21, 0
	s_delay_alu instid0(SALU_CYCLE_1) | instskip(NEXT) | instid1(SALU_CYCLE_1)
	s_add_nc_u64 s[36:37], s[12:13], s[36:37]
	s_add_co_u32 s24, s24, s36
	s_cselect_b32 s1, -1, 0
	s_delay_alu instid0(SALU_CYCLE_1) | instskip(SKIP_1) | instid1(SALU_CYCLE_1)
	s_cmp_lg_u32 s1, 0
	s_add_co_ci_u32 s25, s25, s37
	s_mul_u64 s[26:27], s[26:27], s[24:25]
	s_delay_alu instid0(SALU_CYCLE_1)
	s_mul_hi_u32 s37, s24, s27
	s_mul_i32 s36, s24, s27
	s_mul_hi_u32 s12, s24, s26
	s_mul_i32 s17, s25, s26
	s_add_nc_u64 s[36:37], s[12:13], s[36:37]
	s_mul_hi_u32 s1, s25, s26
	s_mul_hi_u32 s21, s25, s27
	s_add_co_u32 s12, s36, s17
	s_add_co_ci_u32 s12, s37, s1
	s_mul_i32 s26, s25, s27
	s_add_co_ci_u32 s27, s21, 0
	s_delay_alu instid0(SALU_CYCLE_1) | instskip(NEXT) | instid1(SALU_CYCLE_1)
	s_add_nc_u64 s[26:27], s[12:13], s[26:27]
	s_add_co_u32 s24, s24, s26
	s_cselect_b32 s1, -1, 0
	s_wait_loadcnt 0x0
	v_mul_hi_u32 v24, v16, s24
	s_cmp_lg_u32 s1, 0
	s_add_co_ci_u32 s12, s25, s27
	s_and_b64 s[26:27], s[24:25], s[8:9]
	v_mul_u64_e32 v[18:19], s[12:13], v[16:17]
	v_mul_u64_e32 v[14:15], s[26:27], v[20:21]
	;; [unrolled: 1-line block ×3, first 2 shown]
	s_delay_alu instid0(VALU_DEP_3) | instskip(NEXT) | instid1(VALU_DEP_1)
	v_add_nc_u64_e32 v[18:19], v[24:25], v[18:19]
	v_add_co_u32 v1, vcc_lo, v18, v14
	s_delay_alu instid0(VALU_DEP_2) | instskip(NEXT) | instid1(VALU_DEP_4)
	v_add_co_ci_u32_e32 v24, vcc_lo, v19, v15, vcc_lo
	v_add_co_ci_u32_e32 v23, vcc_lo, 0, v23, vcc_lo
	s_delay_alu instid0(VALU_DEP_1) | instskip(NEXT) | instid1(VALU_DEP_1)
	v_add_nc_u64_e32 v[14:15], v[24:25], v[22:23]
	v_mul_u64_e32 v[18:19], s[18:19], v[14:15]
	s_delay_alu instid0(VALU_DEP_1) | instskip(NEXT) | instid1(VALU_DEP_2)
	v_sub_nc_u32_e32 v1, v20, v19
	v_sub_co_u32 v3, vcc_lo, v16, v18
	s_delay_alu instid0(VALU_DEP_1) | instskip(NEXT) | instid1(VALU_DEP_3)
	v_sub_co_ci_u32_e64 v7, null, v20, v19, vcc_lo
	v_subrev_co_ci_u32_e64 v1, null, s19, v1, vcc_lo
	s_delay_alu instid0(VALU_DEP_3) | instskip(SKIP_1) | instid1(VALU_DEP_3)
	v_sub_co_u32 v5, s1, v3, s18
	v_add_nc_u64_e32 v[16:17], 2, v[14:15]
	v_subrev_co_ci_u32_e64 v1, null, 0, v1, s1
	s_delay_alu instid0(VALU_DEP_3) | instskip(SKIP_2) | instid1(VALU_DEP_4)
	v_cmp_le_u32_e32 vcc_lo, s18, v5
	v_add_nc_u64_e32 v[18:19], 1, v[14:15]
	v_cndmask_b32_e64 v5, 0, -1, vcc_lo
	v_cmp_le_u32_e32 vcc_lo, s19, v1
	v_cndmask_b32_e64 v13, 0, -1, vcc_lo
	v_cmp_le_u32_e32 vcc_lo, s18, v3
	;; [unrolled: 2-line block ×3, first 2 shown]
	v_cndmask_b32_e64 v20, 0, -1, vcc_lo
	v_cmp_eq_u32_e32 vcc_lo, s19, v1
	v_cndmask_b32_e32 v1, v13, v5, vcc_lo
	v_cmp_eq_u32_e32 vcc_lo, s19, v7
	s_delay_alu instid0(VALU_DEP_4) | instskip(NEXT) | instid1(VALU_DEP_3)
	v_cndmask_b32_e32 v3, v20, v3, vcc_lo
	v_cmp_ne_u32_e32 vcc_lo, 0, v1
	s_delay_alu instid0(VALU_DEP_2) | instskip(SKIP_1) | instid1(VALU_DEP_1)
	v_cmp_ne_u32_e64 s1, 0, v3
	v_dual_cndmask_b32 v1, v19, v17, vcc_lo :: v_dual_cndmask_b32 v3, v18, v16, vcc_lo
	v_dual_cndmask_b32 v1, v15, v1, s1 :: v_dual_bitop2_b32 v12, s16, v12 bitop3:0x14
	s_delay_alu instid0(VALU_DEP_1) | instskip(NEXT) | instid1(VALU_DEP_2)
	v_dual_cndmask_b32 v3, v14, v3, s1 :: v_dual_mov_b32 v13, v12
	v_xor_b32_e32 v15, v1, v12
	s_delay_alu instid0(VALU_DEP_2) | instskip(NEXT) | instid1(VALU_DEP_1)
	v_xor_b32_e32 v14, v3, v12
	v_sub_nc_u64_e32 v[12:13], v[14:15], v[12:13]
.LBB16_159:                             ;   in Loop: Header=BB16_157 Depth=1
	s_and_not1_saveexec_b32 s1, s20
	s_cbranch_execz .LBB16_156
; %bb.160:                              ;   in Loop: Header=BB16_157 Depth=1
	v_cvt_f32_u32_e32 v1, s14
	s_sub_co_i32 s12, 0, s14
	v_mov_b32_e32 v13, v6
	s_delay_alu instid0(VALU_DEP_2) | instskip(SKIP_1) | instid1(TRANS32_DEP_1)
	v_rcp_iflag_f32_e32 v1, v1
	v_nop
	v_mul_f32_e32 v1, 0x4f7ffffe, v1
	s_delay_alu instid0(VALU_DEP_1) | instskip(NEXT) | instid1(VALU_DEP_1)
	v_cvt_u32_f32_e32 v1, v1
	v_mul_lo_u32 v3, s12, v1
	s_delay_alu instid0(VALU_DEP_1) | instskip(NEXT) | instid1(VALU_DEP_1)
	v_mul_hi_u32 v3, v1, v3
	v_add_nc_u32_e32 v1, v1, v3
	s_delay_alu instid0(VALU_DEP_1) | instskip(NEXT) | instid1(VALU_DEP_1)
	v_mul_hi_u32 v1, v10, v1
	v_mul_lo_u32 v3, v1, s14
	s_delay_alu instid0(VALU_DEP_1) | instskip(NEXT) | instid1(VALU_DEP_1)
	v_sub_nc_u32_e32 v3, v10, v3
	v_subrev_nc_u32_e32 v7, s14, v3
	v_cmp_le_u32_e32 vcc_lo, s14, v3
	s_delay_alu instid0(VALU_DEP_2) | instskip(NEXT) | instid1(VALU_DEP_1)
	v_dual_add_nc_u32 v5, 1, v1 :: v_dual_cndmask_b32 v3, v3, v7, vcc_lo
	v_cndmask_b32_e32 v1, v1, v5, vcc_lo
	s_delay_alu instid0(VALU_DEP_2) | instskip(NEXT) | instid1(VALU_DEP_2)
	v_cmp_le_u32_e32 vcc_lo, s14, v3
	v_add_nc_u32_e32 v5, 1, v1
	s_delay_alu instid0(VALU_DEP_1)
	v_cndmask_b32_e32 v12, v1, v5, vcc_lo
	s_branch .LBB16_156
.LBB16_161:
	s_mov_b32 s8, s35
	s_mov_b32 s1, exec_lo
	v_cmpx_gt_i32_e64 v4, v2
	s_cbranch_execz .LBB16_167
; %bb.162:
	s_delay_alu instid0(VALU_DEP_2) | instskip(SKIP_2) | instid1(VALU_DEP_1)
	v_lshlrev_b64_e32 v[6:7], 2, v[8:9]
	v_dual_ashrrev_i32 v3, 31, v2 :: v_dual_ashrrev_i32 v5, 31, v4
	s_xor_b32 s8, s29, -1
                                        ; implicit-def: $sgpr10
                                        ; implicit-def: $sgpr9
	v_lshl_add_u64 v[2:3], v[2:3], 2, v[6:7]
	v_add_nc_u64_e32 v[6:7], s[6:7], v[6:7]
	s_delay_alu instid0(VALU_DEP_2) | instskip(SKIP_1) | instid1(VALU_DEP_2)
	v_add_nc_u64_e32 v[2:3], s[6:7], v[2:3]
	s_mov_b32 s6, 0
                                        ; implicit-def: $sgpr7
	v_lshl_add_u64 v[4:5], v[4:5], 2, v[6:7]
	s_delay_alu instid0(VALU_DEP_2)
	v_add_nc_u64_e32 v[2:3], 4, v[2:3]
	s_branch .LBB16_164
.LBB16_163:                             ;   in Loop: Header=BB16_164 Depth=1
	s_or_b32 exec_lo, exec_lo, s11
	s_xor_b32 s11, s9, -1
	s_and_b32 s12, exec_lo, s10
	s_delay_alu instid0(SALU_CYCLE_1) | instskip(SKIP_2) | instid1(SALU_CYCLE_1)
	s_or_b32 s6, s12, s6
	s_and_not1_b32 s7, s7, exec_lo
	s_and_b32 s11, s11, exec_lo
	s_or_b32 s7, s7, s11
	s_and_not1_b32 exec_lo, exec_lo, s6
	s_cbranch_execz .LBB16_166
.LBB16_164:                             ; =>This Inner Loop Header: Depth=1
	s_or_b32 s9, s9, exec_lo
	s_or_b32 s10, s10, exec_lo
	s_mov_b32 s11, exec_lo
	s_delay_alu instid0(VALU_DEP_1)
	v_cmpx_lt_u64_e64 v[2:3], v[4:5]
	s_cbranch_execz .LBB16_163
; %bb.165:                              ;   in Loop: Header=BB16_164 Depth=1
	global_load_b64 v[6:7], v[2:3], off offset:-4
	s_wait_xcnt 0x0
	v_add_nc_u64_e32 v[2:3], 4, v[2:3]
	s_and_not1_b32 s10, s10, exec_lo
	s_and_not1_b32 s9, s9, exec_lo
	s_wait_loadcnt 0x0
	v_cmp_ge_i32_e32 vcc_lo, v6, v7
	s_or_b32 s12, s8, vcc_lo
	s_delay_alu instid0(SALU_CYCLE_1) | instskip(NEXT) | instid1(SALU_CYCLE_1)
	s_and_b32 s12, s12, exec_lo
	s_or_b32 s10, s10, s12
	s_branch .LBB16_163
.LBB16_166:
	s_or_b32 exec_lo, exec_lo, s6
	s_delay_alu instid0(SALU_CYCLE_1) | instskip(SKIP_1) | instid1(SALU_CYCLE_1)
	s_and_not1_b32 s6, s35, exec_lo
	s_and_b32 s7, s7, exec_lo
	s_or_b32 s8, s6, s7
.LBB16_167:
	s_or_b32 exec_lo, exec_lo, s1
	s_delay_alu instid0(SALU_CYCLE_1)
	s_and_not1_b32 s1, s35, exec_lo
	s_and_b32 s6, s8, exec_lo
	s_or_b32 s44, s44, exec_lo
	s_or_b32 s35, s1, s6
	s_or_b32 exec_lo, exec_lo, s23
	s_and_saveexec_b32 s1, s35
	s_cbranch_execz .LBB16_151
.LBB16_168:
	s_and_not1_b32 s44, s44, exec_lo
	s_or_b32 s3, s3, exec_lo
	s_trap 2
	s_or_b32 exec_lo, exec_lo, s1
	s_and_saveexec_b32 s1, s3
	s_cbranch_execnz .LBB16_105
	s_branch .LBB16_106
.LBB16_169:
	s_mov_b32 s15, -1
	s_mov_b32 s13, 0
	s_mov_b32 s1, exec_lo
	v_cmpx_gt_i32_e64 v14, v16
	s_cbranch_execz .LBB16_175
; %bb.170:
	s_wait_loadcnt 0x0
	s_delay_alu instid0(VALU_DEP_2) | instskip(SKIP_2) | instid1(VALU_DEP_1)
	v_lshlrev_b64_e32 v[18:19], 2, v[20:21]
	v_dual_ashrrev_i32 v17, 31, v16 :: v_dual_ashrrev_i32 v15, 31, v14
	s_xor_b32 s15, s29, -1
                                        ; implicit-def: $sgpr14
                                        ; implicit-def: $sgpr17
                                        ; implicit-def: $sgpr16
	v_lshl_add_u64 v[16:17], v[16:17], 2, v[18:19]
	v_add_nc_u64_e32 v[18:19], s[6:7], v[18:19]
	s_delay_alu instid0(VALU_DEP_2) | instskip(NEXT) | instid1(VALU_DEP_2)
	v_add_nc_u64_e32 v[16:17], s[6:7], v[16:17]
	v_lshl_add_u64 v[14:15], v[14:15], 2, v[18:19]
	s_delay_alu instid0(VALU_DEP_2)
	v_add_nc_u64_e32 v[16:17], 4, v[16:17]
	s_branch .LBB16_172
.LBB16_171:                             ;   in Loop: Header=BB16_172 Depth=1
	s_or_b32 exec_lo, exec_lo, s18
	s_delay_alu instid0(SALU_CYCLE_1) | instskip(NEXT) | instid1(SALU_CYCLE_1)
	s_and_b32 s18, exec_lo, s17
	s_or_b32 s13, s18, s13
	s_and_not1_b32 s14, s14, exec_lo
	s_and_b32 s18, s16, exec_lo
	s_delay_alu instid0(SALU_CYCLE_1)
	s_or_b32 s14, s14, s18
	s_and_not1_b32 exec_lo, exec_lo, s13
	s_cbranch_execz .LBB16_174
.LBB16_172:                             ; =>This Inner Loop Header: Depth=1
	s_or_b32 s16, s16, exec_lo
	s_or_b32 s17, s17, exec_lo
	s_mov_b32 s18, exec_lo
	s_delay_alu instid0(VALU_DEP_1)
	v_cmpx_lt_u64_e64 v[16:17], v[14:15]
	s_cbranch_execz .LBB16_171
; %bb.173:                              ;   in Loop: Header=BB16_172 Depth=1
	global_load_b64 v[18:19], v[16:17], off offset:-4
	s_wait_xcnt 0x0
	v_add_nc_u64_e32 v[16:17], 4, v[16:17]
	s_and_not1_b32 s17, s17, exec_lo
	s_and_not1_b32 s16, s16, exec_lo
	s_wait_loadcnt 0x0
	v_cmp_ge_i32_e32 vcc_lo, v18, v19
	s_or_b32 s19, s15, vcc_lo
	s_delay_alu instid0(SALU_CYCLE_1) | instskip(NEXT) | instid1(SALU_CYCLE_1)
	s_and_b32 s19, s19, exec_lo
	s_or_b32 s17, s17, s19
	s_branch .LBB16_171
.LBB16_174:
	s_or_b32 exec_lo, exec_lo, s13
	s_delay_alu instid0(SALU_CYCLE_1)
	s_mov_b32 s13, exec_lo
	s_or_not1_b32 s15, s14, exec_lo
.LBB16_175:
	s_or_b32 exec_lo, exec_lo, s1
	s_delay_alu instid0(SALU_CYCLE_1)
	s_and_b32 s14, s13, exec_lo
	s_xor_b32 s13, exec_lo, -1
	s_and_b32 s1, s15, exec_lo
.LBB16_176:
	s_or_b32 exec_lo, exec_lo, s45
	s_delay_alu instid0(SALU_CYCLE_1)
	s_and_not1_b32 s15, s38, exec_lo
	s_and_b32 s13, s13, exec_lo
	s_and_b32 s14, s14, exec_lo
	s_or_b32 s15, s15, s13
	s_xor_b32 s13, exec_lo, -1
	s_and_b32 s1, s1, exec_lo
.LBB16_177:
	s_or_b32 exec_lo, exec_lo, s44
	s_delay_alu instid0(SALU_CYCLE_1)
	s_and_not1_b32 s16, s38, exec_lo
	s_and_b32 s15, s15, exec_lo
	s_and_not1_b32 s17, s39, exec_lo
	s_and_b32 s13, s13, exec_lo
	s_and_b32 s14, s14, exec_lo
	s_or_b32 s16, s16, s15
	s_or_b32 s15, s17, s13
	s_xor_b32 s13, exec_lo, -1
	s_and_b32 s1, s1, exec_lo
.LBB16_178:
	s_or_b32 exec_lo, exec_lo, s43
	s_delay_alu instid0(SALU_CYCLE_1)
	s_and_not1_b32 s17, s38, exec_lo
	s_and_b32 s16, s16, exec_lo
	s_and_b32 s44, s14, exec_lo
	s_or_b32 s45, s17, s16
	s_and_not1_b32 s14, s39, exec_lo
	s_and_b32 s15, s15, exec_lo
	s_and_not1_b32 s16, s41, exec_lo
	s_and_b32 s13, s13, exec_lo
	s_or_b32 s46, s14, s15
	s_or_b32 s43, s16, s13
	s_or_not1_b32 s1, s1, exec_lo
.LBB16_179:
	s_or_b32 exec_lo, exec_lo, s40
	s_mov_b32 s15, 0
                                        ; implicit-def: $sgpr40
                                        ; implicit-def: $sgpr22
	s_and_saveexec_b32 s47, s1
	s_cbranch_execz .LBB16_206
; %bb.180:
	v_or_b32_e32 v5, 0x200, v0
	s_mov_b32 s17, -1
	s_mov_b32 s48, 0
	s_mov_b32 s1, s43
	s_mov_b32 s14, s46
	v_cmp_gt_i32_e64 s40, s33, v5
	s_mov_b32 s13, s45
	s_and_saveexec_b32 s49, s40
	s_cbranch_execz .LBB16_201
; %bb.181:
	v_cmp_eq_u32_e32 vcc_lo, s36, v9
	s_mov_b32 s1, -1
	s_mov_b32 s16, 0
	s_mov_b32 s17, s46
	;; [unrolled: 1-line block ×3, first 2 shown]
	s_and_b32 s14, s37, vcc_lo
	s_mov_b32 s13, 0
	s_and_saveexec_b32 s50, s14
	s_cbranch_execz .LBB16_200
; %bb.182:
	v_cmp_eq_u32_e32 vcc_lo, s10, v11
	s_mov_b32 s14, 0
	s_mov_b32 s15, s45
	s_and_b32 s13, s34, vcc_lo
	s_delay_alu instid0(SALU_CYCLE_1)
	s_and_saveexec_b32 s51, s13
	s_cbranch_execz .LBB16_199
; %bb.183:
	v_sub_nc_u32_e32 v5, v8, v10
	s_mov_b32 s14, -1
	s_mov_b32 s13, 0
	s_delay_alu instid0(VALU_DEP_1) | instskip(SKIP_2) | instid1(SALU_CYCLE_1)
	v_cmp_le_i32_e32 vcc_lo, v9, v5
	v_cmp_ge_i32_e64 s1, s8, v5
	s_and_b32 s1, vcc_lo, s1
	s_and_b32 s15, s30, s1
	s_mov_b32 s1, 0
	s_and_saveexec_b32 s52, s15
	s_cbranch_execz .LBB16_198
; %bb.184:
	s_wait_loadcnt 0x1
	v_mov_b64_e32 v[14:15], 0
	s_and_not1_b32 vcc_lo, exec_lo, s9
	s_cbranch_vccnz .LBB16_191
; %bb.185:
	v_dual_mov_b32 v14, v13 :: v_dual_ashrrev_i32 v15, 31, v13
	s_ashr_i32 s13, s12, 31
	v_mov_b32_e32 v12, 0
	s_lshl_b64 s[16:17], s[12:13], 3
	s_mov_b64 s[14:15], 0xffffffff
	v_mul_u64_e32 v[16:17], s[10:11], v[14:15]
	v_mov_b64_e32 v[14:15], 0
	s_add_nc_u64 s[16:17], s[20:21], s[16:17]
	s_mov_b32 s19, 0
	s_add_nc_u64 s[16:17], s[16:17], 32
	s_mov_b32 s13, s28
	s_branch .LBB16_187
.LBB16_186:                             ;   in Loop: Header=BB16_187 Depth=1
	s_or_b32 exec_lo, exec_lo, s1
	s_wait_loadcnt 0x0
	s_delay_alu instid0(VALU_DEP_1)
	v_mul_u64_e32 v[20:21], s[22:23], v[18:19]
	s_load_b64 s[22:23], s[16:17], 0x40
	s_add_co_i32 s13, s13, -1
	s_wait_xcnt 0x0
	s_add_nc_u64 s[16:17], s[16:17], -8
	s_cmp_lg_u32 s13, 0
	s_delay_alu instid0(VALU_DEP_1) | instskip(SKIP_1) | instid1(VALU_DEP_1)
	v_sub_nc_u64_e32 v[16:17], v[16:17], v[20:21]
	s_wait_kmcnt 0x0
	v_mad_nc_u64_u32 v[14:15], v16, s22, v[14:15]
	s_delay_alu instid0(VALU_DEP_1) | instskip(NEXT) | instid1(VALU_DEP_1)
	v_mad_u32 v5, v17, s22, v15
	v_mad_u32 v15, v16, s23, v5
	v_mov_b64_e32 v[16:17], v[18:19]
	s_cbranch_scc0 .LBB16_191
.LBB16_187:                             ; =>This Inner Loop Header: Depth=1
	s_load_b64 s[22:23], s[16:17], 0x0
                                        ; implicit-def: $vgpr18_vgpr19
	s_mov_b32 s1, exec_lo
	s_wait_kmcnt 0x0
	s_delay_alu instid0(VALU_DEP_1) | instskip(NEXT) | instid1(VALU_DEP_1)
	v_or_b32_e32 v13, s23, v17
	v_cmpx_ne_u64_e32 0, v[12:13]
	s_xor_b32 s53, exec_lo, s1
	s_cbranch_execz .LBB16_189
; %bb.188:                              ;   in Loop: Header=BB16_187 Depth=1
	s_ashr_i32 s24, s23, 31
	s_wait_loadcnt 0x0
	v_dual_mov_b32 v23, v12 :: v_dual_ashrrev_i32 v18, 31, v17
	s_mov_b32 s25, s24
	s_delay_alu instid0(SALU_CYCLE_1) | instskip(NEXT) | instid1(VALU_DEP_1)
	s_add_nc_u64 s[26:27], s[22:23], s[24:25]
	v_mov_b32_e32 v19, v18
	s_xor_b64 s[26:27], s[26:27], s[24:25]
	s_delay_alu instid0(SALU_CYCLE_1)
	s_cvt_f32_u32 s1, s26
	s_cvt_f32_u32 s18, s27
	s_sub_nc_u64 s[56:57], 0, s[26:27]
	v_add_nc_u64_e32 v[20:21], v[16:17], v[18:19]
	v_mov_b32_e32 v27, v12
	s_fmamk_f32 s1, s18, 0x4f800000, s1
	s_delay_alu instid0(SALU_CYCLE_3) | instskip(NEXT) | instid1(VALU_DEP_2)
	v_s_rcp_f32 s1, s1
	v_xor_b32_e32 v22, v20, v18
	s_delay_alu instid0(VALU_DEP_3) | instskip(NEXT) | instid1(TRANS32_DEP_1)
	v_dual_mov_b32 v31, v12 :: v_dual_bitop2_b32 v26, v21, v18 bitop3:0x14
	s_mul_f32 s1, s1, 0x5f7ffffc
	s_delay_alu instid0(SALU_CYCLE_3) | instskip(NEXT) | instid1(SALU_CYCLE_3)
	s_mul_f32 s18, s1, 0x2f800000
	s_trunc_f32 s18, s18
	s_delay_alu instid0(SALU_CYCLE_3) | instskip(SKIP_1) | instid1(SALU_CYCLE_2)
	s_fmamk_f32 s1, s18, 0xcf800000, s1
	s_cvt_u32_f32 s55, s18
	s_cvt_u32_f32 s54, s1
	s_delay_alu instid0(SALU_CYCLE_3) | instskip(NEXT) | instid1(SALU_CYCLE_1)
	s_mul_u64 s[58:59], s[56:57], s[54:55]
	s_mul_hi_u32 s61, s54, s59
	s_mul_i32 s60, s54, s59
	s_mul_hi_u32 s18, s54, s58
	s_mul_i32 s25, s55, s58
	s_add_nc_u64 s[60:61], s[18:19], s[60:61]
	s_mul_hi_u32 s1, s55, s58
	s_mul_hi_u32 s62, s55, s59
	s_add_co_u32 s18, s60, s25
	s_add_co_ci_u32 s18, s61, s1
	s_mul_i32 s58, s55, s59
	s_add_co_ci_u32 s59, s62, 0
	s_delay_alu instid0(SALU_CYCLE_1) | instskip(NEXT) | instid1(SALU_CYCLE_1)
	s_add_nc_u64 s[58:59], s[18:19], s[58:59]
	s_add_co_u32 s54, s54, s58
	s_cselect_b32 s1, -1, 0
	s_delay_alu instid0(SALU_CYCLE_1) | instskip(SKIP_1) | instid1(SALU_CYCLE_1)
	s_cmp_lg_u32 s1, 0
	s_add_co_ci_u32 s55, s55, s59
	s_mul_u64 s[56:57], s[56:57], s[54:55]
	s_delay_alu instid0(SALU_CYCLE_1)
	s_mul_hi_u32 s59, s54, s57
	s_mul_i32 s58, s54, s57
	s_mul_hi_u32 s18, s54, s56
	s_mul_i32 s25, s55, s56
	s_add_nc_u64 s[58:59], s[18:19], s[58:59]
	s_mul_hi_u32 s1, s55, s56
	s_mul_hi_u32 s60, s55, s57
	s_add_co_u32 s18, s58, s25
	s_add_co_ci_u32 s18, s59, s1
	s_mul_i32 s56, s55, s57
	s_add_co_ci_u32 s57, s60, 0
	s_delay_alu instid0(SALU_CYCLE_1) | instskip(NEXT) | instid1(SALU_CYCLE_1)
	s_add_nc_u64 s[56:57], s[18:19], s[56:57]
	s_add_co_u32 s54, s54, s56
	s_cselect_b32 s1, -1, 0
	v_mul_hi_u32 v30, v22, s54
	s_cmp_lg_u32 s1, 0
	s_add_co_ci_u32 s18, s55, s57
	s_and_b64 s[56:57], s[54:55], s[14:15]
	v_mul_u64_e32 v[24:25], s[18:19], v[22:23]
	v_mul_u64_e32 v[20:21], s[56:57], v[26:27]
	;; [unrolled: 1-line block ×3, first 2 shown]
	s_delay_alu instid0(VALU_DEP_3) | instskip(NEXT) | instid1(VALU_DEP_1)
	v_add_nc_u64_e32 v[24:25], v[30:31], v[24:25]
	v_add_co_u32 v5, vcc_lo, v24, v20
	s_delay_alu instid0(VALU_DEP_2) | instskip(NEXT) | instid1(VALU_DEP_4)
	v_add_co_ci_u32_e32 v30, vcc_lo, v25, v21, vcc_lo
	v_add_co_ci_u32_e32 v29, vcc_lo, 0, v29, vcc_lo
	s_delay_alu instid0(VALU_DEP_1) | instskip(NEXT) | instid1(VALU_DEP_1)
	v_add_nc_u64_e32 v[20:21], v[30:31], v[28:29]
	v_mul_u64_e32 v[24:25], s[26:27], v[20:21]
	s_delay_alu instid0(VALU_DEP_1) | instskip(NEXT) | instid1(VALU_DEP_2)
	v_sub_nc_u32_e32 v5, v26, v25
	v_sub_co_u32 v9, vcc_lo, v22, v24
	s_delay_alu instid0(VALU_DEP_1) | instskip(NEXT) | instid1(VALU_DEP_3)
	v_sub_co_ci_u32_e64 v13, null, v26, v25, vcc_lo
	v_subrev_co_ci_u32_e64 v5, null, s27, v5, vcc_lo
	s_delay_alu instid0(VALU_DEP_3) | instskip(SKIP_1) | instid1(VALU_DEP_3)
	v_sub_co_u32 v11, s1, v9, s26
	v_add_nc_u64_e32 v[22:23], 2, v[20:21]
	v_subrev_co_ci_u32_e64 v5, null, 0, v5, s1
	s_delay_alu instid0(VALU_DEP_3) | instskip(SKIP_2) | instid1(VALU_DEP_4)
	v_cmp_le_u32_e32 vcc_lo, s26, v11
	v_add_nc_u64_e32 v[24:25], 1, v[20:21]
	v_cndmask_b32_e64 v11, 0, -1, vcc_lo
	v_cmp_le_u32_e32 vcc_lo, s27, v5
	v_cndmask_b32_e64 v19, 0, -1, vcc_lo
	v_cmp_le_u32_e32 vcc_lo, s26, v9
	;; [unrolled: 2-line block ×3, first 2 shown]
	v_cndmask_b32_e64 v26, 0, -1, vcc_lo
	v_cmp_eq_u32_e32 vcc_lo, s27, v5
	v_cndmask_b32_e32 v5, v19, v11, vcc_lo
	v_cmp_eq_u32_e32 vcc_lo, s27, v13
	s_delay_alu instid0(VALU_DEP_4) | instskip(NEXT) | instid1(VALU_DEP_3)
	v_cndmask_b32_e32 v9, v26, v9, vcc_lo
	v_cmp_ne_u32_e32 vcc_lo, 0, v5
	s_delay_alu instid0(VALU_DEP_2) | instskip(SKIP_1) | instid1(VALU_DEP_1)
	v_cmp_ne_u32_e64 s1, 0, v9
	v_dual_cndmask_b32 v5, v25, v23, vcc_lo :: v_dual_cndmask_b32 v9, v24, v22, vcc_lo
	v_dual_cndmask_b32 v5, v21, v5, s1 :: v_dual_bitop2_b32 v18, s24, v18 bitop3:0x14
	s_delay_alu instid0(VALU_DEP_1) | instskip(NEXT) | instid1(VALU_DEP_2)
	v_dual_cndmask_b32 v9, v20, v9, s1 :: v_dual_mov_b32 v19, v18
	v_xor_b32_e32 v21, v5, v18
	s_delay_alu instid0(VALU_DEP_2) | instskip(NEXT) | instid1(VALU_DEP_1)
	v_xor_b32_e32 v20, v9, v18
	v_sub_nc_u64_e32 v[18:19], v[20:21], v[18:19]
.LBB16_189:                             ;   in Loop: Header=BB16_187 Depth=1
	s_and_not1_saveexec_b32 s1, s53
	s_cbranch_execz .LBB16_186
; %bb.190:                              ;   in Loop: Header=BB16_187 Depth=1
	v_cvt_f32_u32_e32 v5, s22
	s_sub_co_i32 s18, 0, s22
	v_mov_b32_e32 v19, v12
	s_delay_alu instid0(VALU_DEP_2) | instskip(SKIP_1) | instid1(TRANS32_DEP_1)
	v_rcp_iflag_f32_e32 v5, v5
	v_nop
	v_mul_f32_e32 v5, 0x4f7ffffe, v5
	s_delay_alu instid0(VALU_DEP_1) | instskip(NEXT) | instid1(VALU_DEP_1)
	v_cvt_u32_f32_e32 v5, v5
	v_mul_lo_u32 v9, s18, v5
	s_delay_alu instid0(VALU_DEP_1) | instskip(NEXT) | instid1(VALU_DEP_1)
	v_mul_hi_u32 v9, v5, v9
	v_add_nc_u32_e32 v5, v5, v9
	s_delay_alu instid0(VALU_DEP_1) | instskip(NEXT) | instid1(VALU_DEP_1)
	v_mul_hi_u32 v5, v16, v5
	v_mul_lo_u32 v9, v5, s22
	v_add_nc_u32_e32 v11, 1, v5
	s_delay_alu instid0(VALU_DEP_2) | instskip(NEXT) | instid1(VALU_DEP_1)
	v_sub_nc_u32_e32 v9, v16, v9
	v_subrev_nc_u32_e32 v13, s22, v9
	v_cmp_le_u32_e32 vcc_lo, s22, v9
	s_delay_alu instid0(VALU_DEP_2) | instskip(SKIP_1) | instid1(VALU_DEP_2)
	v_cndmask_b32_e32 v9, v9, v13, vcc_lo
	v_cndmask_b32_e32 v5, v5, v11, vcc_lo
	v_cmp_le_u32_e32 vcc_lo, s22, v9
	s_delay_alu instid0(VALU_DEP_2) | instskip(SKIP_1) | instid1(VALU_DEP_1)
	v_add_nc_u32_e32 v11, 1, v5
	s_wait_loadcnt 0x0
	v_cndmask_b32_e32 v18, v5, v11, vcc_lo
	s_branch .LBB16_186
.LBB16_191:
	s_mov_b32 s13, -1
	s_mov_b32 s15, 0
	s_mov_b32 s1, exec_lo
	v_cmpx_gt_i32_e64 v8, v10
	s_cbranch_execz .LBB16_197
; %bb.192:
	s_delay_alu instid0(VALU_DEP_2) | instskip(SKIP_3) | instid1(VALU_DEP_1)
	v_lshlrev_b64_e32 v[12:13], 2, v[14:15]
	v_dual_ashrrev_i32 v11, 31, v10 :: v_dual_ashrrev_i32 v9, 31, v8
	s_mov_b32 s13, 0
	s_xor_b32 s15, s29, -1
                                        ; implicit-def: $sgpr14
                                        ; implicit-def: $sgpr17
                                        ; implicit-def: $sgpr16
	v_lshl_add_u64 v[10:11], v[10:11], 2, v[12:13]
	v_add_nc_u64_e32 v[12:13], s[6:7], v[12:13]
	s_delay_alu instid0(VALU_DEP_2) | instskip(NEXT) | instid1(VALU_DEP_2)
	v_add_nc_u64_e32 v[10:11], s[6:7], v[10:11]
	v_lshl_add_u64 v[8:9], v[8:9], 2, v[12:13]
	s_delay_alu instid0(VALU_DEP_2)
	v_add_nc_u64_e32 v[10:11], 4, v[10:11]
	s_branch .LBB16_194
.LBB16_193:                             ;   in Loop: Header=BB16_194 Depth=1
	s_or_b32 exec_lo, exec_lo, s18
	s_delay_alu instid0(SALU_CYCLE_1) | instskip(NEXT) | instid1(SALU_CYCLE_1)
	s_and_b32 s18, exec_lo, s17
	s_or_b32 s13, s18, s13
	s_and_not1_b32 s14, s14, exec_lo
	s_and_b32 s18, s16, exec_lo
	s_delay_alu instid0(SALU_CYCLE_1)
	s_or_b32 s14, s14, s18
	s_and_not1_b32 exec_lo, exec_lo, s13
	s_cbranch_execz .LBB16_196
.LBB16_194:                             ; =>This Inner Loop Header: Depth=1
	s_or_b32 s16, s16, exec_lo
	s_or_b32 s17, s17, exec_lo
	s_mov_b32 s18, exec_lo
	s_delay_alu instid0(VALU_DEP_1)
	v_cmpx_lt_u64_e64 v[10:11], v[8:9]
	s_cbranch_execz .LBB16_193
; %bb.195:                              ;   in Loop: Header=BB16_194 Depth=1
	global_load_b64 v[12:13], v[10:11], off offset:-4
	s_wait_xcnt 0x0
	v_add_nc_u64_e32 v[10:11], 4, v[10:11]
	s_and_not1_b32 s17, s17, exec_lo
	s_and_not1_b32 s16, s16, exec_lo
	s_wait_loadcnt 0x0
	v_cmp_ge_i32_e32 vcc_lo, v12, v13
	s_or_b32 s19, s15, vcc_lo
	s_delay_alu instid0(SALU_CYCLE_1) | instskip(NEXT) | instid1(SALU_CYCLE_1)
	s_and_b32 s19, s19, exec_lo
	s_or_b32 s17, s17, s19
	s_branch .LBB16_193
.LBB16_196:
	s_or_b32 exec_lo, exec_lo, s13
	s_delay_alu instid0(SALU_CYCLE_1)
	s_mov_b32 s15, exec_lo
	s_or_not1_b32 s13, s14, exec_lo
.LBB16_197:
	s_or_b32 exec_lo, exec_lo, s1
	s_delay_alu instid0(SALU_CYCLE_1)
	s_and_b32 s1, s15, exec_lo
	s_xor_b32 s14, exec_lo, -1
	s_and_b32 s13, s13, exec_lo
.LBB16_198:
	s_or_b32 exec_lo, exec_lo, s52
	s_delay_alu instid0(SALU_CYCLE_1)
	s_and_not1_b32 s15, s45, exec_lo
	s_and_b32 s14, s14, exec_lo
	s_and_b32 s16, s1, exec_lo
	s_or_b32 s15, s15, s14
	s_xor_b32 s1, exec_lo, -1
	s_and_b32 s14, s13, exec_lo
.LBB16_199:
	s_or_b32 exec_lo, exec_lo, s51
	s_delay_alu instid0(SALU_CYCLE_1)
	s_and_b32 s13, s16, exec_lo
	s_and_not1_b32 s16, s45, exec_lo
	s_and_b32 s15, s15, exec_lo
	s_and_not1_b32 s17, s46, exec_lo
	s_and_b32 s1, s1, exec_lo
	s_or_b32 s15, s16, s15
	s_or_b32 s17, s17, s1
	s_xor_b32 s1, exec_lo, -1
	s_and_b32 s16, s14, exec_lo
.LBB16_200:
	s_or_b32 exec_lo, exec_lo, s50
	s_delay_alu instid0(SALU_CYCLE_1)
	s_and_not1_b32 s14, s45, exec_lo
	s_and_b32 s18, s15, exec_lo
	s_and_b32 s15, s13, exec_lo
	s_or_b32 s13, s14, s18
	s_and_not1_b32 s14, s46, exec_lo
	s_and_b32 s17, s17, exec_lo
	s_and_not1_b32 s18, s43, exec_lo
	s_and_b32 s1, s1, exec_lo
	s_or_b32 s14, s14, s17
	s_or_b32 s1, s18, s1
	s_or_not1_b32 s17, s16, exec_lo
.LBB16_201:
	s_or_b32 exec_lo, exec_lo, s49
	s_mov_b32 s18, 0
                                        ; implicit-def: $sgpr22
	s_and_saveexec_b32 s16, s17
	s_cbranch_execz .LBB16_205
; %bb.202:
	v_or_b32_e32 v5, 0x300, v0
	s_mov_b32 s17, 0
	s_mov_b32 s18, -1
	s_mov_b32 s19, s1
	s_delay_alu instid0(VALU_DEP_1) | instskip(SKIP_1) | instid1(SALU_CYCLE_1)
	v_cmp_gt_i32_e64 s22, s33, v5
	s_and_saveexec_b32 s23, s22
	s_xor_b32 s23, exec_lo, s23
; %bb.203:
	v_cmp_ne_u32_e32 vcc_lo, s36, v1
	s_xor_b32 s18, s37, -1
	s_and_not1_b32 s19, s1, exec_lo
	s_mov_b32 s17, exec_lo
	s_or_b32 s18, s18, vcc_lo
	s_delay_alu instid0(SALU_CYCLE_1)
	s_and_b32 s24, s18, exec_lo
	s_xor_b32 s18, exec_lo, -1
	s_or_b32 s19, s19, s24
; %bb.204:
	s_or_b32 exec_lo, exec_lo, s23
	s_delay_alu instid0(SALU_CYCLE_1)
	s_and_not1_b32 s1, s1, exec_lo
	s_and_b32 s19, s19, exec_lo
	s_and_b32 s18, s18, exec_lo
	s_and_not1_b32 s15, s15, exec_lo
	s_and_b32 s48, s17, exec_lo
	s_or_b32 s1, s1, s19
.LBB16_205:
	s_or_b32 exec_lo, exec_lo, s16
	s_delay_alu instid0(SALU_CYCLE_1)
	s_and_not1_b32 s16, s44, exec_lo
	s_and_b32 s17, s15, exec_lo
	s_and_b32 s13, s13, exec_lo
	s_or_b32 s44, s16, s17
	s_and_not1_b32 s16, s45, exec_lo
	s_and_not1_b32 s17, s46, exec_lo
	s_and_b32 s14, s14, exec_lo
	s_or_b32 s45, s16, s13
	s_and_not1_b32 s13, s43, exec_lo
	s_and_b32 s1, s1, exec_lo
	s_and_b32 s15, s18, exec_lo
	s_or_b32 s46, s17, s14
	s_and_b32 s48, s48, exec_lo
	s_or_b32 s43, s13, s1
.LBB16_206:
	s_or_b32 exec_lo, exec_lo, s47
	s_delay_alu instid0(SALU_CYCLE_1)
	s_and_not1_b32 s1, s35, exec_lo
	s_and_b32 s13, s44, exec_lo
	s_and_b32 s44, s15, exec_lo
	s_or_b32 s35, s1, s13
	s_and_not1_b32 s1, s38, exec_lo
	s_and_b32 s13, s45, exec_lo
	s_and_not1_b32 s14, s39, exec_lo
	s_and_b32 s15, s46, exec_lo
	s_or_b32 s38, s1, s13
	s_and_not1_b32 s1, s41, exec_lo
	s_and_b32 s13, s43, exec_lo
	s_or_b32 s39, s14, s15
	s_and_b32 s43, s48, exec_lo
	s_or_b32 s41, s1, s13
	s_or_b32 exec_lo, exec_lo, s42
	s_and_saveexec_b32 s1, s41
	s_cbranch_execz .LBB16_144
.LBB16_207:
	s_or_b32 s3, s3, exec_lo
	s_and_not1_b32 s43, s43, exec_lo
	s_trap 2
	s_branch .LBB16_144
.LBB16_208:
	s_mov_b32 s3, exec_lo
	s_and_not1_b32 s31, s31, exec_lo
	s_trap 2
	s_branch .LBB16_65
.LBB16_209:
	s_or_b32 s3, s3, exec_lo
	s_and_not1_b32 s34, s34, exec_lo
	s_trap 2
	s_branch .LBB16_68
.LBB16_210:
	s_or_b32 s3, s3, exec_lo
	s_and_not1_b32 s1, s1, exec_lo
	s_trap 2
	s_branch .LBB16_147
	.section	.rodata,"a",@progbits
	.p2align	6, 0x0
	.amdhsa_kernel _ZN2at6native29vectorized_elementwise_kernelILi16EZZZNS0_12_GLOBAL__N_142_validate_compressed_sparse_indices_kernelILNS2_8CDimNameE0ENS2_18CUDAKernelLauncherENS2_14EmptyVecKernelENS2_8DummyVecELm8EEEvRKNS_6TensorESA_lllENKUlvE1_clEvENKUlvE_clEvEUliiiiiE_St5arrayIPcLm6EEEEviT0_T1_
		.amdhsa_group_segment_fixed_size 0
		.amdhsa_private_segment_fixed_size 0
		.amdhsa_kernarg_size 224
		.amdhsa_user_sgpr_count 2
		.amdhsa_user_sgpr_dispatch_ptr 0
		.amdhsa_user_sgpr_queue_ptr 0
		.amdhsa_user_sgpr_kernarg_segment_ptr 1
		.amdhsa_user_sgpr_dispatch_id 0
		.amdhsa_user_sgpr_kernarg_preload_length 0
		.amdhsa_user_sgpr_kernarg_preload_offset 0
		.amdhsa_user_sgpr_private_segment_size 0
		.amdhsa_wavefront_size32 1
		.amdhsa_uses_dynamic_stack 0
		.amdhsa_enable_private_segment 0
		.amdhsa_system_sgpr_workgroup_id_x 1
		.amdhsa_system_sgpr_workgroup_id_y 0
		.amdhsa_system_sgpr_workgroup_id_z 0
		.amdhsa_system_sgpr_workgroup_info 0
		.amdhsa_system_vgpr_workitem_id 0
		.amdhsa_next_free_vgpr 44
		.amdhsa_next_free_sgpr 69
		.amdhsa_named_barrier_count 0
		.amdhsa_reserve_vcc 1
		.amdhsa_float_round_mode_32 0
		.amdhsa_float_round_mode_16_64 0
		.amdhsa_float_denorm_mode_32 3
		.amdhsa_float_denorm_mode_16_64 3
		.amdhsa_fp16_overflow 0
		.amdhsa_memory_ordered 1
		.amdhsa_forward_progress 1
		.amdhsa_inst_pref_size 103
		.amdhsa_round_robin_scheduling 0
		.amdhsa_exception_fp_ieee_invalid_op 0
		.amdhsa_exception_fp_denorm_src 0
		.amdhsa_exception_fp_ieee_div_zero 0
		.amdhsa_exception_fp_ieee_overflow 0
		.amdhsa_exception_fp_ieee_underflow 0
		.amdhsa_exception_fp_ieee_inexact 0
		.amdhsa_exception_int_div_zero 0
	.end_amdhsa_kernel
	.section	.text._ZN2at6native29vectorized_elementwise_kernelILi16EZZZNS0_12_GLOBAL__N_142_validate_compressed_sparse_indices_kernelILNS2_8CDimNameE0ENS2_18CUDAKernelLauncherENS2_14EmptyVecKernelENS2_8DummyVecELm8EEEvRKNS_6TensorESA_lllENKUlvE1_clEvENKUlvE_clEvEUliiiiiE_St5arrayIPcLm6EEEEviT0_T1_,"axG",@progbits,_ZN2at6native29vectorized_elementwise_kernelILi16EZZZNS0_12_GLOBAL__N_142_validate_compressed_sparse_indices_kernelILNS2_8CDimNameE0ENS2_18CUDAKernelLauncherENS2_14EmptyVecKernelENS2_8DummyVecELm8EEEvRKNS_6TensorESA_lllENKUlvE1_clEvENKUlvE_clEvEUliiiiiE_St5arrayIPcLm6EEEEviT0_T1_,comdat
.Lfunc_end16:
	.size	_ZN2at6native29vectorized_elementwise_kernelILi16EZZZNS0_12_GLOBAL__N_142_validate_compressed_sparse_indices_kernelILNS2_8CDimNameE0ENS2_18CUDAKernelLauncherENS2_14EmptyVecKernelENS2_8DummyVecELm8EEEvRKNS_6TensorESA_lllENKUlvE1_clEvENKUlvE_clEvEUliiiiiE_St5arrayIPcLm6EEEEviT0_T1_, .Lfunc_end16-_ZN2at6native29vectorized_elementwise_kernelILi16EZZZNS0_12_GLOBAL__N_142_validate_compressed_sparse_indices_kernelILNS2_8CDimNameE0ENS2_18CUDAKernelLauncherENS2_14EmptyVecKernelENS2_8DummyVecELm8EEEvRKNS_6TensorESA_lllENKUlvE1_clEvENKUlvE_clEvEUliiiiiE_St5arrayIPcLm6EEEEviT0_T1_
                                        ; -- End function
	.set _ZN2at6native29vectorized_elementwise_kernelILi16EZZZNS0_12_GLOBAL__N_142_validate_compressed_sparse_indices_kernelILNS2_8CDimNameE0ENS2_18CUDAKernelLauncherENS2_14EmptyVecKernelENS2_8DummyVecELm8EEEvRKNS_6TensorESA_lllENKUlvE1_clEvENKUlvE_clEvEUliiiiiE_St5arrayIPcLm6EEEEviT0_T1_.num_vgpr, 44
	.set _ZN2at6native29vectorized_elementwise_kernelILi16EZZZNS0_12_GLOBAL__N_142_validate_compressed_sparse_indices_kernelILNS2_8CDimNameE0ENS2_18CUDAKernelLauncherENS2_14EmptyVecKernelENS2_8DummyVecELm8EEEvRKNS_6TensorESA_lllENKUlvE1_clEvENKUlvE_clEvEUliiiiiE_St5arrayIPcLm6EEEEviT0_T1_.num_agpr, 0
	.set _ZN2at6native29vectorized_elementwise_kernelILi16EZZZNS0_12_GLOBAL__N_142_validate_compressed_sparse_indices_kernelILNS2_8CDimNameE0ENS2_18CUDAKernelLauncherENS2_14EmptyVecKernelENS2_8DummyVecELm8EEEvRKNS_6TensorESA_lllENKUlvE1_clEvENKUlvE_clEvEUliiiiiE_St5arrayIPcLm6EEEEviT0_T1_.numbered_sgpr, 69
	.set _ZN2at6native29vectorized_elementwise_kernelILi16EZZZNS0_12_GLOBAL__N_142_validate_compressed_sparse_indices_kernelILNS2_8CDimNameE0ENS2_18CUDAKernelLauncherENS2_14EmptyVecKernelENS2_8DummyVecELm8EEEvRKNS_6TensorESA_lllENKUlvE1_clEvENKUlvE_clEvEUliiiiiE_St5arrayIPcLm6EEEEviT0_T1_.num_named_barrier, 0
	.set _ZN2at6native29vectorized_elementwise_kernelILi16EZZZNS0_12_GLOBAL__N_142_validate_compressed_sparse_indices_kernelILNS2_8CDimNameE0ENS2_18CUDAKernelLauncherENS2_14EmptyVecKernelENS2_8DummyVecELm8EEEvRKNS_6TensorESA_lllENKUlvE1_clEvENKUlvE_clEvEUliiiiiE_St5arrayIPcLm6EEEEviT0_T1_.private_seg_size, 0
	.set _ZN2at6native29vectorized_elementwise_kernelILi16EZZZNS0_12_GLOBAL__N_142_validate_compressed_sparse_indices_kernelILNS2_8CDimNameE0ENS2_18CUDAKernelLauncherENS2_14EmptyVecKernelENS2_8DummyVecELm8EEEvRKNS_6TensorESA_lllENKUlvE1_clEvENKUlvE_clEvEUliiiiiE_St5arrayIPcLm6EEEEviT0_T1_.uses_vcc, 1
	.set _ZN2at6native29vectorized_elementwise_kernelILi16EZZZNS0_12_GLOBAL__N_142_validate_compressed_sparse_indices_kernelILNS2_8CDimNameE0ENS2_18CUDAKernelLauncherENS2_14EmptyVecKernelENS2_8DummyVecELm8EEEvRKNS_6TensorESA_lllENKUlvE1_clEvENKUlvE_clEvEUliiiiiE_St5arrayIPcLm6EEEEviT0_T1_.uses_flat_scratch, 0
	.set _ZN2at6native29vectorized_elementwise_kernelILi16EZZZNS0_12_GLOBAL__N_142_validate_compressed_sparse_indices_kernelILNS2_8CDimNameE0ENS2_18CUDAKernelLauncherENS2_14EmptyVecKernelENS2_8DummyVecELm8EEEvRKNS_6TensorESA_lllENKUlvE1_clEvENKUlvE_clEvEUliiiiiE_St5arrayIPcLm6EEEEviT0_T1_.has_dyn_sized_stack, 0
	.set _ZN2at6native29vectorized_elementwise_kernelILi16EZZZNS0_12_GLOBAL__N_142_validate_compressed_sparse_indices_kernelILNS2_8CDimNameE0ENS2_18CUDAKernelLauncherENS2_14EmptyVecKernelENS2_8DummyVecELm8EEEvRKNS_6TensorESA_lllENKUlvE1_clEvENKUlvE_clEvEUliiiiiE_St5arrayIPcLm6EEEEviT0_T1_.has_recursion, 0
	.set _ZN2at6native29vectorized_elementwise_kernelILi16EZZZNS0_12_GLOBAL__N_142_validate_compressed_sparse_indices_kernelILNS2_8CDimNameE0ENS2_18CUDAKernelLauncherENS2_14EmptyVecKernelENS2_8DummyVecELm8EEEvRKNS_6TensorESA_lllENKUlvE1_clEvENKUlvE_clEvEUliiiiiE_St5arrayIPcLm6EEEEviT0_T1_.has_indirect_call, 0
	.section	.AMDGPU.csdata,"",@progbits
; Kernel info:
; codeLenInByte = 13072
; TotalNumSgprs: 71
; NumVgprs: 44
; ScratchSize: 0
; MemoryBound: 0
; FloatMode: 240
; IeeeMode: 1
; LDSByteSize: 0 bytes/workgroup (compile time only)
; SGPRBlocks: 0
; VGPRBlocks: 2
; NumSGPRsForWavesPerEU: 71
; NumVGPRsForWavesPerEU: 44
; NamedBarCnt: 0
; Occupancy: 16
; WaveLimiterHint : 1
; COMPUTE_PGM_RSRC2:SCRATCH_EN: 0
; COMPUTE_PGM_RSRC2:USER_SGPR: 2
; COMPUTE_PGM_RSRC2:TRAP_HANDLER: 0
; COMPUTE_PGM_RSRC2:TGID_X_EN: 1
; COMPUTE_PGM_RSRC2:TGID_Y_EN: 0
; COMPUTE_PGM_RSRC2:TGID_Z_EN: 0
; COMPUTE_PGM_RSRC2:TIDIG_COMP_CNT: 0
	.section	.text._ZN2at6native29vectorized_elementwise_kernelILi8EZZZNS0_12_GLOBAL__N_142_validate_compressed_sparse_indices_kernelILNS2_8CDimNameE0ENS2_18CUDAKernelLauncherENS2_14EmptyVecKernelENS2_8DummyVecELm8EEEvRKNS_6TensorESA_lllENKUlvE1_clEvENKUlvE_clEvEUliiiiiE_St5arrayIPcLm6EEEEviT0_T1_,"axG",@progbits,_ZN2at6native29vectorized_elementwise_kernelILi8EZZZNS0_12_GLOBAL__N_142_validate_compressed_sparse_indices_kernelILNS2_8CDimNameE0ENS2_18CUDAKernelLauncherENS2_14EmptyVecKernelENS2_8DummyVecELm8EEEvRKNS_6TensorESA_lllENKUlvE1_clEvENKUlvE_clEvEUliiiiiE_St5arrayIPcLm6EEEEviT0_T1_,comdat
	.globl	_ZN2at6native29vectorized_elementwise_kernelILi8EZZZNS0_12_GLOBAL__N_142_validate_compressed_sparse_indices_kernelILNS2_8CDimNameE0ENS2_18CUDAKernelLauncherENS2_14EmptyVecKernelENS2_8DummyVecELm8EEEvRKNS_6TensorESA_lllENKUlvE1_clEvENKUlvE_clEvEUliiiiiE_St5arrayIPcLm6EEEEviT0_T1_ ; -- Begin function _ZN2at6native29vectorized_elementwise_kernelILi8EZZZNS0_12_GLOBAL__N_142_validate_compressed_sparse_indices_kernelILNS2_8CDimNameE0ENS2_18CUDAKernelLauncherENS2_14EmptyVecKernelENS2_8DummyVecELm8EEEvRKNS_6TensorESA_lllENKUlvE1_clEvENKUlvE_clEvEUliiiiiE_St5arrayIPcLm6EEEEviT0_T1_
	.p2align	8
	.type	_ZN2at6native29vectorized_elementwise_kernelILi8EZZZNS0_12_GLOBAL__N_142_validate_compressed_sparse_indices_kernelILNS2_8CDimNameE0ENS2_18CUDAKernelLauncherENS2_14EmptyVecKernelENS2_8DummyVecELm8EEEvRKNS_6TensorESA_lllENKUlvE1_clEvENKUlvE_clEvEUliiiiiE_St5arrayIPcLm6EEEEviT0_T1_,@function
_ZN2at6native29vectorized_elementwise_kernelILi8EZZZNS0_12_GLOBAL__N_142_validate_compressed_sparse_indices_kernelILNS2_8CDimNameE0ENS2_18CUDAKernelLauncherENS2_14EmptyVecKernelENS2_8DummyVecELm8EEEvRKNS_6TensorESA_lllENKUlvE1_clEvENKUlvE_clEvEUliiiiiE_St5arrayIPcLm6EEEEviT0_T1_: ; @_ZN2at6native29vectorized_elementwise_kernelILi8EZZZNS0_12_GLOBAL__N_142_validate_compressed_sparse_indices_kernelILNS2_8CDimNameE0ENS2_18CUDAKernelLauncherENS2_14EmptyVecKernelENS2_8DummyVecELm8EEEvRKNS_6TensorESA_lllENKUlvE1_clEvENKUlvE_clEvEUliiiiiE_St5arrayIPcLm6EEEEviT0_T1_
; %bb.0:
	s_clause 0x2
	s_load_b32 s3, s[0:1], 0x0
	s_load_b128 s[12:15], s[0:1], 0xd0
	s_load_b256 s[4:11], s[0:1], 0xb0
	s_bfe_u32 s2, ttmp6, 0x4000c
	s_and_b32 s16, ttmp6, 15
	s_add_co_i32 s2, s2, 1
	s_getreg_b32 s17, hwreg(HW_REG_IB_STS2, 6, 4)
	s_mul_i32 s2, ttmp9, s2
	s_or_b64 s[20:21], s[0:1], 8
	s_add_co_i32 s16, s16, s2
	s_cmp_eq_u32 s17, 0
	s_mov_b32 s44, 0
	s_wait_xcnt 0x0
	s_cselect_b32 s0, ttmp9, s16
	s_get_pc_i64 s[22:23]
	s_add_nc_u64 s[22:23], s[22:23], .str.1@rel64+4
	s_lshl_b32 s2, s0, 10
	s_mov_b32 s0, -1
	s_wait_kmcnt 0x0
	s_sub_co_i32 s33, s3, s2
	s_mov_b32 s3, 0
	s_cmp_gt_i32 s33, 0x3ff
	s_cbranch_scc0 .LBB17_75
; %bb.1:
	s_ashr_i32 s3, s2, 31
	s_mov_b32 s34, -1
	s_lshl_b64 s[24:25], s[2:3], 2
	s_cmp_lg_u64 s[22:23], 0
	s_add_nc_u64 s[0:1], s[6:7], s[24:25]
	s_cselect_b32 s16, -1, 0
	global_load_b128 v[10:13], v0, s[0:1] scale_offset
	s_wait_xcnt 0x0
	s_load_b32 s0, s[20:21], 0x0
	s_mov_b32 s3, 0
	s_mov_b32 s31, 0
	;; [unrolled: 1-line block ×4, first 2 shown]
                                        ; implicit-def: $sgpr27
                                        ; implicit-def: $sgpr17
                                        ; implicit-def: $sgpr30
                                        ; implicit-def: $sgpr26
                                        ; implicit-def: $sgpr28_sgpr29
                                        ; implicit-def: $vgpr14_vgpr15_vgpr16_vgpr17
                                        ; implicit-def: $vgpr2_vgpr3_vgpr4_vgpr5
                                        ; implicit-def: $vgpr6_vgpr7_vgpr8_vgpr9
                                        ; implicit-def: $vgpr18
	s_wait_loadcnt 0x0
	s_wait_kmcnt 0x0
	v_cmp_eq_u32_e32 vcc_lo, s0, v10
	s_mov_b32 s0, 0
	s_and_b32 s18, s16, vcc_lo
                                        ; implicit-def: $sgpr16
	s_delay_alu instid0(SALU_CYCLE_1)
	s_and_saveexec_b32 s45, s18
	s_cbranch_execz .LBB17_64
; %bb.2:
	s_add_nc_u64 s[0:1], s[8:9], s[24:25]
	s_load_b128 s[16:19], s[20:21], 0x8
	global_load_b128 v[18:21], v0, s[0:1] scale_offset
	s_get_pc_i64 s[26:27]
	s_add_nc_u64 s[26:27], s[26:27], .str.2@rel64+4
	s_wait_xcnt 0x0
	s_mov_b32 s0, -1
	s_cmp_lg_u64 s[26:27], 0
	s_mov_b32 s34, 0
	s_wait_kmcnt 0x0
	s_cselect_b32 s17, -1, 0
	s_mov_b32 s1, 0
	s_mov_b32 s35, 0
                                        ; implicit-def: $sgpr27
                                        ; implicit-def: $sgpr30
                                        ; implicit-def: $sgpr26
                                        ; implicit-def: $sgpr28_sgpr29
                                        ; implicit-def: $vgpr14_vgpr15_vgpr16_vgpr17
                                        ; implicit-def: $vgpr2_vgpr3_vgpr4_vgpr5
                                        ; implicit-def: $vgpr6_vgpr7_vgpr8_vgpr9
	s_wait_loadcnt 0x0
	v_cmp_eq_u32_e32 vcc_lo, s18, v18
	s_and_b32 s36, s17, vcc_lo
                                        ; implicit-def: $sgpr17
	s_delay_alu instid0(SALU_CYCLE_1)
	s_and_saveexec_b32 s46, s36
	s_cbranch_execz .LBB17_63
; %bb.3:
	s_add_nc_u64 s[0:1], s[10:11], s[24:25]
	s_add_nc_u64 s[26:27], s[12:13], s[24:25]
	s_clause 0x1
	global_load_b128 v[6:9], v0, s[0:1] scale_offset
	global_load_b128 v[2:5], v0, s[26:27] scale_offset
	s_wait_xcnt 0x0
	s_load_b64 s[26:27], s[20:21], 0x18
	s_get_pc_i64 s[28:29]
	s_add_nc_u64 s[28:29], s[28:29], .str.3@rel64+4
	s_mov_b32 s1, -1
	s_cmp_lg_u64 s[28:29], 0
	s_mov_b32 s36, 0
	s_cselect_b32 s17, -1, 0
                                        ; implicit-def: $sgpr27
                                        ; implicit-def: $sgpr30
                                        ; implicit-def: $sgpr28_sgpr29
                                        ; implicit-def: $vgpr14_vgpr15_vgpr16_vgpr17
	s_wait_loadcnt 0x0
	v_sub_nc_u32_e32 v1, v2, v6
	s_delay_alu instid0(VALU_DEP_1) | instskip(SKIP_2) | instid1(SALU_CYCLE_1)
	v_cmp_le_i32_e32 vcc_lo, v10, v1
	v_cmp_ge_i32_e64 s0, s16, v1
	s_and_b32 s0, vcc_lo, s0
	s_and_b32 s0, s17, s0
                                        ; implicit-def: $sgpr17
	s_delay_alu instid0(SALU_CYCLE_1)
	s_and_saveexec_b32 s47, s0
	s_cbranch_execz .LBB17_62
; %bb.4:
	s_add_nc_u64 s[0:1], s[14:15], s[24:25]
	s_load_b64 s[28:29], s[20:21], 0xa0
	global_load_b128 v[14:17], v0, s[0:1] scale_offset
	s_wait_xcnt 0x0
	v_cmp_gt_i64_e64 s0, s[18:19], 0
	s_wait_kmcnt 0x0
	s_add_co_i32 s30, s26, -1
	v_mov_b64_e32 v[22:23], 0
	s_cmp_gt_i32 s30, -1
	s_cselect_b32 s1, -1, 0
	s_delay_alu instid0(SALU_CYCLE_1) | instskip(NEXT) | instid1(SALU_CYCLE_1)
	s_and_b32 s17, s0, s1
	s_and_not1_b32 vcc_lo, exec_lo, s17
	s_cbranch_vccnz .LBB17_11
; %bb.5:
	s_wait_loadcnt 0x0
	v_dual_mov_b32 v22, v14 :: v_dual_ashrrev_i32 v23, 31, v14
	s_ashr_i32 s31, s30, 31
	v_mov_b32_e32 v24, 0
	s_lshl_b64 s[0:1], s[30:31], 3
	s_mov_b64 s[34:35], 0xffffffff
	v_mul_u64_e32 v[26:27], s[18:19], v[22:23]
	v_mov_b64_e32 v[22:23], 0
	s_add_nc_u64 s[0:1], s[20:21], s[0:1]
	s_mov_b32 s27, s26
	s_add_nc_u64 s[36:37], s[0:1], 32
	s_mov_b32 s1, 0
	s_branch .LBB17_7
.LBB17_6:                               ;   in Loop: Header=BB17_7 Depth=1
	s_or_b32 exec_lo, exec_lo, s0
	s_delay_alu instid0(VALU_DEP_1)
	v_mul_u64_e32 v[30:31], s[38:39], v[28:29]
	s_load_b64 s[38:39], s[36:37], 0x40
	s_add_co_i32 s27, s27, -1
	s_wait_xcnt 0x0
	s_add_nc_u64 s[36:37], s[36:37], -8
	s_cmp_eq_u32 s27, 0
	s_delay_alu instid0(VALU_DEP_1) | instskip(SKIP_1) | instid1(VALU_DEP_1)
	v_sub_nc_u64_e32 v[26:27], v[26:27], v[30:31]
	s_wait_kmcnt 0x0
	v_mad_nc_u64_u32 v[22:23], v26, s38, v[22:23]
	s_delay_alu instid0(VALU_DEP_1) | instskip(NEXT) | instid1(VALU_DEP_1)
	v_mad_u32 v1, v27, s38, v23
	v_mad_u32 v23, v26, s39, v1
	v_mov_b64_e32 v[26:27], v[28:29]
	s_cbranch_scc1 .LBB17_11
.LBB17_7:                               ; =>This Inner Loop Header: Depth=1
	s_load_b64 s[38:39], s[36:37], 0x0
                                        ; implicit-def: $vgpr28_vgpr29
	s_mov_b32 s0, exec_lo
	s_wait_kmcnt 0x0
	s_delay_alu instid0(VALU_DEP_1) | instskip(NEXT) | instid1(VALU_DEP_1)
	v_or_b32_e32 v25, s39, v27
	v_cmpx_ne_u64_e32 0, v[24:25]
	s_xor_b32 s31, exec_lo, s0
	s_cbranch_execz .LBB17_9
; %bb.8:                                ;   in Loop: Header=BB17_7 Depth=1
	s_ashr_i32 s40, s39, 31
	v_dual_mov_b32 v33, v24 :: v_dual_ashrrev_i32 v28, 31, v27
	s_mov_b32 s41, s40
	v_mov_b32_e32 v41, v24
	s_add_nc_u64 s[42:43], s[38:39], s[40:41]
	s_delay_alu instid0(VALU_DEP_2) | instskip(SKIP_1) | instid1(SALU_CYCLE_1)
	v_mov_b32_e32 v29, v28
	s_xor_b64 s[42:43], s[42:43], s[40:41]
	s_cvt_f32_u32 s0, s42
	s_cvt_f32_u32 s41, s43
	s_sub_nc_u64 s[50:51], 0, s[42:43]
	v_add_nc_u64_e32 v[30:31], v[26:27], v[28:29]
	v_mov_b32_e32 v37, v24
	s_fmamk_f32 s0, s41, 0x4f800000, s0
	s_delay_alu instid0(SALU_CYCLE_3) | instskip(NEXT) | instid1(VALU_DEP_2)
	v_s_rcp_f32 s0, s0
	v_xor_b32_e32 v32, v30, v28
	s_delay_alu instid0(VALU_DEP_3) | instskip(NEXT) | instid1(TRANS32_DEP_1)
	v_xor_b32_e32 v36, v31, v28
	s_mul_f32 s0, s0, 0x5f7ffffc
	s_delay_alu instid0(SALU_CYCLE_3) | instskip(NEXT) | instid1(SALU_CYCLE_3)
	s_mul_f32 s41, s0, 0x2f800000
	s_trunc_f32 s41, s41
	s_delay_alu instid0(SALU_CYCLE_3) | instskip(SKIP_1) | instid1(SALU_CYCLE_2)
	s_fmamk_f32 s0, s41, 0xcf800000, s0
	s_cvt_u32_f32 s49, s41
	s_cvt_u32_f32 s48, s0
	s_delay_alu instid0(SALU_CYCLE_3) | instskip(NEXT) | instid1(SALU_CYCLE_1)
	s_mul_u64 s[52:53], s[50:51], s[48:49]
	s_mul_hi_u32 s55, s48, s53
	s_mul_i32 s54, s48, s53
	s_mul_hi_u32 s0, s48, s52
	s_mul_i32 s56, s49, s52
	s_add_nc_u64 s[54:55], s[0:1], s[54:55]
	s_mul_hi_u32 s41, s49, s52
	s_mul_hi_u32 s57, s49, s53
	s_add_co_u32 s0, s54, s56
	s_add_co_ci_u32 s0, s55, s41
	s_mul_i32 s52, s49, s53
	s_add_co_ci_u32 s53, s57, 0
	s_delay_alu instid0(SALU_CYCLE_1) | instskip(NEXT) | instid1(SALU_CYCLE_1)
	s_add_nc_u64 s[52:53], s[0:1], s[52:53]
	s_add_co_u32 s48, s48, s52
	s_cselect_b32 s0, -1, 0
	s_delay_alu instid0(SALU_CYCLE_1) | instskip(SKIP_1) | instid1(SALU_CYCLE_1)
	s_cmp_lg_u32 s0, 0
	s_add_co_ci_u32 s49, s49, s53
	s_mul_u64 s[50:51], s[50:51], s[48:49]
	s_delay_alu instid0(SALU_CYCLE_1)
	s_mul_hi_u32 s53, s48, s51
	s_mul_i32 s52, s48, s51
	s_mul_hi_u32 s0, s48, s50
	s_mul_i32 s54, s49, s50
	s_add_nc_u64 s[52:53], s[0:1], s[52:53]
	s_mul_hi_u32 s41, s49, s50
	s_mul_hi_u32 s55, s49, s51
	s_add_co_u32 s0, s52, s54
	s_add_co_ci_u32 s0, s53, s41
	s_mul_i32 s50, s49, s51
	s_add_co_ci_u32 s51, s55, 0
	s_delay_alu instid0(SALU_CYCLE_1) | instskip(NEXT) | instid1(SALU_CYCLE_1)
	s_add_nc_u64 s[50:51], s[0:1], s[50:51]
	s_add_co_u32 s48, s48, s50
	s_cselect_b32 s0, -1, 0
	v_mul_hi_u32 v40, v32, s48
	s_cmp_lg_u32 s0, 0
	s_add_co_ci_u32 s0, s49, s51
	s_and_b64 s[50:51], s[48:49], s[34:35]
	v_mul_u64_e32 v[34:35], s[0:1], v[32:33]
	v_mul_u64_e32 v[30:31], s[50:51], v[36:37]
	;; [unrolled: 1-line block ×3, first 2 shown]
	s_delay_alu instid0(VALU_DEP_3) | instskip(NEXT) | instid1(VALU_DEP_1)
	v_add_nc_u64_e32 v[34:35], v[40:41], v[34:35]
	v_add_co_u32 v1, vcc_lo, v34, v30
	s_delay_alu instid0(VALU_DEP_2) | instskip(NEXT) | instid1(VALU_DEP_4)
	v_add_co_ci_u32_e32 v40, vcc_lo, v35, v31, vcc_lo
	v_add_co_ci_u32_e32 v39, vcc_lo, 0, v39, vcc_lo
	s_delay_alu instid0(VALU_DEP_1) | instskip(NEXT) | instid1(VALU_DEP_1)
	v_add_nc_u64_e32 v[30:31], v[40:41], v[38:39]
	v_mul_u64_e32 v[34:35], s[42:43], v[30:31]
	s_delay_alu instid0(VALU_DEP_1) | instskip(NEXT) | instid1(VALU_DEP_2)
	v_sub_nc_u32_e32 v1, v36, v35
	v_sub_co_u32 v14, vcc_lo, v32, v34
	s_delay_alu instid0(VALU_DEP_1) | instskip(NEXT) | instid1(VALU_DEP_3)
	v_sub_co_ci_u32_e64 v29, null, v36, v35, vcc_lo
	v_subrev_co_ci_u32_e64 v1, null, s43, v1, vcc_lo
	s_delay_alu instid0(VALU_DEP_3) | instskip(SKIP_1) | instid1(VALU_DEP_3)
	v_sub_co_u32 v25, s0, v14, s42
	v_add_nc_u64_e32 v[34:35], 1, v[30:31]
	v_subrev_co_ci_u32_e64 v1, null, 0, v1, s0
	s_delay_alu instid0(VALU_DEP_3) | instskip(SKIP_1) | instid1(VALU_DEP_3)
	v_cmp_le_u32_e32 vcc_lo, s42, v25
	v_cndmask_b32_e64 v25, 0, -1, vcc_lo
	v_cmp_le_u32_e32 vcc_lo, s43, v1
	v_cndmask_b32_e64 v32, 0, -1, vcc_lo
	v_cmp_le_u32_e32 vcc_lo, s42, v14
	v_cndmask_b32_e64 v14, 0, -1, vcc_lo
	v_cmp_le_u32_e32 vcc_lo, s43, v29
	v_cndmask_b32_e64 v36, 0, -1, vcc_lo
	v_cmp_eq_u32_e32 vcc_lo, s43, v1
	v_cndmask_b32_e32 v1, v32, v25, vcc_lo
	v_cmp_eq_u32_e32 vcc_lo, s43, v29
	v_add_nc_u64_e32 v[32:33], 2, v[30:31]
	v_cndmask_b32_e32 v14, v36, v14, vcc_lo
	s_delay_alu instid0(VALU_DEP_4) | instskip(NEXT) | instid1(VALU_DEP_2)
	v_cmp_ne_u32_e32 vcc_lo, 0, v1
	v_cmp_ne_u32_e64 s0, 0, v14
	s_delay_alu instid0(VALU_DEP_4) | instskip(NEXT) | instid1(VALU_DEP_1)
	v_dual_cndmask_b32 v1, v35, v33 :: v_dual_cndmask_b32 v14, v34, v32
	v_dual_cndmask_b32 v1, v31, v1, s0 :: v_dual_bitop2_b32 v28, s40, v28 bitop3:0x14
	s_delay_alu instid0(VALU_DEP_1) | instskip(NEXT) | instid1(VALU_DEP_2)
	v_dual_cndmask_b32 v14, v30, v14, s0 :: v_dual_mov_b32 v29, v28
	v_xor_b32_e32 v31, v1, v28
	s_delay_alu instid0(VALU_DEP_2) | instskip(NEXT) | instid1(VALU_DEP_1)
	v_xor_b32_e32 v30, v14, v28
	v_sub_nc_u64_e32 v[28:29], v[30:31], v[28:29]
.LBB17_9:                               ;   in Loop: Header=BB17_7 Depth=1
	s_and_not1_saveexec_b32 s0, s31
	s_cbranch_execz .LBB17_6
; %bb.10:                               ;   in Loop: Header=BB17_7 Depth=1
	v_cvt_f32_u32_e32 v1, s38
	s_sub_co_i32 s31, 0, s38
	v_mov_b32_e32 v29, v24
	s_delay_alu instid0(VALU_DEP_2) | instskip(SKIP_1) | instid1(TRANS32_DEP_1)
	v_rcp_iflag_f32_e32 v1, v1
	v_nop
	v_mul_f32_e32 v1, 0x4f7ffffe, v1
	s_delay_alu instid0(VALU_DEP_1) | instskip(NEXT) | instid1(VALU_DEP_1)
	v_cvt_u32_f32_e32 v1, v1
	v_mul_lo_u32 v14, s31, v1
	s_delay_alu instid0(VALU_DEP_1) | instskip(NEXT) | instid1(VALU_DEP_1)
	v_mul_hi_u32 v14, v1, v14
	v_add_nc_u32_e32 v1, v1, v14
	s_delay_alu instid0(VALU_DEP_1) | instskip(NEXT) | instid1(VALU_DEP_1)
	v_mul_hi_u32 v1, v26, v1
	v_mul_lo_u32 v14, v1, s38
	s_delay_alu instid0(VALU_DEP_1) | instskip(NEXT) | instid1(VALU_DEP_1)
	v_dual_add_nc_u32 v25, 1, v1 :: v_dual_sub_nc_u32 v14, v26, v14
	v_subrev_nc_u32_e32 v28, s38, v14
	v_cmp_le_u32_e32 vcc_lo, s38, v14
	s_delay_alu instid0(VALU_DEP_2) | instskip(NEXT) | instid1(VALU_DEP_1)
	v_dual_cndmask_b32 v14, v14, v28 :: v_dual_cndmask_b32 v1, v1, v25
	v_cmp_le_u32_e32 vcc_lo, s38, v14
	s_delay_alu instid0(VALU_DEP_2) | instskip(NEXT) | instid1(VALU_DEP_1)
	v_add_nc_u32_e32 v25, 1, v1
	v_cndmask_b32_e32 v28, v1, v25, vcc_lo
	s_branch .LBB17_6
.LBB17_11:
	s_get_pc_i64 s[0:1]
	s_add_nc_u64 s[0:1], s[0:1], .str.4@rel64+4
	s_mov_b32 s35, -1
	s_cmp_lg_u64 s[0:1], 0
	s_mov_b32 s0, 0
	s_cselect_b32 s27, -1, 0
	s_mov_b32 s48, 0
	s_mov_b32 s1, exec_lo
	v_cmpx_gt_i32_e64 v2, v6
	s_cbranch_execz .LBB17_17
; %bb.12:
	v_lshlrev_b64_e32 v[22:23], 2, v[22:23]
	v_dual_mov_b32 v24, v6 :: v_dual_ashrrev_i32 v25, 31, v6
	v_dual_mov_b32 v28, v2 :: v_dual_ashrrev_i32 v29, 31, v2
	s_mov_b32 s31, 0
	s_xor_b32 s35, s27, -1
	s_delay_alu instid0(VALU_DEP_2) | instskip(SKIP_1) | instid1(VALU_DEP_2)
	v_lshl_add_u64 v[24:25], v[24:25], 2, v[22:23]
	v_add_nc_u64_e32 v[26:27], s[28:29], v[22:23]
                                        ; implicit-def: $sgpr34
                                        ; implicit-def: $sgpr37
                                        ; implicit-def: $sgpr36
	v_add_nc_u64_e32 v[24:25], s[28:29], v[24:25]
	s_delay_alu instid0(VALU_DEP_1) | instskip(NEXT) | instid1(VALU_DEP_3)
	v_add_nc_u64_e32 v[22:23], 4, v[24:25]
	v_lshl_add_u64 v[24:25], v[28:29], 2, v[26:27]
	s_branch .LBB17_14
.LBB17_13:                              ;   in Loop: Header=BB17_14 Depth=1
	s_or_b32 exec_lo, exec_lo, s38
	s_delay_alu instid0(SALU_CYCLE_1) | instskip(NEXT) | instid1(SALU_CYCLE_1)
	s_and_b32 s38, exec_lo, s37
	s_or_b32 s31, s38, s31
	s_and_not1_b32 s34, s34, exec_lo
	s_and_b32 s38, s36, exec_lo
	s_delay_alu instid0(SALU_CYCLE_1)
	s_or_b32 s34, s34, s38
	s_and_not1_b32 exec_lo, exec_lo, s31
	s_cbranch_execz .LBB17_16
.LBB17_14:                              ; =>This Inner Loop Header: Depth=1
	s_or_b32 s36, s36, exec_lo
	s_or_b32 s37, s37, exec_lo
	s_mov_b32 s38, exec_lo
	s_delay_alu instid0(VALU_DEP_2)
	v_cmpx_lt_u64_e64 v[22:23], v[24:25]
	s_cbranch_execz .LBB17_13
; %bb.15:                               ;   in Loop: Header=BB17_14 Depth=1
	global_load_b64 v[26:27], v[22:23], off offset:-4
	s_wait_xcnt 0x0
	v_add_nc_u64_e32 v[22:23], 4, v[22:23]
	s_and_not1_b32 s37, s37, exec_lo
	s_and_not1_b32 s36, s36, exec_lo
	s_wait_loadcnt 0x0
	v_cmp_ge_i32_e32 vcc_lo, v26, v27
	s_or_b32 s39, s35, vcc_lo
	s_delay_alu instid0(SALU_CYCLE_1) | instskip(NEXT) | instid1(SALU_CYCLE_1)
	s_and_b32 s39, s39, exec_lo
	s_or_b32 s37, s37, s39
	s_branch .LBB17_13
.LBB17_16:
	s_or_b32 exec_lo, exec_lo, s31
	s_delay_alu instid0(SALU_CYCLE_1)
	s_mov_b32 s48, exec_lo
	s_or_not1_b32 s35, s34, exec_lo
.LBB17_17:
	s_or_b32 exec_lo, exec_lo, s1
	s_mov_b32 s31, 0
	s_mov_b32 s34, 0
	;; [unrolled: 1-line block ×3, first 2 shown]
	s_and_saveexec_b32 s49, s35
	s_cbranch_execz .LBB17_61
; %bb.18:
	s_mov_b32 s0, -1
	s_mov_b32 s1, 0
	s_mov_b32 s35, 0
	s_mov_b32 s50, exec_lo
	v_cmpx_eq_u32_e64 v11, v10
	s_cbranch_execz .LBB17_60
; %bb.19:
	s_mov_b32 s1, -1
	s_mov_b32 s0, 0
	s_mov_b32 s37, 0
	s_mov_b32 s51, exec_lo
	v_cmpx_eq_u32_e64 v19, v18
	s_cbranch_execz .LBB17_59
; %bb.20:
	v_sub_nc_u32_e32 v1, v3, v7
	s_delay_alu instid0(VALU_DEP_1) | instskip(SKIP_2) | instid1(SALU_CYCLE_1)
	v_cmp_le_i32_e32 vcc_lo, v10, v1
	v_cmp_ge_i32_e64 s0, s16, v1
	s_and_b32 s0, vcc_lo, s0
	s_and_saveexec_b32 s52, s0
	s_cbranch_execz .LBB17_58
; %bb.21:
	v_mov_b64_e32 v[22:23], 0
	s_and_not1_b32 vcc_lo, exec_lo, s17
	s_cbranch_vccnz .LBB17_28
; %bb.22:
	s_wait_loadcnt 0x0
	v_dual_mov_b32 v22, v15 :: v_dual_ashrrev_i32 v23, 31, v15
	s_ashr_i32 s31, s30, 31
	v_mov_b32_e32 v14, 0
	s_lshl_b64 s[0:1], s[30:31], 3
	s_mov_b64 s[34:35], 0xffffffff
	v_mul_u64_e32 v[24:25], s[18:19], v[22:23]
	v_mov_b64_e32 v[22:23], 0
	s_add_nc_u64 s[0:1], s[20:21], s[0:1]
	s_mov_b32 s31, s26
	s_add_nc_u64 s[36:37], s[0:1], 32
	s_mov_b32 s1, 0
	s_branch .LBB17_24
.LBB17_23:                              ;   in Loop: Header=BB17_24 Depth=1
	s_or_b32 exec_lo, exec_lo, s0
	s_delay_alu instid0(VALU_DEP_1)
	v_mul_u64_e32 v[28:29], s[38:39], v[26:27]
	s_load_b64 s[38:39], s[36:37], 0x40
	s_add_co_i32 s31, s31, -1
	s_wait_xcnt 0x0
	s_add_nc_u64 s[36:37], s[36:37], -8
	s_cmp_lg_u32 s31, 0
	s_delay_alu instid0(VALU_DEP_1) | instskip(SKIP_1) | instid1(VALU_DEP_1)
	v_sub_nc_u64_e32 v[24:25], v[24:25], v[28:29]
	s_wait_kmcnt 0x0
	v_mad_nc_u64_u32 v[22:23], v24, s38, v[22:23]
	s_delay_alu instid0(VALU_DEP_1) | instskip(NEXT) | instid1(VALU_DEP_1)
	v_mad_u32 v1, v25, s38, v23
	v_mad_u32 v23, v24, s39, v1
	v_mov_b64_e32 v[24:25], v[26:27]
	s_cbranch_scc0 .LBB17_28
.LBB17_24:                              ; =>This Inner Loop Header: Depth=1
	s_load_b64 s[38:39], s[36:37], 0x0
                                        ; implicit-def: $vgpr26_vgpr27
	s_mov_b32 s0, exec_lo
	s_wait_kmcnt 0x0
	s_delay_alu instid0(VALU_DEP_1) | instskip(NEXT) | instid1(VALU_DEP_1)
	v_or_b32_e32 v15, s39, v25
	v_cmpx_ne_u64_e32 0, v[14:15]
	s_xor_b32 s53, exec_lo, s0
	s_cbranch_execz .LBB17_26
; %bb.25:                               ;   in Loop: Header=BB17_24 Depth=1
	s_ashr_i32 s40, s39, 31
	v_dual_mov_b32 v31, v14 :: v_dual_ashrrev_i32 v26, 31, v25
	s_mov_b32 s41, s40
	v_mov_b32_e32 v39, v14
	s_add_nc_u64 s[42:43], s[38:39], s[40:41]
	s_delay_alu instid0(VALU_DEP_2) | instskip(SKIP_1) | instid1(SALU_CYCLE_1)
	v_mov_b32_e32 v27, v26
	s_xor_b64 s[42:43], s[42:43], s[40:41]
	s_cvt_f32_u32 s0, s42
	s_cvt_f32_u32 s41, s43
	s_sub_nc_u64 s[56:57], 0, s[42:43]
	v_add_nc_u64_e32 v[28:29], v[24:25], v[26:27]
	v_mov_b32_e32 v35, v14
	s_fmamk_f32 s0, s41, 0x4f800000, s0
	s_delay_alu instid0(SALU_CYCLE_3) | instskip(NEXT) | instid1(VALU_DEP_2)
	v_s_rcp_f32 s0, s0
	v_xor_b32_e32 v30, v28, v26
	s_delay_alu instid0(VALU_DEP_3) | instskip(NEXT) | instid1(TRANS32_DEP_1)
	v_xor_b32_e32 v34, v29, v26
	s_mul_f32 s0, s0, 0x5f7ffffc
	s_delay_alu instid0(SALU_CYCLE_3) | instskip(NEXT) | instid1(SALU_CYCLE_3)
	s_mul_f32 s41, s0, 0x2f800000
	s_trunc_f32 s41, s41
	s_delay_alu instid0(SALU_CYCLE_3) | instskip(SKIP_1) | instid1(SALU_CYCLE_2)
	s_fmamk_f32 s0, s41, 0xcf800000, s0
	s_cvt_u32_f32 s55, s41
	s_cvt_u32_f32 s54, s0
	s_delay_alu instid0(SALU_CYCLE_3) | instskip(NEXT) | instid1(SALU_CYCLE_1)
	s_mul_u64 s[58:59], s[56:57], s[54:55]
	s_mul_hi_u32 s61, s54, s59
	s_mul_i32 s60, s54, s59
	s_mul_hi_u32 s0, s54, s58
	s_mul_i32 s62, s55, s58
	s_add_nc_u64 s[60:61], s[0:1], s[60:61]
	s_mul_hi_u32 s41, s55, s58
	s_mul_hi_u32 s63, s55, s59
	s_add_co_u32 s0, s60, s62
	s_add_co_ci_u32 s0, s61, s41
	s_mul_i32 s58, s55, s59
	s_add_co_ci_u32 s59, s63, 0
	s_delay_alu instid0(SALU_CYCLE_1) | instskip(NEXT) | instid1(SALU_CYCLE_1)
	s_add_nc_u64 s[58:59], s[0:1], s[58:59]
	s_add_co_u32 s54, s54, s58
	s_cselect_b32 s0, -1, 0
	s_delay_alu instid0(SALU_CYCLE_1) | instskip(SKIP_1) | instid1(SALU_CYCLE_1)
	s_cmp_lg_u32 s0, 0
	s_add_co_ci_u32 s55, s55, s59
	s_mul_u64 s[56:57], s[56:57], s[54:55]
	s_delay_alu instid0(SALU_CYCLE_1)
	s_mul_hi_u32 s59, s54, s57
	s_mul_i32 s58, s54, s57
	s_mul_hi_u32 s0, s54, s56
	s_mul_i32 s60, s55, s56
	s_add_nc_u64 s[58:59], s[0:1], s[58:59]
	s_mul_hi_u32 s41, s55, s56
	s_mul_hi_u32 s61, s55, s57
	s_add_co_u32 s0, s58, s60
	s_add_co_ci_u32 s0, s59, s41
	s_mul_i32 s56, s55, s57
	s_add_co_ci_u32 s57, s61, 0
	s_delay_alu instid0(SALU_CYCLE_1) | instskip(NEXT) | instid1(SALU_CYCLE_1)
	s_add_nc_u64 s[56:57], s[0:1], s[56:57]
	s_add_co_u32 s54, s54, s56
	s_cselect_b32 s0, -1, 0
	v_mul_hi_u32 v38, v30, s54
	s_cmp_lg_u32 s0, 0
	s_add_co_ci_u32 s0, s55, s57
	s_and_b64 s[56:57], s[54:55], s[34:35]
	v_mul_u64_e32 v[32:33], s[0:1], v[30:31]
	v_mul_u64_e32 v[28:29], s[56:57], v[34:35]
	;; [unrolled: 1-line block ×3, first 2 shown]
	s_delay_alu instid0(VALU_DEP_3) | instskip(NEXT) | instid1(VALU_DEP_1)
	v_add_nc_u64_e32 v[32:33], v[38:39], v[32:33]
	v_add_co_u32 v1, vcc_lo, v32, v28
	s_delay_alu instid0(VALU_DEP_2) | instskip(NEXT) | instid1(VALU_DEP_4)
	v_add_co_ci_u32_e32 v38, vcc_lo, v33, v29, vcc_lo
	v_add_co_ci_u32_e32 v37, vcc_lo, 0, v37, vcc_lo
	s_delay_alu instid0(VALU_DEP_1) | instskip(NEXT) | instid1(VALU_DEP_1)
	v_add_nc_u64_e32 v[28:29], v[38:39], v[36:37]
	v_mul_u64_e32 v[32:33], s[42:43], v[28:29]
	s_delay_alu instid0(VALU_DEP_1) | instskip(NEXT) | instid1(VALU_DEP_2)
	v_sub_nc_u32_e32 v1, v34, v33
	v_sub_co_u32 v2, vcc_lo, v30, v32
	s_delay_alu instid0(VALU_DEP_1) | instskip(NEXT) | instid1(VALU_DEP_3)
	v_sub_co_ci_u32_e64 v11, null, v34, v33, vcc_lo
	v_subrev_co_ci_u32_e64 v1, null, s43, v1, vcc_lo
	s_delay_alu instid0(VALU_DEP_3) | instskip(SKIP_1) | instid1(VALU_DEP_3)
	v_sub_co_u32 v6, s0, v2, s42
	v_add_nc_u64_e32 v[30:31], 2, v[28:29]
	v_subrev_co_ci_u32_e64 v1, null, 0, v1, s0
	s_delay_alu instid0(VALU_DEP_3) | instskip(SKIP_2) | instid1(VALU_DEP_4)
	v_cmp_le_u32_e32 vcc_lo, s42, v6
	v_add_nc_u64_e32 v[32:33], 1, v[28:29]
	v_cndmask_b32_e64 v6, 0, -1, vcc_lo
	v_cmp_le_u32_e32 vcc_lo, s43, v1
	v_cndmask_b32_e64 v15, 0, -1, vcc_lo
	v_cmp_le_u32_e32 vcc_lo, s42, v2
	;; [unrolled: 2-line block ×3, first 2 shown]
	v_cndmask_b32_e64 v19, 0, -1, vcc_lo
	v_cmp_eq_u32_e32 vcc_lo, s43, v1
	v_cndmask_b32_e32 v1, v15, v6, vcc_lo
	v_cmp_eq_u32_e32 vcc_lo, s43, v11
	s_delay_alu instid0(VALU_DEP_4) | instskip(NEXT) | instid1(VALU_DEP_3)
	v_cndmask_b32_e32 v2, v19, v2, vcc_lo
	v_cmp_ne_u32_e32 vcc_lo, 0, v1
	s_delay_alu instid0(VALU_DEP_2) | instskip(SKIP_1) | instid1(VALU_DEP_1)
	v_cmp_ne_u32_e64 s0, 0, v2
	v_dual_cndmask_b32 v1, v33, v31 :: v_dual_cndmask_b32 v2, v32, v30
	v_dual_cndmask_b32 v1, v29, v1, s0 :: v_dual_bitop2_b32 v26, s40, v26 bitop3:0x14
	s_delay_alu instid0(VALU_DEP_1) | instskip(NEXT) | instid1(VALU_DEP_2)
	v_dual_cndmask_b32 v2, v28, v2, s0 :: v_dual_mov_b32 v27, v26
	v_xor_b32_e32 v29, v1, v26
	s_delay_alu instid0(VALU_DEP_2) | instskip(NEXT) | instid1(VALU_DEP_1)
	v_xor_b32_e32 v28, v2, v26
	v_sub_nc_u64_e32 v[26:27], v[28:29], v[26:27]
.LBB17_26:                              ;   in Loop: Header=BB17_24 Depth=1
	s_and_not1_saveexec_b32 s0, s53
	s_cbranch_execz .LBB17_23
; %bb.27:                               ;   in Loop: Header=BB17_24 Depth=1
	v_cvt_f32_u32_e32 v1, s38
	s_sub_co_i32 s40, 0, s38
	v_mov_b32_e32 v27, v14
	s_delay_alu instid0(VALU_DEP_2) | instskip(SKIP_1) | instid1(TRANS32_DEP_1)
	v_rcp_iflag_f32_e32 v1, v1
	v_nop
	v_mul_f32_e32 v1, 0x4f7ffffe, v1
	s_delay_alu instid0(VALU_DEP_1) | instskip(NEXT) | instid1(VALU_DEP_1)
	v_cvt_u32_f32_e32 v1, v1
	v_mul_lo_u32 v2, s40, v1
	s_delay_alu instid0(VALU_DEP_1) | instskip(NEXT) | instid1(VALU_DEP_1)
	v_mul_hi_u32 v2, v1, v2
	v_add_nc_u32_e32 v1, v1, v2
	s_delay_alu instid0(VALU_DEP_1) | instskip(NEXT) | instid1(VALU_DEP_1)
	v_mul_hi_u32 v1, v24, v1
	v_mul_lo_u32 v2, v1, s38
	s_delay_alu instid0(VALU_DEP_1) | instskip(NEXT) | instid1(VALU_DEP_1)
	v_dual_add_nc_u32 v6, 1, v1 :: v_dual_sub_nc_u32 v2, v24, v2
	v_subrev_nc_u32_e32 v11, s38, v2
	v_cmp_le_u32_e32 vcc_lo, s38, v2
	s_delay_alu instid0(VALU_DEP_2) | instskip(NEXT) | instid1(VALU_DEP_1)
	v_dual_cndmask_b32 v2, v2, v11 :: v_dual_cndmask_b32 v1, v1, v6
	v_cmp_le_u32_e32 vcc_lo, s38, v2
	s_delay_alu instid0(VALU_DEP_2) | instskip(NEXT) | instid1(VALU_DEP_1)
	v_add_nc_u32_e32 v6, 1, v1
	v_cndmask_b32_e32 v26, v1, v6, vcc_lo
	s_branch .LBB17_23
.LBB17_28:
	s_mov_b32 s36, -1
	s_mov_b32 s0, 0
	s_mov_b32 s53, 0
	s_mov_b32 s1, exec_lo
	v_cmpx_gt_i32_e64 v3, v7
	s_cbranch_execz .LBB17_34
; %bb.29:
	s_wait_loadcnt 0x0
	s_delay_alu instid0(VALU_DEP_2) | instskip(SKIP_3) | instid1(VALU_DEP_1)
	v_lshlrev_b64_e32 v[14:15], 2, v[22:23]
	v_dual_mov_b32 v22, v7 :: v_dual_ashrrev_i32 v23, 31, v7
	s_mov_b32 s31, 0
	s_xor_b32 s35, s27, -1
                                        ; implicit-def: $sgpr34
                                        ; implicit-def: $sgpr37
                                        ; implicit-def: $sgpr36
	v_lshl_add_u64 v[6:7], v[22:23], 2, v[14:15]
	v_add_nc_u64_e32 v[14:15], s[28:29], v[14:15]
	v_dual_mov_b32 v22, v3 :: v_dual_ashrrev_i32 v23, 31, v3
	s_delay_alu instid0(VALU_DEP_3) | instskip(NEXT) | instid1(VALU_DEP_1)
	v_add_nc_u64_e32 v[6:7], s[28:29], v[6:7]
	v_add_nc_u64_e32 v[2:3], 4, v[6:7]
	s_delay_alu instid0(VALU_DEP_3)
	v_lshl_add_u64 v[6:7], v[22:23], 2, v[14:15]
	s_branch .LBB17_31
.LBB17_30:                              ;   in Loop: Header=BB17_31 Depth=1
	s_or_b32 exec_lo, exec_lo, s38
	s_delay_alu instid0(SALU_CYCLE_1) | instskip(NEXT) | instid1(SALU_CYCLE_1)
	s_and_b32 s38, exec_lo, s37
	s_or_b32 s31, s38, s31
	s_and_not1_b32 s34, s34, exec_lo
	s_and_b32 s38, s36, exec_lo
	s_delay_alu instid0(SALU_CYCLE_1)
	s_or_b32 s34, s34, s38
	s_and_not1_b32 exec_lo, exec_lo, s31
	s_cbranch_execz .LBB17_33
.LBB17_31:                              ; =>This Inner Loop Header: Depth=1
	s_or_b32 s36, s36, exec_lo
	s_or_b32 s37, s37, exec_lo
	s_mov_b32 s38, exec_lo
	s_delay_alu instid0(VALU_DEP_2)
	v_cmpx_lt_u64_e64 v[2:3], v[6:7]
	s_cbranch_execz .LBB17_30
; %bb.32:                               ;   in Loop: Header=BB17_31 Depth=1
	global_load_b64 v[14:15], v[2:3], off offset:-4
	s_and_not1_b32 s37, s37, exec_lo
	s_wait_xcnt 0x0
	v_add_nc_u64_e32 v[2:3], 4, v[2:3]
	s_and_not1_b32 s36, s36, exec_lo
	s_wait_loadcnt 0x0
	v_cmp_ge_i32_e32 vcc_lo, v14, v15
	s_or_b32 s39, s35, vcc_lo
	s_delay_alu instid0(SALU_CYCLE_1) | instskip(NEXT) | instid1(SALU_CYCLE_1)
	s_and_b32 s39, s39, exec_lo
	s_or_b32 s37, s37, s39
	s_branch .LBB17_30
.LBB17_33:
	s_or_b32 exec_lo, exec_lo, s31
	s_delay_alu instid0(SALU_CYCLE_1)
	s_mov_b32 s53, exec_lo
	s_or_not1_b32 s36, s34, exec_lo
.LBB17_34:
	s_or_b32 exec_lo, exec_lo, s1
	s_mov_b32 s31, 0
	s_mov_b32 s34, 0
	;; [unrolled: 1-line block ×3, first 2 shown]
	s_and_saveexec_b32 s54, s36
	s_cbranch_execz .LBB17_57
; %bb.35:
	s_mov_b32 s0, -1
	s_mov_b32 s1, 0
	s_mov_b32 s36, 0
	s_mov_b32 s55, exec_lo
	v_cmpx_eq_u32_e64 v12, v10
	s_cbranch_execz .LBB17_56
; %bb.36:
	s_mov_b32 s1, -1
	s_mov_b32 s0, 0
	s_mov_b32 s56, exec_lo
	v_cmpx_eq_u32_e64 v20, v18
	s_cbranch_execz .LBB17_55
; %bb.37:
	v_sub_nc_u32_e32 v1, v4, v8
	s_delay_alu instid0(VALU_DEP_1) | instskip(SKIP_2) | instid1(SALU_CYCLE_1)
	v_cmp_le_i32_e32 vcc_lo, v10, v1
	v_cmp_ge_i32_e64 s0, s16, v1
	s_and_b32 s0, vcc_lo, s0
	s_and_saveexec_b32 s57, s0
	s_cbranch_execz .LBB17_54
; %bb.38:
	v_mov_b64_e32 v[2:3], 0
	s_and_not1_b32 vcc_lo, exec_lo, s17
	s_cbranch_vccnz .LBB17_45
; %bb.39:
	s_wait_loadcnt 0x0
	v_dual_mov_b32 v2, v16 :: v_dual_ashrrev_i32 v3, 31, v16
	s_ashr_i32 s31, s30, 31
	v_mov_b32_e32 v6, 0
	s_lshl_b64 s[0:1], s[30:31], 3
	s_mov_b64 s[34:35], 0xffffffff
	v_mul_u64_e32 v[14:15], s[18:19], v[2:3]
	v_mov_b64_e32 v[2:3], 0
	s_add_nc_u64 s[0:1], s[20:21], s[0:1]
	s_mov_b32 s31, s26
	s_add_nc_u64 s[36:37], s[0:1], 32
	s_mov_b32 s1, 0
	s_branch .LBB17_41
.LBB17_40:                              ;   in Loop: Header=BB17_41 Depth=1
	s_or_b32 exec_lo, exec_lo, s0
	s_delay_alu instid0(VALU_DEP_1)
	v_mul_u64_e32 v[24:25], s[38:39], v[22:23]
	s_load_b64 s[38:39], s[36:37], 0x40
	s_add_co_i32 s31, s31, -1
	s_wait_xcnt 0x0
	s_add_nc_u64 s[36:37], s[36:37], -8
	s_cmp_lg_u32 s31, 0
	s_delay_alu instid0(VALU_DEP_1) | instskip(SKIP_1) | instid1(VALU_DEP_1)
	v_sub_nc_u64_e32 v[14:15], v[14:15], v[24:25]
	s_wait_kmcnt 0x0
	v_mad_nc_u64_u32 v[2:3], v14, s38, v[2:3]
	s_delay_alu instid0(VALU_DEP_1) | instskip(NEXT) | instid1(VALU_DEP_1)
	v_mad_u32 v1, v15, s38, v3
	v_mad_u32 v3, v14, s39, v1
	v_mov_b64_e32 v[14:15], v[22:23]
	s_cbranch_scc0 .LBB17_45
.LBB17_41:                              ; =>This Inner Loop Header: Depth=1
	s_load_b64 s[38:39], s[36:37], 0x0
                                        ; implicit-def: $vgpr22_vgpr23
	s_mov_b32 s0, exec_lo
	s_wait_kmcnt 0x0
	s_delay_alu instid0(VALU_DEP_1) | instskip(NEXT) | instid1(VALU_DEP_1)
	v_or_b32_e32 v7, s39, v15
	v_cmpx_ne_u64_e32 0, v[6:7]
	s_xor_b32 s58, exec_lo, s0
	s_cbranch_execz .LBB17_43
; %bb.42:                               ;   in Loop: Header=BB17_41 Depth=1
	s_ashr_i32 s40, s39, 31
	v_dual_mov_b32 v27, v6 :: v_dual_ashrrev_i32 v22, 31, v15
	s_mov_b32 s41, s40
	v_mov_b32_e32 v35, v6
	s_add_nc_u64 s[42:43], s[38:39], s[40:41]
	s_delay_alu instid0(VALU_DEP_2) | instskip(SKIP_1) | instid1(SALU_CYCLE_1)
	v_mov_b32_e32 v23, v22
	s_xor_b64 s[42:43], s[42:43], s[40:41]
	s_cvt_f32_u32 s0, s42
	s_cvt_f32_u32 s41, s43
	s_sub_nc_u64 s[62:63], 0, s[42:43]
	v_add_nc_u64_e32 v[24:25], v[14:15], v[22:23]
	v_mov_b32_e32 v31, v6
	s_fmamk_f32 s0, s41, 0x4f800000, s0
	s_delay_alu instid0(SALU_CYCLE_3) | instskip(NEXT) | instid1(VALU_DEP_2)
	v_s_rcp_f32 s0, s0
	v_xor_b32_e32 v26, v24, v22
	s_delay_alu instid0(VALU_DEP_3) | instskip(NEXT) | instid1(TRANS32_DEP_1)
	v_xor_b32_e32 v30, v25, v22
	s_mul_f32 s0, s0, 0x5f7ffffc
	s_delay_alu instid0(SALU_CYCLE_3) | instskip(NEXT) | instid1(SALU_CYCLE_3)
	s_mul_f32 s41, s0, 0x2f800000
	s_trunc_f32 s41, s41
	s_delay_alu instid0(SALU_CYCLE_3) | instskip(SKIP_1) | instid1(SALU_CYCLE_2)
	s_fmamk_f32 s0, s41, 0xcf800000, s0
	s_cvt_u32_f32 s61, s41
	s_cvt_u32_f32 s60, s0
	s_delay_alu instid0(SALU_CYCLE_3) | instskip(NEXT) | instid1(SALU_CYCLE_1)
	s_mul_u64 s[64:65], s[62:63], s[60:61]
	s_mul_hi_u32 s67, s60, s65
	s_mul_i32 s66, s60, s65
	s_mul_hi_u32 s0, s60, s64
	s_mul_i32 s59, s61, s64
	s_add_nc_u64 s[66:67], s[0:1], s[66:67]
	s_mul_hi_u32 s41, s61, s64
	s_mul_hi_u32 s68, s61, s65
	s_add_co_u32 s0, s66, s59
	s_add_co_ci_u32 s0, s67, s41
	s_mul_i32 s64, s61, s65
	s_add_co_ci_u32 s65, s68, 0
	s_delay_alu instid0(SALU_CYCLE_1) | instskip(NEXT) | instid1(SALU_CYCLE_1)
	s_add_nc_u64 s[64:65], s[0:1], s[64:65]
	s_add_co_u32 s60, s60, s64
	s_cselect_b32 s0, -1, 0
	s_delay_alu instid0(SALU_CYCLE_1) | instskip(SKIP_1) | instid1(SALU_CYCLE_1)
	s_cmp_lg_u32 s0, 0
	s_add_co_ci_u32 s61, s61, s65
	s_mul_u64 s[62:63], s[62:63], s[60:61]
	s_delay_alu instid0(SALU_CYCLE_1)
	s_mul_hi_u32 s65, s60, s63
	s_mul_i32 s64, s60, s63
	s_mul_hi_u32 s0, s60, s62
	s_mul_i32 s59, s61, s62
	s_add_nc_u64 s[64:65], s[0:1], s[64:65]
	s_mul_hi_u32 s41, s61, s62
	s_mul_hi_u32 s66, s61, s63
	s_add_co_u32 s0, s64, s59
	s_add_co_ci_u32 s0, s65, s41
	s_mul_i32 s62, s61, s63
	s_add_co_ci_u32 s63, s66, 0
	s_delay_alu instid0(SALU_CYCLE_1) | instskip(NEXT) | instid1(SALU_CYCLE_1)
	s_add_nc_u64 s[62:63], s[0:1], s[62:63]
	s_add_co_u32 s60, s60, s62
	s_cselect_b32 s0, -1, 0
	v_mul_hi_u32 v34, v26, s60
	s_cmp_lg_u32 s0, 0
	s_add_co_ci_u32 s0, s61, s63
	s_and_b64 s[62:63], s[60:61], s[34:35]
	v_mul_u64_e32 v[28:29], s[0:1], v[26:27]
	v_mul_u64_e32 v[24:25], s[62:63], v[30:31]
	;; [unrolled: 1-line block ×3, first 2 shown]
	s_delay_alu instid0(VALU_DEP_3) | instskip(NEXT) | instid1(VALU_DEP_1)
	v_add_nc_u64_e32 v[28:29], v[34:35], v[28:29]
	v_add_co_u32 v1, vcc_lo, v28, v24
	s_delay_alu instid0(VALU_DEP_2) | instskip(NEXT) | instid1(VALU_DEP_4)
	v_add_co_ci_u32_e32 v34, vcc_lo, v29, v25, vcc_lo
	v_add_co_ci_u32_e32 v33, vcc_lo, 0, v33, vcc_lo
	s_delay_alu instid0(VALU_DEP_1) | instskip(NEXT) | instid1(VALU_DEP_1)
	v_add_nc_u64_e32 v[24:25], v[34:35], v[32:33]
	v_mul_u64_e32 v[28:29], s[42:43], v[24:25]
	s_delay_alu instid0(VALU_DEP_1) | instskip(NEXT) | instid1(VALU_DEP_2)
	v_sub_nc_u32_e32 v1, v30, v29
	v_sub_co_u32 v7, vcc_lo, v26, v28
	s_delay_alu instid0(VALU_DEP_1) | instskip(NEXT) | instid1(VALU_DEP_3)
	v_sub_co_ci_u32_e64 v12, null, v30, v29, vcc_lo
	v_subrev_co_ci_u32_e64 v1, null, s43, v1, vcc_lo
	s_delay_alu instid0(VALU_DEP_3) | instskip(SKIP_1) | instid1(VALU_DEP_3)
	v_sub_co_u32 v11, s0, v7, s42
	v_add_nc_u64_e32 v[26:27], 2, v[24:25]
	v_subrev_co_ci_u32_e64 v1, null, 0, v1, s0
	s_delay_alu instid0(VALU_DEP_3) | instskip(SKIP_2) | instid1(VALU_DEP_4)
	v_cmp_le_u32_e32 vcc_lo, s42, v11
	v_add_nc_u64_e32 v[28:29], 1, v[24:25]
	v_cndmask_b32_e64 v11, 0, -1, vcc_lo
	v_cmp_le_u32_e32 vcc_lo, s43, v1
	v_cndmask_b32_e64 v16, 0, -1, vcc_lo
	v_cmp_le_u32_e32 vcc_lo, s42, v7
	;; [unrolled: 2-line block ×3, first 2 shown]
	v_cndmask_b32_e64 v19, 0, -1, vcc_lo
	v_cmp_eq_u32_e32 vcc_lo, s43, v1
	v_cndmask_b32_e32 v1, v16, v11, vcc_lo
	v_cmp_eq_u32_e32 vcc_lo, s43, v12
	s_delay_alu instid0(VALU_DEP_4) | instskip(NEXT) | instid1(VALU_DEP_3)
	v_cndmask_b32_e32 v7, v19, v7, vcc_lo
	v_cmp_ne_u32_e32 vcc_lo, 0, v1
	s_delay_alu instid0(VALU_DEP_2) | instskip(SKIP_1) | instid1(VALU_DEP_1)
	v_cmp_ne_u32_e64 s0, 0, v7
	v_dual_cndmask_b32 v1, v29, v27, vcc_lo :: v_dual_cndmask_b32 v7, v28, v26, vcc_lo
	v_dual_cndmask_b32 v1, v25, v1, s0 :: v_dual_bitop2_b32 v22, s40, v22 bitop3:0x14
	s_delay_alu instid0(VALU_DEP_1) | instskip(NEXT) | instid1(VALU_DEP_2)
	v_dual_cndmask_b32 v7, v24, v7, s0 :: v_dual_mov_b32 v23, v22
	v_xor_b32_e32 v25, v1, v22
	s_delay_alu instid0(VALU_DEP_2) | instskip(NEXT) | instid1(VALU_DEP_1)
	v_xor_b32_e32 v24, v7, v22
	v_sub_nc_u64_e32 v[22:23], v[24:25], v[22:23]
.LBB17_43:                              ;   in Loop: Header=BB17_41 Depth=1
	s_and_not1_saveexec_b32 s0, s58
	s_cbranch_execz .LBB17_40
; %bb.44:                               ;   in Loop: Header=BB17_41 Depth=1
	v_cvt_f32_u32_e32 v1, s38
	s_sub_co_i32 s40, 0, s38
	v_mov_b32_e32 v23, v6
	s_delay_alu instid0(VALU_DEP_2) | instskip(SKIP_1) | instid1(TRANS32_DEP_1)
	v_rcp_iflag_f32_e32 v1, v1
	v_nop
	v_mul_f32_e32 v1, 0x4f7ffffe, v1
	s_delay_alu instid0(VALU_DEP_1) | instskip(NEXT) | instid1(VALU_DEP_1)
	v_cvt_u32_f32_e32 v1, v1
	v_mul_lo_u32 v7, s40, v1
	s_delay_alu instid0(VALU_DEP_1) | instskip(NEXT) | instid1(VALU_DEP_1)
	v_mul_hi_u32 v7, v1, v7
	v_add_nc_u32_e32 v1, v1, v7
	s_delay_alu instid0(VALU_DEP_1) | instskip(NEXT) | instid1(VALU_DEP_1)
	v_mul_hi_u32 v1, v14, v1
	v_mul_lo_u32 v7, v1, s38
	s_delay_alu instid0(VALU_DEP_1) | instskip(NEXT) | instid1(VALU_DEP_1)
	v_sub_nc_u32_e32 v7, v14, v7
	v_subrev_nc_u32_e32 v12, s38, v7
	v_cmp_le_u32_e32 vcc_lo, s38, v7
	s_delay_alu instid0(VALU_DEP_2) | instskip(NEXT) | instid1(VALU_DEP_1)
	v_dual_add_nc_u32 v11, 1, v1 :: v_dual_cndmask_b32 v7, v7, v12, vcc_lo
	v_cndmask_b32_e32 v1, v1, v11, vcc_lo
	s_delay_alu instid0(VALU_DEP_2) | instskip(NEXT) | instid1(VALU_DEP_2)
	v_cmp_le_u32_e32 vcc_lo, s38, v7
	v_add_nc_u32_e32 v11, 1, v1
	s_delay_alu instid0(VALU_DEP_1)
	v_cndmask_b32_e32 v22, v1, v11, vcc_lo
	s_branch .LBB17_40
.LBB17_45:
	s_mov_b32 s35, -1
	s_mov_b32 s0, 0
	s_mov_b32 s31, 0
	s_mov_b32 s1, exec_lo
	v_cmpx_gt_i32_e64 v4, v8
	s_cbranch_execz .LBB17_51
; %bb.46:
	s_delay_alu instid0(VALU_DEP_2) | instskip(SKIP_3) | instid1(VALU_DEP_2)
	v_lshlrev_b64_e32 v[2:3], 2, v[2:3]
	v_dual_mov_b32 v6, v8 :: v_dual_ashrrev_i32 v7, 31, v8
	v_dual_mov_b32 v22, v4 :: v_dual_ashrrev_i32 v23, 31, v4
	s_xor_b32 s35, s27, -1
                                        ; implicit-def: $sgpr34
                                        ; implicit-def: $sgpr37
                                        ; implicit-def: $sgpr36
	v_lshl_add_u64 v[6:7], v[6:7], 2, v[2:3]
	s_wait_loadcnt 0x0
	v_add_nc_u64_e32 v[14:15], s[28:29], v[2:3]
	s_delay_alu instid0(VALU_DEP_2) | instskip(NEXT) | instid1(VALU_DEP_1)
	v_add_nc_u64_e32 v[6:7], s[28:29], v[6:7]
	v_add_nc_u64_e32 v[2:3], 4, v[6:7]
	s_delay_alu instid0(VALU_DEP_3)
	v_lshl_add_u64 v[6:7], v[22:23], 2, v[14:15]
	s_branch .LBB17_48
.LBB17_47:                              ;   in Loop: Header=BB17_48 Depth=1
	s_or_b32 exec_lo, exec_lo, s38
	s_delay_alu instid0(SALU_CYCLE_1) | instskip(NEXT) | instid1(SALU_CYCLE_1)
	s_and_b32 s38, exec_lo, s37
	s_or_b32 s31, s38, s31
	s_and_not1_b32 s34, s34, exec_lo
	s_and_b32 s38, s36, exec_lo
	s_delay_alu instid0(SALU_CYCLE_1)
	s_or_b32 s34, s34, s38
	s_and_not1_b32 exec_lo, exec_lo, s31
	s_cbranch_execz .LBB17_50
.LBB17_48:                              ; =>This Inner Loop Header: Depth=1
	s_or_b32 s36, s36, exec_lo
	s_or_b32 s37, s37, exec_lo
	s_mov_b32 s38, exec_lo
	s_delay_alu instid0(VALU_DEP_2)
	v_cmpx_lt_u64_e64 v[2:3], v[6:7]
	s_cbranch_execz .LBB17_47
; %bb.49:                               ;   in Loop: Header=BB17_48 Depth=1
	global_load_b64 v[14:15], v[2:3], off offset:-4
	s_and_not1_b32 s37, s37, exec_lo
	s_wait_xcnt 0x0
	v_add_nc_u64_e32 v[2:3], 4, v[2:3]
	s_and_not1_b32 s36, s36, exec_lo
	s_wait_loadcnt 0x0
	v_cmp_ge_i32_e32 vcc_lo, v14, v15
	s_or_b32 s39, s35, vcc_lo
	s_delay_alu instid0(SALU_CYCLE_1) | instskip(NEXT) | instid1(SALU_CYCLE_1)
	s_and_b32 s39, s39, exec_lo
	s_or_b32 s37, s37, s39
	s_branch .LBB17_47
.LBB17_50:
	s_or_b32 exec_lo, exec_lo, s31
	s_delay_alu instid0(SALU_CYCLE_1)
	s_mov_b32 s31, exec_lo
	s_or_not1_b32 s35, s34, exec_lo
.LBB17_51:
	s_or_b32 exec_lo, exec_lo, s1
	s_mov_b32 s34, 0
	s_and_saveexec_b32 s1, s35
	s_delay_alu instid0(SALU_CYCLE_1)
	s_xor_b32 s1, exec_lo, s1
; %bb.52:
	v_cmp_ne_u32_e32 vcc_lo, v13, v10
	s_mov_b32 s34, exec_lo
	s_and_not1_b32 s31, s31, exec_lo
	s_and_b32 s0, vcc_lo, exec_lo
; %bb.53:
	s_or_b32 exec_lo, exec_lo, s1
	s_delay_alu instid0(SALU_CYCLE_1)
	s_and_b32 s35, s31, exec_lo
	s_xor_b32 s1, exec_lo, -1
	s_and_b32 s31, s34, exec_lo
	s_and_b32 s34, s0, exec_lo
.LBB17_54:
	s_or_b32 exec_lo, exec_lo, s57
	s_delay_alu instid0(SALU_CYCLE_1)
	s_and_b32 s36, s35, exec_lo
	s_and_b32 s35, s1, exec_lo
	s_xor_b32 s1, exec_lo, -1
	s_and_b32 s31, s31, exec_lo
	s_and_b32 s0, s34, exec_lo
.LBB17_55:
	s_or_b32 exec_lo, exec_lo, s56
	s_delay_alu instid0(SALU_CYCLE_1)
	s_and_b32 s36, s36, exec_lo
	s_and_b32 s35, s35, exec_lo
	;; [unrolled: 1-line block ×4, first 2 shown]
	s_or_not1_b32 s0, s0, exec_lo
.LBB17_56:
	s_or_b32 exec_lo, exec_lo, s55
	s_delay_alu instid0(SALU_CYCLE_1)
	s_and_not1_b32 s31, s53, exec_lo
	s_and_b32 s36, s36, exec_lo
	s_and_b32 s35, s35, exec_lo
	s_or_b32 s53, s31, s36
	s_and_b32 s34, s34, exec_lo
	s_and_b32 s31, s1, exec_lo
	;; [unrolled: 1-line block ×3, first 2 shown]
.LBB17_57:
	s_or_b32 exec_lo, exec_lo, s54
	s_delay_alu instid0(SALU_CYCLE_1)
	s_and_b32 s36, s53, exec_lo
	s_or_not1_b32 s1, s35, exec_lo
	s_and_b32 s35, s34, exec_lo
	s_and_b32 s34, s31, exec_lo
	;; [unrolled: 1-line block ×3, first 2 shown]
.LBB17_58:
	s_or_b32 exec_lo, exec_lo, s52
	s_delay_alu instid0(SALU_CYCLE_1)
	s_and_b32 s36, s36, exec_lo
	s_and_b32 s37, s1, exec_lo
	s_or_not1_b32 s1, s35, exec_lo
	s_and_b32 s34, s34, exec_lo
	s_and_b32 s0, s31, exec_lo
.LBB17_59:
	s_or_b32 exec_lo, exec_lo, s51
	s_delay_alu instid0(SALU_CYCLE_1)
	s_and_b32 s36, s36, exec_lo
	s_and_b32 s35, s37, exec_lo
	;; [unrolled: 1-line block ×4, first 2 shown]
	s_or_not1_b32 s0, s0, exec_lo
.LBB17_60:
	s_or_b32 exec_lo, exec_lo, s50
	s_delay_alu instid0(SALU_CYCLE_1)
	s_and_not1_b32 s34, s48, exec_lo
	s_and_b32 s36, s36, exec_lo
	s_and_b32 s0, s0, exec_lo
	s_or_b32 s48, s34, s36
	s_and_b32 s36, s35, exec_lo
	s_and_b32 s34, s31, exec_lo
	;; [unrolled: 1-line block ×3, first 2 shown]
.LBB17_61:
	s_or_b32 exec_lo, exec_lo, s49
	s_delay_alu instid0(SALU_CYCLE_1)
	s_and_b32 s35, s48, exec_lo
	s_or_not1_b32 s1, s36, exec_lo
	s_and_b32 s36, s34, exec_lo
	s_and_b32 s31, s31, exec_lo
	;; [unrolled: 1-line block ×3, first 2 shown]
.LBB17_62:
	s_or_b32 exec_lo, exec_lo, s47
	s_delay_alu instid0(SALU_CYCLE_1)
	s_and_b32 s35, s35, exec_lo
	s_and_b32 s1, s1, exec_lo
	s_or_not1_b32 s0, s36, exec_lo
	s_and_b32 s31, s31, exec_lo
	s_and_b32 s34, s34, exec_lo
.LBB17_63:
	s_or_b32 exec_lo, exec_lo, s46
	s_delay_alu instid0(SALU_CYCLE_1)
	s_and_b32 s38, s35, exec_lo
	s_and_b32 s1, s1, exec_lo
	;; [unrolled: 1-line block ×4, first 2 shown]
	s_or_not1_b32 s34, s34, exec_lo
.LBB17_64:
	s_or_b32 exec_lo, exec_lo, s45
	s_and_saveexec_b32 s35, s34
	s_cbranch_execnz .LBB17_208
.LBB17_65:
	s_or_b32 exec_lo, exec_lo, s35
	s_mov_b32 s34, 0
	s_and_saveexec_b32 s35, s31
	s_delay_alu instid0(SALU_CYCLE_1)
	s_xor_b32 s31, exec_lo, s35
; %bb.66:
	v_cmp_ne_u32_e32 vcc_lo, v21, v18
	s_and_not1_b32 s0, s0, exec_lo
	s_mov_b32 s34, exec_lo
	s_and_b32 s35, vcc_lo, exec_lo
	s_delay_alu instid0(SALU_CYCLE_1)
	s_or_b32 s0, s0, s35
; %bb.67:
	s_or_b32 exec_lo, exec_lo, s31
	s_and_saveexec_b32 s31, s0
	s_cbranch_execnz .LBB17_209
.LBB17_68:
	s_or_b32 exec_lo, exec_lo, s31
	s_mov_b32 s31, 0
	s_and_saveexec_b32 s0, s34
	s_delay_alu instid0(SALU_CYCLE_1)
	s_xor_b32 s34, exec_lo, s0
	s_cbranch_execz .LBB17_95
; %bb.69:
	v_sub_nc_u32_e32 v1, v5, v9
	s_and_not1_b32 s1, s1, exec_lo
	s_mov_b32 s31, exec_lo
	s_delay_alu instid0(VALU_DEP_1) | instskip(SKIP_2) | instid1(SALU_CYCLE_1)
	v_cmp_gt_i32_e32 vcc_lo, v10, v1
	v_cmp_lt_i32_e64 s0, s16, v1
	s_or_b32 s0, vcc_lo, s0
	s_and_b32 s0, s0, exec_lo
	s_delay_alu instid0(SALU_CYCLE_1)
	s_or_b32 s1, s1, s0
	s_or_b32 exec_lo, exec_lo, s34
	s_and_saveexec_b32 s0, s1
	s_cbranch_execz .LBB17_96
.LBB17_70:
	s_or_b32 s3, s3, exec_lo
	s_and_not1_b32 s31, s31, exec_lo
	s_trap 2
	s_or_b32 exec_lo, exec_lo, s0
	s_mov_b32 s0, 0
	s_and_saveexec_b32 s39, s31
	s_cbranch_execnz .LBB17_97
.LBB17_71:
	s_or_b32 exec_lo, exec_lo, s39
	s_and_saveexec_b32 s1, s38
	s_cbranch_execnz .LBB17_125
.LBB17_72:
	s_or_b32 exec_lo, exec_lo, s1
	s_and_saveexec_b32 s1, s0
	s_delay_alu instid0(SALU_CYCLE_1)
	s_xor_b32 s0, exec_lo, s1
	s_cbranch_execz .LBB17_74
.LBB17_73:
	v_mov_b32_e32 v2, 0
	s_add_nc_u64 s[16:17], s[4:5], s[24:25]
	s_delay_alu instid0(VALU_DEP_1)
	v_dual_mov_b32 v3, v2 :: v_dual_mov_b32 v4, v2
	v_mov_b32_e32 v5, v2
	global_store_b128 v0, v[2:5], s[16:17] scale_offset
.LBB17_74:
	s_wait_xcnt 0x0
	s_or_b32 exec_lo, exec_lo, s0
	s_mov_b32 s0, 0
.LBB17_75:
	s_delay_alu instid0(SALU_CYCLE_1)
	s_and_b32 vcc_lo, exec_lo, s0
	s_cbranch_vccz .LBB17_104
; %bb.76:
	v_mov_b64_e32 v[6:7], 0
	v_cmp_gt_i32_e64 s0, s33, v0
	v_dual_mov_b32 v1, 0 :: v_dual_mov_b32 v3, 0
	s_wait_loadcnt 0x0
	v_or_b32_e32 v17, 0x100, v0
	v_dual_mov_b32 v2, 0 :: v_dual_mov_b32 v4, 0
	v_dual_mov_b32 v9, 0 :: v_dual_mov_b32 v11, 0
	;; [unrolled: 1-line block ×8, first 2 shown]
	v_mov_b32_e32 v24, 0
	s_and_saveexec_b32 s1, s0
	s_cbranch_execz .LBB17_84
; %bb.77:
	v_dual_mov_b32 v18, 0 :: v_dual_bitop2_b32 v1, s2, v0 bitop3:0x54
	v_mov_b64_e32 v[6:7], 0
	v_dual_mov_b32 v14, 0 :: v_dual_mov_b32 v16, 0
	s_clause 0x4
	global_load_b32 v21, v1, s[6:7] scale_offset
	global_load_b32 v23, v1, s[8:9] scale_offset
	;; [unrolled: 1-line block ×5, first 2 shown]
	v_dual_mov_b32 v19, 0 :: v_dual_mov_b32 v15, 0
	v_dual_mov_b32 v13, 0 :: v_dual_mov_b32 v8, 0
	;; [unrolled: 1-line block ×5, first 2 shown]
	s_wait_xcnt 0x0
	v_mov_b32_e32 v1, 0
	s_mov_b32 s16, exec_lo
	v_cmpx_gt_u32_e64 s33, v17
	s_cbranch_execz .LBB17_83
; %bb.78:
	v_dual_mov_b32 v13, 0 :: v_dual_add_nc_u32 v12, s2, v0
	v_or_b32_e32 v1, 0x200, v0
	v_mov_b64_e32 v[6:7], 0
	v_dual_mov_b32 v8, 0 :: v_dual_mov_b32 v10, 0
	s_clause 0x4
	global_load_b32 v15, v12, s[6:7] offset:1024 scale_offset
	global_load_b32 v19, v12, s[8:9] offset:1024 scale_offset
	;; [unrolled: 1-line block ×5, first 2 shown]
	v_cmp_gt_u32_e32 vcc_lo, s33, v1
	v_dual_mov_b32 v11, 0 :: v_dual_mov_b32 v9, 0
	v_dual_mov_b32 v4, 0 :: v_dual_mov_b32 v2, 0
	;; [unrolled: 1-line block ×3, first 2 shown]
	s_wait_xcnt 0x0
	s_and_saveexec_b32 s17, vcc_lo
	s_cbranch_execz .LBB17_82
; %bb.79:
	v_lshlrev_b64_e32 v[2:3], 2, v[12:13]
	v_or_b32_e32 v1, 0x300, v0
	v_mov_b64_e32 v[6:7], 0
	s_delay_alu instid0(VALU_DEP_2) | instskip(NEXT) | instid1(VALU_DEP_4)
	v_cmp_gt_u32_e32 vcc_lo, s33, v1
	v_add_nc_u64_e32 v[4:5], s[6:7], v[2:3]
	v_add_nc_u64_e32 v[26:27], s[8:9], v[2:3]
	;; [unrolled: 1-line block ×5, first 2 shown]
	v_dual_mov_b32 v2, 0 :: v_dual_mov_b32 v3, 0
	global_load_b32 v9, v[4:5], off offset:2048
	global_load_b32 v11, v[26:27], off offset:2048
	;; [unrolled: 1-line block ×5, first 2 shown]
	v_mov_b32_e32 v1, 0
	s_wait_xcnt 0x0
	s_and_saveexec_b32 s6, vcc_lo
	s_cbranch_execz .LBB17_81
; %bb.80:
	global_load_b32 v6, v[28:29], off offset:3072
	global_load_b32 v1, v[4:5], off offset:3072
	;; [unrolled: 1-line block ×5, first 2 shown]
	s_wait_loadcnt 0x4
	v_ashrrev_i32_e32 v7, 31, v6
.LBB17_81:
	s_wait_xcnt 0x0
	s_or_b32 exec_lo, exec_lo, s6
	s_wait_loadcnt 0x0
	v_dual_mov_b32 v4, v13 :: v_dual_mov_b32 v13, v12
.LBB17_82:
	s_or_b32 exec_lo, exec_lo, s17
.LBB17_83:
	s_delay_alu instid0(SALU_CYCLE_1)
	s_or_b32 exec_lo, exec_lo, s16
.LBB17_84:
	s_delay_alu instid0(SALU_CYCLE_1)
	s_or_b32 exec_lo, exec_lo, s1
	s_clause 0x3
	s_load_b128 s[8:11], s[20:21], 0x8
	s_load_b32 s28, s[20:21], 0x18
	s_load_b32 s36, s[20:21], 0x0
	s_load_b64 s[6:7], s[20:21], 0xa0
	s_cmp_lg_u64 s[22:23], 0
	s_get_pc_i64 s[12:13]
	s_add_nc_u64 s[12:13], s[12:13], .str.2@rel64+4
	s_get_pc_i64 s[14:15]
	s_add_nc_u64 s[14:15], s[14:15], .str.3@rel64+4
	s_cselect_b32 s37, -1, 0
	s_cmp_lg_u64 s[12:13], 0
	s_mov_b32 s1, -1
	s_cselect_b32 s34, -1, 0
	s_cmp_lg_u64 s[14:15], 0
	s_get_pc_i64 s[14:15]
	s_add_nc_u64 s[14:15], s[14:15], .str.4@rel64+4
	s_cselect_b32 s30, -1, 0
	s_mov_b32 s43, 0
	s_mov_b32 s41, 0
	;; [unrolled: 1-line block ×5, first 2 shown]
	s_wait_kmcnt 0x0
	v_cmp_gt_i64_e64 s9, s[10:11], 0
	s_add_co_i32 s12, s28, -1
	s_delay_alu instid0(SALU_CYCLE_1) | instskip(SKIP_1) | instid1(SALU_CYCLE_1)
	s_cmp_gt_i32 s12, -1
	s_cselect_b32 s13, -1, 0
	s_and_b32 s9, s9, s13
	s_cmp_lg_u64 s[14:15], 0
	s_cselect_b32 s29, -1, 0
	s_and_saveexec_b32 s31, s0
	s_cbranch_execz .LBB17_131
; %bb.85:
	s_wait_loadcnt 0x4
	v_cmp_eq_u32_e32 vcc_lo, s36, v21
	s_mov_b32 s13, -1
	s_mov_b32 s1, 0
	s_mov_b32 s14, 0
	s_mov_b32 s15, 0
	s_and_b32 s17, s37, vcc_lo
	s_mov_b32 s16, 0
	s_and_saveexec_b32 s35, s17
	s_cbranch_execz .LBB17_130
; %bb.86:
	s_wait_loadcnt 0x3
	v_cmp_eq_u32_e32 vcc_lo, s10, v23
	s_and_b32 s16, s34, vcc_lo
	s_delay_alu instid0(SALU_CYCLE_1)
	s_and_saveexec_b32 s38, s16
	s_cbranch_execz .LBB17_129
; %bb.87:
	s_wait_loadcnt 0x1
	v_sub_nc_u32_e32 v5, v20, v22
	s_delay_alu instid0(VALU_DEP_1)
	v_cmp_le_i32_e32 vcc_lo, v21, v5
	v_cmp_ge_i32_e64 s1, s8, v5
	s_and_b32 s14, vcc_lo, s1
	s_mov_b32 s1, 0
	s_and_b32 s15, s30, s14
	s_mov_b32 s14, 0
	s_and_saveexec_b32 s39, s15
	s_cbranch_execz .LBB17_128
; %bb.88:
	v_mov_b64_e32 v[26:27], 0
	s_and_not1_b32 vcc_lo, exec_lo, s9
	s_cbranch_vccnz .LBB17_118
; %bb.89:
	s_wait_loadcnt 0x0
	v_ashrrev_i32_e32 v25, 31, v24
	s_ashr_i32 s13, s12, 31
	v_mov_b64_e32 v[26:27], 0
	s_lshl_b64 s[16:17], s[12:13], 3
	s_mov_b64 s[14:15], 0xffffffff
	v_mul_u64_e32 v[28:29], s[10:11], v[24:25]
	v_mov_b32_e32 v24, 0
	s_add_nc_u64 s[16:17], s[20:21], s[16:17]
	s_mov_b32 s19, 0
	s_add_nc_u64 s[16:17], s[16:17], 32
	s_mov_b32 s13, s28
	s_branch .LBB17_91
.LBB17_90:                              ;   in Loop: Header=BB17_91 Depth=1
	s_or_b32 exec_lo, exec_lo, s1
	s_delay_alu instid0(VALU_DEP_1)
	v_mul_u64_e32 v[32:33], s[22:23], v[30:31]
	s_load_b64 s[22:23], s[16:17], 0x40
	s_add_co_i32 s13, s13, -1
	s_wait_xcnt 0x0
	s_add_nc_u64 s[16:17], s[16:17], -8
	s_cmp_eq_u32 s13, 0
	s_delay_alu instid0(VALU_DEP_1) | instskip(SKIP_1) | instid1(VALU_DEP_1)
	v_sub_nc_u64_e32 v[28:29], v[28:29], v[32:33]
	s_wait_kmcnt 0x0
	v_mad_nc_u64_u32 v[26:27], v28, s22, v[26:27]
	s_delay_alu instid0(VALU_DEP_1) | instskip(NEXT) | instid1(VALU_DEP_1)
	v_mad_u32 v5, v29, s22, v27
	v_mad_u32 v27, v28, s23, v5
	v_mov_b64_e32 v[28:29], v[30:31]
	s_cbranch_scc1 .LBB17_118
.LBB17_91:                              ; =>This Inner Loop Header: Depth=1
	s_load_b64 s[22:23], s[16:17], 0x0
                                        ; implicit-def: $vgpr30_vgpr31
	s_mov_b32 s1, exec_lo
	s_wait_kmcnt 0x0
	s_delay_alu instid0(VALU_DEP_1) | instskip(NEXT) | instid1(VALU_DEP_1)
	v_or_b32_e32 v25, s23, v29
	v_cmpx_ne_u64_e32 0, v[24:25]
	s_xor_b32 s40, exec_lo, s1
	s_cbranch_execz .LBB17_93
; %bb.92:                               ;   in Loop: Header=BB17_91 Depth=1
	s_ashr_i32 s24, s23, 31
	v_dual_mov_b32 v35, v24 :: v_dual_ashrrev_i32 v30, 31, v29
	s_mov_b32 s25, s24
	s_delay_alu instid0(SALU_CYCLE_1) | instskip(NEXT) | instid1(VALU_DEP_1)
	s_add_nc_u64 s[26:27], s[22:23], s[24:25]
	v_mov_b32_e32 v31, v30
	s_xor_b64 s[26:27], s[26:27], s[24:25]
	s_delay_alu instid0(SALU_CYCLE_1)
	s_cvt_f32_u32 s1, s26
	s_cvt_f32_u32 s18, s27
	s_sub_nc_u64 s[46:47], 0, s[26:27]
	v_add_nc_u64_e32 v[32:33], v[28:29], v[30:31]
	v_mov_b32_e32 v39, v24
	s_fmamk_f32 s1, s18, 0x4f800000, s1
	s_delay_alu instid0(SALU_CYCLE_3) | instskip(NEXT) | instid1(VALU_DEP_2)
	v_s_rcp_f32 s1, s1
	v_xor_b32_e32 v34, v32, v30
	s_delay_alu instid0(VALU_DEP_3) | instskip(NEXT) | instid1(TRANS32_DEP_1)
	v_dual_mov_b32 v43, v24 :: v_dual_bitop2_b32 v38, v33, v30 bitop3:0x14
	s_mul_f32 s1, s1, 0x5f7ffffc
	s_delay_alu instid0(SALU_CYCLE_3) | instskip(NEXT) | instid1(SALU_CYCLE_3)
	s_mul_f32 s18, s1, 0x2f800000
	s_trunc_f32 s18, s18
	s_delay_alu instid0(SALU_CYCLE_3) | instskip(SKIP_1) | instid1(SALU_CYCLE_2)
	s_fmamk_f32 s1, s18, 0xcf800000, s1
	s_cvt_u32_f32 s45, s18
	s_cvt_u32_f32 s44, s1
	s_delay_alu instid0(SALU_CYCLE_3) | instskip(NEXT) | instid1(SALU_CYCLE_1)
	s_mul_u64 s[48:49], s[46:47], s[44:45]
	s_mul_hi_u32 s51, s44, s49
	s_mul_i32 s50, s44, s49
	s_mul_hi_u32 s18, s44, s48
	s_mul_i32 s25, s45, s48
	s_add_nc_u64 s[50:51], s[18:19], s[50:51]
	s_mul_hi_u32 s1, s45, s48
	s_mul_hi_u32 s41, s45, s49
	s_add_co_u32 s18, s50, s25
	s_add_co_ci_u32 s18, s51, s1
	s_mul_i32 s48, s45, s49
	s_add_co_ci_u32 s49, s41, 0
	s_delay_alu instid0(SALU_CYCLE_1) | instskip(NEXT) | instid1(SALU_CYCLE_1)
	s_add_nc_u64 s[48:49], s[18:19], s[48:49]
	s_add_co_u32 s44, s44, s48
	s_cselect_b32 s1, -1, 0
	s_delay_alu instid0(SALU_CYCLE_1) | instskip(SKIP_1) | instid1(SALU_CYCLE_1)
	s_cmp_lg_u32 s1, 0
	s_add_co_ci_u32 s45, s45, s49
	s_mul_u64 s[46:47], s[46:47], s[44:45]
	s_delay_alu instid0(SALU_CYCLE_1)
	s_mul_hi_u32 s49, s44, s47
	s_mul_i32 s48, s44, s47
	s_mul_hi_u32 s18, s44, s46
	s_mul_i32 s25, s45, s46
	s_add_nc_u64 s[48:49], s[18:19], s[48:49]
	s_mul_hi_u32 s1, s45, s46
	s_mul_hi_u32 s41, s45, s47
	s_add_co_u32 s18, s48, s25
	s_add_co_ci_u32 s18, s49, s1
	s_mul_i32 s46, s45, s47
	s_add_co_ci_u32 s47, s41, 0
	s_delay_alu instid0(SALU_CYCLE_1) | instskip(NEXT) | instid1(SALU_CYCLE_1)
	s_add_nc_u64 s[46:47], s[18:19], s[46:47]
	s_add_co_u32 s42, s44, s46
	s_cselect_b32 s1, -1, 0
	v_mul_hi_u32 v42, v34, s42
	s_cmp_lg_u32 s1, 0
	s_add_co_ci_u32 s18, s45, s47
	s_and_b64 s[44:45], s[42:43], s[14:15]
	v_mul_u64_e32 v[36:37], s[18:19], v[34:35]
	v_mul_u64_e32 v[32:33], s[44:45], v[38:39]
	v_mul_u64_e32 v[40:41], s[18:19], v[38:39]
	s_delay_alu instid0(VALU_DEP_3) | instskip(NEXT) | instid1(VALU_DEP_1)
	v_add_nc_u64_e32 v[36:37], v[42:43], v[36:37]
	v_add_co_u32 v5, vcc_lo, v36, v32
	s_delay_alu instid0(VALU_DEP_2) | instskip(NEXT) | instid1(VALU_DEP_4)
	v_add_co_ci_u32_e32 v42, vcc_lo, v37, v33, vcc_lo
	v_add_co_ci_u32_e32 v41, vcc_lo, 0, v41, vcc_lo
	s_delay_alu instid0(VALU_DEP_1) | instskip(NEXT) | instid1(VALU_DEP_1)
	v_add_nc_u64_e32 v[32:33], v[42:43], v[40:41]
	v_mul_u64_e32 v[36:37], s[26:27], v[32:33]
	s_delay_alu instid0(VALU_DEP_1) | instskip(NEXT) | instid1(VALU_DEP_2)
	v_sub_nc_u32_e32 v5, v38, v37
	v_sub_co_u32 v12, vcc_lo, v34, v36
	s_delay_alu instid0(VALU_DEP_1) | instskip(NEXT) | instid1(VALU_DEP_3)
	v_sub_co_ci_u32_e64 v23, null, v38, v37, vcc_lo
	v_subrev_co_ci_u32_e64 v5, null, s27, v5, vcc_lo
	s_delay_alu instid0(VALU_DEP_3) | instskip(SKIP_1) | instid1(VALU_DEP_3)
	v_sub_co_u32 v21, s1, v12, s26
	v_add_nc_u64_e32 v[34:35], 2, v[32:33]
	v_subrev_co_ci_u32_e64 v5, null, 0, v5, s1
	s_delay_alu instid0(VALU_DEP_3) | instskip(SKIP_2) | instid1(VALU_DEP_4)
	v_cmp_le_u32_e32 vcc_lo, s26, v21
	v_add_nc_u64_e32 v[36:37], 1, v[32:33]
	v_cndmask_b32_e64 v21, 0, -1, vcc_lo
	v_cmp_le_u32_e32 vcc_lo, s27, v5
	v_cndmask_b32_e64 v25, 0, -1, vcc_lo
	v_cmp_le_u32_e32 vcc_lo, s26, v12
	v_cndmask_b32_e64 v12, 0, -1, vcc_lo
	v_cmp_le_u32_e32 vcc_lo, s27, v23
	v_cndmask_b32_e64 v31, 0, -1, vcc_lo
	v_cmp_eq_u32_e32 vcc_lo, s27, v5
	v_cndmask_b32_e32 v5, v25, v21, vcc_lo
	v_cmp_eq_u32_e32 vcc_lo, s27, v23
	s_delay_alu instid0(VALU_DEP_4) | instskip(NEXT) | instid1(VALU_DEP_3)
	v_cndmask_b32_e32 v12, v31, v12, vcc_lo
	v_cmp_ne_u32_e32 vcc_lo, 0, v5
	s_delay_alu instid0(VALU_DEP_2) | instskip(SKIP_1) | instid1(VALU_DEP_1)
	v_cmp_ne_u32_e64 s1, 0, v12
	v_dual_cndmask_b32 v5, v37, v35 :: v_dual_cndmask_b32 v12, v36, v34
	v_dual_cndmask_b32 v5, v33, v5, s1 :: v_dual_bitop2_b32 v30, s24, v30 bitop3:0x14
	s_delay_alu instid0(VALU_DEP_1) | instskip(NEXT) | instid1(VALU_DEP_2)
	v_dual_cndmask_b32 v12, v32, v12, s1 :: v_dual_mov_b32 v31, v30
	v_xor_b32_e32 v33, v5, v30
	s_delay_alu instid0(VALU_DEP_2) | instskip(NEXT) | instid1(VALU_DEP_1)
	v_xor_b32_e32 v32, v12, v30
	v_sub_nc_u64_e32 v[30:31], v[32:33], v[30:31]
.LBB17_93:                              ;   in Loop: Header=BB17_91 Depth=1
	s_and_not1_saveexec_b32 s1, s40
	s_cbranch_execz .LBB17_90
; %bb.94:                               ;   in Loop: Header=BB17_91 Depth=1
	v_cvt_f32_u32_e32 v5, s22
	s_sub_co_i32 s18, 0, s22
	v_mov_b32_e32 v31, v24
	s_delay_alu instid0(VALU_DEP_2) | instskip(SKIP_1) | instid1(TRANS32_DEP_1)
	v_rcp_iflag_f32_e32 v5, v5
	v_nop
	v_mul_f32_e32 v5, 0x4f7ffffe, v5
	s_delay_alu instid0(VALU_DEP_1) | instskip(NEXT) | instid1(VALU_DEP_1)
	v_cvt_u32_f32_e32 v5, v5
	v_mul_lo_u32 v12, s18, v5
	s_delay_alu instid0(VALU_DEP_1) | instskip(NEXT) | instid1(VALU_DEP_1)
	v_mul_hi_u32 v12, v5, v12
	v_add_nc_u32_e32 v5, v5, v12
	s_delay_alu instid0(VALU_DEP_1) | instskip(NEXT) | instid1(VALU_DEP_1)
	v_mul_hi_u32 v5, v28, v5
	v_mul_lo_u32 v12, v5, s22
	s_delay_alu instid0(VALU_DEP_1) | instskip(NEXT) | instid1(VALU_DEP_1)
	v_dual_add_nc_u32 v21, 1, v5 :: v_dual_sub_nc_u32 v12, v28, v12
	v_subrev_nc_u32_e32 v23, s22, v12
	v_cmp_le_u32_e32 vcc_lo, s22, v12
	s_delay_alu instid0(VALU_DEP_2) | instskip(NEXT) | instid1(VALU_DEP_1)
	v_dual_cndmask_b32 v12, v12, v23 :: v_dual_cndmask_b32 v5, v5, v21
	v_cmp_le_u32_e32 vcc_lo, s22, v12
	s_delay_alu instid0(VALU_DEP_2) | instskip(NEXT) | instid1(VALU_DEP_1)
	v_add_nc_u32_e32 v21, 1, v5
	v_cndmask_b32_e32 v30, v5, v21, vcc_lo
	s_branch .LBB17_90
.LBB17_95:
	s_or_b32 exec_lo, exec_lo, s34
	s_and_saveexec_b32 s0, s1
	s_cbranch_execnz .LBB17_70
.LBB17_96:
	s_or_b32 exec_lo, exec_lo, s0
	s_mov_b32 s0, 0
	s_and_saveexec_b32 s39, s31
	s_cbranch_execz .LBB17_71
.LBB17_97:
	v_mov_b64_e32 v[2:3], 0
	s_and_not1_b32 vcc_lo, exec_lo, s17
	s_cbranch_vccnz .LBB17_113
; %bb.98:
	s_wait_loadcnt 0x0
	v_dual_mov_b32 v2, v17 :: v_dual_ashrrev_i32 v3, 31, v17
	s_ashr_i32 s31, s30, 31
	v_mov_b32_e32 v6, 0
	s_lshl_b64 s[0:1], s[30:31], 3
	s_mov_b64 s[16:17], 0xffffffff
	v_mul_u64_e32 v[10:11], s[18:19], v[2:3]
	v_mov_b64_e32 v[2:3], 0
	s_add_nc_u64 s[0:1], s[20:21], s[0:1]
	s_delay_alu instid0(SALU_CYCLE_1)
	s_add_nc_u64 s[18:19], s[0:1], 32
	s_mov_b32 s1, 0
	s_branch .LBB17_100
.LBB17_99:                              ;   in Loop: Header=BB17_100 Depth=1
	s_or_b32 exec_lo, exec_lo, s0
	s_delay_alu instid0(VALU_DEP_1)
	v_mul_u64_e32 v[14:15], s[30:31], v[12:13]
	s_load_b64 s[30:31], s[18:19], 0x40
	s_add_co_i32 s26, s26, -1
	s_wait_xcnt 0x0
	s_add_nc_u64 s[18:19], s[18:19], -8
	s_cmp_lg_u32 s26, 0
	s_delay_alu instid0(VALU_DEP_1) | instskip(SKIP_1) | instid1(VALU_DEP_1)
	v_sub_nc_u64_e32 v[10:11], v[10:11], v[14:15]
	s_wait_kmcnt 0x0
	v_mad_nc_u64_u32 v[2:3], v10, s30, v[2:3]
	s_delay_alu instid0(VALU_DEP_1) | instskip(NEXT) | instid1(VALU_DEP_1)
	v_mad_u32 v1, v11, s30, v3
	v_mad_u32 v3, v10, s31, v1
	v_mov_b64_e32 v[10:11], v[12:13]
	s_cbranch_scc0 .LBB17_113
.LBB17_100:                             ; =>This Inner Loop Header: Depth=1
	s_load_b64 s[30:31], s[18:19], 0x0
                                        ; implicit-def: $vgpr12_vgpr13
	s_mov_b32 s0, exec_lo
	s_wait_kmcnt 0x0
	s_delay_alu instid0(VALU_DEP_1) | instskip(NEXT) | instid1(VALU_DEP_1)
	v_or_b32_e32 v7, s31, v11
	v_cmpx_ne_u64_e32 0, v[6:7]
	s_xor_b32 s40, exec_lo, s0
	s_cbranch_execz .LBB17_102
; %bb.101:                              ;   in Loop: Header=BB17_100 Depth=1
	s_ashr_i32 s34, s31, 31
	v_dual_mov_b32 v17, v6 :: v_dual_ashrrev_i32 v12, 31, v11
	s_mov_b32 s35, s34
	s_delay_alu instid0(SALU_CYCLE_1) | instskip(NEXT) | instid1(VALU_DEP_1)
	s_add_nc_u64 s[36:37], s[30:31], s[34:35]
	v_mov_b32_e32 v13, v12
	s_xor_b64 s[36:37], s[36:37], s[34:35]
	s_delay_alu instid0(SALU_CYCLE_1)
	s_cvt_f32_u32 s0, s36
	s_cvt_f32_u32 s35, s37
	s_sub_nc_u64 s[46:47], 0, s[36:37]
	v_add_nc_u64_e32 v[14:15], v[10:11], v[12:13]
	v_mov_b32_e32 v21, v6
	s_fmamk_f32 s0, s35, 0x4f800000, s0
	s_delay_alu instid0(SALU_CYCLE_3) | instskip(NEXT) | instid1(VALU_DEP_2)
	v_s_rcp_f32 s0, s0
	v_xor_b32_e32 v16, v14, v12
	s_delay_alu instid0(VALU_DEP_3) | instskip(NEXT) | instid1(TRANS32_DEP_1)
	v_dual_mov_b32 v25, v6 :: v_dual_bitop2_b32 v20, v15, v12 bitop3:0x14
	s_mul_f32 s0, s0, 0x5f7ffffc
	s_delay_alu instid0(SALU_CYCLE_3) | instskip(NEXT) | instid1(SALU_CYCLE_3)
	s_mul_f32 s35, s0, 0x2f800000
	s_trunc_f32 s35, s35
	s_delay_alu instid0(SALU_CYCLE_3) | instskip(SKIP_1) | instid1(SALU_CYCLE_2)
	s_fmamk_f32 s0, s35, 0xcf800000, s0
	s_cvt_u32_f32 s43, s35
	s_cvt_u32_f32 s42, s0
	s_delay_alu instid0(SALU_CYCLE_3) | instskip(NEXT) | instid1(SALU_CYCLE_1)
	s_mul_u64 s[48:49], s[46:47], s[42:43]
	s_mul_hi_u32 s51, s42, s49
	s_mul_i32 s50, s42, s49
	s_mul_hi_u32 s0, s42, s48
	s_mul_i32 s41, s43, s48
	s_add_nc_u64 s[50:51], s[0:1], s[50:51]
	s_mul_hi_u32 s35, s43, s48
	s_mul_hi_u32 s45, s43, s49
	s_add_co_u32 s0, s50, s41
	s_add_co_ci_u32 s0, s51, s35
	s_mul_i32 s48, s43, s49
	s_add_co_ci_u32 s49, s45, 0
	s_delay_alu instid0(SALU_CYCLE_1) | instskip(NEXT) | instid1(SALU_CYCLE_1)
	s_add_nc_u64 s[48:49], s[0:1], s[48:49]
	s_add_co_u32 s42, s42, s48
	s_cselect_b32 s0, -1, 0
	s_delay_alu instid0(SALU_CYCLE_1) | instskip(SKIP_1) | instid1(SALU_CYCLE_1)
	s_cmp_lg_u32 s0, 0
	s_add_co_ci_u32 s43, s43, s49
	s_mul_u64 s[46:47], s[46:47], s[42:43]
	s_delay_alu instid0(SALU_CYCLE_1)
	s_mul_hi_u32 s49, s42, s47
	s_mul_i32 s48, s42, s47
	s_mul_hi_u32 s0, s42, s46
	s_mul_i32 s41, s43, s46
	s_add_nc_u64 s[48:49], s[0:1], s[48:49]
	s_mul_hi_u32 s35, s43, s46
	s_mul_hi_u32 s45, s43, s47
	s_add_co_u32 s0, s48, s41
	s_add_co_ci_u32 s0, s49, s35
	s_mul_i32 s46, s43, s47
	s_add_co_ci_u32 s47, s45, 0
	s_delay_alu instid0(SALU_CYCLE_1) | instskip(NEXT) | instid1(SALU_CYCLE_1)
	s_add_nc_u64 s[46:47], s[0:1], s[46:47]
	s_add_co_u32 s42, s42, s46
	s_cselect_b32 s0, -1, 0
	v_mul_hi_u32 v24, v16, s42
	s_cmp_lg_u32 s0, 0
	s_add_co_ci_u32 s0, s43, s47
	s_and_b64 s[46:47], s[42:43], s[16:17]
	v_mul_u64_e32 v[18:19], s[0:1], v[16:17]
	v_mul_u64_e32 v[14:15], s[46:47], v[20:21]
	;; [unrolled: 1-line block ×3, first 2 shown]
	s_delay_alu instid0(VALU_DEP_3) | instskip(NEXT) | instid1(VALU_DEP_1)
	v_add_nc_u64_e32 v[18:19], v[24:25], v[18:19]
	v_add_co_u32 v1, vcc_lo, v18, v14
	s_delay_alu instid0(VALU_DEP_2) | instskip(NEXT) | instid1(VALU_DEP_4)
	v_add_co_ci_u32_e32 v24, vcc_lo, v19, v15, vcc_lo
	v_add_co_ci_u32_e32 v23, vcc_lo, 0, v23, vcc_lo
	s_delay_alu instid0(VALU_DEP_1) | instskip(NEXT) | instid1(VALU_DEP_1)
	v_add_nc_u64_e32 v[14:15], v[24:25], v[22:23]
	v_mul_u64_e32 v[18:19], s[36:37], v[14:15]
	s_delay_alu instid0(VALU_DEP_1) | instskip(NEXT) | instid1(VALU_DEP_2)
	v_sub_nc_u32_e32 v1, v20, v19
	v_sub_co_u32 v4, vcc_lo, v16, v18
	s_delay_alu instid0(VALU_DEP_1) | instskip(NEXT) | instid1(VALU_DEP_3)
	v_sub_co_ci_u32_e64 v8, null, v20, v19, vcc_lo
	v_subrev_co_ci_u32_e64 v1, null, s37, v1, vcc_lo
	s_delay_alu instid0(VALU_DEP_3) | instskip(SKIP_1) | instid1(VALU_DEP_3)
	v_sub_co_u32 v7, s0, v4, s36
	v_add_nc_u64_e32 v[16:17], 2, v[14:15]
	v_subrev_co_ci_u32_e64 v1, null, 0, v1, s0
	s_delay_alu instid0(VALU_DEP_3) | instskip(SKIP_2) | instid1(VALU_DEP_4)
	v_cmp_le_u32_e32 vcc_lo, s36, v7
	v_add_nc_u64_e32 v[18:19], 1, v[14:15]
	v_cndmask_b32_e64 v7, 0, -1, vcc_lo
	v_cmp_le_u32_e32 vcc_lo, s37, v1
	v_cndmask_b32_e64 v13, 0, -1, vcc_lo
	v_cmp_le_u32_e32 vcc_lo, s36, v4
	;; [unrolled: 2-line block ×3, first 2 shown]
	v_cndmask_b32_e64 v20, 0, -1, vcc_lo
	v_cmp_eq_u32_e32 vcc_lo, s37, v1
	v_cndmask_b32_e32 v1, v13, v7, vcc_lo
	v_cmp_eq_u32_e32 vcc_lo, s37, v8
	s_delay_alu instid0(VALU_DEP_4) | instskip(NEXT) | instid1(VALU_DEP_3)
	v_cndmask_b32_e32 v4, v20, v4, vcc_lo
	v_cmp_ne_u32_e32 vcc_lo, 0, v1
	s_delay_alu instid0(VALU_DEP_2) | instskip(SKIP_1) | instid1(VALU_DEP_1)
	v_cmp_ne_u32_e64 s0, 0, v4
	v_dual_cndmask_b32 v1, v19, v17 :: v_dual_cndmask_b32 v4, v18, v16
	v_dual_cndmask_b32 v1, v15, v1, s0 :: v_dual_bitop2_b32 v12, s34, v12 bitop3:0x14
	s_delay_alu instid0(VALU_DEP_1) | instskip(NEXT) | instid1(VALU_DEP_2)
	v_dual_cndmask_b32 v4, v14, v4, s0 :: v_dual_mov_b32 v13, v12
	v_xor_b32_e32 v15, v1, v12
	s_delay_alu instid0(VALU_DEP_2) | instskip(NEXT) | instid1(VALU_DEP_1)
	v_xor_b32_e32 v14, v4, v12
	v_sub_nc_u64_e32 v[12:13], v[14:15], v[12:13]
.LBB17_102:                             ;   in Loop: Header=BB17_100 Depth=1
	s_and_not1_saveexec_b32 s0, s40
	s_cbranch_execz .LBB17_99
; %bb.103:                              ;   in Loop: Header=BB17_100 Depth=1
	v_cvt_f32_u32_e32 v1, s30
	s_sub_co_i32 s34, 0, s30
	v_mov_b32_e32 v13, v6
	s_delay_alu instid0(VALU_DEP_2) | instskip(SKIP_1) | instid1(TRANS32_DEP_1)
	v_rcp_iflag_f32_e32 v1, v1
	v_nop
	v_mul_f32_e32 v1, 0x4f7ffffe, v1
	s_delay_alu instid0(VALU_DEP_1) | instskip(NEXT) | instid1(VALU_DEP_1)
	v_cvt_u32_f32_e32 v1, v1
	v_mul_lo_u32 v4, s34, v1
	s_delay_alu instid0(VALU_DEP_1) | instskip(NEXT) | instid1(VALU_DEP_1)
	v_mul_hi_u32 v4, v1, v4
	v_add_nc_u32_e32 v1, v1, v4
	s_delay_alu instid0(VALU_DEP_1) | instskip(NEXT) | instid1(VALU_DEP_1)
	v_mul_hi_u32 v1, v10, v1
	v_mul_lo_u32 v4, v1, s30
	s_delay_alu instid0(VALU_DEP_1) | instskip(NEXT) | instid1(VALU_DEP_1)
	v_sub_nc_u32_e32 v4, v10, v4
	v_subrev_nc_u32_e32 v8, s30, v4
	v_cmp_le_u32_e32 vcc_lo, s30, v4
	s_delay_alu instid0(VALU_DEP_2) | instskip(NEXT) | instid1(VALU_DEP_1)
	v_dual_cndmask_b32 v4, v4, v8 :: v_dual_add_nc_u32 v7, 1, v1
	v_cndmask_b32_e32 v1, v1, v7, vcc_lo
	s_delay_alu instid0(VALU_DEP_2) | instskip(NEXT) | instid1(VALU_DEP_2)
	v_cmp_le_u32_e32 vcc_lo, s30, v4
	v_add_nc_u32_e32 v7, 1, v1
	s_delay_alu instid0(VALU_DEP_1)
	v_cndmask_b32_e32 v12, v1, v7, vcc_lo
	s_branch .LBB17_99
.LBB17_104:
                                        ; implicit-def: $sgpr0
                                        ; implicit-def: $sgpr31
                                        ; implicit-def: $sgpr40
                                        ; implicit-def: $sgpr22
                                        ; implicit-def: $vgpr0
	s_and_saveexec_b32 s1, s3
.LBB17_105:
	; divergent unreachable
.LBB17_106:
	s_delay_alu instid0(SALU_CYCLE_1)
	s_or_b32 exec_lo, exec_lo, s1
	s_and_saveexec_b32 s1, s44
	s_cbranch_execz .LBB17_112
; %bb.107:
	s_and_b32 exec_lo, exec_lo, s0
	s_cbranch_execz .LBB17_112
; %bb.108:
	v_dual_mov_b32 v1, 0 :: v_dual_bitop2_b32 v2, s2, v0 bitop3:0x54
	global_store_b32 v2, v1, s[4:5] scale_offset
	s_wait_xcnt 0x0
	s_and_b32 exec_lo, exec_lo, s31
	s_cbranch_execz .LBB17_112
; %bb.109:
	v_add_nc_u32_e32 v0, s2, v0
	global_store_b32 v0, v1, s[4:5] offset:1024 scale_offset
	s_wait_xcnt 0x0
	s_and_b32 exec_lo, exec_lo, s40
	s_cbranch_execz .LBB17_112
; %bb.110:
	v_lshl_add_u64 v[0:1], v[0:1], 2, s[4:5]
	v_mov_b32_e32 v2, 0
	global_store_b32 v[0:1], v2, off offset:2048
	s_wait_xcnt 0x0
	s_and_b32 exec_lo, exec_lo, s22
	s_cbranch_execz .LBB17_112
; %bb.111:
	global_store_b32 v[0:1], v2, off offset:3072
.LBB17_112:
	s_endpgm
.LBB17_113:
	s_mov_b32 s1, s38
	s_mov_b32 s0, exec_lo
	v_cmpx_gt_i32_e64 v5, v9
	s_cbranch_execz .LBB17_124
; %bb.114:
	s_delay_alu instid0(VALU_DEP_2)
	v_lshlrev_b64_e32 v[2:3], 2, v[2:3]
	v_dual_mov_b32 v6, v9 :: v_dual_ashrrev_i32 v7, 31, v9
	v_dual_mov_b32 v10, v5 :: v_dual_ashrrev_i32 v11, 31, v5
	s_mov_b32 s1, 0
	s_wait_kmcnt 0x0
	s_xor_b32 s17, s27, -1
	s_delay_alu instid0(VALU_DEP_3) | instskip(SKIP_1) | instid1(VALU_DEP_2)
	v_lshl_add_u64 v[6:7], v[6:7], 2, v[2:3]
	v_add_nc_u64_e32 v[8:9], s[28:29], v[2:3]
                                        ; implicit-def: $sgpr16
                                        ; implicit-def: $sgpr19
                                        ; implicit-def: $sgpr18
	v_add_nc_u64_e32 v[6:7], s[28:29], v[6:7]
	s_delay_alu instid0(VALU_DEP_2) | instskip(NEXT) | instid1(VALU_DEP_2)
	v_lshl_add_u64 v[4:5], v[10:11], 2, v[8:9]
	v_add_nc_u64_e32 v[2:3], 4, v[6:7]
	s_branch .LBB17_116
.LBB17_115:                             ;   in Loop: Header=BB17_116 Depth=1
	s_or_b32 exec_lo, exec_lo, s26
	s_xor_b32 s26, s18, -1
	s_and_b32 s27, exec_lo, s19
	s_delay_alu instid0(SALU_CYCLE_1) | instskip(SKIP_2) | instid1(SALU_CYCLE_1)
	s_or_b32 s1, s27, s1
	s_and_not1_b32 s16, s16, exec_lo
	s_and_b32 s26, s26, exec_lo
	s_or_b32 s16, s16, s26
	s_and_not1_b32 exec_lo, exec_lo, s1
	s_cbranch_execz .LBB17_123
.LBB17_116:                             ; =>This Inner Loop Header: Depth=1
	s_or_b32 s18, s18, exec_lo
	s_or_b32 s19, s19, exec_lo
	s_mov_b32 s26, exec_lo
	s_delay_alu instid0(VALU_DEP_1)
	v_cmpx_lt_u64_e64 v[2:3], v[4:5]
	s_cbranch_execz .LBB17_115
; %bb.117:                              ;   in Loop: Header=BB17_116 Depth=1
	global_load_b64 v[6:7], v[2:3], off offset:-4
	s_wait_xcnt 0x0
	v_add_nc_u64_e32 v[2:3], 4, v[2:3]
	s_and_not1_b32 s19, s19, exec_lo
	s_and_not1_b32 s18, s18, exec_lo
	s_wait_loadcnt 0x0
	v_cmp_ge_i32_e32 vcc_lo, v6, v7
	s_or_b32 s27, s17, vcc_lo
	s_delay_alu instid0(SALU_CYCLE_1) | instskip(NEXT) | instid1(SALU_CYCLE_1)
	s_and_b32 s27, s27, exec_lo
	s_or_b32 s19, s19, s27
	s_branch .LBB17_115
.LBB17_118:
	s_mov_b32 s15, -1
	s_mov_b32 s13, 0
	s_mov_b32 s1, exec_lo
	v_cmpx_gt_i32_e64 v20, v22
	s_cbranch_execz .LBB17_127
; %bb.119:
	s_wait_loadcnt 0x0
	s_delay_alu instid0(VALU_DEP_2) | instskip(SKIP_2) | instid1(VALU_DEP_1)
	v_lshlrev_b64_e32 v[24:25], 2, v[26:27]
	v_dual_ashrrev_i32 v23, 31, v22 :: v_dual_ashrrev_i32 v21, 31, v20
	s_xor_b32 s15, s29, -1
                                        ; implicit-def: $sgpr14
                                        ; implicit-def: $sgpr17
                                        ; implicit-def: $sgpr16
	v_lshl_add_u64 v[22:23], v[22:23], 2, v[24:25]
	v_add_nc_u64_e32 v[24:25], s[6:7], v[24:25]
	s_delay_alu instid0(VALU_DEP_2) | instskip(NEXT) | instid1(VALU_DEP_2)
	v_add_nc_u64_e32 v[22:23], s[6:7], v[22:23]
	v_lshl_add_u64 v[20:21], v[20:21], 2, v[24:25]
	s_delay_alu instid0(VALU_DEP_2)
	v_add_nc_u64_e32 v[22:23], 4, v[22:23]
	s_branch .LBB17_121
.LBB17_120:                             ;   in Loop: Header=BB17_121 Depth=1
	s_or_b32 exec_lo, exec_lo, s18
	s_delay_alu instid0(SALU_CYCLE_1) | instskip(NEXT) | instid1(SALU_CYCLE_1)
	s_and_b32 s18, exec_lo, s17
	s_or_b32 s13, s18, s13
	s_and_not1_b32 s14, s14, exec_lo
	s_and_b32 s18, s16, exec_lo
	s_delay_alu instid0(SALU_CYCLE_1)
	s_or_b32 s14, s14, s18
	s_and_not1_b32 exec_lo, exec_lo, s13
	s_cbranch_execz .LBB17_126
.LBB17_121:                             ; =>This Inner Loop Header: Depth=1
	s_or_b32 s16, s16, exec_lo
	s_or_b32 s17, s17, exec_lo
	s_mov_b32 s18, exec_lo
	s_delay_alu instid0(VALU_DEP_1)
	v_cmpx_lt_u64_e64 v[22:23], v[20:21]
	s_cbranch_execz .LBB17_120
; %bb.122:                              ;   in Loop: Header=BB17_121 Depth=1
	global_load_b64 v[24:25], v[22:23], off offset:-4
	s_wait_xcnt 0x0
	v_add_nc_u64_e32 v[22:23], 4, v[22:23]
	s_and_not1_b32 s17, s17, exec_lo
	s_and_not1_b32 s16, s16, exec_lo
	s_wait_loadcnt 0x0
	v_cmp_ge_i32_e32 vcc_lo, v24, v25
	s_or_b32 s19, s15, vcc_lo
	s_delay_alu instid0(SALU_CYCLE_1) | instskip(NEXT) | instid1(SALU_CYCLE_1)
	s_and_b32 s19, s19, exec_lo
	s_or_b32 s17, s17, s19
	s_branch .LBB17_120
.LBB17_123:
	s_or_b32 exec_lo, exec_lo, s1
	s_delay_alu instid0(SALU_CYCLE_1) | instskip(SKIP_1) | instid1(SALU_CYCLE_1)
	s_and_not1_b32 s1, s38, exec_lo
	s_and_b32 s16, s16, exec_lo
	s_or_b32 s1, s1, s16
.LBB17_124:
	s_or_b32 exec_lo, exec_lo, s0
	s_delay_alu instid0(SALU_CYCLE_1)
	s_and_not1_b32 s16, s38, exec_lo
	s_and_b32 s1, s1, exec_lo
	s_mov_b32 s0, exec_lo
	s_or_b32 s38, s16, s1
	s_or_b32 exec_lo, exec_lo, s39
	s_and_saveexec_b32 s1, s38
	s_cbranch_execz .LBB17_72
.LBB17_125:
	s_or_b32 s3, s3, exec_lo
	s_and_not1_b32 s0, s0, exec_lo
	s_trap 2
	s_or_b32 exec_lo, exec_lo, s1
	s_and_saveexec_b32 s1, s0
	s_delay_alu instid0(SALU_CYCLE_1)
	s_xor_b32 s0, exec_lo, s1
	s_cbranch_execnz .LBB17_73
	s_branch .LBB17_74
.LBB17_126:
	s_or_b32 exec_lo, exec_lo, s13
	s_delay_alu instid0(SALU_CYCLE_1)
	s_mov_b32 s13, exec_lo
	s_or_not1_b32 s15, s14, exec_lo
.LBB17_127:
	s_or_b32 exec_lo, exec_lo, s1
	s_delay_alu instid0(SALU_CYCLE_1)
	s_and_b32 s14, s13, exec_lo
	s_xor_b32 s13, exec_lo, -1
	s_and_b32 s1, s15, exec_lo
.LBB17_128:
	s_or_b32 exec_lo, exec_lo, s39
	s_delay_alu instid0(SALU_CYCLE_1)
	s_and_b32 s15, s14, exec_lo
	s_and_b32 s14, s13, exec_lo
	s_xor_b32 s13, exec_lo, -1
	s_and_b32 s1, s1, exec_lo
.LBB17_129:
	s_or_b32 exec_lo, exec_lo, s38
	s_delay_alu instid0(SALU_CYCLE_1)
	s_and_b32 s16, s15, exec_lo
	s_and_b32 s15, s14, exec_lo
	s_and_b32 s14, s13, exec_lo
	s_xor_b32 s13, exec_lo, -1
	s_and_b32 s1, s1, exec_lo
.LBB17_130:
	s_or_b32 exec_lo, exec_lo, s35
	s_delay_alu instid0(SALU_CYCLE_1)
	s_and_b32 s35, s16, exec_lo
	s_and_b32 s38, s15, exec_lo
	;; [unrolled: 1-line block ×4, first 2 shown]
	s_or_not1_b32 s1, s1, exec_lo
.LBB17_131:
	s_or_b32 exec_lo, exec_lo, s31
	s_mov_b32 s44, 0
                                        ; implicit-def: $sgpr31
                                        ; implicit-def: $sgpr40
                                        ; implicit-def: $sgpr22
	s_and_saveexec_b32 s42, s1
	s_cbranch_execz .LBB17_143
; %bb.132:
	v_cmp_gt_i32_e64 s31, s33, v17
	s_mov_b32 s1, -1
	s_mov_b32 s48, 0
	s_mov_b32 s43, s41
	;; [unrolled: 1-line block ×4, first 2 shown]
	s_and_saveexec_b32 s40, s31
	s_cbranch_execz .LBB17_179
; %bb.133:
	s_wait_loadcnt 0x4
	v_cmp_eq_u32_e32 vcc_lo, s36, v15
	s_mov_b32 s13, -1
	s_mov_b32 s1, 0
	s_mov_b32 s15, s39
	;; [unrolled: 1-line block ×3, first 2 shown]
	s_and_b32 s17, s37, vcc_lo
	s_mov_b32 s14, 0
	s_and_saveexec_b32 s43, s17
	s_cbranch_execz .LBB17_178
; %bb.134:
	s_wait_loadcnt 0x3
	v_cmp_eq_u32_e32 vcc_lo, s10, v19
	s_mov_b32 s15, s38
	s_and_b32 s16, s34, vcc_lo
	s_delay_alu instid0(SALU_CYCLE_1)
	s_and_saveexec_b32 s44, s16
	s_cbranch_execz .LBB17_177
; %bb.135:
	s_wait_loadcnt 0x1
	v_sub_nc_u32_e32 v5, v14, v16
	s_delay_alu instid0(VALU_DEP_1)
	v_cmp_le_i32_e32 vcc_lo, v15, v5
	v_cmp_ge_i32_e64 s1, s8, v5
	s_and_b32 s14, vcc_lo, s1
	s_mov_b32 s1, 0
	s_and_b32 s15, s30, s14
	s_mov_b32 s14, 0
	s_and_saveexec_b32 s45, s15
	s_cbranch_execz .LBB17_176
; %bb.136:
	v_mov_b64_e32 v[20:21], 0
	s_and_not1_b32 vcc_lo, exec_lo, s9
	s_cbranch_vccnz .LBB17_169
; %bb.137:
	s_wait_loadcnt 0x0
	v_ashrrev_i32_e32 v19, 31, v18
	s_ashr_i32 s13, s12, 31
	v_mov_b64_e32 v[20:21], 0
	s_lshl_b64 s[16:17], s[12:13], 3
	s_mov_b64 s[14:15], 0xffffffff
	v_mul_u64_e32 v[22:23], s[10:11], v[18:19]
	v_mov_b32_e32 v18, 0
	s_add_nc_u64 s[16:17], s[20:21], s[16:17]
	s_mov_b32 s19, 0
	s_add_nc_u64 s[16:17], s[16:17], 32
	s_mov_b32 s13, s28
	s_branch .LBB17_139
.LBB17_138:                             ;   in Loop: Header=BB17_139 Depth=1
	s_or_b32 exec_lo, exec_lo, s1
	s_delay_alu instid0(VALU_DEP_1)
	v_mul_u64_e32 v[26:27], s[22:23], v[24:25]
	s_load_b64 s[22:23], s[16:17], 0x40
	s_add_co_i32 s13, s13, -1
	s_wait_xcnt 0x0
	s_add_nc_u64 s[16:17], s[16:17], -8
	s_cmp_lg_u32 s13, 0
	s_delay_alu instid0(VALU_DEP_1) | instskip(SKIP_1) | instid1(VALU_DEP_1)
	v_sub_nc_u64_e32 v[22:23], v[22:23], v[26:27]
	s_wait_kmcnt 0x0
	v_mad_nc_u64_u32 v[20:21], v22, s22, v[20:21]
	s_delay_alu instid0(VALU_DEP_1) | instskip(NEXT) | instid1(VALU_DEP_1)
	v_mad_u32 v5, v23, s22, v21
	v_mad_u32 v21, v22, s23, v5
	v_mov_b64_e32 v[22:23], v[24:25]
	s_cbranch_scc0 .LBB17_169
.LBB17_139:                             ; =>This Inner Loop Header: Depth=1
	s_load_b64 s[22:23], s[16:17], 0x0
                                        ; implicit-def: $vgpr24_vgpr25
	s_mov_b32 s1, exec_lo
	s_wait_kmcnt 0x0
	s_delay_alu instid0(VALU_DEP_1) | instskip(NEXT) | instid1(VALU_DEP_1)
	v_or_b32_e32 v19, s23, v23
	v_cmpx_ne_u64_e32 0, v[18:19]
	s_xor_b32 s46, exec_lo, s1
	s_cbranch_execz .LBB17_141
; %bb.140:                              ;   in Loop: Header=BB17_139 Depth=1
	s_ashr_i32 s24, s23, 31
	v_dual_mov_b32 v29, v18 :: v_dual_ashrrev_i32 v24, 31, v23
	s_mov_b32 s25, s24
	s_delay_alu instid0(SALU_CYCLE_1) | instskip(NEXT) | instid1(VALU_DEP_1)
	s_add_nc_u64 s[26:27], s[22:23], s[24:25]
	v_mov_b32_e32 v25, v24
	s_xor_b64 s[26:27], s[26:27], s[24:25]
	s_delay_alu instid0(SALU_CYCLE_1)
	s_cvt_f32_u32 s1, s26
	s_cvt_f32_u32 s18, s27
	s_sub_nc_u64 s[52:53], 0, s[26:27]
	v_add_nc_u64_e32 v[26:27], v[22:23], v[24:25]
	v_mov_b32_e32 v33, v18
	s_fmamk_f32 s1, s18, 0x4f800000, s1
	s_delay_alu instid0(SALU_CYCLE_3) | instskip(NEXT) | instid1(VALU_DEP_2)
	v_s_rcp_f32 s1, s1
	v_xor_b32_e32 v28, v26, v24
	s_delay_alu instid0(VALU_DEP_3) | instskip(NEXT) | instid1(TRANS32_DEP_1)
	v_dual_mov_b32 v37, v18 :: v_dual_bitop2_b32 v32, v27, v24 bitop3:0x14
	s_mul_f32 s1, s1, 0x5f7ffffc
	s_delay_alu instid0(SALU_CYCLE_3) | instskip(NEXT) | instid1(SALU_CYCLE_3)
	s_mul_f32 s18, s1, 0x2f800000
	s_trunc_f32 s18, s18
	s_delay_alu instid0(SALU_CYCLE_3) | instskip(SKIP_1) | instid1(SALU_CYCLE_2)
	s_fmamk_f32 s1, s18, 0xcf800000, s1
	s_cvt_u32_f32 s51, s18
	s_cvt_u32_f32 s50, s1
	s_delay_alu instid0(SALU_CYCLE_3) | instskip(NEXT) | instid1(SALU_CYCLE_1)
	s_mul_u64 s[54:55], s[52:53], s[50:51]
	s_mul_hi_u32 s57, s50, s55
	s_mul_i32 s56, s50, s55
	s_mul_hi_u32 s18, s50, s54
	s_mul_i32 s25, s51, s54
	s_add_nc_u64 s[56:57], s[18:19], s[56:57]
	s_mul_hi_u32 s1, s51, s54
	s_mul_hi_u32 s47, s51, s55
	s_add_co_u32 s18, s56, s25
	s_add_co_ci_u32 s18, s57, s1
	s_mul_i32 s54, s51, s55
	s_add_co_ci_u32 s55, s47, 0
	s_delay_alu instid0(SALU_CYCLE_1) | instskip(NEXT) | instid1(SALU_CYCLE_1)
	s_add_nc_u64 s[54:55], s[18:19], s[54:55]
	s_add_co_u32 s50, s50, s54
	s_cselect_b32 s1, -1, 0
	s_delay_alu instid0(SALU_CYCLE_1) | instskip(SKIP_1) | instid1(SALU_CYCLE_1)
	s_cmp_lg_u32 s1, 0
	s_add_co_ci_u32 s51, s51, s55
	s_mul_u64 s[52:53], s[52:53], s[50:51]
	s_delay_alu instid0(SALU_CYCLE_1)
	s_mul_hi_u32 s55, s50, s53
	s_mul_i32 s54, s50, s53
	s_mul_hi_u32 s18, s50, s52
	s_mul_i32 s25, s51, s52
	s_add_nc_u64 s[54:55], s[18:19], s[54:55]
	s_mul_hi_u32 s1, s51, s52
	s_mul_hi_u32 s47, s51, s53
	s_add_co_u32 s18, s54, s25
	s_add_co_ci_u32 s18, s55, s1
	s_mul_i32 s52, s51, s53
	s_add_co_ci_u32 s53, s47, 0
	s_delay_alu instid0(SALU_CYCLE_1) | instskip(NEXT) | instid1(SALU_CYCLE_1)
	s_add_nc_u64 s[52:53], s[18:19], s[52:53]
	s_add_co_u32 s50, s50, s52
	s_cselect_b32 s1, -1, 0
	v_mul_hi_u32 v36, v28, s50
	s_cmp_lg_u32 s1, 0
	s_add_co_ci_u32 s18, s51, s53
	s_and_b64 s[52:53], s[50:51], s[14:15]
	v_mul_u64_e32 v[30:31], s[18:19], v[28:29]
	v_mul_u64_e32 v[26:27], s[52:53], v[32:33]
	;; [unrolled: 1-line block ×3, first 2 shown]
	s_delay_alu instid0(VALU_DEP_3) | instskip(NEXT) | instid1(VALU_DEP_1)
	v_add_nc_u64_e32 v[30:31], v[36:37], v[30:31]
	v_add_co_u32 v5, vcc_lo, v30, v26
	s_delay_alu instid0(VALU_DEP_2) | instskip(NEXT) | instid1(VALU_DEP_4)
	v_add_co_ci_u32_e32 v36, vcc_lo, v31, v27, vcc_lo
	v_add_co_ci_u32_e32 v35, vcc_lo, 0, v35, vcc_lo
	s_delay_alu instid0(VALU_DEP_1) | instskip(NEXT) | instid1(VALU_DEP_1)
	v_add_nc_u64_e32 v[26:27], v[36:37], v[34:35]
	v_mul_u64_e32 v[30:31], s[26:27], v[26:27]
	s_delay_alu instid0(VALU_DEP_1) | instskip(NEXT) | instid1(VALU_DEP_2)
	v_sub_nc_u32_e32 v5, v32, v31
	v_sub_co_u32 v12, vcc_lo, v28, v30
	s_delay_alu instid0(VALU_DEP_1) | instskip(NEXT) | instid1(VALU_DEP_3)
	v_sub_co_ci_u32_e64 v17, null, v32, v31, vcc_lo
	v_subrev_co_ci_u32_e64 v5, null, s27, v5, vcc_lo
	s_delay_alu instid0(VALU_DEP_3) | instskip(SKIP_1) | instid1(VALU_DEP_3)
	v_sub_co_u32 v15, s1, v12, s26
	v_add_nc_u64_e32 v[28:29], 2, v[26:27]
	v_subrev_co_ci_u32_e64 v5, null, 0, v5, s1
	s_delay_alu instid0(VALU_DEP_3) | instskip(SKIP_2) | instid1(VALU_DEP_4)
	v_cmp_le_u32_e32 vcc_lo, s26, v15
	v_add_nc_u64_e32 v[30:31], 1, v[26:27]
	v_cndmask_b32_e64 v15, 0, -1, vcc_lo
	v_cmp_le_u32_e32 vcc_lo, s27, v5
	v_cndmask_b32_e64 v19, 0, -1, vcc_lo
	v_cmp_le_u32_e32 vcc_lo, s26, v12
	v_cndmask_b32_e64 v12, 0, -1, vcc_lo
	v_cmp_le_u32_e32 vcc_lo, s27, v17
	v_cndmask_b32_e64 v25, 0, -1, vcc_lo
	v_cmp_eq_u32_e32 vcc_lo, s27, v5
	v_cndmask_b32_e32 v5, v19, v15, vcc_lo
	v_cmp_eq_u32_e32 vcc_lo, s27, v17
	s_delay_alu instid0(VALU_DEP_4) | instskip(NEXT) | instid1(VALU_DEP_3)
	v_cndmask_b32_e32 v12, v25, v12, vcc_lo
	v_cmp_ne_u32_e32 vcc_lo, 0, v5
	s_delay_alu instid0(VALU_DEP_2) | instskip(SKIP_1) | instid1(VALU_DEP_1)
	v_cmp_ne_u32_e64 s1, 0, v12
	v_dual_cndmask_b32 v5, v31, v29 :: v_dual_cndmask_b32 v12, v30, v28
	v_dual_cndmask_b32 v5, v27, v5, s1 :: v_dual_bitop2_b32 v24, s24, v24 bitop3:0x14
	s_delay_alu instid0(VALU_DEP_1) | instskip(NEXT) | instid1(VALU_DEP_2)
	v_dual_cndmask_b32 v12, v26, v12, s1 :: v_dual_mov_b32 v25, v24
	v_xor_b32_e32 v27, v5, v24
	s_delay_alu instid0(VALU_DEP_2) | instskip(NEXT) | instid1(VALU_DEP_1)
	v_xor_b32_e32 v26, v12, v24
	v_sub_nc_u64_e32 v[24:25], v[26:27], v[24:25]
.LBB17_141:                             ;   in Loop: Header=BB17_139 Depth=1
	s_and_not1_saveexec_b32 s1, s46
	s_cbranch_execz .LBB17_138
; %bb.142:                              ;   in Loop: Header=BB17_139 Depth=1
	v_cvt_f32_u32_e32 v5, s22
	s_sub_co_i32 s18, 0, s22
	v_mov_b32_e32 v25, v18
	s_delay_alu instid0(VALU_DEP_2) | instskip(SKIP_1) | instid1(TRANS32_DEP_1)
	v_rcp_iflag_f32_e32 v5, v5
	v_nop
	v_mul_f32_e32 v5, 0x4f7ffffe, v5
	s_delay_alu instid0(VALU_DEP_1) | instskip(NEXT) | instid1(VALU_DEP_1)
	v_cvt_u32_f32_e32 v5, v5
	v_mul_lo_u32 v12, s18, v5
	s_delay_alu instid0(VALU_DEP_1) | instskip(NEXT) | instid1(VALU_DEP_1)
	v_mul_hi_u32 v12, v5, v12
	v_add_nc_u32_e32 v5, v5, v12
	s_delay_alu instid0(VALU_DEP_1) | instskip(NEXT) | instid1(VALU_DEP_1)
	v_mul_hi_u32 v5, v22, v5
	v_mul_lo_u32 v12, v5, s22
	s_delay_alu instid0(VALU_DEP_1) | instskip(NEXT) | instid1(VALU_DEP_1)
	v_dual_add_nc_u32 v15, 1, v5 :: v_dual_sub_nc_u32 v12, v22, v12
	v_subrev_nc_u32_e32 v17, s22, v12
	v_cmp_le_u32_e32 vcc_lo, s22, v12
	s_delay_alu instid0(VALU_DEP_2) | instskip(NEXT) | instid1(VALU_DEP_1)
	v_dual_cndmask_b32 v12, v12, v17 :: v_dual_cndmask_b32 v5, v5, v15
	v_cmp_le_u32_e32 vcc_lo, s22, v12
	s_delay_alu instid0(VALU_DEP_2) | instskip(NEXT) | instid1(VALU_DEP_1)
	v_add_nc_u32_e32 v15, 1, v5
	v_cndmask_b32_e32 v24, v5, v15, vcc_lo
	s_branch .LBB17_138
.LBB17_143:
	s_or_b32 exec_lo, exec_lo, s42
	s_and_saveexec_b32 s1, s41
	s_cbranch_execnz .LBB17_207
.LBB17_144:
	s_or_b32 exec_lo, exec_lo, s1
	s_mov_b32 s1, 0
	s_and_saveexec_b32 s13, s43
	s_delay_alu instid0(SALU_CYCLE_1)
	s_xor_b32 s13, exec_lo, s13
; %bb.145:
	v_cmp_ne_u32_e32 vcc_lo, s10, v3
	s_xor_b32 s14, s34, -1
	s_and_not1_b32 s15, s39, exec_lo
	s_mov_b32 s1, exec_lo
	s_or_b32 s14, s14, vcc_lo
	s_delay_alu instid0(SALU_CYCLE_1) | instskip(NEXT) | instid1(SALU_CYCLE_1)
	s_and_b32 s14, s14, exec_lo
	s_or_b32 s39, s15, s14
; %bb.146:
	s_or_b32 exec_lo, exec_lo, s13
	s_and_saveexec_b32 s13, s39
	s_cbranch_execnz .LBB17_210
.LBB17_147:
	s_or_b32 exec_lo, exec_lo, s13
	s_mov_b32 s13, 0
	s_and_saveexec_b32 s14, s1
	s_delay_alu instid0(SALU_CYCLE_1)
	s_xor_b32 s14, exec_lo, s14
	s_cbranch_execz .LBB17_152
; %bb.148:
	v_sub_nc_u32_e32 v3, v4, v2
	s_mov_b32 s13, exec_lo
	s_delay_alu instid0(VALU_DEP_1) | instskip(SKIP_3) | instid1(SALU_CYCLE_1)
	v_cmp_le_i32_e32 vcc_lo, v1, v3
	v_cmp_ge_i32_e64 s1, s8, v3
	s_and_not1_b32 s8, s38, exec_lo
	s_and_b32 s1, vcc_lo, s1
	s_and_b32 s1, s30, s1
	s_delay_alu instid0(SALU_CYCLE_1) | instskip(NEXT) | instid1(SALU_CYCLE_1)
	s_xor_b32 s1, s1, -1
	s_and_b32 s1, s1, exec_lo
	s_delay_alu instid0(SALU_CYCLE_1)
	s_or_b32 s38, s8, s1
	s_or_b32 exec_lo, exec_lo, s14
	s_and_saveexec_b32 s1, s38
	s_cbranch_execz .LBB17_153
.LBB17_149:
	s_or_b32 s3, s3, exec_lo
	s_and_not1_b32 s13, s13, exec_lo
	s_trap 2
	s_or_b32 exec_lo, exec_lo, s1
	s_and_saveexec_b32 s23, s13
	s_cbranch_execnz .LBB17_154
.LBB17_150:
	s_or_b32 exec_lo, exec_lo, s23
	s_and_saveexec_b32 s1, s35
	s_cbranch_execnz .LBB17_168
.LBB17_151:
	s_or_b32 exec_lo, exec_lo, s1
	s_and_saveexec_b32 s1, s3
	s_cbranch_execnz .LBB17_105
	s_branch .LBB17_106
.LBB17_152:
	s_or_b32 exec_lo, exec_lo, s14
	s_and_saveexec_b32 s1, s38
	s_cbranch_execnz .LBB17_149
.LBB17_153:
	s_or_b32 exec_lo, exec_lo, s1
	s_and_saveexec_b32 s23, s13
	s_cbranch_execz .LBB17_150
.LBB17_154:
	v_mov_b64_e32 v[8:9], 0
	s_and_not1_b32 vcc_lo, exec_lo, s9
	s_cbranch_vccnz .LBB17_161
; %bb.155:
	v_mul_u64_e32 v[10:11], s[10:11], v[6:7]
	s_ashr_i32 s13, s12, 31
	v_mov_b64_e32 v[8:9], 0
	s_lshl_b64 s[10:11], s[12:13], 3
	v_mov_b32_e32 v6, 0
	s_add_nc_u64 s[10:11], s[20:21], s[10:11]
	s_mov_b64 s[8:9], 0xffffffff
	s_add_nc_u64 s[10:11], s[10:11], 32
	s_mov_b32 s13, 0
	s_branch .LBB17_157
.LBB17_156:                             ;   in Loop: Header=BB17_157 Depth=1
	s_or_b32 exec_lo, exec_lo, s1
	s_wait_loadcnt 0x1
	s_delay_alu instid0(VALU_DEP_1)
	v_mul_u64_e32 v[14:15], s[14:15], v[12:13]
	s_load_b64 s[14:15], s[10:11], 0x40
	s_add_co_i32 s28, s28, -1
	s_wait_xcnt 0x0
	s_add_nc_u64 s[10:11], s[10:11], -8
	s_cmp_lg_u32 s28, 0
	s_delay_alu instid0(VALU_DEP_1) | instskip(SKIP_1) | instid1(VALU_DEP_1)
	v_sub_nc_u64_e32 v[10:11], v[10:11], v[14:15]
	s_wait_kmcnt 0x0
	v_mad_nc_u64_u32 v[8:9], v10, s14, v[8:9]
	s_delay_alu instid0(VALU_DEP_1) | instskip(NEXT) | instid1(VALU_DEP_1)
	v_mad_u32 v1, v11, s14, v9
	v_mad_u32 v9, v10, s15, v1
	v_mov_b64_e32 v[10:11], v[12:13]
	s_cbranch_scc0 .LBB17_161
.LBB17_157:                             ; =>This Inner Loop Header: Depth=1
	s_load_b64 s[14:15], s[10:11], 0x0
                                        ; implicit-def: $vgpr12_vgpr13
	s_mov_b32 s1, exec_lo
	s_wait_kmcnt 0x0
	s_delay_alu instid0(VALU_DEP_1) | instskip(NEXT) | instid1(VALU_DEP_1)
	v_or_b32_e32 v7, s15, v11
	v_cmpx_ne_u64_e32 0, v[6:7]
	s_xor_b32 s20, exec_lo, s1
	s_cbranch_execz .LBB17_159
; %bb.158:                              ;   in Loop: Header=BB17_157 Depth=1
	s_ashr_i32 s16, s15, 31
	v_dual_mov_b32 v17, v6 :: v_dual_ashrrev_i32 v12, 31, v11
	s_mov_b32 s17, s16
	s_delay_alu instid0(SALU_CYCLE_1) | instskip(NEXT) | instid1(VALU_DEP_1)
	s_add_nc_u64 s[18:19], s[14:15], s[16:17]
	v_mov_b32_e32 v13, v12
	s_xor_b64 s[18:19], s[18:19], s[16:17]
	s_delay_alu instid0(SALU_CYCLE_1)
	s_cvt_f32_u32 s1, s18
	s_cvt_f32_u32 s12, s19
	s_sub_nc_u64 s[26:27], 0, s[18:19]
	s_wait_loadcnt 0x1
	v_add_nc_u64_e32 v[14:15], v[10:11], v[12:13]
	v_mov_b32_e32 v21, v6
	s_fmamk_f32 s1, s12, 0x4f800000, s1
	s_delay_alu instid0(SALU_CYCLE_3) | instskip(NEXT) | instid1(VALU_DEP_2)
	v_s_rcp_f32 s1, s1
	v_xor_b32_e32 v16, v14, v12
	s_delay_alu instid0(VALU_DEP_3) | instskip(NEXT) | instid1(TRANS32_DEP_1)
	v_dual_mov_b32 v25, v6 :: v_dual_bitop2_b32 v20, v15, v12 bitop3:0x14
	s_mul_f32 s1, s1, 0x5f7ffffc
	s_delay_alu instid0(SALU_CYCLE_3) | instskip(NEXT) | instid1(SALU_CYCLE_3)
	s_mul_f32 s12, s1, 0x2f800000
	s_trunc_f32 s12, s12
	s_delay_alu instid0(SALU_CYCLE_3) | instskip(SKIP_1) | instid1(SALU_CYCLE_2)
	s_fmamk_f32 s1, s12, 0xcf800000, s1
	s_cvt_u32_f32 s25, s12
	s_cvt_u32_f32 s24, s1
	s_delay_alu instid0(SALU_CYCLE_3) | instskip(NEXT) | instid1(SALU_CYCLE_1)
	s_mul_u64 s[36:37], s[26:27], s[24:25]
	s_mul_hi_u32 s39, s24, s37
	s_mul_i32 s38, s24, s37
	s_mul_hi_u32 s12, s24, s36
	s_mul_i32 s17, s25, s36
	s_add_nc_u64 s[38:39], s[12:13], s[38:39]
	s_mul_hi_u32 s1, s25, s36
	s_mul_hi_u32 s21, s25, s37
	s_add_co_u32 s12, s38, s17
	s_add_co_ci_u32 s12, s39, s1
	s_mul_i32 s36, s25, s37
	s_add_co_ci_u32 s37, s21, 0
	s_delay_alu instid0(SALU_CYCLE_1) | instskip(NEXT) | instid1(SALU_CYCLE_1)
	s_add_nc_u64 s[36:37], s[12:13], s[36:37]
	s_add_co_u32 s24, s24, s36
	s_cselect_b32 s1, -1, 0
	s_delay_alu instid0(SALU_CYCLE_1) | instskip(SKIP_1) | instid1(SALU_CYCLE_1)
	s_cmp_lg_u32 s1, 0
	s_add_co_ci_u32 s25, s25, s37
	s_mul_u64 s[26:27], s[26:27], s[24:25]
	s_delay_alu instid0(SALU_CYCLE_1)
	s_mul_hi_u32 s37, s24, s27
	s_mul_i32 s36, s24, s27
	s_mul_hi_u32 s12, s24, s26
	s_mul_i32 s17, s25, s26
	s_add_nc_u64 s[36:37], s[12:13], s[36:37]
	s_mul_hi_u32 s1, s25, s26
	s_mul_hi_u32 s21, s25, s27
	s_add_co_u32 s12, s36, s17
	s_add_co_ci_u32 s12, s37, s1
	s_mul_i32 s26, s25, s27
	s_add_co_ci_u32 s27, s21, 0
	s_delay_alu instid0(SALU_CYCLE_1) | instskip(NEXT) | instid1(SALU_CYCLE_1)
	s_add_nc_u64 s[26:27], s[12:13], s[26:27]
	s_add_co_u32 s24, s24, s26
	s_cselect_b32 s1, -1, 0
	s_wait_loadcnt 0x0
	v_mul_hi_u32 v24, v16, s24
	s_cmp_lg_u32 s1, 0
	s_add_co_ci_u32 s12, s25, s27
	s_and_b64 s[26:27], s[24:25], s[8:9]
	v_mul_u64_e32 v[18:19], s[12:13], v[16:17]
	v_mul_u64_e32 v[14:15], s[26:27], v[20:21]
	;; [unrolled: 1-line block ×3, first 2 shown]
	s_delay_alu instid0(VALU_DEP_3) | instskip(NEXT) | instid1(VALU_DEP_1)
	v_add_nc_u64_e32 v[18:19], v[24:25], v[18:19]
	v_add_co_u32 v1, vcc_lo, v18, v14
	s_delay_alu instid0(VALU_DEP_2) | instskip(NEXT) | instid1(VALU_DEP_4)
	v_add_co_ci_u32_e32 v24, vcc_lo, v19, v15, vcc_lo
	v_add_co_ci_u32_e32 v23, vcc_lo, 0, v23, vcc_lo
	s_delay_alu instid0(VALU_DEP_1) | instskip(NEXT) | instid1(VALU_DEP_1)
	v_add_nc_u64_e32 v[14:15], v[24:25], v[22:23]
	v_mul_u64_e32 v[18:19], s[18:19], v[14:15]
	s_delay_alu instid0(VALU_DEP_1) | instskip(NEXT) | instid1(VALU_DEP_2)
	v_sub_nc_u32_e32 v1, v20, v19
	v_sub_co_u32 v3, vcc_lo, v16, v18
	s_delay_alu instid0(VALU_DEP_1) | instskip(NEXT) | instid1(VALU_DEP_3)
	v_sub_co_ci_u32_e64 v7, null, v20, v19, vcc_lo
	v_subrev_co_ci_u32_e64 v1, null, s19, v1, vcc_lo
	s_delay_alu instid0(VALU_DEP_3) | instskip(SKIP_1) | instid1(VALU_DEP_3)
	v_sub_co_u32 v5, s1, v3, s18
	v_add_nc_u64_e32 v[16:17], 2, v[14:15]
	v_subrev_co_ci_u32_e64 v1, null, 0, v1, s1
	s_delay_alu instid0(VALU_DEP_3) | instskip(SKIP_2) | instid1(VALU_DEP_4)
	v_cmp_le_u32_e32 vcc_lo, s18, v5
	v_add_nc_u64_e32 v[18:19], 1, v[14:15]
	v_cndmask_b32_e64 v5, 0, -1, vcc_lo
	v_cmp_le_u32_e32 vcc_lo, s19, v1
	v_cndmask_b32_e64 v13, 0, -1, vcc_lo
	v_cmp_le_u32_e32 vcc_lo, s18, v3
	;; [unrolled: 2-line block ×3, first 2 shown]
	v_cndmask_b32_e64 v20, 0, -1, vcc_lo
	v_cmp_eq_u32_e32 vcc_lo, s19, v1
	v_cndmask_b32_e32 v1, v13, v5, vcc_lo
	v_cmp_eq_u32_e32 vcc_lo, s19, v7
	s_delay_alu instid0(VALU_DEP_4) | instskip(NEXT) | instid1(VALU_DEP_3)
	v_cndmask_b32_e32 v3, v20, v3, vcc_lo
	v_cmp_ne_u32_e32 vcc_lo, 0, v1
	s_delay_alu instid0(VALU_DEP_2) | instskip(SKIP_1) | instid1(VALU_DEP_1)
	v_cmp_ne_u32_e64 s1, 0, v3
	v_dual_cndmask_b32 v1, v19, v17, vcc_lo :: v_dual_cndmask_b32 v3, v18, v16, vcc_lo
	v_dual_cndmask_b32 v1, v15, v1, s1 :: v_dual_bitop2_b32 v12, s16, v12 bitop3:0x14
	s_delay_alu instid0(VALU_DEP_1) | instskip(NEXT) | instid1(VALU_DEP_2)
	v_dual_cndmask_b32 v3, v14, v3, s1 :: v_dual_mov_b32 v13, v12
	v_xor_b32_e32 v15, v1, v12
	s_delay_alu instid0(VALU_DEP_2) | instskip(NEXT) | instid1(VALU_DEP_1)
	v_xor_b32_e32 v14, v3, v12
	v_sub_nc_u64_e32 v[12:13], v[14:15], v[12:13]
.LBB17_159:                             ;   in Loop: Header=BB17_157 Depth=1
	s_and_not1_saveexec_b32 s1, s20
	s_cbranch_execz .LBB17_156
; %bb.160:                              ;   in Loop: Header=BB17_157 Depth=1
	v_cvt_f32_u32_e32 v1, s14
	s_sub_co_i32 s12, 0, s14
	v_mov_b32_e32 v13, v6
	s_delay_alu instid0(VALU_DEP_2) | instskip(SKIP_1) | instid1(TRANS32_DEP_1)
	v_rcp_iflag_f32_e32 v1, v1
	v_nop
	v_mul_f32_e32 v1, 0x4f7ffffe, v1
	s_delay_alu instid0(VALU_DEP_1) | instskip(NEXT) | instid1(VALU_DEP_1)
	v_cvt_u32_f32_e32 v1, v1
	v_mul_lo_u32 v3, s12, v1
	s_delay_alu instid0(VALU_DEP_1) | instskip(NEXT) | instid1(VALU_DEP_1)
	v_mul_hi_u32 v3, v1, v3
	v_add_nc_u32_e32 v1, v1, v3
	s_delay_alu instid0(VALU_DEP_1) | instskip(NEXT) | instid1(VALU_DEP_1)
	v_mul_hi_u32 v1, v10, v1
	v_mul_lo_u32 v3, v1, s14
	s_delay_alu instid0(VALU_DEP_1) | instskip(NEXT) | instid1(VALU_DEP_1)
	v_sub_nc_u32_e32 v3, v10, v3
	v_subrev_nc_u32_e32 v7, s14, v3
	v_cmp_le_u32_e32 vcc_lo, s14, v3
	s_delay_alu instid0(VALU_DEP_2) | instskip(NEXT) | instid1(VALU_DEP_1)
	v_dual_add_nc_u32 v5, 1, v1 :: v_dual_cndmask_b32 v3, v3, v7, vcc_lo
	v_cndmask_b32_e32 v1, v1, v5, vcc_lo
	s_delay_alu instid0(VALU_DEP_2) | instskip(NEXT) | instid1(VALU_DEP_2)
	v_cmp_le_u32_e32 vcc_lo, s14, v3
	v_add_nc_u32_e32 v5, 1, v1
	s_delay_alu instid0(VALU_DEP_1)
	v_cndmask_b32_e32 v12, v1, v5, vcc_lo
	s_branch .LBB17_156
.LBB17_161:
	s_mov_b32 s8, s35
	s_mov_b32 s1, exec_lo
	v_cmpx_gt_i32_e64 v4, v2
	s_cbranch_execz .LBB17_167
; %bb.162:
	s_delay_alu instid0(VALU_DEP_2) | instskip(SKIP_2) | instid1(VALU_DEP_1)
	v_lshlrev_b64_e32 v[6:7], 2, v[8:9]
	v_dual_ashrrev_i32 v3, 31, v2 :: v_dual_ashrrev_i32 v5, 31, v4
	s_xor_b32 s8, s29, -1
                                        ; implicit-def: $sgpr10
                                        ; implicit-def: $sgpr9
	v_lshl_add_u64 v[2:3], v[2:3], 2, v[6:7]
	v_add_nc_u64_e32 v[6:7], s[6:7], v[6:7]
	s_delay_alu instid0(VALU_DEP_2) | instskip(SKIP_1) | instid1(VALU_DEP_2)
	v_add_nc_u64_e32 v[2:3], s[6:7], v[2:3]
	s_mov_b32 s6, 0
                                        ; implicit-def: $sgpr7
	v_lshl_add_u64 v[4:5], v[4:5], 2, v[6:7]
	s_delay_alu instid0(VALU_DEP_2)
	v_add_nc_u64_e32 v[2:3], 4, v[2:3]
	s_branch .LBB17_164
.LBB17_163:                             ;   in Loop: Header=BB17_164 Depth=1
	s_or_b32 exec_lo, exec_lo, s11
	s_xor_b32 s11, s9, -1
	s_and_b32 s12, exec_lo, s10
	s_delay_alu instid0(SALU_CYCLE_1) | instskip(SKIP_2) | instid1(SALU_CYCLE_1)
	s_or_b32 s6, s12, s6
	s_and_not1_b32 s7, s7, exec_lo
	s_and_b32 s11, s11, exec_lo
	s_or_b32 s7, s7, s11
	s_and_not1_b32 exec_lo, exec_lo, s6
	s_cbranch_execz .LBB17_166
.LBB17_164:                             ; =>This Inner Loop Header: Depth=1
	s_or_b32 s9, s9, exec_lo
	s_or_b32 s10, s10, exec_lo
	s_mov_b32 s11, exec_lo
	s_delay_alu instid0(VALU_DEP_1)
	v_cmpx_lt_u64_e64 v[2:3], v[4:5]
	s_cbranch_execz .LBB17_163
; %bb.165:                              ;   in Loop: Header=BB17_164 Depth=1
	global_load_b64 v[6:7], v[2:3], off offset:-4
	s_wait_xcnt 0x0
	v_add_nc_u64_e32 v[2:3], 4, v[2:3]
	s_and_not1_b32 s10, s10, exec_lo
	s_and_not1_b32 s9, s9, exec_lo
	s_wait_loadcnt 0x0
	v_cmp_ge_i32_e32 vcc_lo, v6, v7
	s_or_b32 s12, s8, vcc_lo
	s_delay_alu instid0(SALU_CYCLE_1) | instskip(NEXT) | instid1(SALU_CYCLE_1)
	s_and_b32 s12, s12, exec_lo
	s_or_b32 s10, s10, s12
	s_branch .LBB17_163
.LBB17_166:
	s_or_b32 exec_lo, exec_lo, s6
	s_delay_alu instid0(SALU_CYCLE_1) | instskip(SKIP_1) | instid1(SALU_CYCLE_1)
	s_and_not1_b32 s6, s35, exec_lo
	s_and_b32 s7, s7, exec_lo
	s_or_b32 s8, s6, s7
.LBB17_167:
	s_or_b32 exec_lo, exec_lo, s1
	s_delay_alu instid0(SALU_CYCLE_1)
	s_and_not1_b32 s1, s35, exec_lo
	s_and_b32 s6, s8, exec_lo
	s_or_b32 s44, s44, exec_lo
	s_or_b32 s35, s1, s6
	s_or_b32 exec_lo, exec_lo, s23
	s_and_saveexec_b32 s1, s35
	s_cbranch_execz .LBB17_151
.LBB17_168:
	s_and_not1_b32 s44, s44, exec_lo
	s_or_b32 s3, s3, exec_lo
	s_trap 2
	s_or_b32 exec_lo, exec_lo, s1
	s_and_saveexec_b32 s1, s3
	s_cbranch_execnz .LBB17_105
	s_branch .LBB17_106
.LBB17_169:
	s_mov_b32 s15, -1
	s_mov_b32 s13, 0
	s_mov_b32 s1, exec_lo
	v_cmpx_gt_i32_e64 v14, v16
	s_cbranch_execz .LBB17_175
; %bb.170:
	s_wait_loadcnt 0x0
	s_delay_alu instid0(VALU_DEP_2) | instskip(SKIP_2) | instid1(VALU_DEP_1)
	v_lshlrev_b64_e32 v[18:19], 2, v[20:21]
	v_dual_ashrrev_i32 v17, 31, v16 :: v_dual_ashrrev_i32 v15, 31, v14
	s_xor_b32 s15, s29, -1
                                        ; implicit-def: $sgpr14
                                        ; implicit-def: $sgpr17
                                        ; implicit-def: $sgpr16
	v_lshl_add_u64 v[16:17], v[16:17], 2, v[18:19]
	v_add_nc_u64_e32 v[18:19], s[6:7], v[18:19]
	s_delay_alu instid0(VALU_DEP_2) | instskip(NEXT) | instid1(VALU_DEP_2)
	v_add_nc_u64_e32 v[16:17], s[6:7], v[16:17]
	v_lshl_add_u64 v[14:15], v[14:15], 2, v[18:19]
	s_delay_alu instid0(VALU_DEP_2)
	v_add_nc_u64_e32 v[16:17], 4, v[16:17]
	s_branch .LBB17_172
.LBB17_171:                             ;   in Loop: Header=BB17_172 Depth=1
	s_or_b32 exec_lo, exec_lo, s18
	s_delay_alu instid0(SALU_CYCLE_1) | instskip(NEXT) | instid1(SALU_CYCLE_1)
	s_and_b32 s18, exec_lo, s17
	s_or_b32 s13, s18, s13
	s_and_not1_b32 s14, s14, exec_lo
	s_and_b32 s18, s16, exec_lo
	s_delay_alu instid0(SALU_CYCLE_1)
	s_or_b32 s14, s14, s18
	s_and_not1_b32 exec_lo, exec_lo, s13
	s_cbranch_execz .LBB17_174
.LBB17_172:                             ; =>This Inner Loop Header: Depth=1
	s_or_b32 s16, s16, exec_lo
	s_or_b32 s17, s17, exec_lo
	s_mov_b32 s18, exec_lo
	s_delay_alu instid0(VALU_DEP_1)
	v_cmpx_lt_u64_e64 v[16:17], v[14:15]
	s_cbranch_execz .LBB17_171
; %bb.173:                              ;   in Loop: Header=BB17_172 Depth=1
	global_load_b64 v[18:19], v[16:17], off offset:-4
	s_wait_xcnt 0x0
	v_add_nc_u64_e32 v[16:17], 4, v[16:17]
	s_and_not1_b32 s17, s17, exec_lo
	s_and_not1_b32 s16, s16, exec_lo
	s_wait_loadcnt 0x0
	v_cmp_ge_i32_e32 vcc_lo, v18, v19
	s_or_b32 s19, s15, vcc_lo
	s_delay_alu instid0(SALU_CYCLE_1) | instskip(NEXT) | instid1(SALU_CYCLE_1)
	s_and_b32 s19, s19, exec_lo
	s_or_b32 s17, s17, s19
	s_branch .LBB17_171
.LBB17_174:
	s_or_b32 exec_lo, exec_lo, s13
	s_delay_alu instid0(SALU_CYCLE_1)
	s_mov_b32 s13, exec_lo
	s_or_not1_b32 s15, s14, exec_lo
.LBB17_175:
	s_or_b32 exec_lo, exec_lo, s1
	s_delay_alu instid0(SALU_CYCLE_1)
	s_and_b32 s14, s13, exec_lo
	s_xor_b32 s13, exec_lo, -1
	s_and_b32 s1, s15, exec_lo
.LBB17_176:
	s_or_b32 exec_lo, exec_lo, s45
	s_delay_alu instid0(SALU_CYCLE_1)
	s_and_not1_b32 s15, s38, exec_lo
	s_and_b32 s13, s13, exec_lo
	s_and_b32 s14, s14, exec_lo
	s_or_b32 s15, s15, s13
	s_xor_b32 s13, exec_lo, -1
	s_and_b32 s1, s1, exec_lo
.LBB17_177:
	s_or_b32 exec_lo, exec_lo, s44
	s_delay_alu instid0(SALU_CYCLE_1)
	s_and_not1_b32 s16, s38, exec_lo
	s_and_b32 s15, s15, exec_lo
	s_and_not1_b32 s17, s39, exec_lo
	s_and_b32 s13, s13, exec_lo
	s_and_b32 s14, s14, exec_lo
	s_or_b32 s16, s16, s15
	s_or_b32 s15, s17, s13
	s_xor_b32 s13, exec_lo, -1
	s_and_b32 s1, s1, exec_lo
.LBB17_178:
	s_or_b32 exec_lo, exec_lo, s43
	s_delay_alu instid0(SALU_CYCLE_1)
	s_and_not1_b32 s17, s38, exec_lo
	s_and_b32 s16, s16, exec_lo
	s_and_b32 s44, s14, exec_lo
	s_or_b32 s45, s17, s16
	s_and_not1_b32 s14, s39, exec_lo
	s_and_b32 s15, s15, exec_lo
	s_and_not1_b32 s16, s41, exec_lo
	s_and_b32 s13, s13, exec_lo
	s_or_b32 s46, s14, s15
	s_or_b32 s43, s16, s13
	s_or_not1_b32 s1, s1, exec_lo
.LBB17_179:
	s_or_b32 exec_lo, exec_lo, s40
	s_mov_b32 s15, 0
                                        ; implicit-def: $sgpr40
                                        ; implicit-def: $sgpr22
	s_and_saveexec_b32 s47, s1
	s_cbranch_execz .LBB17_206
; %bb.180:
	v_or_b32_e32 v5, 0x200, v0
	s_mov_b32 s17, -1
	s_mov_b32 s48, 0
	s_mov_b32 s1, s43
	;; [unrolled: 1-line block ×3, first 2 shown]
	v_cmp_gt_i32_e64 s40, s33, v5
	s_mov_b32 s13, s45
	s_and_saveexec_b32 s49, s40
	s_cbranch_execz .LBB17_201
; %bb.181:
	v_cmp_eq_u32_e32 vcc_lo, s36, v9
	s_mov_b32 s1, -1
	s_mov_b32 s16, 0
	s_mov_b32 s17, s46
	;; [unrolled: 1-line block ×3, first 2 shown]
	s_and_b32 s14, s37, vcc_lo
	s_mov_b32 s13, 0
	s_and_saveexec_b32 s50, s14
	s_cbranch_execz .LBB17_200
; %bb.182:
	v_cmp_eq_u32_e32 vcc_lo, s10, v11
	s_mov_b32 s14, 0
	s_mov_b32 s15, s45
	s_and_b32 s13, s34, vcc_lo
	s_delay_alu instid0(SALU_CYCLE_1)
	s_and_saveexec_b32 s51, s13
	s_cbranch_execz .LBB17_199
; %bb.183:
	v_sub_nc_u32_e32 v5, v8, v10
	s_mov_b32 s14, -1
	s_mov_b32 s13, 0
	s_delay_alu instid0(VALU_DEP_1) | instskip(SKIP_2) | instid1(SALU_CYCLE_1)
	v_cmp_le_i32_e32 vcc_lo, v9, v5
	v_cmp_ge_i32_e64 s1, s8, v5
	s_and_b32 s1, vcc_lo, s1
	s_and_b32 s15, s30, s1
	s_mov_b32 s1, 0
	s_and_saveexec_b32 s52, s15
	s_cbranch_execz .LBB17_198
; %bb.184:
	s_wait_loadcnt 0x1
	v_mov_b64_e32 v[14:15], 0
	s_and_not1_b32 vcc_lo, exec_lo, s9
	s_cbranch_vccnz .LBB17_191
; %bb.185:
	v_dual_mov_b32 v14, v13 :: v_dual_ashrrev_i32 v15, 31, v13
	s_ashr_i32 s13, s12, 31
	v_mov_b32_e32 v12, 0
	s_lshl_b64 s[16:17], s[12:13], 3
	s_mov_b64 s[14:15], 0xffffffff
	v_mul_u64_e32 v[16:17], s[10:11], v[14:15]
	v_mov_b64_e32 v[14:15], 0
	s_add_nc_u64 s[16:17], s[20:21], s[16:17]
	s_mov_b32 s19, 0
	s_add_nc_u64 s[16:17], s[16:17], 32
	s_mov_b32 s13, s28
	s_branch .LBB17_187
.LBB17_186:                             ;   in Loop: Header=BB17_187 Depth=1
	s_or_b32 exec_lo, exec_lo, s1
	s_wait_loadcnt 0x0
	s_delay_alu instid0(VALU_DEP_1)
	v_mul_u64_e32 v[20:21], s[22:23], v[18:19]
	s_load_b64 s[22:23], s[16:17], 0x40
	s_add_co_i32 s13, s13, -1
	s_wait_xcnt 0x0
	s_add_nc_u64 s[16:17], s[16:17], -8
	s_cmp_lg_u32 s13, 0
	s_delay_alu instid0(VALU_DEP_1) | instskip(SKIP_1) | instid1(VALU_DEP_1)
	v_sub_nc_u64_e32 v[16:17], v[16:17], v[20:21]
	s_wait_kmcnt 0x0
	v_mad_nc_u64_u32 v[14:15], v16, s22, v[14:15]
	s_delay_alu instid0(VALU_DEP_1) | instskip(NEXT) | instid1(VALU_DEP_1)
	v_mad_u32 v5, v17, s22, v15
	v_mad_u32 v15, v16, s23, v5
	v_mov_b64_e32 v[16:17], v[18:19]
	s_cbranch_scc0 .LBB17_191
.LBB17_187:                             ; =>This Inner Loop Header: Depth=1
	s_load_b64 s[22:23], s[16:17], 0x0
                                        ; implicit-def: $vgpr18_vgpr19
	s_mov_b32 s1, exec_lo
	s_wait_kmcnt 0x0
	s_delay_alu instid0(VALU_DEP_1) | instskip(NEXT) | instid1(VALU_DEP_1)
	v_or_b32_e32 v13, s23, v17
	v_cmpx_ne_u64_e32 0, v[12:13]
	s_xor_b32 s53, exec_lo, s1
	s_cbranch_execz .LBB17_189
; %bb.188:                              ;   in Loop: Header=BB17_187 Depth=1
	s_ashr_i32 s24, s23, 31
	s_wait_loadcnt 0x0
	v_dual_mov_b32 v23, v12 :: v_dual_ashrrev_i32 v18, 31, v17
	s_mov_b32 s25, s24
	s_delay_alu instid0(SALU_CYCLE_1) | instskip(NEXT) | instid1(VALU_DEP_1)
	s_add_nc_u64 s[26:27], s[22:23], s[24:25]
	v_mov_b32_e32 v19, v18
	s_xor_b64 s[26:27], s[26:27], s[24:25]
	s_delay_alu instid0(SALU_CYCLE_1)
	s_cvt_f32_u32 s1, s26
	s_cvt_f32_u32 s18, s27
	s_sub_nc_u64 s[56:57], 0, s[26:27]
	v_add_nc_u64_e32 v[20:21], v[16:17], v[18:19]
	v_mov_b32_e32 v27, v12
	s_fmamk_f32 s1, s18, 0x4f800000, s1
	s_delay_alu instid0(SALU_CYCLE_3) | instskip(NEXT) | instid1(VALU_DEP_2)
	v_s_rcp_f32 s1, s1
	v_xor_b32_e32 v22, v20, v18
	s_delay_alu instid0(VALU_DEP_3) | instskip(NEXT) | instid1(TRANS32_DEP_1)
	v_dual_mov_b32 v31, v12 :: v_dual_bitop2_b32 v26, v21, v18 bitop3:0x14
	s_mul_f32 s1, s1, 0x5f7ffffc
	s_delay_alu instid0(SALU_CYCLE_3) | instskip(NEXT) | instid1(SALU_CYCLE_3)
	s_mul_f32 s18, s1, 0x2f800000
	s_trunc_f32 s18, s18
	s_delay_alu instid0(SALU_CYCLE_3) | instskip(SKIP_1) | instid1(SALU_CYCLE_2)
	s_fmamk_f32 s1, s18, 0xcf800000, s1
	s_cvt_u32_f32 s55, s18
	s_cvt_u32_f32 s54, s1
	s_delay_alu instid0(SALU_CYCLE_3) | instskip(NEXT) | instid1(SALU_CYCLE_1)
	s_mul_u64 s[58:59], s[56:57], s[54:55]
	s_mul_hi_u32 s61, s54, s59
	s_mul_i32 s60, s54, s59
	s_mul_hi_u32 s18, s54, s58
	s_mul_i32 s25, s55, s58
	s_add_nc_u64 s[60:61], s[18:19], s[60:61]
	s_mul_hi_u32 s1, s55, s58
	s_mul_hi_u32 s62, s55, s59
	s_add_co_u32 s18, s60, s25
	s_add_co_ci_u32 s18, s61, s1
	s_mul_i32 s58, s55, s59
	s_add_co_ci_u32 s59, s62, 0
	s_delay_alu instid0(SALU_CYCLE_1) | instskip(NEXT) | instid1(SALU_CYCLE_1)
	s_add_nc_u64 s[58:59], s[18:19], s[58:59]
	s_add_co_u32 s54, s54, s58
	s_cselect_b32 s1, -1, 0
	s_delay_alu instid0(SALU_CYCLE_1) | instskip(SKIP_1) | instid1(SALU_CYCLE_1)
	s_cmp_lg_u32 s1, 0
	s_add_co_ci_u32 s55, s55, s59
	s_mul_u64 s[56:57], s[56:57], s[54:55]
	s_delay_alu instid0(SALU_CYCLE_1)
	s_mul_hi_u32 s59, s54, s57
	s_mul_i32 s58, s54, s57
	s_mul_hi_u32 s18, s54, s56
	s_mul_i32 s25, s55, s56
	s_add_nc_u64 s[58:59], s[18:19], s[58:59]
	s_mul_hi_u32 s1, s55, s56
	s_mul_hi_u32 s60, s55, s57
	s_add_co_u32 s18, s58, s25
	s_add_co_ci_u32 s18, s59, s1
	s_mul_i32 s56, s55, s57
	s_add_co_ci_u32 s57, s60, 0
	s_delay_alu instid0(SALU_CYCLE_1) | instskip(NEXT) | instid1(SALU_CYCLE_1)
	s_add_nc_u64 s[56:57], s[18:19], s[56:57]
	s_add_co_u32 s54, s54, s56
	s_cselect_b32 s1, -1, 0
	v_mul_hi_u32 v30, v22, s54
	s_cmp_lg_u32 s1, 0
	s_add_co_ci_u32 s18, s55, s57
	s_and_b64 s[56:57], s[54:55], s[14:15]
	v_mul_u64_e32 v[24:25], s[18:19], v[22:23]
	v_mul_u64_e32 v[20:21], s[56:57], v[26:27]
	;; [unrolled: 1-line block ×3, first 2 shown]
	s_delay_alu instid0(VALU_DEP_3) | instskip(NEXT) | instid1(VALU_DEP_1)
	v_add_nc_u64_e32 v[24:25], v[30:31], v[24:25]
	v_add_co_u32 v5, vcc_lo, v24, v20
	s_delay_alu instid0(VALU_DEP_2) | instskip(NEXT) | instid1(VALU_DEP_4)
	v_add_co_ci_u32_e32 v30, vcc_lo, v25, v21, vcc_lo
	v_add_co_ci_u32_e32 v29, vcc_lo, 0, v29, vcc_lo
	s_delay_alu instid0(VALU_DEP_1) | instskip(NEXT) | instid1(VALU_DEP_1)
	v_add_nc_u64_e32 v[20:21], v[30:31], v[28:29]
	v_mul_u64_e32 v[24:25], s[26:27], v[20:21]
	s_delay_alu instid0(VALU_DEP_1) | instskip(NEXT) | instid1(VALU_DEP_2)
	v_sub_nc_u32_e32 v5, v26, v25
	v_sub_co_u32 v9, vcc_lo, v22, v24
	s_delay_alu instid0(VALU_DEP_1) | instskip(NEXT) | instid1(VALU_DEP_3)
	v_sub_co_ci_u32_e64 v13, null, v26, v25, vcc_lo
	v_subrev_co_ci_u32_e64 v5, null, s27, v5, vcc_lo
	s_delay_alu instid0(VALU_DEP_3) | instskip(SKIP_1) | instid1(VALU_DEP_3)
	v_sub_co_u32 v11, s1, v9, s26
	v_add_nc_u64_e32 v[22:23], 2, v[20:21]
	v_subrev_co_ci_u32_e64 v5, null, 0, v5, s1
	s_delay_alu instid0(VALU_DEP_3) | instskip(SKIP_2) | instid1(VALU_DEP_4)
	v_cmp_le_u32_e32 vcc_lo, s26, v11
	v_add_nc_u64_e32 v[24:25], 1, v[20:21]
	v_cndmask_b32_e64 v11, 0, -1, vcc_lo
	v_cmp_le_u32_e32 vcc_lo, s27, v5
	v_cndmask_b32_e64 v19, 0, -1, vcc_lo
	v_cmp_le_u32_e32 vcc_lo, s26, v9
	;; [unrolled: 2-line block ×3, first 2 shown]
	v_cndmask_b32_e64 v26, 0, -1, vcc_lo
	v_cmp_eq_u32_e32 vcc_lo, s27, v5
	v_cndmask_b32_e32 v5, v19, v11, vcc_lo
	v_cmp_eq_u32_e32 vcc_lo, s27, v13
	s_delay_alu instid0(VALU_DEP_4) | instskip(NEXT) | instid1(VALU_DEP_3)
	v_cndmask_b32_e32 v9, v26, v9, vcc_lo
	v_cmp_ne_u32_e32 vcc_lo, 0, v5
	s_delay_alu instid0(VALU_DEP_2) | instskip(SKIP_1) | instid1(VALU_DEP_1)
	v_cmp_ne_u32_e64 s1, 0, v9
	v_dual_cndmask_b32 v5, v25, v23, vcc_lo :: v_dual_cndmask_b32 v9, v24, v22, vcc_lo
	v_dual_cndmask_b32 v5, v21, v5, s1 :: v_dual_bitop2_b32 v18, s24, v18 bitop3:0x14
	s_delay_alu instid0(VALU_DEP_1) | instskip(NEXT) | instid1(VALU_DEP_2)
	v_dual_cndmask_b32 v9, v20, v9, s1 :: v_dual_mov_b32 v19, v18
	v_xor_b32_e32 v21, v5, v18
	s_delay_alu instid0(VALU_DEP_2) | instskip(NEXT) | instid1(VALU_DEP_1)
	v_xor_b32_e32 v20, v9, v18
	v_sub_nc_u64_e32 v[18:19], v[20:21], v[18:19]
.LBB17_189:                             ;   in Loop: Header=BB17_187 Depth=1
	s_and_not1_saveexec_b32 s1, s53
	s_cbranch_execz .LBB17_186
; %bb.190:                              ;   in Loop: Header=BB17_187 Depth=1
	v_cvt_f32_u32_e32 v5, s22
	s_sub_co_i32 s18, 0, s22
	v_mov_b32_e32 v19, v12
	s_delay_alu instid0(VALU_DEP_2) | instskip(SKIP_1) | instid1(TRANS32_DEP_1)
	v_rcp_iflag_f32_e32 v5, v5
	v_nop
	v_mul_f32_e32 v5, 0x4f7ffffe, v5
	s_delay_alu instid0(VALU_DEP_1) | instskip(NEXT) | instid1(VALU_DEP_1)
	v_cvt_u32_f32_e32 v5, v5
	v_mul_lo_u32 v9, s18, v5
	s_delay_alu instid0(VALU_DEP_1) | instskip(NEXT) | instid1(VALU_DEP_1)
	v_mul_hi_u32 v9, v5, v9
	v_add_nc_u32_e32 v5, v5, v9
	s_delay_alu instid0(VALU_DEP_1) | instskip(NEXT) | instid1(VALU_DEP_1)
	v_mul_hi_u32 v5, v16, v5
	v_mul_lo_u32 v9, v5, s22
	v_add_nc_u32_e32 v11, 1, v5
	s_delay_alu instid0(VALU_DEP_2) | instskip(NEXT) | instid1(VALU_DEP_1)
	v_sub_nc_u32_e32 v9, v16, v9
	v_subrev_nc_u32_e32 v13, s22, v9
	v_cmp_le_u32_e32 vcc_lo, s22, v9
	s_delay_alu instid0(VALU_DEP_2) | instskip(SKIP_1) | instid1(VALU_DEP_2)
	v_cndmask_b32_e32 v9, v9, v13, vcc_lo
	v_cndmask_b32_e32 v5, v5, v11, vcc_lo
	v_cmp_le_u32_e32 vcc_lo, s22, v9
	s_delay_alu instid0(VALU_DEP_2) | instskip(SKIP_1) | instid1(VALU_DEP_1)
	v_add_nc_u32_e32 v11, 1, v5
	s_wait_loadcnt 0x0
	v_cndmask_b32_e32 v18, v5, v11, vcc_lo
	s_branch .LBB17_186
.LBB17_191:
	s_mov_b32 s13, -1
	s_mov_b32 s15, 0
	s_mov_b32 s1, exec_lo
	v_cmpx_gt_i32_e64 v8, v10
	s_cbranch_execz .LBB17_197
; %bb.192:
	s_delay_alu instid0(VALU_DEP_2) | instskip(SKIP_3) | instid1(VALU_DEP_1)
	v_lshlrev_b64_e32 v[12:13], 2, v[14:15]
	v_dual_ashrrev_i32 v11, 31, v10 :: v_dual_ashrrev_i32 v9, 31, v8
	s_mov_b32 s13, 0
	s_xor_b32 s15, s29, -1
                                        ; implicit-def: $sgpr14
                                        ; implicit-def: $sgpr17
                                        ; implicit-def: $sgpr16
	v_lshl_add_u64 v[10:11], v[10:11], 2, v[12:13]
	v_add_nc_u64_e32 v[12:13], s[6:7], v[12:13]
	s_delay_alu instid0(VALU_DEP_2) | instskip(NEXT) | instid1(VALU_DEP_2)
	v_add_nc_u64_e32 v[10:11], s[6:7], v[10:11]
	v_lshl_add_u64 v[8:9], v[8:9], 2, v[12:13]
	s_delay_alu instid0(VALU_DEP_2)
	v_add_nc_u64_e32 v[10:11], 4, v[10:11]
	s_branch .LBB17_194
.LBB17_193:                             ;   in Loop: Header=BB17_194 Depth=1
	s_or_b32 exec_lo, exec_lo, s18
	s_delay_alu instid0(SALU_CYCLE_1) | instskip(NEXT) | instid1(SALU_CYCLE_1)
	s_and_b32 s18, exec_lo, s17
	s_or_b32 s13, s18, s13
	s_and_not1_b32 s14, s14, exec_lo
	s_and_b32 s18, s16, exec_lo
	s_delay_alu instid0(SALU_CYCLE_1)
	s_or_b32 s14, s14, s18
	s_and_not1_b32 exec_lo, exec_lo, s13
	s_cbranch_execz .LBB17_196
.LBB17_194:                             ; =>This Inner Loop Header: Depth=1
	s_or_b32 s16, s16, exec_lo
	s_or_b32 s17, s17, exec_lo
	s_mov_b32 s18, exec_lo
	s_delay_alu instid0(VALU_DEP_1)
	v_cmpx_lt_u64_e64 v[10:11], v[8:9]
	s_cbranch_execz .LBB17_193
; %bb.195:                              ;   in Loop: Header=BB17_194 Depth=1
	global_load_b64 v[12:13], v[10:11], off offset:-4
	s_wait_xcnt 0x0
	v_add_nc_u64_e32 v[10:11], 4, v[10:11]
	s_and_not1_b32 s17, s17, exec_lo
	s_and_not1_b32 s16, s16, exec_lo
	s_wait_loadcnt 0x0
	v_cmp_ge_i32_e32 vcc_lo, v12, v13
	s_or_b32 s19, s15, vcc_lo
	s_delay_alu instid0(SALU_CYCLE_1) | instskip(NEXT) | instid1(SALU_CYCLE_1)
	s_and_b32 s19, s19, exec_lo
	s_or_b32 s17, s17, s19
	s_branch .LBB17_193
.LBB17_196:
	s_or_b32 exec_lo, exec_lo, s13
	s_delay_alu instid0(SALU_CYCLE_1)
	s_mov_b32 s15, exec_lo
	s_or_not1_b32 s13, s14, exec_lo
.LBB17_197:
	s_or_b32 exec_lo, exec_lo, s1
	s_delay_alu instid0(SALU_CYCLE_1)
	s_and_b32 s1, s15, exec_lo
	s_xor_b32 s14, exec_lo, -1
	s_and_b32 s13, s13, exec_lo
.LBB17_198:
	s_or_b32 exec_lo, exec_lo, s52
	s_delay_alu instid0(SALU_CYCLE_1)
	s_and_not1_b32 s15, s45, exec_lo
	s_and_b32 s14, s14, exec_lo
	s_and_b32 s16, s1, exec_lo
	s_or_b32 s15, s15, s14
	s_xor_b32 s1, exec_lo, -1
	s_and_b32 s14, s13, exec_lo
.LBB17_199:
	s_or_b32 exec_lo, exec_lo, s51
	s_delay_alu instid0(SALU_CYCLE_1)
	s_and_b32 s13, s16, exec_lo
	s_and_not1_b32 s16, s45, exec_lo
	s_and_b32 s15, s15, exec_lo
	s_and_not1_b32 s17, s46, exec_lo
	s_and_b32 s1, s1, exec_lo
	s_or_b32 s15, s16, s15
	s_or_b32 s17, s17, s1
	s_xor_b32 s1, exec_lo, -1
	s_and_b32 s16, s14, exec_lo
.LBB17_200:
	s_or_b32 exec_lo, exec_lo, s50
	s_delay_alu instid0(SALU_CYCLE_1)
	s_and_not1_b32 s14, s45, exec_lo
	s_and_b32 s18, s15, exec_lo
	s_and_b32 s15, s13, exec_lo
	s_or_b32 s13, s14, s18
	s_and_not1_b32 s14, s46, exec_lo
	s_and_b32 s17, s17, exec_lo
	s_and_not1_b32 s18, s43, exec_lo
	s_and_b32 s1, s1, exec_lo
	s_or_b32 s14, s14, s17
	s_or_b32 s1, s18, s1
	s_or_not1_b32 s17, s16, exec_lo
.LBB17_201:
	s_or_b32 exec_lo, exec_lo, s49
	s_mov_b32 s18, 0
                                        ; implicit-def: $sgpr22
	s_and_saveexec_b32 s16, s17
	s_cbranch_execz .LBB17_205
; %bb.202:
	v_or_b32_e32 v5, 0x300, v0
	s_mov_b32 s17, 0
	s_mov_b32 s18, -1
	s_mov_b32 s19, s1
	s_delay_alu instid0(VALU_DEP_1) | instskip(SKIP_1) | instid1(SALU_CYCLE_1)
	v_cmp_gt_i32_e64 s22, s33, v5
	s_and_saveexec_b32 s23, s22
	s_xor_b32 s23, exec_lo, s23
; %bb.203:
	v_cmp_ne_u32_e32 vcc_lo, s36, v1
	s_xor_b32 s18, s37, -1
	s_and_not1_b32 s19, s1, exec_lo
	s_mov_b32 s17, exec_lo
	s_or_b32 s18, s18, vcc_lo
	s_delay_alu instid0(SALU_CYCLE_1)
	s_and_b32 s24, s18, exec_lo
	s_xor_b32 s18, exec_lo, -1
	s_or_b32 s19, s19, s24
; %bb.204:
	s_or_b32 exec_lo, exec_lo, s23
	s_delay_alu instid0(SALU_CYCLE_1)
	s_and_not1_b32 s1, s1, exec_lo
	s_and_b32 s19, s19, exec_lo
	s_and_b32 s18, s18, exec_lo
	s_and_not1_b32 s15, s15, exec_lo
	s_and_b32 s48, s17, exec_lo
	s_or_b32 s1, s1, s19
.LBB17_205:
	s_or_b32 exec_lo, exec_lo, s16
	s_delay_alu instid0(SALU_CYCLE_1)
	s_and_not1_b32 s16, s44, exec_lo
	s_and_b32 s17, s15, exec_lo
	s_and_b32 s13, s13, exec_lo
	s_or_b32 s44, s16, s17
	s_and_not1_b32 s16, s45, exec_lo
	s_and_not1_b32 s17, s46, exec_lo
	s_and_b32 s14, s14, exec_lo
	s_or_b32 s45, s16, s13
	s_and_not1_b32 s13, s43, exec_lo
	s_and_b32 s1, s1, exec_lo
	s_and_b32 s15, s18, exec_lo
	s_or_b32 s46, s17, s14
	s_and_b32 s48, s48, exec_lo
	s_or_b32 s43, s13, s1
.LBB17_206:
	s_or_b32 exec_lo, exec_lo, s47
	s_delay_alu instid0(SALU_CYCLE_1)
	s_and_not1_b32 s1, s35, exec_lo
	s_and_b32 s13, s44, exec_lo
	s_and_b32 s44, s15, exec_lo
	s_or_b32 s35, s1, s13
	s_and_not1_b32 s1, s38, exec_lo
	s_and_b32 s13, s45, exec_lo
	s_and_not1_b32 s14, s39, exec_lo
	s_and_b32 s15, s46, exec_lo
	s_or_b32 s38, s1, s13
	s_and_not1_b32 s1, s41, exec_lo
	s_and_b32 s13, s43, exec_lo
	s_or_b32 s39, s14, s15
	s_and_b32 s43, s48, exec_lo
	s_or_b32 s41, s1, s13
	s_or_b32 exec_lo, exec_lo, s42
	s_and_saveexec_b32 s1, s41
	s_cbranch_execz .LBB17_144
.LBB17_207:
	s_or_b32 s3, s3, exec_lo
	s_and_not1_b32 s43, s43, exec_lo
	s_trap 2
	s_branch .LBB17_144
.LBB17_208:
	s_mov_b32 s3, exec_lo
	s_and_not1_b32 s31, s31, exec_lo
	s_trap 2
	s_branch .LBB17_65
.LBB17_209:
	s_or_b32 s3, s3, exec_lo
	s_and_not1_b32 s34, s34, exec_lo
	s_trap 2
	s_branch .LBB17_68
.LBB17_210:
	s_or_b32 s3, s3, exec_lo
	s_and_not1_b32 s1, s1, exec_lo
	s_trap 2
	s_branch .LBB17_147
	.section	.rodata,"a",@progbits
	.p2align	6, 0x0
	.amdhsa_kernel _ZN2at6native29vectorized_elementwise_kernelILi8EZZZNS0_12_GLOBAL__N_142_validate_compressed_sparse_indices_kernelILNS2_8CDimNameE0ENS2_18CUDAKernelLauncherENS2_14EmptyVecKernelENS2_8DummyVecELm8EEEvRKNS_6TensorESA_lllENKUlvE1_clEvENKUlvE_clEvEUliiiiiE_St5arrayIPcLm6EEEEviT0_T1_
		.amdhsa_group_segment_fixed_size 0
		.amdhsa_private_segment_fixed_size 0
		.amdhsa_kernarg_size 224
		.amdhsa_user_sgpr_count 2
		.amdhsa_user_sgpr_dispatch_ptr 0
		.amdhsa_user_sgpr_queue_ptr 0
		.amdhsa_user_sgpr_kernarg_segment_ptr 1
		.amdhsa_user_sgpr_dispatch_id 0
		.amdhsa_user_sgpr_kernarg_preload_length 0
		.amdhsa_user_sgpr_kernarg_preload_offset 0
		.amdhsa_user_sgpr_private_segment_size 0
		.amdhsa_wavefront_size32 1
		.amdhsa_uses_dynamic_stack 0
		.amdhsa_enable_private_segment 0
		.amdhsa_system_sgpr_workgroup_id_x 1
		.amdhsa_system_sgpr_workgroup_id_y 0
		.amdhsa_system_sgpr_workgroup_id_z 0
		.amdhsa_system_sgpr_workgroup_info 0
		.amdhsa_system_vgpr_workitem_id 0
		.amdhsa_next_free_vgpr 44
		.amdhsa_next_free_sgpr 69
		.amdhsa_named_barrier_count 0
		.amdhsa_reserve_vcc 1
		.amdhsa_float_round_mode_32 0
		.amdhsa_float_round_mode_16_64 0
		.amdhsa_float_denorm_mode_32 3
		.amdhsa_float_denorm_mode_16_64 3
		.amdhsa_fp16_overflow 0
		.amdhsa_memory_ordered 1
		.amdhsa_forward_progress 1
		.amdhsa_inst_pref_size 103
		.amdhsa_round_robin_scheduling 0
		.amdhsa_exception_fp_ieee_invalid_op 0
		.amdhsa_exception_fp_denorm_src 0
		.amdhsa_exception_fp_ieee_div_zero 0
		.amdhsa_exception_fp_ieee_overflow 0
		.amdhsa_exception_fp_ieee_underflow 0
		.amdhsa_exception_fp_ieee_inexact 0
		.amdhsa_exception_int_div_zero 0
	.end_amdhsa_kernel
	.section	.text._ZN2at6native29vectorized_elementwise_kernelILi8EZZZNS0_12_GLOBAL__N_142_validate_compressed_sparse_indices_kernelILNS2_8CDimNameE0ENS2_18CUDAKernelLauncherENS2_14EmptyVecKernelENS2_8DummyVecELm8EEEvRKNS_6TensorESA_lllENKUlvE1_clEvENKUlvE_clEvEUliiiiiE_St5arrayIPcLm6EEEEviT0_T1_,"axG",@progbits,_ZN2at6native29vectorized_elementwise_kernelILi8EZZZNS0_12_GLOBAL__N_142_validate_compressed_sparse_indices_kernelILNS2_8CDimNameE0ENS2_18CUDAKernelLauncherENS2_14EmptyVecKernelENS2_8DummyVecELm8EEEvRKNS_6TensorESA_lllENKUlvE1_clEvENKUlvE_clEvEUliiiiiE_St5arrayIPcLm6EEEEviT0_T1_,comdat
.Lfunc_end17:
	.size	_ZN2at6native29vectorized_elementwise_kernelILi8EZZZNS0_12_GLOBAL__N_142_validate_compressed_sparse_indices_kernelILNS2_8CDimNameE0ENS2_18CUDAKernelLauncherENS2_14EmptyVecKernelENS2_8DummyVecELm8EEEvRKNS_6TensorESA_lllENKUlvE1_clEvENKUlvE_clEvEUliiiiiE_St5arrayIPcLm6EEEEviT0_T1_, .Lfunc_end17-_ZN2at6native29vectorized_elementwise_kernelILi8EZZZNS0_12_GLOBAL__N_142_validate_compressed_sparse_indices_kernelILNS2_8CDimNameE0ENS2_18CUDAKernelLauncherENS2_14EmptyVecKernelENS2_8DummyVecELm8EEEvRKNS_6TensorESA_lllENKUlvE1_clEvENKUlvE_clEvEUliiiiiE_St5arrayIPcLm6EEEEviT0_T1_
                                        ; -- End function
	.set _ZN2at6native29vectorized_elementwise_kernelILi8EZZZNS0_12_GLOBAL__N_142_validate_compressed_sparse_indices_kernelILNS2_8CDimNameE0ENS2_18CUDAKernelLauncherENS2_14EmptyVecKernelENS2_8DummyVecELm8EEEvRKNS_6TensorESA_lllENKUlvE1_clEvENKUlvE_clEvEUliiiiiE_St5arrayIPcLm6EEEEviT0_T1_.num_vgpr, 44
	.set _ZN2at6native29vectorized_elementwise_kernelILi8EZZZNS0_12_GLOBAL__N_142_validate_compressed_sparse_indices_kernelILNS2_8CDimNameE0ENS2_18CUDAKernelLauncherENS2_14EmptyVecKernelENS2_8DummyVecELm8EEEvRKNS_6TensorESA_lllENKUlvE1_clEvENKUlvE_clEvEUliiiiiE_St5arrayIPcLm6EEEEviT0_T1_.num_agpr, 0
	.set _ZN2at6native29vectorized_elementwise_kernelILi8EZZZNS0_12_GLOBAL__N_142_validate_compressed_sparse_indices_kernelILNS2_8CDimNameE0ENS2_18CUDAKernelLauncherENS2_14EmptyVecKernelENS2_8DummyVecELm8EEEvRKNS_6TensorESA_lllENKUlvE1_clEvENKUlvE_clEvEUliiiiiE_St5arrayIPcLm6EEEEviT0_T1_.numbered_sgpr, 69
	.set _ZN2at6native29vectorized_elementwise_kernelILi8EZZZNS0_12_GLOBAL__N_142_validate_compressed_sparse_indices_kernelILNS2_8CDimNameE0ENS2_18CUDAKernelLauncherENS2_14EmptyVecKernelENS2_8DummyVecELm8EEEvRKNS_6TensorESA_lllENKUlvE1_clEvENKUlvE_clEvEUliiiiiE_St5arrayIPcLm6EEEEviT0_T1_.num_named_barrier, 0
	.set _ZN2at6native29vectorized_elementwise_kernelILi8EZZZNS0_12_GLOBAL__N_142_validate_compressed_sparse_indices_kernelILNS2_8CDimNameE0ENS2_18CUDAKernelLauncherENS2_14EmptyVecKernelENS2_8DummyVecELm8EEEvRKNS_6TensorESA_lllENKUlvE1_clEvENKUlvE_clEvEUliiiiiE_St5arrayIPcLm6EEEEviT0_T1_.private_seg_size, 0
	.set _ZN2at6native29vectorized_elementwise_kernelILi8EZZZNS0_12_GLOBAL__N_142_validate_compressed_sparse_indices_kernelILNS2_8CDimNameE0ENS2_18CUDAKernelLauncherENS2_14EmptyVecKernelENS2_8DummyVecELm8EEEvRKNS_6TensorESA_lllENKUlvE1_clEvENKUlvE_clEvEUliiiiiE_St5arrayIPcLm6EEEEviT0_T1_.uses_vcc, 1
	.set _ZN2at6native29vectorized_elementwise_kernelILi8EZZZNS0_12_GLOBAL__N_142_validate_compressed_sparse_indices_kernelILNS2_8CDimNameE0ENS2_18CUDAKernelLauncherENS2_14EmptyVecKernelENS2_8DummyVecELm8EEEvRKNS_6TensorESA_lllENKUlvE1_clEvENKUlvE_clEvEUliiiiiE_St5arrayIPcLm6EEEEviT0_T1_.uses_flat_scratch, 0
	.set _ZN2at6native29vectorized_elementwise_kernelILi8EZZZNS0_12_GLOBAL__N_142_validate_compressed_sparse_indices_kernelILNS2_8CDimNameE0ENS2_18CUDAKernelLauncherENS2_14EmptyVecKernelENS2_8DummyVecELm8EEEvRKNS_6TensorESA_lllENKUlvE1_clEvENKUlvE_clEvEUliiiiiE_St5arrayIPcLm6EEEEviT0_T1_.has_dyn_sized_stack, 0
	.set _ZN2at6native29vectorized_elementwise_kernelILi8EZZZNS0_12_GLOBAL__N_142_validate_compressed_sparse_indices_kernelILNS2_8CDimNameE0ENS2_18CUDAKernelLauncherENS2_14EmptyVecKernelENS2_8DummyVecELm8EEEvRKNS_6TensorESA_lllENKUlvE1_clEvENKUlvE_clEvEUliiiiiE_St5arrayIPcLm6EEEEviT0_T1_.has_recursion, 0
	.set _ZN2at6native29vectorized_elementwise_kernelILi8EZZZNS0_12_GLOBAL__N_142_validate_compressed_sparse_indices_kernelILNS2_8CDimNameE0ENS2_18CUDAKernelLauncherENS2_14EmptyVecKernelENS2_8DummyVecELm8EEEvRKNS_6TensorESA_lllENKUlvE1_clEvENKUlvE_clEvEUliiiiiE_St5arrayIPcLm6EEEEviT0_T1_.has_indirect_call, 0
	.section	.AMDGPU.csdata,"",@progbits
; Kernel info:
; codeLenInByte = 13072
; TotalNumSgprs: 71
; NumVgprs: 44
; ScratchSize: 0
; MemoryBound: 0
; FloatMode: 240
; IeeeMode: 1
; LDSByteSize: 0 bytes/workgroup (compile time only)
; SGPRBlocks: 0
; VGPRBlocks: 2
; NumSGPRsForWavesPerEU: 71
; NumVGPRsForWavesPerEU: 44
; NamedBarCnt: 0
; Occupancy: 16
; WaveLimiterHint : 1
; COMPUTE_PGM_RSRC2:SCRATCH_EN: 0
; COMPUTE_PGM_RSRC2:USER_SGPR: 2
; COMPUTE_PGM_RSRC2:TRAP_HANDLER: 0
; COMPUTE_PGM_RSRC2:TGID_X_EN: 1
; COMPUTE_PGM_RSRC2:TGID_Y_EN: 0
; COMPUTE_PGM_RSRC2:TGID_Z_EN: 0
; COMPUTE_PGM_RSRC2:TIDIG_COMP_CNT: 0
	.section	.text._ZN2at6native29vectorized_elementwise_kernelILi4EZZZNS0_12_GLOBAL__N_142_validate_compressed_sparse_indices_kernelILNS2_8CDimNameE0ENS2_18CUDAKernelLauncherENS2_14EmptyVecKernelENS2_8DummyVecELm8EEEvRKNS_6TensorESA_lllENKUlvE1_clEvENKUlvE_clEvEUliiiiiE_St5arrayIPcLm6EEEEviT0_T1_,"axG",@progbits,_ZN2at6native29vectorized_elementwise_kernelILi4EZZZNS0_12_GLOBAL__N_142_validate_compressed_sparse_indices_kernelILNS2_8CDimNameE0ENS2_18CUDAKernelLauncherENS2_14EmptyVecKernelENS2_8DummyVecELm8EEEvRKNS_6TensorESA_lllENKUlvE1_clEvENKUlvE_clEvEUliiiiiE_St5arrayIPcLm6EEEEviT0_T1_,comdat
	.globl	_ZN2at6native29vectorized_elementwise_kernelILi4EZZZNS0_12_GLOBAL__N_142_validate_compressed_sparse_indices_kernelILNS2_8CDimNameE0ENS2_18CUDAKernelLauncherENS2_14EmptyVecKernelENS2_8DummyVecELm8EEEvRKNS_6TensorESA_lllENKUlvE1_clEvENKUlvE_clEvEUliiiiiE_St5arrayIPcLm6EEEEviT0_T1_ ; -- Begin function _ZN2at6native29vectorized_elementwise_kernelILi4EZZZNS0_12_GLOBAL__N_142_validate_compressed_sparse_indices_kernelILNS2_8CDimNameE0ENS2_18CUDAKernelLauncherENS2_14EmptyVecKernelENS2_8DummyVecELm8EEEvRKNS_6TensorESA_lllENKUlvE1_clEvENKUlvE_clEvEUliiiiiE_St5arrayIPcLm6EEEEviT0_T1_
	.p2align	8
	.type	_ZN2at6native29vectorized_elementwise_kernelILi4EZZZNS0_12_GLOBAL__N_142_validate_compressed_sparse_indices_kernelILNS2_8CDimNameE0ENS2_18CUDAKernelLauncherENS2_14EmptyVecKernelENS2_8DummyVecELm8EEEvRKNS_6TensorESA_lllENKUlvE1_clEvENKUlvE_clEvEUliiiiiE_St5arrayIPcLm6EEEEviT0_T1_,@function
_ZN2at6native29vectorized_elementwise_kernelILi4EZZZNS0_12_GLOBAL__N_142_validate_compressed_sparse_indices_kernelILNS2_8CDimNameE0ENS2_18CUDAKernelLauncherENS2_14EmptyVecKernelENS2_8DummyVecELm8EEEvRKNS_6TensorESA_lllENKUlvE1_clEvENKUlvE_clEvEUliiiiiE_St5arrayIPcLm6EEEEviT0_T1_: ; @_ZN2at6native29vectorized_elementwise_kernelILi4EZZZNS0_12_GLOBAL__N_142_validate_compressed_sparse_indices_kernelILNS2_8CDimNameE0ENS2_18CUDAKernelLauncherENS2_14EmptyVecKernelENS2_8DummyVecELm8EEEvRKNS_6TensorESA_lllENKUlvE1_clEvENKUlvE_clEvEUliiiiiE_St5arrayIPcLm6EEEEviT0_T1_
; %bb.0:
	s_clause 0x2
	s_load_b32 s3, s[0:1], 0x0
	s_load_b128 s[12:15], s[0:1], 0xd0
	s_load_b256 s[4:11], s[0:1], 0xb0
	s_bfe_u32 s2, ttmp6, 0x4000c
	s_and_b32 s16, ttmp6, 15
	s_add_co_i32 s2, s2, 1
	s_getreg_b32 s17, hwreg(HW_REG_IB_STS2, 6, 4)
	s_mul_i32 s2, ttmp9, s2
	s_or_b64 s[20:21], s[0:1], 8
	s_add_co_i32 s16, s16, s2
	s_cmp_eq_u32 s17, 0
	s_mov_b32 s44, 0
	s_wait_xcnt 0x0
	s_cselect_b32 s0, ttmp9, s16
	s_get_pc_i64 s[22:23]
	s_add_nc_u64 s[22:23], s[22:23], .str.1@rel64+4
	s_lshl_b32 s2, s0, 10
	s_mov_b32 s0, -1
	s_wait_kmcnt 0x0
	s_sub_co_i32 s33, s3, s2
	s_mov_b32 s3, 0
	s_cmp_gt_i32 s33, 0x3ff
	s_cbranch_scc0 .LBB18_75
; %bb.1:
	s_ashr_i32 s3, s2, 31
	s_mov_b32 s34, -1
	s_lshl_b64 s[24:25], s[2:3], 2
	s_cmp_lg_u64 s[22:23], 0
	s_add_nc_u64 s[0:1], s[6:7], s[24:25]
	s_cselect_b32 s16, -1, 0
	global_load_b128 v[10:13], v0, s[0:1] scale_offset
	s_wait_xcnt 0x0
	s_load_b32 s0, s[20:21], 0x0
	s_mov_b32 s3, 0
	s_mov_b32 s31, 0
	s_mov_b32 s1, 0
	s_mov_b32 s38, 0
                                        ; implicit-def: $sgpr27
                                        ; implicit-def: $sgpr17
                                        ; implicit-def: $sgpr30
                                        ; implicit-def: $sgpr26
                                        ; implicit-def: $sgpr28_sgpr29
                                        ; implicit-def: $vgpr14_vgpr15_vgpr16_vgpr17
                                        ; implicit-def: $vgpr2_vgpr3_vgpr4_vgpr5
                                        ; implicit-def: $vgpr6_vgpr7_vgpr8_vgpr9
                                        ; implicit-def: $vgpr18
	s_wait_loadcnt 0x0
	s_wait_kmcnt 0x0
	v_cmp_eq_u32_e32 vcc_lo, s0, v10
	s_mov_b32 s0, 0
	s_and_b32 s18, s16, vcc_lo
                                        ; implicit-def: $sgpr16
	s_delay_alu instid0(SALU_CYCLE_1)
	s_and_saveexec_b32 s45, s18
	s_cbranch_execz .LBB18_64
; %bb.2:
	s_add_nc_u64 s[0:1], s[8:9], s[24:25]
	s_load_b128 s[16:19], s[20:21], 0x8
	global_load_b128 v[18:21], v0, s[0:1] scale_offset
	s_get_pc_i64 s[26:27]
	s_add_nc_u64 s[26:27], s[26:27], .str.2@rel64+4
	s_wait_xcnt 0x0
	s_mov_b32 s0, -1
	s_cmp_lg_u64 s[26:27], 0
	s_mov_b32 s34, 0
	s_wait_kmcnt 0x0
	s_cselect_b32 s17, -1, 0
	s_mov_b32 s1, 0
	s_mov_b32 s35, 0
                                        ; implicit-def: $sgpr27
                                        ; implicit-def: $sgpr30
                                        ; implicit-def: $sgpr26
                                        ; implicit-def: $sgpr28_sgpr29
                                        ; implicit-def: $vgpr14_vgpr15_vgpr16_vgpr17
                                        ; implicit-def: $vgpr2_vgpr3_vgpr4_vgpr5
                                        ; implicit-def: $vgpr6_vgpr7_vgpr8_vgpr9
	s_wait_loadcnt 0x0
	v_cmp_eq_u32_e32 vcc_lo, s18, v18
	s_and_b32 s36, s17, vcc_lo
                                        ; implicit-def: $sgpr17
	s_delay_alu instid0(SALU_CYCLE_1)
	s_and_saveexec_b32 s46, s36
	s_cbranch_execz .LBB18_63
; %bb.3:
	s_add_nc_u64 s[0:1], s[10:11], s[24:25]
	s_add_nc_u64 s[26:27], s[12:13], s[24:25]
	s_clause 0x1
	global_load_b128 v[6:9], v0, s[0:1] scale_offset
	global_load_b128 v[2:5], v0, s[26:27] scale_offset
	s_wait_xcnt 0x0
	s_load_b64 s[26:27], s[20:21], 0x18
	s_get_pc_i64 s[28:29]
	s_add_nc_u64 s[28:29], s[28:29], .str.3@rel64+4
	s_mov_b32 s1, -1
	s_cmp_lg_u64 s[28:29], 0
	s_mov_b32 s36, 0
	s_cselect_b32 s17, -1, 0
                                        ; implicit-def: $sgpr27
                                        ; implicit-def: $sgpr30
                                        ; implicit-def: $sgpr28_sgpr29
                                        ; implicit-def: $vgpr14_vgpr15_vgpr16_vgpr17
	s_wait_loadcnt 0x0
	v_sub_nc_u32_e32 v1, v2, v6
	s_delay_alu instid0(VALU_DEP_1) | instskip(SKIP_2) | instid1(SALU_CYCLE_1)
	v_cmp_le_i32_e32 vcc_lo, v10, v1
	v_cmp_ge_i32_e64 s0, s16, v1
	s_and_b32 s0, vcc_lo, s0
	s_and_b32 s0, s17, s0
                                        ; implicit-def: $sgpr17
	s_delay_alu instid0(SALU_CYCLE_1)
	s_and_saveexec_b32 s47, s0
	s_cbranch_execz .LBB18_62
; %bb.4:
	s_add_nc_u64 s[0:1], s[14:15], s[24:25]
	s_load_b64 s[28:29], s[20:21], 0xa0
	global_load_b128 v[14:17], v0, s[0:1] scale_offset
	s_wait_xcnt 0x0
	v_cmp_gt_i64_e64 s0, s[18:19], 0
	s_wait_kmcnt 0x0
	s_add_co_i32 s30, s26, -1
	v_mov_b64_e32 v[22:23], 0
	s_cmp_gt_i32 s30, -1
	s_cselect_b32 s1, -1, 0
	s_delay_alu instid0(SALU_CYCLE_1) | instskip(NEXT) | instid1(SALU_CYCLE_1)
	s_and_b32 s17, s0, s1
	s_and_not1_b32 vcc_lo, exec_lo, s17
	s_cbranch_vccnz .LBB18_11
; %bb.5:
	s_wait_loadcnt 0x0
	v_dual_mov_b32 v22, v14 :: v_dual_ashrrev_i32 v23, 31, v14
	s_ashr_i32 s31, s30, 31
	v_mov_b32_e32 v24, 0
	s_lshl_b64 s[0:1], s[30:31], 3
	s_mov_b64 s[34:35], 0xffffffff
	v_mul_u64_e32 v[26:27], s[18:19], v[22:23]
	v_mov_b64_e32 v[22:23], 0
	s_add_nc_u64 s[0:1], s[20:21], s[0:1]
	s_mov_b32 s27, s26
	s_add_nc_u64 s[36:37], s[0:1], 32
	s_mov_b32 s1, 0
	s_branch .LBB18_7
.LBB18_6:                               ;   in Loop: Header=BB18_7 Depth=1
	s_or_b32 exec_lo, exec_lo, s0
	s_delay_alu instid0(VALU_DEP_1)
	v_mul_u64_e32 v[30:31], s[38:39], v[28:29]
	s_load_b64 s[38:39], s[36:37], 0x40
	s_add_co_i32 s27, s27, -1
	s_wait_xcnt 0x0
	s_add_nc_u64 s[36:37], s[36:37], -8
	s_cmp_eq_u32 s27, 0
	s_delay_alu instid0(VALU_DEP_1) | instskip(SKIP_1) | instid1(VALU_DEP_1)
	v_sub_nc_u64_e32 v[26:27], v[26:27], v[30:31]
	s_wait_kmcnt 0x0
	v_mad_nc_u64_u32 v[22:23], v26, s38, v[22:23]
	s_delay_alu instid0(VALU_DEP_1) | instskip(NEXT) | instid1(VALU_DEP_1)
	v_mad_u32 v1, v27, s38, v23
	v_mad_u32 v23, v26, s39, v1
	v_mov_b64_e32 v[26:27], v[28:29]
	s_cbranch_scc1 .LBB18_11
.LBB18_7:                               ; =>This Inner Loop Header: Depth=1
	s_load_b64 s[38:39], s[36:37], 0x0
                                        ; implicit-def: $vgpr28_vgpr29
	s_mov_b32 s0, exec_lo
	s_wait_kmcnt 0x0
	s_delay_alu instid0(VALU_DEP_1) | instskip(NEXT) | instid1(VALU_DEP_1)
	v_or_b32_e32 v25, s39, v27
	v_cmpx_ne_u64_e32 0, v[24:25]
	s_xor_b32 s31, exec_lo, s0
	s_cbranch_execz .LBB18_9
; %bb.8:                                ;   in Loop: Header=BB18_7 Depth=1
	s_ashr_i32 s40, s39, 31
	v_dual_mov_b32 v33, v24 :: v_dual_ashrrev_i32 v28, 31, v27
	s_mov_b32 s41, s40
	v_mov_b32_e32 v41, v24
	s_add_nc_u64 s[42:43], s[38:39], s[40:41]
	s_delay_alu instid0(VALU_DEP_2) | instskip(SKIP_1) | instid1(SALU_CYCLE_1)
	v_mov_b32_e32 v29, v28
	s_xor_b64 s[42:43], s[42:43], s[40:41]
	s_cvt_f32_u32 s0, s42
	s_cvt_f32_u32 s41, s43
	s_sub_nc_u64 s[50:51], 0, s[42:43]
	v_add_nc_u64_e32 v[30:31], v[26:27], v[28:29]
	v_mov_b32_e32 v37, v24
	s_fmamk_f32 s0, s41, 0x4f800000, s0
	s_delay_alu instid0(SALU_CYCLE_3) | instskip(NEXT) | instid1(VALU_DEP_2)
	v_s_rcp_f32 s0, s0
	v_xor_b32_e32 v32, v30, v28
	s_delay_alu instid0(VALU_DEP_3) | instskip(NEXT) | instid1(TRANS32_DEP_1)
	v_xor_b32_e32 v36, v31, v28
	s_mul_f32 s0, s0, 0x5f7ffffc
	s_delay_alu instid0(SALU_CYCLE_3) | instskip(NEXT) | instid1(SALU_CYCLE_3)
	s_mul_f32 s41, s0, 0x2f800000
	s_trunc_f32 s41, s41
	s_delay_alu instid0(SALU_CYCLE_3) | instskip(SKIP_1) | instid1(SALU_CYCLE_2)
	s_fmamk_f32 s0, s41, 0xcf800000, s0
	s_cvt_u32_f32 s49, s41
	s_cvt_u32_f32 s48, s0
	s_delay_alu instid0(SALU_CYCLE_3) | instskip(NEXT) | instid1(SALU_CYCLE_1)
	s_mul_u64 s[52:53], s[50:51], s[48:49]
	s_mul_hi_u32 s55, s48, s53
	s_mul_i32 s54, s48, s53
	s_mul_hi_u32 s0, s48, s52
	s_mul_i32 s56, s49, s52
	s_add_nc_u64 s[54:55], s[0:1], s[54:55]
	s_mul_hi_u32 s41, s49, s52
	s_mul_hi_u32 s57, s49, s53
	s_add_co_u32 s0, s54, s56
	s_add_co_ci_u32 s0, s55, s41
	s_mul_i32 s52, s49, s53
	s_add_co_ci_u32 s53, s57, 0
	s_delay_alu instid0(SALU_CYCLE_1) | instskip(NEXT) | instid1(SALU_CYCLE_1)
	s_add_nc_u64 s[52:53], s[0:1], s[52:53]
	s_add_co_u32 s48, s48, s52
	s_cselect_b32 s0, -1, 0
	s_delay_alu instid0(SALU_CYCLE_1) | instskip(SKIP_1) | instid1(SALU_CYCLE_1)
	s_cmp_lg_u32 s0, 0
	s_add_co_ci_u32 s49, s49, s53
	s_mul_u64 s[50:51], s[50:51], s[48:49]
	s_delay_alu instid0(SALU_CYCLE_1)
	s_mul_hi_u32 s53, s48, s51
	s_mul_i32 s52, s48, s51
	s_mul_hi_u32 s0, s48, s50
	s_mul_i32 s54, s49, s50
	s_add_nc_u64 s[52:53], s[0:1], s[52:53]
	s_mul_hi_u32 s41, s49, s50
	s_mul_hi_u32 s55, s49, s51
	s_add_co_u32 s0, s52, s54
	s_add_co_ci_u32 s0, s53, s41
	s_mul_i32 s50, s49, s51
	s_add_co_ci_u32 s51, s55, 0
	s_delay_alu instid0(SALU_CYCLE_1) | instskip(NEXT) | instid1(SALU_CYCLE_1)
	s_add_nc_u64 s[50:51], s[0:1], s[50:51]
	s_add_co_u32 s48, s48, s50
	s_cselect_b32 s0, -1, 0
	v_mul_hi_u32 v40, v32, s48
	s_cmp_lg_u32 s0, 0
	s_add_co_ci_u32 s0, s49, s51
	s_and_b64 s[50:51], s[48:49], s[34:35]
	v_mul_u64_e32 v[34:35], s[0:1], v[32:33]
	v_mul_u64_e32 v[30:31], s[50:51], v[36:37]
	;; [unrolled: 1-line block ×3, first 2 shown]
	s_delay_alu instid0(VALU_DEP_3) | instskip(NEXT) | instid1(VALU_DEP_1)
	v_add_nc_u64_e32 v[34:35], v[40:41], v[34:35]
	v_add_co_u32 v1, vcc_lo, v34, v30
	s_delay_alu instid0(VALU_DEP_2) | instskip(NEXT) | instid1(VALU_DEP_4)
	v_add_co_ci_u32_e32 v40, vcc_lo, v35, v31, vcc_lo
	v_add_co_ci_u32_e32 v39, vcc_lo, 0, v39, vcc_lo
	s_delay_alu instid0(VALU_DEP_1) | instskip(NEXT) | instid1(VALU_DEP_1)
	v_add_nc_u64_e32 v[30:31], v[40:41], v[38:39]
	v_mul_u64_e32 v[34:35], s[42:43], v[30:31]
	s_delay_alu instid0(VALU_DEP_1) | instskip(NEXT) | instid1(VALU_DEP_2)
	v_sub_nc_u32_e32 v1, v36, v35
	v_sub_co_u32 v14, vcc_lo, v32, v34
	s_delay_alu instid0(VALU_DEP_1) | instskip(NEXT) | instid1(VALU_DEP_3)
	v_sub_co_ci_u32_e64 v29, null, v36, v35, vcc_lo
	v_subrev_co_ci_u32_e64 v1, null, s43, v1, vcc_lo
	s_delay_alu instid0(VALU_DEP_3) | instskip(SKIP_1) | instid1(VALU_DEP_3)
	v_sub_co_u32 v25, s0, v14, s42
	v_add_nc_u64_e32 v[34:35], 1, v[30:31]
	v_subrev_co_ci_u32_e64 v1, null, 0, v1, s0
	s_delay_alu instid0(VALU_DEP_3) | instskip(SKIP_1) | instid1(VALU_DEP_3)
	v_cmp_le_u32_e32 vcc_lo, s42, v25
	v_cndmask_b32_e64 v25, 0, -1, vcc_lo
	v_cmp_le_u32_e32 vcc_lo, s43, v1
	v_cndmask_b32_e64 v32, 0, -1, vcc_lo
	;; [unrolled: 2-line block ×4, first 2 shown]
	v_cmp_eq_u32_e32 vcc_lo, s43, v1
	v_cndmask_b32_e32 v1, v32, v25, vcc_lo
	v_cmp_eq_u32_e32 vcc_lo, s43, v29
	v_add_nc_u64_e32 v[32:33], 2, v[30:31]
	v_cndmask_b32_e32 v14, v36, v14, vcc_lo
	s_delay_alu instid0(VALU_DEP_4) | instskip(NEXT) | instid1(VALU_DEP_2)
	v_cmp_ne_u32_e32 vcc_lo, 0, v1
	v_cmp_ne_u32_e64 s0, 0, v14
	s_delay_alu instid0(VALU_DEP_4) | instskip(NEXT) | instid1(VALU_DEP_1)
	v_dual_cndmask_b32 v1, v35, v33 :: v_dual_cndmask_b32 v14, v34, v32
	v_dual_cndmask_b32 v1, v31, v1, s0 :: v_dual_bitop2_b32 v28, s40, v28 bitop3:0x14
	s_delay_alu instid0(VALU_DEP_1) | instskip(NEXT) | instid1(VALU_DEP_2)
	v_dual_cndmask_b32 v14, v30, v14, s0 :: v_dual_mov_b32 v29, v28
	v_xor_b32_e32 v31, v1, v28
	s_delay_alu instid0(VALU_DEP_2) | instskip(NEXT) | instid1(VALU_DEP_1)
	v_xor_b32_e32 v30, v14, v28
	v_sub_nc_u64_e32 v[28:29], v[30:31], v[28:29]
.LBB18_9:                               ;   in Loop: Header=BB18_7 Depth=1
	s_and_not1_saveexec_b32 s0, s31
	s_cbranch_execz .LBB18_6
; %bb.10:                               ;   in Loop: Header=BB18_7 Depth=1
	v_cvt_f32_u32_e32 v1, s38
	s_sub_co_i32 s31, 0, s38
	v_mov_b32_e32 v29, v24
	s_delay_alu instid0(VALU_DEP_2) | instskip(SKIP_1) | instid1(TRANS32_DEP_1)
	v_rcp_iflag_f32_e32 v1, v1
	v_nop
	v_mul_f32_e32 v1, 0x4f7ffffe, v1
	s_delay_alu instid0(VALU_DEP_1) | instskip(NEXT) | instid1(VALU_DEP_1)
	v_cvt_u32_f32_e32 v1, v1
	v_mul_lo_u32 v14, s31, v1
	s_delay_alu instid0(VALU_DEP_1) | instskip(NEXT) | instid1(VALU_DEP_1)
	v_mul_hi_u32 v14, v1, v14
	v_add_nc_u32_e32 v1, v1, v14
	s_delay_alu instid0(VALU_DEP_1) | instskip(NEXT) | instid1(VALU_DEP_1)
	v_mul_hi_u32 v1, v26, v1
	v_mul_lo_u32 v14, v1, s38
	s_delay_alu instid0(VALU_DEP_1) | instskip(NEXT) | instid1(VALU_DEP_1)
	v_dual_add_nc_u32 v25, 1, v1 :: v_dual_sub_nc_u32 v14, v26, v14
	v_subrev_nc_u32_e32 v28, s38, v14
	v_cmp_le_u32_e32 vcc_lo, s38, v14
	s_delay_alu instid0(VALU_DEP_2) | instskip(NEXT) | instid1(VALU_DEP_1)
	v_dual_cndmask_b32 v14, v14, v28 :: v_dual_cndmask_b32 v1, v1, v25
	v_cmp_le_u32_e32 vcc_lo, s38, v14
	s_delay_alu instid0(VALU_DEP_2) | instskip(NEXT) | instid1(VALU_DEP_1)
	v_add_nc_u32_e32 v25, 1, v1
	v_cndmask_b32_e32 v28, v1, v25, vcc_lo
	s_branch .LBB18_6
.LBB18_11:
	s_get_pc_i64 s[0:1]
	s_add_nc_u64 s[0:1], s[0:1], .str.4@rel64+4
	s_mov_b32 s35, -1
	s_cmp_lg_u64 s[0:1], 0
	s_mov_b32 s0, 0
	s_cselect_b32 s27, -1, 0
	s_mov_b32 s48, 0
	s_mov_b32 s1, exec_lo
	v_cmpx_gt_i32_e64 v2, v6
	s_cbranch_execz .LBB18_17
; %bb.12:
	v_lshlrev_b64_e32 v[22:23], 2, v[22:23]
	v_dual_mov_b32 v24, v6 :: v_dual_ashrrev_i32 v25, 31, v6
	v_dual_mov_b32 v28, v2 :: v_dual_ashrrev_i32 v29, 31, v2
	s_mov_b32 s31, 0
	s_xor_b32 s35, s27, -1
	s_delay_alu instid0(VALU_DEP_2) | instskip(SKIP_1) | instid1(VALU_DEP_2)
	v_lshl_add_u64 v[24:25], v[24:25], 2, v[22:23]
	v_add_nc_u64_e32 v[26:27], s[28:29], v[22:23]
                                        ; implicit-def: $sgpr34
                                        ; implicit-def: $sgpr37
                                        ; implicit-def: $sgpr36
	v_add_nc_u64_e32 v[24:25], s[28:29], v[24:25]
	s_delay_alu instid0(VALU_DEP_1) | instskip(NEXT) | instid1(VALU_DEP_3)
	v_add_nc_u64_e32 v[22:23], 4, v[24:25]
	v_lshl_add_u64 v[24:25], v[28:29], 2, v[26:27]
	s_branch .LBB18_14
.LBB18_13:                              ;   in Loop: Header=BB18_14 Depth=1
	s_or_b32 exec_lo, exec_lo, s38
	s_delay_alu instid0(SALU_CYCLE_1) | instskip(NEXT) | instid1(SALU_CYCLE_1)
	s_and_b32 s38, exec_lo, s37
	s_or_b32 s31, s38, s31
	s_and_not1_b32 s34, s34, exec_lo
	s_and_b32 s38, s36, exec_lo
	s_delay_alu instid0(SALU_CYCLE_1)
	s_or_b32 s34, s34, s38
	s_and_not1_b32 exec_lo, exec_lo, s31
	s_cbranch_execz .LBB18_16
.LBB18_14:                              ; =>This Inner Loop Header: Depth=1
	s_or_b32 s36, s36, exec_lo
	s_or_b32 s37, s37, exec_lo
	s_mov_b32 s38, exec_lo
	s_delay_alu instid0(VALU_DEP_2)
	v_cmpx_lt_u64_e64 v[22:23], v[24:25]
	s_cbranch_execz .LBB18_13
; %bb.15:                               ;   in Loop: Header=BB18_14 Depth=1
	global_load_b64 v[26:27], v[22:23], off offset:-4
	s_wait_xcnt 0x0
	v_add_nc_u64_e32 v[22:23], 4, v[22:23]
	s_and_not1_b32 s37, s37, exec_lo
	s_and_not1_b32 s36, s36, exec_lo
	s_wait_loadcnt 0x0
	v_cmp_ge_i32_e32 vcc_lo, v26, v27
	s_or_b32 s39, s35, vcc_lo
	s_delay_alu instid0(SALU_CYCLE_1) | instskip(NEXT) | instid1(SALU_CYCLE_1)
	s_and_b32 s39, s39, exec_lo
	s_or_b32 s37, s37, s39
	s_branch .LBB18_13
.LBB18_16:
	s_or_b32 exec_lo, exec_lo, s31
	s_delay_alu instid0(SALU_CYCLE_1)
	s_mov_b32 s48, exec_lo
	s_or_not1_b32 s35, s34, exec_lo
.LBB18_17:
	s_or_b32 exec_lo, exec_lo, s1
	s_mov_b32 s31, 0
	s_mov_b32 s34, 0
	;; [unrolled: 1-line block ×3, first 2 shown]
	s_and_saveexec_b32 s49, s35
	s_cbranch_execz .LBB18_61
; %bb.18:
	s_mov_b32 s0, -1
	s_mov_b32 s1, 0
	s_mov_b32 s35, 0
	s_mov_b32 s50, exec_lo
	v_cmpx_eq_u32_e64 v11, v10
	s_cbranch_execz .LBB18_60
; %bb.19:
	s_mov_b32 s1, -1
	s_mov_b32 s0, 0
	s_mov_b32 s37, 0
	s_mov_b32 s51, exec_lo
	v_cmpx_eq_u32_e64 v19, v18
	s_cbranch_execz .LBB18_59
; %bb.20:
	v_sub_nc_u32_e32 v1, v3, v7
	s_delay_alu instid0(VALU_DEP_1) | instskip(SKIP_2) | instid1(SALU_CYCLE_1)
	v_cmp_le_i32_e32 vcc_lo, v10, v1
	v_cmp_ge_i32_e64 s0, s16, v1
	s_and_b32 s0, vcc_lo, s0
	s_and_saveexec_b32 s52, s0
	s_cbranch_execz .LBB18_58
; %bb.21:
	v_mov_b64_e32 v[22:23], 0
	s_and_not1_b32 vcc_lo, exec_lo, s17
	s_cbranch_vccnz .LBB18_28
; %bb.22:
	s_wait_loadcnt 0x0
	v_dual_mov_b32 v22, v15 :: v_dual_ashrrev_i32 v23, 31, v15
	s_ashr_i32 s31, s30, 31
	v_mov_b32_e32 v14, 0
	s_lshl_b64 s[0:1], s[30:31], 3
	s_mov_b64 s[34:35], 0xffffffff
	v_mul_u64_e32 v[24:25], s[18:19], v[22:23]
	v_mov_b64_e32 v[22:23], 0
	s_add_nc_u64 s[0:1], s[20:21], s[0:1]
	s_mov_b32 s31, s26
	s_add_nc_u64 s[36:37], s[0:1], 32
	s_mov_b32 s1, 0
	s_branch .LBB18_24
.LBB18_23:                              ;   in Loop: Header=BB18_24 Depth=1
	s_or_b32 exec_lo, exec_lo, s0
	s_delay_alu instid0(VALU_DEP_1)
	v_mul_u64_e32 v[28:29], s[38:39], v[26:27]
	s_load_b64 s[38:39], s[36:37], 0x40
	s_add_co_i32 s31, s31, -1
	s_wait_xcnt 0x0
	s_add_nc_u64 s[36:37], s[36:37], -8
	s_cmp_lg_u32 s31, 0
	s_delay_alu instid0(VALU_DEP_1) | instskip(SKIP_1) | instid1(VALU_DEP_1)
	v_sub_nc_u64_e32 v[24:25], v[24:25], v[28:29]
	s_wait_kmcnt 0x0
	v_mad_nc_u64_u32 v[22:23], v24, s38, v[22:23]
	s_delay_alu instid0(VALU_DEP_1) | instskip(NEXT) | instid1(VALU_DEP_1)
	v_mad_u32 v1, v25, s38, v23
	v_mad_u32 v23, v24, s39, v1
	v_mov_b64_e32 v[24:25], v[26:27]
	s_cbranch_scc0 .LBB18_28
.LBB18_24:                              ; =>This Inner Loop Header: Depth=1
	s_load_b64 s[38:39], s[36:37], 0x0
                                        ; implicit-def: $vgpr26_vgpr27
	s_mov_b32 s0, exec_lo
	s_wait_kmcnt 0x0
	s_delay_alu instid0(VALU_DEP_1) | instskip(NEXT) | instid1(VALU_DEP_1)
	v_or_b32_e32 v15, s39, v25
	v_cmpx_ne_u64_e32 0, v[14:15]
	s_xor_b32 s53, exec_lo, s0
	s_cbranch_execz .LBB18_26
; %bb.25:                               ;   in Loop: Header=BB18_24 Depth=1
	s_ashr_i32 s40, s39, 31
	v_dual_mov_b32 v31, v14 :: v_dual_ashrrev_i32 v26, 31, v25
	s_mov_b32 s41, s40
	v_mov_b32_e32 v39, v14
	s_add_nc_u64 s[42:43], s[38:39], s[40:41]
	s_delay_alu instid0(VALU_DEP_2) | instskip(SKIP_1) | instid1(SALU_CYCLE_1)
	v_mov_b32_e32 v27, v26
	s_xor_b64 s[42:43], s[42:43], s[40:41]
	s_cvt_f32_u32 s0, s42
	s_cvt_f32_u32 s41, s43
	s_sub_nc_u64 s[56:57], 0, s[42:43]
	v_add_nc_u64_e32 v[28:29], v[24:25], v[26:27]
	v_mov_b32_e32 v35, v14
	s_fmamk_f32 s0, s41, 0x4f800000, s0
	s_delay_alu instid0(SALU_CYCLE_3) | instskip(NEXT) | instid1(VALU_DEP_2)
	v_s_rcp_f32 s0, s0
	v_xor_b32_e32 v30, v28, v26
	s_delay_alu instid0(VALU_DEP_3) | instskip(NEXT) | instid1(TRANS32_DEP_1)
	v_xor_b32_e32 v34, v29, v26
	s_mul_f32 s0, s0, 0x5f7ffffc
	s_delay_alu instid0(SALU_CYCLE_3) | instskip(NEXT) | instid1(SALU_CYCLE_3)
	s_mul_f32 s41, s0, 0x2f800000
	s_trunc_f32 s41, s41
	s_delay_alu instid0(SALU_CYCLE_3) | instskip(SKIP_1) | instid1(SALU_CYCLE_2)
	s_fmamk_f32 s0, s41, 0xcf800000, s0
	s_cvt_u32_f32 s55, s41
	s_cvt_u32_f32 s54, s0
	s_delay_alu instid0(SALU_CYCLE_3) | instskip(NEXT) | instid1(SALU_CYCLE_1)
	s_mul_u64 s[58:59], s[56:57], s[54:55]
	s_mul_hi_u32 s61, s54, s59
	s_mul_i32 s60, s54, s59
	s_mul_hi_u32 s0, s54, s58
	s_mul_i32 s62, s55, s58
	s_add_nc_u64 s[60:61], s[0:1], s[60:61]
	s_mul_hi_u32 s41, s55, s58
	s_mul_hi_u32 s63, s55, s59
	s_add_co_u32 s0, s60, s62
	s_add_co_ci_u32 s0, s61, s41
	s_mul_i32 s58, s55, s59
	s_add_co_ci_u32 s59, s63, 0
	s_delay_alu instid0(SALU_CYCLE_1) | instskip(NEXT) | instid1(SALU_CYCLE_1)
	s_add_nc_u64 s[58:59], s[0:1], s[58:59]
	s_add_co_u32 s54, s54, s58
	s_cselect_b32 s0, -1, 0
	s_delay_alu instid0(SALU_CYCLE_1) | instskip(SKIP_1) | instid1(SALU_CYCLE_1)
	s_cmp_lg_u32 s0, 0
	s_add_co_ci_u32 s55, s55, s59
	s_mul_u64 s[56:57], s[56:57], s[54:55]
	s_delay_alu instid0(SALU_CYCLE_1)
	s_mul_hi_u32 s59, s54, s57
	s_mul_i32 s58, s54, s57
	s_mul_hi_u32 s0, s54, s56
	s_mul_i32 s60, s55, s56
	s_add_nc_u64 s[58:59], s[0:1], s[58:59]
	s_mul_hi_u32 s41, s55, s56
	s_mul_hi_u32 s61, s55, s57
	s_add_co_u32 s0, s58, s60
	s_add_co_ci_u32 s0, s59, s41
	s_mul_i32 s56, s55, s57
	s_add_co_ci_u32 s57, s61, 0
	s_delay_alu instid0(SALU_CYCLE_1) | instskip(NEXT) | instid1(SALU_CYCLE_1)
	s_add_nc_u64 s[56:57], s[0:1], s[56:57]
	s_add_co_u32 s54, s54, s56
	s_cselect_b32 s0, -1, 0
	v_mul_hi_u32 v38, v30, s54
	s_cmp_lg_u32 s0, 0
	s_add_co_ci_u32 s0, s55, s57
	s_and_b64 s[56:57], s[54:55], s[34:35]
	v_mul_u64_e32 v[32:33], s[0:1], v[30:31]
	v_mul_u64_e32 v[28:29], s[56:57], v[34:35]
	;; [unrolled: 1-line block ×3, first 2 shown]
	s_delay_alu instid0(VALU_DEP_3) | instskip(NEXT) | instid1(VALU_DEP_1)
	v_add_nc_u64_e32 v[32:33], v[38:39], v[32:33]
	v_add_co_u32 v1, vcc_lo, v32, v28
	s_delay_alu instid0(VALU_DEP_2) | instskip(NEXT) | instid1(VALU_DEP_4)
	v_add_co_ci_u32_e32 v38, vcc_lo, v33, v29, vcc_lo
	v_add_co_ci_u32_e32 v37, vcc_lo, 0, v37, vcc_lo
	s_delay_alu instid0(VALU_DEP_1) | instskip(NEXT) | instid1(VALU_DEP_1)
	v_add_nc_u64_e32 v[28:29], v[38:39], v[36:37]
	v_mul_u64_e32 v[32:33], s[42:43], v[28:29]
	s_delay_alu instid0(VALU_DEP_1) | instskip(NEXT) | instid1(VALU_DEP_2)
	v_sub_nc_u32_e32 v1, v34, v33
	v_sub_co_u32 v2, vcc_lo, v30, v32
	s_delay_alu instid0(VALU_DEP_1) | instskip(NEXT) | instid1(VALU_DEP_3)
	v_sub_co_ci_u32_e64 v11, null, v34, v33, vcc_lo
	v_subrev_co_ci_u32_e64 v1, null, s43, v1, vcc_lo
	s_delay_alu instid0(VALU_DEP_3) | instskip(SKIP_1) | instid1(VALU_DEP_3)
	v_sub_co_u32 v6, s0, v2, s42
	v_add_nc_u64_e32 v[30:31], 2, v[28:29]
	v_subrev_co_ci_u32_e64 v1, null, 0, v1, s0
	s_delay_alu instid0(VALU_DEP_3) | instskip(SKIP_2) | instid1(VALU_DEP_4)
	v_cmp_le_u32_e32 vcc_lo, s42, v6
	v_add_nc_u64_e32 v[32:33], 1, v[28:29]
	v_cndmask_b32_e64 v6, 0, -1, vcc_lo
	v_cmp_le_u32_e32 vcc_lo, s43, v1
	v_cndmask_b32_e64 v15, 0, -1, vcc_lo
	v_cmp_le_u32_e32 vcc_lo, s42, v2
	;; [unrolled: 2-line block ×3, first 2 shown]
	v_cndmask_b32_e64 v19, 0, -1, vcc_lo
	v_cmp_eq_u32_e32 vcc_lo, s43, v1
	v_cndmask_b32_e32 v1, v15, v6, vcc_lo
	v_cmp_eq_u32_e32 vcc_lo, s43, v11
	s_delay_alu instid0(VALU_DEP_4) | instskip(NEXT) | instid1(VALU_DEP_3)
	v_cndmask_b32_e32 v2, v19, v2, vcc_lo
	v_cmp_ne_u32_e32 vcc_lo, 0, v1
	s_delay_alu instid0(VALU_DEP_2) | instskip(SKIP_1) | instid1(VALU_DEP_1)
	v_cmp_ne_u32_e64 s0, 0, v2
	v_dual_cndmask_b32 v1, v33, v31 :: v_dual_cndmask_b32 v2, v32, v30
	v_dual_cndmask_b32 v1, v29, v1, s0 :: v_dual_bitop2_b32 v26, s40, v26 bitop3:0x14
	s_delay_alu instid0(VALU_DEP_1) | instskip(NEXT) | instid1(VALU_DEP_2)
	v_dual_cndmask_b32 v2, v28, v2, s0 :: v_dual_mov_b32 v27, v26
	v_xor_b32_e32 v29, v1, v26
	s_delay_alu instid0(VALU_DEP_2) | instskip(NEXT) | instid1(VALU_DEP_1)
	v_xor_b32_e32 v28, v2, v26
	v_sub_nc_u64_e32 v[26:27], v[28:29], v[26:27]
.LBB18_26:                              ;   in Loop: Header=BB18_24 Depth=1
	s_and_not1_saveexec_b32 s0, s53
	s_cbranch_execz .LBB18_23
; %bb.27:                               ;   in Loop: Header=BB18_24 Depth=1
	v_cvt_f32_u32_e32 v1, s38
	s_sub_co_i32 s40, 0, s38
	v_mov_b32_e32 v27, v14
	s_delay_alu instid0(VALU_DEP_2) | instskip(SKIP_1) | instid1(TRANS32_DEP_1)
	v_rcp_iflag_f32_e32 v1, v1
	v_nop
	v_mul_f32_e32 v1, 0x4f7ffffe, v1
	s_delay_alu instid0(VALU_DEP_1) | instskip(NEXT) | instid1(VALU_DEP_1)
	v_cvt_u32_f32_e32 v1, v1
	v_mul_lo_u32 v2, s40, v1
	s_delay_alu instid0(VALU_DEP_1) | instskip(NEXT) | instid1(VALU_DEP_1)
	v_mul_hi_u32 v2, v1, v2
	v_add_nc_u32_e32 v1, v1, v2
	s_delay_alu instid0(VALU_DEP_1) | instskip(NEXT) | instid1(VALU_DEP_1)
	v_mul_hi_u32 v1, v24, v1
	v_mul_lo_u32 v2, v1, s38
	s_delay_alu instid0(VALU_DEP_1) | instskip(NEXT) | instid1(VALU_DEP_1)
	v_dual_add_nc_u32 v6, 1, v1 :: v_dual_sub_nc_u32 v2, v24, v2
	v_subrev_nc_u32_e32 v11, s38, v2
	v_cmp_le_u32_e32 vcc_lo, s38, v2
	s_delay_alu instid0(VALU_DEP_2) | instskip(NEXT) | instid1(VALU_DEP_1)
	v_dual_cndmask_b32 v2, v2, v11 :: v_dual_cndmask_b32 v1, v1, v6
	v_cmp_le_u32_e32 vcc_lo, s38, v2
	s_delay_alu instid0(VALU_DEP_2) | instskip(NEXT) | instid1(VALU_DEP_1)
	v_add_nc_u32_e32 v6, 1, v1
	v_cndmask_b32_e32 v26, v1, v6, vcc_lo
	s_branch .LBB18_23
.LBB18_28:
	s_mov_b32 s36, -1
	s_mov_b32 s0, 0
	s_mov_b32 s53, 0
	s_mov_b32 s1, exec_lo
	v_cmpx_gt_i32_e64 v3, v7
	s_cbranch_execz .LBB18_34
; %bb.29:
	s_wait_loadcnt 0x0
	s_delay_alu instid0(VALU_DEP_2) | instskip(SKIP_3) | instid1(VALU_DEP_1)
	v_lshlrev_b64_e32 v[14:15], 2, v[22:23]
	v_dual_mov_b32 v22, v7 :: v_dual_ashrrev_i32 v23, 31, v7
	s_mov_b32 s31, 0
	s_xor_b32 s35, s27, -1
                                        ; implicit-def: $sgpr34
                                        ; implicit-def: $sgpr37
                                        ; implicit-def: $sgpr36
	v_lshl_add_u64 v[6:7], v[22:23], 2, v[14:15]
	v_add_nc_u64_e32 v[14:15], s[28:29], v[14:15]
	v_dual_mov_b32 v22, v3 :: v_dual_ashrrev_i32 v23, 31, v3
	s_delay_alu instid0(VALU_DEP_3) | instskip(NEXT) | instid1(VALU_DEP_1)
	v_add_nc_u64_e32 v[6:7], s[28:29], v[6:7]
	v_add_nc_u64_e32 v[2:3], 4, v[6:7]
	s_delay_alu instid0(VALU_DEP_3)
	v_lshl_add_u64 v[6:7], v[22:23], 2, v[14:15]
	s_branch .LBB18_31
.LBB18_30:                              ;   in Loop: Header=BB18_31 Depth=1
	s_or_b32 exec_lo, exec_lo, s38
	s_delay_alu instid0(SALU_CYCLE_1) | instskip(NEXT) | instid1(SALU_CYCLE_1)
	s_and_b32 s38, exec_lo, s37
	s_or_b32 s31, s38, s31
	s_and_not1_b32 s34, s34, exec_lo
	s_and_b32 s38, s36, exec_lo
	s_delay_alu instid0(SALU_CYCLE_1)
	s_or_b32 s34, s34, s38
	s_and_not1_b32 exec_lo, exec_lo, s31
	s_cbranch_execz .LBB18_33
.LBB18_31:                              ; =>This Inner Loop Header: Depth=1
	s_or_b32 s36, s36, exec_lo
	s_or_b32 s37, s37, exec_lo
	s_mov_b32 s38, exec_lo
	s_delay_alu instid0(VALU_DEP_2)
	v_cmpx_lt_u64_e64 v[2:3], v[6:7]
	s_cbranch_execz .LBB18_30
; %bb.32:                               ;   in Loop: Header=BB18_31 Depth=1
	global_load_b64 v[14:15], v[2:3], off offset:-4
	s_and_not1_b32 s37, s37, exec_lo
	s_wait_xcnt 0x0
	v_add_nc_u64_e32 v[2:3], 4, v[2:3]
	s_and_not1_b32 s36, s36, exec_lo
	s_wait_loadcnt 0x0
	v_cmp_ge_i32_e32 vcc_lo, v14, v15
	s_or_b32 s39, s35, vcc_lo
	s_delay_alu instid0(SALU_CYCLE_1) | instskip(NEXT) | instid1(SALU_CYCLE_1)
	s_and_b32 s39, s39, exec_lo
	s_or_b32 s37, s37, s39
	s_branch .LBB18_30
.LBB18_33:
	s_or_b32 exec_lo, exec_lo, s31
	s_delay_alu instid0(SALU_CYCLE_1)
	s_mov_b32 s53, exec_lo
	s_or_not1_b32 s36, s34, exec_lo
.LBB18_34:
	s_or_b32 exec_lo, exec_lo, s1
	s_mov_b32 s31, 0
	s_mov_b32 s34, 0
	;; [unrolled: 1-line block ×3, first 2 shown]
	s_and_saveexec_b32 s54, s36
	s_cbranch_execz .LBB18_57
; %bb.35:
	s_mov_b32 s0, -1
	s_mov_b32 s1, 0
	s_mov_b32 s36, 0
	s_mov_b32 s55, exec_lo
	v_cmpx_eq_u32_e64 v12, v10
	s_cbranch_execz .LBB18_56
; %bb.36:
	s_mov_b32 s1, -1
	s_mov_b32 s0, 0
	s_mov_b32 s56, exec_lo
	v_cmpx_eq_u32_e64 v20, v18
	s_cbranch_execz .LBB18_55
; %bb.37:
	v_sub_nc_u32_e32 v1, v4, v8
	s_delay_alu instid0(VALU_DEP_1) | instskip(SKIP_2) | instid1(SALU_CYCLE_1)
	v_cmp_le_i32_e32 vcc_lo, v10, v1
	v_cmp_ge_i32_e64 s0, s16, v1
	s_and_b32 s0, vcc_lo, s0
	s_and_saveexec_b32 s57, s0
	s_cbranch_execz .LBB18_54
; %bb.38:
	v_mov_b64_e32 v[2:3], 0
	s_and_not1_b32 vcc_lo, exec_lo, s17
	s_cbranch_vccnz .LBB18_45
; %bb.39:
	s_wait_loadcnt 0x0
	v_dual_mov_b32 v2, v16 :: v_dual_ashrrev_i32 v3, 31, v16
	s_ashr_i32 s31, s30, 31
	v_mov_b32_e32 v6, 0
	s_lshl_b64 s[0:1], s[30:31], 3
	s_mov_b64 s[34:35], 0xffffffff
	v_mul_u64_e32 v[14:15], s[18:19], v[2:3]
	v_mov_b64_e32 v[2:3], 0
	s_add_nc_u64 s[0:1], s[20:21], s[0:1]
	s_mov_b32 s31, s26
	s_add_nc_u64 s[36:37], s[0:1], 32
	s_mov_b32 s1, 0
	s_branch .LBB18_41
.LBB18_40:                              ;   in Loop: Header=BB18_41 Depth=1
	s_or_b32 exec_lo, exec_lo, s0
	s_delay_alu instid0(VALU_DEP_1)
	v_mul_u64_e32 v[24:25], s[38:39], v[22:23]
	s_load_b64 s[38:39], s[36:37], 0x40
	s_add_co_i32 s31, s31, -1
	s_wait_xcnt 0x0
	s_add_nc_u64 s[36:37], s[36:37], -8
	s_cmp_lg_u32 s31, 0
	s_delay_alu instid0(VALU_DEP_1) | instskip(SKIP_1) | instid1(VALU_DEP_1)
	v_sub_nc_u64_e32 v[14:15], v[14:15], v[24:25]
	s_wait_kmcnt 0x0
	v_mad_nc_u64_u32 v[2:3], v14, s38, v[2:3]
	s_delay_alu instid0(VALU_DEP_1) | instskip(NEXT) | instid1(VALU_DEP_1)
	v_mad_u32 v1, v15, s38, v3
	v_mad_u32 v3, v14, s39, v1
	v_mov_b64_e32 v[14:15], v[22:23]
	s_cbranch_scc0 .LBB18_45
.LBB18_41:                              ; =>This Inner Loop Header: Depth=1
	s_load_b64 s[38:39], s[36:37], 0x0
                                        ; implicit-def: $vgpr22_vgpr23
	s_mov_b32 s0, exec_lo
	s_wait_kmcnt 0x0
	s_delay_alu instid0(VALU_DEP_1) | instskip(NEXT) | instid1(VALU_DEP_1)
	v_or_b32_e32 v7, s39, v15
	v_cmpx_ne_u64_e32 0, v[6:7]
	s_xor_b32 s58, exec_lo, s0
	s_cbranch_execz .LBB18_43
; %bb.42:                               ;   in Loop: Header=BB18_41 Depth=1
	s_ashr_i32 s40, s39, 31
	v_dual_mov_b32 v27, v6 :: v_dual_ashrrev_i32 v22, 31, v15
	s_mov_b32 s41, s40
	v_mov_b32_e32 v35, v6
	s_add_nc_u64 s[42:43], s[38:39], s[40:41]
	s_delay_alu instid0(VALU_DEP_2) | instskip(SKIP_1) | instid1(SALU_CYCLE_1)
	v_mov_b32_e32 v23, v22
	s_xor_b64 s[42:43], s[42:43], s[40:41]
	s_cvt_f32_u32 s0, s42
	s_cvt_f32_u32 s41, s43
	s_sub_nc_u64 s[62:63], 0, s[42:43]
	v_add_nc_u64_e32 v[24:25], v[14:15], v[22:23]
	v_mov_b32_e32 v31, v6
	s_fmamk_f32 s0, s41, 0x4f800000, s0
	s_delay_alu instid0(SALU_CYCLE_3) | instskip(NEXT) | instid1(VALU_DEP_2)
	v_s_rcp_f32 s0, s0
	v_xor_b32_e32 v26, v24, v22
	s_delay_alu instid0(VALU_DEP_3) | instskip(NEXT) | instid1(TRANS32_DEP_1)
	v_xor_b32_e32 v30, v25, v22
	s_mul_f32 s0, s0, 0x5f7ffffc
	s_delay_alu instid0(SALU_CYCLE_3) | instskip(NEXT) | instid1(SALU_CYCLE_3)
	s_mul_f32 s41, s0, 0x2f800000
	s_trunc_f32 s41, s41
	s_delay_alu instid0(SALU_CYCLE_3) | instskip(SKIP_1) | instid1(SALU_CYCLE_2)
	s_fmamk_f32 s0, s41, 0xcf800000, s0
	s_cvt_u32_f32 s61, s41
	s_cvt_u32_f32 s60, s0
	s_delay_alu instid0(SALU_CYCLE_3) | instskip(NEXT) | instid1(SALU_CYCLE_1)
	s_mul_u64 s[64:65], s[62:63], s[60:61]
	s_mul_hi_u32 s67, s60, s65
	s_mul_i32 s66, s60, s65
	s_mul_hi_u32 s0, s60, s64
	s_mul_i32 s59, s61, s64
	s_add_nc_u64 s[66:67], s[0:1], s[66:67]
	s_mul_hi_u32 s41, s61, s64
	s_mul_hi_u32 s68, s61, s65
	s_add_co_u32 s0, s66, s59
	s_add_co_ci_u32 s0, s67, s41
	s_mul_i32 s64, s61, s65
	s_add_co_ci_u32 s65, s68, 0
	s_delay_alu instid0(SALU_CYCLE_1) | instskip(NEXT) | instid1(SALU_CYCLE_1)
	s_add_nc_u64 s[64:65], s[0:1], s[64:65]
	s_add_co_u32 s60, s60, s64
	s_cselect_b32 s0, -1, 0
	s_delay_alu instid0(SALU_CYCLE_1) | instskip(SKIP_1) | instid1(SALU_CYCLE_1)
	s_cmp_lg_u32 s0, 0
	s_add_co_ci_u32 s61, s61, s65
	s_mul_u64 s[62:63], s[62:63], s[60:61]
	s_delay_alu instid0(SALU_CYCLE_1)
	s_mul_hi_u32 s65, s60, s63
	s_mul_i32 s64, s60, s63
	s_mul_hi_u32 s0, s60, s62
	s_mul_i32 s59, s61, s62
	s_add_nc_u64 s[64:65], s[0:1], s[64:65]
	s_mul_hi_u32 s41, s61, s62
	s_mul_hi_u32 s66, s61, s63
	s_add_co_u32 s0, s64, s59
	s_add_co_ci_u32 s0, s65, s41
	s_mul_i32 s62, s61, s63
	s_add_co_ci_u32 s63, s66, 0
	s_delay_alu instid0(SALU_CYCLE_1) | instskip(NEXT) | instid1(SALU_CYCLE_1)
	s_add_nc_u64 s[62:63], s[0:1], s[62:63]
	s_add_co_u32 s60, s60, s62
	s_cselect_b32 s0, -1, 0
	v_mul_hi_u32 v34, v26, s60
	s_cmp_lg_u32 s0, 0
	s_add_co_ci_u32 s0, s61, s63
	s_and_b64 s[62:63], s[60:61], s[34:35]
	v_mul_u64_e32 v[28:29], s[0:1], v[26:27]
	v_mul_u64_e32 v[24:25], s[62:63], v[30:31]
	;; [unrolled: 1-line block ×3, first 2 shown]
	s_delay_alu instid0(VALU_DEP_3) | instskip(NEXT) | instid1(VALU_DEP_1)
	v_add_nc_u64_e32 v[28:29], v[34:35], v[28:29]
	v_add_co_u32 v1, vcc_lo, v28, v24
	s_delay_alu instid0(VALU_DEP_2) | instskip(NEXT) | instid1(VALU_DEP_4)
	v_add_co_ci_u32_e32 v34, vcc_lo, v29, v25, vcc_lo
	v_add_co_ci_u32_e32 v33, vcc_lo, 0, v33, vcc_lo
	s_delay_alu instid0(VALU_DEP_1) | instskip(NEXT) | instid1(VALU_DEP_1)
	v_add_nc_u64_e32 v[24:25], v[34:35], v[32:33]
	v_mul_u64_e32 v[28:29], s[42:43], v[24:25]
	s_delay_alu instid0(VALU_DEP_1) | instskip(NEXT) | instid1(VALU_DEP_2)
	v_sub_nc_u32_e32 v1, v30, v29
	v_sub_co_u32 v7, vcc_lo, v26, v28
	s_delay_alu instid0(VALU_DEP_1) | instskip(NEXT) | instid1(VALU_DEP_3)
	v_sub_co_ci_u32_e64 v12, null, v30, v29, vcc_lo
	v_subrev_co_ci_u32_e64 v1, null, s43, v1, vcc_lo
	s_delay_alu instid0(VALU_DEP_3) | instskip(SKIP_1) | instid1(VALU_DEP_3)
	v_sub_co_u32 v11, s0, v7, s42
	v_add_nc_u64_e32 v[26:27], 2, v[24:25]
	v_subrev_co_ci_u32_e64 v1, null, 0, v1, s0
	s_delay_alu instid0(VALU_DEP_3) | instskip(SKIP_2) | instid1(VALU_DEP_4)
	v_cmp_le_u32_e32 vcc_lo, s42, v11
	v_add_nc_u64_e32 v[28:29], 1, v[24:25]
	v_cndmask_b32_e64 v11, 0, -1, vcc_lo
	v_cmp_le_u32_e32 vcc_lo, s43, v1
	v_cndmask_b32_e64 v16, 0, -1, vcc_lo
	v_cmp_le_u32_e32 vcc_lo, s42, v7
	v_cndmask_b32_e64 v7, 0, -1, vcc_lo
	v_cmp_le_u32_e32 vcc_lo, s43, v12
	v_cndmask_b32_e64 v19, 0, -1, vcc_lo
	v_cmp_eq_u32_e32 vcc_lo, s43, v1
	v_cndmask_b32_e32 v1, v16, v11, vcc_lo
	v_cmp_eq_u32_e32 vcc_lo, s43, v12
	s_delay_alu instid0(VALU_DEP_4) | instskip(NEXT) | instid1(VALU_DEP_3)
	v_cndmask_b32_e32 v7, v19, v7, vcc_lo
	v_cmp_ne_u32_e32 vcc_lo, 0, v1
	s_delay_alu instid0(VALU_DEP_2) | instskip(SKIP_1) | instid1(VALU_DEP_1)
	v_cmp_ne_u32_e64 s0, 0, v7
	v_dual_cndmask_b32 v1, v29, v27, vcc_lo :: v_dual_cndmask_b32 v7, v28, v26, vcc_lo
	v_dual_cndmask_b32 v1, v25, v1, s0 :: v_dual_bitop2_b32 v22, s40, v22 bitop3:0x14
	s_delay_alu instid0(VALU_DEP_1) | instskip(NEXT) | instid1(VALU_DEP_2)
	v_dual_cndmask_b32 v7, v24, v7, s0 :: v_dual_mov_b32 v23, v22
	v_xor_b32_e32 v25, v1, v22
	s_delay_alu instid0(VALU_DEP_2) | instskip(NEXT) | instid1(VALU_DEP_1)
	v_xor_b32_e32 v24, v7, v22
	v_sub_nc_u64_e32 v[22:23], v[24:25], v[22:23]
.LBB18_43:                              ;   in Loop: Header=BB18_41 Depth=1
	s_and_not1_saveexec_b32 s0, s58
	s_cbranch_execz .LBB18_40
; %bb.44:                               ;   in Loop: Header=BB18_41 Depth=1
	v_cvt_f32_u32_e32 v1, s38
	s_sub_co_i32 s40, 0, s38
	v_mov_b32_e32 v23, v6
	s_delay_alu instid0(VALU_DEP_2) | instskip(SKIP_1) | instid1(TRANS32_DEP_1)
	v_rcp_iflag_f32_e32 v1, v1
	v_nop
	v_mul_f32_e32 v1, 0x4f7ffffe, v1
	s_delay_alu instid0(VALU_DEP_1) | instskip(NEXT) | instid1(VALU_DEP_1)
	v_cvt_u32_f32_e32 v1, v1
	v_mul_lo_u32 v7, s40, v1
	s_delay_alu instid0(VALU_DEP_1) | instskip(NEXT) | instid1(VALU_DEP_1)
	v_mul_hi_u32 v7, v1, v7
	v_add_nc_u32_e32 v1, v1, v7
	s_delay_alu instid0(VALU_DEP_1) | instskip(NEXT) | instid1(VALU_DEP_1)
	v_mul_hi_u32 v1, v14, v1
	v_mul_lo_u32 v7, v1, s38
	s_delay_alu instid0(VALU_DEP_1) | instskip(NEXT) | instid1(VALU_DEP_1)
	v_sub_nc_u32_e32 v7, v14, v7
	v_subrev_nc_u32_e32 v12, s38, v7
	v_cmp_le_u32_e32 vcc_lo, s38, v7
	s_delay_alu instid0(VALU_DEP_2) | instskip(NEXT) | instid1(VALU_DEP_1)
	v_dual_add_nc_u32 v11, 1, v1 :: v_dual_cndmask_b32 v7, v7, v12, vcc_lo
	v_cndmask_b32_e32 v1, v1, v11, vcc_lo
	s_delay_alu instid0(VALU_DEP_2) | instskip(NEXT) | instid1(VALU_DEP_2)
	v_cmp_le_u32_e32 vcc_lo, s38, v7
	v_add_nc_u32_e32 v11, 1, v1
	s_delay_alu instid0(VALU_DEP_1)
	v_cndmask_b32_e32 v22, v1, v11, vcc_lo
	s_branch .LBB18_40
.LBB18_45:
	s_mov_b32 s35, -1
	s_mov_b32 s0, 0
	s_mov_b32 s31, 0
	s_mov_b32 s1, exec_lo
	v_cmpx_gt_i32_e64 v4, v8
	s_cbranch_execz .LBB18_51
; %bb.46:
	s_delay_alu instid0(VALU_DEP_2) | instskip(SKIP_3) | instid1(VALU_DEP_2)
	v_lshlrev_b64_e32 v[2:3], 2, v[2:3]
	v_dual_mov_b32 v6, v8 :: v_dual_ashrrev_i32 v7, 31, v8
	v_dual_mov_b32 v22, v4 :: v_dual_ashrrev_i32 v23, 31, v4
	s_xor_b32 s35, s27, -1
                                        ; implicit-def: $sgpr34
                                        ; implicit-def: $sgpr37
                                        ; implicit-def: $sgpr36
	v_lshl_add_u64 v[6:7], v[6:7], 2, v[2:3]
	s_wait_loadcnt 0x0
	v_add_nc_u64_e32 v[14:15], s[28:29], v[2:3]
	s_delay_alu instid0(VALU_DEP_2) | instskip(NEXT) | instid1(VALU_DEP_1)
	v_add_nc_u64_e32 v[6:7], s[28:29], v[6:7]
	v_add_nc_u64_e32 v[2:3], 4, v[6:7]
	s_delay_alu instid0(VALU_DEP_3)
	v_lshl_add_u64 v[6:7], v[22:23], 2, v[14:15]
	s_branch .LBB18_48
.LBB18_47:                              ;   in Loop: Header=BB18_48 Depth=1
	s_or_b32 exec_lo, exec_lo, s38
	s_delay_alu instid0(SALU_CYCLE_1) | instskip(NEXT) | instid1(SALU_CYCLE_1)
	s_and_b32 s38, exec_lo, s37
	s_or_b32 s31, s38, s31
	s_and_not1_b32 s34, s34, exec_lo
	s_and_b32 s38, s36, exec_lo
	s_delay_alu instid0(SALU_CYCLE_1)
	s_or_b32 s34, s34, s38
	s_and_not1_b32 exec_lo, exec_lo, s31
	s_cbranch_execz .LBB18_50
.LBB18_48:                              ; =>This Inner Loop Header: Depth=1
	s_or_b32 s36, s36, exec_lo
	s_or_b32 s37, s37, exec_lo
	s_mov_b32 s38, exec_lo
	s_delay_alu instid0(VALU_DEP_2)
	v_cmpx_lt_u64_e64 v[2:3], v[6:7]
	s_cbranch_execz .LBB18_47
; %bb.49:                               ;   in Loop: Header=BB18_48 Depth=1
	global_load_b64 v[14:15], v[2:3], off offset:-4
	s_and_not1_b32 s37, s37, exec_lo
	s_wait_xcnt 0x0
	v_add_nc_u64_e32 v[2:3], 4, v[2:3]
	s_and_not1_b32 s36, s36, exec_lo
	s_wait_loadcnt 0x0
	v_cmp_ge_i32_e32 vcc_lo, v14, v15
	s_or_b32 s39, s35, vcc_lo
	s_delay_alu instid0(SALU_CYCLE_1) | instskip(NEXT) | instid1(SALU_CYCLE_1)
	s_and_b32 s39, s39, exec_lo
	s_or_b32 s37, s37, s39
	s_branch .LBB18_47
.LBB18_50:
	s_or_b32 exec_lo, exec_lo, s31
	s_delay_alu instid0(SALU_CYCLE_1)
	s_mov_b32 s31, exec_lo
	s_or_not1_b32 s35, s34, exec_lo
.LBB18_51:
	s_or_b32 exec_lo, exec_lo, s1
	s_mov_b32 s34, 0
	s_and_saveexec_b32 s1, s35
	s_delay_alu instid0(SALU_CYCLE_1)
	s_xor_b32 s1, exec_lo, s1
; %bb.52:
	v_cmp_ne_u32_e32 vcc_lo, v13, v10
	s_mov_b32 s34, exec_lo
	s_and_not1_b32 s31, s31, exec_lo
	s_and_b32 s0, vcc_lo, exec_lo
; %bb.53:
	s_or_b32 exec_lo, exec_lo, s1
	s_delay_alu instid0(SALU_CYCLE_1)
	s_and_b32 s35, s31, exec_lo
	s_xor_b32 s1, exec_lo, -1
	s_and_b32 s31, s34, exec_lo
	s_and_b32 s34, s0, exec_lo
.LBB18_54:
	s_or_b32 exec_lo, exec_lo, s57
	s_delay_alu instid0(SALU_CYCLE_1)
	s_and_b32 s36, s35, exec_lo
	s_and_b32 s35, s1, exec_lo
	s_xor_b32 s1, exec_lo, -1
	s_and_b32 s31, s31, exec_lo
	s_and_b32 s0, s34, exec_lo
.LBB18_55:
	s_or_b32 exec_lo, exec_lo, s56
	s_delay_alu instid0(SALU_CYCLE_1)
	s_and_b32 s36, s36, exec_lo
	s_and_b32 s35, s35, exec_lo
	;; [unrolled: 1-line block ×4, first 2 shown]
	s_or_not1_b32 s0, s0, exec_lo
.LBB18_56:
	s_or_b32 exec_lo, exec_lo, s55
	s_delay_alu instid0(SALU_CYCLE_1)
	s_and_not1_b32 s31, s53, exec_lo
	s_and_b32 s36, s36, exec_lo
	s_and_b32 s35, s35, exec_lo
	s_or_b32 s53, s31, s36
	s_and_b32 s34, s34, exec_lo
	s_and_b32 s31, s1, exec_lo
	;; [unrolled: 1-line block ×3, first 2 shown]
.LBB18_57:
	s_or_b32 exec_lo, exec_lo, s54
	s_delay_alu instid0(SALU_CYCLE_1)
	s_and_b32 s36, s53, exec_lo
	s_or_not1_b32 s1, s35, exec_lo
	s_and_b32 s35, s34, exec_lo
	s_and_b32 s34, s31, exec_lo
	;; [unrolled: 1-line block ×3, first 2 shown]
.LBB18_58:
	s_or_b32 exec_lo, exec_lo, s52
	s_delay_alu instid0(SALU_CYCLE_1)
	s_and_b32 s36, s36, exec_lo
	s_and_b32 s37, s1, exec_lo
	s_or_not1_b32 s1, s35, exec_lo
	s_and_b32 s34, s34, exec_lo
	s_and_b32 s0, s31, exec_lo
.LBB18_59:
	s_or_b32 exec_lo, exec_lo, s51
	s_delay_alu instid0(SALU_CYCLE_1)
	s_and_b32 s36, s36, exec_lo
	s_and_b32 s35, s37, exec_lo
	;; [unrolled: 1-line block ×4, first 2 shown]
	s_or_not1_b32 s0, s0, exec_lo
.LBB18_60:
	s_or_b32 exec_lo, exec_lo, s50
	s_delay_alu instid0(SALU_CYCLE_1)
	s_and_not1_b32 s34, s48, exec_lo
	s_and_b32 s36, s36, exec_lo
	s_and_b32 s0, s0, exec_lo
	s_or_b32 s48, s34, s36
	s_and_b32 s36, s35, exec_lo
	s_and_b32 s34, s31, exec_lo
	;; [unrolled: 1-line block ×3, first 2 shown]
.LBB18_61:
	s_or_b32 exec_lo, exec_lo, s49
	s_delay_alu instid0(SALU_CYCLE_1)
	s_and_b32 s35, s48, exec_lo
	s_or_not1_b32 s1, s36, exec_lo
	s_and_b32 s36, s34, exec_lo
	s_and_b32 s31, s31, exec_lo
	s_and_b32 s34, s0, exec_lo
.LBB18_62:
	s_or_b32 exec_lo, exec_lo, s47
	s_delay_alu instid0(SALU_CYCLE_1)
	s_and_b32 s35, s35, exec_lo
	s_and_b32 s1, s1, exec_lo
	s_or_not1_b32 s0, s36, exec_lo
	s_and_b32 s31, s31, exec_lo
	s_and_b32 s34, s34, exec_lo
.LBB18_63:
	s_or_b32 exec_lo, exec_lo, s46
	s_delay_alu instid0(SALU_CYCLE_1)
	s_and_b32 s38, s35, exec_lo
	s_and_b32 s1, s1, exec_lo
	;; [unrolled: 1-line block ×4, first 2 shown]
	s_or_not1_b32 s34, s34, exec_lo
.LBB18_64:
	s_or_b32 exec_lo, exec_lo, s45
	s_and_saveexec_b32 s35, s34
	s_cbranch_execnz .LBB18_208
.LBB18_65:
	s_or_b32 exec_lo, exec_lo, s35
	s_mov_b32 s34, 0
	s_and_saveexec_b32 s35, s31
	s_delay_alu instid0(SALU_CYCLE_1)
	s_xor_b32 s31, exec_lo, s35
; %bb.66:
	v_cmp_ne_u32_e32 vcc_lo, v21, v18
	s_and_not1_b32 s0, s0, exec_lo
	s_mov_b32 s34, exec_lo
	s_and_b32 s35, vcc_lo, exec_lo
	s_delay_alu instid0(SALU_CYCLE_1)
	s_or_b32 s0, s0, s35
; %bb.67:
	s_or_b32 exec_lo, exec_lo, s31
	s_and_saveexec_b32 s31, s0
	s_cbranch_execnz .LBB18_209
.LBB18_68:
	s_or_b32 exec_lo, exec_lo, s31
	s_mov_b32 s31, 0
	s_and_saveexec_b32 s0, s34
	s_delay_alu instid0(SALU_CYCLE_1)
	s_xor_b32 s34, exec_lo, s0
	s_cbranch_execz .LBB18_95
; %bb.69:
	v_sub_nc_u32_e32 v1, v5, v9
	s_and_not1_b32 s1, s1, exec_lo
	s_mov_b32 s31, exec_lo
	s_delay_alu instid0(VALU_DEP_1) | instskip(SKIP_2) | instid1(SALU_CYCLE_1)
	v_cmp_gt_i32_e32 vcc_lo, v10, v1
	v_cmp_lt_i32_e64 s0, s16, v1
	s_or_b32 s0, vcc_lo, s0
	s_and_b32 s0, s0, exec_lo
	s_delay_alu instid0(SALU_CYCLE_1)
	s_or_b32 s1, s1, s0
	s_or_b32 exec_lo, exec_lo, s34
	s_and_saveexec_b32 s0, s1
	s_cbranch_execz .LBB18_96
.LBB18_70:
	s_or_b32 s3, s3, exec_lo
	s_and_not1_b32 s31, s31, exec_lo
	s_trap 2
	s_or_b32 exec_lo, exec_lo, s0
	s_mov_b32 s0, 0
	s_and_saveexec_b32 s39, s31
	s_cbranch_execnz .LBB18_97
.LBB18_71:
	s_or_b32 exec_lo, exec_lo, s39
	s_and_saveexec_b32 s1, s38
	s_cbranch_execnz .LBB18_125
.LBB18_72:
	s_or_b32 exec_lo, exec_lo, s1
	s_and_saveexec_b32 s1, s0
	s_delay_alu instid0(SALU_CYCLE_1)
	s_xor_b32 s0, exec_lo, s1
	s_cbranch_execz .LBB18_74
.LBB18_73:
	v_mov_b32_e32 v2, 0
	s_add_nc_u64 s[16:17], s[4:5], s[24:25]
	s_delay_alu instid0(VALU_DEP_1)
	v_dual_mov_b32 v3, v2 :: v_dual_mov_b32 v4, v2
	v_mov_b32_e32 v5, v2
	global_store_b128 v0, v[2:5], s[16:17] scale_offset
.LBB18_74:
	s_wait_xcnt 0x0
	s_or_b32 exec_lo, exec_lo, s0
	s_mov_b32 s0, 0
.LBB18_75:
	s_delay_alu instid0(SALU_CYCLE_1)
	s_and_b32 vcc_lo, exec_lo, s0
	s_cbranch_vccz .LBB18_104
; %bb.76:
	v_mov_b64_e32 v[6:7], 0
	v_cmp_gt_i32_e64 s0, s33, v0
	v_dual_mov_b32 v1, 0 :: v_dual_mov_b32 v3, 0
	s_wait_loadcnt 0x0
	v_or_b32_e32 v17, 0x100, v0
	v_dual_mov_b32 v2, 0 :: v_dual_mov_b32 v4, 0
	v_dual_mov_b32 v9, 0 :: v_dual_mov_b32 v11, 0
	;; [unrolled: 1-line block ×8, first 2 shown]
	v_mov_b32_e32 v24, 0
	s_and_saveexec_b32 s1, s0
	s_cbranch_execz .LBB18_84
; %bb.77:
	v_dual_mov_b32 v18, 0 :: v_dual_bitop2_b32 v1, s2, v0 bitop3:0x54
	v_mov_b64_e32 v[6:7], 0
	v_dual_mov_b32 v14, 0 :: v_dual_mov_b32 v16, 0
	s_clause 0x4
	global_load_b32 v21, v1, s[6:7] scale_offset
	global_load_b32 v23, v1, s[8:9] scale_offset
	global_load_b32 v22, v1, s[10:11] scale_offset
	global_load_b32 v20, v1, s[12:13] scale_offset
	global_load_b32 v24, v1, s[14:15] scale_offset
	v_dual_mov_b32 v19, 0 :: v_dual_mov_b32 v15, 0
	v_dual_mov_b32 v13, 0 :: v_dual_mov_b32 v8, 0
	;; [unrolled: 1-line block ×5, first 2 shown]
	s_wait_xcnt 0x0
	v_mov_b32_e32 v1, 0
	s_mov_b32 s16, exec_lo
	v_cmpx_gt_u32_e64 s33, v17
	s_cbranch_execz .LBB18_83
; %bb.78:
	v_dual_mov_b32 v13, 0 :: v_dual_add_nc_u32 v12, s2, v0
	v_or_b32_e32 v1, 0x200, v0
	v_mov_b64_e32 v[6:7], 0
	v_dual_mov_b32 v8, 0 :: v_dual_mov_b32 v10, 0
	s_clause 0x4
	global_load_b32 v15, v12, s[6:7] offset:1024 scale_offset
	global_load_b32 v19, v12, s[8:9] offset:1024 scale_offset
	;; [unrolled: 1-line block ×5, first 2 shown]
	v_cmp_gt_u32_e32 vcc_lo, s33, v1
	v_dual_mov_b32 v11, 0 :: v_dual_mov_b32 v9, 0
	v_dual_mov_b32 v4, 0 :: v_dual_mov_b32 v2, 0
	;; [unrolled: 1-line block ×3, first 2 shown]
	s_wait_xcnt 0x0
	s_and_saveexec_b32 s17, vcc_lo
	s_cbranch_execz .LBB18_82
; %bb.79:
	v_lshlrev_b64_e32 v[2:3], 2, v[12:13]
	v_or_b32_e32 v1, 0x300, v0
	v_mov_b64_e32 v[6:7], 0
	s_delay_alu instid0(VALU_DEP_2) | instskip(NEXT) | instid1(VALU_DEP_4)
	v_cmp_gt_u32_e32 vcc_lo, s33, v1
	v_add_nc_u64_e32 v[4:5], s[6:7], v[2:3]
	v_add_nc_u64_e32 v[26:27], s[8:9], v[2:3]
	;; [unrolled: 1-line block ×5, first 2 shown]
	v_dual_mov_b32 v2, 0 :: v_dual_mov_b32 v3, 0
	global_load_b32 v9, v[4:5], off offset:2048
	global_load_b32 v11, v[26:27], off offset:2048
	;; [unrolled: 1-line block ×5, first 2 shown]
	v_mov_b32_e32 v1, 0
	s_wait_xcnt 0x0
	s_and_saveexec_b32 s6, vcc_lo
	s_cbranch_execz .LBB18_81
; %bb.80:
	global_load_b32 v6, v[28:29], off offset:3072
	global_load_b32 v1, v[4:5], off offset:3072
	;; [unrolled: 1-line block ×5, first 2 shown]
	s_wait_loadcnt 0x4
	v_ashrrev_i32_e32 v7, 31, v6
.LBB18_81:
	s_wait_xcnt 0x0
	s_or_b32 exec_lo, exec_lo, s6
	s_wait_loadcnt 0x0
	v_dual_mov_b32 v4, v13 :: v_dual_mov_b32 v13, v12
.LBB18_82:
	s_or_b32 exec_lo, exec_lo, s17
.LBB18_83:
	s_delay_alu instid0(SALU_CYCLE_1)
	s_or_b32 exec_lo, exec_lo, s16
.LBB18_84:
	s_delay_alu instid0(SALU_CYCLE_1)
	s_or_b32 exec_lo, exec_lo, s1
	s_clause 0x3
	s_load_b128 s[8:11], s[20:21], 0x8
	s_load_b32 s28, s[20:21], 0x18
	s_load_b32 s36, s[20:21], 0x0
	s_load_b64 s[6:7], s[20:21], 0xa0
	s_cmp_lg_u64 s[22:23], 0
	s_get_pc_i64 s[12:13]
	s_add_nc_u64 s[12:13], s[12:13], .str.2@rel64+4
	s_get_pc_i64 s[14:15]
	s_add_nc_u64 s[14:15], s[14:15], .str.3@rel64+4
	s_cselect_b32 s37, -1, 0
	s_cmp_lg_u64 s[12:13], 0
	s_mov_b32 s1, -1
	s_cselect_b32 s34, -1, 0
	s_cmp_lg_u64 s[14:15], 0
	s_get_pc_i64 s[14:15]
	s_add_nc_u64 s[14:15], s[14:15], .str.4@rel64+4
	s_cselect_b32 s30, -1, 0
	s_mov_b32 s43, 0
	s_mov_b32 s41, 0
	;; [unrolled: 1-line block ×5, first 2 shown]
	s_wait_kmcnt 0x0
	v_cmp_gt_i64_e64 s9, s[10:11], 0
	s_add_co_i32 s12, s28, -1
	s_delay_alu instid0(SALU_CYCLE_1) | instskip(SKIP_1) | instid1(SALU_CYCLE_1)
	s_cmp_gt_i32 s12, -1
	s_cselect_b32 s13, -1, 0
	s_and_b32 s9, s9, s13
	s_cmp_lg_u64 s[14:15], 0
	s_cselect_b32 s29, -1, 0
	s_and_saveexec_b32 s31, s0
	s_cbranch_execz .LBB18_131
; %bb.85:
	s_wait_loadcnt 0x4
	v_cmp_eq_u32_e32 vcc_lo, s36, v21
	s_mov_b32 s13, -1
	s_mov_b32 s1, 0
	s_mov_b32 s14, 0
	;; [unrolled: 1-line block ×3, first 2 shown]
	s_and_b32 s17, s37, vcc_lo
	s_mov_b32 s16, 0
	s_and_saveexec_b32 s35, s17
	s_cbranch_execz .LBB18_130
; %bb.86:
	s_wait_loadcnt 0x3
	v_cmp_eq_u32_e32 vcc_lo, s10, v23
	s_and_b32 s16, s34, vcc_lo
	s_delay_alu instid0(SALU_CYCLE_1)
	s_and_saveexec_b32 s38, s16
	s_cbranch_execz .LBB18_129
; %bb.87:
	s_wait_loadcnt 0x1
	v_sub_nc_u32_e32 v5, v20, v22
	s_delay_alu instid0(VALU_DEP_1)
	v_cmp_le_i32_e32 vcc_lo, v21, v5
	v_cmp_ge_i32_e64 s1, s8, v5
	s_and_b32 s14, vcc_lo, s1
	s_mov_b32 s1, 0
	s_and_b32 s15, s30, s14
	s_mov_b32 s14, 0
	s_and_saveexec_b32 s39, s15
	s_cbranch_execz .LBB18_128
; %bb.88:
	v_mov_b64_e32 v[26:27], 0
	s_and_not1_b32 vcc_lo, exec_lo, s9
	s_cbranch_vccnz .LBB18_118
; %bb.89:
	s_wait_loadcnt 0x0
	v_ashrrev_i32_e32 v25, 31, v24
	s_ashr_i32 s13, s12, 31
	v_mov_b64_e32 v[26:27], 0
	s_lshl_b64 s[16:17], s[12:13], 3
	s_mov_b64 s[14:15], 0xffffffff
	v_mul_u64_e32 v[28:29], s[10:11], v[24:25]
	v_mov_b32_e32 v24, 0
	s_add_nc_u64 s[16:17], s[20:21], s[16:17]
	s_mov_b32 s19, 0
	s_add_nc_u64 s[16:17], s[16:17], 32
	s_mov_b32 s13, s28
	s_branch .LBB18_91
.LBB18_90:                              ;   in Loop: Header=BB18_91 Depth=1
	s_or_b32 exec_lo, exec_lo, s1
	s_delay_alu instid0(VALU_DEP_1)
	v_mul_u64_e32 v[32:33], s[22:23], v[30:31]
	s_load_b64 s[22:23], s[16:17], 0x40
	s_add_co_i32 s13, s13, -1
	s_wait_xcnt 0x0
	s_add_nc_u64 s[16:17], s[16:17], -8
	s_cmp_eq_u32 s13, 0
	s_delay_alu instid0(VALU_DEP_1) | instskip(SKIP_1) | instid1(VALU_DEP_1)
	v_sub_nc_u64_e32 v[28:29], v[28:29], v[32:33]
	s_wait_kmcnt 0x0
	v_mad_nc_u64_u32 v[26:27], v28, s22, v[26:27]
	s_delay_alu instid0(VALU_DEP_1) | instskip(NEXT) | instid1(VALU_DEP_1)
	v_mad_u32 v5, v29, s22, v27
	v_mad_u32 v27, v28, s23, v5
	v_mov_b64_e32 v[28:29], v[30:31]
	s_cbranch_scc1 .LBB18_118
.LBB18_91:                              ; =>This Inner Loop Header: Depth=1
	s_load_b64 s[22:23], s[16:17], 0x0
                                        ; implicit-def: $vgpr30_vgpr31
	s_mov_b32 s1, exec_lo
	s_wait_kmcnt 0x0
	s_delay_alu instid0(VALU_DEP_1) | instskip(NEXT) | instid1(VALU_DEP_1)
	v_or_b32_e32 v25, s23, v29
	v_cmpx_ne_u64_e32 0, v[24:25]
	s_xor_b32 s40, exec_lo, s1
	s_cbranch_execz .LBB18_93
; %bb.92:                               ;   in Loop: Header=BB18_91 Depth=1
	s_ashr_i32 s24, s23, 31
	v_dual_mov_b32 v35, v24 :: v_dual_ashrrev_i32 v30, 31, v29
	s_mov_b32 s25, s24
	s_delay_alu instid0(SALU_CYCLE_1) | instskip(NEXT) | instid1(VALU_DEP_1)
	s_add_nc_u64 s[26:27], s[22:23], s[24:25]
	v_mov_b32_e32 v31, v30
	s_xor_b64 s[26:27], s[26:27], s[24:25]
	s_delay_alu instid0(SALU_CYCLE_1)
	s_cvt_f32_u32 s1, s26
	s_cvt_f32_u32 s18, s27
	s_sub_nc_u64 s[46:47], 0, s[26:27]
	v_add_nc_u64_e32 v[32:33], v[28:29], v[30:31]
	v_mov_b32_e32 v39, v24
	s_fmamk_f32 s1, s18, 0x4f800000, s1
	s_delay_alu instid0(SALU_CYCLE_3) | instskip(NEXT) | instid1(VALU_DEP_2)
	v_s_rcp_f32 s1, s1
	v_xor_b32_e32 v34, v32, v30
	s_delay_alu instid0(VALU_DEP_3) | instskip(NEXT) | instid1(TRANS32_DEP_1)
	v_dual_mov_b32 v43, v24 :: v_dual_bitop2_b32 v38, v33, v30 bitop3:0x14
	s_mul_f32 s1, s1, 0x5f7ffffc
	s_delay_alu instid0(SALU_CYCLE_3) | instskip(NEXT) | instid1(SALU_CYCLE_3)
	s_mul_f32 s18, s1, 0x2f800000
	s_trunc_f32 s18, s18
	s_delay_alu instid0(SALU_CYCLE_3) | instskip(SKIP_1) | instid1(SALU_CYCLE_2)
	s_fmamk_f32 s1, s18, 0xcf800000, s1
	s_cvt_u32_f32 s45, s18
	s_cvt_u32_f32 s44, s1
	s_delay_alu instid0(SALU_CYCLE_3) | instskip(NEXT) | instid1(SALU_CYCLE_1)
	s_mul_u64 s[48:49], s[46:47], s[44:45]
	s_mul_hi_u32 s51, s44, s49
	s_mul_i32 s50, s44, s49
	s_mul_hi_u32 s18, s44, s48
	s_mul_i32 s25, s45, s48
	s_add_nc_u64 s[50:51], s[18:19], s[50:51]
	s_mul_hi_u32 s1, s45, s48
	s_mul_hi_u32 s41, s45, s49
	s_add_co_u32 s18, s50, s25
	s_add_co_ci_u32 s18, s51, s1
	s_mul_i32 s48, s45, s49
	s_add_co_ci_u32 s49, s41, 0
	s_delay_alu instid0(SALU_CYCLE_1) | instskip(NEXT) | instid1(SALU_CYCLE_1)
	s_add_nc_u64 s[48:49], s[18:19], s[48:49]
	s_add_co_u32 s44, s44, s48
	s_cselect_b32 s1, -1, 0
	s_delay_alu instid0(SALU_CYCLE_1) | instskip(SKIP_1) | instid1(SALU_CYCLE_1)
	s_cmp_lg_u32 s1, 0
	s_add_co_ci_u32 s45, s45, s49
	s_mul_u64 s[46:47], s[46:47], s[44:45]
	s_delay_alu instid0(SALU_CYCLE_1)
	s_mul_hi_u32 s49, s44, s47
	s_mul_i32 s48, s44, s47
	s_mul_hi_u32 s18, s44, s46
	s_mul_i32 s25, s45, s46
	s_add_nc_u64 s[48:49], s[18:19], s[48:49]
	s_mul_hi_u32 s1, s45, s46
	s_mul_hi_u32 s41, s45, s47
	s_add_co_u32 s18, s48, s25
	s_add_co_ci_u32 s18, s49, s1
	s_mul_i32 s46, s45, s47
	s_add_co_ci_u32 s47, s41, 0
	s_delay_alu instid0(SALU_CYCLE_1) | instskip(NEXT) | instid1(SALU_CYCLE_1)
	s_add_nc_u64 s[46:47], s[18:19], s[46:47]
	s_add_co_u32 s42, s44, s46
	s_cselect_b32 s1, -1, 0
	v_mul_hi_u32 v42, v34, s42
	s_cmp_lg_u32 s1, 0
	s_add_co_ci_u32 s18, s45, s47
	s_and_b64 s[44:45], s[42:43], s[14:15]
	v_mul_u64_e32 v[36:37], s[18:19], v[34:35]
	v_mul_u64_e32 v[32:33], s[44:45], v[38:39]
	;; [unrolled: 1-line block ×3, first 2 shown]
	s_delay_alu instid0(VALU_DEP_3) | instskip(NEXT) | instid1(VALU_DEP_1)
	v_add_nc_u64_e32 v[36:37], v[42:43], v[36:37]
	v_add_co_u32 v5, vcc_lo, v36, v32
	s_delay_alu instid0(VALU_DEP_2) | instskip(NEXT) | instid1(VALU_DEP_4)
	v_add_co_ci_u32_e32 v42, vcc_lo, v37, v33, vcc_lo
	v_add_co_ci_u32_e32 v41, vcc_lo, 0, v41, vcc_lo
	s_delay_alu instid0(VALU_DEP_1) | instskip(NEXT) | instid1(VALU_DEP_1)
	v_add_nc_u64_e32 v[32:33], v[42:43], v[40:41]
	v_mul_u64_e32 v[36:37], s[26:27], v[32:33]
	s_delay_alu instid0(VALU_DEP_1) | instskip(NEXT) | instid1(VALU_DEP_2)
	v_sub_nc_u32_e32 v5, v38, v37
	v_sub_co_u32 v12, vcc_lo, v34, v36
	s_delay_alu instid0(VALU_DEP_1) | instskip(NEXT) | instid1(VALU_DEP_3)
	v_sub_co_ci_u32_e64 v23, null, v38, v37, vcc_lo
	v_subrev_co_ci_u32_e64 v5, null, s27, v5, vcc_lo
	s_delay_alu instid0(VALU_DEP_3) | instskip(SKIP_1) | instid1(VALU_DEP_3)
	v_sub_co_u32 v21, s1, v12, s26
	v_add_nc_u64_e32 v[34:35], 2, v[32:33]
	v_subrev_co_ci_u32_e64 v5, null, 0, v5, s1
	s_delay_alu instid0(VALU_DEP_3) | instskip(SKIP_2) | instid1(VALU_DEP_4)
	v_cmp_le_u32_e32 vcc_lo, s26, v21
	v_add_nc_u64_e32 v[36:37], 1, v[32:33]
	v_cndmask_b32_e64 v21, 0, -1, vcc_lo
	v_cmp_le_u32_e32 vcc_lo, s27, v5
	v_cndmask_b32_e64 v25, 0, -1, vcc_lo
	v_cmp_le_u32_e32 vcc_lo, s26, v12
	;; [unrolled: 2-line block ×3, first 2 shown]
	v_cndmask_b32_e64 v31, 0, -1, vcc_lo
	v_cmp_eq_u32_e32 vcc_lo, s27, v5
	v_cndmask_b32_e32 v5, v25, v21, vcc_lo
	v_cmp_eq_u32_e32 vcc_lo, s27, v23
	s_delay_alu instid0(VALU_DEP_4) | instskip(NEXT) | instid1(VALU_DEP_3)
	v_cndmask_b32_e32 v12, v31, v12, vcc_lo
	v_cmp_ne_u32_e32 vcc_lo, 0, v5
	s_delay_alu instid0(VALU_DEP_2) | instskip(SKIP_1) | instid1(VALU_DEP_1)
	v_cmp_ne_u32_e64 s1, 0, v12
	v_dual_cndmask_b32 v5, v37, v35 :: v_dual_cndmask_b32 v12, v36, v34
	v_dual_cndmask_b32 v5, v33, v5, s1 :: v_dual_bitop2_b32 v30, s24, v30 bitop3:0x14
	s_delay_alu instid0(VALU_DEP_1) | instskip(NEXT) | instid1(VALU_DEP_2)
	v_dual_cndmask_b32 v12, v32, v12, s1 :: v_dual_mov_b32 v31, v30
	v_xor_b32_e32 v33, v5, v30
	s_delay_alu instid0(VALU_DEP_2) | instskip(NEXT) | instid1(VALU_DEP_1)
	v_xor_b32_e32 v32, v12, v30
	v_sub_nc_u64_e32 v[30:31], v[32:33], v[30:31]
.LBB18_93:                              ;   in Loop: Header=BB18_91 Depth=1
	s_and_not1_saveexec_b32 s1, s40
	s_cbranch_execz .LBB18_90
; %bb.94:                               ;   in Loop: Header=BB18_91 Depth=1
	v_cvt_f32_u32_e32 v5, s22
	s_sub_co_i32 s18, 0, s22
	v_mov_b32_e32 v31, v24
	s_delay_alu instid0(VALU_DEP_2) | instskip(SKIP_1) | instid1(TRANS32_DEP_1)
	v_rcp_iflag_f32_e32 v5, v5
	v_nop
	v_mul_f32_e32 v5, 0x4f7ffffe, v5
	s_delay_alu instid0(VALU_DEP_1) | instskip(NEXT) | instid1(VALU_DEP_1)
	v_cvt_u32_f32_e32 v5, v5
	v_mul_lo_u32 v12, s18, v5
	s_delay_alu instid0(VALU_DEP_1) | instskip(NEXT) | instid1(VALU_DEP_1)
	v_mul_hi_u32 v12, v5, v12
	v_add_nc_u32_e32 v5, v5, v12
	s_delay_alu instid0(VALU_DEP_1) | instskip(NEXT) | instid1(VALU_DEP_1)
	v_mul_hi_u32 v5, v28, v5
	v_mul_lo_u32 v12, v5, s22
	s_delay_alu instid0(VALU_DEP_1) | instskip(NEXT) | instid1(VALU_DEP_1)
	v_dual_add_nc_u32 v21, 1, v5 :: v_dual_sub_nc_u32 v12, v28, v12
	v_subrev_nc_u32_e32 v23, s22, v12
	v_cmp_le_u32_e32 vcc_lo, s22, v12
	s_delay_alu instid0(VALU_DEP_2) | instskip(NEXT) | instid1(VALU_DEP_1)
	v_dual_cndmask_b32 v12, v12, v23 :: v_dual_cndmask_b32 v5, v5, v21
	v_cmp_le_u32_e32 vcc_lo, s22, v12
	s_delay_alu instid0(VALU_DEP_2) | instskip(NEXT) | instid1(VALU_DEP_1)
	v_add_nc_u32_e32 v21, 1, v5
	v_cndmask_b32_e32 v30, v5, v21, vcc_lo
	s_branch .LBB18_90
.LBB18_95:
	s_or_b32 exec_lo, exec_lo, s34
	s_and_saveexec_b32 s0, s1
	s_cbranch_execnz .LBB18_70
.LBB18_96:
	s_or_b32 exec_lo, exec_lo, s0
	s_mov_b32 s0, 0
	s_and_saveexec_b32 s39, s31
	s_cbranch_execz .LBB18_71
.LBB18_97:
	v_mov_b64_e32 v[2:3], 0
	s_and_not1_b32 vcc_lo, exec_lo, s17
	s_cbranch_vccnz .LBB18_113
; %bb.98:
	s_wait_loadcnt 0x0
	v_dual_mov_b32 v2, v17 :: v_dual_ashrrev_i32 v3, 31, v17
	s_ashr_i32 s31, s30, 31
	v_mov_b32_e32 v6, 0
	s_lshl_b64 s[0:1], s[30:31], 3
	s_mov_b64 s[16:17], 0xffffffff
	v_mul_u64_e32 v[10:11], s[18:19], v[2:3]
	v_mov_b64_e32 v[2:3], 0
	s_add_nc_u64 s[0:1], s[20:21], s[0:1]
	s_delay_alu instid0(SALU_CYCLE_1)
	s_add_nc_u64 s[18:19], s[0:1], 32
	s_mov_b32 s1, 0
	s_branch .LBB18_100
.LBB18_99:                              ;   in Loop: Header=BB18_100 Depth=1
	s_or_b32 exec_lo, exec_lo, s0
	s_delay_alu instid0(VALU_DEP_1)
	v_mul_u64_e32 v[14:15], s[30:31], v[12:13]
	s_load_b64 s[30:31], s[18:19], 0x40
	s_add_co_i32 s26, s26, -1
	s_wait_xcnt 0x0
	s_add_nc_u64 s[18:19], s[18:19], -8
	s_cmp_lg_u32 s26, 0
	s_delay_alu instid0(VALU_DEP_1) | instskip(SKIP_1) | instid1(VALU_DEP_1)
	v_sub_nc_u64_e32 v[10:11], v[10:11], v[14:15]
	s_wait_kmcnt 0x0
	v_mad_nc_u64_u32 v[2:3], v10, s30, v[2:3]
	s_delay_alu instid0(VALU_DEP_1) | instskip(NEXT) | instid1(VALU_DEP_1)
	v_mad_u32 v1, v11, s30, v3
	v_mad_u32 v3, v10, s31, v1
	v_mov_b64_e32 v[10:11], v[12:13]
	s_cbranch_scc0 .LBB18_113
.LBB18_100:                             ; =>This Inner Loop Header: Depth=1
	s_load_b64 s[30:31], s[18:19], 0x0
                                        ; implicit-def: $vgpr12_vgpr13
	s_mov_b32 s0, exec_lo
	s_wait_kmcnt 0x0
	s_delay_alu instid0(VALU_DEP_1) | instskip(NEXT) | instid1(VALU_DEP_1)
	v_or_b32_e32 v7, s31, v11
	v_cmpx_ne_u64_e32 0, v[6:7]
	s_xor_b32 s40, exec_lo, s0
	s_cbranch_execz .LBB18_102
; %bb.101:                              ;   in Loop: Header=BB18_100 Depth=1
	s_ashr_i32 s34, s31, 31
	v_dual_mov_b32 v17, v6 :: v_dual_ashrrev_i32 v12, 31, v11
	s_mov_b32 s35, s34
	s_delay_alu instid0(SALU_CYCLE_1) | instskip(NEXT) | instid1(VALU_DEP_1)
	s_add_nc_u64 s[36:37], s[30:31], s[34:35]
	v_mov_b32_e32 v13, v12
	s_xor_b64 s[36:37], s[36:37], s[34:35]
	s_delay_alu instid0(SALU_CYCLE_1)
	s_cvt_f32_u32 s0, s36
	s_cvt_f32_u32 s35, s37
	s_sub_nc_u64 s[46:47], 0, s[36:37]
	v_add_nc_u64_e32 v[14:15], v[10:11], v[12:13]
	v_mov_b32_e32 v21, v6
	s_fmamk_f32 s0, s35, 0x4f800000, s0
	s_delay_alu instid0(SALU_CYCLE_3) | instskip(NEXT) | instid1(VALU_DEP_2)
	v_s_rcp_f32 s0, s0
	v_xor_b32_e32 v16, v14, v12
	s_delay_alu instid0(VALU_DEP_3) | instskip(NEXT) | instid1(TRANS32_DEP_1)
	v_dual_mov_b32 v25, v6 :: v_dual_bitop2_b32 v20, v15, v12 bitop3:0x14
	s_mul_f32 s0, s0, 0x5f7ffffc
	s_delay_alu instid0(SALU_CYCLE_3) | instskip(NEXT) | instid1(SALU_CYCLE_3)
	s_mul_f32 s35, s0, 0x2f800000
	s_trunc_f32 s35, s35
	s_delay_alu instid0(SALU_CYCLE_3) | instskip(SKIP_1) | instid1(SALU_CYCLE_2)
	s_fmamk_f32 s0, s35, 0xcf800000, s0
	s_cvt_u32_f32 s43, s35
	s_cvt_u32_f32 s42, s0
	s_delay_alu instid0(SALU_CYCLE_3) | instskip(NEXT) | instid1(SALU_CYCLE_1)
	s_mul_u64 s[48:49], s[46:47], s[42:43]
	s_mul_hi_u32 s51, s42, s49
	s_mul_i32 s50, s42, s49
	s_mul_hi_u32 s0, s42, s48
	s_mul_i32 s41, s43, s48
	s_add_nc_u64 s[50:51], s[0:1], s[50:51]
	s_mul_hi_u32 s35, s43, s48
	s_mul_hi_u32 s45, s43, s49
	s_add_co_u32 s0, s50, s41
	s_add_co_ci_u32 s0, s51, s35
	s_mul_i32 s48, s43, s49
	s_add_co_ci_u32 s49, s45, 0
	s_delay_alu instid0(SALU_CYCLE_1) | instskip(NEXT) | instid1(SALU_CYCLE_1)
	s_add_nc_u64 s[48:49], s[0:1], s[48:49]
	s_add_co_u32 s42, s42, s48
	s_cselect_b32 s0, -1, 0
	s_delay_alu instid0(SALU_CYCLE_1) | instskip(SKIP_1) | instid1(SALU_CYCLE_1)
	s_cmp_lg_u32 s0, 0
	s_add_co_ci_u32 s43, s43, s49
	s_mul_u64 s[46:47], s[46:47], s[42:43]
	s_delay_alu instid0(SALU_CYCLE_1)
	s_mul_hi_u32 s49, s42, s47
	s_mul_i32 s48, s42, s47
	s_mul_hi_u32 s0, s42, s46
	s_mul_i32 s41, s43, s46
	s_add_nc_u64 s[48:49], s[0:1], s[48:49]
	s_mul_hi_u32 s35, s43, s46
	s_mul_hi_u32 s45, s43, s47
	s_add_co_u32 s0, s48, s41
	s_add_co_ci_u32 s0, s49, s35
	s_mul_i32 s46, s43, s47
	s_add_co_ci_u32 s47, s45, 0
	s_delay_alu instid0(SALU_CYCLE_1) | instskip(NEXT) | instid1(SALU_CYCLE_1)
	s_add_nc_u64 s[46:47], s[0:1], s[46:47]
	s_add_co_u32 s42, s42, s46
	s_cselect_b32 s0, -1, 0
	v_mul_hi_u32 v24, v16, s42
	s_cmp_lg_u32 s0, 0
	s_add_co_ci_u32 s0, s43, s47
	s_and_b64 s[46:47], s[42:43], s[16:17]
	v_mul_u64_e32 v[18:19], s[0:1], v[16:17]
	v_mul_u64_e32 v[14:15], s[46:47], v[20:21]
	;; [unrolled: 1-line block ×3, first 2 shown]
	s_delay_alu instid0(VALU_DEP_3) | instskip(NEXT) | instid1(VALU_DEP_1)
	v_add_nc_u64_e32 v[18:19], v[24:25], v[18:19]
	v_add_co_u32 v1, vcc_lo, v18, v14
	s_delay_alu instid0(VALU_DEP_2) | instskip(NEXT) | instid1(VALU_DEP_4)
	v_add_co_ci_u32_e32 v24, vcc_lo, v19, v15, vcc_lo
	v_add_co_ci_u32_e32 v23, vcc_lo, 0, v23, vcc_lo
	s_delay_alu instid0(VALU_DEP_1) | instskip(NEXT) | instid1(VALU_DEP_1)
	v_add_nc_u64_e32 v[14:15], v[24:25], v[22:23]
	v_mul_u64_e32 v[18:19], s[36:37], v[14:15]
	s_delay_alu instid0(VALU_DEP_1) | instskip(NEXT) | instid1(VALU_DEP_2)
	v_sub_nc_u32_e32 v1, v20, v19
	v_sub_co_u32 v4, vcc_lo, v16, v18
	s_delay_alu instid0(VALU_DEP_1) | instskip(NEXT) | instid1(VALU_DEP_3)
	v_sub_co_ci_u32_e64 v8, null, v20, v19, vcc_lo
	v_subrev_co_ci_u32_e64 v1, null, s37, v1, vcc_lo
	s_delay_alu instid0(VALU_DEP_3) | instskip(SKIP_1) | instid1(VALU_DEP_3)
	v_sub_co_u32 v7, s0, v4, s36
	v_add_nc_u64_e32 v[16:17], 2, v[14:15]
	v_subrev_co_ci_u32_e64 v1, null, 0, v1, s0
	s_delay_alu instid0(VALU_DEP_3) | instskip(SKIP_2) | instid1(VALU_DEP_4)
	v_cmp_le_u32_e32 vcc_lo, s36, v7
	v_add_nc_u64_e32 v[18:19], 1, v[14:15]
	v_cndmask_b32_e64 v7, 0, -1, vcc_lo
	v_cmp_le_u32_e32 vcc_lo, s37, v1
	v_cndmask_b32_e64 v13, 0, -1, vcc_lo
	v_cmp_le_u32_e32 vcc_lo, s36, v4
	;; [unrolled: 2-line block ×3, first 2 shown]
	v_cndmask_b32_e64 v20, 0, -1, vcc_lo
	v_cmp_eq_u32_e32 vcc_lo, s37, v1
	v_cndmask_b32_e32 v1, v13, v7, vcc_lo
	v_cmp_eq_u32_e32 vcc_lo, s37, v8
	s_delay_alu instid0(VALU_DEP_4) | instskip(NEXT) | instid1(VALU_DEP_3)
	v_cndmask_b32_e32 v4, v20, v4, vcc_lo
	v_cmp_ne_u32_e32 vcc_lo, 0, v1
	s_delay_alu instid0(VALU_DEP_2) | instskip(SKIP_1) | instid1(VALU_DEP_1)
	v_cmp_ne_u32_e64 s0, 0, v4
	v_dual_cndmask_b32 v1, v19, v17 :: v_dual_cndmask_b32 v4, v18, v16
	v_dual_cndmask_b32 v1, v15, v1, s0 :: v_dual_bitop2_b32 v12, s34, v12 bitop3:0x14
	s_delay_alu instid0(VALU_DEP_1) | instskip(NEXT) | instid1(VALU_DEP_2)
	v_dual_cndmask_b32 v4, v14, v4, s0 :: v_dual_mov_b32 v13, v12
	v_xor_b32_e32 v15, v1, v12
	s_delay_alu instid0(VALU_DEP_2) | instskip(NEXT) | instid1(VALU_DEP_1)
	v_xor_b32_e32 v14, v4, v12
	v_sub_nc_u64_e32 v[12:13], v[14:15], v[12:13]
.LBB18_102:                             ;   in Loop: Header=BB18_100 Depth=1
	s_and_not1_saveexec_b32 s0, s40
	s_cbranch_execz .LBB18_99
; %bb.103:                              ;   in Loop: Header=BB18_100 Depth=1
	v_cvt_f32_u32_e32 v1, s30
	s_sub_co_i32 s34, 0, s30
	v_mov_b32_e32 v13, v6
	s_delay_alu instid0(VALU_DEP_2) | instskip(SKIP_1) | instid1(TRANS32_DEP_1)
	v_rcp_iflag_f32_e32 v1, v1
	v_nop
	v_mul_f32_e32 v1, 0x4f7ffffe, v1
	s_delay_alu instid0(VALU_DEP_1) | instskip(NEXT) | instid1(VALU_DEP_1)
	v_cvt_u32_f32_e32 v1, v1
	v_mul_lo_u32 v4, s34, v1
	s_delay_alu instid0(VALU_DEP_1) | instskip(NEXT) | instid1(VALU_DEP_1)
	v_mul_hi_u32 v4, v1, v4
	v_add_nc_u32_e32 v1, v1, v4
	s_delay_alu instid0(VALU_DEP_1) | instskip(NEXT) | instid1(VALU_DEP_1)
	v_mul_hi_u32 v1, v10, v1
	v_mul_lo_u32 v4, v1, s30
	s_delay_alu instid0(VALU_DEP_1) | instskip(NEXT) | instid1(VALU_DEP_1)
	v_sub_nc_u32_e32 v4, v10, v4
	v_subrev_nc_u32_e32 v8, s30, v4
	v_cmp_le_u32_e32 vcc_lo, s30, v4
	s_delay_alu instid0(VALU_DEP_2) | instskip(NEXT) | instid1(VALU_DEP_1)
	v_dual_cndmask_b32 v4, v4, v8 :: v_dual_add_nc_u32 v7, 1, v1
	v_cndmask_b32_e32 v1, v1, v7, vcc_lo
	s_delay_alu instid0(VALU_DEP_2) | instskip(NEXT) | instid1(VALU_DEP_2)
	v_cmp_le_u32_e32 vcc_lo, s30, v4
	v_add_nc_u32_e32 v7, 1, v1
	s_delay_alu instid0(VALU_DEP_1)
	v_cndmask_b32_e32 v12, v1, v7, vcc_lo
	s_branch .LBB18_99
.LBB18_104:
                                        ; implicit-def: $sgpr0
                                        ; implicit-def: $sgpr31
                                        ; implicit-def: $sgpr40
                                        ; implicit-def: $sgpr22
                                        ; implicit-def: $vgpr0
	s_and_saveexec_b32 s1, s3
.LBB18_105:
	; divergent unreachable
.LBB18_106:
	s_delay_alu instid0(SALU_CYCLE_1)
	s_or_b32 exec_lo, exec_lo, s1
	s_and_saveexec_b32 s1, s44
	s_cbranch_execz .LBB18_112
; %bb.107:
	s_and_b32 exec_lo, exec_lo, s0
	s_cbranch_execz .LBB18_112
; %bb.108:
	v_dual_mov_b32 v1, 0 :: v_dual_bitop2_b32 v2, s2, v0 bitop3:0x54
	global_store_b32 v2, v1, s[4:5] scale_offset
	s_wait_xcnt 0x0
	s_and_b32 exec_lo, exec_lo, s31
	s_cbranch_execz .LBB18_112
; %bb.109:
	v_add_nc_u32_e32 v0, s2, v0
	global_store_b32 v0, v1, s[4:5] offset:1024 scale_offset
	s_wait_xcnt 0x0
	s_and_b32 exec_lo, exec_lo, s40
	s_cbranch_execz .LBB18_112
; %bb.110:
	v_lshl_add_u64 v[0:1], v[0:1], 2, s[4:5]
	v_mov_b32_e32 v2, 0
	global_store_b32 v[0:1], v2, off offset:2048
	s_wait_xcnt 0x0
	s_and_b32 exec_lo, exec_lo, s22
	s_cbranch_execz .LBB18_112
; %bb.111:
	global_store_b32 v[0:1], v2, off offset:3072
.LBB18_112:
	s_endpgm
.LBB18_113:
	s_mov_b32 s1, s38
	s_mov_b32 s0, exec_lo
	v_cmpx_gt_i32_e64 v5, v9
	s_cbranch_execz .LBB18_124
; %bb.114:
	s_delay_alu instid0(VALU_DEP_2)
	v_lshlrev_b64_e32 v[2:3], 2, v[2:3]
	v_dual_mov_b32 v6, v9 :: v_dual_ashrrev_i32 v7, 31, v9
	v_dual_mov_b32 v10, v5 :: v_dual_ashrrev_i32 v11, 31, v5
	s_mov_b32 s1, 0
	s_wait_kmcnt 0x0
	s_xor_b32 s17, s27, -1
	s_delay_alu instid0(VALU_DEP_3) | instskip(SKIP_1) | instid1(VALU_DEP_2)
	v_lshl_add_u64 v[6:7], v[6:7], 2, v[2:3]
	v_add_nc_u64_e32 v[8:9], s[28:29], v[2:3]
                                        ; implicit-def: $sgpr16
                                        ; implicit-def: $sgpr19
                                        ; implicit-def: $sgpr18
	v_add_nc_u64_e32 v[6:7], s[28:29], v[6:7]
	s_delay_alu instid0(VALU_DEP_2) | instskip(NEXT) | instid1(VALU_DEP_2)
	v_lshl_add_u64 v[4:5], v[10:11], 2, v[8:9]
	v_add_nc_u64_e32 v[2:3], 4, v[6:7]
	s_branch .LBB18_116
.LBB18_115:                             ;   in Loop: Header=BB18_116 Depth=1
	s_or_b32 exec_lo, exec_lo, s26
	s_xor_b32 s26, s18, -1
	s_and_b32 s27, exec_lo, s19
	s_delay_alu instid0(SALU_CYCLE_1) | instskip(SKIP_2) | instid1(SALU_CYCLE_1)
	s_or_b32 s1, s27, s1
	s_and_not1_b32 s16, s16, exec_lo
	s_and_b32 s26, s26, exec_lo
	s_or_b32 s16, s16, s26
	s_and_not1_b32 exec_lo, exec_lo, s1
	s_cbranch_execz .LBB18_123
.LBB18_116:                             ; =>This Inner Loop Header: Depth=1
	s_or_b32 s18, s18, exec_lo
	s_or_b32 s19, s19, exec_lo
	s_mov_b32 s26, exec_lo
	s_delay_alu instid0(VALU_DEP_1)
	v_cmpx_lt_u64_e64 v[2:3], v[4:5]
	s_cbranch_execz .LBB18_115
; %bb.117:                              ;   in Loop: Header=BB18_116 Depth=1
	global_load_b64 v[6:7], v[2:3], off offset:-4
	s_wait_xcnt 0x0
	v_add_nc_u64_e32 v[2:3], 4, v[2:3]
	s_and_not1_b32 s19, s19, exec_lo
	s_and_not1_b32 s18, s18, exec_lo
	s_wait_loadcnt 0x0
	v_cmp_ge_i32_e32 vcc_lo, v6, v7
	s_or_b32 s27, s17, vcc_lo
	s_delay_alu instid0(SALU_CYCLE_1) | instskip(NEXT) | instid1(SALU_CYCLE_1)
	s_and_b32 s27, s27, exec_lo
	s_or_b32 s19, s19, s27
	s_branch .LBB18_115
.LBB18_118:
	s_mov_b32 s15, -1
	s_mov_b32 s13, 0
	s_mov_b32 s1, exec_lo
	v_cmpx_gt_i32_e64 v20, v22
	s_cbranch_execz .LBB18_127
; %bb.119:
	s_wait_loadcnt 0x0
	s_delay_alu instid0(VALU_DEP_2) | instskip(SKIP_2) | instid1(VALU_DEP_1)
	v_lshlrev_b64_e32 v[24:25], 2, v[26:27]
	v_dual_ashrrev_i32 v23, 31, v22 :: v_dual_ashrrev_i32 v21, 31, v20
	s_xor_b32 s15, s29, -1
                                        ; implicit-def: $sgpr14
                                        ; implicit-def: $sgpr17
                                        ; implicit-def: $sgpr16
	v_lshl_add_u64 v[22:23], v[22:23], 2, v[24:25]
	v_add_nc_u64_e32 v[24:25], s[6:7], v[24:25]
	s_delay_alu instid0(VALU_DEP_2) | instskip(NEXT) | instid1(VALU_DEP_2)
	v_add_nc_u64_e32 v[22:23], s[6:7], v[22:23]
	v_lshl_add_u64 v[20:21], v[20:21], 2, v[24:25]
	s_delay_alu instid0(VALU_DEP_2)
	v_add_nc_u64_e32 v[22:23], 4, v[22:23]
	s_branch .LBB18_121
.LBB18_120:                             ;   in Loop: Header=BB18_121 Depth=1
	s_or_b32 exec_lo, exec_lo, s18
	s_delay_alu instid0(SALU_CYCLE_1) | instskip(NEXT) | instid1(SALU_CYCLE_1)
	s_and_b32 s18, exec_lo, s17
	s_or_b32 s13, s18, s13
	s_and_not1_b32 s14, s14, exec_lo
	s_and_b32 s18, s16, exec_lo
	s_delay_alu instid0(SALU_CYCLE_1)
	s_or_b32 s14, s14, s18
	s_and_not1_b32 exec_lo, exec_lo, s13
	s_cbranch_execz .LBB18_126
.LBB18_121:                             ; =>This Inner Loop Header: Depth=1
	s_or_b32 s16, s16, exec_lo
	s_or_b32 s17, s17, exec_lo
	s_mov_b32 s18, exec_lo
	s_delay_alu instid0(VALU_DEP_1)
	v_cmpx_lt_u64_e64 v[22:23], v[20:21]
	s_cbranch_execz .LBB18_120
; %bb.122:                              ;   in Loop: Header=BB18_121 Depth=1
	global_load_b64 v[24:25], v[22:23], off offset:-4
	s_wait_xcnt 0x0
	v_add_nc_u64_e32 v[22:23], 4, v[22:23]
	s_and_not1_b32 s17, s17, exec_lo
	s_and_not1_b32 s16, s16, exec_lo
	s_wait_loadcnt 0x0
	v_cmp_ge_i32_e32 vcc_lo, v24, v25
	s_or_b32 s19, s15, vcc_lo
	s_delay_alu instid0(SALU_CYCLE_1) | instskip(NEXT) | instid1(SALU_CYCLE_1)
	s_and_b32 s19, s19, exec_lo
	s_or_b32 s17, s17, s19
	s_branch .LBB18_120
.LBB18_123:
	s_or_b32 exec_lo, exec_lo, s1
	s_delay_alu instid0(SALU_CYCLE_1) | instskip(SKIP_1) | instid1(SALU_CYCLE_1)
	s_and_not1_b32 s1, s38, exec_lo
	s_and_b32 s16, s16, exec_lo
	s_or_b32 s1, s1, s16
.LBB18_124:
	s_or_b32 exec_lo, exec_lo, s0
	s_delay_alu instid0(SALU_CYCLE_1)
	s_and_not1_b32 s16, s38, exec_lo
	s_and_b32 s1, s1, exec_lo
	s_mov_b32 s0, exec_lo
	s_or_b32 s38, s16, s1
	s_or_b32 exec_lo, exec_lo, s39
	s_and_saveexec_b32 s1, s38
	s_cbranch_execz .LBB18_72
.LBB18_125:
	s_or_b32 s3, s3, exec_lo
	s_and_not1_b32 s0, s0, exec_lo
	s_trap 2
	s_or_b32 exec_lo, exec_lo, s1
	s_and_saveexec_b32 s1, s0
	s_delay_alu instid0(SALU_CYCLE_1)
	s_xor_b32 s0, exec_lo, s1
	s_cbranch_execnz .LBB18_73
	s_branch .LBB18_74
.LBB18_126:
	s_or_b32 exec_lo, exec_lo, s13
	s_delay_alu instid0(SALU_CYCLE_1)
	s_mov_b32 s13, exec_lo
	s_or_not1_b32 s15, s14, exec_lo
.LBB18_127:
	s_or_b32 exec_lo, exec_lo, s1
	s_delay_alu instid0(SALU_CYCLE_1)
	s_and_b32 s14, s13, exec_lo
	s_xor_b32 s13, exec_lo, -1
	s_and_b32 s1, s15, exec_lo
.LBB18_128:
	s_or_b32 exec_lo, exec_lo, s39
	s_delay_alu instid0(SALU_CYCLE_1)
	s_and_b32 s15, s14, exec_lo
	s_and_b32 s14, s13, exec_lo
	s_xor_b32 s13, exec_lo, -1
	s_and_b32 s1, s1, exec_lo
.LBB18_129:
	s_or_b32 exec_lo, exec_lo, s38
	s_delay_alu instid0(SALU_CYCLE_1)
	s_and_b32 s16, s15, exec_lo
	s_and_b32 s15, s14, exec_lo
	;; [unrolled: 1-line block ×3, first 2 shown]
	s_xor_b32 s13, exec_lo, -1
	s_and_b32 s1, s1, exec_lo
.LBB18_130:
	s_or_b32 exec_lo, exec_lo, s35
	s_delay_alu instid0(SALU_CYCLE_1)
	s_and_b32 s35, s16, exec_lo
	s_and_b32 s38, s15, exec_lo
	;; [unrolled: 1-line block ×4, first 2 shown]
	s_or_not1_b32 s1, s1, exec_lo
.LBB18_131:
	s_or_b32 exec_lo, exec_lo, s31
	s_mov_b32 s44, 0
                                        ; implicit-def: $sgpr31
                                        ; implicit-def: $sgpr40
                                        ; implicit-def: $sgpr22
	s_and_saveexec_b32 s42, s1
	s_cbranch_execz .LBB18_143
; %bb.132:
	v_cmp_gt_i32_e64 s31, s33, v17
	s_mov_b32 s1, -1
	s_mov_b32 s48, 0
	s_mov_b32 s43, s41
	;; [unrolled: 1-line block ×4, first 2 shown]
	s_and_saveexec_b32 s40, s31
	s_cbranch_execz .LBB18_179
; %bb.133:
	s_wait_loadcnt 0x4
	v_cmp_eq_u32_e32 vcc_lo, s36, v15
	s_mov_b32 s13, -1
	s_mov_b32 s1, 0
	s_mov_b32 s15, s39
	s_mov_b32 s16, s38
	s_and_b32 s17, s37, vcc_lo
	s_mov_b32 s14, 0
	s_and_saveexec_b32 s43, s17
	s_cbranch_execz .LBB18_178
; %bb.134:
	s_wait_loadcnt 0x3
	v_cmp_eq_u32_e32 vcc_lo, s10, v19
	s_mov_b32 s15, s38
	s_and_b32 s16, s34, vcc_lo
	s_delay_alu instid0(SALU_CYCLE_1)
	s_and_saveexec_b32 s44, s16
	s_cbranch_execz .LBB18_177
; %bb.135:
	s_wait_loadcnt 0x1
	v_sub_nc_u32_e32 v5, v14, v16
	s_delay_alu instid0(VALU_DEP_1)
	v_cmp_le_i32_e32 vcc_lo, v15, v5
	v_cmp_ge_i32_e64 s1, s8, v5
	s_and_b32 s14, vcc_lo, s1
	s_mov_b32 s1, 0
	s_and_b32 s15, s30, s14
	s_mov_b32 s14, 0
	s_and_saveexec_b32 s45, s15
	s_cbranch_execz .LBB18_176
; %bb.136:
	v_mov_b64_e32 v[20:21], 0
	s_and_not1_b32 vcc_lo, exec_lo, s9
	s_cbranch_vccnz .LBB18_169
; %bb.137:
	s_wait_loadcnt 0x0
	v_ashrrev_i32_e32 v19, 31, v18
	s_ashr_i32 s13, s12, 31
	v_mov_b64_e32 v[20:21], 0
	s_lshl_b64 s[16:17], s[12:13], 3
	s_mov_b64 s[14:15], 0xffffffff
	v_mul_u64_e32 v[22:23], s[10:11], v[18:19]
	v_mov_b32_e32 v18, 0
	s_add_nc_u64 s[16:17], s[20:21], s[16:17]
	s_mov_b32 s19, 0
	s_add_nc_u64 s[16:17], s[16:17], 32
	s_mov_b32 s13, s28
	s_branch .LBB18_139
.LBB18_138:                             ;   in Loop: Header=BB18_139 Depth=1
	s_or_b32 exec_lo, exec_lo, s1
	s_delay_alu instid0(VALU_DEP_1)
	v_mul_u64_e32 v[26:27], s[22:23], v[24:25]
	s_load_b64 s[22:23], s[16:17], 0x40
	s_add_co_i32 s13, s13, -1
	s_wait_xcnt 0x0
	s_add_nc_u64 s[16:17], s[16:17], -8
	s_cmp_lg_u32 s13, 0
	s_delay_alu instid0(VALU_DEP_1) | instskip(SKIP_1) | instid1(VALU_DEP_1)
	v_sub_nc_u64_e32 v[22:23], v[22:23], v[26:27]
	s_wait_kmcnt 0x0
	v_mad_nc_u64_u32 v[20:21], v22, s22, v[20:21]
	s_delay_alu instid0(VALU_DEP_1) | instskip(NEXT) | instid1(VALU_DEP_1)
	v_mad_u32 v5, v23, s22, v21
	v_mad_u32 v21, v22, s23, v5
	v_mov_b64_e32 v[22:23], v[24:25]
	s_cbranch_scc0 .LBB18_169
.LBB18_139:                             ; =>This Inner Loop Header: Depth=1
	s_load_b64 s[22:23], s[16:17], 0x0
                                        ; implicit-def: $vgpr24_vgpr25
	s_mov_b32 s1, exec_lo
	s_wait_kmcnt 0x0
	s_delay_alu instid0(VALU_DEP_1) | instskip(NEXT) | instid1(VALU_DEP_1)
	v_or_b32_e32 v19, s23, v23
	v_cmpx_ne_u64_e32 0, v[18:19]
	s_xor_b32 s46, exec_lo, s1
	s_cbranch_execz .LBB18_141
; %bb.140:                              ;   in Loop: Header=BB18_139 Depth=1
	s_ashr_i32 s24, s23, 31
	v_dual_mov_b32 v29, v18 :: v_dual_ashrrev_i32 v24, 31, v23
	s_mov_b32 s25, s24
	s_delay_alu instid0(SALU_CYCLE_1) | instskip(NEXT) | instid1(VALU_DEP_1)
	s_add_nc_u64 s[26:27], s[22:23], s[24:25]
	v_mov_b32_e32 v25, v24
	s_xor_b64 s[26:27], s[26:27], s[24:25]
	s_delay_alu instid0(SALU_CYCLE_1)
	s_cvt_f32_u32 s1, s26
	s_cvt_f32_u32 s18, s27
	s_sub_nc_u64 s[52:53], 0, s[26:27]
	v_add_nc_u64_e32 v[26:27], v[22:23], v[24:25]
	v_mov_b32_e32 v33, v18
	s_fmamk_f32 s1, s18, 0x4f800000, s1
	s_delay_alu instid0(SALU_CYCLE_3) | instskip(NEXT) | instid1(VALU_DEP_2)
	v_s_rcp_f32 s1, s1
	v_xor_b32_e32 v28, v26, v24
	s_delay_alu instid0(VALU_DEP_3) | instskip(NEXT) | instid1(TRANS32_DEP_1)
	v_dual_mov_b32 v37, v18 :: v_dual_bitop2_b32 v32, v27, v24 bitop3:0x14
	s_mul_f32 s1, s1, 0x5f7ffffc
	s_delay_alu instid0(SALU_CYCLE_3) | instskip(NEXT) | instid1(SALU_CYCLE_3)
	s_mul_f32 s18, s1, 0x2f800000
	s_trunc_f32 s18, s18
	s_delay_alu instid0(SALU_CYCLE_3) | instskip(SKIP_1) | instid1(SALU_CYCLE_2)
	s_fmamk_f32 s1, s18, 0xcf800000, s1
	s_cvt_u32_f32 s51, s18
	s_cvt_u32_f32 s50, s1
	s_delay_alu instid0(SALU_CYCLE_3) | instskip(NEXT) | instid1(SALU_CYCLE_1)
	s_mul_u64 s[54:55], s[52:53], s[50:51]
	s_mul_hi_u32 s57, s50, s55
	s_mul_i32 s56, s50, s55
	s_mul_hi_u32 s18, s50, s54
	s_mul_i32 s25, s51, s54
	s_add_nc_u64 s[56:57], s[18:19], s[56:57]
	s_mul_hi_u32 s1, s51, s54
	s_mul_hi_u32 s47, s51, s55
	s_add_co_u32 s18, s56, s25
	s_add_co_ci_u32 s18, s57, s1
	s_mul_i32 s54, s51, s55
	s_add_co_ci_u32 s55, s47, 0
	s_delay_alu instid0(SALU_CYCLE_1) | instskip(NEXT) | instid1(SALU_CYCLE_1)
	s_add_nc_u64 s[54:55], s[18:19], s[54:55]
	s_add_co_u32 s50, s50, s54
	s_cselect_b32 s1, -1, 0
	s_delay_alu instid0(SALU_CYCLE_1) | instskip(SKIP_1) | instid1(SALU_CYCLE_1)
	s_cmp_lg_u32 s1, 0
	s_add_co_ci_u32 s51, s51, s55
	s_mul_u64 s[52:53], s[52:53], s[50:51]
	s_delay_alu instid0(SALU_CYCLE_1)
	s_mul_hi_u32 s55, s50, s53
	s_mul_i32 s54, s50, s53
	s_mul_hi_u32 s18, s50, s52
	s_mul_i32 s25, s51, s52
	s_add_nc_u64 s[54:55], s[18:19], s[54:55]
	s_mul_hi_u32 s1, s51, s52
	s_mul_hi_u32 s47, s51, s53
	s_add_co_u32 s18, s54, s25
	s_add_co_ci_u32 s18, s55, s1
	s_mul_i32 s52, s51, s53
	s_add_co_ci_u32 s53, s47, 0
	s_delay_alu instid0(SALU_CYCLE_1) | instskip(NEXT) | instid1(SALU_CYCLE_1)
	s_add_nc_u64 s[52:53], s[18:19], s[52:53]
	s_add_co_u32 s50, s50, s52
	s_cselect_b32 s1, -1, 0
	v_mul_hi_u32 v36, v28, s50
	s_cmp_lg_u32 s1, 0
	s_add_co_ci_u32 s18, s51, s53
	s_and_b64 s[52:53], s[50:51], s[14:15]
	v_mul_u64_e32 v[30:31], s[18:19], v[28:29]
	v_mul_u64_e32 v[26:27], s[52:53], v[32:33]
	;; [unrolled: 1-line block ×3, first 2 shown]
	s_delay_alu instid0(VALU_DEP_3) | instskip(NEXT) | instid1(VALU_DEP_1)
	v_add_nc_u64_e32 v[30:31], v[36:37], v[30:31]
	v_add_co_u32 v5, vcc_lo, v30, v26
	s_delay_alu instid0(VALU_DEP_2) | instskip(NEXT) | instid1(VALU_DEP_4)
	v_add_co_ci_u32_e32 v36, vcc_lo, v31, v27, vcc_lo
	v_add_co_ci_u32_e32 v35, vcc_lo, 0, v35, vcc_lo
	s_delay_alu instid0(VALU_DEP_1) | instskip(NEXT) | instid1(VALU_DEP_1)
	v_add_nc_u64_e32 v[26:27], v[36:37], v[34:35]
	v_mul_u64_e32 v[30:31], s[26:27], v[26:27]
	s_delay_alu instid0(VALU_DEP_1) | instskip(NEXT) | instid1(VALU_DEP_2)
	v_sub_nc_u32_e32 v5, v32, v31
	v_sub_co_u32 v12, vcc_lo, v28, v30
	s_delay_alu instid0(VALU_DEP_1) | instskip(NEXT) | instid1(VALU_DEP_3)
	v_sub_co_ci_u32_e64 v17, null, v32, v31, vcc_lo
	v_subrev_co_ci_u32_e64 v5, null, s27, v5, vcc_lo
	s_delay_alu instid0(VALU_DEP_3) | instskip(SKIP_1) | instid1(VALU_DEP_3)
	v_sub_co_u32 v15, s1, v12, s26
	v_add_nc_u64_e32 v[28:29], 2, v[26:27]
	v_subrev_co_ci_u32_e64 v5, null, 0, v5, s1
	s_delay_alu instid0(VALU_DEP_3) | instskip(SKIP_2) | instid1(VALU_DEP_4)
	v_cmp_le_u32_e32 vcc_lo, s26, v15
	v_add_nc_u64_e32 v[30:31], 1, v[26:27]
	v_cndmask_b32_e64 v15, 0, -1, vcc_lo
	v_cmp_le_u32_e32 vcc_lo, s27, v5
	v_cndmask_b32_e64 v19, 0, -1, vcc_lo
	v_cmp_le_u32_e32 vcc_lo, s26, v12
	;; [unrolled: 2-line block ×3, first 2 shown]
	v_cndmask_b32_e64 v25, 0, -1, vcc_lo
	v_cmp_eq_u32_e32 vcc_lo, s27, v5
	v_cndmask_b32_e32 v5, v19, v15, vcc_lo
	v_cmp_eq_u32_e32 vcc_lo, s27, v17
	s_delay_alu instid0(VALU_DEP_4) | instskip(NEXT) | instid1(VALU_DEP_3)
	v_cndmask_b32_e32 v12, v25, v12, vcc_lo
	v_cmp_ne_u32_e32 vcc_lo, 0, v5
	s_delay_alu instid0(VALU_DEP_2) | instskip(SKIP_1) | instid1(VALU_DEP_1)
	v_cmp_ne_u32_e64 s1, 0, v12
	v_dual_cndmask_b32 v5, v31, v29 :: v_dual_cndmask_b32 v12, v30, v28
	v_dual_cndmask_b32 v5, v27, v5, s1 :: v_dual_bitop2_b32 v24, s24, v24 bitop3:0x14
	s_delay_alu instid0(VALU_DEP_1) | instskip(NEXT) | instid1(VALU_DEP_2)
	v_dual_cndmask_b32 v12, v26, v12, s1 :: v_dual_mov_b32 v25, v24
	v_xor_b32_e32 v27, v5, v24
	s_delay_alu instid0(VALU_DEP_2) | instskip(NEXT) | instid1(VALU_DEP_1)
	v_xor_b32_e32 v26, v12, v24
	v_sub_nc_u64_e32 v[24:25], v[26:27], v[24:25]
.LBB18_141:                             ;   in Loop: Header=BB18_139 Depth=1
	s_and_not1_saveexec_b32 s1, s46
	s_cbranch_execz .LBB18_138
; %bb.142:                              ;   in Loop: Header=BB18_139 Depth=1
	v_cvt_f32_u32_e32 v5, s22
	s_sub_co_i32 s18, 0, s22
	v_mov_b32_e32 v25, v18
	s_delay_alu instid0(VALU_DEP_2) | instskip(SKIP_1) | instid1(TRANS32_DEP_1)
	v_rcp_iflag_f32_e32 v5, v5
	v_nop
	v_mul_f32_e32 v5, 0x4f7ffffe, v5
	s_delay_alu instid0(VALU_DEP_1) | instskip(NEXT) | instid1(VALU_DEP_1)
	v_cvt_u32_f32_e32 v5, v5
	v_mul_lo_u32 v12, s18, v5
	s_delay_alu instid0(VALU_DEP_1) | instskip(NEXT) | instid1(VALU_DEP_1)
	v_mul_hi_u32 v12, v5, v12
	v_add_nc_u32_e32 v5, v5, v12
	s_delay_alu instid0(VALU_DEP_1) | instskip(NEXT) | instid1(VALU_DEP_1)
	v_mul_hi_u32 v5, v22, v5
	v_mul_lo_u32 v12, v5, s22
	s_delay_alu instid0(VALU_DEP_1) | instskip(NEXT) | instid1(VALU_DEP_1)
	v_dual_add_nc_u32 v15, 1, v5 :: v_dual_sub_nc_u32 v12, v22, v12
	v_subrev_nc_u32_e32 v17, s22, v12
	v_cmp_le_u32_e32 vcc_lo, s22, v12
	s_delay_alu instid0(VALU_DEP_2) | instskip(NEXT) | instid1(VALU_DEP_1)
	v_dual_cndmask_b32 v12, v12, v17 :: v_dual_cndmask_b32 v5, v5, v15
	v_cmp_le_u32_e32 vcc_lo, s22, v12
	s_delay_alu instid0(VALU_DEP_2) | instskip(NEXT) | instid1(VALU_DEP_1)
	v_add_nc_u32_e32 v15, 1, v5
	v_cndmask_b32_e32 v24, v5, v15, vcc_lo
	s_branch .LBB18_138
.LBB18_143:
	s_or_b32 exec_lo, exec_lo, s42
	s_and_saveexec_b32 s1, s41
	s_cbranch_execnz .LBB18_207
.LBB18_144:
	s_or_b32 exec_lo, exec_lo, s1
	s_mov_b32 s1, 0
	s_and_saveexec_b32 s13, s43
	s_delay_alu instid0(SALU_CYCLE_1)
	s_xor_b32 s13, exec_lo, s13
; %bb.145:
	v_cmp_ne_u32_e32 vcc_lo, s10, v3
	s_xor_b32 s14, s34, -1
	s_and_not1_b32 s15, s39, exec_lo
	s_mov_b32 s1, exec_lo
	s_or_b32 s14, s14, vcc_lo
	s_delay_alu instid0(SALU_CYCLE_1) | instskip(NEXT) | instid1(SALU_CYCLE_1)
	s_and_b32 s14, s14, exec_lo
	s_or_b32 s39, s15, s14
; %bb.146:
	s_or_b32 exec_lo, exec_lo, s13
	s_and_saveexec_b32 s13, s39
	s_cbranch_execnz .LBB18_210
.LBB18_147:
	s_or_b32 exec_lo, exec_lo, s13
	s_mov_b32 s13, 0
	s_and_saveexec_b32 s14, s1
	s_delay_alu instid0(SALU_CYCLE_1)
	s_xor_b32 s14, exec_lo, s14
	s_cbranch_execz .LBB18_152
; %bb.148:
	v_sub_nc_u32_e32 v3, v4, v2
	s_mov_b32 s13, exec_lo
	s_delay_alu instid0(VALU_DEP_1) | instskip(SKIP_3) | instid1(SALU_CYCLE_1)
	v_cmp_le_i32_e32 vcc_lo, v1, v3
	v_cmp_ge_i32_e64 s1, s8, v3
	s_and_not1_b32 s8, s38, exec_lo
	s_and_b32 s1, vcc_lo, s1
	s_and_b32 s1, s30, s1
	s_delay_alu instid0(SALU_CYCLE_1) | instskip(NEXT) | instid1(SALU_CYCLE_1)
	s_xor_b32 s1, s1, -1
	s_and_b32 s1, s1, exec_lo
	s_delay_alu instid0(SALU_CYCLE_1)
	s_or_b32 s38, s8, s1
	s_or_b32 exec_lo, exec_lo, s14
	s_and_saveexec_b32 s1, s38
	s_cbranch_execz .LBB18_153
.LBB18_149:
	s_or_b32 s3, s3, exec_lo
	s_and_not1_b32 s13, s13, exec_lo
	s_trap 2
	s_or_b32 exec_lo, exec_lo, s1
	s_and_saveexec_b32 s23, s13
	s_cbranch_execnz .LBB18_154
.LBB18_150:
	s_or_b32 exec_lo, exec_lo, s23
	s_and_saveexec_b32 s1, s35
	s_cbranch_execnz .LBB18_168
.LBB18_151:
	s_or_b32 exec_lo, exec_lo, s1
	s_and_saveexec_b32 s1, s3
	s_cbranch_execnz .LBB18_105
	s_branch .LBB18_106
.LBB18_152:
	s_or_b32 exec_lo, exec_lo, s14
	s_and_saveexec_b32 s1, s38
	s_cbranch_execnz .LBB18_149
.LBB18_153:
	s_or_b32 exec_lo, exec_lo, s1
	s_and_saveexec_b32 s23, s13
	s_cbranch_execz .LBB18_150
.LBB18_154:
	v_mov_b64_e32 v[8:9], 0
	s_and_not1_b32 vcc_lo, exec_lo, s9
	s_cbranch_vccnz .LBB18_161
; %bb.155:
	v_mul_u64_e32 v[10:11], s[10:11], v[6:7]
	s_ashr_i32 s13, s12, 31
	v_mov_b64_e32 v[8:9], 0
	s_lshl_b64 s[10:11], s[12:13], 3
	v_mov_b32_e32 v6, 0
	s_add_nc_u64 s[10:11], s[20:21], s[10:11]
	s_mov_b64 s[8:9], 0xffffffff
	s_add_nc_u64 s[10:11], s[10:11], 32
	s_mov_b32 s13, 0
	s_branch .LBB18_157
.LBB18_156:                             ;   in Loop: Header=BB18_157 Depth=1
	s_or_b32 exec_lo, exec_lo, s1
	s_wait_loadcnt 0x1
	s_delay_alu instid0(VALU_DEP_1)
	v_mul_u64_e32 v[14:15], s[14:15], v[12:13]
	s_load_b64 s[14:15], s[10:11], 0x40
	s_add_co_i32 s28, s28, -1
	s_wait_xcnt 0x0
	s_add_nc_u64 s[10:11], s[10:11], -8
	s_cmp_lg_u32 s28, 0
	s_delay_alu instid0(VALU_DEP_1) | instskip(SKIP_1) | instid1(VALU_DEP_1)
	v_sub_nc_u64_e32 v[10:11], v[10:11], v[14:15]
	s_wait_kmcnt 0x0
	v_mad_nc_u64_u32 v[8:9], v10, s14, v[8:9]
	s_delay_alu instid0(VALU_DEP_1) | instskip(NEXT) | instid1(VALU_DEP_1)
	v_mad_u32 v1, v11, s14, v9
	v_mad_u32 v9, v10, s15, v1
	v_mov_b64_e32 v[10:11], v[12:13]
	s_cbranch_scc0 .LBB18_161
.LBB18_157:                             ; =>This Inner Loop Header: Depth=1
	s_load_b64 s[14:15], s[10:11], 0x0
                                        ; implicit-def: $vgpr12_vgpr13
	s_mov_b32 s1, exec_lo
	s_wait_kmcnt 0x0
	s_delay_alu instid0(VALU_DEP_1) | instskip(NEXT) | instid1(VALU_DEP_1)
	v_or_b32_e32 v7, s15, v11
	v_cmpx_ne_u64_e32 0, v[6:7]
	s_xor_b32 s20, exec_lo, s1
	s_cbranch_execz .LBB18_159
; %bb.158:                              ;   in Loop: Header=BB18_157 Depth=1
	s_ashr_i32 s16, s15, 31
	v_dual_mov_b32 v17, v6 :: v_dual_ashrrev_i32 v12, 31, v11
	s_mov_b32 s17, s16
	s_delay_alu instid0(SALU_CYCLE_1) | instskip(NEXT) | instid1(VALU_DEP_1)
	s_add_nc_u64 s[18:19], s[14:15], s[16:17]
	v_mov_b32_e32 v13, v12
	s_xor_b64 s[18:19], s[18:19], s[16:17]
	s_delay_alu instid0(SALU_CYCLE_1)
	s_cvt_f32_u32 s1, s18
	s_cvt_f32_u32 s12, s19
	s_sub_nc_u64 s[26:27], 0, s[18:19]
	s_wait_loadcnt 0x1
	v_add_nc_u64_e32 v[14:15], v[10:11], v[12:13]
	v_mov_b32_e32 v21, v6
	s_fmamk_f32 s1, s12, 0x4f800000, s1
	s_delay_alu instid0(SALU_CYCLE_3) | instskip(NEXT) | instid1(VALU_DEP_2)
	v_s_rcp_f32 s1, s1
	v_xor_b32_e32 v16, v14, v12
	s_delay_alu instid0(VALU_DEP_3) | instskip(NEXT) | instid1(TRANS32_DEP_1)
	v_dual_mov_b32 v25, v6 :: v_dual_bitop2_b32 v20, v15, v12 bitop3:0x14
	s_mul_f32 s1, s1, 0x5f7ffffc
	s_delay_alu instid0(SALU_CYCLE_3) | instskip(NEXT) | instid1(SALU_CYCLE_3)
	s_mul_f32 s12, s1, 0x2f800000
	s_trunc_f32 s12, s12
	s_delay_alu instid0(SALU_CYCLE_3) | instskip(SKIP_1) | instid1(SALU_CYCLE_2)
	s_fmamk_f32 s1, s12, 0xcf800000, s1
	s_cvt_u32_f32 s25, s12
	s_cvt_u32_f32 s24, s1
	s_delay_alu instid0(SALU_CYCLE_3) | instskip(NEXT) | instid1(SALU_CYCLE_1)
	s_mul_u64 s[36:37], s[26:27], s[24:25]
	s_mul_hi_u32 s39, s24, s37
	s_mul_i32 s38, s24, s37
	s_mul_hi_u32 s12, s24, s36
	s_mul_i32 s17, s25, s36
	s_add_nc_u64 s[38:39], s[12:13], s[38:39]
	s_mul_hi_u32 s1, s25, s36
	s_mul_hi_u32 s21, s25, s37
	s_add_co_u32 s12, s38, s17
	s_add_co_ci_u32 s12, s39, s1
	s_mul_i32 s36, s25, s37
	s_add_co_ci_u32 s37, s21, 0
	s_delay_alu instid0(SALU_CYCLE_1) | instskip(NEXT) | instid1(SALU_CYCLE_1)
	s_add_nc_u64 s[36:37], s[12:13], s[36:37]
	s_add_co_u32 s24, s24, s36
	s_cselect_b32 s1, -1, 0
	s_delay_alu instid0(SALU_CYCLE_1) | instskip(SKIP_1) | instid1(SALU_CYCLE_1)
	s_cmp_lg_u32 s1, 0
	s_add_co_ci_u32 s25, s25, s37
	s_mul_u64 s[26:27], s[26:27], s[24:25]
	s_delay_alu instid0(SALU_CYCLE_1)
	s_mul_hi_u32 s37, s24, s27
	s_mul_i32 s36, s24, s27
	s_mul_hi_u32 s12, s24, s26
	s_mul_i32 s17, s25, s26
	s_add_nc_u64 s[36:37], s[12:13], s[36:37]
	s_mul_hi_u32 s1, s25, s26
	s_mul_hi_u32 s21, s25, s27
	s_add_co_u32 s12, s36, s17
	s_add_co_ci_u32 s12, s37, s1
	s_mul_i32 s26, s25, s27
	s_add_co_ci_u32 s27, s21, 0
	s_delay_alu instid0(SALU_CYCLE_1) | instskip(NEXT) | instid1(SALU_CYCLE_1)
	s_add_nc_u64 s[26:27], s[12:13], s[26:27]
	s_add_co_u32 s24, s24, s26
	s_cselect_b32 s1, -1, 0
	s_wait_loadcnt 0x0
	v_mul_hi_u32 v24, v16, s24
	s_cmp_lg_u32 s1, 0
	s_add_co_ci_u32 s12, s25, s27
	s_and_b64 s[26:27], s[24:25], s[8:9]
	v_mul_u64_e32 v[18:19], s[12:13], v[16:17]
	v_mul_u64_e32 v[14:15], s[26:27], v[20:21]
	;; [unrolled: 1-line block ×3, first 2 shown]
	s_delay_alu instid0(VALU_DEP_3) | instskip(NEXT) | instid1(VALU_DEP_1)
	v_add_nc_u64_e32 v[18:19], v[24:25], v[18:19]
	v_add_co_u32 v1, vcc_lo, v18, v14
	s_delay_alu instid0(VALU_DEP_2) | instskip(NEXT) | instid1(VALU_DEP_4)
	v_add_co_ci_u32_e32 v24, vcc_lo, v19, v15, vcc_lo
	v_add_co_ci_u32_e32 v23, vcc_lo, 0, v23, vcc_lo
	s_delay_alu instid0(VALU_DEP_1) | instskip(NEXT) | instid1(VALU_DEP_1)
	v_add_nc_u64_e32 v[14:15], v[24:25], v[22:23]
	v_mul_u64_e32 v[18:19], s[18:19], v[14:15]
	s_delay_alu instid0(VALU_DEP_1) | instskip(NEXT) | instid1(VALU_DEP_2)
	v_sub_nc_u32_e32 v1, v20, v19
	v_sub_co_u32 v3, vcc_lo, v16, v18
	s_delay_alu instid0(VALU_DEP_1) | instskip(NEXT) | instid1(VALU_DEP_3)
	v_sub_co_ci_u32_e64 v7, null, v20, v19, vcc_lo
	v_subrev_co_ci_u32_e64 v1, null, s19, v1, vcc_lo
	s_delay_alu instid0(VALU_DEP_3) | instskip(SKIP_1) | instid1(VALU_DEP_3)
	v_sub_co_u32 v5, s1, v3, s18
	v_add_nc_u64_e32 v[16:17], 2, v[14:15]
	v_subrev_co_ci_u32_e64 v1, null, 0, v1, s1
	s_delay_alu instid0(VALU_DEP_3) | instskip(SKIP_2) | instid1(VALU_DEP_4)
	v_cmp_le_u32_e32 vcc_lo, s18, v5
	v_add_nc_u64_e32 v[18:19], 1, v[14:15]
	v_cndmask_b32_e64 v5, 0, -1, vcc_lo
	v_cmp_le_u32_e32 vcc_lo, s19, v1
	v_cndmask_b32_e64 v13, 0, -1, vcc_lo
	v_cmp_le_u32_e32 vcc_lo, s18, v3
	;; [unrolled: 2-line block ×3, first 2 shown]
	v_cndmask_b32_e64 v20, 0, -1, vcc_lo
	v_cmp_eq_u32_e32 vcc_lo, s19, v1
	v_cndmask_b32_e32 v1, v13, v5, vcc_lo
	v_cmp_eq_u32_e32 vcc_lo, s19, v7
	s_delay_alu instid0(VALU_DEP_4) | instskip(NEXT) | instid1(VALU_DEP_3)
	v_cndmask_b32_e32 v3, v20, v3, vcc_lo
	v_cmp_ne_u32_e32 vcc_lo, 0, v1
	s_delay_alu instid0(VALU_DEP_2) | instskip(SKIP_1) | instid1(VALU_DEP_1)
	v_cmp_ne_u32_e64 s1, 0, v3
	v_dual_cndmask_b32 v1, v19, v17, vcc_lo :: v_dual_cndmask_b32 v3, v18, v16, vcc_lo
	v_dual_cndmask_b32 v1, v15, v1, s1 :: v_dual_bitop2_b32 v12, s16, v12 bitop3:0x14
	s_delay_alu instid0(VALU_DEP_1) | instskip(NEXT) | instid1(VALU_DEP_2)
	v_dual_cndmask_b32 v3, v14, v3, s1 :: v_dual_mov_b32 v13, v12
	v_xor_b32_e32 v15, v1, v12
	s_delay_alu instid0(VALU_DEP_2) | instskip(NEXT) | instid1(VALU_DEP_1)
	v_xor_b32_e32 v14, v3, v12
	v_sub_nc_u64_e32 v[12:13], v[14:15], v[12:13]
.LBB18_159:                             ;   in Loop: Header=BB18_157 Depth=1
	s_and_not1_saveexec_b32 s1, s20
	s_cbranch_execz .LBB18_156
; %bb.160:                              ;   in Loop: Header=BB18_157 Depth=1
	v_cvt_f32_u32_e32 v1, s14
	s_sub_co_i32 s12, 0, s14
	v_mov_b32_e32 v13, v6
	s_delay_alu instid0(VALU_DEP_2) | instskip(SKIP_1) | instid1(TRANS32_DEP_1)
	v_rcp_iflag_f32_e32 v1, v1
	v_nop
	v_mul_f32_e32 v1, 0x4f7ffffe, v1
	s_delay_alu instid0(VALU_DEP_1) | instskip(NEXT) | instid1(VALU_DEP_1)
	v_cvt_u32_f32_e32 v1, v1
	v_mul_lo_u32 v3, s12, v1
	s_delay_alu instid0(VALU_DEP_1) | instskip(NEXT) | instid1(VALU_DEP_1)
	v_mul_hi_u32 v3, v1, v3
	v_add_nc_u32_e32 v1, v1, v3
	s_delay_alu instid0(VALU_DEP_1) | instskip(NEXT) | instid1(VALU_DEP_1)
	v_mul_hi_u32 v1, v10, v1
	v_mul_lo_u32 v3, v1, s14
	s_delay_alu instid0(VALU_DEP_1) | instskip(NEXT) | instid1(VALU_DEP_1)
	v_sub_nc_u32_e32 v3, v10, v3
	v_subrev_nc_u32_e32 v7, s14, v3
	v_cmp_le_u32_e32 vcc_lo, s14, v3
	s_delay_alu instid0(VALU_DEP_2) | instskip(NEXT) | instid1(VALU_DEP_1)
	v_dual_add_nc_u32 v5, 1, v1 :: v_dual_cndmask_b32 v3, v3, v7, vcc_lo
	v_cndmask_b32_e32 v1, v1, v5, vcc_lo
	s_delay_alu instid0(VALU_DEP_2) | instskip(NEXT) | instid1(VALU_DEP_2)
	v_cmp_le_u32_e32 vcc_lo, s14, v3
	v_add_nc_u32_e32 v5, 1, v1
	s_delay_alu instid0(VALU_DEP_1)
	v_cndmask_b32_e32 v12, v1, v5, vcc_lo
	s_branch .LBB18_156
.LBB18_161:
	s_mov_b32 s8, s35
	s_mov_b32 s1, exec_lo
	v_cmpx_gt_i32_e64 v4, v2
	s_cbranch_execz .LBB18_167
; %bb.162:
	s_delay_alu instid0(VALU_DEP_2) | instskip(SKIP_2) | instid1(VALU_DEP_1)
	v_lshlrev_b64_e32 v[6:7], 2, v[8:9]
	v_dual_ashrrev_i32 v3, 31, v2 :: v_dual_ashrrev_i32 v5, 31, v4
	s_xor_b32 s8, s29, -1
                                        ; implicit-def: $sgpr10
                                        ; implicit-def: $sgpr9
	v_lshl_add_u64 v[2:3], v[2:3], 2, v[6:7]
	v_add_nc_u64_e32 v[6:7], s[6:7], v[6:7]
	s_delay_alu instid0(VALU_DEP_2) | instskip(SKIP_1) | instid1(VALU_DEP_2)
	v_add_nc_u64_e32 v[2:3], s[6:7], v[2:3]
	s_mov_b32 s6, 0
                                        ; implicit-def: $sgpr7
	v_lshl_add_u64 v[4:5], v[4:5], 2, v[6:7]
	s_delay_alu instid0(VALU_DEP_2)
	v_add_nc_u64_e32 v[2:3], 4, v[2:3]
	s_branch .LBB18_164
.LBB18_163:                             ;   in Loop: Header=BB18_164 Depth=1
	s_or_b32 exec_lo, exec_lo, s11
	s_xor_b32 s11, s9, -1
	s_and_b32 s12, exec_lo, s10
	s_delay_alu instid0(SALU_CYCLE_1) | instskip(SKIP_2) | instid1(SALU_CYCLE_1)
	s_or_b32 s6, s12, s6
	s_and_not1_b32 s7, s7, exec_lo
	s_and_b32 s11, s11, exec_lo
	s_or_b32 s7, s7, s11
	s_and_not1_b32 exec_lo, exec_lo, s6
	s_cbranch_execz .LBB18_166
.LBB18_164:                             ; =>This Inner Loop Header: Depth=1
	s_or_b32 s9, s9, exec_lo
	s_or_b32 s10, s10, exec_lo
	s_mov_b32 s11, exec_lo
	s_delay_alu instid0(VALU_DEP_1)
	v_cmpx_lt_u64_e64 v[2:3], v[4:5]
	s_cbranch_execz .LBB18_163
; %bb.165:                              ;   in Loop: Header=BB18_164 Depth=1
	global_load_b64 v[6:7], v[2:3], off offset:-4
	s_wait_xcnt 0x0
	v_add_nc_u64_e32 v[2:3], 4, v[2:3]
	s_and_not1_b32 s10, s10, exec_lo
	s_and_not1_b32 s9, s9, exec_lo
	s_wait_loadcnt 0x0
	v_cmp_ge_i32_e32 vcc_lo, v6, v7
	s_or_b32 s12, s8, vcc_lo
	s_delay_alu instid0(SALU_CYCLE_1) | instskip(NEXT) | instid1(SALU_CYCLE_1)
	s_and_b32 s12, s12, exec_lo
	s_or_b32 s10, s10, s12
	s_branch .LBB18_163
.LBB18_166:
	s_or_b32 exec_lo, exec_lo, s6
	s_delay_alu instid0(SALU_CYCLE_1) | instskip(SKIP_1) | instid1(SALU_CYCLE_1)
	s_and_not1_b32 s6, s35, exec_lo
	s_and_b32 s7, s7, exec_lo
	s_or_b32 s8, s6, s7
.LBB18_167:
	s_or_b32 exec_lo, exec_lo, s1
	s_delay_alu instid0(SALU_CYCLE_1)
	s_and_not1_b32 s1, s35, exec_lo
	s_and_b32 s6, s8, exec_lo
	s_or_b32 s44, s44, exec_lo
	s_or_b32 s35, s1, s6
	s_or_b32 exec_lo, exec_lo, s23
	s_and_saveexec_b32 s1, s35
	s_cbranch_execz .LBB18_151
.LBB18_168:
	s_and_not1_b32 s44, s44, exec_lo
	s_or_b32 s3, s3, exec_lo
	s_trap 2
	s_or_b32 exec_lo, exec_lo, s1
	s_and_saveexec_b32 s1, s3
	s_cbranch_execnz .LBB18_105
	s_branch .LBB18_106
.LBB18_169:
	s_mov_b32 s15, -1
	s_mov_b32 s13, 0
	s_mov_b32 s1, exec_lo
	v_cmpx_gt_i32_e64 v14, v16
	s_cbranch_execz .LBB18_175
; %bb.170:
	s_wait_loadcnt 0x0
	s_delay_alu instid0(VALU_DEP_2) | instskip(SKIP_2) | instid1(VALU_DEP_1)
	v_lshlrev_b64_e32 v[18:19], 2, v[20:21]
	v_dual_ashrrev_i32 v17, 31, v16 :: v_dual_ashrrev_i32 v15, 31, v14
	s_xor_b32 s15, s29, -1
                                        ; implicit-def: $sgpr14
                                        ; implicit-def: $sgpr17
                                        ; implicit-def: $sgpr16
	v_lshl_add_u64 v[16:17], v[16:17], 2, v[18:19]
	v_add_nc_u64_e32 v[18:19], s[6:7], v[18:19]
	s_delay_alu instid0(VALU_DEP_2) | instskip(NEXT) | instid1(VALU_DEP_2)
	v_add_nc_u64_e32 v[16:17], s[6:7], v[16:17]
	v_lshl_add_u64 v[14:15], v[14:15], 2, v[18:19]
	s_delay_alu instid0(VALU_DEP_2)
	v_add_nc_u64_e32 v[16:17], 4, v[16:17]
	s_branch .LBB18_172
.LBB18_171:                             ;   in Loop: Header=BB18_172 Depth=1
	s_or_b32 exec_lo, exec_lo, s18
	s_delay_alu instid0(SALU_CYCLE_1) | instskip(NEXT) | instid1(SALU_CYCLE_1)
	s_and_b32 s18, exec_lo, s17
	s_or_b32 s13, s18, s13
	s_and_not1_b32 s14, s14, exec_lo
	s_and_b32 s18, s16, exec_lo
	s_delay_alu instid0(SALU_CYCLE_1)
	s_or_b32 s14, s14, s18
	s_and_not1_b32 exec_lo, exec_lo, s13
	s_cbranch_execz .LBB18_174
.LBB18_172:                             ; =>This Inner Loop Header: Depth=1
	s_or_b32 s16, s16, exec_lo
	s_or_b32 s17, s17, exec_lo
	s_mov_b32 s18, exec_lo
	s_delay_alu instid0(VALU_DEP_1)
	v_cmpx_lt_u64_e64 v[16:17], v[14:15]
	s_cbranch_execz .LBB18_171
; %bb.173:                              ;   in Loop: Header=BB18_172 Depth=1
	global_load_b64 v[18:19], v[16:17], off offset:-4
	s_wait_xcnt 0x0
	v_add_nc_u64_e32 v[16:17], 4, v[16:17]
	s_and_not1_b32 s17, s17, exec_lo
	s_and_not1_b32 s16, s16, exec_lo
	s_wait_loadcnt 0x0
	v_cmp_ge_i32_e32 vcc_lo, v18, v19
	s_or_b32 s19, s15, vcc_lo
	s_delay_alu instid0(SALU_CYCLE_1) | instskip(NEXT) | instid1(SALU_CYCLE_1)
	s_and_b32 s19, s19, exec_lo
	s_or_b32 s17, s17, s19
	s_branch .LBB18_171
.LBB18_174:
	s_or_b32 exec_lo, exec_lo, s13
	s_delay_alu instid0(SALU_CYCLE_1)
	s_mov_b32 s13, exec_lo
	s_or_not1_b32 s15, s14, exec_lo
.LBB18_175:
	s_or_b32 exec_lo, exec_lo, s1
	s_delay_alu instid0(SALU_CYCLE_1)
	s_and_b32 s14, s13, exec_lo
	s_xor_b32 s13, exec_lo, -1
	s_and_b32 s1, s15, exec_lo
.LBB18_176:
	s_or_b32 exec_lo, exec_lo, s45
	s_delay_alu instid0(SALU_CYCLE_1)
	s_and_not1_b32 s15, s38, exec_lo
	s_and_b32 s13, s13, exec_lo
	s_and_b32 s14, s14, exec_lo
	s_or_b32 s15, s15, s13
	s_xor_b32 s13, exec_lo, -1
	s_and_b32 s1, s1, exec_lo
.LBB18_177:
	s_or_b32 exec_lo, exec_lo, s44
	s_delay_alu instid0(SALU_CYCLE_1)
	s_and_not1_b32 s16, s38, exec_lo
	s_and_b32 s15, s15, exec_lo
	s_and_not1_b32 s17, s39, exec_lo
	s_and_b32 s13, s13, exec_lo
	s_and_b32 s14, s14, exec_lo
	s_or_b32 s16, s16, s15
	s_or_b32 s15, s17, s13
	s_xor_b32 s13, exec_lo, -1
	s_and_b32 s1, s1, exec_lo
.LBB18_178:
	s_or_b32 exec_lo, exec_lo, s43
	s_delay_alu instid0(SALU_CYCLE_1)
	s_and_not1_b32 s17, s38, exec_lo
	s_and_b32 s16, s16, exec_lo
	s_and_b32 s44, s14, exec_lo
	s_or_b32 s45, s17, s16
	s_and_not1_b32 s14, s39, exec_lo
	s_and_b32 s15, s15, exec_lo
	s_and_not1_b32 s16, s41, exec_lo
	s_and_b32 s13, s13, exec_lo
	s_or_b32 s46, s14, s15
	s_or_b32 s43, s16, s13
	s_or_not1_b32 s1, s1, exec_lo
.LBB18_179:
	s_or_b32 exec_lo, exec_lo, s40
	s_mov_b32 s15, 0
                                        ; implicit-def: $sgpr40
                                        ; implicit-def: $sgpr22
	s_and_saveexec_b32 s47, s1
	s_cbranch_execz .LBB18_206
; %bb.180:
	v_or_b32_e32 v5, 0x200, v0
	s_mov_b32 s17, -1
	s_mov_b32 s48, 0
	s_mov_b32 s1, s43
	;; [unrolled: 1-line block ×3, first 2 shown]
	v_cmp_gt_i32_e64 s40, s33, v5
	s_mov_b32 s13, s45
	s_and_saveexec_b32 s49, s40
	s_cbranch_execz .LBB18_201
; %bb.181:
	v_cmp_eq_u32_e32 vcc_lo, s36, v9
	s_mov_b32 s1, -1
	s_mov_b32 s16, 0
	s_mov_b32 s17, s46
	;; [unrolled: 1-line block ×3, first 2 shown]
	s_and_b32 s14, s37, vcc_lo
	s_mov_b32 s13, 0
	s_and_saveexec_b32 s50, s14
	s_cbranch_execz .LBB18_200
; %bb.182:
	v_cmp_eq_u32_e32 vcc_lo, s10, v11
	s_mov_b32 s14, 0
	s_mov_b32 s15, s45
	s_and_b32 s13, s34, vcc_lo
	s_delay_alu instid0(SALU_CYCLE_1)
	s_and_saveexec_b32 s51, s13
	s_cbranch_execz .LBB18_199
; %bb.183:
	v_sub_nc_u32_e32 v5, v8, v10
	s_mov_b32 s14, -1
	s_mov_b32 s13, 0
	s_delay_alu instid0(VALU_DEP_1) | instskip(SKIP_2) | instid1(SALU_CYCLE_1)
	v_cmp_le_i32_e32 vcc_lo, v9, v5
	v_cmp_ge_i32_e64 s1, s8, v5
	s_and_b32 s1, vcc_lo, s1
	s_and_b32 s15, s30, s1
	s_mov_b32 s1, 0
	s_and_saveexec_b32 s52, s15
	s_cbranch_execz .LBB18_198
; %bb.184:
	s_wait_loadcnt 0x1
	v_mov_b64_e32 v[14:15], 0
	s_and_not1_b32 vcc_lo, exec_lo, s9
	s_cbranch_vccnz .LBB18_191
; %bb.185:
	v_dual_mov_b32 v14, v13 :: v_dual_ashrrev_i32 v15, 31, v13
	s_ashr_i32 s13, s12, 31
	v_mov_b32_e32 v12, 0
	s_lshl_b64 s[16:17], s[12:13], 3
	s_mov_b64 s[14:15], 0xffffffff
	v_mul_u64_e32 v[16:17], s[10:11], v[14:15]
	v_mov_b64_e32 v[14:15], 0
	s_add_nc_u64 s[16:17], s[20:21], s[16:17]
	s_mov_b32 s19, 0
	s_add_nc_u64 s[16:17], s[16:17], 32
	s_mov_b32 s13, s28
	s_branch .LBB18_187
.LBB18_186:                             ;   in Loop: Header=BB18_187 Depth=1
	s_or_b32 exec_lo, exec_lo, s1
	s_wait_loadcnt 0x0
	s_delay_alu instid0(VALU_DEP_1)
	v_mul_u64_e32 v[20:21], s[22:23], v[18:19]
	s_load_b64 s[22:23], s[16:17], 0x40
	s_add_co_i32 s13, s13, -1
	s_wait_xcnt 0x0
	s_add_nc_u64 s[16:17], s[16:17], -8
	s_cmp_lg_u32 s13, 0
	s_delay_alu instid0(VALU_DEP_1) | instskip(SKIP_1) | instid1(VALU_DEP_1)
	v_sub_nc_u64_e32 v[16:17], v[16:17], v[20:21]
	s_wait_kmcnt 0x0
	v_mad_nc_u64_u32 v[14:15], v16, s22, v[14:15]
	s_delay_alu instid0(VALU_DEP_1) | instskip(NEXT) | instid1(VALU_DEP_1)
	v_mad_u32 v5, v17, s22, v15
	v_mad_u32 v15, v16, s23, v5
	v_mov_b64_e32 v[16:17], v[18:19]
	s_cbranch_scc0 .LBB18_191
.LBB18_187:                             ; =>This Inner Loop Header: Depth=1
	s_load_b64 s[22:23], s[16:17], 0x0
                                        ; implicit-def: $vgpr18_vgpr19
	s_mov_b32 s1, exec_lo
	s_wait_kmcnt 0x0
	s_delay_alu instid0(VALU_DEP_1) | instskip(NEXT) | instid1(VALU_DEP_1)
	v_or_b32_e32 v13, s23, v17
	v_cmpx_ne_u64_e32 0, v[12:13]
	s_xor_b32 s53, exec_lo, s1
	s_cbranch_execz .LBB18_189
; %bb.188:                              ;   in Loop: Header=BB18_187 Depth=1
	s_ashr_i32 s24, s23, 31
	s_wait_loadcnt 0x0
	v_dual_mov_b32 v23, v12 :: v_dual_ashrrev_i32 v18, 31, v17
	s_mov_b32 s25, s24
	s_delay_alu instid0(SALU_CYCLE_1) | instskip(NEXT) | instid1(VALU_DEP_1)
	s_add_nc_u64 s[26:27], s[22:23], s[24:25]
	v_mov_b32_e32 v19, v18
	s_xor_b64 s[26:27], s[26:27], s[24:25]
	s_delay_alu instid0(SALU_CYCLE_1)
	s_cvt_f32_u32 s1, s26
	s_cvt_f32_u32 s18, s27
	s_sub_nc_u64 s[56:57], 0, s[26:27]
	v_add_nc_u64_e32 v[20:21], v[16:17], v[18:19]
	v_mov_b32_e32 v27, v12
	s_fmamk_f32 s1, s18, 0x4f800000, s1
	s_delay_alu instid0(SALU_CYCLE_3) | instskip(NEXT) | instid1(VALU_DEP_2)
	v_s_rcp_f32 s1, s1
	v_xor_b32_e32 v22, v20, v18
	s_delay_alu instid0(VALU_DEP_3) | instskip(NEXT) | instid1(TRANS32_DEP_1)
	v_dual_mov_b32 v31, v12 :: v_dual_bitop2_b32 v26, v21, v18 bitop3:0x14
	s_mul_f32 s1, s1, 0x5f7ffffc
	s_delay_alu instid0(SALU_CYCLE_3) | instskip(NEXT) | instid1(SALU_CYCLE_3)
	s_mul_f32 s18, s1, 0x2f800000
	s_trunc_f32 s18, s18
	s_delay_alu instid0(SALU_CYCLE_3) | instskip(SKIP_1) | instid1(SALU_CYCLE_2)
	s_fmamk_f32 s1, s18, 0xcf800000, s1
	s_cvt_u32_f32 s55, s18
	s_cvt_u32_f32 s54, s1
	s_delay_alu instid0(SALU_CYCLE_3) | instskip(NEXT) | instid1(SALU_CYCLE_1)
	s_mul_u64 s[58:59], s[56:57], s[54:55]
	s_mul_hi_u32 s61, s54, s59
	s_mul_i32 s60, s54, s59
	s_mul_hi_u32 s18, s54, s58
	s_mul_i32 s25, s55, s58
	s_add_nc_u64 s[60:61], s[18:19], s[60:61]
	s_mul_hi_u32 s1, s55, s58
	s_mul_hi_u32 s62, s55, s59
	s_add_co_u32 s18, s60, s25
	s_add_co_ci_u32 s18, s61, s1
	s_mul_i32 s58, s55, s59
	s_add_co_ci_u32 s59, s62, 0
	s_delay_alu instid0(SALU_CYCLE_1) | instskip(NEXT) | instid1(SALU_CYCLE_1)
	s_add_nc_u64 s[58:59], s[18:19], s[58:59]
	s_add_co_u32 s54, s54, s58
	s_cselect_b32 s1, -1, 0
	s_delay_alu instid0(SALU_CYCLE_1) | instskip(SKIP_1) | instid1(SALU_CYCLE_1)
	s_cmp_lg_u32 s1, 0
	s_add_co_ci_u32 s55, s55, s59
	s_mul_u64 s[56:57], s[56:57], s[54:55]
	s_delay_alu instid0(SALU_CYCLE_1)
	s_mul_hi_u32 s59, s54, s57
	s_mul_i32 s58, s54, s57
	s_mul_hi_u32 s18, s54, s56
	s_mul_i32 s25, s55, s56
	s_add_nc_u64 s[58:59], s[18:19], s[58:59]
	s_mul_hi_u32 s1, s55, s56
	s_mul_hi_u32 s60, s55, s57
	s_add_co_u32 s18, s58, s25
	s_add_co_ci_u32 s18, s59, s1
	s_mul_i32 s56, s55, s57
	s_add_co_ci_u32 s57, s60, 0
	s_delay_alu instid0(SALU_CYCLE_1) | instskip(NEXT) | instid1(SALU_CYCLE_1)
	s_add_nc_u64 s[56:57], s[18:19], s[56:57]
	s_add_co_u32 s54, s54, s56
	s_cselect_b32 s1, -1, 0
	v_mul_hi_u32 v30, v22, s54
	s_cmp_lg_u32 s1, 0
	s_add_co_ci_u32 s18, s55, s57
	s_and_b64 s[56:57], s[54:55], s[14:15]
	v_mul_u64_e32 v[24:25], s[18:19], v[22:23]
	v_mul_u64_e32 v[20:21], s[56:57], v[26:27]
	;; [unrolled: 1-line block ×3, first 2 shown]
	s_delay_alu instid0(VALU_DEP_3) | instskip(NEXT) | instid1(VALU_DEP_1)
	v_add_nc_u64_e32 v[24:25], v[30:31], v[24:25]
	v_add_co_u32 v5, vcc_lo, v24, v20
	s_delay_alu instid0(VALU_DEP_2) | instskip(NEXT) | instid1(VALU_DEP_4)
	v_add_co_ci_u32_e32 v30, vcc_lo, v25, v21, vcc_lo
	v_add_co_ci_u32_e32 v29, vcc_lo, 0, v29, vcc_lo
	s_delay_alu instid0(VALU_DEP_1) | instskip(NEXT) | instid1(VALU_DEP_1)
	v_add_nc_u64_e32 v[20:21], v[30:31], v[28:29]
	v_mul_u64_e32 v[24:25], s[26:27], v[20:21]
	s_delay_alu instid0(VALU_DEP_1) | instskip(NEXT) | instid1(VALU_DEP_2)
	v_sub_nc_u32_e32 v5, v26, v25
	v_sub_co_u32 v9, vcc_lo, v22, v24
	s_delay_alu instid0(VALU_DEP_1) | instskip(NEXT) | instid1(VALU_DEP_3)
	v_sub_co_ci_u32_e64 v13, null, v26, v25, vcc_lo
	v_subrev_co_ci_u32_e64 v5, null, s27, v5, vcc_lo
	s_delay_alu instid0(VALU_DEP_3) | instskip(SKIP_1) | instid1(VALU_DEP_3)
	v_sub_co_u32 v11, s1, v9, s26
	v_add_nc_u64_e32 v[22:23], 2, v[20:21]
	v_subrev_co_ci_u32_e64 v5, null, 0, v5, s1
	s_delay_alu instid0(VALU_DEP_3) | instskip(SKIP_2) | instid1(VALU_DEP_4)
	v_cmp_le_u32_e32 vcc_lo, s26, v11
	v_add_nc_u64_e32 v[24:25], 1, v[20:21]
	v_cndmask_b32_e64 v11, 0, -1, vcc_lo
	v_cmp_le_u32_e32 vcc_lo, s27, v5
	v_cndmask_b32_e64 v19, 0, -1, vcc_lo
	v_cmp_le_u32_e32 vcc_lo, s26, v9
	;; [unrolled: 2-line block ×3, first 2 shown]
	v_cndmask_b32_e64 v26, 0, -1, vcc_lo
	v_cmp_eq_u32_e32 vcc_lo, s27, v5
	v_cndmask_b32_e32 v5, v19, v11, vcc_lo
	v_cmp_eq_u32_e32 vcc_lo, s27, v13
	s_delay_alu instid0(VALU_DEP_4) | instskip(NEXT) | instid1(VALU_DEP_3)
	v_cndmask_b32_e32 v9, v26, v9, vcc_lo
	v_cmp_ne_u32_e32 vcc_lo, 0, v5
	s_delay_alu instid0(VALU_DEP_2) | instskip(SKIP_1) | instid1(VALU_DEP_1)
	v_cmp_ne_u32_e64 s1, 0, v9
	v_dual_cndmask_b32 v5, v25, v23, vcc_lo :: v_dual_cndmask_b32 v9, v24, v22, vcc_lo
	v_dual_cndmask_b32 v5, v21, v5, s1 :: v_dual_bitop2_b32 v18, s24, v18 bitop3:0x14
	s_delay_alu instid0(VALU_DEP_1) | instskip(NEXT) | instid1(VALU_DEP_2)
	v_dual_cndmask_b32 v9, v20, v9, s1 :: v_dual_mov_b32 v19, v18
	v_xor_b32_e32 v21, v5, v18
	s_delay_alu instid0(VALU_DEP_2) | instskip(NEXT) | instid1(VALU_DEP_1)
	v_xor_b32_e32 v20, v9, v18
	v_sub_nc_u64_e32 v[18:19], v[20:21], v[18:19]
.LBB18_189:                             ;   in Loop: Header=BB18_187 Depth=1
	s_and_not1_saveexec_b32 s1, s53
	s_cbranch_execz .LBB18_186
; %bb.190:                              ;   in Loop: Header=BB18_187 Depth=1
	v_cvt_f32_u32_e32 v5, s22
	s_sub_co_i32 s18, 0, s22
	v_mov_b32_e32 v19, v12
	s_delay_alu instid0(VALU_DEP_2) | instskip(SKIP_1) | instid1(TRANS32_DEP_1)
	v_rcp_iflag_f32_e32 v5, v5
	v_nop
	v_mul_f32_e32 v5, 0x4f7ffffe, v5
	s_delay_alu instid0(VALU_DEP_1) | instskip(NEXT) | instid1(VALU_DEP_1)
	v_cvt_u32_f32_e32 v5, v5
	v_mul_lo_u32 v9, s18, v5
	s_delay_alu instid0(VALU_DEP_1) | instskip(NEXT) | instid1(VALU_DEP_1)
	v_mul_hi_u32 v9, v5, v9
	v_add_nc_u32_e32 v5, v5, v9
	s_delay_alu instid0(VALU_DEP_1) | instskip(NEXT) | instid1(VALU_DEP_1)
	v_mul_hi_u32 v5, v16, v5
	v_mul_lo_u32 v9, v5, s22
	v_add_nc_u32_e32 v11, 1, v5
	s_delay_alu instid0(VALU_DEP_2) | instskip(NEXT) | instid1(VALU_DEP_1)
	v_sub_nc_u32_e32 v9, v16, v9
	v_subrev_nc_u32_e32 v13, s22, v9
	v_cmp_le_u32_e32 vcc_lo, s22, v9
	s_delay_alu instid0(VALU_DEP_2) | instskip(SKIP_1) | instid1(VALU_DEP_2)
	v_cndmask_b32_e32 v9, v9, v13, vcc_lo
	v_cndmask_b32_e32 v5, v5, v11, vcc_lo
	v_cmp_le_u32_e32 vcc_lo, s22, v9
	s_delay_alu instid0(VALU_DEP_2) | instskip(SKIP_1) | instid1(VALU_DEP_1)
	v_add_nc_u32_e32 v11, 1, v5
	s_wait_loadcnt 0x0
	v_cndmask_b32_e32 v18, v5, v11, vcc_lo
	s_branch .LBB18_186
.LBB18_191:
	s_mov_b32 s13, -1
	s_mov_b32 s15, 0
	s_mov_b32 s1, exec_lo
	v_cmpx_gt_i32_e64 v8, v10
	s_cbranch_execz .LBB18_197
; %bb.192:
	s_delay_alu instid0(VALU_DEP_2) | instskip(SKIP_3) | instid1(VALU_DEP_1)
	v_lshlrev_b64_e32 v[12:13], 2, v[14:15]
	v_dual_ashrrev_i32 v11, 31, v10 :: v_dual_ashrrev_i32 v9, 31, v8
	s_mov_b32 s13, 0
	s_xor_b32 s15, s29, -1
                                        ; implicit-def: $sgpr14
                                        ; implicit-def: $sgpr17
                                        ; implicit-def: $sgpr16
	v_lshl_add_u64 v[10:11], v[10:11], 2, v[12:13]
	v_add_nc_u64_e32 v[12:13], s[6:7], v[12:13]
	s_delay_alu instid0(VALU_DEP_2) | instskip(NEXT) | instid1(VALU_DEP_2)
	v_add_nc_u64_e32 v[10:11], s[6:7], v[10:11]
	v_lshl_add_u64 v[8:9], v[8:9], 2, v[12:13]
	s_delay_alu instid0(VALU_DEP_2)
	v_add_nc_u64_e32 v[10:11], 4, v[10:11]
	s_branch .LBB18_194
.LBB18_193:                             ;   in Loop: Header=BB18_194 Depth=1
	s_or_b32 exec_lo, exec_lo, s18
	s_delay_alu instid0(SALU_CYCLE_1) | instskip(NEXT) | instid1(SALU_CYCLE_1)
	s_and_b32 s18, exec_lo, s17
	s_or_b32 s13, s18, s13
	s_and_not1_b32 s14, s14, exec_lo
	s_and_b32 s18, s16, exec_lo
	s_delay_alu instid0(SALU_CYCLE_1)
	s_or_b32 s14, s14, s18
	s_and_not1_b32 exec_lo, exec_lo, s13
	s_cbranch_execz .LBB18_196
.LBB18_194:                             ; =>This Inner Loop Header: Depth=1
	s_or_b32 s16, s16, exec_lo
	s_or_b32 s17, s17, exec_lo
	s_mov_b32 s18, exec_lo
	s_delay_alu instid0(VALU_DEP_1)
	v_cmpx_lt_u64_e64 v[10:11], v[8:9]
	s_cbranch_execz .LBB18_193
; %bb.195:                              ;   in Loop: Header=BB18_194 Depth=1
	global_load_b64 v[12:13], v[10:11], off offset:-4
	s_wait_xcnt 0x0
	v_add_nc_u64_e32 v[10:11], 4, v[10:11]
	s_and_not1_b32 s17, s17, exec_lo
	s_and_not1_b32 s16, s16, exec_lo
	s_wait_loadcnt 0x0
	v_cmp_ge_i32_e32 vcc_lo, v12, v13
	s_or_b32 s19, s15, vcc_lo
	s_delay_alu instid0(SALU_CYCLE_1) | instskip(NEXT) | instid1(SALU_CYCLE_1)
	s_and_b32 s19, s19, exec_lo
	s_or_b32 s17, s17, s19
	s_branch .LBB18_193
.LBB18_196:
	s_or_b32 exec_lo, exec_lo, s13
	s_delay_alu instid0(SALU_CYCLE_1)
	s_mov_b32 s15, exec_lo
	s_or_not1_b32 s13, s14, exec_lo
.LBB18_197:
	s_or_b32 exec_lo, exec_lo, s1
	s_delay_alu instid0(SALU_CYCLE_1)
	s_and_b32 s1, s15, exec_lo
	s_xor_b32 s14, exec_lo, -1
	s_and_b32 s13, s13, exec_lo
.LBB18_198:
	s_or_b32 exec_lo, exec_lo, s52
	s_delay_alu instid0(SALU_CYCLE_1)
	s_and_not1_b32 s15, s45, exec_lo
	s_and_b32 s14, s14, exec_lo
	s_and_b32 s16, s1, exec_lo
	s_or_b32 s15, s15, s14
	s_xor_b32 s1, exec_lo, -1
	s_and_b32 s14, s13, exec_lo
.LBB18_199:
	s_or_b32 exec_lo, exec_lo, s51
	s_delay_alu instid0(SALU_CYCLE_1)
	s_and_b32 s13, s16, exec_lo
	s_and_not1_b32 s16, s45, exec_lo
	s_and_b32 s15, s15, exec_lo
	s_and_not1_b32 s17, s46, exec_lo
	s_and_b32 s1, s1, exec_lo
	s_or_b32 s15, s16, s15
	s_or_b32 s17, s17, s1
	s_xor_b32 s1, exec_lo, -1
	s_and_b32 s16, s14, exec_lo
.LBB18_200:
	s_or_b32 exec_lo, exec_lo, s50
	s_delay_alu instid0(SALU_CYCLE_1)
	s_and_not1_b32 s14, s45, exec_lo
	s_and_b32 s18, s15, exec_lo
	s_and_b32 s15, s13, exec_lo
	s_or_b32 s13, s14, s18
	s_and_not1_b32 s14, s46, exec_lo
	s_and_b32 s17, s17, exec_lo
	s_and_not1_b32 s18, s43, exec_lo
	s_and_b32 s1, s1, exec_lo
	s_or_b32 s14, s14, s17
	s_or_b32 s1, s18, s1
	s_or_not1_b32 s17, s16, exec_lo
.LBB18_201:
	s_or_b32 exec_lo, exec_lo, s49
	s_mov_b32 s18, 0
                                        ; implicit-def: $sgpr22
	s_and_saveexec_b32 s16, s17
	s_cbranch_execz .LBB18_205
; %bb.202:
	v_or_b32_e32 v5, 0x300, v0
	s_mov_b32 s17, 0
	s_mov_b32 s18, -1
	s_mov_b32 s19, s1
	s_delay_alu instid0(VALU_DEP_1) | instskip(SKIP_1) | instid1(SALU_CYCLE_1)
	v_cmp_gt_i32_e64 s22, s33, v5
	s_and_saveexec_b32 s23, s22
	s_xor_b32 s23, exec_lo, s23
; %bb.203:
	v_cmp_ne_u32_e32 vcc_lo, s36, v1
	s_xor_b32 s18, s37, -1
	s_and_not1_b32 s19, s1, exec_lo
	s_mov_b32 s17, exec_lo
	s_or_b32 s18, s18, vcc_lo
	s_delay_alu instid0(SALU_CYCLE_1)
	s_and_b32 s24, s18, exec_lo
	s_xor_b32 s18, exec_lo, -1
	s_or_b32 s19, s19, s24
; %bb.204:
	s_or_b32 exec_lo, exec_lo, s23
	s_delay_alu instid0(SALU_CYCLE_1)
	s_and_not1_b32 s1, s1, exec_lo
	s_and_b32 s19, s19, exec_lo
	s_and_b32 s18, s18, exec_lo
	s_and_not1_b32 s15, s15, exec_lo
	s_and_b32 s48, s17, exec_lo
	s_or_b32 s1, s1, s19
.LBB18_205:
	s_or_b32 exec_lo, exec_lo, s16
	s_delay_alu instid0(SALU_CYCLE_1)
	s_and_not1_b32 s16, s44, exec_lo
	s_and_b32 s17, s15, exec_lo
	s_and_b32 s13, s13, exec_lo
	s_or_b32 s44, s16, s17
	s_and_not1_b32 s16, s45, exec_lo
	s_and_not1_b32 s17, s46, exec_lo
	s_and_b32 s14, s14, exec_lo
	s_or_b32 s45, s16, s13
	s_and_not1_b32 s13, s43, exec_lo
	s_and_b32 s1, s1, exec_lo
	s_and_b32 s15, s18, exec_lo
	s_or_b32 s46, s17, s14
	s_and_b32 s48, s48, exec_lo
	s_or_b32 s43, s13, s1
.LBB18_206:
	s_or_b32 exec_lo, exec_lo, s47
	s_delay_alu instid0(SALU_CYCLE_1)
	s_and_not1_b32 s1, s35, exec_lo
	s_and_b32 s13, s44, exec_lo
	s_and_b32 s44, s15, exec_lo
	s_or_b32 s35, s1, s13
	s_and_not1_b32 s1, s38, exec_lo
	s_and_b32 s13, s45, exec_lo
	s_and_not1_b32 s14, s39, exec_lo
	s_and_b32 s15, s46, exec_lo
	s_or_b32 s38, s1, s13
	s_and_not1_b32 s1, s41, exec_lo
	s_and_b32 s13, s43, exec_lo
	s_or_b32 s39, s14, s15
	s_and_b32 s43, s48, exec_lo
	s_or_b32 s41, s1, s13
	s_or_b32 exec_lo, exec_lo, s42
	s_and_saveexec_b32 s1, s41
	s_cbranch_execz .LBB18_144
.LBB18_207:
	s_or_b32 s3, s3, exec_lo
	s_and_not1_b32 s43, s43, exec_lo
	s_trap 2
	s_branch .LBB18_144
.LBB18_208:
	s_mov_b32 s3, exec_lo
	s_and_not1_b32 s31, s31, exec_lo
	s_trap 2
	s_branch .LBB18_65
.LBB18_209:
	s_or_b32 s3, s3, exec_lo
	s_and_not1_b32 s34, s34, exec_lo
	s_trap 2
	s_branch .LBB18_68
.LBB18_210:
	s_or_b32 s3, s3, exec_lo
	s_and_not1_b32 s1, s1, exec_lo
	s_trap 2
	s_branch .LBB18_147
	.section	.rodata,"a",@progbits
	.p2align	6, 0x0
	.amdhsa_kernel _ZN2at6native29vectorized_elementwise_kernelILi4EZZZNS0_12_GLOBAL__N_142_validate_compressed_sparse_indices_kernelILNS2_8CDimNameE0ENS2_18CUDAKernelLauncherENS2_14EmptyVecKernelENS2_8DummyVecELm8EEEvRKNS_6TensorESA_lllENKUlvE1_clEvENKUlvE_clEvEUliiiiiE_St5arrayIPcLm6EEEEviT0_T1_
		.amdhsa_group_segment_fixed_size 0
		.amdhsa_private_segment_fixed_size 0
		.amdhsa_kernarg_size 224
		.amdhsa_user_sgpr_count 2
		.amdhsa_user_sgpr_dispatch_ptr 0
		.amdhsa_user_sgpr_queue_ptr 0
		.amdhsa_user_sgpr_kernarg_segment_ptr 1
		.amdhsa_user_sgpr_dispatch_id 0
		.amdhsa_user_sgpr_kernarg_preload_length 0
		.amdhsa_user_sgpr_kernarg_preload_offset 0
		.amdhsa_user_sgpr_private_segment_size 0
		.amdhsa_wavefront_size32 1
		.amdhsa_uses_dynamic_stack 0
		.amdhsa_enable_private_segment 0
		.amdhsa_system_sgpr_workgroup_id_x 1
		.amdhsa_system_sgpr_workgroup_id_y 0
		.amdhsa_system_sgpr_workgroup_id_z 0
		.amdhsa_system_sgpr_workgroup_info 0
		.amdhsa_system_vgpr_workitem_id 0
		.amdhsa_next_free_vgpr 44
		.amdhsa_next_free_sgpr 69
		.amdhsa_named_barrier_count 0
		.amdhsa_reserve_vcc 1
		.amdhsa_float_round_mode_32 0
		.amdhsa_float_round_mode_16_64 0
		.amdhsa_float_denorm_mode_32 3
		.amdhsa_float_denorm_mode_16_64 3
		.amdhsa_fp16_overflow 0
		.amdhsa_memory_ordered 1
		.amdhsa_forward_progress 1
		.amdhsa_inst_pref_size 103
		.amdhsa_round_robin_scheduling 0
		.amdhsa_exception_fp_ieee_invalid_op 0
		.amdhsa_exception_fp_denorm_src 0
		.amdhsa_exception_fp_ieee_div_zero 0
		.amdhsa_exception_fp_ieee_overflow 0
		.amdhsa_exception_fp_ieee_underflow 0
		.amdhsa_exception_fp_ieee_inexact 0
		.amdhsa_exception_int_div_zero 0
	.end_amdhsa_kernel
	.section	.text._ZN2at6native29vectorized_elementwise_kernelILi4EZZZNS0_12_GLOBAL__N_142_validate_compressed_sparse_indices_kernelILNS2_8CDimNameE0ENS2_18CUDAKernelLauncherENS2_14EmptyVecKernelENS2_8DummyVecELm8EEEvRKNS_6TensorESA_lllENKUlvE1_clEvENKUlvE_clEvEUliiiiiE_St5arrayIPcLm6EEEEviT0_T1_,"axG",@progbits,_ZN2at6native29vectorized_elementwise_kernelILi4EZZZNS0_12_GLOBAL__N_142_validate_compressed_sparse_indices_kernelILNS2_8CDimNameE0ENS2_18CUDAKernelLauncherENS2_14EmptyVecKernelENS2_8DummyVecELm8EEEvRKNS_6TensorESA_lllENKUlvE1_clEvENKUlvE_clEvEUliiiiiE_St5arrayIPcLm6EEEEviT0_T1_,comdat
.Lfunc_end18:
	.size	_ZN2at6native29vectorized_elementwise_kernelILi4EZZZNS0_12_GLOBAL__N_142_validate_compressed_sparse_indices_kernelILNS2_8CDimNameE0ENS2_18CUDAKernelLauncherENS2_14EmptyVecKernelENS2_8DummyVecELm8EEEvRKNS_6TensorESA_lllENKUlvE1_clEvENKUlvE_clEvEUliiiiiE_St5arrayIPcLm6EEEEviT0_T1_, .Lfunc_end18-_ZN2at6native29vectorized_elementwise_kernelILi4EZZZNS0_12_GLOBAL__N_142_validate_compressed_sparse_indices_kernelILNS2_8CDimNameE0ENS2_18CUDAKernelLauncherENS2_14EmptyVecKernelENS2_8DummyVecELm8EEEvRKNS_6TensorESA_lllENKUlvE1_clEvENKUlvE_clEvEUliiiiiE_St5arrayIPcLm6EEEEviT0_T1_
                                        ; -- End function
	.set _ZN2at6native29vectorized_elementwise_kernelILi4EZZZNS0_12_GLOBAL__N_142_validate_compressed_sparse_indices_kernelILNS2_8CDimNameE0ENS2_18CUDAKernelLauncherENS2_14EmptyVecKernelENS2_8DummyVecELm8EEEvRKNS_6TensorESA_lllENKUlvE1_clEvENKUlvE_clEvEUliiiiiE_St5arrayIPcLm6EEEEviT0_T1_.num_vgpr, 44
	.set _ZN2at6native29vectorized_elementwise_kernelILi4EZZZNS0_12_GLOBAL__N_142_validate_compressed_sparse_indices_kernelILNS2_8CDimNameE0ENS2_18CUDAKernelLauncherENS2_14EmptyVecKernelENS2_8DummyVecELm8EEEvRKNS_6TensorESA_lllENKUlvE1_clEvENKUlvE_clEvEUliiiiiE_St5arrayIPcLm6EEEEviT0_T1_.num_agpr, 0
	.set _ZN2at6native29vectorized_elementwise_kernelILi4EZZZNS0_12_GLOBAL__N_142_validate_compressed_sparse_indices_kernelILNS2_8CDimNameE0ENS2_18CUDAKernelLauncherENS2_14EmptyVecKernelENS2_8DummyVecELm8EEEvRKNS_6TensorESA_lllENKUlvE1_clEvENKUlvE_clEvEUliiiiiE_St5arrayIPcLm6EEEEviT0_T1_.numbered_sgpr, 69
	.set _ZN2at6native29vectorized_elementwise_kernelILi4EZZZNS0_12_GLOBAL__N_142_validate_compressed_sparse_indices_kernelILNS2_8CDimNameE0ENS2_18CUDAKernelLauncherENS2_14EmptyVecKernelENS2_8DummyVecELm8EEEvRKNS_6TensorESA_lllENKUlvE1_clEvENKUlvE_clEvEUliiiiiE_St5arrayIPcLm6EEEEviT0_T1_.num_named_barrier, 0
	.set _ZN2at6native29vectorized_elementwise_kernelILi4EZZZNS0_12_GLOBAL__N_142_validate_compressed_sparse_indices_kernelILNS2_8CDimNameE0ENS2_18CUDAKernelLauncherENS2_14EmptyVecKernelENS2_8DummyVecELm8EEEvRKNS_6TensorESA_lllENKUlvE1_clEvENKUlvE_clEvEUliiiiiE_St5arrayIPcLm6EEEEviT0_T1_.private_seg_size, 0
	.set _ZN2at6native29vectorized_elementwise_kernelILi4EZZZNS0_12_GLOBAL__N_142_validate_compressed_sparse_indices_kernelILNS2_8CDimNameE0ENS2_18CUDAKernelLauncherENS2_14EmptyVecKernelENS2_8DummyVecELm8EEEvRKNS_6TensorESA_lllENKUlvE1_clEvENKUlvE_clEvEUliiiiiE_St5arrayIPcLm6EEEEviT0_T1_.uses_vcc, 1
	.set _ZN2at6native29vectorized_elementwise_kernelILi4EZZZNS0_12_GLOBAL__N_142_validate_compressed_sparse_indices_kernelILNS2_8CDimNameE0ENS2_18CUDAKernelLauncherENS2_14EmptyVecKernelENS2_8DummyVecELm8EEEvRKNS_6TensorESA_lllENKUlvE1_clEvENKUlvE_clEvEUliiiiiE_St5arrayIPcLm6EEEEviT0_T1_.uses_flat_scratch, 0
	.set _ZN2at6native29vectorized_elementwise_kernelILi4EZZZNS0_12_GLOBAL__N_142_validate_compressed_sparse_indices_kernelILNS2_8CDimNameE0ENS2_18CUDAKernelLauncherENS2_14EmptyVecKernelENS2_8DummyVecELm8EEEvRKNS_6TensorESA_lllENKUlvE1_clEvENKUlvE_clEvEUliiiiiE_St5arrayIPcLm6EEEEviT0_T1_.has_dyn_sized_stack, 0
	.set _ZN2at6native29vectorized_elementwise_kernelILi4EZZZNS0_12_GLOBAL__N_142_validate_compressed_sparse_indices_kernelILNS2_8CDimNameE0ENS2_18CUDAKernelLauncherENS2_14EmptyVecKernelENS2_8DummyVecELm8EEEvRKNS_6TensorESA_lllENKUlvE1_clEvENKUlvE_clEvEUliiiiiE_St5arrayIPcLm6EEEEviT0_T1_.has_recursion, 0
	.set _ZN2at6native29vectorized_elementwise_kernelILi4EZZZNS0_12_GLOBAL__N_142_validate_compressed_sparse_indices_kernelILNS2_8CDimNameE0ENS2_18CUDAKernelLauncherENS2_14EmptyVecKernelENS2_8DummyVecELm8EEEvRKNS_6TensorESA_lllENKUlvE1_clEvENKUlvE_clEvEUliiiiiE_St5arrayIPcLm6EEEEviT0_T1_.has_indirect_call, 0
	.section	.AMDGPU.csdata,"",@progbits
; Kernel info:
; codeLenInByte = 13072
; TotalNumSgprs: 71
; NumVgprs: 44
; ScratchSize: 0
; MemoryBound: 0
; FloatMode: 240
; IeeeMode: 1
; LDSByteSize: 0 bytes/workgroup (compile time only)
; SGPRBlocks: 0
; VGPRBlocks: 2
; NumSGPRsForWavesPerEU: 71
; NumVGPRsForWavesPerEU: 44
; NamedBarCnt: 0
; Occupancy: 16
; WaveLimiterHint : 1
; COMPUTE_PGM_RSRC2:SCRATCH_EN: 0
; COMPUTE_PGM_RSRC2:USER_SGPR: 2
; COMPUTE_PGM_RSRC2:TRAP_HANDLER: 0
; COMPUTE_PGM_RSRC2:TGID_X_EN: 1
; COMPUTE_PGM_RSRC2:TGID_Y_EN: 0
; COMPUTE_PGM_RSRC2:TGID_Z_EN: 0
; COMPUTE_PGM_RSRC2:TIDIG_COMP_CNT: 0
	.section	.text._ZN2at6native29vectorized_elementwise_kernelILi2EZZZNS0_12_GLOBAL__N_142_validate_compressed_sparse_indices_kernelILNS2_8CDimNameE0ENS2_18CUDAKernelLauncherENS2_14EmptyVecKernelENS2_8DummyVecELm8EEEvRKNS_6TensorESA_lllENKUlvE1_clEvENKUlvE_clEvEUliiiiiE_St5arrayIPcLm6EEEEviT0_T1_,"axG",@progbits,_ZN2at6native29vectorized_elementwise_kernelILi2EZZZNS0_12_GLOBAL__N_142_validate_compressed_sparse_indices_kernelILNS2_8CDimNameE0ENS2_18CUDAKernelLauncherENS2_14EmptyVecKernelENS2_8DummyVecELm8EEEvRKNS_6TensorESA_lllENKUlvE1_clEvENKUlvE_clEvEUliiiiiE_St5arrayIPcLm6EEEEviT0_T1_,comdat
	.globl	_ZN2at6native29vectorized_elementwise_kernelILi2EZZZNS0_12_GLOBAL__N_142_validate_compressed_sparse_indices_kernelILNS2_8CDimNameE0ENS2_18CUDAKernelLauncherENS2_14EmptyVecKernelENS2_8DummyVecELm8EEEvRKNS_6TensorESA_lllENKUlvE1_clEvENKUlvE_clEvEUliiiiiE_St5arrayIPcLm6EEEEviT0_T1_ ; -- Begin function _ZN2at6native29vectorized_elementwise_kernelILi2EZZZNS0_12_GLOBAL__N_142_validate_compressed_sparse_indices_kernelILNS2_8CDimNameE0ENS2_18CUDAKernelLauncherENS2_14EmptyVecKernelENS2_8DummyVecELm8EEEvRKNS_6TensorESA_lllENKUlvE1_clEvENKUlvE_clEvEUliiiiiE_St5arrayIPcLm6EEEEviT0_T1_
	.p2align	8
	.type	_ZN2at6native29vectorized_elementwise_kernelILi2EZZZNS0_12_GLOBAL__N_142_validate_compressed_sparse_indices_kernelILNS2_8CDimNameE0ENS2_18CUDAKernelLauncherENS2_14EmptyVecKernelENS2_8DummyVecELm8EEEvRKNS_6TensorESA_lllENKUlvE1_clEvENKUlvE_clEvEUliiiiiE_St5arrayIPcLm6EEEEviT0_T1_,@function
_ZN2at6native29vectorized_elementwise_kernelILi2EZZZNS0_12_GLOBAL__N_142_validate_compressed_sparse_indices_kernelILNS2_8CDimNameE0ENS2_18CUDAKernelLauncherENS2_14EmptyVecKernelENS2_8DummyVecELm8EEEvRKNS_6TensorESA_lllENKUlvE1_clEvENKUlvE_clEvEUliiiiiE_St5arrayIPcLm6EEEEviT0_T1_: ; @_ZN2at6native29vectorized_elementwise_kernelILi2EZZZNS0_12_GLOBAL__N_142_validate_compressed_sparse_indices_kernelILNS2_8CDimNameE0ENS2_18CUDAKernelLauncherENS2_14EmptyVecKernelENS2_8DummyVecELm8EEEvRKNS_6TensorESA_lllENKUlvE1_clEvENKUlvE_clEvEUliiiiiE_St5arrayIPcLm6EEEEviT0_T1_
; %bb.0:
	s_clause 0x2
	s_load_b32 s3, s[0:1], 0x0
	s_load_b128 s[12:15], s[0:1], 0xd0
	s_load_b256 s[4:11], s[0:1], 0xb0
	s_bfe_u32 s2, ttmp6, 0x4000c
	s_and_b32 s16, ttmp6, 15
	s_add_co_i32 s2, s2, 1
	s_getreg_b32 s17, hwreg(HW_REG_IB_STS2, 6, 4)
	s_mul_i32 s2, ttmp9, s2
	s_or_b64 s[20:21], s[0:1], 8
	s_add_co_i32 s16, s16, s2
	s_cmp_eq_u32 s17, 0
	s_mov_b32 s44, 0
	s_wait_xcnt 0x0
	s_cselect_b32 s0, ttmp9, s16
	s_get_pc_i64 s[22:23]
	s_add_nc_u64 s[22:23], s[22:23], .str.1@rel64+4
	s_lshl_b32 s2, s0, 10
	s_mov_b32 s0, -1
	s_wait_kmcnt 0x0
	s_sub_co_i32 s33, s3, s2
	s_mov_b32 s3, 0
	s_cmp_gt_i32 s33, 0x3ff
	s_cbranch_scc0 .LBB19_75
; %bb.1:
	s_ashr_i32 s3, s2, 31
	s_load_b32 s0, s[20:21], 0x0
	s_lshl_b64 s[24:25], s[2:3], 2
	s_cmp_lg_u64 s[22:23], 0
	s_add_nc_u64 s[34:35], s[6:7], s[24:25]
	v_mov_b32_e32 v15, 0
	global_load_b64 v[6:7], v0, s[34:35] scale_offset
	s_cselect_b32 s16, -1, 0
	s_mov_b32 s36, -1
	s_mov_b32 s3, 0
	s_mov_b32 s31, 0
	;; [unrolled: 1-line block ×4, first 2 shown]
                                        ; implicit-def: $sgpr27
                                        ; implicit-def: $sgpr17
                                        ; implicit-def: $sgpr30
                                        ; implicit-def: $sgpr26
                                        ; implicit-def: $sgpr28_sgpr29
                                        ; implicit-def: $vgpr8_vgpr9
                                        ; implicit-def: $vgpr2_vgpr3
                                        ; implicit-def: $vgpr4_vgpr5
                                        ; implicit-def: $vgpr12_vgpr13
                                        ; implicit-def: $vgpr10
	s_wait_loadcnt 0x0
	s_wait_kmcnt 0x0
	v_cmp_eq_u32_e32 vcc_lo, s0, v6
	s_mov_b32 s0, 0
	s_and_b32 s18, s16, vcc_lo
                                        ; implicit-def: $sgpr16
	s_delay_alu instid0(SALU_CYCLE_1)
	s_and_saveexec_b32 s45, s18
	s_cbranch_execz .LBB19_64
; %bb.2:
	s_add_nc_u64 s[36:37], s[8:9], s[24:25]
	s_load_b128 s[16:19], s[20:21], 0x8
	global_load_b64 v[10:11], v0, s[36:37] scale_offset
	s_get_pc_i64 s[26:27]
	s_add_nc_u64 s[26:27], s[26:27], .str.2@rel64+4
	s_mov_b32 s0, -1
	s_cmp_lg_u64 s[26:27], 0
	s_mov_b32 s39, 0
	s_wait_kmcnt 0x0
	s_cselect_b32 s17, -1, 0
                                        ; implicit-def: $sgpr27
                                        ; implicit-def: $sgpr30
                                        ; implicit-def: $sgpr26
                                        ; implicit-def: $sgpr28_sgpr29
                                        ; implicit-def: $vgpr8_vgpr9
                                        ; implicit-def: $vgpr2_vgpr3
                                        ; implicit-def: $vgpr4_vgpr5
                                        ; implicit-def: $vgpr12_vgpr13
	s_wait_loadcnt 0x0
	v_cmp_eq_u32_e32 vcc_lo, s18, v10
	s_and_b32 s40, s17, vcc_lo
                                        ; implicit-def: $sgpr17
	s_delay_alu instid0(SALU_CYCLE_1)
	s_and_saveexec_b32 s46, s40
	s_cbranch_execz .LBB19_63
; %bb.3:
	s_add_nc_u64 s[38:39], s[10:11], s[24:25]
	s_add_nc_u64 s[40:41], s[12:13], s[24:25]
	s_clause 0x1
	global_load_b64 v[18:19], v0, s[38:39] scale_offset
	global_load_b64 v[16:17], v0, s[40:41] scale_offset
	s_load_b64 s[26:27], s[20:21], 0x18
	s_get_pc_i64 s[28:29]
	s_add_nc_u64 s[28:29], s[28:29], .str.3@rel64+4
	s_mov_b32 s1, -1
	s_cmp_lg_u64 s[28:29], 0
	s_mov_b32 s42, 0
	s_cselect_b32 s17, -1, 0
	s_mov_b32 s43, 0
	s_mov_b32 s48, 0
                                        ; implicit-def: $sgpr27
                                        ; implicit-def: $sgpr30
                                        ; implicit-def: $sgpr28_sgpr29
                                        ; implicit-def: $vgpr8_vgpr9
                                        ; implicit-def: $vgpr2_vgpr3
                                        ; implicit-def: $vgpr4_vgpr5
                                        ; implicit-def: $vgpr12_vgpr13
	s_wait_loadcnt 0x0
	v_sub_nc_u32_e32 v1, v16, v18
	s_delay_alu instid0(VALU_DEP_1) | instskip(SKIP_2) | instid1(SALU_CYCLE_1)
	v_cmp_le_i32_e32 vcc_lo, v6, v1
	v_cmp_ge_i32_e64 s0, s16, v1
	s_and_b32 s0, vcc_lo, s0
	s_and_b32 s0, s17, s0
                                        ; implicit-def: $sgpr17
	s_delay_alu instid0(SALU_CYCLE_1)
	s_and_saveexec_b32 s47, s0
	s_cbranch_execz .LBB19_62
; %bb.4:
	v_dual_lshlrev_b32 v14, 3, v0 :: v_dual_mov_b32 v22, 0
	s_add_nc_u64 s[0:1], s[14:15], s[24:25]
	s_load_b64 s[28:29], s[20:21], 0xa0
	s_wait_kmcnt 0x0
	s_add_co_i32 s30, s26, -1
	v_add_nc_u64_e32 v[24:25], s[34:35], v[14:15]
	v_add_nc_u64_e32 v[26:27], s[36:37], v[14:15]
	v_mov_b32_e32 v15, v22
	s_cmp_gt_i32 s30, -1
	s_delay_alu instid0(VALU_DEP_1)
	v_add_nc_u64_e32 v[28:29], s[38:39], v[14:15]
	v_add_nc_u64_e32 v[30:31], s[40:41], v[14:15]
	global_load_b64 v[14:15], v[24:25], off offset:2048
	global_load_b64 v[12:13], v[26:27], off offset:2048
	;; [unrolled: 1-line block ×4, first 2 shown]
	s_clause 0x1
	global_load_b64 v[20:21], v0, s[0:1] scale_offset
	global_load_b64 v[8:9], v0, s[0:1] offset:2048 scale_offset
	s_wait_xcnt 0x0
	v_cmp_gt_i64_e64 s0, s[18:19], 0
	v_mov_b64_e32 v[24:25], 0
	s_cselect_b32 s1, -1, 0
	s_delay_alu instid0(SALU_CYCLE_1) | instskip(NEXT) | instid1(SALU_CYCLE_1)
	s_and_b32 s17, s0, s1
	s_and_not1_b32 vcc_lo, exec_lo, s17
	s_cbranch_vccnz .LBB19_11
; %bb.5:
	s_wait_loadcnt 0x1
	v_dual_mov_b32 v24, v20 :: v_dual_ashrrev_i32 v25, 31, v20
	s_ashr_i32 s31, s30, 31
	s_mov_b64 s[34:35], 0xffffffff
	s_lshl_b64 s[0:1], s[30:31], 3
	s_mov_b32 s27, s26
	v_mul_u64_e32 v[26:27], s[18:19], v[24:25]
	v_mov_b64_e32 v[24:25], 0
	s_add_nc_u64 s[0:1], s[20:21], s[0:1]
	s_delay_alu instid0(SALU_CYCLE_1)
	s_add_nc_u64 s[36:37], s[0:1], 32
	s_mov_b32 s1, 0
	s_branch .LBB19_7
.LBB19_6:                               ;   in Loop: Header=BB19_7 Depth=1
	s_or_b32 exec_lo, exec_lo, s0
	s_delay_alu instid0(VALU_DEP_1)
	v_mul_u64_e32 v[30:31], s[38:39], v[28:29]
	s_load_b64 s[38:39], s[36:37], 0x40
	s_add_co_i32 s27, s27, -1
	s_wait_xcnt 0x0
	s_add_nc_u64 s[36:37], s[36:37], -8
	s_cmp_eq_u32 s27, 0
	s_delay_alu instid0(VALU_DEP_1) | instskip(SKIP_1) | instid1(VALU_DEP_1)
	v_sub_nc_u64_e32 v[26:27], v[26:27], v[30:31]
	s_wait_kmcnt 0x0
	v_mad_nc_u64_u32 v[24:25], v26, s38, v[24:25]
	s_delay_alu instid0(VALU_DEP_1) | instskip(NEXT) | instid1(VALU_DEP_1)
	v_mad_u32 v1, v27, s38, v25
	v_mad_u32 v25, v26, s39, v1
	v_mov_b64_e32 v[26:27], v[28:29]
	s_cbranch_scc1 .LBB19_11
.LBB19_7:                               ; =>This Inner Loop Header: Depth=1
	s_load_b64 s[38:39], s[36:37], 0x0
                                        ; implicit-def: $vgpr28_vgpr29
	s_mov_b32 s0, exec_lo
	s_wait_kmcnt 0x0
	s_delay_alu instid0(VALU_DEP_1) | instskip(NEXT) | instid1(VALU_DEP_1)
	v_or_b32_e32 v23, s39, v27
	v_cmpx_ne_u64_e32 0, v[22:23]
	s_xor_b32 s31, exec_lo, s0
	s_cbranch_execz .LBB19_9
; %bb.8:                                ;   in Loop: Header=BB19_7 Depth=1
	s_ashr_i32 s40, s39, 31
	v_dual_mov_b32 v33, v22 :: v_dual_ashrrev_i32 v28, 31, v27
	s_mov_b32 s41, s40
	s_delay_alu instid0(SALU_CYCLE_1) | instskip(NEXT) | instid1(VALU_DEP_1)
	s_add_nc_u64 s[42:43], s[38:39], s[40:41]
	v_mov_b32_e32 v29, v28
	s_xor_b64 s[42:43], s[42:43], s[40:41]
	s_delay_alu instid0(SALU_CYCLE_1)
	s_cvt_f32_u32 s0, s42
	s_cvt_f32_u32 s41, s43
	s_sub_nc_u64 s[50:51], 0, s[42:43]
	v_add_nc_u64_e32 v[30:31], v[26:27], v[28:29]
	v_mov_b32_e32 v37, v22
	s_fmamk_f32 s0, s41, 0x4f800000, s0
	s_delay_alu instid0(SALU_CYCLE_3) | instskip(NEXT) | instid1(VALU_DEP_2)
	v_s_rcp_f32 s0, s0
	v_xor_b32_e32 v32, v30, v28
	s_delay_alu instid0(VALU_DEP_3) | instskip(NEXT) | instid1(TRANS32_DEP_1)
	v_dual_mov_b32 v41, v22 :: v_dual_bitop2_b32 v36, v31, v28 bitop3:0x14
	s_mul_f32 s0, s0, 0x5f7ffffc
	s_delay_alu instid0(SALU_CYCLE_3) | instskip(NEXT) | instid1(SALU_CYCLE_3)
	s_mul_f32 s41, s0, 0x2f800000
	s_trunc_f32 s41, s41
	s_delay_alu instid0(SALU_CYCLE_3) | instskip(SKIP_1) | instid1(SALU_CYCLE_2)
	s_fmamk_f32 s0, s41, 0xcf800000, s0
	s_cvt_u32_f32 s49, s41
	s_cvt_u32_f32 s48, s0
	s_delay_alu instid0(SALU_CYCLE_3) | instskip(NEXT) | instid1(SALU_CYCLE_1)
	s_mul_u64 s[52:53], s[50:51], s[48:49]
	s_mul_hi_u32 s55, s48, s53
	s_mul_i32 s54, s48, s53
	s_mul_hi_u32 s0, s48, s52
	s_mul_i32 s56, s49, s52
	s_add_nc_u64 s[54:55], s[0:1], s[54:55]
	s_mul_hi_u32 s41, s49, s52
	s_mul_hi_u32 s57, s49, s53
	s_add_co_u32 s0, s54, s56
	s_add_co_ci_u32 s0, s55, s41
	s_mul_i32 s52, s49, s53
	s_add_co_ci_u32 s53, s57, 0
	s_delay_alu instid0(SALU_CYCLE_1) | instskip(NEXT) | instid1(SALU_CYCLE_1)
	s_add_nc_u64 s[52:53], s[0:1], s[52:53]
	s_add_co_u32 s48, s48, s52
	s_cselect_b32 s0, -1, 0
	s_delay_alu instid0(SALU_CYCLE_1) | instskip(SKIP_1) | instid1(SALU_CYCLE_1)
	s_cmp_lg_u32 s0, 0
	s_add_co_ci_u32 s49, s49, s53
	s_mul_u64 s[50:51], s[50:51], s[48:49]
	s_delay_alu instid0(SALU_CYCLE_1)
	s_mul_hi_u32 s53, s48, s51
	s_mul_i32 s52, s48, s51
	s_mul_hi_u32 s0, s48, s50
	s_mul_i32 s54, s49, s50
	s_add_nc_u64 s[52:53], s[0:1], s[52:53]
	s_mul_hi_u32 s41, s49, s50
	s_mul_hi_u32 s55, s49, s51
	s_add_co_u32 s0, s52, s54
	s_add_co_ci_u32 s0, s53, s41
	s_mul_i32 s50, s49, s51
	s_add_co_ci_u32 s51, s55, 0
	s_delay_alu instid0(SALU_CYCLE_1) | instskip(NEXT) | instid1(SALU_CYCLE_1)
	s_add_nc_u64 s[50:51], s[0:1], s[50:51]
	s_add_co_u32 s48, s48, s50
	s_cselect_b32 s0, -1, 0
	v_mul_hi_u32 v40, v32, s48
	s_cmp_lg_u32 s0, 0
	s_add_co_ci_u32 s0, s49, s51
	s_and_b64 s[50:51], s[48:49], s[34:35]
	v_mul_u64_e32 v[34:35], s[0:1], v[32:33]
	v_mul_u64_e32 v[30:31], s[50:51], v[36:37]
	;; [unrolled: 1-line block ×3, first 2 shown]
	s_delay_alu instid0(VALU_DEP_3) | instskip(NEXT) | instid1(VALU_DEP_1)
	v_add_nc_u64_e32 v[34:35], v[40:41], v[34:35]
	v_add_co_u32 v1, vcc_lo, v34, v30
	s_delay_alu instid0(VALU_DEP_2) | instskip(NEXT) | instid1(VALU_DEP_4)
	v_add_co_ci_u32_e32 v40, vcc_lo, v35, v31, vcc_lo
	v_add_co_ci_u32_e32 v39, vcc_lo, 0, v39, vcc_lo
	s_delay_alu instid0(VALU_DEP_1) | instskip(NEXT) | instid1(VALU_DEP_1)
	v_add_nc_u64_e32 v[30:31], v[40:41], v[38:39]
	v_mul_u64_e32 v[34:35], s[42:43], v[30:31]
	s_delay_alu instid0(VALU_DEP_1) | instskip(NEXT) | instid1(VALU_DEP_2)
	v_sub_nc_u32_e32 v1, v36, v35
	v_sub_co_u32 v20, vcc_lo, v32, v34
	s_delay_alu instid0(VALU_DEP_1) | instskip(NEXT) | instid1(VALU_DEP_3)
	v_sub_co_ci_u32_e64 v29, null, v36, v35, vcc_lo
	v_subrev_co_ci_u32_e64 v1, null, s43, v1, vcc_lo
	s_delay_alu instid0(VALU_DEP_3) | instskip(SKIP_1) | instid1(VALU_DEP_3)
	v_sub_co_u32 v23, s0, v20, s42
	v_add_nc_u64_e32 v[34:35], 1, v[30:31]
	v_subrev_co_ci_u32_e64 v1, null, 0, v1, s0
	s_delay_alu instid0(VALU_DEP_3) | instskip(SKIP_1) | instid1(VALU_DEP_3)
	v_cmp_le_u32_e32 vcc_lo, s42, v23
	v_cndmask_b32_e64 v23, 0, -1, vcc_lo
	v_cmp_le_u32_e32 vcc_lo, s43, v1
	v_cndmask_b32_e64 v32, 0, -1, vcc_lo
	;; [unrolled: 2-line block ×4, first 2 shown]
	v_cmp_eq_u32_e32 vcc_lo, s43, v1
	v_cndmask_b32_e32 v1, v32, v23, vcc_lo
	v_cmp_eq_u32_e32 vcc_lo, s43, v29
	v_add_nc_u64_e32 v[32:33], 2, v[30:31]
	v_cndmask_b32_e32 v20, v36, v20, vcc_lo
	s_delay_alu instid0(VALU_DEP_4) | instskip(NEXT) | instid1(VALU_DEP_3)
	v_cmp_ne_u32_e32 vcc_lo, 0, v1
	v_cndmask_b32_e32 v1, v35, v33, vcc_lo
	s_delay_alu instid0(VALU_DEP_3) | instskip(SKIP_1) | instid1(VALU_DEP_2)
	v_cmp_ne_u32_e64 s0, 0, v20
	v_cndmask_b32_e32 v20, v34, v32, vcc_lo
	v_dual_cndmask_b32 v1, v31, v1, s0 :: v_dual_bitop2_b32 v28, s40, v28 bitop3:0x14
	s_delay_alu instid0(VALU_DEP_1) | instskip(NEXT) | instid1(VALU_DEP_2)
	v_dual_cndmask_b32 v20, v30, v20, s0 :: v_dual_mov_b32 v29, v28
	v_xor_b32_e32 v31, v1, v28
	s_delay_alu instid0(VALU_DEP_2) | instskip(NEXT) | instid1(VALU_DEP_1)
	v_xor_b32_e32 v30, v20, v28
	v_sub_nc_u64_e32 v[28:29], v[30:31], v[28:29]
.LBB19_9:                               ;   in Loop: Header=BB19_7 Depth=1
	s_and_not1_saveexec_b32 s0, s31
	s_cbranch_execz .LBB19_6
; %bb.10:                               ;   in Loop: Header=BB19_7 Depth=1
	v_cvt_f32_u32_e32 v1, s38
	s_sub_co_i32 s31, 0, s38
	v_mov_b32_e32 v29, v22
	s_delay_alu instid0(VALU_DEP_2) | instskip(SKIP_1) | instid1(TRANS32_DEP_1)
	v_rcp_iflag_f32_e32 v1, v1
	v_nop
	v_mul_f32_e32 v1, 0x4f7ffffe, v1
	s_delay_alu instid0(VALU_DEP_1) | instskip(NEXT) | instid1(VALU_DEP_1)
	v_cvt_u32_f32_e32 v1, v1
	v_mul_lo_u32 v20, s31, v1
	s_delay_alu instid0(VALU_DEP_1) | instskip(NEXT) | instid1(VALU_DEP_1)
	v_mul_hi_u32 v20, v1, v20
	v_add_nc_u32_e32 v1, v1, v20
	s_delay_alu instid0(VALU_DEP_1) | instskip(NEXT) | instid1(VALU_DEP_1)
	v_mul_hi_u32 v1, v26, v1
	v_mul_lo_u32 v20, v1, s38
	s_delay_alu instid0(VALU_DEP_1) | instskip(NEXT) | instid1(VALU_DEP_1)
	v_sub_nc_u32_e32 v20, v26, v20
	v_subrev_nc_u32_e32 v28, s38, v20
	v_cmp_le_u32_e32 vcc_lo, s38, v20
	s_delay_alu instid0(VALU_DEP_2) | instskip(NEXT) | instid1(VALU_DEP_1)
	v_dual_cndmask_b32 v20, v20, v28 :: v_dual_add_nc_u32 v23, 1, v1
	v_cndmask_b32_e32 v1, v1, v23, vcc_lo
	s_delay_alu instid0(VALU_DEP_2) | instskip(NEXT) | instid1(VALU_DEP_2)
	v_cmp_le_u32_e32 vcc_lo, s38, v20
	v_add_nc_u32_e32 v23, 1, v1
	s_delay_alu instid0(VALU_DEP_1)
	v_cndmask_b32_e32 v28, v1, v23, vcc_lo
	s_branch .LBB19_6
.LBB19_11:
	s_get_pc_i64 s[0:1]
	s_add_nc_u64 s[0:1], s[0:1], .str.4@rel64+4
	s_mov_b32 s36, -1
	s_cmp_lg_u64 s[0:1], 0
	s_mov_b32 s0, 0
	s_cselect_b32 s27, -1, 0
	s_mov_b32 s48, 0
	s_mov_b32 s1, exec_lo
	v_cmpx_gt_i32_e64 v16, v18
	s_cbranch_execz .LBB19_17
; %bb.12:
	v_lshlrev_b64_e32 v[22:23], 2, v[24:25]
	v_dual_mov_b32 v24, v18 :: v_dual_ashrrev_i32 v25, 31, v18
	v_dual_mov_b32 v28, v16 :: v_dual_ashrrev_i32 v29, 31, v16
	s_mov_b32 s31, 0
	s_xor_b32 s35, s27, -1
	s_delay_alu instid0(VALU_DEP_2) | instskip(SKIP_1) | instid1(VALU_DEP_2)
	v_lshl_add_u64 v[24:25], v[24:25], 2, v[22:23]
	v_add_nc_u64_e32 v[26:27], s[28:29], v[22:23]
                                        ; implicit-def: $sgpr34
                                        ; implicit-def: $sgpr37
                                        ; implicit-def: $sgpr36
	v_add_nc_u64_e32 v[24:25], s[28:29], v[24:25]
	s_delay_alu instid0(VALU_DEP_1) | instskip(NEXT) | instid1(VALU_DEP_3)
	v_add_nc_u64_e32 v[22:23], 4, v[24:25]
	v_lshl_add_u64 v[24:25], v[28:29], 2, v[26:27]
	s_branch .LBB19_14
.LBB19_13:                              ;   in Loop: Header=BB19_14 Depth=1
	s_or_b32 exec_lo, exec_lo, s38
	s_delay_alu instid0(SALU_CYCLE_1) | instskip(NEXT) | instid1(SALU_CYCLE_1)
	s_and_b32 s38, exec_lo, s37
	s_or_b32 s31, s38, s31
	s_and_not1_b32 s34, s34, exec_lo
	s_and_b32 s38, s36, exec_lo
	s_delay_alu instid0(SALU_CYCLE_1)
	s_or_b32 s34, s34, s38
	s_and_not1_b32 exec_lo, exec_lo, s31
	s_cbranch_execz .LBB19_16
.LBB19_14:                              ; =>This Inner Loop Header: Depth=1
	s_or_b32 s36, s36, exec_lo
	s_or_b32 s37, s37, exec_lo
	s_mov_b32 s38, exec_lo
	s_delay_alu instid0(VALU_DEP_2)
	v_cmpx_lt_u64_e64 v[22:23], v[24:25]
	s_cbranch_execz .LBB19_13
; %bb.15:                               ;   in Loop: Header=BB19_14 Depth=1
	global_load_b64 v[26:27], v[22:23], off offset:-4
	s_wait_xcnt 0x0
	v_add_nc_u64_e32 v[22:23], 4, v[22:23]
	s_and_not1_b32 s37, s37, exec_lo
	s_and_not1_b32 s36, s36, exec_lo
	s_wait_loadcnt 0x0
	v_cmp_ge_i32_e32 vcc_lo, v26, v27
	s_or_b32 s39, s35, vcc_lo
	s_delay_alu instid0(SALU_CYCLE_1) | instskip(NEXT) | instid1(SALU_CYCLE_1)
	s_and_b32 s39, s39, exec_lo
	s_or_b32 s37, s37, s39
	s_branch .LBB19_13
.LBB19_16:
	s_or_b32 exec_lo, exec_lo, s31
	s_delay_alu instid0(SALU_CYCLE_1)
	s_mov_b32 s48, exec_lo
	s_or_not1_b32 s36, s34, exec_lo
.LBB19_17:
	s_or_b32 exec_lo, exec_lo, s1
	s_mov_b32 s31, 0
	s_mov_b32 s34, 0
	;; [unrolled: 1-line block ×3, first 2 shown]
	s_and_saveexec_b32 s49, s36
	s_cbranch_execz .LBB19_61
; %bb.18:
	s_mov_b32 s0, -1
	s_mov_b32 s1, 0
	s_mov_b32 s36, 0
	s_mov_b32 s50, exec_lo
	v_cmpx_eq_u32_e64 v7, v6
	s_cbranch_execz .LBB19_60
; %bb.19:
	s_mov_b32 s1, -1
	s_mov_b32 s0, 0
	s_mov_b32 s37, 0
	s_mov_b32 s51, exec_lo
	v_cmpx_eq_u32_e64 v11, v10
	s_cbranch_execz .LBB19_59
; %bb.20:
	v_sub_nc_u32_e32 v1, v17, v19
	s_delay_alu instid0(VALU_DEP_1) | instskip(SKIP_2) | instid1(SALU_CYCLE_1)
	v_cmp_le_i32_e32 vcc_lo, v6, v1
	v_cmp_ge_i32_e64 s0, s16, v1
	s_and_b32 s0, vcc_lo, s0
	s_and_saveexec_b32 s52, s0
	s_cbranch_execz .LBB19_58
; %bb.21:
	v_mov_b64_e32 v[22:23], 0
	s_and_not1_b32 vcc_lo, exec_lo, s17
	s_cbranch_vccnz .LBB19_28
; %bb.22:
	s_wait_loadcnt 0x1
	v_dual_mov_b32 v22, v21 :: v_dual_ashrrev_i32 v23, 31, v21
	s_ashr_i32 s31, s30, 31
	v_mov_b32_e32 v20, 0
	s_lshl_b64 s[0:1], s[30:31], 3
	s_mov_b64 s[34:35], 0xffffffff
	v_mul_u64_e32 v[24:25], s[18:19], v[22:23]
	v_mov_b64_e32 v[22:23], 0
	s_add_nc_u64 s[0:1], s[20:21], s[0:1]
	s_mov_b32 s31, s26
	s_add_nc_u64 s[36:37], s[0:1], 32
	s_mov_b32 s1, 0
	s_branch .LBB19_24
.LBB19_23:                              ;   in Loop: Header=BB19_24 Depth=1
	s_or_b32 exec_lo, exec_lo, s0
	s_delay_alu instid0(VALU_DEP_1)
	v_mul_u64_e32 v[28:29], s[38:39], v[26:27]
	s_load_b64 s[38:39], s[36:37], 0x40
	s_add_co_i32 s31, s31, -1
	s_wait_xcnt 0x0
	s_add_nc_u64 s[36:37], s[36:37], -8
	s_cmp_lg_u32 s31, 0
	s_delay_alu instid0(VALU_DEP_1) | instskip(SKIP_1) | instid1(VALU_DEP_1)
	v_sub_nc_u64_e32 v[24:25], v[24:25], v[28:29]
	s_wait_kmcnt 0x0
	v_mad_nc_u64_u32 v[22:23], v24, s38, v[22:23]
	s_delay_alu instid0(VALU_DEP_1) | instskip(NEXT) | instid1(VALU_DEP_1)
	v_mad_u32 v1, v25, s38, v23
	v_mad_u32 v23, v24, s39, v1
	v_mov_b64_e32 v[24:25], v[26:27]
	s_cbranch_scc0 .LBB19_28
.LBB19_24:                              ; =>This Inner Loop Header: Depth=1
	s_load_b64 s[38:39], s[36:37], 0x0
                                        ; implicit-def: $vgpr26_vgpr27
	s_mov_b32 s0, exec_lo
	s_wait_kmcnt 0x0
	s_delay_alu instid0(VALU_DEP_1) | instskip(NEXT) | instid1(VALU_DEP_1)
	v_or_b32_e32 v21, s39, v25
	v_cmpx_ne_u64_e32 0, v[20:21]
	s_xor_b32 s53, exec_lo, s0
	s_cbranch_execz .LBB19_26
; %bb.25:                               ;   in Loop: Header=BB19_24 Depth=1
	s_ashr_i32 s40, s39, 31
	v_dual_mov_b32 v31, v20 :: v_dual_ashrrev_i32 v26, 31, v25
	s_mov_b32 s41, s40
	s_delay_alu instid0(SALU_CYCLE_1) | instskip(NEXT) | instid1(VALU_DEP_1)
	s_add_nc_u64 s[42:43], s[38:39], s[40:41]
	v_mov_b32_e32 v27, v26
	s_xor_b64 s[42:43], s[42:43], s[40:41]
	s_delay_alu instid0(SALU_CYCLE_1)
	s_cvt_f32_u32 s0, s42
	s_cvt_f32_u32 s41, s43
	s_sub_nc_u64 s[56:57], 0, s[42:43]
	v_add_nc_u64_e32 v[28:29], v[24:25], v[26:27]
	v_mov_b32_e32 v35, v20
	s_fmamk_f32 s0, s41, 0x4f800000, s0
	s_delay_alu instid0(SALU_CYCLE_3) | instskip(NEXT) | instid1(VALU_DEP_2)
	v_s_rcp_f32 s0, s0
	v_xor_b32_e32 v30, v28, v26
	s_delay_alu instid0(VALU_DEP_3) | instskip(SKIP_1) | instid1(TRANS32_DEP_1)
	v_dual_mov_b32 v39, v20 :: v_dual_bitop2_b32 v34, v29, v26 bitop3:0x14
	v_xor_b32_e32 v26, s40, v26
	s_mul_f32 s0, s0, 0x5f7ffffc
	s_delay_alu instid0(VALU_DEP_1) | instskip(NEXT) | instid1(SALU_CYCLE_2)
	v_mov_b32_e32 v27, v26
	s_mul_f32 s41, s0, 0x2f800000
	s_delay_alu instid0(SALU_CYCLE_3) | instskip(NEXT) | instid1(SALU_CYCLE_3)
	s_trunc_f32 s41, s41
	s_fmamk_f32 s0, s41, 0xcf800000, s0
	s_cvt_u32_f32 s55, s41
	s_delay_alu instid0(SALU_CYCLE_2) | instskip(NEXT) | instid1(SALU_CYCLE_3)
	s_cvt_u32_f32 s54, s0
	s_mul_u64 s[58:59], s[56:57], s[54:55]
	s_delay_alu instid0(SALU_CYCLE_1)
	s_mul_hi_u32 s61, s54, s59
	s_mul_i32 s60, s54, s59
	s_mul_hi_u32 s0, s54, s58
	s_mul_i32 s62, s55, s58
	s_add_nc_u64 s[60:61], s[0:1], s[60:61]
	s_mul_hi_u32 s41, s55, s58
	s_mul_hi_u32 s63, s55, s59
	s_add_co_u32 s0, s60, s62
	s_add_co_ci_u32 s0, s61, s41
	s_mul_i32 s58, s55, s59
	s_add_co_ci_u32 s59, s63, 0
	s_delay_alu instid0(SALU_CYCLE_1) | instskip(NEXT) | instid1(SALU_CYCLE_1)
	s_add_nc_u64 s[58:59], s[0:1], s[58:59]
	s_add_co_u32 s54, s54, s58
	s_cselect_b32 s0, -1, 0
	s_delay_alu instid0(SALU_CYCLE_1) | instskip(SKIP_1) | instid1(SALU_CYCLE_1)
	s_cmp_lg_u32 s0, 0
	s_add_co_ci_u32 s55, s55, s59
	s_mul_u64 s[56:57], s[56:57], s[54:55]
	s_delay_alu instid0(SALU_CYCLE_1)
	s_mul_hi_u32 s59, s54, s57
	s_mul_i32 s58, s54, s57
	s_mul_hi_u32 s0, s54, s56
	s_mul_i32 s60, s55, s56
	s_add_nc_u64 s[58:59], s[0:1], s[58:59]
	s_mul_hi_u32 s41, s55, s56
	s_mul_hi_u32 s61, s55, s57
	s_add_co_u32 s0, s58, s60
	s_add_co_ci_u32 s0, s59, s41
	s_mul_i32 s56, s55, s57
	s_add_co_ci_u32 s57, s61, 0
	s_delay_alu instid0(SALU_CYCLE_1) | instskip(NEXT) | instid1(SALU_CYCLE_1)
	s_add_nc_u64 s[56:57], s[0:1], s[56:57]
	s_add_co_u32 s54, s54, s56
	s_cselect_b32 s0, -1, 0
	v_mul_hi_u32 v38, v30, s54
	s_cmp_lg_u32 s0, 0
	s_add_co_ci_u32 s0, s55, s57
	s_and_b64 s[56:57], s[54:55], s[34:35]
	v_mul_u64_e32 v[32:33], s[0:1], v[30:31]
	v_mul_u64_e32 v[28:29], s[56:57], v[34:35]
	;; [unrolled: 1-line block ×3, first 2 shown]
	s_delay_alu instid0(VALU_DEP_3) | instskip(NEXT) | instid1(VALU_DEP_1)
	v_add_nc_u64_e32 v[32:33], v[38:39], v[32:33]
	v_add_co_u32 v1, vcc_lo, v32, v28
	s_delay_alu instid0(VALU_DEP_2) | instskip(NEXT) | instid1(VALU_DEP_4)
	v_add_co_ci_u32_e32 v38, vcc_lo, v33, v29, vcc_lo
	v_add_co_ci_u32_e32 v37, vcc_lo, 0, v37, vcc_lo
	s_delay_alu instid0(VALU_DEP_1) | instskip(NEXT) | instid1(VALU_DEP_1)
	v_add_nc_u64_e32 v[28:29], v[38:39], v[36:37]
	v_mul_u64_e32 v[32:33], s[42:43], v[28:29]
	s_delay_alu instid0(VALU_DEP_1) | instskip(NEXT) | instid1(VALU_DEP_2)
	v_sub_nc_u32_e32 v1, v34, v33
	v_sub_co_u32 v7, vcc_lo, v30, v32
	s_delay_alu instid0(VALU_DEP_1) | instskip(NEXT) | instid1(VALU_DEP_3)
	v_sub_co_ci_u32_e64 v16, null, v34, v33, vcc_lo
	v_subrev_co_ci_u32_e64 v1, null, s43, v1, vcc_lo
	s_delay_alu instid0(VALU_DEP_3) | instskip(SKIP_1) | instid1(VALU_DEP_3)
	v_sub_co_u32 v11, s0, v7, s42
	v_add_nc_u64_e32 v[30:31], 2, v[28:29]
	v_subrev_co_ci_u32_e64 v1, null, 0, v1, s0
	s_delay_alu instid0(VALU_DEP_3) | instskip(SKIP_2) | instid1(VALU_DEP_4)
	v_cmp_le_u32_e32 vcc_lo, s42, v11
	v_add_nc_u64_e32 v[32:33], 1, v[28:29]
	v_cndmask_b32_e64 v11, 0, -1, vcc_lo
	v_cmp_le_u32_e32 vcc_lo, s43, v1
	v_cndmask_b32_e64 v18, 0, -1, vcc_lo
	v_cmp_le_u32_e32 vcc_lo, s42, v7
	v_cndmask_b32_e64 v7, 0, -1, vcc_lo
	v_cmp_le_u32_e32 vcc_lo, s43, v16
	v_cndmask_b32_e64 v21, 0, -1, vcc_lo
	v_cmp_eq_u32_e32 vcc_lo, s43, v1
	v_cndmask_b32_e32 v1, v18, v11, vcc_lo
	v_cmp_eq_u32_e32 vcc_lo, s43, v16
	s_delay_alu instid0(VALU_DEP_4) | instskip(NEXT) | instid1(VALU_DEP_3)
	v_cndmask_b32_e32 v7, v21, v7, vcc_lo
	v_cmp_ne_u32_e32 vcc_lo, 0, v1
	s_delay_alu instid0(VALU_DEP_2) | instskip(SKIP_1) | instid1(VALU_DEP_1)
	v_cmp_ne_u32_e64 s0, 0, v7
	v_dual_cndmask_b32 v1, v33, v31, vcc_lo :: v_dual_cndmask_b32 v7, v32, v30, vcc_lo
	v_dual_cndmask_b32 v1, v29, v1, s0 :: v_dual_cndmask_b32 v7, v28, v7, s0
	s_delay_alu instid0(VALU_DEP_1) | instskip(NEXT) | instid1(VALU_DEP_2)
	v_xor_b32_e32 v29, v1, v26
	v_xor_b32_e32 v28, v7, v26
	s_delay_alu instid0(VALU_DEP_1)
	v_sub_nc_u64_e32 v[26:27], v[28:29], v[26:27]
.LBB19_26:                              ;   in Loop: Header=BB19_24 Depth=1
	s_and_not1_saveexec_b32 s0, s53
	s_cbranch_execz .LBB19_23
; %bb.27:                               ;   in Loop: Header=BB19_24 Depth=1
	v_cvt_f32_u32_e32 v1, s38
	s_sub_co_i32 s40, 0, s38
	v_mov_b32_e32 v27, v20
	s_delay_alu instid0(VALU_DEP_2) | instskip(SKIP_1) | instid1(TRANS32_DEP_1)
	v_rcp_iflag_f32_e32 v1, v1
	v_nop
	v_mul_f32_e32 v1, 0x4f7ffffe, v1
	s_delay_alu instid0(VALU_DEP_1) | instskip(NEXT) | instid1(VALU_DEP_1)
	v_cvt_u32_f32_e32 v1, v1
	v_mul_lo_u32 v7, s40, v1
	s_delay_alu instid0(VALU_DEP_1) | instskip(NEXT) | instid1(VALU_DEP_1)
	v_mul_hi_u32 v7, v1, v7
	v_add_nc_u32_e32 v1, v1, v7
	s_delay_alu instid0(VALU_DEP_1) | instskip(NEXT) | instid1(VALU_DEP_1)
	v_mul_hi_u32 v1, v24, v1
	v_mul_lo_u32 v7, v1, s38
	s_delay_alu instid0(VALU_DEP_1) | instskip(NEXT) | instid1(VALU_DEP_1)
	v_sub_nc_u32_e32 v7, v24, v7
	v_subrev_nc_u32_e32 v16, s38, v7
	v_cmp_le_u32_e32 vcc_lo, s38, v7
	s_delay_alu instid0(VALU_DEP_2) | instskip(NEXT) | instid1(VALU_DEP_1)
	v_dual_add_nc_u32 v11, 1, v1 :: v_dual_cndmask_b32 v7, v7, v16, vcc_lo
	v_cndmask_b32_e32 v1, v1, v11, vcc_lo
	s_delay_alu instid0(VALU_DEP_2) | instskip(NEXT) | instid1(VALU_DEP_2)
	v_cmp_le_u32_e32 vcc_lo, s38, v7
	v_add_nc_u32_e32 v11, 1, v1
	s_delay_alu instid0(VALU_DEP_1)
	v_cndmask_b32_e32 v26, v1, v11, vcc_lo
	s_branch .LBB19_23
.LBB19_28:
	s_mov_b32 s36, -1
	s_mov_b32 s0, 0
	s_mov_b32 s53, 0
	s_mov_b32 s1, exec_lo
	v_cmpx_gt_i32_e64 v17, v19
	s_cbranch_execz .LBB19_34
; %bb.29:
	s_wait_loadcnt 0x1
	s_delay_alu instid0(VALU_DEP_2) | instskip(SKIP_3) | instid1(VALU_DEP_1)
	v_lshlrev_b64_e32 v[20:21], 2, v[22:23]
	v_dual_mov_b32 v22, v19 :: v_dual_ashrrev_i32 v23, 31, v19
	s_mov_b32 s31, 0
	s_xor_b32 s35, s27, -1
                                        ; implicit-def: $sgpr34
                                        ; implicit-def: $sgpr37
                                        ; implicit-def: $sgpr36
	v_lshl_add_u64 v[18:19], v[22:23], 2, v[20:21]
	v_add_nc_u64_e32 v[20:21], s[28:29], v[20:21]
	v_dual_mov_b32 v22, v17 :: v_dual_ashrrev_i32 v23, 31, v17
	s_delay_alu instid0(VALU_DEP_3) | instskip(NEXT) | instid1(VALU_DEP_1)
	v_add_nc_u64_e32 v[18:19], s[28:29], v[18:19]
	v_add_nc_u64_e32 v[16:17], 4, v[18:19]
	s_delay_alu instid0(VALU_DEP_3)
	v_lshl_add_u64 v[18:19], v[22:23], 2, v[20:21]
	s_branch .LBB19_31
.LBB19_30:                              ;   in Loop: Header=BB19_31 Depth=1
	s_or_b32 exec_lo, exec_lo, s38
	s_delay_alu instid0(SALU_CYCLE_1) | instskip(NEXT) | instid1(SALU_CYCLE_1)
	s_and_b32 s38, exec_lo, s37
	s_or_b32 s31, s38, s31
	s_and_not1_b32 s34, s34, exec_lo
	s_and_b32 s38, s36, exec_lo
	s_delay_alu instid0(SALU_CYCLE_1)
	s_or_b32 s34, s34, s38
	s_and_not1_b32 exec_lo, exec_lo, s31
	s_cbranch_execz .LBB19_33
.LBB19_31:                              ; =>This Inner Loop Header: Depth=1
	s_or_b32 s36, s36, exec_lo
	s_or_b32 s37, s37, exec_lo
	s_mov_b32 s38, exec_lo
	s_delay_alu instid0(VALU_DEP_2)
	v_cmpx_lt_u64_e64 v[16:17], v[18:19]
	s_cbranch_execz .LBB19_30
; %bb.32:                               ;   in Loop: Header=BB19_31 Depth=1
	global_load_b64 v[20:21], v[16:17], off offset:-4
	s_and_not1_b32 s37, s37, exec_lo
	s_wait_xcnt 0x0
	v_add_nc_u64_e32 v[16:17], 4, v[16:17]
	s_and_not1_b32 s36, s36, exec_lo
	s_wait_loadcnt 0x0
	v_cmp_ge_i32_e32 vcc_lo, v20, v21
	s_or_b32 s39, s35, vcc_lo
	s_delay_alu instid0(SALU_CYCLE_1) | instskip(NEXT) | instid1(SALU_CYCLE_1)
	s_and_b32 s39, s39, exec_lo
	s_or_b32 s37, s37, s39
	s_branch .LBB19_30
.LBB19_33:
	s_or_b32 exec_lo, exec_lo, s31
	s_delay_alu instid0(SALU_CYCLE_1)
	s_mov_b32 s53, exec_lo
	s_or_not1_b32 s36, s34, exec_lo
.LBB19_34:
	s_or_b32 exec_lo, exec_lo, s1
	s_mov_b32 s31, 0
	s_mov_b32 s34, 0
	;; [unrolled: 1-line block ×3, first 2 shown]
	s_and_saveexec_b32 s54, s36
	s_cbranch_execz .LBB19_57
; %bb.35:
	s_mov_b32 s0, -1
	s_mov_b32 s1, 0
	s_mov_b32 s36, 0
	s_mov_b32 s55, exec_lo
	s_wait_loadcnt 0x5
	v_cmpx_eq_u32_e64 v14, v6
	s_cbranch_execz .LBB19_56
; %bb.36:
	s_mov_b32 s1, -1
	s_mov_b32 s0, 0
	s_mov_b32 s56, exec_lo
	s_wait_loadcnt 0x4
	v_cmpx_eq_u32_e64 v12, v10
	s_cbranch_execz .LBB19_55
; %bb.37:
	s_wait_loadcnt 0x2
	v_sub_nc_u32_e32 v1, v2, v4
	s_delay_alu instid0(VALU_DEP_1) | instskip(SKIP_2) | instid1(SALU_CYCLE_1)
	v_cmp_le_i32_e32 vcc_lo, v6, v1
	v_cmp_ge_i32_e64 s0, s16, v1
	s_and_b32 s0, vcc_lo, s0
	s_and_saveexec_b32 s57, s0
	s_cbranch_execz .LBB19_54
; %bb.38:
	v_mov_b64_e32 v[16:17], 0
	s_and_not1_b32 vcc_lo, exec_lo, s17
	s_cbranch_vccnz .LBB19_45
; %bb.39:
	s_wait_loadcnt 0x0
	v_dual_mov_b32 v16, v8 :: v_dual_ashrrev_i32 v17, 31, v8
	s_ashr_i32 s31, s30, 31
	v_mov_b32_e32 v18, 0
	s_lshl_b64 s[0:1], s[30:31], 3
	s_mov_b64 s[34:35], 0xffffffff
	v_mul_u64_e32 v[20:21], s[18:19], v[16:17]
	v_mov_b64_e32 v[16:17], 0
	s_add_nc_u64 s[0:1], s[20:21], s[0:1]
	s_mov_b32 s31, s26
	s_add_nc_u64 s[36:37], s[0:1], 32
	s_mov_b32 s1, 0
	s_branch .LBB19_41
.LBB19_40:                              ;   in Loop: Header=BB19_41 Depth=1
	s_or_b32 exec_lo, exec_lo, s0
	s_delay_alu instid0(VALU_DEP_1)
	v_mul_u64_e32 v[24:25], s[38:39], v[22:23]
	s_load_b64 s[38:39], s[36:37], 0x40
	s_add_co_i32 s31, s31, -1
	s_wait_xcnt 0x0
	s_add_nc_u64 s[36:37], s[36:37], -8
	s_cmp_lg_u32 s31, 0
	s_delay_alu instid0(VALU_DEP_1) | instskip(SKIP_1) | instid1(VALU_DEP_1)
	v_sub_nc_u64_e32 v[20:21], v[20:21], v[24:25]
	s_wait_kmcnt 0x0
	v_mad_nc_u64_u32 v[16:17], v20, s38, v[16:17]
	s_delay_alu instid0(VALU_DEP_1) | instskip(NEXT) | instid1(VALU_DEP_1)
	v_mad_u32 v1, v21, s38, v17
	v_mad_u32 v17, v20, s39, v1
	v_mov_b64_e32 v[20:21], v[22:23]
	s_cbranch_scc0 .LBB19_45
.LBB19_41:                              ; =>This Inner Loop Header: Depth=1
	s_load_b64 s[38:39], s[36:37], 0x0
                                        ; implicit-def: $vgpr22_vgpr23
	s_mov_b32 s0, exec_lo
	s_wait_kmcnt 0x0
	s_delay_alu instid0(VALU_DEP_1) | instskip(NEXT) | instid1(VALU_DEP_1)
	v_or_b32_e32 v19, s39, v21
	v_cmpx_ne_u64_e32 0, v[18:19]
	s_xor_b32 s58, exec_lo, s0
	s_cbranch_execz .LBB19_43
; %bb.42:                               ;   in Loop: Header=BB19_41 Depth=1
	s_ashr_i32 s40, s39, 31
	v_dual_mov_b32 v27, v18 :: v_dual_ashrrev_i32 v22, 31, v21
	s_mov_b32 s41, s40
	v_mov_b32_e32 v35, v18
	s_add_nc_u64 s[42:43], s[38:39], s[40:41]
	s_delay_alu instid0(VALU_DEP_2) | instskip(SKIP_1) | instid1(SALU_CYCLE_1)
	v_mov_b32_e32 v23, v22
	s_xor_b64 s[42:43], s[42:43], s[40:41]
	s_cvt_f32_u32 s0, s42
	s_cvt_f32_u32 s41, s43
	s_sub_nc_u64 s[62:63], 0, s[42:43]
	v_add_nc_u64_e32 v[24:25], v[20:21], v[22:23]
	v_mov_b32_e32 v31, v18
	s_fmamk_f32 s0, s41, 0x4f800000, s0
	s_delay_alu instid0(SALU_CYCLE_3) | instskip(NEXT) | instid1(VALU_DEP_2)
	v_s_rcp_f32 s0, s0
	v_xor_b32_e32 v26, v24, v22
	s_delay_alu instid0(VALU_DEP_3) | instskip(SKIP_1) | instid1(TRANS32_DEP_1)
	v_xor_b32_e32 v30, v25, v22
	v_xor_b32_e32 v22, s40, v22
	s_mul_f32 s0, s0, 0x5f7ffffc
	s_delay_alu instid0(VALU_DEP_1) | instskip(NEXT) | instid1(SALU_CYCLE_2)
	v_mov_b32_e32 v23, v22
	s_mul_f32 s41, s0, 0x2f800000
	s_delay_alu instid0(SALU_CYCLE_3) | instskip(NEXT) | instid1(SALU_CYCLE_3)
	s_trunc_f32 s41, s41
	s_fmamk_f32 s0, s41, 0xcf800000, s0
	s_cvt_u32_f32 s61, s41
	s_delay_alu instid0(SALU_CYCLE_2) | instskip(NEXT) | instid1(SALU_CYCLE_3)
	s_cvt_u32_f32 s60, s0
	s_mul_u64 s[64:65], s[62:63], s[60:61]
	s_delay_alu instid0(SALU_CYCLE_1)
	s_mul_hi_u32 s67, s60, s65
	s_mul_i32 s66, s60, s65
	s_mul_hi_u32 s0, s60, s64
	s_mul_i32 s59, s61, s64
	s_add_nc_u64 s[66:67], s[0:1], s[66:67]
	s_mul_hi_u32 s41, s61, s64
	s_mul_hi_u32 s68, s61, s65
	s_add_co_u32 s0, s66, s59
	s_add_co_ci_u32 s0, s67, s41
	s_mul_i32 s64, s61, s65
	s_add_co_ci_u32 s65, s68, 0
	s_delay_alu instid0(SALU_CYCLE_1) | instskip(NEXT) | instid1(SALU_CYCLE_1)
	s_add_nc_u64 s[64:65], s[0:1], s[64:65]
	s_add_co_u32 s60, s60, s64
	s_cselect_b32 s0, -1, 0
	s_delay_alu instid0(SALU_CYCLE_1) | instskip(SKIP_1) | instid1(SALU_CYCLE_1)
	s_cmp_lg_u32 s0, 0
	s_add_co_ci_u32 s61, s61, s65
	s_mul_u64 s[62:63], s[62:63], s[60:61]
	s_delay_alu instid0(SALU_CYCLE_1)
	s_mul_hi_u32 s65, s60, s63
	s_mul_i32 s64, s60, s63
	s_mul_hi_u32 s0, s60, s62
	s_mul_i32 s59, s61, s62
	s_add_nc_u64 s[64:65], s[0:1], s[64:65]
	s_mul_hi_u32 s41, s61, s62
	s_mul_hi_u32 s66, s61, s63
	s_add_co_u32 s0, s64, s59
	s_add_co_ci_u32 s0, s65, s41
	s_mul_i32 s62, s61, s63
	s_add_co_ci_u32 s63, s66, 0
	s_delay_alu instid0(SALU_CYCLE_1) | instskip(NEXT) | instid1(SALU_CYCLE_1)
	s_add_nc_u64 s[62:63], s[0:1], s[62:63]
	s_add_co_u32 s60, s60, s62
	s_cselect_b32 s0, -1, 0
	v_mul_hi_u32 v34, v26, s60
	s_cmp_lg_u32 s0, 0
	s_add_co_ci_u32 s0, s61, s63
	s_and_b64 s[62:63], s[60:61], s[34:35]
	v_mul_u64_e32 v[28:29], s[0:1], v[26:27]
	v_mul_u64_e32 v[24:25], s[62:63], v[30:31]
	;; [unrolled: 1-line block ×3, first 2 shown]
	s_delay_alu instid0(VALU_DEP_3) | instskip(NEXT) | instid1(VALU_DEP_1)
	v_add_nc_u64_e32 v[28:29], v[34:35], v[28:29]
	v_add_co_u32 v1, vcc_lo, v28, v24
	s_delay_alu instid0(VALU_DEP_2) | instskip(NEXT) | instid1(VALU_DEP_4)
	v_add_co_ci_u32_e32 v34, vcc_lo, v29, v25, vcc_lo
	v_add_co_ci_u32_e32 v33, vcc_lo, 0, v33, vcc_lo
	s_delay_alu instid0(VALU_DEP_1) | instskip(NEXT) | instid1(VALU_DEP_1)
	v_add_nc_u64_e32 v[24:25], v[34:35], v[32:33]
	v_mul_u64_e32 v[28:29], s[42:43], v[24:25]
	s_delay_alu instid0(VALU_DEP_1) | instskip(SKIP_1) | instid1(VALU_DEP_3)
	v_sub_co_u32 v7, vcc_lo, v26, v28
	v_add_nc_u64_e32 v[26:27], 2, v[24:25]
	v_sub_nc_u32_e32 v1, v30, v29
	v_sub_co_ci_u32_e64 v11, null, v30, v29, vcc_lo
	s_delay_alu instid0(VALU_DEP_4) | instskip(NEXT) | instid1(VALU_DEP_3)
	v_sub_co_u32 v8, s0, v7, s42
	v_subrev_co_ci_u32_e64 v1, null, s43, v1, vcc_lo
	v_add_nc_u64_e32 v[28:29], 1, v[24:25]
	s_delay_alu instid0(VALU_DEP_3) | instskip(NEXT) | instid1(VALU_DEP_3)
	v_cmp_le_u32_e32 vcc_lo, s42, v8
	v_subrev_co_ci_u32_e64 v1, null, 0, v1, s0
	v_cndmask_b32_e64 v8, 0, -1, vcc_lo
	s_delay_alu instid0(VALU_DEP_2)
	v_cmp_le_u32_e32 vcc_lo, s43, v1
	v_cndmask_b32_e64 v12, 0, -1, vcc_lo
	v_cmp_le_u32_e32 vcc_lo, s42, v7
	v_cndmask_b32_e64 v7, 0, -1, vcc_lo
	;; [unrolled: 2-line block ×3, first 2 shown]
	v_cmp_eq_u32_e32 vcc_lo, s43, v1
	v_cndmask_b32_e32 v1, v12, v8, vcc_lo
	v_cmp_eq_u32_e32 vcc_lo, s43, v11
	s_delay_alu instid0(VALU_DEP_4) | instskip(NEXT) | instid1(VALU_DEP_3)
	v_cndmask_b32_e32 v7, v14, v7, vcc_lo
	v_cmp_ne_u32_e32 vcc_lo, 0, v1
	s_delay_alu instid0(VALU_DEP_2) | instskip(SKIP_1) | instid1(VALU_DEP_1)
	v_cmp_ne_u32_e64 s0, 0, v7
	v_dual_cndmask_b32 v1, v29, v27, vcc_lo :: v_dual_cndmask_b32 v7, v28, v26, vcc_lo
	v_dual_cndmask_b32 v1, v25, v1, s0 :: v_dual_cndmask_b32 v7, v24, v7, s0
	s_delay_alu instid0(VALU_DEP_1) | instskip(NEXT) | instid1(VALU_DEP_2)
	v_xor_b32_e32 v25, v1, v22
	v_xor_b32_e32 v24, v7, v22
	s_delay_alu instid0(VALU_DEP_1)
	v_sub_nc_u64_e32 v[22:23], v[24:25], v[22:23]
.LBB19_43:                              ;   in Loop: Header=BB19_41 Depth=1
	s_and_not1_saveexec_b32 s0, s58
	s_cbranch_execz .LBB19_40
; %bb.44:                               ;   in Loop: Header=BB19_41 Depth=1
	v_cvt_f32_u32_e32 v1, s38
	s_sub_co_i32 s40, 0, s38
	v_mov_b32_e32 v23, v18
	s_delay_alu instid0(VALU_DEP_2) | instskip(SKIP_1) | instid1(TRANS32_DEP_1)
	v_rcp_iflag_f32_e32 v1, v1
	v_nop
	v_mul_f32_e32 v1, 0x4f7ffffe, v1
	s_delay_alu instid0(VALU_DEP_1) | instskip(NEXT) | instid1(VALU_DEP_1)
	v_cvt_u32_f32_e32 v1, v1
	v_mul_lo_u32 v7, s40, v1
	s_delay_alu instid0(VALU_DEP_1) | instskip(NEXT) | instid1(VALU_DEP_1)
	v_mul_hi_u32 v7, v1, v7
	v_add_nc_u32_e32 v1, v1, v7
	s_delay_alu instid0(VALU_DEP_1) | instskip(NEXT) | instid1(VALU_DEP_1)
	v_mul_hi_u32 v1, v20, v1
	v_mul_lo_u32 v7, v1, s38
	s_delay_alu instid0(VALU_DEP_1) | instskip(NEXT) | instid1(VALU_DEP_1)
	v_sub_nc_u32_e32 v7, v20, v7
	v_subrev_nc_u32_e32 v11, s38, v7
	v_cmp_le_u32_e32 vcc_lo, s38, v7
	s_delay_alu instid0(VALU_DEP_2) | instskip(NEXT) | instid1(VALU_DEP_1)
	v_dual_cndmask_b32 v7, v7, v11 :: v_dual_add_nc_u32 v8, 1, v1
	v_cndmask_b32_e32 v1, v1, v8, vcc_lo
	s_delay_alu instid0(VALU_DEP_2) | instskip(NEXT) | instid1(VALU_DEP_2)
	v_cmp_le_u32_e32 vcc_lo, s38, v7
	v_add_nc_u32_e32 v8, 1, v1
	s_delay_alu instid0(VALU_DEP_1)
	v_cndmask_b32_e32 v22, v1, v8, vcc_lo
	s_branch .LBB19_40
.LBB19_45:
	s_mov_b32 s35, -1
	s_mov_b32 s0, 0
	s_mov_b32 s31, 0
	s_mov_b32 s1, exec_lo
	v_cmpx_gt_i32_e64 v2, v4
	s_cbranch_execz .LBB19_51
; %bb.46:
	s_delay_alu instid0(VALU_DEP_2) | instskip(SKIP_3) | instid1(VALU_DEP_2)
	v_lshlrev_b64_e32 v[16:17], 2, v[16:17]
	v_dual_mov_b32 v18, v4 :: v_dual_ashrrev_i32 v19, 31, v4
	v_dual_mov_b32 v22, v2 :: v_dual_ashrrev_i32 v23, 31, v2
	s_xor_b32 s35, s27, -1
                                        ; implicit-def: $sgpr34
                                        ; implicit-def: $sgpr37
                                        ; implicit-def: $sgpr36
	v_lshl_add_u64 v[18:19], v[18:19], 2, v[16:17]
	s_wait_loadcnt 0x1
	v_add_nc_u64_e32 v[20:21], s[28:29], v[16:17]
	s_delay_alu instid0(VALU_DEP_2) | instskip(NEXT) | instid1(VALU_DEP_1)
	v_add_nc_u64_e32 v[18:19], s[28:29], v[18:19]
	v_add_nc_u64_e32 v[16:17], 4, v[18:19]
	s_delay_alu instid0(VALU_DEP_3)
	v_lshl_add_u64 v[18:19], v[22:23], 2, v[20:21]
	s_branch .LBB19_48
.LBB19_47:                              ;   in Loop: Header=BB19_48 Depth=1
	s_or_b32 exec_lo, exec_lo, s38
	s_delay_alu instid0(SALU_CYCLE_1) | instskip(NEXT) | instid1(SALU_CYCLE_1)
	s_and_b32 s38, exec_lo, s37
	s_or_b32 s31, s38, s31
	s_and_not1_b32 s34, s34, exec_lo
	s_and_b32 s38, s36, exec_lo
	s_delay_alu instid0(SALU_CYCLE_1)
	s_or_b32 s34, s34, s38
	s_and_not1_b32 exec_lo, exec_lo, s31
	s_cbranch_execz .LBB19_50
.LBB19_48:                              ; =>This Inner Loop Header: Depth=1
	s_or_b32 s36, s36, exec_lo
	s_or_b32 s37, s37, exec_lo
	s_mov_b32 s38, exec_lo
	s_delay_alu instid0(VALU_DEP_2)
	v_cmpx_lt_u64_e64 v[16:17], v[18:19]
	s_cbranch_execz .LBB19_47
; %bb.49:                               ;   in Loop: Header=BB19_48 Depth=1
	global_load_b64 v[20:21], v[16:17], off offset:-4
	s_and_not1_b32 s37, s37, exec_lo
	s_wait_xcnt 0x0
	v_add_nc_u64_e32 v[16:17], 4, v[16:17]
	s_and_not1_b32 s36, s36, exec_lo
	s_wait_loadcnt 0x0
	v_cmp_ge_i32_e32 vcc_lo, v20, v21
	s_or_b32 s39, s35, vcc_lo
	s_delay_alu instid0(SALU_CYCLE_1) | instskip(NEXT) | instid1(SALU_CYCLE_1)
	s_and_b32 s39, s39, exec_lo
	s_or_b32 s37, s37, s39
	s_branch .LBB19_47
.LBB19_50:
	s_or_b32 exec_lo, exec_lo, s31
	s_delay_alu instid0(SALU_CYCLE_1)
	s_mov_b32 s31, exec_lo
	s_or_not1_b32 s35, s34, exec_lo
.LBB19_51:
	s_or_b32 exec_lo, exec_lo, s1
	s_mov_b32 s34, 0
	s_and_saveexec_b32 s1, s35
	s_delay_alu instid0(SALU_CYCLE_1)
	s_xor_b32 s1, exec_lo, s1
; %bb.52:
	v_cmp_ne_u32_e32 vcc_lo, v15, v6
	s_mov_b32 s34, exec_lo
	s_and_not1_b32 s31, s31, exec_lo
	s_and_b32 s0, vcc_lo, exec_lo
; %bb.53:
	s_or_b32 exec_lo, exec_lo, s1
	s_delay_alu instid0(SALU_CYCLE_1)
	s_and_b32 s35, s31, exec_lo
	s_xor_b32 s1, exec_lo, -1
	s_and_b32 s31, s34, exec_lo
	s_and_b32 s34, s0, exec_lo
.LBB19_54:
	s_or_b32 exec_lo, exec_lo, s57
	s_delay_alu instid0(SALU_CYCLE_1)
	s_and_b32 s36, s35, exec_lo
	s_and_b32 s35, s1, exec_lo
	s_xor_b32 s1, exec_lo, -1
	s_and_b32 s31, s31, exec_lo
	s_and_b32 s0, s34, exec_lo
.LBB19_55:
	s_or_b32 exec_lo, exec_lo, s56
	s_delay_alu instid0(SALU_CYCLE_1)
	s_and_b32 s36, s36, exec_lo
	s_and_b32 s35, s35, exec_lo
	;; [unrolled: 1-line block ×4, first 2 shown]
	s_or_not1_b32 s0, s0, exec_lo
.LBB19_56:
	s_or_b32 exec_lo, exec_lo, s55
	s_delay_alu instid0(SALU_CYCLE_1)
	s_and_not1_b32 s31, s53, exec_lo
	s_and_b32 s36, s36, exec_lo
	s_and_b32 s35, s35, exec_lo
	s_or_b32 s53, s31, s36
	s_and_b32 s34, s34, exec_lo
	s_and_b32 s31, s1, exec_lo
	;; [unrolled: 1-line block ×3, first 2 shown]
.LBB19_57:
	s_or_b32 exec_lo, exec_lo, s54
	s_delay_alu instid0(SALU_CYCLE_1)
	s_and_b32 s36, s53, exec_lo
	s_or_not1_b32 s1, s35, exec_lo
	s_and_b32 s35, s34, exec_lo
	s_and_b32 s34, s31, exec_lo
	;; [unrolled: 1-line block ×3, first 2 shown]
.LBB19_58:
	s_or_b32 exec_lo, exec_lo, s52
	s_delay_alu instid0(SALU_CYCLE_1)
	s_and_b32 s36, s36, exec_lo
	s_and_b32 s37, s1, exec_lo
	s_or_not1_b32 s1, s35, exec_lo
	s_and_b32 s34, s34, exec_lo
	s_and_b32 s0, s31, exec_lo
.LBB19_59:
	s_or_b32 exec_lo, exec_lo, s51
	s_delay_alu instid0(SALU_CYCLE_1)
	s_and_b32 s36, s36, exec_lo
	s_and_b32 s35, s37, exec_lo
	;; [unrolled: 1-line block ×4, first 2 shown]
	s_or_not1_b32 s0, s0, exec_lo
.LBB19_60:
	s_or_b32 exec_lo, exec_lo, s50
	s_delay_alu instid0(SALU_CYCLE_1)
	s_and_not1_b32 s34, s48, exec_lo
	s_and_b32 s36, s36, exec_lo
	s_and_b32 s35, s35, exec_lo
	s_or_b32 s48, s34, s36
	s_and_b32 s34, s31, exec_lo
	s_and_b32 s31, s1, exec_lo
	;; [unrolled: 1-line block ×3, first 2 shown]
.LBB19_61:
	s_or_b32 exec_lo, exec_lo, s49
	s_delay_alu instid0(SALU_CYCLE_1)
	s_and_b32 s48, s48, exec_lo
	s_or_not1_b32 s1, s35, exec_lo
	s_and_b32 s43, s34, exec_lo
	s_and_b32 s31, s31, exec_lo
	;; [unrolled: 1-line block ×3, first 2 shown]
.LBB19_62:
	s_or_b32 exec_lo, exec_lo, s47
	s_delay_alu instid0(SALU_CYCLE_1)
	s_and_b32 s38, s48, exec_lo
	s_and_b32 s1, s1, exec_lo
	s_or_not1_b32 s0, s43, exec_lo
	s_and_b32 s31, s31, exec_lo
	s_and_b32 s39, s42, exec_lo
.LBB19_63:
	s_or_b32 exec_lo, exec_lo, s46
	s_delay_alu instid0(SALU_CYCLE_1)
	s_and_b32 s38, s38, exec_lo
	s_and_b32 s1, s1, exec_lo
	;; [unrolled: 1-line block ×4, first 2 shown]
	s_or_not1_b32 s36, s39, exec_lo
.LBB19_64:
	s_or_b32 exec_lo, exec_lo, s45
	s_and_saveexec_b32 s34, s36
	s_cbranch_execnz .LBB19_208
.LBB19_65:
	s_or_b32 exec_lo, exec_lo, s34
	s_mov_b32 s34, 0
	s_and_saveexec_b32 s35, s31
	s_delay_alu instid0(SALU_CYCLE_1)
	s_xor_b32 s31, exec_lo, s35
	s_cbranch_execz .LBB19_67
; %bb.66:
	s_wait_loadcnt 0x4
	v_cmp_ne_u32_e32 vcc_lo, v13, v10
	s_and_not1_b32 s0, s0, exec_lo
	s_mov_b32 s34, exec_lo
	s_and_b32 s35, vcc_lo, exec_lo
	s_delay_alu instid0(SALU_CYCLE_1)
	s_or_b32 s0, s0, s35
.LBB19_67:
	s_or_b32 exec_lo, exec_lo, s31
	s_and_saveexec_b32 s31, s0
	s_cbranch_execnz .LBB19_209
.LBB19_68:
	s_or_b32 exec_lo, exec_lo, s31
	s_mov_b32 s31, 0
	s_and_saveexec_b32 s0, s34
	s_delay_alu instid0(SALU_CYCLE_1)
	s_xor_b32 s34, exec_lo, s0
	s_cbranch_execz .LBB19_95
; %bb.69:
	s_wait_loadcnt 0x2
	v_sub_nc_u32_e32 v1, v3, v5
	s_and_not1_b32 s1, s1, exec_lo
	s_mov_b32 s31, exec_lo
	s_delay_alu instid0(VALU_DEP_1) | instskip(SKIP_2) | instid1(SALU_CYCLE_1)
	v_cmp_gt_i32_e32 vcc_lo, v6, v1
	v_cmp_lt_i32_e64 s0, s16, v1
	s_or_b32 s0, vcc_lo, s0
	s_and_b32 s0, s0, exec_lo
	s_delay_alu instid0(SALU_CYCLE_1)
	s_or_b32 s1, s1, s0
	s_or_b32 exec_lo, exec_lo, s34
	s_and_saveexec_b32 s0, s1
	s_cbranch_execz .LBB19_96
.LBB19_70:
	s_or_b32 s3, s3, exec_lo
	s_and_not1_b32 s31, s31, exec_lo
	s_trap 2
	s_or_b32 exec_lo, exec_lo, s0
	s_mov_b32 s0, 0
	s_and_saveexec_b32 s39, s31
	s_cbranch_execnz .LBB19_97
.LBB19_71:
	s_or_b32 exec_lo, exec_lo, s39
	s_and_saveexec_b32 s1, s38
	s_cbranch_execnz .LBB19_125
.LBB19_72:
	s_or_b32 exec_lo, exec_lo, s1
	s_and_saveexec_b32 s1, s0
	s_delay_alu instid0(SALU_CYCLE_1)
	s_xor_b32 s0, exec_lo, s1
	s_cbranch_execz .LBB19_74
.LBB19_73:
	s_wait_loadcnt 0x2
	v_mov_b64_e32 v[2:3], 0
	s_add_nc_u64 s[16:17], s[4:5], s[24:25]
	s_clause 0x1
	global_store_b64 v0, v[2:3], s[16:17] scale_offset
	global_store_b64 v0, v[2:3], s[16:17] offset:2048 scale_offset
.LBB19_74:
	s_wait_xcnt 0x0
	s_or_b32 exec_lo, exec_lo, s0
	s_mov_b32 s0, 0
.LBB19_75:
	s_delay_alu instid0(SALU_CYCLE_1)
	s_and_b32 vcc_lo, exec_lo, s0
	s_cbranch_vccz .LBB19_104
; %bb.76:
	v_mov_b64_e32 v[6:7], 0
	v_cmp_gt_i32_e64 s0, s33, v0
	s_wait_loadcnt 0x2
	v_dual_mov_b32 v1, 0 :: v_dual_mov_b32 v3, 0
	v_or_b32_e32 v17, 0x100, v0
	v_dual_mov_b32 v2, 0 :: v_dual_mov_b32 v4, 0
	s_wait_loadcnt 0x0
	v_dual_mov_b32 v9, 0 :: v_dual_mov_b32 v11, 0
	v_dual_mov_b32 v10, 0 :: v_dual_mov_b32 v8, 0
	;; [unrolled: 1-line block ×7, first 2 shown]
	v_mov_b32_e32 v24, 0
	s_and_saveexec_b32 s1, s0
	s_cbranch_execz .LBB19_84
; %bb.77:
	v_dual_mov_b32 v18, 0 :: v_dual_bitop2_b32 v1, s2, v0 bitop3:0x54
	v_mov_b64_e32 v[6:7], 0
	v_dual_mov_b32 v14, 0 :: v_dual_mov_b32 v16, 0
	s_clause 0x4
	global_load_b32 v21, v1, s[6:7] scale_offset
	global_load_b32 v23, v1, s[8:9] scale_offset
	;; [unrolled: 1-line block ×5, first 2 shown]
	v_dual_mov_b32 v19, 0 :: v_dual_mov_b32 v15, 0
	v_dual_mov_b32 v13, 0 :: v_dual_mov_b32 v8, 0
	;; [unrolled: 1-line block ×5, first 2 shown]
	s_wait_xcnt 0x0
	v_mov_b32_e32 v1, 0
	s_mov_b32 s16, exec_lo
	v_cmpx_gt_u32_e64 s33, v17
	s_cbranch_execz .LBB19_83
; %bb.78:
	v_dual_mov_b32 v13, 0 :: v_dual_add_nc_u32 v12, s2, v0
	v_or_b32_e32 v1, 0x200, v0
	v_mov_b64_e32 v[6:7], 0
	v_dual_mov_b32 v8, 0 :: v_dual_mov_b32 v10, 0
	s_clause 0x4
	global_load_b32 v15, v12, s[6:7] offset:1024 scale_offset
	global_load_b32 v19, v12, s[8:9] offset:1024 scale_offset
	;; [unrolled: 1-line block ×5, first 2 shown]
	v_cmp_gt_u32_e32 vcc_lo, s33, v1
	v_dual_mov_b32 v11, 0 :: v_dual_mov_b32 v9, 0
	v_dual_mov_b32 v4, 0 :: v_dual_mov_b32 v2, 0
	;; [unrolled: 1-line block ×3, first 2 shown]
	s_wait_xcnt 0x0
	s_and_saveexec_b32 s17, vcc_lo
	s_cbranch_execz .LBB19_82
; %bb.79:
	v_lshlrev_b64_e32 v[2:3], 2, v[12:13]
	v_or_b32_e32 v1, 0x300, v0
	v_mov_b64_e32 v[6:7], 0
	s_delay_alu instid0(VALU_DEP_2) | instskip(NEXT) | instid1(VALU_DEP_4)
	v_cmp_gt_u32_e32 vcc_lo, s33, v1
	v_add_nc_u64_e32 v[4:5], s[6:7], v[2:3]
	v_add_nc_u64_e32 v[26:27], s[8:9], v[2:3]
	;; [unrolled: 1-line block ×5, first 2 shown]
	v_dual_mov_b32 v2, 0 :: v_dual_mov_b32 v3, 0
	global_load_b32 v9, v[4:5], off offset:2048
	global_load_b32 v11, v[26:27], off offset:2048
	;; [unrolled: 1-line block ×5, first 2 shown]
	v_mov_b32_e32 v1, 0
	s_wait_xcnt 0x0
	s_and_saveexec_b32 s6, vcc_lo
	s_cbranch_execz .LBB19_81
; %bb.80:
	global_load_b32 v6, v[28:29], off offset:3072
	global_load_b32 v1, v[4:5], off offset:3072
	;; [unrolled: 1-line block ×5, first 2 shown]
	s_wait_loadcnt 0x4
	v_ashrrev_i32_e32 v7, 31, v6
.LBB19_81:
	s_wait_xcnt 0x0
	s_or_b32 exec_lo, exec_lo, s6
	s_wait_loadcnt 0x0
	v_dual_mov_b32 v4, v13 :: v_dual_mov_b32 v13, v12
.LBB19_82:
	s_or_b32 exec_lo, exec_lo, s17
.LBB19_83:
	s_delay_alu instid0(SALU_CYCLE_1)
	s_or_b32 exec_lo, exec_lo, s16
.LBB19_84:
	s_delay_alu instid0(SALU_CYCLE_1)
	s_or_b32 exec_lo, exec_lo, s1
	s_clause 0x3
	s_load_b128 s[8:11], s[20:21], 0x8
	s_load_b32 s28, s[20:21], 0x18
	s_load_b32 s36, s[20:21], 0x0
	s_load_b64 s[6:7], s[20:21], 0xa0
	s_cmp_lg_u64 s[22:23], 0
	s_get_pc_i64 s[12:13]
	s_add_nc_u64 s[12:13], s[12:13], .str.2@rel64+4
	s_get_pc_i64 s[14:15]
	s_add_nc_u64 s[14:15], s[14:15], .str.3@rel64+4
	s_cselect_b32 s37, -1, 0
	s_cmp_lg_u64 s[12:13], 0
	s_mov_b32 s1, -1
	s_cselect_b32 s34, -1, 0
	s_cmp_lg_u64 s[14:15], 0
	s_get_pc_i64 s[14:15]
	s_add_nc_u64 s[14:15], s[14:15], .str.4@rel64+4
	s_cselect_b32 s30, -1, 0
	s_mov_b32 s43, 0
	s_mov_b32 s41, 0
	;; [unrolled: 1-line block ×5, first 2 shown]
	s_wait_kmcnt 0x0
	v_cmp_gt_i64_e64 s9, s[10:11], 0
	s_add_co_i32 s12, s28, -1
	s_delay_alu instid0(SALU_CYCLE_1) | instskip(SKIP_1) | instid1(SALU_CYCLE_1)
	s_cmp_gt_i32 s12, -1
	s_cselect_b32 s13, -1, 0
	s_and_b32 s9, s9, s13
	s_cmp_lg_u64 s[14:15], 0
	s_cselect_b32 s29, -1, 0
	s_and_saveexec_b32 s31, s0
	s_cbranch_execz .LBB19_131
; %bb.85:
	s_wait_loadcnt 0x4
	v_cmp_eq_u32_e32 vcc_lo, s36, v21
	s_mov_b32 s13, -1
	s_mov_b32 s1, 0
	s_mov_b32 s14, 0
	;; [unrolled: 1-line block ×3, first 2 shown]
	s_and_b32 s17, s37, vcc_lo
	s_mov_b32 s16, 0
	s_and_saveexec_b32 s35, s17
	s_cbranch_execz .LBB19_130
; %bb.86:
	s_wait_loadcnt 0x3
	v_cmp_eq_u32_e32 vcc_lo, s10, v23
	s_and_b32 s16, s34, vcc_lo
	s_delay_alu instid0(SALU_CYCLE_1)
	s_and_saveexec_b32 s38, s16
	s_cbranch_execz .LBB19_129
; %bb.87:
	s_wait_loadcnt 0x1
	v_sub_nc_u32_e32 v5, v20, v22
	s_delay_alu instid0(VALU_DEP_1)
	v_cmp_le_i32_e32 vcc_lo, v21, v5
	v_cmp_ge_i32_e64 s1, s8, v5
	s_and_b32 s14, vcc_lo, s1
	s_mov_b32 s1, 0
	s_and_b32 s15, s30, s14
	s_mov_b32 s14, 0
	s_and_saveexec_b32 s39, s15
	s_cbranch_execz .LBB19_128
; %bb.88:
	v_mov_b64_e32 v[26:27], 0
	s_and_not1_b32 vcc_lo, exec_lo, s9
	s_cbranch_vccnz .LBB19_118
; %bb.89:
	s_wait_loadcnt 0x0
	v_ashrrev_i32_e32 v25, 31, v24
	s_ashr_i32 s13, s12, 31
	v_mov_b64_e32 v[26:27], 0
	s_lshl_b64 s[16:17], s[12:13], 3
	s_mov_b64 s[14:15], 0xffffffff
	v_mul_u64_e32 v[28:29], s[10:11], v[24:25]
	v_mov_b32_e32 v24, 0
	s_add_nc_u64 s[16:17], s[20:21], s[16:17]
	s_mov_b32 s19, 0
	s_add_nc_u64 s[16:17], s[16:17], 32
	s_mov_b32 s13, s28
	s_branch .LBB19_91
.LBB19_90:                              ;   in Loop: Header=BB19_91 Depth=1
	s_or_b32 exec_lo, exec_lo, s1
	s_delay_alu instid0(VALU_DEP_1)
	v_mul_u64_e32 v[32:33], s[22:23], v[30:31]
	s_load_b64 s[22:23], s[16:17], 0x40
	s_add_co_i32 s13, s13, -1
	s_wait_xcnt 0x0
	s_add_nc_u64 s[16:17], s[16:17], -8
	s_cmp_eq_u32 s13, 0
	s_delay_alu instid0(VALU_DEP_1) | instskip(SKIP_1) | instid1(VALU_DEP_1)
	v_sub_nc_u64_e32 v[28:29], v[28:29], v[32:33]
	s_wait_kmcnt 0x0
	v_mad_nc_u64_u32 v[26:27], v28, s22, v[26:27]
	s_delay_alu instid0(VALU_DEP_1) | instskip(NEXT) | instid1(VALU_DEP_1)
	v_mad_u32 v5, v29, s22, v27
	v_mad_u32 v27, v28, s23, v5
	v_mov_b64_e32 v[28:29], v[30:31]
	s_cbranch_scc1 .LBB19_118
.LBB19_91:                              ; =>This Inner Loop Header: Depth=1
	s_load_b64 s[22:23], s[16:17], 0x0
                                        ; implicit-def: $vgpr30_vgpr31
	s_mov_b32 s1, exec_lo
	s_wait_kmcnt 0x0
	s_delay_alu instid0(VALU_DEP_1) | instskip(NEXT) | instid1(VALU_DEP_1)
	v_or_b32_e32 v25, s23, v29
	v_cmpx_ne_u64_e32 0, v[24:25]
	s_xor_b32 s40, exec_lo, s1
	s_cbranch_execz .LBB19_93
; %bb.92:                               ;   in Loop: Header=BB19_91 Depth=1
	s_ashr_i32 s24, s23, 31
	v_dual_mov_b32 v35, v24 :: v_dual_ashrrev_i32 v30, 31, v29
	s_mov_b32 s25, s24
	s_delay_alu instid0(SALU_CYCLE_1) | instskip(NEXT) | instid1(VALU_DEP_1)
	s_add_nc_u64 s[26:27], s[22:23], s[24:25]
	v_mov_b32_e32 v31, v30
	s_xor_b64 s[26:27], s[26:27], s[24:25]
	s_delay_alu instid0(SALU_CYCLE_1)
	s_cvt_f32_u32 s1, s26
	s_cvt_f32_u32 s18, s27
	s_sub_nc_u64 s[46:47], 0, s[26:27]
	v_add_nc_u64_e32 v[32:33], v[28:29], v[30:31]
	v_mov_b32_e32 v39, v24
	s_fmamk_f32 s1, s18, 0x4f800000, s1
	s_delay_alu instid0(SALU_CYCLE_3) | instskip(NEXT) | instid1(VALU_DEP_2)
	v_s_rcp_f32 s1, s1
	v_xor_b32_e32 v34, v32, v30
	s_delay_alu instid0(VALU_DEP_3) | instskip(NEXT) | instid1(TRANS32_DEP_1)
	v_dual_mov_b32 v43, v24 :: v_dual_bitop2_b32 v38, v33, v30 bitop3:0x14
	s_mul_f32 s1, s1, 0x5f7ffffc
	s_delay_alu instid0(SALU_CYCLE_3) | instskip(NEXT) | instid1(SALU_CYCLE_3)
	s_mul_f32 s18, s1, 0x2f800000
	s_trunc_f32 s18, s18
	s_delay_alu instid0(SALU_CYCLE_3) | instskip(SKIP_1) | instid1(SALU_CYCLE_2)
	s_fmamk_f32 s1, s18, 0xcf800000, s1
	s_cvt_u32_f32 s45, s18
	s_cvt_u32_f32 s44, s1
	s_delay_alu instid0(SALU_CYCLE_3) | instskip(NEXT) | instid1(SALU_CYCLE_1)
	s_mul_u64 s[48:49], s[46:47], s[44:45]
	s_mul_hi_u32 s51, s44, s49
	s_mul_i32 s50, s44, s49
	s_mul_hi_u32 s18, s44, s48
	s_mul_i32 s25, s45, s48
	s_add_nc_u64 s[50:51], s[18:19], s[50:51]
	s_mul_hi_u32 s1, s45, s48
	s_mul_hi_u32 s41, s45, s49
	s_add_co_u32 s18, s50, s25
	s_add_co_ci_u32 s18, s51, s1
	s_mul_i32 s48, s45, s49
	s_add_co_ci_u32 s49, s41, 0
	s_delay_alu instid0(SALU_CYCLE_1) | instskip(NEXT) | instid1(SALU_CYCLE_1)
	s_add_nc_u64 s[48:49], s[18:19], s[48:49]
	s_add_co_u32 s44, s44, s48
	s_cselect_b32 s1, -1, 0
	s_delay_alu instid0(SALU_CYCLE_1) | instskip(SKIP_1) | instid1(SALU_CYCLE_1)
	s_cmp_lg_u32 s1, 0
	s_add_co_ci_u32 s45, s45, s49
	s_mul_u64 s[46:47], s[46:47], s[44:45]
	s_delay_alu instid0(SALU_CYCLE_1)
	s_mul_hi_u32 s49, s44, s47
	s_mul_i32 s48, s44, s47
	s_mul_hi_u32 s18, s44, s46
	s_mul_i32 s25, s45, s46
	s_add_nc_u64 s[48:49], s[18:19], s[48:49]
	s_mul_hi_u32 s1, s45, s46
	s_mul_hi_u32 s41, s45, s47
	s_add_co_u32 s18, s48, s25
	s_add_co_ci_u32 s18, s49, s1
	s_mul_i32 s46, s45, s47
	s_add_co_ci_u32 s47, s41, 0
	s_delay_alu instid0(SALU_CYCLE_1) | instskip(NEXT) | instid1(SALU_CYCLE_1)
	s_add_nc_u64 s[46:47], s[18:19], s[46:47]
	s_add_co_u32 s42, s44, s46
	s_cselect_b32 s1, -1, 0
	v_mul_hi_u32 v42, v34, s42
	s_cmp_lg_u32 s1, 0
	s_add_co_ci_u32 s18, s45, s47
	s_and_b64 s[44:45], s[42:43], s[14:15]
	v_mul_u64_e32 v[36:37], s[18:19], v[34:35]
	v_mul_u64_e32 v[32:33], s[44:45], v[38:39]
	;; [unrolled: 1-line block ×3, first 2 shown]
	s_delay_alu instid0(VALU_DEP_3) | instskip(NEXT) | instid1(VALU_DEP_1)
	v_add_nc_u64_e32 v[36:37], v[42:43], v[36:37]
	v_add_co_u32 v5, vcc_lo, v36, v32
	s_delay_alu instid0(VALU_DEP_2) | instskip(NEXT) | instid1(VALU_DEP_4)
	v_add_co_ci_u32_e32 v42, vcc_lo, v37, v33, vcc_lo
	v_add_co_ci_u32_e32 v41, vcc_lo, 0, v41, vcc_lo
	s_delay_alu instid0(VALU_DEP_1) | instskip(NEXT) | instid1(VALU_DEP_1)
	v_add_nc_u64_e32 v[32:33], v[42:43], v[40:41]
	v_mul_u64_e32 v[36:37], s[26:27], v[32:33]
	s_delay_alu instid0(VALU_DEP_1) | instskip(NEXT) | instid1(VALU_DEP_2)
	v_sub_nc_u32_e32 v5, v38, v37
	v_sub_co_u32 v12, vcc_lo, v34, v36
	s_delay_alu instid0(VALU_DEP_1) | instskip(NEXT) | instid1(VALU_DEP_3)
	v_sub_co_ci_u32_e64 v23, null, v38, v37, vcc_lo
	v_subrev_co_ci_u32_e64 v5, null, s27, v5, vcc_lo
	s_delay_alu instid0(VALU_DEP_3) | instskip(SKIP_1) | instid1(VALU_DEP_3)
	v_sub_co_u32 v21, s1, v12, s26
	v_add_nc_u64_e32 v[34:35], 2, v[32:33]
	v_subrev_co_ci_u32_e64 v5, null, 0, v5, s1
	s_delay_alu instid0(VALU_DEP_3) | instskip(SKIP_2) | instid1(VALU_DEP_4)
	v_cmp_le_u32_e32 vcc_lo, s26, v21
	v_add_nc_u64_e32 v[36:37], 1, v[32:33]
	v_cndmask_b32_e64 v21, 0, -1, vcc_lo
	v_cmp_le_u32_e32 vcc_lo, s27, v5
	v_cndmask_b32_e64 v25, 0, -1, vcc_lo
	v_cmp_le_u32_e32 vcc_lo, s26, v12
	;; [unrolled: 2-line block ×3, first 2 shown]
	v_cndmask_b32_e64 v31, 0, -1, vcc_lo
	v_cmp_eq_u32_e32 vcc_lo, s27, v5
	v_cndmask_b32_e32 v5, v25, v21, vcc_lo
	v_cmp_eq_u32_e32 vcc_lo, s27, v23
	s_delay_alu instid0(VALU_DEP_4) | instskip(NEXT) | instid1(VALU_DEP_3)
	v_cndmask_b32_e32 v12, v31, v12, vcc_lo
	v_cmp_ne_u32_e32 vcc_lo, 0, v5
	s_delay_alu instid0(VALU_DEP_2) | instskip(SKIP_1) | instid1(VALU_DEP_1)
	v_cmp_ne_u32_e64 s1, 0, v12
	v_dual_cndmask_b32 v5, v37, v35 :: v_dual_cndmask_b32 v12, v36, v34
	v_dual_cndmask_b32 v5, v33, v5, s1 :: v_dual_bitop2_b32 v30, s24, v30 bitop3:0x14
	s_delay_alu instid0(VALU_DEP_1) | instskip(NEXT) | instid1(VALU_DEP_2)
	v_dual_cndmask_b32 v12, v32, v12, s1 :: v_dual_mov_b32 v31, v30
	v_xor_b32_e32 v33, v5, v30
	s_delay_alu instid0(VALU_DEP_2) | instskip(NEXT) | instid1(VALU_DEP_1)
	v_xor_b32_e32 v32, v12, v30
	v_sub_nc_u64_e32 v[30:31], v[32:33], v[30:31]
.LBB19_93:                              ;   in Loop: Header=BB19_91 Depth=1
	s_and_not1_saveexec_b32 s1, s40
	s_cbranch_execz .LBB19_90
; %bb.94:                               ;   in Loop: Header=BB19_91 Depth=1
	v_cvt_f32_u32_e32 v5, s22
	s_sub_co_i32 s18, 0, s22
	v_mov_b32_e32 v31, v24
	s_delay_alu instid0(VALU_DEP_2) | instskip(SKIP_1) | instid1(TRANS32_DEP_1)
	v_rcp_iflag_f32_e32 v5, v5
	v_nop
	v_mul_f32_e32 v5, 0x4f7ffffe, v5
	s_delay_alu instid0(VALU_DEP_1) | instskip(NEXT) | instid1(VALU_DEP_1)
	v_cvt_u32_f32_e32 v5, v5
	v_mul_lo_u32 v12, s18, v5
	s_delay_alu instid0(VALU_DEP_1) | instskip(NEXT) | instid1(VALU_DEP_1)
	v_mul_hi_u32 v12, v5, v12
	v_add_nc_u32_e32 v5, v5, v12
	s_delay_alu instid0(VALU_DEP_1) | instskip(NEXT) | instid1(VALU_DEP_1)
	v_mul_hi_u32 v5, v28, v5
	v_mul_lo_u32 v12, v5, s22
	s_delay_alu instid0(VALU_DEP_1) | instskip(NEXT) | instid1(VALU_DEP_1)
	v_dual_add_nc_u32 v21, 1, v5 :: v_dual_sub_nc_u32 v12, v28, v12
	v_subrev_nc_u32_e32 v23, s22, v12
	v_cmp_le_u32_e32 vcc_lo, s22, v12
	s_delay_alu instid0(VALU_DEP_2) | instskip(NEXT) | instid1(VALU_DEP_1)
	v_dual_cndmask_b32 v12, v12, v23 :: v_dual_cndmask_b32 v5, v5, v21
	v_cmp_le_u32_e32 vcc_lo, s22, v12
	s_delay_alu instid0(VALU_DEP_2) | instskip(NEXT) | instid1(VALU_DEP_1)
	v_add_nc_u32_e32 v21, 1, v5
	v_cndmask_b32_e32 v30, v5, v21, vcc_lo
	s_branch .LBB19_90
.LBB19_95:
	s_or_b32 exec_lo, exec_lo, s34
	s_and_saveexec_b32 s0, s1
	s_cbranch_execnz .LBB19_70
.LBB19_96:
	s_or_b32 exec_lo, exec_lo, s0
	s_mov_b32 s0, 0
	s_and_saveexec_b32 s39, s31
	s_cbranch_execz .LBB19_71
.LBB19_97:
	v_mov_b64_e32 v[6:7], 0
	s_and_not1_b32 vcc_lo, exec_lo, s17
	s_cbranch_vccnz .LBB19_113
; %bb.98:
	s_wait_loadcnt 0x0
	v_dual_mov_b32 v6, v9 :: v_dual_ashrrev_i32 v7, 31, v9
	s_ashr_i32 s31, s30, 31
	v_mov_b32_e32 v8, 0
	s_lshl_b64 s[0:1], s[30:31], 3
	s_mov_b64 s[16:17], 0xffffffff
	v_mul_u64_e32 v[10:11], s[18:19], v[6:7]
	v_mov_b64_e32 v[6:7], 0
	s_add_nc_u64 s[0:1], s[20:21], s[0:1]
	s_delay_alu instid0(SALU_CYCLE_1)
	s_add_nc_u64 s[18:19], s[0:1], 32
	s_mov_b32 s1, 0
	s_branch .LBB19_100
.LBB19_99:                              ;   in Loop: Header=BB19_100 Depth=1
	s_or_b32 exec_lo, exec_lo, s0
	s_delay_alu instid0(VALU_DEP_1)
	v_mul_u64_e32 v[14:15], s[30:31], v[12:13]
	s_load_b64 s[30:31], s[18:19], 0x40
	s_add_co_i32 s26, s26, -1
	s_wait_xcnt 0x0
	s_add_nc_u64 s[18:19], s[18:19], -8
	s_cmp_lg_u32 s26, 0
	s_delay_alu instid0(VALU_DEP_1) | instskip(SKIP_1) | instid1(VALU_DEP_1)
	v_sub_nc_u64_e32 v[10:11], v[10:11], v[14:15]
	s_wait_kmcnt 0x0
	v_mad_nc_u64_u32 v[6:7], v10, s30, v[6:7]
	s_delay_alu instid0(VALU_DEP_1) | instskip(NEXT) | instid1(VALU_DEP_1)
	v_mad_u32 v1, v11, s30, v7
	v_mad_u32 v7, v10, s31, v1
	v_mov_b64_e32 v[10:11], v[12:13]
	s_cbranch_scc0 .LBB19_113
.LBB19_100:                             ; =>This Inner Loop Header: Depth=1
	s_load_b64 s[30:31], s[18:19], 0x0
                                        ; implicit-def: $vgpr12_vgpr13
	s_mov_b32 s0, exec_lo
	s_wait_kmcnt 0x0
	s_delay_alu instid0(VALU_DEP_1) | instskip(NEXT) | instid1(VALU_DEP_1)
	v_or_b32_e32 v9, s31, v11
	v_cmpx_ne_u64_e32 0, v[8:9]
	s_xor_b32 s40, exec_lo, s0
	s_cbranch_execz .LBB19_102
; %bb.101:                              ;   in Loop: Header=BB19_100 Depth=1
	s_ashr_i32 s34, s31, 31
	v_dual_mov_b32 v17, v8 :: v_dual_ashrrev_i32 v12, 31, v11
	s_mov_b32 s35, s34
	v_mov_b32_e32 v25, v8
	s_add_nc_u64 s[36:37], s[30:31], s[34:35]
	s_delay_alu instid0(VALU_DEP_2) | instskip(SKIP_1) | instid1(SALU_CYCLE_1)
	v_mov_b32_e32 v13, v12
	s_xor_b64 s[36:37], s[36:37], s[34:35]
	s_cvt_f32_u32 s0, s36
	s_cvt_f32_u32 s35, s37
	s_sub_nc_u64 s[46:47], 0, s[36:37]
	v_add_nc_u64_e32 v[14:15], v[10:11], v[12:13]
	v_mov_b32_e32 v21, v8
	s_fmamk_f32 s0, s35, 0x4f800000, s0
	s_delay_alu instid0(SALU_CYCLE_3) | instskip(NEXT) | instid1(VALU_DEP_2)
	v_s_rcp_f32 s0, s0
	v_xor_b32_e32 v16, v14, v12
	s_delay_alu instid0(VALU_DEP_3) | instskip(NEXT) | instid1(TRANS32_DEP_1)
	v_xor_b32_e32 v20, v15, v12
	s_mul_f32 s0, s0, 0x5f7ffffc
	s_delay_alu instid0(SALU_CYCLE_3) | instskip(NEXT) | instid1(SALU_CYCLE_3)
	s_mul_f32 s35, s0, 0x2f800000
	s_trunc_f32 s35, s35
	s_delay_alu instid0(SALU_CYCLE_3) | instskip(SKIP_1) | instid1(SALU_CYCLE_2)
	s_fmamk_f32 s0, s35, 0xcf800000, s0
	s_cvt_u32_f32 s43, s35
	s_cvt_u32_f32 s42, s0
	s_delay_alu instid0(SALU_CYCLE_3) | instskip(NEXT) | instid1(SALU_CYCLE_1)
	s_mul_u64 s[48:49], s[46:47], s[42:43]
	s_mul_hi_u32 s51, s42, s49
	s_mul_i32 s50, s42, s49
	s_mul_hi_u32 s0, s42, s48
	s_mul_i32 s41, s43, s48
	s_add_nc_u64 s[50:51], s[0:1], s[50:51]
	s_mul_hi_u32 s35, s43, s48
	s_mul_hi_u32 s45, s43, s49
	s_add_co_u32 s0, s50, s41
	s_add_co_ci_u32 s0, s51, s35
	s_mul_i32 s48, s43, s49
	s_add_co_ci_u32 s49, s45, 0
	s_delay_alu instid0(SALU_CYCLE_1) | instskip(NEXT) | instid1(SALU_CYCLE_1)
	s_add_nc_u64 s[48:49], s[0:1], s[48:49]
	s_add_co_u32 s42, s42, s48
	s_cselect_b32 s0, -1, 0
	s_delay_alu instid0(SALU_CYCLE_1) | instskip(SKIP_1) | instid1(SALU_CYCLE_1)
	s_cmp_lg_u32 s0, 0
	s_add_co_ci_u32 s43, s43, s49
	s_mul_u64 s[46:47], s[46:47], s[42:43]
	s_delay_alu instid0(SALU_CYCLE_1)
	s_mul_hi_u32 s49, s42, s47
	s_mul_i32 s48, s42, s47
	s_mul_hi_u32 s0, s42, s46
	s_mul_i32 s41, s43, s46
	s_add_nc_u64 s[48:49], s[0:1], s[48:49]
	s_mul_hi_u32 s35, s43, s46
	s_mul_hi_u32 s45, s43, s47
	s_add_co_u32 s0, s48, s41
	s_add_co_ci_u32 s0, s49, s35
	s_mul_i32 s46, s43, s47
	s_add_co_ci_u32 s47, s45, 0
	s_delay_alu instid0(SALU_CYCLE_1) | instskip(NEXT) | instid1(SALU_CYCLE_1)
	s_add_nc_u64 s[46:47], s[0:1], s[46:47]
	s_add_co_u32 s42, s42, s46
	s_cselect_b32 s0, -1, 0
	v_mul_hi_u32 v24, v16, s42
	s_cmp_lg_u32 s0, 0
	s_add_co_ci_u32 s0, s43, s47
	s_and_b64 s[46:47], s[42:43], s[16:17]
	v_mul_u64_e32 v[18:19], s[0:1], v[16:17]
	v_mul_u64_e32 v[14:15], s[46:47], v[20:21]
	;; [unrolled: 1-line block ×3, first 2 shown]
	s_delay_alu instid0(VALU_DEP_3) | instskip(NEXT) | instid1(VALU_DEP_1)
	v_add_nc_u64_e32 v[18:19], v[24:25], v[18:19]
	v_add_co_u32 v1, vcc_lo, v18, v14
	s_delay_alu instid0(VALU_DEP_2) | instskip(NEXT) | instid1(VALU_DEP_4)
	v_add_co_ci_u32_e32 v24, vcc_lo, v19, v15, vcc_lo
	v_add_co_ci_u32_e32 v23, vcc_lo, 0, v23, vcc_lo
	s_delay_alu instid0(VALU_DEP_1) | instskip(NEXT) | instid1(VALU_DEP_1)
	v_add_nc_u64_e32 v[14:15], v[24:25], v[22:23]
	v_mul_u64_e32 v[18:19], s[36:37], v[14:15]
	s_delay_alu instid0(VALU_DEP_1) | instskip(NEXT) | instid1(VALU_DEP_2)
	v_sub_nc_u32_e32 v1, v20, v19
	v_sub_co_u32 v2, vcc_lo, v16, v18
	s_delay_alu instid0(VALU_DEP_1) | instskip(NEXT) | instid1(VALU_DEP_3)
	v_sub_co_ci_u32_e64 v9, null, v20, v19, vcc_lo
	v_subrev_co_ci_u32_e64 v1, null, s37, v1, vcc_lo
	s_delay_alu instid0(VALU_DEP_3) | instskip(SKIP_1) | instid1(VALU_DEP_3)
	v_sub_co_u32 v4, s0, v2, s36
	v_add_nc_u64_e32 v[16:17], 2, v[14:15]
	v_subrev_co_ci_u32_e64 v1, null, 0, v1, s0
	s_delay_alu instid0(VALU_DEP_3) | instskip(SKIP_2) | instid1(VALU_DEP_4)
	v_cmp_le_u32_e32 vcc_lo, s36, v4
	v_add_nc_u64_e32 v[18:19], 1, v[14:15]
	v_cndmask_b32_e64 v4, 0, -1, vcc_lo
	v_cmp_le_u32_e32 vcc_lo, s37, v1
	v_cndmask_b32_e64 v13, 0, -1, vcc_lo
	v_cmp_le_u32_e32 vcc_lo, s36, v2
	;; [unrolled: 2-line block ×3, first 2 shown]
	v_cndmask_b32_e64 v20, 0, -1, vcc_lo
	v_cmp_eq_u32_e32 vcc_lo, s37, v1
	v_cndmask_b32_e32 v1, v13, v4, vcc_lo
	v_cmp_eq_u32_e32 vcc_lo, s37, v9
	s_delay_alu instid0(VALU_DEP_4) | instskip(NEXT) | instid1(VALU_DEP_3)
	v_cndmask_b32_e32 v2, v20, v2, vcc_lo
	v_cmp_ne_u32_e32 vcc_lo, 0, v1
	s_delay_alu instid0(VALU_DEP_2) | instskip(SKIP_1) | instid1(VALU_DEP_1)
	v_cmp_ne_u32_e64 s0, 0, v2
	v_dual_cndmask_b32 v1, v19, v17 :: v_dual_cndmask_b32 v2, v18, v16
	v_dual_cndmask_b32 v1, v15, v1, s0 :: v_dual_bitop2_b32 v12, s34, v12 bitop3:0x14
	s_delay_alu instid0(VALU_DEP_1) | instskip(NEXT) | instid1(VALU_DEP_2)
	v_dual_cndmask_b32 v2, v14, v2, s0 :: v_dual_mov_b32 v13, v12
	v_xor_b32_e32 v15, v1, v12
	s_delay_alu instid0(VALU_DEP_2) | instskip(NEXT) | instid1(VALU_DEP_1)
	v_xor_b32_e32 v14, v2, v12
	v_sub_nc_u64_e32 v[12:13], v[14:15], v[12:13]
.LBB19_102:                             ;   in Loop: Header=BB19_100 Depth=1
	s_and_not1_saveexec_b32 s0, s40
	s_cbranch_execz .LBB19_99
; %bb.103:                              ;   in Loop: Header=BB19_100 Depth=1
	v_cvt_f32_u32_e32 v1, s30
	s_sub_co_i32 s34, 0, s30
	v_mov_b32_e32 v13, v8
	s_delay_alu instid0(VALU_DEP_2) | instskip(SKIP_1) | instid1(TRANS32_DEP_1)
	v_rcp_iflag_f32_e32 v1, v1
	v_nop
	v_mul_f32_e32 v1, 0x4f7ffffe, v1
	s_delay_alu instid0(VALU_DEP_1) | instskip(NEXT) | instid1(VALU_DEP_1)
	v_cvt_u32_f32_e32 v1, v1
	v_mul_lo_u32 v2, s34, v1
	s_delay_alu instid0(VALU_DEP_1) | instskip(NEXT) | instid1(VALU_DEP_1)
	v_mul_hi_u32 v2, v1, v2
	v_add_nc_u32_e32 v1, v1, v2
	s_delay_alu instid0(VALU_DEP_1) | instskip(NEXT) | instid1(VALU_DEP_1)
	v_mul_hi_u32 v1, v10, v1
	v_mul_lo_u32 v2, v1, s30
	s_delay_alu instid0(VALU_DEP_1) | instskip(NEXT) | instid1(VALU_DEP_1)
	v_dual_add_nc_u32 v4, 1, v1 :: v_dual_sub_nc_u32 v2, v10, v2
	v_subrev_nc_u32_e32 v9, s30, v2
	v_cmp_le_u32_e32 vcc_lo, s30, v2
	s_delay_alu instid0(VALU_DEP_2) | instskip(NEXT) | instid1(VALU_DEP_1)
	v_dual_cndmask_b32 v2, v2, v9 :: v_dual_cndmask_b32 v1, v1, v4
	v_cmp_le_u32_e32 vcc_lo, s30, v2
	s_delay_alu instid0(VALU_DEP_2) | instskip(NEXT) | instid1(VALU_DEP_1)
	v_add_nc_u32_e32 v4, 1, v1
	v_cndmask_b32_e32 v12, v1, v4, vcc_lo
	s_branch .LBB19_99
.LBB19_104:
                                        ; implicit-def: $sgpr0
                                        ; implicit-def: $sgpr31
                                        ; implicit-def: $sgpr40
                                        ; implicit-def: $sgpr22
                                        ; implicit-def: $vgpr0
	s_and_saveexec_b32 s1, s3
.LBB19_105:
	; divergent unreachable
.LBB19_106:
	s_delay_alu instid0(SALU_CYCLE_1)
	s_or_b32 exec_lo, exec_lo, s1
	s_and_saveexec_b32 s1, s44
	s_cbranch_execz .LBB19_112
; %bb.107:
	s_and_b32 exec_lo, exec_lo, s0
	s_cbranch_execz .LBB19_112
; %bb.108:
	s_wait_loadcnt 0x2
	v_dual_mov_b32 v1, 0 :: v_dual_bitop2_b32 v2, s2, v0 bitop3:0x54
	global_store_b32 v2, v1, s[4:5] scale_offset
	s_wait_xcnt 0x0
	s_and_b32 exec_lo, exec_lo, s31
	s_cbranch_execz .LBB19_112
; %bb.109:
	v_add_nc_u32_e32 v0, s2, v0
	global_store_b32 v0, v1, s[4:5] offset:1024 scale_offset
	s_wait_xcnt 0x0
	s_and_b32 exec_lo, exec_lo, s40
	s_cbranch_execz .LBB19_112
; %bb.110:
	v_lshl_add_u64 v[0:1], v[0:1], 2, s[4:5]
	v_mov_b32_e32 v2, 0
	global_store_b32 v[0:1], v2, off offset:2048
	s_wait_xcnt 0x0
	s_and_b32 exec_lo, exec_lo, s22
	s_cbranch_execz .LBB19_112
; %bb.111:
	global_store_b32 v[0:1], v2, off offset:3072
.LBB19_112:
	s_endpgm
.LBB19_113:
	s_mov_b32 s1, s38
	s_mov_b32 s0, exec_lo
	s_wait_loadcnt 0x2
	v_cmpx_gt_i32_e64 v3, v5
	s_cbranch_execz .LBB19_124
; %bb.114:
	s_delay_alu instid0(VALU_DEP_2)
	v_lshlrev_b64_e32 v[6:7], 2, v[6:7]
	s_wait_loadcnt 0x0
	v_dual_mov_b32 v8, v5 :: v_dual_ashrrev_i32 v9, 31, v5
	s_mov_b32 s1, 0
	s_wait_kmcnt 0x0
	s_xor_b32 s17, s27, -1
                                        ; implicit-def: $sgpr16
                                        ; implicit-def: $sgpr19
                                        ; implicit-def: $sgpr18
	s_delay_alu instid0(VALU_DEP_1) | instskip(SKIP_2) | instid1(VALU_DEP_3)
	v_lshl_add_u64 v[4:5], v[8:9], 2, v[6:7]
	v_add_nc_u64_e32 v[6:7], s[28:29], v[6:7]
	v_dual_mov_b32 v8, v3 :: v_dual_ashrrev_i32 v9, 31, v3
	v_add_nc_u64_e32 v[4:5], s[28:29], v[4:5]
	s_delay_alu instid0(VALU_DEP_1) | instskip(NEXT) | instid1(VALU_DEP_3)
	v_add_nc_u64_e32 v[2:3], 4, v[4:5]
	v_lshl_add_u64 v[4:5], v[8:9], 2, v[6:7]
	s_branch .LBB19_116
.LBB19_115:                             ;   in Loop: Header=BB19_116 Depth=1
	s_or_b32 exec_lo, exec_lo, s26
	s_xor_b32 s26, s18, -1
	s_and_b32 s27, exec_lo, s19
	s_delay_alu instid0(SALU_CYCLE_1) | instskip(SKIP_2) | instid1(SALU_CYCLE_1)
	s_or_b32 s1, s27, s1
	s_and_not1_b32 s16, s16, exec_lo
	s_and_b32 s26, s26, exec_lo
	s_or_b32 s16, s16, s26
	s_and_not1_b32 exec_lo, exec_lo, s1
	s_cbranch_execz .LBB19_123
.LBB19_116:                             ; =>This Inner Loop Header: Depth=1
	s_or_b32 s18, s18, exec_lo
	s_or_b32 s19, s19, exec_lo
	s_mov_b32 s26, exec_lo
	s_delay_alu instid0(VALU_DEP_2)
	v_cmpx_lt_u64_e64 v[2:3], v[4:5]
	s_cbranch_execz .LBB19_115
; %bb.117:                              ;   in Loop: Header=BB19_116 Depth=1
	global_load_b64 v[6:7], v[2:3], off offset:-4
	s_wait_xcnt 0x0
	v_add_nc_u64_e32 v[2:3], 4, v[2:3]
	s_and_not1_b32 s19, s19, exec_lo
	s_and_not1_b32 s18, s18, exec_lo
	s_wait_loadcnt 0x0
	v_cmp_ge_i32_e32 vcc_lo, v6, v7
	s_or_b32 s27, s17, vcc_lo
	s_delay_alu instid0(SALU_CYCLE_1) | instskip(NEXT) | instid1(SALU_CYCLE_1)
	s_and_b32 s27, s27, exec_lo
	s_or_b32 s19, s19, s27
	s_branch .LBB19_115
.LBB19_118:
	s_mov_b32 s15, -1
	s_mov_b32 s13, 0
	s_mov_b32 s1, exec_lo
	v_cmpx_gt_i32_e64 v20, v22
	s_cbranch_execz .LBB19_127
; %bb.119:
	s_wait_loadcnt 0x0
	s_delay_alu instid0(VALU_DEP_2) | instskip(SKIP_2) | instid1(VALU_DEP_1)
	v_lshlrev_b64_e32 v[24:25], 2, v[26:27]
	v_dual_ashrrev_i32 v23, 31, v22 :: v_dual_ashrrev_i32 v21, 31, v20
	s_xor_b32 s15, s29, -1
                                        ; implicit-def: $sgpr14
                                        ; implicit-def: $sgpr17
                                        ; implicit-def: $sgpr16
	v_lshl_add_u64 v[22:23], v[22:23], 2, v[24:25]
	v_add_nc_u64_e32 v[24:25], s[6:7], v[24:25]
	s_delay_alu instid0(VALU_DEP_2) | instskip(NEXT) | instid1(VALU_DEP_2)
	v_add_nc_u64_e32 v[22:23], s[6:7], v[22:23]
	v_lshl_add_u64 v[20:21], v[20:21], 2, v[24:25]
	s_delay_alu instid0(VALU_DEP_2)
	v_add_nc_u64_e32 v[22:23], 4, v[22:23]
	s_branch .LBB19_121
.LBB19_120:                             ;   in Loop: Header=BB19_121 Depth=1
	s_or_b32 exec_lo, exec_lo, s18
	s_delay_alu instid0(SALU_CYCLE_1) | instskip(NEXT) | instid1(SALU_CYCLE_1)
	s_and_b32 s18, exec_lo, s17
	s_or_b32 s13, s18, s13
	s_and_not1_b32 s14, s14, exec_lo
	s_and_b32 s18, s16, exec_lo
	s_delay_alu instid0(SALU_CYCLE_1)
	s_or_b32 s14, s14, s18
	s_and_not1_b32 exec_lo, exec_lo, s13
	s_cbranch_execz .LBB19_126
.LBB19_121:                             ; =>This Inner Loop Header: Depth=1
	s_or_b32 s16, s16, exec_lo
	s_or_b32 s17, s17, exec_lo
	s_mov_b32 s18, exec_lo
	s_delay_alu instid0(VALU_DEP_1)
	v_cmpx_lt_u64_e64 v[22:23], v[20:21]
	s_cbranch_execz .LBB19_120
; %bb.122:                              ;   in Loop: Header=BB19_121 Depth=1
	global_load_b64 v[24:25], v[22:23], off offset:-4
	s_wait_xcnt 0x0
	v_add_nc_u64_e32 v[22:23], 4, v[22:23]
	s_and_not1_b32 s17, s17, exec_lo
	s_and_not1_b32 s16, s16, exec_lo
	s_wait_loadcnt 0x0
	v_cmp_ge_i32_e32 vcc_lo, v24, v25
	s_or_b32 s19, s15, vcc_lo
	s_delay_alu instid0(SALU_CYCLE_1) | instskip(NEXT) | instid1(SALU_CYCLE_1)
	s_and_b32 s19, s19, exec_lo
	s_or_b32 s17, s17, s19
	s_branch .LBB19_120
.LBB19_123:
	s_or_b32 exec_lo, exec_lo, s1
	s_delay_alu instid0(SALU_CYCLE_1) | instskip(SKIP_1) | instid1(SALU_CYCLE_1)
	s_and_not1_b32 s1, s38, exec_lo
	s_and_b32 s16, s16, exec_lo
	s_or_b32 s1, s1, s16
.LBB19_124:
	s_or_b32 exec_lo, exec_lo, s0
	s_delay_alu instid0(SALU_CYCLE_1)
	s_and_not1_b32 s16, s38, exec_lo
	s_and_b32 s1, s1, exec_lo
	s_mov_b32 s0, exec_lo
	s_or_b32 s38, s16, s1
	s_or_b32 exec_lo, exec_lo, s39
	s_and_saveexec_b32 s1, s38
	s_cbranch_execz .LBB19_72
.LBB19_125:
	s_or_b32 s3, s3, exec_lo
	s_and_not1_b32 s0, s0, exec_lo
	s_trap 2
	s_or_b32 exec_lo, exec_lo, s1
	s_and_saveexec_b32 s1, s0
	s_delay_alu instid0(SALU_CYCLE_1)
	s_xor_b32 s0, exec_lo, s1
	s_cbranch_execnz .LBB19_73
	s_branch .LBB19_74
.LBB19_126:
	s_or_b32 exec_lo, exec_lo, s13
	s_delay_alu instid0(SALU_CYCLE_1)
	s_mov_b32 s13, exec_lo
	s_or_not1_b32 s15, s14, exec_lo
.LBB19_127:
	s_or_b32 exec_lo, exec_lo, s1
	s_delay_alu instid0(SALU_CYCLE_1)
	s_and_b32 s14, s13, exec_lo
	s_xor_b32 s13, exec_lo, -1
	s_and_b32 s1, s15, exec_lo
.LBB19_128:
	s_or_b32 exec_lo, exec_lo, s39
	s_delay_alu instid0(SALU_CYCLE_1)
	s_and_b32 s15, s14, exec_lo
	s_and_b32 s14, s13, exec_lo
	s_xor_b32 s13, exec_lo, -1
	s_and_b32 s1, s1, exec_lo
.LBB19_129:
	s_or_b32 exec_lo, exec_lo, s38
	s_delay_alu instid0(SALU_CYCLE_1)
	s_and_b32 s16, s15, exec_lo
	s_and_b32 s15, s14, exec_lo
	;; [unrolled: 1-line block ×3, first 2 shown]
	s_xor_b32 s13, exec_lo, -1
	s_and_b32 s1, s1, exec_lo
.LBB19_130:
	s_or_b32 exec_lo, exec_lo, s35
	s_delay_alu instid0(SALU_CYCLE_1)
	s_and_b32 s35, s16, exec_lo
	s_and_b32 s38, s15, exec_lo
	;; [unrolled: 1-line block ×4, first 2 shown]
	s_or_not1_b32 s1, s1, exec_lo
.LBB19_131:
	s_or_b32 exec_lo, exec_lo, s31
	s_mov_b32 s44, 0
                                        ; implicit-def: $sgpr31
                                        ; implicit-def: $sgpr40
                                        ; implicit-def: $sgpr22
	s_and_saveexec_b32 s42, s1
	s_cbranch_execz .LBB19_143
; %bb.132:
	v_cmp_gt_i32_e64 s31, s33, v17
	s_mov_b32 s1, -1
	s_mov_b32 s48, 0
	s_mov_b32 s43, s41
	;; [unrolled: 1-line block ×4, first 2 shown]
	s_and_saveexec_b32 s40, s31
	s_cbranch_execz .LBB19_179
; %bb.133:
	s_wait_loadcnt 0x4
	v_cmp_eq_u32_e32 vcc_lo, s36, v15
	s_mov_b32 s13, -1
	s_mov_b32 s1, 0
	s_mov_b32 s15, s39
	s_mov_b32 s16, s38
	s_and_b32 s17, s37, vcc_lo
	s_mov_b32 s14, 0
	s_and_saveexec_b32 s43, s17
	s_cbranch_execz .LBB19_178
; %bb.134:
	s_wait_loadcnt 0x3
	v_cmp_eq_u32_e32 vcc_lo, s10, v19
	s_mov_b32 s15, s38
	s_and_b32 s16, s34, vcc_lo
	s_delay_alu instid0(SALU_CYCLE_1)
	s_and_saveexec_b32 s44, s16
	s_cbranch_execz .LBB19_177
; %bb.135:
	s_wait_loadcnt 0x1
	v_sub_nc_u32_e32 v5, v14, v16
	s_delay_alu instid0(VALU_DEP_1)
	v_cmp_le_i32_e32 vcc_lo, v15, v5
	v_cmp_ge_i32_e64 s1, s8, v5
	s_and_b32 s14, vcc_lo, s1
	s_mov_b32 s1, 0
	s_and_b32 s15, s30, s14
	s_mov_b32 s14, 0
	s_and_saveexec_b32 s45, s15
	s_cbranch_execz .LBB19_176
; %bb.136:
	v_mov_b64_e32 v[20:21], 0
	s_and_not1_b32 vcc_lo, exec_lo, s9
	s_cbranch_vccnz .LBB19_169
; %bb.137:
	s_wait_loadcnt 0x0
	v_ashrrev_i32_e32 v19, 31, v18
	s_ashr_i32 s13, s12, 31
	v_mov_b64_e32 v[20:21], 0
	s_lshl_b64 s[16:17], s[12:13], 3
	s_mov_b64 s[14:15], 0xffffffff
	v_mul_u64_e32 v[22:23], s[10:11], v[18:19]
	v_mov_b32_e32 v18, 0
	s_add_nc_u64 s[16:17], s[20:21], s[16:17]
	s_mov_b32 s19, 0
	s_add_nc_u64 s[16:17], s[16:17], 32
	s_mov_b32 s13, s28
	s_branch .LBB19_139
.LBB19_138:                             ;   in Loop: Header=BB19_139 Depth=1
	s_or_b32 exec_lo, exec_lo, s1
	s_delay_alu instid0(VALU_DEP_1)
	v_mul_u64_e32 v[26:27], s[22:23], v[24:25]
	s_load_b64 s[22:23], s[16:17], 0x40
	s_add_co_i32 s13, s13, -1
	s_wait_xcnt 0x0
	s_add_nc_u64 s[16:17], s[16:17], -8
	s_cmp_lg_u32 s13, 0
	s_delay_alu instid0(VALU_DEP_1) | instskip(SKIP_1) | instid1(VALU_DEP_1)
	v_sub_nc_u64_e32 v[22:23], v[22:23], v[26:27]
	s_wait_kmcnt 0x0
	v_mad_nc_u64_u32 v[20:21], v22, s22, v[20:21]
	s_delay_alu instid0(VALU_DEP_1) | instskip(NEXT) | instid1(VALU_DEP_1)
	v_mad_u32 v5, v23, s22, v21
	v_mad_u32 v21, v22, s23, v5
	v_mov_b64_e32 v[22:23], v[24:25]
	s_cbranch_scc0 .LBB19_169
.LBB19_139:                             ; =>This Inner Loop Header: Depth=1
	s_load_b64 s[22:23], s[16:17], 0x0
                                        ; implicit-def: $vgpr24_vgpr25
	s_mov_b32 s1, exec_lo
	s_wait_kmcnt 0x0
	s_delay_alu instid0(VALU_DEP_1) | instskip(NEXT) | instid1(VALU_DEP_1)
	v_or_b32_e32 v19, s23, v23
	v_cmpx_ne_u64_e32 0, v[18:19]
	s_xor_b32 s46, exec_lo, s1
	s_cbranch_execz .LBB19_141
; %bb.140:                              ;   in Loop: Header=BB19_139 Depth=1
	s_ashr_i32 s24, s23, 31
	v_dual_mov_b32 v29, v18 :: v_dual_ashrrev_i32 v24, 31, v23
	s_mov_b32 s25, s24
	s_delay_alu instid0(SALU_CYCLE_1) | instskip(NEXT) | instid1(VALU_DEP_1)
	s_add_nc_u64 s[26:27], s[22:23], s[24:25]
	v_mov_b32_e32 v25, v24
	s_xor_b64 s[26:27], s[26:27], s[24:25]
	s_delay_alu instid0(SALU_CYCLE_1)
	s_cvt_f32_u32 s1, s26
	s_cvt_f32_u32 s18, s27
	s_sub_nc_u64 s[52:53], 0, s[26:27]
	v_add_nc_u64_e32 v[26:27], v[22:23], v[24:25]
	v_mov_b32_e32 v33, v18
	s_fmamk_f32 s1, s18, 0x4f800000, s1
	s_delay_alu instid0(SALU_CYCLE_3) | instskip(NEXT) | instid1(VALU_DEP_2)
	v_s_rcp_f32 s1, s1
	v_xor_b32_e32 v28, v26, v24
	s_delay_alu instid0(VALU_DEP_3) | instskip(NEXT) | instid1(TRANS32_DEP_1)
	v_dual_mov_b32 v37, v18 :: v_dual_bitop2_b32 v32, v27, v24 bitop3:0x14
	s_mul_f32 s1, s1, 0x5f7ffffc
	s_delay_alu instid0(SALU_CYCLE_3) | instskip(NEXT) | instid1(SALU_CYCLE_3)
	s_mul_f32 s18, s1, 0x2f800000
	s_trunc_f32 s18, s18
	s_delay_alu instid0(SALU_CYCLE_3) | instskip(SKIP_1) | instid1(SALU_CYCLE_2)
	s_fmamk_f32 s1, s18, 0xcf800000, s1
	s_cvt_u32_f32 s51, s18
	s_cvt_u32_f32 s50, s1
	s_delay_alu instid0(SALU_CYCLE_3) | instskip(NEXT) | instid1(SALU_CYCLE_1)
	s_mul_u64 s[54:55], s[52:53], s[50:51]
	s_mul_hi_u32 s57, s50, s55
	s_mul_i32 s56, s50, s55
	s_mul_hi_u32 s18, s50, s54
	s_mul_i32 s25, s51, s54
	s_add_nc_u64 s[56:57], s[18:19], s[56:57]
	s_mul_hi_u32 s1, s51, s54
	s_mul_hi_u32 s47, s51, s55
	s_add_co_u32 s18, s56, s25
	s_add_co_ci_u32 s18, s57, s1
	s_mul_i32 s54, s51, s55
	s_add_co_ci_u32 s55, s47, 0
	s_delay_alu instid0(SALU_CYCLE_1) | instskip(NEXT) | instid1(SALU_CYCLE_1)
	s_add_nc_u64 s[54:55], s[18:19], s[54:55]
	s_add_co_u32 s50, s50, s54
	s_cselect_b32 s1, -1, 0
	s_delay_alu instid0(SALU_CYCLE_1) | instskip(SKIP_1) | instid1(SALU_CYCLE_1)
	s_cmp_lg_u32 s1, 0
	s_add_co_ci_u32 s51, s51, s55
	s_mul_u64 s[52:53], s[52:53], s[50:51]
	s_delay_alu instid0(SALU_CYCLE_1)
	s_mul_hi_u32 s55, s50, s53
	s_mul_i32 s54, s50, s53
	s_mul_hi_u32 s18, s50, s52
	s_mul_i32 s25, s51, s52
	s_add_nc_u64 s[54:55], s[18:19], s[54:55]
	s_mul_hi_u32 s1, s51, s52
	s_mul_hi_u32 s47, s51, s53
	s_add_co_u32 s18, s54, s25
	s_add_co_ci_u32 s18, s55, s1
	s_mul_i32 s52, s51, s53
	s_add_co_ci_u32 s53, s47, 0
	s_delay_alu instid0(SALU_CYCLE_1) | instskip(NEXT) | instid1(SALU_CYCLE_1)
	s_add_nc_u64 s[52:53], s[18:19], s[52:53]
	s_add_co_u32 s50, s50, s52
	s_cselect_b32 s1, -1, 0
	v_mul_hi_u32 v36, v28, s50
	s_cmp_lg_u32 s1, 0
	s_add_co_ci_u32 s18, s51, s53
	s_and_b64 s[52:53], s[50:51], s[14:15]
	v_mul_u64_e32 v[30:31], s[18:19], v[28:29]
	v_mul_u64_e32 v[26:27], s[52:53], v[32:33]
	v_mul_u64_e32 v[34:35], s[18:19], v[32:33]
	s_delay_alu instid0(VALU_DEP_3) | instskip(NEXT) | instid1(VALU_DEP_1)
	v_add_nc_u64_e32 v[30:31], v[36:37], v[30:31]
	v_add_co_u32 v5, vcc_lo, v30, v26
	s_delay_alu instid0(VALU_DEP_2) | instskip(NEXT) | instid1(VALU_DEP_4)
	v_add_co_ci_u32_e32 v36, vcc_lo, v31, v27, vcc_lo
	v_add_co_ci_u32_e32 v35, vcc_lo, 0, v35, vcc_lo
	s_delay_alu instid0(VALU_DEP_1) | instskip(NEXT) | instid1(VALU_DEP_1)
	v_add_nc_u64_e32 v[26:27], v[36:37], v[34:35]
	v_mul_u64_e32 v[30:31], s[26:27], v[26:27]
	s_delay_alu instid0(VALU_DEP_1) | instskip(NEXT) | instid1(VALU_DEP_2)
	v_sub_nc_u32_e32 v5, v32, v31
	v_sub_co_u32 v12, vcc_lo, v28, v30
	s_delay_alu instid0(VALU_DEP_1) | instskip(NEXT) | instid1(VALU_DEP_3)
	v_sub_co_ci_u32_e64 v17, null, v32, v31, vcc_lo
	v_subrev_co_ci_u32_e64 v5, null, s27, v5, vcc_lo
	s_delay_alu instid0(VALU_DEP_3) | instskip(SKIP_1) | instid1(VALU_DEP_3)
	v_sub_co_u32 v15, s1, v12, s26
	v_add_nc_u64_e32 v[28:29], 2, v[26:27]
	v_subrev_co_ci_u32_e64 v5, null, 0, v5, s1
	s_delay_alu instid0(VALU_DEP_3) | instskip(SKIP_2) | instid1(VALU_DEP_4)
	v_cmp_le_u32_e32 vcc_lo, s26, v15
	v_add_nc_u64_e32 v[30:31], 1, v[26:27]
	v_cndmask_b32_e64 v15, 0, -1, vcc_lo
	v_cmp_le_u32_e32 vcc_lo, s27, v5
	v_cndmask_b32_e64 v19, 0, -1, vcc_lo
	v_cmp_le_u32_e32 vcc_lo, s26, v12
	v_cndmask_b32_e64 v12, 0, -1, vcc_lo
	v_cmp_le_u32_e32 vcc_lo, s27, v17
	v_cndmask_b32_e64 v25, 0, -1, vcc_lo
	v_cmp_eq_u32_e32 vcc_lo, s27, v5
	v_cndmask_b32_e32 v5, v19, v15, vcc_lo
	v_cmp_eq_u32_e32 vcc_lo, s27, v17
	s_delay_alu instid0(VALU_DEP_4) | instskip(NEXT) | instid1(VALU_DEP_3)
	v_cndmask_b32_e32 v12, v25, v12, vcc_lo
	v_cmp_ne_u32_e32 vcc_lo, 0, v5
	s_delay_alu instid0(VALU_DEP_2) | instskip(SKIP_1) | instid1(VALU_DEP_1)
	v_cmp_ne_u32_e64 s1, 0, v12
	v_dual_cndmask_b32 v5, v31, v29 :: v_dual_cndmask_b32 v12, v30, v28
	v_dual_cndmask_b32 v5, v27, v5, s1 :: v_dual_bitop2_b32 v24, s24, v24 bitop3:0x14
	s_delay_alu instid0(VALU_DEP_1) | instskip(NEXT) | instid1(VALU_DEP_2)
	v_dual_cndmask_b32 v12, v26, v12, s1 :: v_dual_mov_b32 v25, v24
	v_xor_b32_e32 v27, v5, v24
	s_delay_alu instid0(VALU_DEP_2) | instskip(NEXT) | instid1(VALU_DEP_1)
	v_xor_b32_e32 v26, v12, v24
	v_sub_nc_u64_e32 v[24:25], v[26:27], v[24:25]
.LBB19_141:                             ;   in Loop: Header=BB19_139 Depth=1
	s_and_not1_saveexec_b32 s1, s46
	s_cbranch_execz .LBB19_138
; %bb.142:                              ;   in Loop: Header=BB19_139 Depth=1
	v_cvt_f32_u32_e32 v5, s22
	s_sub_co_i32 s18, 0, s22
	v_mov_b32_e32 v25, v18
	s_delay_alu instid0(VALU_DEP_2) | instskip(SKIP_1) | instid1(TRANS32_DEP_1)
	v_rcp_iflag_f32_e32 v5, v5
	v_nop
	v_mul_f32_e32 v5, 0x4f7ffffe, v5
	s_delay_alu instid0(VALU_DEP_1) | instskip(NEXT) | instid1(VALU_DEP_1)
	v_cvt_u32_f32_e32 v5, v5
	v_mul_lo_u32 v12, s18, v5
	s_delay_alu instid0(VALU_DEP_1) | instskip(NEXT) | instid1(VALU_DEP_1)
	v_mul_hi_u32 v12, v5, v12
	v_add_nc_u32_e32 v5, v5, v12
	s_delay_alu instid0(VALU_DEP_1) | instskip(NEXT) | instid1(VALU_DEP_1)
	v_mul_hi_u32 v5, v22, v5
	v_mul_lo_u32 v12, v5, s22
	s_delay_alu instid0(VALU_DEP_1) | instskip(NEXT) | instid1(VALU_DEP_1)
	v_dual_add_nc_u32 v15, 1, v5 :: v_dual_sub_nc_u32 v12, v22, v12
	v_subrev_nc_u32_e32 v17, s22, v12
	v_cmp_le_u32_e32 vcc_lo, s22, v12
	s_delay_alu instid0(VALU_DEP_2) | instskip(NEXT) | instid1(VALU_DEP_1)
	v_dual_cndmask_b32 v12, v12, v17 :: v_dual_cndmask_b32 v5, v5, v15
	v_cmp_le_u32_e32 vcc_lo, s22, v12
	s_delay_alu instid0(VALU_DEP_2) | instskip(NEXT) | instid1(VALU_DEP_1)
	v_add_nc_u32_e32 v15, 1, v5
	v_cndmask_b32_e32 v24, v5, v15, vcc_lo
	s_branch .LBB19_138
.LBB19_143:
	s_or_b32 exec_lo, exec_lo, s42
	s_and_saveexec_b32 s1, s41
	s_cbranch_execnz .LBB19_207
.LBB19_144:
	s_or_b32 exec_lo, exec_lo, s1
	s_mov_b32 s1, 0
	s_and_saveexec_b32 s13, s43
	s_delay_alu instid0(SALU_CYCLE_1)
	s_xor_b32 s13, exec_lo, s13
; %bb.145:
	v_cmp_ne_u32_e32 vcc_lo, s10, v3
	s_xor_b32 s14, s34, -1
	s_and_not1_b32 s15, s39, exec_lo
	s_mov_b32 s1, exec_lo
	s_or_b32 s14, s14, vcc_lo
	s_delay_alu instid0(SALU_CYCLE_1) | instskip(NEXT) | instid1(SALU_CYCLE_1)
	s_and_b32 s14, s14, exec_lo
	s_or_b32 s39, s15, s14
; %bb.146:
	s_or_b32 exec_lo, exec_lo, s13
	s_and_saveexec_b32 s13, s39
	s_cbranch_execnz .LBB19_210
.LBB19_147:
	s_or_b32 exec_lo, exec_lo, s13
	s_mov_b32 s13, 0
	s_and_saveexec_b32 s14, s1
	s_delay_alu instid0(SALU_CYCLE_1)
	s_xor_b32 s14, exec_lo, s14
	s_cbranch_execz .LBB19_152
; %bb.148:
	v_sub_nc_u32_e32 v3, v4, v2
	s_mov_b32 s13, exec_lo
	s_delay_alu instid0(VALU_DEP_1) | instskip(SKIP_3) | instid1(SALU_CYCLE_1)
	v_cmp_le_i32_e32 vcc_lo, v1, v3
	v_cmp_ge_i32_e64 s1, s8, v3
	s_and_not1_b32 s8, s38, exec_lo
	s_and_b32 s1, vcc_lo, s1
	s_and_b32 s1, s30, s1
	s_delay_alu instid0(SALU_CYCLE_1) | instskip(NEXT) | instid1(SALU_CYCLE_1)
	s_xor_b32 s1, s1, -1
	s_and_b32 s1, s1, exec_lo
	s_delay_alu instid0(SALU_CYCLE_1)
	s_or_b32 s38, s8, s1
	s_or_b32 exec_lo, exec_lo, s14
	s_and_saveexec_b32 s1, s38
	s_cbranch_execz .LBB19_153
.LBB19_149:
	s_or_b32 s3, s3, exec_lo
	s_and_not1_b32 s13, s13, exec_lo
	s_trap 2
	s_or_b32 exec_lo, exec_lo, s1
	s_and_saveexec_b32 s23, s13
	s_cbranch_execnz .LBB19_154
.LBB19_150:
	s_or_b32 exec_lo, exec_lo, s23
	s_and_saveexec_b32 s1, s35
	s_cbranch_execnz .LBB19_168
.LBB19_151:
	s_or_b32 exec_lo, exec_lo, s1
	s_and_saveexec_b32 s1, s3
	s_cbranch_execnz .LBB19_105
	s_branch .LBB19_106
.LBB19_152:
	s_or_b32 exec_lo, exec_lo, s14
	s_and_saveexec_b32 s1, s38
	s_cbranch_execnz .LBB19_149
.LBB19_153:
	s_or_b32 exec_lo, exec_lo, s1
	s_and_saveexec_b32 s23, s13
	s_cbranch_execz .LBB19_150
.LBB19_154:
	v_mov_b64_e32 v[8:9], 0
	s_and_not1_b32 vcc_lo, exec_lo, s9
	s_cbranch_vccnz .LBB19_161
; %bb.155:
	v_mul_u64_e32 v[10:11], s[10:11], v[6:7]
	s_ashr_i32 s13, s12, 31
	v_mov_b64_e32 v[8:9], 0
	s_lshl_b64 s[10:11], s[12:13], 3
	v_mov_b32_e32 v6, 0
	s_add_nc_u64 s[10:11], s[20:21], s[10:11]
	s_mov_b64 s[8:9], 0xffffffff
	s_add_nc_u64 s[10:11], s[10:11], 32
	s_mov_b32 s13, 0
	s_branch .LBB19_157
.LBB19_156:                             ;   in Loop: Header=BB19_157 Depth=1
	s_or_b32 exec_lo, exec_lo, s1
	s_wait_loadcnt 0x1
	s_delay_alu instid0(VALU_DEP_1)
	v_mul_u64_e32 v[14:15], s[14:15], v[12:13]
	s_load_b64 s[14:15], s[10:11], 0x40
	s_add_co_i32 s28, s28, -1
	s_wait_xcnt 0x0
	s_add_nc_u64 s[10:11], s[10:11], -8
	s_cmp_lg_u32 s28, 0
	s_delay_alu instid0(VALU_DEP_1) | instskip(SKIP_1) | instid1(VALU_DEP_1)
	v_sub_nc_u64_e32 v[10:11], v[10:11], v[14:15]
	s_wait_kmcnt 0x0
	v_mad_nc_u64_u32 v[8:9], v10, s14, v[8:9]
	s_delay_alu instid0(VALU_DEP_1) | instskip(NEXT) | instid1(VALU_DEP_1)
	v_mad_u32 v1, v11, s14, v9
	v_mad_u32 v9, v10, s15, v1
	v_mov_b64_e32 v[10:11], v[12:13]
	s_cbranch_scc0 .LBB19_161
.LBB19_157:                             ; =>This Inner Loop Header: Depth=1
	s_load_b64 s[14:15], s[10:11], 0x0
                                        ; implicit-def: $vgpr12_vgpr13
	s_mov_b32 s1, exec_lo
	s_wait_kmcnt 0x0
	s_delay_alu instid0(VALU_DEP_1) | instskip(NEXT) | instid1(VALU_DEP_1)
	v_or_b32_e32 v7, s15, v11
	v_cmpx_ne_u64_e32 0, v[6:7]
	s_xor_b32 s20, exec_lo, s1
	s_cbranch_execz .LBB19_159
; %bb.158:                              ;   in Loop: Header=BB19_157 Depth=1
	s_ashr_i32 s16, s15, 31
	v_dual_mov_b32 v17, v6 :: v_dual_ashrrev_i32 v12, 31, v11
	s_mov_b32 s17, s16
	s_delay_alu instid0(SALU_CYCLE_1) | instskip(NEXT) | instid1(VALU_DEP_1)
	s_add_nc_u64 s[18:19], s[14:15], s[16:17]
	v_mov_b32_e32 v13, v12
	s_xor_b64 s[18:19], s[18:19], s[16:17]
	s_delay_alu instid0(SALU_CYCLE_1)
	s_cvt_f32_u32 s1, s18
	s_cvt_f32_u32 s12, s19
	s_sub_nc_u64 s[26:27], 0, s[18:19]
	s_wait_loadcnt 0x1
	v_add_nc_u64_e32 v[14:15], v[10:11], v[12:13]
	v_mov_b32_e32 v21, v6
	s_fmamk_f32 s1, s12, 0x4f800000, s1
	s_delay_alu instid0(SALU_CYCLE_3) | instskip(NEXT) | instid1(VALU_DEP_2)
	v_s_rcp_f32 s1, s1
	v_xor_b32_e32 v16, v14, v12
	s_delay_alu instid0(VALU_DEP_3) | instskip(NEXT) | instid1(TRANS32_DEP_1)
	v_dual_mov_b32 v25, v6 :: v_dual_bitop2_b32 v20, v15, v12 bitop3:0x14
	s_mul_f32 s1, s1, 0x5f7ffffc
	s_delay_alu instid0(SALU_CYCLE_3) | instskip(NEXT) | instid1(SALU_CYCLE_3)
	s_mul_f32 s12, s1, 0x2f800000
	s_trunc_f32 s12, s12
	s_delay_alu instid0(SALU_CYCLE_3) | instskip(SKIP_1) | instid1(SALU_CYCLE_2)
	s_fmamk_f32 s1, s12, 0xcf800000, s1
	s_cvt_u32_f32 s25, s12
	s_cvt_u32_f32 s24, s1
	s_delay_alu instid0(SALU_CYCLE_3) | instskip(NEXT) | instid1(SALU_CYCLE_1)
	s_mul_u64 s[36:37], s[26:27], s[24:25]
	s_mul_hi_u32 s39, s24, s37
	s_mul_i32 s38, s24, s37
	s_mul_hi_u32 s12, s24, s36
	s_mul_i32 s17, s25, s36
	s_add_nc_u64 s[38:39], s[12:13], s[38:39]
	s_mul_hi_u32 s1, s25, s36
	s_mul_hi_u32 s21, s25, s37
	s_add_co_u32 s12, s38, s17
	s_add_co_ci_u32 s12, s39, s1
	s_mul_i32 s36, s25, s37
	s_add_co_ci_u32 s37, s21, 0
	s_delay_alu instid0(SALU_CYCLE_1) | instskip(NEXT) | instid1(SALU_CYCLE_1)
	s_add_nc_u64 s[36:37], s[12:13], s[36:37]
	s_add_co_u32 s24, s24, s36
	s_cselect_b32 s1, -1, 0
	s_delay_alu instid0(SALU_CYCLE_1) | instskip(SKIP_1) | instid1(SALU_CYCLE_1)
	s_cmp_lg_u32 s1, 0
	s_add_co_ci_u32 s25, s25, s37
	s_mul_u64 s[26:27], s[26:27], s[24:25]
	s_delay_alu instid0(SALU_CYCLE_1)
	s_mul_hi_u32 s37, s24, s27
	s_mul_i32 s36, s24, s27
	s_mul_hi_u32 s12, s24, s26
	s_mul_i32 s17, s25, s26
	s_add_nc_u64 s[36:37], s[12:13], s[36:37]
	s_mul_hi_u32 s1, s25, s26
	s_mul_hi_u32 s21, s25, s27
	s_add_co_u32 s12, s36, s17
	s_add_co_ci_u32 s12, s37, s1
	s_mul_i32 s26, s25, s27
	s_add_co_ci_u32 s27, s21, 0
	s_delay_alu instid0(SALU_CYCLE_1) | instskip(NEXT) | instid1(SALU_CYCLE_1)
	s_add_nc_u64 s[26:27], s[12:13], s[26:27]
	s_add_co_u32 s24, s24, s26
	s_cselect_b32 s1, -1, 0
	s_wait_loadcnt 0x0
	v_mul_hi_u32 v24, v16, s24
	s_cmp_lg_u32 s1, 0
	s_add_co_ci_u32 s12, s25, s27
	s_and_b64 s[26:27], s[24:25], s[8:9]
	v_mul_u64_e32 v[18:19], s[12:13], v[16:17]
	v_mul_u64_e32 v[14:15], s[26:27], v[20:21]
	;; [unrolled: 1-line block ×3, first 2 shown]
	s_delay_alu instid0(VALU_DEP_3) | instskip(NEXT) | instid1(VALU_DEP_1)
	v_add_nc_u64_e32 v[18:19], v[24:25], v[18:19]
	v_add_co_u32 v1, vcc_lo, v18, v14
	s_delay_alu instid0(VALU_DEP_2) | instskip(NEXT) | instid1(VALU_DEP_4)
	v_add_co_ci_u32_e32 v24, vcc_lo, v19, v15, vcc_lo
	v_add_co_ci_u32_e32 v23, vcc_lo, 0, v23, vcc_lo
	s_delay_alu instid0(VALU_DEP_1) | instskip(NEXT) | instid1(VALU_DEP_1)
	v_add_nc_u64_e32 v[14:15], v[24:25], v[22:23]
	v_mul_u64_e32 v[18:19], s[18:19], v[14:15]
	s_delay_alu instid0(VALU_DEP_1) | instskip(NEXT) | instid1(VALU_DEP_2)
	v_sub_nc_u32_e32 v1, v20, v19
	v_sub_co_u32 v3, vcc_lo, v16, v18
	s_delay_alu instid0(VALU_DEP_1) | instskip(NEXT) | instid1(VALU_DEP_3)
	v_sub_co_ci_u32_e64 v7, null, v20, v19, vcc_lo
	v_subrev_co_ci_u32_e64 v1, null, s19, v1, vcc_lo
	s_delay_alu instid0(VALU_DEP_3) | instskip(SKIP_1) | instid1(VALU_DEP_3)
	v_sub_co_u32 v5, s1, v3, s18
	v_add_nc_u64_e32 v[16:17], 2, v[14:15]
	v_subrev_co_ci_u32_e64 v1, null, 0, v1, s1
	s_delay_alu instid0(VALU_DEP_3) | instskip(SKIP_2) | instid1(VALU_DEP_4)
	v_cmp_le_u32_e32 vcc_lo, s18, v5
	v_add_nc_u64_e32 v[18:19], 1, v[14:15]
	v_cndmask_b32_e64 v5, 0, -1, vcc_lo
	v_cmp_le_u32_e32 vcc_lo, s19, v1
	v_cndmask_b32_e64 v13, 0, -1, vcc_lo
	v_cmp_le_u32_e32 vcc_lo, s18, v3
	;; [unrolled: 2-line block ×3, first 2 shown]
	v_cndmask_b32_e64 v20, 0, -1, vcc_lo
	v_cmp_eq_u32_e32 vcc_lo, s19, v1
	v_cndmask_b32_e32 v1, v13, v5, vcc_lo
	v_cmp_eq_u32_e32 vcc_lo, s19, v7
	s_delay_alu instid0(VALU_DEP_4) | instskip(NEXT) | instid1(VALU_DEP_3)
	v_cndmask_b32_e32 v3, v20, v3, vcc_lo
	v_cmp_ne_u32_e32 vcc_lo, 0, v1
	s_delay_alu instid0(VALU_DEP_2) | instskip(SKIP_1) | instid1(VALU_DEP_1)
	v_cmp_ne_u32_e64 s1, 0, v3
	v_dual_cndmask_b32 v1, v19, v17, vcc_lo :: v_dual_cndmask_b32 v3, v18, v16, vcc_lo
	v_dual_cndmask_b32 v1, v15, v1, s1 :: v_dual_bitop2_b32 v12, s16, v12 bitop3:0x14
	s_delay_alu instid0(VALU_DEP_1) | instskip(NEXT) | instid1(VALU_DEP_2)
	v_dual_cndmask_b32 v3, v14, v3, s1 :: v_dual_mov_b32 v13, v12
	v_xor_b32_e32 v15, v1, v12
	s_delay_alu instid0(VALU_DEP_2) | instskip(NEXT) | instid1(VALU_DEP_1)
	v_xor_b32_e32 v14, v3, v12
	v_sub_nc_u64_e32 v[12:13], v[14:15], v[12:13]
.LBB19_159:                             ;   in Loop: Header=BB19_157 Depth=1
	s_and_not1_saveexec_b32 s1, s20
	s_cbranch_execz .LBB19_156
; %bb.160:                              ;   in Loop: Header=BB19_157 Depth=1
	v_cvt_f32_u32_e32 v1, s14
	s_sub_co_i32 s12, 0, s14
	v_mov_b32_e32 v13, v6
	s_delay_alu instid0(VALU_DEP_2) | instskip(SKIP_1) | instid1(TRANS32_DEP_1)
	v_rcp_iflag_f32_e32 v1, v1
	v_nop
	v_mul_f32_e32 v1, 0x4f7ffffe, v1
	s_delay_alu instid0(VALU_DEP_1) | instskip(NEXT) | instid1(VALU_DEP_1)
	v_cvt_u32_f32_e32 v1, v1
	v_mul_lo_u32 v3, s12, v1
	s_delay_alu instid0(VALU_DEP_1) | instskip(NEXT) | instid1(VALU_DEP_1)
	v_mul_hi_u32 v3, v1, v3
	v_add_nc_u32_e32 v1, v1, v3
	s_delay_alu instid0(VALU_DEP_1) | instskip(NEXT) | instid1(VALU_DEP_1)
	v_mul_hi_u32 v1, v10, v1
	v_mul_lo_u32 v3, v1, s14
	s_delay_alu instid0(VALU_DEP_1) | instskip(NEXT) | instid1(VALU_DEP_1)
	v_sub_nc_u32_e32 v3, v10, v3
	v_subrev_nc_u32_e32 v7, s14, v3
	v_cmp_le_u32_e32 vcc_lo, s14, v3
	s_delay_alu instid0(VALU_DEP_2) | instskip(NEXT) | instid1(VALU_DEP_1)
	v_dual_add_nc_u32 v5, 1, v1 :: v_dual_cndmask_b32 v3, v3, v7, vcc_lo
	v_cndmask_b32_e32 v1, v1, v5, vcc_lo
	s_delay_alu instid0(VALU_DEP_2) | instskip(NEXT) | instid1(VALU_DEP_2)
	v_cmp_le_u32_e32 vcc_lo, s14, v3
	v_add_nc_u32_e32 v5, 1, v1
	s_delay_alu instid0(VALU_DEP_1)
	v_cndmask_b32_e32 v12, v1, v5, vcc_lo
	s_branch .LBB19_156
.LBB19_161:
	s_mov_b32 s8, s35
	s_mov_b32 s1, exec_lo
	v_cmpx_gt_i32_e64 v4, v2
	s_cbranch_execz .LBB19_167
; %bb.162:
	s_delay_alu instid0(VALU_DEP_2) | instskip(SKIP_2) | instid1(VALU_DEP_1)
	v_lshlrev_b64_e32 v[6:7], 2, v[8:9]
	v_dual_ashrrev_i32 v3, 31, v2 :: v_dual_ashrrev_i32 v5, 31, v4
	s_xor_b32 s8, s29, -1
                                        ; implicit-def: $sgpr10
                                        ; implicit-def: $sgpr9
	v_lshl_add_u64 v[2:3], v[2:3], 2, v[6:7]
	v_add_nc_u64_e32 v[6:7], s[6:7], v[6:7]
	s_delay_alu instid0(VALU_DEP_2) | instskip(SKIP_1) | instid1(VALU_DEP_2)
	v_add_nc_u64_e32 v[2:3], s[6:7], v[2:3]
	s_mov_b32 s6, 0
                                        ; implicit-def: $sgpr7
	v_lshl_add_u64 v[4:5], v[4:5], 2, v[6:7]
	s_delay_alu instid0(VALU_DEP_2)
	v_add_nc_u64_e32 v[2:3], 4, v[2:3]
	s_branch .LBB19_164
.LBB19_163:                             ;   in Loop: Header=BB19_164 Depth=1
	s_or_b32 exec_lo, exec_lo, s11
	s_xor_b32 s11, s9, -1
	s_and_b32 s12, exec_lo, s10
	s_delay_alu instid0(SALU_CYCLE_1) | instskip(SKIP_2) | instid1(SALU_CYCLE_1)
	s_or_b32 s6, s12, s6
	s_and_not1_b32 s7, s7, exec_lo
	s_and_b32 s11, s11, exec_lo
	s_or_b32 s7, s7, s11
	s_and_not1_b32 exec_lo, exec_lo, s6
	s_cbranch_execz .LBB19_166
.LBB19_164:                             ; =>This Inner Loop Header: Depth=1
	s_or_b32 s9, s9, exec_lo
	s_or_b32 s10, s10, exec_lo
	s_mov_b32 s11, exec_lo
	s_delay_alu instid0(VALU_DEP_1)
	v_cmpx_lt_u64_e64 v[2:3], v[4:5]
	s_cbranch_execz .LBB19_163
; %bb.165:                              ;   in Loop: Header=BB19_164 Depth=1
	global_load_b64 v[6:7], v[2:3], off offset:-4
	s_wait_xcnt 0x0
	v_add_nc_u64_e32 v[2:3], 4, v[2:3]
	s_and_not1_b32 s10, s10, exec_lo
	s_and_not1_b32 s9, s9, exec_lo
	s_wait_loadcnt 0x0
	v_cmp_ge_i32_e32 vcc_lo, v6, v7
	s_or_b32 s12, s8, vcc_lo
	s_delay_alu instid0(SALU_CYCLE_1) | instskip(NEXT) | instid1(SALU_CYCLE_1)
	s_and_b32 s12, s12, exec_lo
	s_or_b32 s10, s10, s12
	s_branch .LBB19_163
.LBB19_166:
	s_or_b32 exec_lo, exec_lo, s6
	s_delay_alu instid0(SALU_CYCLE_1) | instskip(SKIP_1) | instid1(SALU_CYCLE_1)
	s_and_not1_b32 s6, s35, exec_lo
	s_and_b32 s7, s7, exec_lo
	s_or_b32 s8, s6, s7
.LBB19_167:
	s_or_b32 exec_lo, exec_lo, s1
	s_delay_alu instid0(SALU_CYCLE_1)
	s_and_not1_b32 s1, s35, exec_lo
	s_and_b32 s6, s8, exec_lo
	s_or_b32 s44, s44, exec_lo
	s_or_b32 s35, s1, s6
	s_or_b32 exec_lo, exec_lo, s23
	s_and_saveexec_b32 s1, s35
	s_cbranch_execz .LBB19_151
.LBB19_168:
	s_and_not1_b32 s44, s44, exec_lo
	s_or_b32 s3, s3, exec_lo
	s_trap 2
	s_or_b32 exec_lo, exec_lo, s1
	s_and_saveexec_b32 s1, s3
	s_cbranch_execnz .LBB19_105
	s_branch .LBB19_106
.LBB19_169:
	s_mov_b32 s15, -1
	s_mov_b32 s13, 0
	s_mov_b32 s1, exec_lo
	v_cmpx_gt_i32_e64 v14, v16
	s_cbranch_execz .LBB19_175
; %bb.170:
	s_wait_loadcnt 0x0
	s_delay_alu instid0(VALU_DEP_2) | instskip(SKIP_2) | instid1(VALU_DEP_1)
	v_lshlrev_b64_e32 v[18:19], 2, v[20:21]
	v_dual_ashrrev_i32 v17, 31, v16 :: v_dual_ashrrev_i32 v15, 31, v14
	s_xor_b32 s15, s29, -1
                                        ; implicit-def: $sgpr14
                                        ; implicit-def: $sgpr17
                                        ; implicit-def: $sgpr16
	v_lshl_add_u64 v[16:17], v[16:17], 2, v[18:19]
	v_add_nc_u64_e32 v[18:19], s[6:7], v[18:19]
	s_delay_alu instid0(VALU_DEP_2) | instskip(NEXT) | instid1(VALU_DEP_2)
	v_add_nc_u64_e32 v[16:17], s[6:7], v[16:17]
	v_lshl_add_u64 v[14:15], v[14:15], 2, v[18:19]
	s_delay_alu instid0(VALU_DEP_2)
	v_add_nc_u64_e32 v[16:17], 4, v[16:17]
	s_branch .LBB19_172
.LBB19_171:                             ;   in Loop: Header=BB19_172 Depth=1
	s_or_b32 exec_lo, exec_lo, s18
	s_delay_alu instid0(SALU_CYCLE_1) | instskip(NEXT) | instid1(SALU_CYCLE_1)
	s_and_b32 s18, exec_lo, s17
	s_or_b32 s13, s18, s13
	s_and_not1_b32 s14, s14, exec_lo
	s_and_b32 s18, s16, exec_lo
	s_delay_alu instid0(SALU_CYCLE_1)
	s_or_b32 s14, s14, s18
	s_and_not1_b32 exec_lo, exec_lo, s13
	s_cbranch_execz .LBB19_174
.LBB19_172:                             ; =>This Inner Loop Header: Depth=1
	s_or_b32 s16, s16, exec_lo
	s_or_b32 s17, s17, exec_lo
	s_mov_b32 s18, exec_lo
	s_delay_alu instid0(VALU_DEP_1)
	v_cmpx_lt_u64_e64 v[16:17], v[14:15]
	s_cbranch_execz .LBB19_171
; %bb.173:                              ;   in Loop: Header=BB19_172 Depth=1
	global_load_b64 v[18:19], v[16:17], off offset:-4
	s_wait_xcnt 0x0
	v_add_nc_u64_e32 v[16:17], 4, v[16:17]
	s_and_not1_b32 s17, s17, exec_lo
	s_and_not1_b32 s16, s16, exec_lo
	s_wait_loadcnt 0x0
	v_cmp_ge_i32_e32 vcc_lo, v18, v19
	s_or_b32 s19, s15, vcc_lo
	s_delay_alu instid0(SALU_CYCLE_1) | instskip(NEXT) | instid1(SALU_CYCLE_1)
	s_and_b32 s19, s19, exec_lo
	s_or_b32 s17, s17, s19
	s_branch .LBB19_171
.LBB19_174:
	s_or_b32 exec_lo, exec_lo, s13
	s_delay_alu instid0(SALU_CYCLE_1)
	s_mov_b32 s13, exec_lo
	s_or_not1_b32 s15, s14, exec_lo
.LBB19_175:
	s_or_b32 exec_lo, exec_lo, s1
	s_delay_alu instid0(SALU_CYCLE_1)
	s_and_b32 s14, s13, exec_lo
	s_xor_b32 s13, exec_lo, -1
	s_and_b32 s1, s15, exec_lo
.LBB19_176:
	s_or_b32 exec_lo, exec_lo, s45
	s_delay_alu instid0(SALU_CYCLE_1)
	s_and_not1_b32 s15, s38, exec_lo
	s_and_b32 s13, s13, exec_lo
	s_and_b32 s14, s14, exec_lo
	s_or_b32 s15, s15, s13
	s_xor_b32 s13, exec_lo, -1
	s_and_b32 s1, s1, exec_lo
.LBB19_177:
	s_or_b32 exec_lo, exec_lo, s44
	s_delay_alu instid0(SALU_CYCLE_1)
	s_and_not1_b32 s16, s38, exec_lo
	s_and_b32 s15, s15, exec_lo
	s_and_not1_b32 s17, s39, exec_lo
	s_and_b32 s13, s13, exec_lo
	s_and_b32 s14, s14, exec_lo
	s_or_b32 s16, s16, s15
	s_or_b32 s15, s17, s13
	s_xor_b32 s13, exec_lo, -1
	s_and_b32 s1, s1, exec_lo
.LBB19_178:
	s_or_b32 exec_lo, exec_lo, s43
	s_delay_alu instid0(SALU_CYCLE_1)
	s_and_not1_b32 s17, s38, exec_lo
	s_and_b32 s16, s16, exec_lo
	s_and_b32 s44, s14, exec_lo
	s_or_b32 s45, s17, s16
	s_and_not1_b32 s14, s39, exec_lo
	s_and_b32 s15, s15, exec_lo
	s_and_not1_b32 s16, s41, exec_lo
	s_and_b32 s13, s13, exec_lo
	s_or_b32 s46, s14, s15
	s_or_b32 s43, s16, s13
	s_or_not1_b32 s1, s1, exec_lo
.LBB19_179:
	s_or_b32 exec_lo, exec_lo, s40
	s_mov_b32 s15, 0
                                        ; implicit-def: $sgpr40
                                        ; implicit-def: $sgpr22
	s_and_saveexec_b32 s47, s1
	s_cbranch_execz .LBB19_206
; %bb.180:
	v_or_b32_e32 v5, 0x200, v0
	s_mov_b32 s17, -1
	s_mov_b32 s48, 0
	s_mov_b32 s1, s43
	;; [unrolled: 1-line block ×3, first 2 shown]
	v_cmp_gt_i32_e64 s40, s33, v5
	s_mov_b32 s13, s45
	s_and_saveexec_b32 s49, s40
	s_cbranch_execz .LBB19_201
; %bb.181:
	v_cmp_eq_u32_e32 vcc_lo, s36, v9
	s_mov_b32 s1, -1
	s_mov_b32 s16, 0
	s_mov_b32 s17, s46
	;; [unrolled: 1-line block ×3, first 2 shown]
	s_and_b32 s14, s37, vcc_lo
	s_mov_b32 s13, 0
	s_and_saveexec_b32 s50, s14
	s_cbranch_execz .LBB19_200
; %bb.182:
	v_cmp_eq_u32_e32 vcc_lo, s10, v11
	s_mov_b32 s14, 0
	s_mov_b32 s15, s45
	s_and_b32 s13, s34, vcc_lo
	s_delay_alu instid0(SALU_CYCLE_1)
	s_and_saveexec_b32 s51, s13
	s_cbranch_execz .LBB19_199
; %bb.183:
	v_sub_nc_u32_e32 v5, v8, v10
	s_mov_b32 s14, -1
	s_mov_b32 s13, 0
	s_delay_alu instid0(VALU_DEP_1) | instskip(SKIP_2) | instid1(SALU_CYCLE_1)
	v_cmp_le_i32_e32 vcc_lo, v9, v5
	v_cmp_ge_i32_e64 s1, s8, v5
	s_and_b32 s1, vcc_lo, s1
	s_and_b32 s15, s30, s1
	s_mov_b32 s1, 0
	s_and_saveexec_b32 s52, s15
	s_cbranch_execz .LBB19_198
; %bb.184:
	s_wait_loadcnt 0x1
	v_mov_b64_e32 v[14:15], 0
	s_and_not1_b32 vcc_lo, exec_lo, s9
	s_cbranch_vccnz .LBB19_191
; %bb.185:
	v_dual_mov_b32 v14, v13 :: v_dual_ashrrev_i32 v15, 31, v13
	s_ashr_i32 s13, s12, 31
	v_mov_b32_e32 v12, 0
	s_lshl_b64 s[16:17], s[12:13], 3
	s_mov_b64 s[14:15], 0xffffffff
	v_mul_u64_e32 v[16:17], s[10:11], v[14:15]
	v_mov_b64_e32 v[14:15], 0
	s_add_nc_u64 s[16:17], s[20:21], s[16:17]
	s_mov_b32 s19, 0
	s_add_nc_u64 s[16:17], s[16:17], 32
	s_mov_b32 s13, s28
	s_branch .LBB19_187
.LBB19_186:                             ;   in Loop: Header=BB19_187 Depth=1
	s_or_b32 exec_lo, exec_lo, s1
	s_wait_loadcnt 0x0
	s_delay_alu instid0(VALU_DEP_1)
	v_mul_u64_e32 v[20:21], s[22:23], v[18:19]
	s_load_b64 s[22:23], s[16:17], 0x40
	s_add_co_i32 s13, s13, -1
	s_wait_xcnt 0x0
	s_add_nc_u64 s[16:17], s[16:17], -8
	s_cmp_lg_u32 s13, 0
	s_delay_alu instid0(VALU_DEP_1) | instskip(SKIP_1) | instid1(VALU_DEP_1)
	v_sub_nc_u64_e32 v[16:17], v[16:17], v[20:21]
	s_wait_kmcnt 0x0
	v_mad_nc_u64_u32 v[14:15], v16, s22, v[14:15]
	s_delay_alu instid0(VALU_DEP_1) | instskip(NEXT) | instid1(VALU_DEP_1)
	v_mad_u32 v5, v17, s22, v15
	v_mad_u32 v15, v16, s23, v5
	v_mov_b64_e32 v[16:17], v[18:19]
	s_cbranch_scc0 .LBB19_191
.LBB19_187:                             ; =>This Inner Loop Header: Depth=1
	s_load_b64 s[22:23], s[16:17], 0x0
                                        ; implicit-def: $vgpr18_vgpr19
	s_mov_b32 s1, exec_lo
	s_wait_kmcnt 0x0
	s_delay_alu instid0(VALU_DEP_1) | instskip(NEXT) | instid1(VALU_DEP_1)
	v_or_b32_e32 v13, s23, v17
	v_cmpx_ne_u64_e32 0, v[12:13]
	s_xor_b32 s53, exec_lo, s1
	s_cbranch_execz .LBB19_189
; %bb.188:                              ;   in Loop: Header=BB19_187 Depth=1
	s_ashr_i32 s24, s23, 31
	s_wait_loadcnt 0x0
	v_dual_mov_b32 v23, v12 :: v_dual_ashrrev_i32 v18, 31, v17
	s_mov_b32 s25, s24
	s_delay_alu instid0(SALU_CYCLE_1) | instskip(NEXT) | instid1(VALU_DEP_1)
	s_add_nc_u64 s[26:27], s[22:23], s[24:25]
	v_mov_b32_e32 v19, v18
	s_xor_b64 s[26:27], s[26:27], s[24:25]
	s_delay_alu instid0(SALU_CYCLE_1)
	s_cvt_f32_u32 s1, s26
	s_cvt_f32_u32 s18, s27
	s_sub_nc_u64 s[56:57], 0, s[26:27]
	v_add_nc_u64_e32 v[20:21], v[16:17], v[18:19]
	v_mov_b32_e32 v27, v12
	s_fmamk_f32 s1, s18, 0x4f800000, s1
	s_delay_alu instid0(SALU_CYCLE_3) | instskip(NEXT) | instid1(VALU_DEP_2)
	v_s_rcp_f32 s1, s1
	v_xor_b32_e32 v22, v20, v18
	s_delay_alu instid0(VALU_DEP_3) | instskip(NEXT) | instid1(TRANS32_DEP_1)
	v_dual_mov_b32 v31, v12 :: v_dual_bitop2_b32 v26, v21, v18 bitop3:0x14
	s_mul_f32 s1, s1, 0x5f7ffffc
	s_delay_alu instid0(SALU_CYCLE_3) | instskip(NEXT) | instid1(SALU_CYCLE_3)
	s_mul_f32 s18, s1, 0x2f800000
	s_trunc_f32 s18, s18
	s_delay_alu instid0(SALU_CYCLE_3) | instskip(SKIP_1) | instid1(SALU_CYCLE_2)
	s_fmamk_f32 s1, s18, 0xcf800000, s1
	s_cvt_u32_f32 s55, s18
	s_cvt_u32_f32 s54, s1
	s_delay_alu instid0(SALU_CYCLE_3) | instskip(NEXT) | instid1(SALU_CYCLE_1)
	s_mul_u64 s[58:59], s[56:57], s[54:55]
	s_mul_hi_u32 s61, s54, s59
	s_mul_i32 s60, s54, s59
	s_mul_hi_u32 s18, s54, s58
	s_mul_i32 s25, s55, s58
	s_add_nc_u64 s[60:61], s[18:19], s[60:61]
	s_mul_hi_u32 s1, s55, s58
	s_mul_hi_u32 s62, s55, s59
	s_add_co_u32 s18, s60, s25
	s_add_co_ci_u32 s18, s61, s1
	s_mul_i32 s58, s55, s59
	s_add_co_ci_u32 s59, s62, 0
	s_delay_alu instid0(SALU_CYCLE_1) | instskip(NEXT) | instid1(SALU_CYCLE_1)
	s_add_nc_u64 s[58:59], s[18:19], s[58:59]
	s_add_co_u32 s54, s54, s58
	s_cselect_b32 s1, -1, 0
	s_delay_alu instid0(SALU_CYCLE_1) | instskip(SKIP_1) | instid1(SALU_CYCLE_1)
	s_cmp_lg_u32 s1, 0
	s_add_co_ci_u32 s55, s55, s59
	s_mul_u64 s[56:57], s[56:57], s[54:55]
	s_delay_alu instid0(SALU_CYCLE_1)
	s_mul_hi_u32 s59, s54, s57
	s_mul_i32 s58, s54, s57
	s_mul_hi_u32 s18, s54, s56
	s_mul_i32 s25, s55, s56
	s_add_nc_u64 s[58:59], s[18:19], s[58:59]
	s_mul_hi_u32 s1, s55, s56
	s_mul_hi_u32 s60, s55, s57
	s_add_co_u32 s18, s58, s25
	s_add_co_ci_u32 s18, s59, s1
	s_mul_i32 s56, s55, s57
	s_add_co_ci_u32 s57, s60, 0
	s_delay_alu instid0(SALU_CYCLE_1) | instskip(NEXT) | instid1(SALU_CYCLE_1)
	s_add_nc_u64 s[56:57], s[18:19], s[56:57]
	s_add_co_u32 s54, s54, s56
	s_cselect_b32 s1, -1, 0
	v_mul_hi_u32 v30, v22, s54
	s_cmp_lg_u32 s1, 0
	s_add_co_ci_u32 s18, s55, s57
	s_and_b64 s[56:57], s[54:55], s[14:15]
	v_mul_u64_e32 v[24:25], s[18:19], v[22:23]
	v_mul_u64_e32 v[20:21], s[56:57], v[26:27]
	;; [unrolled: 1-line block ×3, first 2 shown]
	s_delay_alu instid0(VALU_DEP_3) | instskip(NEXT) | instid1(VALU_DEP_1)
	v_add_nc_u64_e32 v[24:25], v[30:31], v[24:25]
	v_add_co_u32 v5, vcc_lo, v24, v20
	s_delay_alu instid0(VALU_DEP_2) | instskip(NEXT) | instid1(VALU_DEP_4)
	v_add_co_ci_u32_e32 v30, vcc_lo, v25, v21, vcc_lo
	v_add_co_ci_u32_e32 v29, vcc_lo, 0, v29, vcc_lo
	s_delay_alu instid0(VALU_DEP_1) | instskip(NEXT) | instid1(VALU_DEP_1)
	v_add_nc_u64_e32 v[20:21], v[30:31], v[28:29]
	v_mul_u64_e32 v[24:25], s[26:27], v[20:21]
	s_delay_alu instid0(VALU_DEP_1) | instskip(NEXT) | instid1(VALU_DEP_2)
	v_sub_nc_u32_e32 v5, v26, v25
	v_sub_co_u32 v9, vcc_lo, v22, v24
	s_delay_alu instid0(VALU_DEP_1) | instskip(NEXT) | instid1(VALU_DEP_3)
	v_sub_co_ci_u32_e64 v13, null, v26, v25, vcc_lo
	v_subrev_co_ci_u32_e64 v5, null, s27, v5, vcc_lo
	s_delay_alu instid0(VALU_DEP_3) | instskip(SKIP_1) | instid1(VALU_DEP_3)
	v_sub_co_u32 v11, s1, v9, s26
	v_add_nc_u64_e32 v[22:23], 2, v[20:21]
	v_subrev_co_ci_u32_e64 v5, null, 0, v5, s1
	s_delay_alu instid0(VALU_DEP_3) | instskip(SKIP_2) | instid1(VALU_DEP_4)
	v_cmp_le_u32_e32 vcc_lo, s26, v11
	v_add_nc_u64_e32 v[24:25], 1, v[20:21]
	v_cndmask_b32_e64 v11, 0, -1, vcc_lo
	v_cmp_le_u32_e32 vcc_lo, s27, v5
	v_cndmask_b32_e64 v19, 0, -1, vcc_lo
	v_cmp_le_u32_e32 vcc_lo, s26, v9
	;; [unrolled: 2-line block ×3, first 2 shown]
	v_cndmask_b32_e64 v26, 0, -1, vcc_lo
	v_cmp_eq_u32_e32 vcc_lo, s27, v5
	v_cndmask_b32_e32 v5, v19, v11, vcc_lo
	v_cmp_eq_u32_e32 vcc_lo, s27, v13
	s_delay_alu instid0(VALU_DEP_4) | instskip(NEXT) | instid1(VALU_DEP_3)
	v_cndmask_b32_e32 v9, v26, v9, vcc_lo
	v_cmp_ne_u32_e32 vcc_lo, 0, v5
	s_delay_alu instid0(VALU_DEP_2) | instskip(SKIP_1) | instid1(VALU_DEP_1)
	v_cmp_ne_u32_e64 s1, 0, v9
	v_dual_cndmask_b32 v5, v25, v23, vcc_lo :: v_dual_cndmask_b32 v9, v24, v22, vcc_lo
	v_dual_cndmask_b32 v5, v21, v5, s1 :: v_dual_bitop2_b32 v18, s24, v18 bitop3:0x14
	s_delay_alu instid0(VALU_DEP_1) | instskip(NEXT) | instid1(VALU_DEP_2)
	v_dual_cndmask_b32 v9, v20, v9, s1 :: v_dual_mov_b32 v19, v18
	v_xor_b32_e32 v21, v5, v18
	s_delay_alu instid0(VALU_DEP_2) | instskip(NEXT) | instid1(VALU_DEP_1)
	v_xor_b32_e32 v20, v9, v18
	v_sub_nc_u64_e32 v[18:19], v[20:21], v[18:19]
.LBB19_189:                             ;   in Loop: Header=BB19_187 Depth=1
	s_and_not1_saveexec_b32 s1, s53
	s_cbranch_execz .LBB19_186
; %bb.190:                              ;   in Loop: Header=BB19_187 Depth=1
	v_cvt_f32_u32_e32 v5, s22
	s_sub_co_i32 s18, 0, s22
	v_mov_b32_e32 v19, v12
	s_delay_alu instid0(VALU_DEP_2) | instskip(SKIP_1) | instid1(TRANS32_DEP_1)
	v_rcp_iflag_f32_e32 v5, v5
	v_nop
	v_mul_f32_e32 v5, 0x4f7ffffe, v5
	s_delay_alu instid0(VALU_DEP_1) | instskip(NEXT) | instid1(VALU_DEP_1)
	v_cvt_u32_f32_e32 v5, v5
	v_mul_lo_u32 v9, s18, v5
	s_delay_alu instid0(VALU_DEP_1) | instskip(NEXT) | instid1(VALU_DEP_1)
	v_mul_hi_u32 v9, v5, v9
	v_add_nc_u32_e32 v5, v5, v9
	s_delay_alu instid0(VALU_DEP_1) | instskip(NEXT) | instid1(VALU_DEP_1)
	v_mul_hi_u32 v5, v16, v5
	v_mul_lo_u32 v9, v5, s22
	v_add_nc_u32_e32 v11, 1, v5
	s_delay_alu instid0(VALU_DEP_2) | instskip(NEXT) | instid1(VALU_DEP_1)
	v_sub_nc_u32_e32 v9, v16, v9
	v_subrev_nc_u32_e32 v13, s22, v9
	v_cmp_le_u32_e32 vcc_lo, s22, v9
	s_delay_alu instid0(VALU_DEP_2) | instskip(SKIP_1) | instid1(VALU_DEP_2)
	v_cndmask_b32_e32 v9, v9, v13, vcc_lo
	v_cndmask_b32_e32 v5, v5, v11, vcc_lo
	v_cmp_le_u32_e32 vcc_lo, s22, v9
	s_delay_alu instid0(VALU_DEP_2) | instskip(SKIP_1) | instid1(VALU_DEP_1)
	v_add_nc_u32_e32 v11, 1, v5
	s_wait_loadcnt 0x0
	v_cndmask_b32_e32 v18, v5, v11, vcc_lo
	s_branch .LBB19_186
.LBB19_191:
	s_mov_b32 s13, -1
	s_mov_b32 s15, 0
	s_mov_b32 s1, exec_lo
	v_cmpx_gt_i32_e64 v8, v10
	s_cbranch_execz .LBB19_197
; %bb.192:
	s_delay_alu instid0(VALU_DEP_2) | instskip(SKIP_3) | instid1(VALU_DEP_1)
	v_lshlrev_b64_e32 v[12:13], 2, v[14:15]
	v_dual_ashrrev_i32 v11, 31, v10 :: v_dual_ashrrev_i32 v9, 31, v8
	s_mov_b32 s13, 0
	s_xor_b32 s15, s29, -1
                                        ; implicit-def: $sgpr14
                                        ; implicit-def: $sgpr17
                                        ; implicit-def: $sgpr16
	v_lshl_add_u64 v[10:11], v[10:11], 2, v[12:13]
	v_add_nc_u64_e32 v[12:13], s[6:7], v[12:13]
	s_delay_alu instid0(VALU_DEP_2) | instskip(NEXT) | instid1(VALU_DEP_2)
	v_add_nc_u64_e32 v[10:11], s[6:7], v[10:11]
	v_lshl_add_u64 v[8:9], v[8:9], 2, v[12:13]
	s_delay_alu instid0(VALU_DEP_2)
	v_add_nc_u64_e32 v[10:11], 4, v[10:11]
	s_branch .LBB19_194
.LBB19_193:                             ;   in Loop: Header=BB19_194 Depth=1
	s_or_b32 exec_lo, exec_lo, s18
	s_delay_alu instid0(SALU_CYCLE_1) | instskip(NEXT) | instid1(SALU_CYCLE_1)
	s_and_b32 s18, exec_lo, s17
	s_or_b32 s13, s18, s13
	s_and_not1_b32 s14, s14, exec_lo
	s_and_b32 s18, s16, exec_lo
	s_delay_alu instid0(SALU_CYCLE_1)
	s_or_b32 s14, s14, s18
	s_and_not1_b32 exec_lo, exec_lo, s13
	s_cbranch_execz .LBB19_196
.LBB19_194:                             ; =>This Inner Loop Header: Depth=1
	s_or_b32 s16, s16, exec_lo
	s_or_b32 s17, s17, exec_lo
	s_mov_b32 s18, exec_lo
	s_delay_alu instid0(VALU_DEP_1)
	v_cmpx_lt_u64_e64 v[10:11], v[8:9]
	s_cbranch_execz .LBB19_193
; %bb.195:                              ;   in Loop: Header=BB19_194 Depth=1
	global_load_b64 v[12:13], v[10:11], off offset:-4
	s_wait_xcnt 0x0
	v_add_nc_u64_e32 v[10:11], 4, v[10:11]
	s_and_not1_b32 s17, s17, exec_lo
	s_and_not1_b32 s16, s16, exec_lo
	s_wait_loadcnt 0x0
	v_cmp_ge_i32_e32 vcc_lo, v12, v13
	s_or_b32 s19, s15, vcc_lo
	s_delay_alu instid0(SALU_CYCLE_1) | instskip(NEXT) | instid1(SALU_CYCLE_1)
	s_and_b32 s19, s19, exec_lo
	s_or_b32 s17, s17, s19
	s_branch .LBB19_193
.LBB19_196:
	s_or_b32 exec_lo, exec_lo, s13
	s_delay_alu instid0(SALU_CYCLE_1)
	s_mov_b32 s15, exec_lo
	s_or_not1_b32 s13, s14, exec_lo
.LBB19_197:
	s_or_b32 exec_lo, exec_lo, s1
	s_delay_alu instid0(SALU_CYCLE_1)
	s_and_b32 s1, s15, exec_lo
	s_xor_b32 s14, exec_lo, -1
	s_and_b32 s13, s13, exec_lo
.LBB19_198:
	s_or_b32 exec_lo, exec_lo, s52
	s_delay_alu instid0(SALU_CYCLE_1)
	s_and_not1_b32 s15, s45, exec_lo
	s_and_b32 s14, s14, exec_lo
	s_and_b32 s16, s1, exec_lo
	s_or_b32 s15, s15, s14
	s_xor_b32 s1, exec_lo, -1
	s_and_b32 s14, s13, exec_lo
.LBB19_199:
	s_or_b32 exec_lo, exec_lo, s51
	s_delay_alu instid0(SALU_CYCLE_1)
	s_and_b32 s13, s16, exec_lo
	s_and_not1_b32 s16, s45, exec_lo
	s_and_b32 s15, s15, exec_lo
	s_and_not1_b32 s17, s46, exec_lo
	s_and_b32 s1, s1, exec_lo
	s_or_b32 s15, s16, s15
	s_or_b32 s17, s17, s1
	s_xor_b32 s1, exec_lo, -1
	s_and_b32 s16, s14, exec_lo
.LBB19_200:
	s_or_b32 exec_lo, exec_lo, s50
	s_delay_alu instid0(SALU_CYCLE_1)
	s_and_not1_b32 s14, s45, exec_lo
	s_and_b32 s18, s15, exec_lo
	s_and_b32 s15, s13, exec_lo
	s_or_b32 s13, s14, s18
	s_and_not1_b32 s14, s46, exec_lo
	s_and_b32 s17, s17, exec_lo
	s_and_not1_b32 s18, s43, exec_lo
	s_and_b32 s1, s1, exec_lo
	s_or_b32 s14, s14, s17
	s_or_b32 s1, s18, s1
	s_or_not1_b32 s17, s16, exec_lo
.LBB19_201:
	s_or_b32 exec_lo, exec_lo, s49
	s_mov_b32 s18, 0
                                        ; implicit-def: $sgpr22
	s_and_saveexec_b32 s16, s17
	s_cbranch_execz .LBB19_205
; %bb.202:
	v_or_b32_e32 v5, 0x300, v0
	s_mov_b32 s17, 0
	s_mov_b32 s18, -1
	s_mov_b32 s19, s1
	s_delay_alu instid0(VALU_DEP_1) | instskip(SKIP_1) | instid1(SALU_CYCLE_1)
	v_cmp_gt_i32_e64 s22, s33, v5
	s_and_saveexec_b32 s23, s22
	s_xor_b32 s23, exec_lo, s23
; %bb.203:
	v_cmp_ne_u32_e32 vcc_lo, s36, v1
	s_xor_b32 s18, s37, -1
	s_and_not1_b32 s19, s1, exec_lo
	s_mov_b32 s17, exec_lo
	s_or_b32 s18, s18, vcc_lo
	s_delay_alu instid0(SALU_CYCLE_1)
	s_and_b32 s24, s18, exec_lo
	s_xor_b32 s18, exec_lo, -1
	s_or_b32 s19, s19, s24
; %bb.204:
	s_or_b32 exec_lo, exec_lo, s23
	s_delay_alu instid0(SALU_CYCLE_1)
	s_and_not1_b32 s1, s1, exec_lo
	s_and_b32 s19, s19, exec_lo
	s_and_b32 s18, s18, exec_lo
	s_and_not1_b32 s15, s15, exec_lo
	s_and_b32 s48, s17, exec_lo
	s_or_b32 s1, s1, s19
.LBB19_205:
	s_or_b32 exec_lo, exec_lo, s16
	s_delay_alu instid0(SALU_CYCLE_1)
	s_and_not1_b32 s16, s44, exec_lo
	s_and_b32 s17, s15, exec_lo
	s_and_b32 s13, s13, exec_lo
	s_or_b32 s44, s16, s17
	s_and_not1_b32 s16, s45, exec_lo
	s_and_not1_b32 s17, s46, exec_lo
	s_and_b32 s14, s14, exec_lo
	s_or_b32 s45, s16, s13
	s_and_not1_b32 s13, s43, exec_lo
	s_and_b32 s1, s1, exec_lo
	s_and_b32 s15, s18, exec_lo
	s_or_b32 s46, s17, s14
	s_and_b32 s48, s48, exec_lo
	s_or_b32 s43, s13, s1
.LBB19_206:
	s_or_b32 exec_lo, exec_lo, s47
	s_delay_alu instid0(SALU_CYCLE_1)
	s_and_not1_b32 s1, s35, exec_lo
	s_and_b32 s13, s44, exec_lo
	s_and_b32 s44, s15, exec_lo
	s_or_b32 s35, s1, s13
	s_and_not1_b32 s1, s38, exec_lo
	s_and_b32 s13, s45, exec_lo
	s_and_not1_b32 s14, s39, exec_lo
	s_and_b32 s15, s46, exec_lo
	s_or_b32 s38, s1, s13
	s_and_not1_b32 s1, s41, exec_lo
	s_and_b32 s13, s43, exec_lo
	s_or_b32 s39, s14, s15
	s_and_b32 s43, s48, exec_lo
	s_or_b32 s41, s1, s13
	s_or_b32 exec_lo, exec_lo, s42
	s_and_saveexec_b32 s1, s41
	s_cbranch_execz .LBB19_144
.LBB19_207:
	s_or_b32 s3, s3, exec_lo
	s_and_not1_b32 s43, s43, exec_lo
	s_trap 2
	s_branch .LBB19_144
.LBB19_208:
	s_mov_b32 s3, exec_lo
	s_and_not1_b32 s31, s31, exec_lo
	s_trap 2
	s_branch .LBB19_65
.LBB19_209:
	s_or_b32 s3, s3, exec_lo
	s_and_not1_b32 s34, s34, exec_lo
	s_trap 2
	s_branch .LBB19_68
.LBB19_210:
	s_or_b32 s3, s3, exec_lo
	s_and_not1_b32 s1, s1, exec_lo
	s_trap 2
	s_branch .LBB19_147
	.section	.rodata,"a",@progbits
	.p2align	6, 0x0
	.amdhsa_kernel _ZN2at6native29vectorized_elementwise_kernelILi2EZZZNS0_12_GLOBAL__N_142_validate_compressed_sparse_indices_kernelILNS2_8CDimNameE0ENS2_18CUDAKernelLauncherENS2_14EmptyVecKernelENS2_8DummyVecELm8EEEvRKNS_6TensorESA_lllENKUlvE1_clEvENKUlvE_clEvEUliiiiiE_St5arrayIPcLm6EEEEviT0_T1_
		.amdhsa_group_segment_fixed_size 0
		.amdhsa_private_segment_fixed_size 0
		.amdhsa_kernarg_size 224
		.amdhsa_user_sgpr_count 2
		.amdhsa_user_sgpr_dispatch_ptr 0
		.amdhsa_user_sgpr_queue_ptr 0
		.amdhsa_user_sgpr_kernarg_segment_ptr 1
		.amdhsa_user_sgpr_dispatch_id 0
		.amdhsa_user_sgpr_kernarg_preload_length 0
		.amdhsa_user_sgpr_kernarg_preload_offset 0
		.amdhsa_user_sgpr_private_segment_size 0
		.amdhsa_wavefront_size32 1
		.amdhsa_uses_dynamic_stack 0
		.amdhsa_enable_private_segment 0
		.amdhsa_system_sgpr_workgroup_id_x 1
		.amdhsa_system_sgpr_workgroup_id_y 0
		.amdhsa_system_sgpr_workgroup_id_z 0
		.amdhsa_system_sgpr_workgroup_info 0
		.amdhsa_system_vgpr_workitem_id 0
		.amdhsa_next_free_vgpr 44
		.amdhsa_next_free_sgpr 69
		.amdhsa_named_barrier_count 0
		.amdhsa_reserve_vcc 1
		.amdhsa_float_round_mode_32 0
		.amdhsa_float_round_mode_16_64 0
		.amdhsa_float_denorm_mode_32 3
		.amdhsa_float_denorm_mode_16_64 3
		.amdhsa_fp16_overflow 0
		.amdhsa_memory_ordered 1
		.amdhsa_forward_progress 1
		.amdhsa_inst_pref_size 104
		.amdhsa_round_robin_scheduling 0
		.amdhsa_exception_fp_ieee_invalid_op 0
		.amdhsa_exception_fp_denorm_src 0
		.amdhsa_exception_fp_ieee_div_zero 0
		.amdhsa_exception_fp_ieee_overflow 0
		.amdhsa_exception_fp_ieee_underflow 0
		.amdhsa_exception_fp_ieee_inexact 0
		.amdhsa_exception_int_div_zero 0
	.end_amdhsa_kernel
	.section	.text._ZN2at6native29vectorized_elementwise_kernelILi2EZZZNS0_12_GLOBAL__N_142_validate_compressed_sparse_indices_kernelILNS2_8CDimNameE0ENS2_18CUDAKernelLauncherENS2_14EmptyVecKernelENS2_8DummyVecELm8EEEvRKNS_6TensorESA_lllENKUlvE1_clEvENKUlvE_clEvEUliiiiiE_St5arrayIPcLm6EEEEviT0_T1_,"axG",@progbits,_ZN2at6native29vectorized_elementwise_kernelILi2EZZZNS0_12_GLOBAL__N_142_validate_compressed_sparse_indices_kernelILNS2_8CDimNameE0ENS2_18CUDAKernelLauncherENS2_14EmptyVecKernelENS2_8DummyVecELm8EEEvRKNS_6TensorESA_lllENKUlvE1_clEvENKUlvE_clEvEUliiiiiE_St5arrayIPcLm6EEEEviT0_T1_,comdat
.Lfunc_end19:
	.size	_ZN2at6native29vectorized_elementwise_kernelILi2EZZZNS0_12_GLOBAL__N_142_validate_compressed_sparse_indices_kernelILNS2_8CDimNameE0ENS2_18CUDAKernelLauncherENS2_14EmptyVecKernelENS2_8DummyVecELm8EEEvRKNS_6TensorESA_lllENKUlvE1_clEvENKUlvE_clEvEUliiiiiE_St5arrayIPcLm6EEEEviT0_T1_, .Lfunc_end19-_ZN2at6native29vectorized_elementwise_kernelILi2EZZZNS0_12_GLOBAL__N_142_validate_compressed_sparse_indices_kernelILNS2_8CDimNameE0ENS2_18CUDAKernelLauncherENS2_14EmptyVecKernelENS2_8DummyVecELm8EEEvRKNS_6TensorESA_lllENKUlvE1_clEvENKUlvE_clEvEUliiiiiE_St5arrayIPcLm6EEEEviT0_T1_
                                        ; -- End function
	.set _ZN2at6native29vectorized_elementwise_kernelILi2EZZZNS0_12_GLOBAL__N_142_validate_compressed_sparse_indices_kernelILNS2_8CDimNameE0ENS2_18CUDAKernelLauncherENS2_14EmptyVecKernelENS2_8DummyVecELm8EEEvRKNS_6TensorESA_lllENKUlvE1_clEvENKUlvE_clEvEUliiiiiE_St5arrayIPcLm6EEEEviT0_T1_.num_vgpr, 44
	.set _ZN2at6native29vectorized_elementwise_kernelILi2EZZZNS0_12_GLOBAL__N_142_validate_compressed_sparse_indices_kernelILNS2_8CDimNameE0ENS2_18CUDAKernelLauncherENS2_14EmptyVecKernelENS2_8DummyVecELm8EEEvRKNS_6TensorESA_lllENKUlvE1_clEvENKUlvE_clEvEUliiiiiE_St5arrayIPcLm6EEEEviT0_T1_.num_agpr, 0
	.set _ZN2at6native29vectorized_elementwise_kernelILi2EZZZNS0_12_GLOBAL__N_142_validate_compressed_sparse_indices_kernelILNS2_8CDimNameE0ENS2_18CUDAKernelLauncherENS2_14EmptyVecKernelENS2_8DummyVecELm8EEEvRKNS_6TensorESA_lllENKUlvE1_clEvENKUlvE_clEvEUliiiiiE_St5arrayIPcLm6EEEEviT0_T1_.numbered_sgpr, 69
	.set _ZN2at6native29vectorized_elementwise_kernelILi2EZZZNS0_12_GLOBAL__N_142_validate_compressed_sparse_indices_kernelILNS2_8CDimNameE0ENS2_18CUDAKernelLauncherENS2_14EmptyVecKernelENS2_8DummyVecELm8EEEvRKNS_6TensorESA_lllENKUlvE1_clEvENKUlvE_clEvEUliiiiiE_St5arrayIPcLm6EEEEviT0_T1_.num_named_barrier, 0
	.set _ZN2at6native29vectorized_elementwise_kernelILi2EZZZNS0_12_GLOBAL__N_142_validate_compressed_sparse_indices_kernelILNS2_8CDimNameE0ENS2_18CUDAKernelLauncherENS2_14EmptyVecKernelENS2_8DummyVecELm8EEEvRKNS_6TensorESA_lllENKUlvE1_clEvENKUlvE_clEvEUliiiiiE_St5arrayIPcLm6EEEEviT0_T1_.private_seg_size, 0
	.set _ZN2at6native29vectorized_elementwise_kernelILi2EZZZNS0_12_GLOBAL__N_142_validate_compressed_sparse_indices_kernelILNS2_8CDimNameE0ENS2_18CUDAKernelLauncherENS2_14EmptyVecKernelENS2_8DummyVecELm8EEEvRKNS_6TensorESA_lllENKUlvE1_clEvENKUlvE_clEvEUliiiiiE_St5arrayIPcLm6EEEEviT0_T1_.uses_vcc, 1
	.set _ZN2at6native29vectorized_elementwise_kernelILi2EZZZNS0_12_GLOBAL__N_142_validate_compressed_sparse_indices_kernelILNS2_8CDimNameE0ENS2_18CUDAKernelLauncherENS2_14EmptyVecKernelENS2_8DummyVecELm8EEEvRKNS_6TensorESA_lllENKUlvE1_clEvENKUlvE_clEvEUliiiiiE_St5arrayIPcLm6EEEEviT0_T1_.uses_flat_scratch, 0
	.set _ZN2at6native29vectorized_elementwise_kernelILi2EZZZNS0_12_GLOBAL__N_142_validate_compressed_sparse_indices_kernelILNS2_8CDimNameE0ENS2_18CUDAKernelLauncherENS2_14EmptyVecKernelENS2_8DummyVecELm8EEEvRKNS_6TensorESA_lllENKUlvE1_clEvENKUlvE_clEvEUliiiiiE_St5arrayIPcLm6EEEEviT0_T1_.has_dyn_sized_stack, 0
	.set _ZN2at6native29vectorized_elementwise_kernelILi2EZZZNS0_12_GLOBAL__N_142_validate_compressed_sparse_indices_kernelILNS2_8CDimNameE0ENS2_18CUDAKernelLauncherENS2_14EmptyVecKernelENS2_8DummyVecELm8EEEvRKNS_6TensorESA_lllENKUlvE1_clEvENKUlvE_clEvEUliiiiiE_St5arrayIPcLm6EEEEviT0_T1_.has_recursion, 0
	.set _ZN2at6native29vectorized_elementwise_kernelILi2EZZZNS0_12_GLOBAL__N_142_validate_compressed_sparse_indices_kernelILNS2_8CDimNameE0ENS2_18CUDAKernelLauncherENS2_14EmptyVecKernelENS2_8DummyVecELm8EEEvRKNS_6TensorESA_lllENKUlvE1_clEvENKUlvE_clEvEUliiiiiE_St5arrayIPcLm6EEEEviT0_T1_.has_indirect_call, 0
	.section	.AMDGPU.csdata,"",@progbits
; Kernel info:
; codeLenInByte = 13220
; TotalNumSgprs: 71
; NumVgprs: 44
; ScratchSize: 0
; MemoryBound: 0
; FloatMode: 240
; IeeeMode: 1
; LDSByteSize: 0 bytes/workgroup (compile time only)
; SGPRBlocks: 0
; VGPRBlocks: 2
; NumSGPRsForWavesPerEU: 71
; NumVGPRsForWavesPerEU: 44
; NamedBarCnt: 0
; Occupancy: 16
; WaveLimiterHint : 1
; COMPUTE_PGM_RSRC2:SCRATCH_EN: 0
; COMPUTE_PGM_RSRC2:USER_SGPR: 2
; COMPUTE_PGM_RSRC2:TRAP_HANDLER: 0
; COMPUTE_PGM_RSRC2:TGID_X_EN: 1
; COMPUTE_PGM_RSRC2:TGID_Y_EN: 0
; COMPUTE_PGM_RSRC2:TGID_Z_EN: 0
; COMPUTE_PGM_RSRC2:TIDIG_COMP_CNT: 0
	.section	.text._ZN2at6native27unrolled_elementwise_kernelIZZZNS0_12_GLOBAL__N_142_validate_compressed_sparse_indices_kernelILNS2_8CDimNameE0ENS2_18CUDAKernelLauncherENS2_14EmptyVecKernelENS2_8DummyVecELm8EEEvRKNS_6TensorESA_lllENKUlvE1_clEvENKUlvE_clEvEUliiiiiE_St5arrayIPcLm6EELi4E23TrivialOffsetCalculatorILi5EjESH_ILi1EjENS0_6memory15LoadWithoutCastENSK_16StoreWithoutCastEEEviT_T0_T2_T3_T4_T5_,"axG",@progbits,_ZN2at6native27unrolled_elementwise_kernelIZZZNS0_12_GLOBAL__N_142_validate_compressed_sparse_indices_kernelILNS2_8CDimNameE0ENS2_18CUDAKernelLauncherENS2_14EmptyVecKernelENS2_8DummyVecELm8EEEvRKNS_6TensorESA_lllENKUlvE1_clEvENKUlvE_clEvEUliiiiiE_St5arrayIPcLm6EELi4E23TrivialOffsetCalculatorILi5EjESH_ILi1EjENS0_6memory15LoadWithoutCastENSK_16StoreWithoutCastEEEviT_T0_T2_T3_T4_T5_,comdat
	.globl	_ZN2at6native27unrolled_elementwise_kernelIZZZNS0_12_GLOBAL__N_142_validate_compressed_sparse_indices_kernelILNS2_8CDimNameE0ENS2_18CUDAKernelLauncherENS2_14EmptyVecKernelENS2_8DummyVecELm8EEEvRKNS_6TensorESA_lllENKUlvE1_clEvENKUlvE_clEvEUliiiiiE_St5arrayIPcLm6EELi4E23TrivialOffsetCalculatorILi5EjESH_ILi1EjENS0_6memory15LoadWithoutCastENSK_16StoreWithoutCastEEEviT_T0_T2_T3_T4_T5_ ; -- Begin function _ZN2at6native27unrolled_elementwise_kernelIZZZNS0_12_GLOBAL__N_142_validate_compressed_sparse_indices_kernelILNS2_8CDimNameE0ENS2_18CUDAKernelLauncherENS2_14EmptyVecKernelENS2_8DummyVecELm8EEEvRKNS_6TensorESA_lllENKUlvE1_clEvENKUlvE_clEvEUliiiiiE_St5arrayIPcLm6EELi4E23TrivialOffsetCalculatorILi5EjESH_ILi1EjENS0_6memory15LoadWithoutCastENSK_16StoreWithoutCastEEEviT_T0_T2_T3_T4_T5_
	.p2align	8
	.type	_ZN2at6native27unrolled_elementwise_kernelIZZZNS0_12_GLOBAL__N_142_validate_compressed_sparse_indices_kernelILNS2_8CDimNameE0ENS2_18CUDAKernelLauncherENS2_14EmptyVecKernelENS2_8DummyVecELm8EEEvRKNS_6TensorESA_lllENKUlvE1_clEvENKUlvE_clEvEUliiiiiE_St5arrayIPcLm6EELi4E23TrivialOffsetCalculatorILi5EjESH_ILi1EjENS0_6memory15LoadWithoutCastENSK_16StoreWithoutCastEEEviT_T0_T2_T3_T4_T5_,@function
_ZN2at6native27unrolled_elementwise_kernelIZZZNS0_12_GLOBAL__N_142_validate_compressed_sparse_indices_kernelILNS2_8CDimNameE0ENS2_18CUDAKernelLauncherENS2_14EmptyVecKernelENS2_8DummyVecELm8EEEvRKNS_6TensorESA_lllENKUlvE1_clEvENKUlvE_clEvEUliiiiiE_St5arrayIPcLm6EELi4E23TrivialOffsetCalculatorILi5EjESH_ILi1EjENS0_6memory15LoadWithoutCastENSK_16StoreWithoutCastEEEviT_T0_T2_T3_T4_T5_: ; @_ZN2at6native27unrolled_elementwise_kernelIZZZNS0_12_GLOBAL__N_142_validate_compressed_sparse_indices_kernelILNS2_8CDimNameE0ENS2_18CUDAKernelLauncherENS2_14EmptyVecKernelENS2_8DummyVecELm8EEEvRKNS_6TensorESA_lllENKUlvE1_clEvENKUlvE_clEvEUliiiiiE_St5arrayIPcLm6EELi4E23TrivialOffsetCalculatorILi5EjESH_ILi1EjENS0_6memory15LoadWithoutCastENSK_16StoreWithoutCastEEEviT_T0_T2_T3_T4_T5_
; %bb.0:
	s_load_b32 s2, s[0:1], 0x0
	s_bfe_u32 s4, ttmp6, 0x4000c
	s_and_b32 s3, ttmp6, 15
	s_add_co_i32 s4, s4, 1
	s_getreg_b32 s5, hwreg(HW_REG_IB_STS2, 6, 4)
	s_mul_i32 s4, ttmp9, s4
	s_load_b128 s[12:15], s[0:1], 0xd0
	s_add_co_i32 s3, s3, s4
	s_cmp_eq_u32 s5, 0
	s_load_b256 s[4:11], s[0:1], 0xb0
	s_cselect_b32 s3, ttmp9, s3
	v_mov_b64_e32 v[6:7], 0
	s_lshl_b32 s3, s3, 10
	v_dual_mov_b32 v3, 0 :: v_dual_mov_b32 v5, 0
	v_dual_mov_b32 v4, 0 :: v_dual_mov_b32 v2, 0
	;; [unrolled: 1-line block ×4, first 2 shown]
	s_wait_kmcnt 0x0
	s_sub_co_i32 s28, s2, s3
	v_or_b32_e32 v1, 0x100, v0
	v_cmp_gt_i32_e64 s2, s28, v0
	v_dual_mov_b32 v12, 0 :: v_dual_mov_b32 v13, 0
	v_dual_mov_b32 v15, 0 :: v_dual_mov_b32 v16, 0
	;; [unrolled: 1-line block ×5, first 2 shown]
	v_mov_b32_e32 v24, 0
	s_mov_b32 s37, 0
	s_and_saveexec_b32 s16, s2
	s_cbranch_execz .LBB20_8
; %bb.1:
	v_dual_mov_b32 v18, 0 :: v_dual_bitop2_b32 v2, s3, v0 bitop3:0x54
	v_mov_b64_e32 v[6:7], 0
	v_or_b32_e32 v21, 0x100, v0
	v_dual_mov_b32 v14, 0 :: v_dual_mov_b32 v16, 0
	s_clause 0x4
	global_load_b32 v17, v2, s[6:7] scale_offset
	global_load_b32 v19, v2, s[8:9] scale_offset
	;; [unrolled: 1-line block ×5, first 2 shown]
	v_dual_mov_b32 v15, 0 :: v_dual_mov_b32 v13, 0
	v_dual_mov_b32 v12, 0 :: v_dual_mov_b32 v10, 0
	;; [unrolled: 1-line block ×3, first 2 shown]
	s_wait_xcnt 0x0
	v_dual_mov_b32 v9, 0 :: v_dual_mov_b32 v2, 0
	v_dual_mov_b32 v4, 0 :: v_dual_mov_b32 v5, 0
	v_mov_b32_e32 v3, 0
	s_mov_b32 s17, exec_lo
	v_cmpx_gt_u32_e64 s28, v21
	s_cbranch_execz .LBB20_7
; %bb.2:
	v_dual_add_nc_u32 v2, s3, v21 :: v_dual_mov_b32 v12, 0
	v_mov_b64_e32 v[6:7], 0
	v_or_b32_e32 v21, 0x200, v0
	v_dual_mov_b32 v10, 0 :: v_dual_mov_b32 v8, 0
	s_clause 0x4
	global_load_b32 v13, v2, s[6:7] scale_offset
	global_load_b32 v15, v2, s[8:9] scale_offset
	global_load_b32 v16, v2, s[10:11] scale_offset
	global_load_b32 v14, v2, s[12:13] scale_offset
	global_load_b32 v18, v2, s[14:15] scale_offset
	v_dual_mov_b32 v11, 0 :: v_dual_mov_b32 v9, 0
	s_wait_xcnt 0x0
	v_dual_mov_b32 v2, 0 :: v_dual_mov_b32 v4, 0
	v_dual_mov_b32 v5, 0 :: v_dual_mov_b32 v3, 0
	s_mov_b32 s18, exec_lo
	v_cmpx_gt_u32_e64 s28, v21
	s_cbranch_execz .LBB20_6
; %bb.3:
	v_dual_add_nc_u32 v2, s3, v21 :: v_dual_mov_b32 v4, 0
	v_mov_b64_e32 v[6:7], 0
	v_or_b32_e32 v21, 0x300, v0
	v_mov_b32_e32 v3, 0
	s_clause 0x4
	global_load_b32 v9, v2, s[6:7] scale_offset
	global_load_b32 v11, v2, s[8:9] scale_offset
	global_load_b32 v8, v2, s[10:11] scale_offset
	global_load_b32 v10, v2, s[12:13] scale_offset
	global_load_b32 v12, v2, s[14:15] scale_offset
	s_wait_xcnt 0x0
	v_dual_mov_b32 v2, 0 :: v_dual_mov_b32 v5, 0
	s_mov_b32 s19, exec_lo
	v_cmpx_gt_u32_e64 s28, v21
	s_cbranch_execz .LBB20_5
; %bb.4:
	v_add_nc_u32_e32 v7, s3, v21
	s_clause 0x4
	global_load_b32 v5, v7, s[8:9] scale_offset
	global_load_b32 v4, v7, s[10:11] scale_offset
	;; [unrolled: 1-line block ×5, first 2 shown]
	s_wait_loadcnt 0x2
	s_wait_xcnt 0x0
	v_ashrrev_i32_e32 v7, 31, v6
.LBB20_5:
	s_or_b32 exec_lo, exec_lo, s19
.LBB20_6:
	s_delay_alu instid0(SALU_CYCLE_1)
	s_or_b32 exec_lo, exec_lo, s18
.LBB20_7:
	s_delay_alu instid0(SALU_CYCLE_1)
	s_or_b32 exec_lo, exec_lo, s17
.LBB20_8:
	s_delay_alu instid0(SALU_CYCLE_1)
	s_or_b32 exec_lo, exec_lo, s16
	s_clause 0x1
	s_load_b128 s[8:11], s[0:1], 0x10
	s_load_b32 s26, s[0:1], 0x20
	s_get_pc_i64 s[6:7]
	s_add_nc_u64 s[6:7], s[6:7], .str.1@rel64+4
	s_get_pc_i64 s[12:13]
	s_add_nc_u64 s[12:13], s[12:13], .str.2@rel64+4
	s_cmp_lg_u64 s[6:7], 0
	s_clause 0x1
	s_load_b32 s35, s[0:1], 0x8
	s_load_b64 s[6:7], s[0:1], 0xa8
	s_get_pc_i64 s[14:15]
	s_add_nc_u64 s[14:15], s[14:15], .str.3@rel64+4
	s_cselect_b32 s36, -1, 0
	s_cmp_lg_u64 s[12:13], 0
	s_add_nc_u64 s[12:13], s[0:1], 8
	s_cselect_b32 s30, -1, 0
	s_cmp_lg_u64 s[14:15], 0
	s_get_pc_i64 s[16:17]
	s_add_nc_u64 s[16:17], s[16:17], .str.4@rel64+4
	s_cselect_b32 s29, -1, 0
	s_wait_xcnt 0x0
	s_mov_b32 s1, -1
	s_mov_b32 s39, 0
	s_mov_b32 s38, 0
	;; [unrolled: 1-line block ×3, first 2 shown]
	s_wait_kmcnt 0x0
	v_cmp_gt_i64_e64 s0, s[10:11], 0
	s_add_co_i32 s14, s26, -1
	s_delay_alu instid0(SALU_CYCLE_1) | instskip(SKIP_1) | instid1(SALU_CYCLE_1)
	s_cmp_gt_i32 s14, -1
	s_cselect_b32 s9, -1, 0
	s_and_b32 s9, s0, s9
	s_cmp_lg_u64 s[16:17], 0
	s_cselect_b32 s27, -1, 0
	s_and_saveexec_b32 s31, s2
	s_cbranch_execz .LBB20_29
; %bb.9:
	s_wait_loadcnt 0x4
	v_cmp_eq_u32_e32 vcc_lo, s35, v17
	s_mov_b32 s0, 0
	s_mov_b32 s15, 0
	;; [unrolled: 1-line block ×4, first 2 shown]
	s_and_b32 s18, s36, vcc_lo
	s_delay_alu instid0(SALU_CYCLE_1)
	s_and_saveexec_b32 s33, s18
	s_cbranch_execz .LBB20_28
; %bb.10:
	s_wait_loadcnt 0x3
	v_cmp_eq_u32_e32 vcc_lo, s10, v19
	s_and_b32 s17, s30, vcc_lo
	s_delay_alu instid0(SALU_CYCLE_1)
	s_and_saveexec_b32 s34, s17
	s_cbranch_execz .LBB20_27
; %bb.11:
	s_wait_loadcnt 0x1
	v_sub_nc_u32_e32 v19, v20, v22
	s_delay_alu instid0(VALU_DEP_1)
	v_cmp_le_i32_e32 vcc_lo, v17, v19
	v_cmp_ge_i32_e64 s0, s8, v19
	s_and_b32 s15, vcc_lo, s0
	s_mov_b32 s0, 0
	s_and_b32 s16, s29, s15
	s_mov_b32 s15, 0
	s_and_saveexec_b32 s37, s16
	s_cbranch_execz .LBB20_26
; %bb.12:
	v_mov_b64_e32 v[26:27], 0
	s_and_not1_b32 vcc_lo, exec_lo, s9
	s_cbranch_vccnz .LBB20_19
; %bb.13:
	s_wait_loadcnt 0x0
	v_ashrrev_i32_e32 v25, 31, v24
	s_ashr_i32 s15, s14, 31
	v_mov_b64_e32 v[26:27], 0
	s_lshl_b64 s[0:1], s[14:15], 3
	s_mov_b64 s[16:17], 0xffffffff
	v_mul_u64_e32 v[28:29], s[10:11], v[24:25]
	v_mov_b32_e32 v24, 0
	s_add_nc_u64 s[0:1], s[12:13], s[0:1]
	s_mov_b32 s15, s26
	s_add_nc_u64 s[18:19], s[0:1], 32
	s_mov_b32 s1, 0
	s_branch .LBB20_15
.LBB20_14:                              ;   in Loop: Header=BB20_15 Depth=1
	s_or_b32 exec_lo, exec_lo, s0
	s_delay_alu instid0(VALU_DEP_1)
	v_mul_u64_e32 v[32:33], s[20:21], v[30:31]
	s_load_b64 s[20:21], s[18:19], 0x40
	s_add_co_i32 s15, s15, -1
	s_wait_xcnt 0x0
	s_add_nc_u64 s[18:19], s[18:19], -8
	s_cmp_eq_u32 s15, 0
	s_delay_alu instid0(VALU_DEP_1) | instskip(SKIP_1) | instid1(VALU_DEP_1)
	v_sub_nc_u64_e32 v[28:29], v[28:29], v[32:33]
	s_wait_kmcnt 0x0
	v_mad_nc_u64_u32 v[26:27], v28, s20, v[26:27]
	s_delay_alu instid0(VALU_DEP_1) | instskip(NEXT) | instid1(VALU_DEP_1)
	v_mad_u32 v17, v29, s20, v27
	v_mad_u32 v27, v28, s21, v17
	v_mov_b64_e32 v[28:29], v[30:31]
	s_cbranch_scc1 .LBB20_19
.LBB20_15:                              ; =>This Inner Loop Header: Depth=1
	s_load_b64 s[20:21], s[18:19], 0x0
                                        ; implicit-def: $vgpr30_vgpr31
	s_mov_b32 s0, exec_lo
	s_wait_kmcnt 0x0
	s_delay_alu instid0(VALU_DEP_1) | instskip(NEXT) | instid1(VALU_DEP_1)
	v_or_b32_e32 v25, s21, v29
	v_cmpx_ne_u64_e32 0, v[24:25]
	s_xor_b32 s38, exec_lo, s0
	s_cbranch_execz .LBB20_17
; %bb.16:                               ;   in Loop: Header=BB20_15 Depth=1
	s_ashr_i32 s22, s21, 31
	v_dual_mov_b32 v35, v24 :: v_dual_ashrrev_i32 v30, 31, v29
	s_mov_b32 s23, s22
	s_delay_alu instid0(SALU_CYCLE_1) | instskip(NEXT) | instid1(VALU_DEP_1)
	s_add_nc_u64 s[24:25], s[20:21], s[22:23]
	v_mov_b32_e32 v31, v30
	s_xor_b64 s[24:25], s[24:25], s[22:23]
	s_delay_alu instid0(SALU_CYCLE_1)
	s_cvt_f32_u32 s0, s24
	s_cvt_f32_u32 s23, s25
	s_sub_nc_u64 s[42:43], 0, s[24:25]
	v_add_nc_u64_e32 v[32:33], v[28:29], v[30:31]
	v_mov_b32_e32 v39, v24
	s_fmamk_f32 s0, s23, 0x4f800000, s0
	s_delay_alu instid0(SALU_CYCLE_3) | instskip(NEXT) | instid1(VALU_DEP_2)
	v_s_rcp_f32 s0, s0
	v_xor_b32_e32 v34, v32, v30
	s_delay_alu instid0(VALU_DEP_3) | instskip(NEXT) | instid1(TRANS32_DEP_1)
	v_dual_mov_b32 v43, v24 :: v_dual_bitop2_b32 v38, v33, v30 bitop3:0x14
	s_mul_f32 s0, s0, 0x5f7ffffc
	s_delay_alu instid0(SALU_CYCLE_3) | instskip(NEXT) | instid1(SALU_CYCLE_3)
	s_mul_f32 s23, s0, 0x2f800000
	s_trunc_f32 s23, s23
	s_delay_alu instid0(SALU_CYCLE_3) | instskip(SKIP_1) | instid1(SALU_CYCLE_2)
	s_fmamk_f32 s0, s23, 0xcf800000, s0
	s_cvt_u32_f32 s41, s23
	s_cvt_u32_f32 s40, s0
	s_delay_alu instid0(SALU_CYCLE_3) | instskip(NEXT) | instid1(SALU_CYCLE_1)
	s_mul_u64 s[44:45], s[42:43], s[40:41]
	s_mul_hi_u32 s47, s40, s45
	s_mul_i32 s46, s40, s45
	s_mul_hi_u32 s0, s40, s44
	s_mul_i32 s39, s41, s44
	s_add_nc_u64 s[46:47], s[0:1], s[46:47]
	s_mul_hi_u32 s23, s41, s44
	s_mul_hi_u32 s48, s41, s45
	s_add_co_u32 s0, s46, s39
	s_add_co_ci_u32 s0, s47, s23
	s_mul_i32 s44, s41, s45
	s_add_co_ci_u32 s45, s48, 0
	s_delay_alu instid0(SALU_CYCLE_1) | instskip(NEXT) | instid1(SALU_CYCLE_1)
	s_add_nc_u64 s[44:45], s[0:1], s[44:45]
	s_add_co_u32 s40, s40, s44
	s_cselect_b32 s0, -1, 0
	s_delay_alu instid0(SALU_CYCLE_1) | instskip(SKIP_1) | instid1(SALU_CYCLE_1)
	s_cmp_lg_u32 s0, 0
	s_add_co_ci_u32 s41, s41, s45
	s_mul_u64 s[42:43], s[42:43], s[40:41]
	s_delay_alu instid0(SALU_CYCLE_1)
	s_mul_hi_u32 s45, s40, s43
	s_mul_i32 s44, s40, s43
	s_mul_hi_u32 s0, s40, s42
	s_mul_i32 s39, s41, s42
	s_add_nc_u64 s[44:45], s[0:1], s[44:45]
	s_mul_hi_u32 s23, s41, s42
	s_mul_hi_u32 s46, s41, s43
	s_add_co_u32 s0, s44, s39
	s_add_co_ci_u32 s0, s45, s23
	s_mul_i32 s42, s41, s43
	s_add_co_ci_u32 s43, s46, 0
	s_delay_alu instid0(SALU_CYCLE_1) | instskip(NEXT) | instid1(SALU_CYCLE_1)
	s_add_nc_u64 s[42:43], s[0:1], s[42:43]
	s_add_co_u32 s40, s40, s42
	s_cselect_b32 s0, -1, 0
	v_mul_hi_u32 v42, v34, s40
	s_cmp_lg_u32 s0, 0
	s_add_co_ci_u32 s0, s41, s43
	s_and_b64 s[42:43], s[40:41], s[16:17]
	v_mul_u64_e32 v[36:37], s[0:1], v[34:35]
	v_mul_u64_e32 v[32:33], s[42:43], v[38:39]
	;; [unrolled: 1-line block ×3, first 2 shown]
	s_delay_alu instid0(VALU_DEP_3) | instskip(NEXT) | instid1(VALU_DEP_1)
	v_add_nc_u64_e32 v[36:37], v[42:43], v[36:37]
	v_add_co_u32 v17, vcc_lo, v36, v32
	s_delay_alu instid0(VALU_DEP_2) | instskip(NEXT) | instid1(VALU_DEP_4)
	v_add_co_ci_u32_e32 v42, vcc_lo, v37, v33, vcc_lo
	v_add_co_ci_u32_e32 v41, vcc_lo, 0, v41, vcc_lo
	s_delay_alu instid0(VALU_DEP_1) | instskip(NEXT) | instid1(VALU_DEP_1)
	v_add_nc_u64_e32 v[32:33], v[42:43], v[40:41]
	v_mul_u64_e32 v[36:37], s[24:25], v[32:33]
	s_delay_alu instid0(VALU_DEP_1) | instskip(NEXT) | instid1(VALU_DEP_2)
	v_sub_nc_u32_e32 v17, v38, v37
	v_sub_co_u32 v19, vcc_lo, v34, v36
	s_delay_alu instid0(VALU_DEP_1) | instskip(NEXT) | instid1(VALU_DEP_3)
	v_sub_co_ci_u32_e64 v23, null, v38, v37, vcc_lo
	v_subrev_co_ci_u32_e64 v17, null, s25, v17, vcc_lo
	s_delay_alu instid0(VALU_DEP_3) | instskip(SKIP_1) | instid1(VALU_DEP_3)
	v_sub_co_u32 v21, s0, v19, s24
	v_add_nc_u64_e32 v[34:35], 2, v[32:33]
	v_subrev_co_ci_u32_e64 v17, null, 0, v17, s0
	s_delay_alu instid0(VALU_DEP_3) | instskip(SKIP_2) | instid1(VALU_DEP_4)
	v_cmp_le_u32_e32 vcc_lo, s24, v21
	v_add_nc_u64_e32 v[36:37], 1, v[32:33]
	v_cndmask_b32_e64 v21, 0, -1, vcc_lo
	v_cmp_le_u32_e32 vcc_lo, s25, v17
	v_cndmask_b32_e64 v25, 0, -1, vcc_lo
	v_cmp_le_u32_e32 vcc_lo, s24, v19
	;; [unrolled: 2-line block ×3, first 2 shown]
	v_cndmask_b32_e64 v31, 0, -1, vcc_lo
	v_cmp_eq_u32_e32 vcc_lo, s25, v17
	v_cndmask_b32_e32 v17, v25, v21, vcc_lo
	v_cmp_eq_u32_e32 vcc_lo, s25, v23
	s_delay_alu instid0(VALU_DEP_4) | instskip(NEXT) | instid1(VALU_DEP_3)
	v_cndmask_b32_e32 v19, v31, v19, vcc_lo
	v_cmp_ne_u32_e32 vcc_lo, 0, v17
	s_delay_alu instid0(VALU_DEP_2) | instskip(SKIP_1) | instid1(VALU_DEP_1)
	v_cmp_ne_u32_e64 s0, 0, v19
	v_dual_cndmask_b32 v17, v37, v35, vcc_lo :: v_dual_cndmask_b32 v19, v36, v34, vcc_lo
	v_dual_cndmask_b32 v17, v33, v17, s0 :: v_dual_bitop2_b32 v30, s22, v30 bitop3:0x14
	s_delay_alu instid0(VALU_DEP_1) | instskip(NEXT) | instid1(VALU_DEP_2)
	v_dual_cndmask_b32 v19, v32, v19, s0 :: v_dual_mov_b32 v31, v30
	v_xor_b32_e32 v33, v17, v30
	s_delay_alu instid0(VALU_DEP_2) | instskip(NEXT) | instid1(VALU_DEP_1)
	v_xor_b32_e32 v32, v19, v30
	v_sub_nc_u64_e32 v[30:31], v[32:33], v[30:31]
.LBB20_17:                              ;   in Loop: Header=BB20_15 Depth=1
	s_and_not1_saveexec_b32 s0, s38
	s_cbranch_execz .LBB20_14
; %bb.18:                               ;   in Loop: Header=BB20_15 Depth=1
	v_cvt_f32_u32_e32 v17, s20
	s_sub_co_i32 s22, 0, s20
	v_mov_b32_e32 v31, v24
	s_delay_alu instid0(VALU_DEP_2) | instskip(SKIP_1) | instid1(TRANS32_DEP_1)
	v_rcp_iflag_f32_e32 v17, v17
	v_nop
	v_mul_f32_e32 v17, 0x4f7ffffe, v17
	s_delay_alu instid0(VALU_DEP_1) | instskip(NEXT) | instid1(VALU_DEP_1)
	v_cvt_u32_f32_e32 v17, v17
	v_mul_lo_u32 v19, s22, v17
	s_delay_alu instid0(VALU_DEP_1) | instskip(NEXT) | instid1(VALU_DEP_1)
	v_mul_hi_u32 v19, v17, v19
	v_add_nc_u32_e32 v17, v17, v19
	s_delay_alu instid0(VALU_DEP_1) | instskip(NEXT) | instid1(VALU_DEP_1)
	v_mul_hi_u32 v17, v28, v17
	v_mul_lo_u32 v19, v17, s20
	s_delay_alu instid0(VALU_DEP_1) | instskip(NEXT) | instid1(VALU_DEP_1)
	v_sub_nc_u32_e32 v19, v28, v19
	v_subrev_nc_u32_e32 v23, s20, v19
	v_cmp_le_u32_e32 vcc_lo, s20, v19
	s_delay_alu instid0(VALU_DEP_2) | instskip(NEXT) | instid1(VALU_DEP_1)
	v_dual_add_nc_u32 v21, 1, v17 :: v_dual_cndmask_b32 v19, v19, v23, vcc_lo
	v_cndmask_b32_e32 v17, v17, v21, vcc_lo
	s_delay_alu instid0(VALU_DEP_2) | instskip(NEXT) | instid1(VALU_DEP_2)
	v_cmp_le_u32_e32 vcc_lo, s20, v19
	v_add_nc_u32_e32 v21, 1, v17
	s_delay_alu instid0(VALU_DEP_1)
	v_cndmask_b32_e32 v30, v17, v21, vcc_lo
	s_branch .LBB20_14
.LBB20_19:
	s_mov_b32 s16, -1
	s_mov_b32 s1, 0
	s_mov_b32 s0, exec_lo
	v_cmpx_gt_i32_e64 v20, v22
	s_cbranch_execz .LBB20_25
; %bb.20:
	s_wait_loadcnt 0x0
	s_delay_alu instid0(VALU_DEP_2) | instskip(SKIP_2) | instid1(VALU_DEP_1)
	v_lshlrev_b64_e32 v[24:25], 2, v[26:27]
	v_dual_ashrrev_i32 v23, 31, v22 :: v_dual_ashrrev_i32 v21, 31, v20
	s_xor_b32 s16, s27, -1
                                        ; implicit-def: $sgpr15
                                        ; implicit-def: $sgpr18
                                        ; implicit-def: $sgpr17
	v_lshl_add_u64 v[22:23], v[22:23], 2, v[24:25]
	v_add_nc_u64_e32 v[24:25], s[6:7], v[24:25]
	s_delay_alu instid0(VALU_DEP_2) | instskip(NEXT) | instid1(VALU_DEP_2)
	v_add_nc_u64_e32 v[22:23], s[6:7], v[22:23]
	v_lshl_add_u64 v[20:21], v[20:21], 2, v[24:25]
	s_delay_alu instid0(VALU_DEP_2)
	v_add_nc_u64_e32 v[22:23], 4, v[22:23]
	s_branch .LBB20_22
.LBB20_21:                              ;   in Loop: Header=BB20_22 Depth=1
	s_or_b32 exec_lo, exec_lo, s19
	s_delay_alu instid0(SALU_CYCLE_1) | instskip(NEXT) | instid1(SALU_CYCLE_1)
	s_and_b32 s19, exec_lo, s18
	s_or_b32 s1, s19, s1
	s_and_not1_b32 s15, s15, exec_lo
	s_and_b32 s19, s17, exec_lo
	s_delay_alu instid0(SALU_CYCLE_1)
	s_or_b32 s15, s15, s19
	s_and_not1_b32 exec_lo, exec_lo, s1
	s_cbranch_execz .LBB20_24
.LBB20_22:                              ; =>This Inner Loop Header: Depth=1
	s_or_b32 s17, s17, exec_lo
	s_or_b32 s18, s18, exec_lo
	s_mov_b32 s19, exec_lo
	s_delay_alu instid0(VALU_DEP_1)
	v_cmpx_lt_u64_e64 v[22:23], v[20:21]
	s_cbranch_execz .LBB20_21
; %bb.23:                               ;   in Loop: Header=BB20_22 Depth=1
	global_load_b64 v[24:25], v[22:23], off offset:-4
	s_wait_xcnt 0x0
	v_add_nc_u64_e32 v[22:23], 4, v[22:23]
	s_and_not1_b32 s18, s18, exec_lo
	s_and_not1_b32 s17, s17, exec_lo
	s_wait_loadcnt 0x0
	v_cmp_ge_i32_e32 vcc_lo, v24, v25
	s_or_b32 s20, s16, vcc_lo
	s_delay_alu instid0(SALU_CYCLE_1) | instskip(NEXT) | instid1(SALU_CYCLE_1)
	s_and_b32 s20, s20, exec_lo
	s_or_b32 s18, s18, s20
	s_branch .LBB20_21
.LBB20_24:
	s_or_b32 exec_lo, exec_lo, s1
	s_delay_alu instid0(SALU_CYCLE_1)
	s_mov_b32 s1, exec_lo
	s_or_not1_b32 s16, s15, exec_lo
.LBB20_25:
	s_or_b32 exec_lo, exec_lo, s0
	s_delay_alu instid0(SALU_CYCLE_1)
	s_and_b32 s15, s1, exec_lo
	s_xor_b32 s1, exec_lo, -1
	s_and_b32 s0, s16, exec_lo
.LBB20_26:
	s_or_b32 exec_lo, exec_lo, s37
	s_delay_alu instid0(SALU_CYCLE_1)
	s_and_b32 s16, s15, exec_lo
	s_and_b32 s15, s1, exec_lo
	s_xor_b32 s1, exec_lo, -1
	s_and_b32 s0, s0, exec_lo
.LBB20_27:
	s_or_b32 exec_lo, exec_lo, s34
	s_delay_alu instid0(SALU_CYCLE_1)
	s_and_b32 s17, s16, exec_lo
	s_and_b32 s16, s15, exec_lo
	;; [unrolled: 1-line block ×3, first 2 shown]
	s_xor_b32 s1, exec_lo, -1
	s_and_b32 s0, s0, exec_lo
.LBB20_28:
	s_or_b32 exec_lo, exec_lo, s33
	s_delay_alu instid0(SALU_CYCLE_1)
	s_and_b32 s33, s17, exec_lo
	s_and_b32 s38, s16, exec_lo
	;; [unrolled: 1-line block ×4, first 2 shown]
	s_or_not1_b32 s1, s0, exec_lo
.LBB20_29:
	s_or_b32 exec_lo, exec_lo, s31
	s_mov_b32 s34, 0
	s_mov_b32 s0, 0
	;; [unrolled: 1-line block ×3, first 2 shown]
                                        ; implicit-def: $sgpr31
                                        ; implicit-def: $sgpr40
                                        ; implicit-def: $sgpr18
                                        ; implicit-def: $vgpr17
                                        ; implicit-def: $vgpr20
	s_and_saveexec_b32 s41, s1
	s_cbranch_execz .LBB20_79
; %bb.30:
	v_cmp_gt_i32_e64 s31, s28, v1
	s_mov_b32 s0, -1
	s_mov_b32 s47, 0
	s_mov_b32 s42, s37
	;; [unrolled: 1-line block ×5, first 2 shown]
	s_and_saveexec_b32 s40, s31
	s_cbranch_execz .LBB20_51
; %bb.31:
	s_wait_loadcnt 0x4
	v_cmp_eq_u32_e32 vcc_lo, s35, v13
	s_mov_b32 s1, -1
	s_mov_b32 s0, 0
	s_mov_b32 s16, s39
	;; [unrolled: 1-line block ×3, first 2 shown]
	s_and_b32 s18, s36, vcc_lo
	s_mov_b32 s15, 0
	s_and_saveexec_b32 s42, s18
	s_cbranch_execz .LBB20_50
; %bb.32:
	s_wait_loadcnt 0x3
	v_cmp_eq_u32_e32 vcc_lo, s10, v15
	s_mov_b32 s16, s38
	s_and_b32 s17, s30, vcc_lo
	s_delay_alu instid0(SALU_CYCLE_1)
	s_and_saveexec_b32 s43, s17
	s_cbranch_execz .LBB20_49
; %bb.33:
	s_wait_loadcnt 0x1
	v_sub_nc_u32_e32 v15, v14, v16
	s_delay_alu instid0(VALU_DEP_1)
	v_cmp_le_i32_e32 vcc_lo, v13, v15
	v_cmp_ge_i32_e64 s0, s8, v15
	s_and_b32 s15, vcc_lo, s0
	s_mov_b32 s0, 0
	s_and_b32 s16, s29, s15
	s_mov_b32 s15, 0
	s_and_saveexec_b32 s44, s16
	s_cbranch_execz .LBB20_48
; %bb.34:
	v_mov_b64_e32 v[20:21], 0
	s_and_not1_b32 vcc_lo, exec_lo, s9
	s_cbranch_vccnz .LBB20_41
; %bb.35:
	s_wait_loadcnt 0x0
	v_ashrrev_i32_e32 v19, 31, v18
	s_ashr_i32 s15, s14, 31
	v_mov_b64_e32 v[20:21], 0
	s_lshl_b64 s[0:1], s[14:15], 3
	s_mov_b64 s[16:17], 0xffffffff
	v_mul_u64_e32 v[22:23], s[10:11], v[18:19]
	v_mov_b32_e32 v18, 0
	s_add_nc_u64 s[0:1], s[12:13], s[0:1]
	s_mov_b32 s15, s26
	s_add_nc_u64 s[18:19], s[0:1], 32
	s_mov_b32 s1, 0
	s_branch .LBB20_37
.LBB20_36:                              ;   in Loop: Header=BB20_37 Depth=1
	s_or_b32 exec_lo, exec_lo, s0
	s_delay_alu instid0(VALU_DEP_1)
	v_mul_u64_e32 v[26:27], s[20:21], v[24:25]
	s_load_b64 s[20:21], s[18:19], 0x40
	s_add_co_i32 s15, s15, -1
	s_wait_xcnt 0x0
	s_add_nc_u64 s[18:19], s[18:19], -8
	s_cmp_lg_u32 s15, 0
	s_delay_alu instid0(VALU_DEP_1) | instskip(SKIP_1) | instid1(VALU_DEP_1)
	v_sub_nc_u64_e32 v[22:23], v[22:23], v[26:27]
	s_wait_kmcnt 0x0
	v_mad_nc_u64_u32 v[20:21], v22, s20, v[20:21]
	s_delay_alu instid0(VALU_DEP_1) | instskip(NEXT) | instid1(VALU_DEP_1)
	v_mad_u32 v13, v23, s20, v21
	v_mad_u32 v21, v22, s21, v13
	v_mov_b64_e32 v[22:23], v[24:25]
	s_cbranch_scc0 .LBB20_41
.LBB20_37:                              ; =>This Inner Loop Header: Depth=1
	s_load_b64 s[20:21], s[18:19], 0x0
                                        ; implicit-def: $vgpr24_vgpr25
	s_mov_b32 s0, exec_lo
	s_wait_kmcnt 0x0
	s_delay_alu instid0(VALU_DEP_1) | instskip(NEXT) | instid1(VALU_DEP_1)
	v_or_b32_e32 v19, s21, v23
	v_cmpx_ne_u64_e32 0, v[18:19]
	s_xor_b32 s45, exec_lo, s0
	s_cbranch_execz .LBB20_39
; %bb.38:                               ;   in Loop: Header=BB20_37 Depth=1
	s_ashr_i32 s22, s21, 31
	v_dual_mov_b32 v29, v18 :: v_dual_ashrrev_i32 v24, 31, v23
	s_mov_b32 s23, s22
	s_delay_alu instid0(SALU_CYCLE_1) | instskip(NEXT) | instid1(VALU_DEP_1)
	s_add_nc_u64 s[24:25], s[20:21], s[22:23]
	v_mov_b32_e32 v25, v24
	s_xor_b64 s[24:25], s[24:25], s[22:23]
	s_delay_alu instid0(SALU_CYCLE_1)
	s_cvt_f32_u32 s0, s24
	s_cvt_f32_u32 s23, s25
	s_sub_nc_u64 s[50:51], 0, s[24:25]
	v_add_nc_u64_e32 v[26:27], v[22:23], v[24:25]
	v_mov_b32_e32 v33, v18
	s_fmamk_f32 s0, s23, 0x4f800000, s0
	s_delay_alu instid0(SALU_CYCLE_3) | instskip(NEXT) | instid1(VALU_DEP_2)
	v_s_rcp_f32 s0, s0
	v_xor_b32_e32 v28, v26, v24
	s_delay_alu instid0(VALU_DEP_3) | instskip(NEXT) | instid1(TRANS32_DEP_1)
	v_dual_mov_b32 v37, v18 :: v_dual_bitop2_b32 v32, v27, v24 bitop3:0x14
	s_mul_f32 s0, s0, 0x5f7ffffc
	s_delay_alu instid0(SALU_CYCLE_3) | instskip(NEXT) | instid1(SALU_CYCLE_3)
	s_mul_f32 s23, s0, 0x2f800000
	s_trunc_f32 s23, s23
	s_delay_alu instid0(SALU_CYCLE_3) | instskip(SKIP_1) | instid1(SALU_CYCLE_2)
	s_fmamk_f32 s0, s23, 0xcf800000, s0
	s_cvt_u32_f32 s49, s23
	s_cvt_u32_f32 s48, s0
	s_delay_alu instid0(SALU_CYCLE_3) | instskip(NEXT) | instid1(SALU_CYCLE_1)
	s_mul_u64 s[52:53], s[50:51], s[48:49]
	s_mul_hi_u32 s55, s48, s53
	s_mul_i32 s54, s48, s53
	s_mul_hi_u32 s0, s48, s52
	s_mul_i32 s46, s49, s52
	s_add_nc_u64 s[54:55], s[0:1], s[54:55]
	s_mul_hi_u32 s23, s49, s52
	s_mul_hi_u32 s56, s49, s53
	s_add_co_u32 s0, s54, s46
	s_add_co_ci_u32 s0, s55, s23
	s_mul_i32 s52, s49, s53
	s_add_co_ci_u32 s53, s56, 0
	s_delay_alu instid0(SALU_CYCLE_1) | instskip(NEXT) | instid1(SALU_CYCLE_1)
	s_add_nc_u64 s[52:53], s[0:1], s[52:53]
	s_add_co_u32 s48, s48, s52
	s_cselect_b32 s0, -1, 0
	s_delay_alu instid0(SALU_CYCLE_1) | instskip(SKIP_1) | instid1(SALU_CYCLE_1)
	s_cmp_lg_u32 s0, 0
	s_add_co_ci_u32 s49, s49, s53
	s_mul_u64 s[50:51], s[50:51], s[48:49]
	s_delay_alu instid0(SALU_CYCLE_1)
	s_mul_hi_u32 s53, s48, s51
	s_mul_i32 s52, s48, s51
	s_mul_hi_u32 s0, s48, s50
	s_mul_i32 s46, s49, s50
	s_add_nc_u64 s[52:53], s[0:1], s[52:53]
	s_mul_hi_u32 s23, s49, s50
	s_mul_hi_u32 s54, s49, s51
	s_add_co_u32 s0, s52, s46
	s_add_co_ci_u32 s0, s53, s23
	s_mul_i32 s50, s49, s51
	s_add_co_ci_u32 s51, s54, 0
	s_delay_alu instid0(SALU_CYCLE_1) | instskip(NEXT) | instid1(SALU_CYCLE_1)
	s_add_nc_u64 s[50:51], s[0:1], s[50:51]
	s_add_co_u32 s46, s48, s50
	s_cselect_b32 s0, -1, 0
	v_mul_hi_u32 v36, v28, s46
	s_cmp_lg_u32 s0, 0
	s_add_co_ci_u32 s0, s49, s51
	s_and_b64 s[48:49], s[46:47], s[16:17]
	v_mul_u64_e32 v[30:31], s[0:1], v[28:29]
	v_mul_u64_e32 v[26:27], s[48:49], v[32:33]
	;; [unrolled: 1-line block ×3, first 2 shown]
	s_delay_alu instid0(VALU_DEP_3) | instskip(NEXT) | instid1(VALU_DEP_1)
	v_add_nc_u64_e32 v[30:31], v[36:37], v[30:31]
	v_add_co_u32 v13, vcc_lo, v30, v26
	s_delay_alu instid0(VALU_DEP_2) | instskip(NEXT) | instid1(VALU_DEP_4)
	v_add_co_ci_u32_e32 v36, vcc_lo, v31, v27, vcc_lo
	v_add_co_ci_u32_e32 v35, vcc_lo, 0, v35, vcc_lo
	s_delay_alu instid0(VALU_DEP_1) | instskip(NEXT) | instid1(VALU_DEP_1)
	v_add_nc_u64_e32 v[26:27], v[36:37], v[34:35]
	v_mul_u64_e32 v[30:31], s[24:25], v[26:27]
	s_delay_alu instid0(VALU_DEP_1) | instskip(NEXT) | instid1(VALU_DEP_2)
	v_sub_nc_u32_e32 v13, v32, v31
	v_sub_co_u32 v15, vcc_lo, v28, v30
	s_delay_alu instid0(VALU_DEP_1) | instskip(NEXT) | instid1(VALU_DEP_3)
	v_sub_co_ci_u32_e64 v19, null, v32, v31, vcc_lo
	v_subrev_co_ci_u32_e64 v13, null, s25, v13, vcc_lo
	s_delay_alu instid0(VALU_DEP_3) | instskip(SKIP_1) | instid1(VALU_DEP_3)
	v_sub_co_u32 v17, s0, v15, s24
	v_add_nc_u64_e32 v[28:29], 2, v[26:27]
	v_subrev_co_ci_u32_e64 v13, null, 0, v13, s0
	s_delay_alu instid0(VALU_DEP_3) | instskip(SKIP_2) | instid1(VALU_DEP_4)
	v_cmp_le_u32_e32 vcc_lo, s24, v17
	v_add_nc_u64_e32 v[30:31], 1, v[26:27]
	v_cndmask_b32_e64 v17, 0, -1, vcc_lo
	v_cmp_le_u32_e32 vcc_lo, s25, v13
	v_cndmask_b32_e64 v25, 0, -1, vcc_lo
	v_cmp_le_u32_e32 vcc_lo, s24, v15
	;; [unrolled: 2-line block ×3, first 2 shown]
	v_cndmask_b32_e64 v32, 0, -1, vcc_lo
	v_cmp_eq_u32_e32 vcc_lo, s25, v13
	v_cndmask_b32_e32 v13, v25, v17, vcc_lo
	v_cmp_eq_u32_e32 vcc_lo, s25, v19
	s_delay_alu instid0(VALU_DEP_4) | instskip(NEXT) | instid1(VALU_DEP_3)
	v_cndmask_b32_e32 v15, v32, v15, vcc_lo
	v_cmp_ne_u32_e32 vcc_lo, 0, v13
	s_delay_alu instid0(VALU_DEP_2) | instskip(SKIP_1) | instid1(VALU_DEP_1)
	v_cmp_ne_u32_e64 s0, 0, v15
	v_dual_cndmask_b32 v13, v31, v29, vcc_lo :: v_dual_cndmask_b32 v15, v30, v28, vcc_lo
	v_dual_cndmask_b32 v13, v27, v13, s0 :: v_dual_bitop2_b32 v24, s22, v24 bitop3:0x14
	s_delay_alu instid0(VALU_DEP_1) | instskip(NEXT) | instid1(VALU_DEP_2)
	v_dual_cndmask_b32 v15, v26, v15, s0 :: v_dual_mov_b32 v25, v24
	v_xor_b32_e32 v27, v13, v24
	s_delay_alu instid0(VALU_DEP_2) | instskip(NEXT) | instid1(VALU_DEP_1)
	v_xor_b32_e32 v26, v15, v24
	v_sub_nc_u64_e32 v[24:25], v[26:27], v[24:25]
.LBB20_39:                              ;   in Loop: Header=BB20_37 Depth=1
	s_and_not1_saveexec_b32 s0, s45
	s_cbranch_execz .LBB20_36
; %bb.40:                               ;   in Loop: Header=BB20_37 Depth=1
	v_cvt_f32_u32_e32 v13, s20
	s_sub_co_i32 s22, 0, s20
	v_mov_b32_e32 v25, v18
	s_delay_alu instid0(VALU_DEP_2) | instskip(SKIP_1) | instid1(TRANS32_DEP_1)
	v_rcp_iflag_f32_e32 v13, v13
	v_nop
	v_mul_f32_e32 v13, 0x4f7ffffe, v13
	s_delay_alu instid0(VALU_DEP_1) | instskip(NEXT) | instid1(VALU_DEP_1)
	v_cvt_u32_f32_e32 v13, v13
	v_mul_lo_u32 v15, s22, v13
	s_delay_alu instid0(VALU_DEP_1) | instskip(NEXT) | instid1(VALU_DEP_1)
	v_mul_hi_u32 v15, v13, v15
	v_add_nc_u32_e32 v13, v13, v15
	s_delay_alu instid0(VALU_DEP_1) | instskip(NEXT) | instid1(VALU_DEP_1)
	v_mul_hi_u32 v13, v22, v13
	v_mul_lo_u32 v15, v13, s20
	s_delay_alu instid0(VALU_DEP_1) | instskip(NEXT) | instid1(VALU_DEP_1)
	v_sub_nc_u32_e32 v15, v22, v15
	v_subrev_nc_u32_e32 v19, s20, v15
	v_cmp_le_u32_e32 vcc_lo, s20, v15
	s_delay_alu instid0(VALU_DEP_2) | instskip(NEXT) | instid1(VALU_DEP_1)
	v_dual_add_nc_u32 v17, 1, v13 :: v_dual_cndmask_b32 v15, v15, v19, vcc_lo
	v_cndmask_b32_e32 v13, v13, v17, vcc_lo
	s_delay_alu instid0(VALU_DEP_2) | instskip(NEXT) | instid1(VALU_DEP_2)
	v_cmp_le_u32_e32 vcc_lo, s20, v15
	v_add_nc_u32_e32 v17, 1, v13
	s_delay_alu instid0(VALU_DEP_1)
	v_cndmask_b32_e32 v24, v13, v17, vcc_lo
	s_branch .LBB20_36
.LBB20_41:
	s_mov_b32 s16, -1
	s_mov_b32 s1, 0
	s_mov_b32 s0, exec_lo
	v_cmpx_gt_i32_e64 v14, v16
	s_cbranch_execz .LBB20_47
; %bb.42:
	s_wait_loadcnt 0x0
	s_delay_alu instid0(VALU_DEP_2) | instskip(SKIP_2) | instid1(VALU_DEP_1)
	v_lshlrev_b64_e32 v[18:19], 2, v[20:21]
	v_dual_ashrrev_i32 v17, 31, v16 :: v_dual_ashrrev_i32 v15, 31, v14
	s_xor_b32 s16, s27, -1
                                        ; implicit-def: $sgpr15
                                        ; implicit-def: $sgpr18
                                        ; implicit-def: $sgpr17
	v_lshl_add_u64 v[16:17], v[16:17], 2, v[18:19]
	v_add_nc_u64_e32 v[18:19], s[6:7], v[18:19]
	s_delay_alu instid0(VALU_DEP_2) | instskip(NEXT) | instid1(VALU_DEP_2)
	v_add_nc_u64_e32 v[16:17], s[6:7], v[16:17]
	v_lshl_add_u64 v[14:15], v[14:15], 2, v[18:19]
	s_delay_alu instid0(VALU_DEP_2)
	v_add_nc_u64_e32 v[16:17], 4, v[16:17]
	s_branch .LBB20_44
.LBB20_43:                              ;   in Loop: Header=BB20_44 Depth=1
	s_or_b32 exec_lo, exec_lo, s19
	s_delay_alu instid0(SALU_CYCLE_1) | instskip(NEXT) | instid1(SALU_CYCLE_1)
	s_and_b32 s19, exec_lo, s18
	s_or_b32 s1, s19, s1
	s_and_not1_b32 s15, s15, exec_lo
	s_and_b32 s19, s17, exec_lo
	s_delay_alu instid0(SALU_CYCLE_1)
	s_or_b32 s15, s15, s19
	s_and_not1_b32 exec_lo, exec_lo, s1
	s_cbranch_execz .LBB20_46
.LBB20_44:                              ; =>This Inner Loop Header: Depth=1
	s_or_b32 s17, s17, exec_lo
	s_or_b32 s18, s18, exec_lo
	s_mov_b32 s19, exec_lo
	s_delay_alu instid0(VALU_DEP_1)
	v_cmpx_lt_u64_e64 v[16:17], v[14:15]
	s_cbranch_execz .LBB20_43
; %bb.45:                               ;   in Loop: Header=BB20_44 Depth=1
	global_load_b64 v[18:19], v[16:17], off offset:-4
	s_wait_xcnt 0x0
	v_add_nc_u64_e32 v[16:17], 4, v[16:17]
	s_and_not1_b32 s18, s18, exec_lo
	s_and_not1_b32 s17, s17, exec_lo
	s_wait_loadcnt 0x0
	v_cmp_ge_i32_e32 vcc_lo, v18, v19
	s_or_b32 s20, s16, vcc_lo
	s_delay_alu instid0(SALU_CYCLE_1) | instskip(NEXT) | instid1(SALU_CYCLE_1)
	s_and_b32 s20, s20, exec_lo
	s_or_b32 s18, s18, s20
	s_branch .LBB20_43
.LBB20_46:
	s_or_b32 exec_lo, exec_lo, s1
	s_delay_alu instid0(SALU_CYCLE_1)
	s_mov_b32 s1, exec_lo
	s_or_not1_b32 s16, s15, exec_lo
.LBB20_47:
	s_or_b32 exec_lo, exec_lo, s0
	s_delay_alu instid0(SALU_CYCLE_1)
	s_and_b32 s15, s1, exec_lo
	s_xor_b32 s1, exec_lo, -1
	s_and_b32 s0, s16, exec_lo
.LBB20_48:
	s_or_b32 exec_lo, exec_lo, s44
	s_delay_alu instid0(SALU_CYCLE_1)
	s_and_not1_b32 s16, s38, exec_lo
	s_and_b32 s1, s1, exec_lo
	s_and_b32 s15, s15, exec_lo
	s_or_b32 s16, s16, s1
	s_xor_b32 s1, exec_lo, -1
	s_and_b32 s0, s0, exec_lo
.LBB20_49:
	s_or_b32 exec_lo, exec_lo, s43
	s_delay_alu instid0(SALU_CYCLE_1)
	s_and_not1_b32 s17, s38, exec_lo
	s_and_b32 s16, s16, exec_lo
	s_and_not1_b32 s18, s39, exec_lo
	s_and_b32 s1, s1, exec_lo
	s_and_b32 s15, s15, exec_lo
	s_or_b32 s17, s17, s16
	s_or_b32 s16, s18, s1
	s_xor_b32 s1, exec_lo, -1
	s_and_b32 s0, s0, exec_lo
.LBB20_50:
	s_or_b32 exec_lo, exec_lo, s42
	s_delay_alu instid0(SALU_CYCLE_1)
	s_and_not1_b32 s18, s38, exec_lo
	s_and_b32 s17, s17, exec_lo
	s_and_b32 s45, s15, exec_lo
	s_or_b32 s43, s18, s17
	s_and_not1_b32 s15, s39, exec_lo
	s_and_b32 s16, s16, exec_lo
	s_and_not1_b32 s17, s37, exec_lo
	s_and_b32 s1, s1, exec_lo
	s_or_b32 s44, s15, s16
	s_or_b32 s42, s17, s1
	s_or_not1_b32 s0, s0, exec_lo
.LBB20_51:
	s_or_b32 exec_lo, exec_lo, s40
	s_mov_b32 s16, 0
                                        ; implicit-def: $sgpr40
                                        ; implicit-def: $sgpr18
                                        ; implicit-def: $vgpr17
                                        ; implicit-def: $vgpr20
	s_and_saveexec_b32 s46, s0
	s_cbranch_execz .LBB20_78
; %bb.52:
	s_wait_loadcnt 0x1
	v_or_b32_e32 v20, 0x200, v0
	s_mov_b32 s19, -1
	s_mov_b32 s47, 0
	s_mov_b32 s0, s42
	;; [unrolled: 1-line block ×3, first 2 shown]
	v_cmp_gt_i32_e64 s40, s28, v20
	s_mov_b32 s1, s43
	s_and_saveexec_b32 s48, s40
	s_cbranch_execz .LBB20_73
; %bb.53:
	v_cmp_eq_u32_e32 vcc_lo, s35, v9
	s_mov_b32 s0, -1
	s_mov_b32 s17, 0
	s_mov_b32 s18, s44
	;; [unrolled: 1-line block ×3, first 2 shown]
	s_and_b32 s15, s36, vcc_lo
	s_mov_b32 s1, 0
	s_and_saveexec_b32 s49, s15
	s_cbranch_execz .LBB20_72
; %bb.54:
	v_cmp_eq_u32_e32 vcc_lo, s10, v11
	s_mov_b32 s15, 0
	s_mov_b32 s16, s43
	s_and_b32 s1, s30, vcc_lo
	s_delay_alu instid0(SALU_CYCLE_1)
	s_and_saveexec_b32 s50, s1
	s_cbranch_execz .LBB20_71
; %bb.55:
	v_sub_nc_u32_e32 v11, v10, v8
	s_mov_b32 s15, -1
	s_mov_b32 s1, 0
	s_delay_alu instid0(VALU_DEP_1) | instskip(SKIP_2) | instid1(SALU_CYCLE_1)
	v_cmp_le_i32_e32 vcc_lo, v9, v11
	v_cmp_ge_i32_e64 s0, s8, v11
	s_and_b32 s0, vcc_lo, s0
	s_and_b32 s16, s29, s0
	s_mov_b32 s0, 0
	s_and_saveexec_b32 s51, s16
	s_cbranch_execz .LBB20_70
; %bb.56:
	v_mov_b64_e32 v[14:15], 0
	s_and_not1_b32 vcc_lo, exec_lo, s9
	s_cbranch_vccnz .LBB20_63
; %bb.57:
	s_wait_loadcnt 0x0
	v_ashrrev_i32_e32 v13, 31, v12
	s_ashr_i32 s15, s14, 31
	v_mov_b64_e32 v[14:15], 0
	s_lshl_b64 s[0:1], s[14:15], 3
	s_mov_b64 s[16:17], 0xffffffff
	v_mul_u64_e32 v[16:17], s[10:11], v[12:13]
	v_mov_b32_e32 v12, 0
	s_add_nc_u64 s[0:1], s[12:13], s[0:1]
	s_mov_b32 s15, s26
	s_add_nc_u64 s[18:19], s[0:1], 32
	s_mov_b32 s1, 0
	s_branch .LBB20_59
.LBB20_58:                              ;   in Loop: Header=BB20_59 Depth=1
	s_or_b32 exec_lo, exec_lo, s0
	s_delay_alu instid0(VALU_DEP_1)
	v_mul_u64_e32 v[22:23], s[20:21], v[18:19]
	s_load_b64 s[20:21], s[18:19], 0x40
	s_add_co_i32 s15, s15, -1
	s_wait_xcnt 0x0
	s_add_nc_u64 s[18:19], s[18:19], -8
	s_cmp_lg_u32 s15, 0
	s_delay_alu instid0(VALU_DEP_1) | instskip(SKIP_1) | instid1(VALU_DEP_1)
	v_sub_nc_u64_e32 v[16:17], v[16:17], v[22:23]
	s_wait_kmcnt 0x0
	v_mad_nc_u64_u32 v[14:15], v16, s20, v[14:15]
	s_delay_alu instid0(VALU_DEP_1) | instskip(NEXT) | instid1(VALU_DEP_1)
	v_mad_u32 v9, v17, s20, v15
	v_mad_u32 v15, v16, s21, v9
	v_mov_b64_e32 v[16:17], v[18:19]
	s_cbranch_scc0 .LBB20_63
.LBB20_59:                              ; =>This Inner Loop Header: Depth=1
	s_load_b64 s[20:21], s[18:19], 0x0
                                        ; implicit-def: $vgpr18_vgpr19
	s_mov_b32 s0, exec_lo
	s_wait_kmcnt 0x0
	s_delay_alu instid0(VALU_DEP_1) | instskip(NEXT) | instid1(VALU_DEP_1)
	v_or_b32_e32 v13, s21, v17
	v_cmpx_ne_u64_e32 0, v[12:13]
	s_xor_b32 s52, exec_lo, s0
	s_cbranch_execz .LBB20_61
; %bb.60:                               ;   in Loop: Header=BB20_59 Depth=1
	s_ashr_i32 s22, s21, 31
	v_dual_mov_b32 v25, v12 :: v_dual_ashrrev_i32 v18, 31, v17
	s_mov_b32 s23, s22
	v_mov_b32_e32 v29, v12
	s_add_nc_u64 s[24:25], s[20:21], s[22:23]
	s_delay_alu instid0(VALU_DEP_2)
	v_mov_b32_e32 v19, v18
	s_xor_b64 s[24:25], s[24:25], s[22:23]
	v_mov_b32_e32 v33, v12
	s_cvt_f32_u32 s0, s24
	s_cvt_f32_u32 s23, s25
	s_sub_nc_u64 s[56:57], 0, s[24:25]
	v_add_nc_u64_e32 v[22:23], v[16:17], v[18:19]
	s_delay_alu instid0(SALU_CYCLE_1) | instskip(NEXT) | instid1(SALU_CYCLE_3)
	s_fmamk_f32 s0, s23, 0x4f800000, s0
	v_s_rcp_f32 s0, s0
	s_delay_alu instid0(VALU_DEP_1) | instskip(NEXT) | instid1(VALU_DEP_2)
	v_xor_b32_e32 v24, v22, v18
	v_xor_b32_e32 v28, v23, v18
	s_delay_alu instid0(TRANS32_DEP_1) | instskip(NEXT) | instid1(SALU_CYCLE_3)
	s_mul_f32 s0, s0, 0x5f7ffffc
	s_mul_f32 s23, s0, 0x2f800000
	s_delay_alu instid0(SALU_CYCLE_3) | instskip(NEXT) | instid1(SALU_CYCLE_3)
	s_trunc_f32 s23, s23
	s_fmamk_f32 s0, s23, 0xcf800000, s0
	s_cvt_u32_f32 s55, s23
	s_delay_alu instid0(SALU_CYCLE_2) | instskip(NEXT) | instid1(SALU_CYCLE_3)
	s_cvt_u32_f32 s54, s0
	s_mul_u64 s[58:59], s[56:57], s[54:55]
	s_delay_alu instid0(SALU_CYCLE_1)
	s_mul_hi_u32 s61, s54, s59
	s_mul_i32 s60, s54, s59
	s_mul_hi_u32 s0, s54, s58
	s_mul_i32 s53, s55, s58
	s_add_nc_u64 s[60:61], s[0:1], s[60:61]
	s_mul_hi_u32 s23, s55, s58
	s_mul_hi_u32 s62, s55, s59
	s_add_co_u32 s0, s60, s53
	s_add_co_ci_u32 s0, s61, s23
	s_mul_i32 s58, s55, s59
	s_add_co_ci_u32 s59, s62, 0
	s_delay_alu instid0(SALU_CYCLE_1) | instskip(NEXT) | instid1(SALU_CYCLE_1)
	s_add_nc_u64 s[58:59], s[0:1], s[58:59]
	s_add_co_u32 s54, s54, s58
	s_cselect_b32 s0, -1, 0
	s_delay_alu instid0(SALU_CYCLE_1) | instskip(SKIP_1) | instid1(SALU_CYCLE_1)
	s_cmp_lg_u32 s0, 0
	s_add_co_ci_u32 s55, s55, s59
	s_mul_u64 s[56:57], s[56:57], s[54:55]
	s_delay_alu instid0(SALU_CYCLE_1)
	s_mul_hi_u32 s59, s54, s57
	s_mul_i32 s58, s54, s57
	s_mul_hi_u32 s0, s54, s56
	s_mul_i32 s53, s55, s56
	s_add_nc_u64 s[58:59], s[0:1], s[58:59]
	s_mul_hi_u32 s23, s55, s56
	s_mul_hi_u32 s60, s55, s57
	s_add_co_u32 s0, s58, s53
	s_add_co_ci_u32 s0, s59, s23
	s_mul_i32 s56, s55, s57
	s_add_co_ci_u32 s57, s60, 0
	s_delay_alu instid0(SALU_CYCLE_1) | instskip(NEXT) | instid1(SALU_CYCLE_1)
	s_add_nc_u64 s[56:57], s[0:1], s[56:57]
	s_add_co_u32 s54, s54, s56
	s_cselect_b32 s0, -1, 0
	v_mul_hi_u32 v32, v24, s54
	s_cmp_lg_u32 s0, 0
	s_add_co_ci_u32 s0, s55, s57
	s_and_b64 s[56:57], s[54:55], s[16:17]
	v_mul_u64_e32 v[26:27], s[0:1], v[24:25]
	v_mul_u64_e32 v[22:23], s[56:57], v[28:29]
	;; [unrolled: 1-line block ×3, first 2 shown]
	s_delay_alu instid0(VALU_DEP_3) | instskip(NEXT) | instid1(VALU_DEP_1)
	v_add_nc_u64_e32 v[26:27], v[32:33], v[26:27]
	v_add_co_u32 v9, vcc_lo, v26, v22
	s_delay_alu instid0(VALU_DEP_2) | instskip(NEXT) | instid1(VALU_DEP_4)
	v_add_co_ci_u32_e32 v32, vcc_lo, v27, v23, vcc_lo
	v_add_co_ci_u32_e32 v31, vcc_lo, 0, v31, vcc_lo
	s_delay_alu instid0(VALU_DEP_1) | instskip(NEXT) | instid1(VALU_DEP_1)
	v_add_nc_u64_e32 v[22:23], v[32:33], v[30:31]
	v_mul_u64_e32 v[26:27], s[24:25], v[22:23]
	s_delay_alu instid0(VALU_DEP_1) | instskip(SKIP_1) | instid1(VALU_DEP_3)
	v_sub_co_u32 v11, vcc_lo, v24, v26
	v_add_nc_u64_e32 v[24:25], 2, v[22:23]
	v_sub_nc_u32_e32 v9, v28, v27
	v_sub_co_ci_u32_e64 v19, null, v28, v27, vcc_lo
	s_delay_alu instid0(VALU_DEP_4) | instskip(NEXT) | instid1(VALU_DEP_3)
	v_sub_co_u32 v13, s0, v11, s24
	v_subrev_co_ci_u32_e64 v9, null, s25, v9, vcc_lo
	v_add_nc_u64_e32 v[26:27], 1, v[22:23]
	s_delay_alu instid0(VALU_DEP_3) | instskip(NEXT) | instid1(VALU_DEP_3)
	v_cmp_le_u32_e32 vcc_lo, s24, v13
	v_subrev_co_ci_u32_e64 v9, null, 0, v9, s0
	v_cndmask_b32_e64 v13, 0, -1, vcc_lo
	s_delay_alu instid0(VALU_DEP_2)
	v_cmp_le_u32_e32 vcc_lo, s25, v9
	v_cndmask_b32_e64 v21, 0, -1, vcc_lo
	v_cmp_le_u32_e32 vcc_lo, s24, v11
	v_cndmask_b32_e64 v11, 0, -1, vcc_lo
	;; [unrolled: 2-line block ×3, first 2 shown]
	v_cmp_eq_u32_e32 vcc_lo, s25, v9
	v_cndmask_b32_e32 v9, v21, v13, vcc_lo
	v_cmp_eq_u32_e32 vcc_lo, s25, v19
	s_delay_alu instid0(VALU_DEP_4) | instskip(NEXT) | instid1(VALU_DEP_3)
	v_cndmask_b32_e32 v11, v28, v11, vcc_lo
	v_cmp_ne_u32_e32 vcc_lo, 0, v9
	v_cndmask_b32_e32 v9, v27, v25, vcc_lo
	s_delay_alu instid0(VALU_DEP_3) | instskip(SKIP_1) | instid1(VALU_DEP_1)
	v_cmp_ne_u32_e64 s0, 0, v11
	v_dual_cndmask_b32 v11, v26, v24, vcc_lo :: v_dual_bitop2_b32 v18, s22, v18 bitop3:0x14
	v_dual_cndmask_b32 v9, v23, v9, s0 :: v_dual_cndmask_b32 v11, v22, v11, s0
	s_delay_alu instid0(VALU_DEP_1) | instskip(NEXT) | instid1(VALU_DEP_2)
	v_dual_mov_b32 v19, v18 :: v_dual_bitop2_b32 v23, v9, v18 bitop3:0x14
	v_xor_b32_e32 v22, v11, v18
	s_delay_alu instid0(VALU_DEP_1)
	v_sub_nc_u64_e32 v[18:19], v[22:23], v[18:19]
.LBB20_61:                              ;   in Loop: Header=BB20_59 Depth=1
	s_and_not1_saveexec_b32 s0, s52
	s_cbranch_execz .LBB20_58
; %bb.62:                               ;   in Loop: Header=BB20_59 Depth=1
	v_cvt_f32_u32_e32 v9, s20
	s_sub_co_i32 s22, 0, s20
	v_mov_b32_e32 v19, v12
	s_delay_alu instid0(VALU_DEP_2) | instskip(SKIP_1) | instid1(TRANS32_DEP_1)
	v_rcp_iflag_f32_e32 v9, v9
	v_nop
	v_mul_f32_e32 v9, 0x4f7ffffe, v9
	s_delay_alu instid0(VALU_DEP_1) | instskip(NEXT) | instid1(VALU_DEP_1)
	v_cvt_u32_f32_e32 v9, v9
	v_mul_lo_u32 v11, s22, v9
	s_delay_alu instid0(VALU_DEP_1) | instskip(NEXT) | instid1(VALU_DEP_1)
	v_mul_hi_u32 v11, v9, v11
	v_add_nc_u32_e32 v9, v9, v11
	s_delay_alu instid0(VALU_DEP_1) | instskip(NEXT) | instid1(VALU_DEP_1)
	v_mul_hi_u32 v9, v16, v9
	v_mul_lo_u32 v11, v9, s20
	s_delay_alu instid0(VALU_DEP_1) | instskip(NEXT) | instid1(VALU_DEP_1)
	v_sub_nc_u32_e32 v11, v16, v11
	v_subrev_nc_u32_e32 v18, s20, v11
	v_cmp_le_u32_e32 vcc_lo, s20, v11
	s_delay_alu instid0(VALU_DEP_2) | instskip(NEXT) | instid1(VALU_DEP_1)
	v_dual_add_nc_u32 v13, 1, v9 :: v_dual_cndmask_b32 v11, v11, v18, vcc_lo
	v_cndmask_b32_e32 v9, v9, v13, vcc_lo
	s_delay_alu instid0(VALU_DEP_2) | instskip(NEXT) | instid1(VALU_DEP_2)
	v_cmp_le_u32_e32 vcc_lo, s20, v11
	v_add_nc_u32_e32 v13, 1, v9
	s_delay_alu instid0(VALU_DEP_1)
	v_cndmask_b32_e32 v18, v9, v13, vcc_lo
	s_branch .LBB20_58
.LBB20_63:
	s_mov_b32 s1, -1
	s_mov_b32 s16, 0
	s_mov_b32 s0, exec_lo
	v_cmpx_gt_i32_e64 v10, v8
	s_cbranch_execz .LBB20_69
; %bb.64:
	s_wait_loadcnt 0x0
	s_delay_alu instid0(VALU_DEP_2) | instskip(SKIP_3) | instid1(VALU_DEP_1)
	v_lshlrev_b64_e32 v[12:13], 2, v[14:15]
	v_dual_ashrrev_i32 v9, 31, v8 :: v_dual_ashrrev_i32 v11, 31, v10
	s_mov_b32 s1, 0
	s_xor_b32 s16, s27, -1
                                        ; implicit-def: $sgpr15
                                        ; implicit-def: $sgpr18
                                        ; implicit-def: $sgpr17
	v_lshl_add_u64 v[8:9], v[8:9], 2, v[12:13]
	v_add_nc_u64_e32 v[12:13], s[6:7], v[12:13]
	s_delay_alu instid0(VALU_DEP_2) | instskip(NEXT) | instid1(VALU_DEP_2)
	v_add_nc_u64_e32 v[8:9], s[6:7], v[8:9]
	v_lshl_add_u64 v[10:11], v[10:11], 2, v[12:13]
	s_delay_alu instid0(VALU_DEP_2)
	v_add_nc_u64_e32 v[8:9], 4, v[8:9]
	s_branch .LBB20_66
.LBB20_65:                              ;   in Loop: Header=BB20_66 Depth=1
	s_or_b32 exec_lo, exec_lo, s19
	s_delay_alu instid0(SALU_CYCLE_1) | instskip(NEXT) | instid1(SALU_CYCLE_1)
	s_and_b32 s19, exec_lo, s18
	s_or_b32 s1, s19, s1
	s_and_not1_b32 s15, s15, exec_lo
	s_and_b32 s19, s17, exec_lo
	s_delay_alu instid0(SALU_CYCLE_1)
	s_or_b32 s15, s15, s19
	s_and_not1_b32 exec_lo, exec_lo, s1
	s_cbranch_execz .LBB20_68
.LBB20_66:                              ; =>This Inner Loop Header: Depth=1
	s_or_b32 s17, s17, exec_lo
	s_or_b32 s18, s18, exec_lo
	s_mov_b32 s19, exec_lo
	s_delay_alu instid0(VALU_DEP_1)
	v_cmpx_lt_u64_e64 v[8:9], v[10:11]
	s_cbranch_execz .LBB20_65
; %bb.67:                               ;   in Loop: Header=BB20_66 Depth=1
	global_load_b64 v[12:13], v[8:9], off offset:-4
	s_wait_xcnt 0x0
	v_add_nc_u64_e32 v[8:9], 4, v[8:9]
	s_and_not1_b32 s18, s18, exec_lo
	s_and_not1_b32 s17, s17, exec_lo
	s_wait_loadcnt 0x0
	v_cmp_ge_i32_e32 vcc_lo, v12, v13
	s_or_b32 s20, s16, vcc_lo
	s_delay_alu instid0(SALU_CYCLE_1) | instskip(NEXT) | instid1(SALU_CYCLE_1)
	s_and_b32 s20, s20, exec_lo
	s_or_b32 s18, s18, s20
	s_branch .LBB20_65
.LBB20_68:
	s_or_b32 exec_lo, exec_lo, s1
	s_delay_alu instid0(SALU_CYCLE_1)
	s_mov_b32 s16, exec_lo
	s_or_not1_b32 s1, s15, exec_lo
.LBB20_69:
	s_or_b32 exec_lo, exec_lo, s0
	s_delay_alu instid0(SALU_CYCLE_1)
	s_and_b32 s0, s16, exec_lo
	s_xor_b32 s15, exec_lo, -1
	s_and_b32 s1, s1, exec_lo
.LBB20_70:
	s_or_b32 exec_lo, exec_lo, s51
	s_delay_alu instid0(SALU_CYCLE_1)
	s_and_not1_b32 s16, s43, exec_lo
	s_and_b32 s15, s15, exec_lo
	s_and_b32 s17, s0, exec_lo
	s_or_b32 s16, s16, s15
	s_xor_b32 s0, exec_lo, -1
	s_and_b32 s15, s1, exec_lo
.LBB20_71:
	s_or_b32 exec_lo, exec_lo, s50
	s_delay_alu instid0(SALU_CYCLE_1)
	s_and_b32 s1, s17, exec_lo
	s_and_not1_b32 s17, s43, exec_lo
	s_and_b32 s16, s16, exec_lo
	s_and_not1_b32 s18, s44, exec_lo
	s_and_b32 s0, s0, exec_lo
	s_or_b32 s16, s17, s16
	s_or_b32 s18, s18, s0
	s_xor_b32 s0, exec_lo, -1
	s_and_b32 s17, s15, exec_lo
.LBB20_72:
	s_or_b32 exec_lo, exec_lo, s49
	s_delay_alu instid0(SALU_CYCLE_1)
	s_and_not1_b32 s15, s43, exec_lo
	s_and_b32 s19, s16, exec_lo
	s_and_b32 s16, s1, exec_lo
	s_or_b32 s1, s15, s19
	s_and_not1_b32 s15, s44, exec_lo
	s_and_b32 s18, s18, exec_lo
	s_and_not1_b32 s19, s42, exec_lo
	s_and_b32 s0, s0, exec_lo
	s_or_b32 s15, s15, s18
	s_or_b32 s0, s19, s0
	s_or_not1_b32 s19, s17, exec_lo
.LBB20_73:
	s_or_b32 exec_lo, exec_lo, s48
	s_mov_b32 s20, 0
                                        ; implicit-def: $sgpr18
                                        ; implicit-def: $vgpr17
	s_and_saveexec_b32 s17, s19
	s_cbranch_execz .LBB20_77
; %bb.74:
	v_or_b32_e32 v17, 0x300, v0
	s_mov_b32 s19, 0
	s_mov_b32 s20, -1
	s_mov_b32 s21, s0
	s_delay_alu instid0(VALU_DEP_1) | instskip(SKIP_1) | instid1(SALU_CYCLE_1)
	v_cmp_gt_i32_e64 s18, s28, v17
	s_and_saveexec_b32 s22, s18
	s_xor_b32 s22, exec_lo, s22
; %bb.75:
	v_cmp_ne_u32_e32 vcc_lo, s35, v3
	s_xor_b32 s20, s36, -1
	s_and_not1_b32 s21, s0, exec_lo
	s_mov_b32 s19, exec_lo
	s_or_b32 s20, s20, vcc_lo
	s_delay_alu instid0(SALU_CYCLE_1)
	s_and_b32 s23, s20, exec_lo
	s_xor_b32 s20, exec_lo, -1
	s_or_b32 s21, s21, s23
; %bb.76:
	s_or_b32 exec_lo, exec_lo, s22
	s_delay_alu instid0(SALU_CYCLE_1)
	s_and_not1_b32 s0, s0, exec_lo
	s_and_b32 s21, s21, exec_lo
	s_and_b32 s20, s20, exec_lo
	s_and_not1_b32 s16, s16, exec_lo
	s_and_b32 s47, s19, exec_lo
	s_or_b32 s0, s0, s21
.LBB20_77:
	s_or_b32 exec_lo, exec_lo, s17
	s_delay_alu instid0(SALU_CYCLE_1)
	s_and_not1_b32 s17, s45, exec_lo
	s_and_b32 s19, s16, exec_lo
	s_and_b32 s1, s1, exec_lo
	s_or_b32 s45, s17, s19
	s_and_not1_b32 s17, s43, exec_lo
	s_and_not1_b32 s19, s44, exec_lo
	s_and_b32 s15, s15, exec_lo
	s_or_b32 s43, s17, s1
	s_and_not1_b32 s1, s42, exec_lo
	s_and_b32 s0, s0, exec_lo
	s_and_b32 s16, s20, exec_lo
	s_or_b32 s44, s19, s15
	s_and_b32 s47, s47, exec_lo
	s_or_b32 s42, s1, s0
.LBB20_78:
	s_or_b32 exec_lo, exec_lo, s46
	s_delay_alu instid0(SALU_CYCLE_1)
	s_and_not1_b32 s0, s33, exec_lo
	s_and_b32 s1, s45, exec_lo
	s_and_b32 s19, s16, exec_lo
	s_or_b32 s33, s0, s1
	s_and_not1_b32 s0, s38, exec_lo
	s_and_b32 s1, s43, exec_lo
	s_and_not1_b32 s15, s39, exec_lo
	s_and_b32 s16, s44, exec_lo
	s_or_b32 s38, s0, s1
	s_or_b32 s39, s15, s16
	s_and_not1_b32 s1, s37, exec_lo
	s_and_b32 s15, s42, exec_lo
	s_and_b32 s0, s47, exec_lo
	s_or_b32 s37, s1, s15
.LBB20_79:
	s_or_b32 exec_lo, exec_lo, s41
	s_and_saveexec_b32 s1, s37
	s_cbranch_execnz .LBB20_113
.LBB20_80:
	s_or_b32 exec_lo, exec_lo, s1
	s_mov_b32 s15, 0
	s_and_saveexec_b32 s1, s0
	s_delay_alu instid0(SALU_CYCLE_1)
	s_xor_b32 s0, exec_lo, s1
; %bb.81:
	v_cmp_ne_u32_e32 vcc_lo, s10, v5
	s_xor_b32 s1, s30, -1
	s_and_not1_b32 s16, s39, exec_lo
	s_mov_b32 s15, exec_lo
	s_or_b32 s1, s1, vcc_lo
	s_delay_alu instid0(SALU_CYCLE_1) | instskip(NEXT) | instid1(SALU_CYCLE_1)
	s_and_b32 s1, s1, exec_lo
	s_or_b32 s39, s16, s1
; %bb.82:
	s_or_b32 exec_lo, exec_lo, s0
	s_and_saveexec_b32 s0, s39
	s_cbranch_execnz .LBB20_114
.LBB20_83:
	s_or_b32 exec_lo, exec_lo, s0
	s_mov_b32 s1, 0
	s_and_saveexec_b32 s0, s15
	s_delay_alu instid0(SALU_CYCLE_1)
	s_xor_b32 s15, exec_lo, s0
	s_cbranch_execnz .LBB20_90
; %bb.84:
	s_or_b32 exec_lo, exec_lo, s15
	s_and_saveexec_b32 s0, s38
	s_cbranch_execnz .LBB20_91
.LBB20_85:
	s_or_b32 exec_lo, exec_lo, s0
	s_and_saveexec_b32 s20, s1
	s_cbranch_execnz .LBB20_92
.LBB20_86:
	s_or_b32 exec_lo, exec_lo, s20
	s_and_saveexec_b32 s0, s33
	s_cbranch_execnz .LBB20_106
.LBB20_87:
	s_or_b32 exec_lo, exec_lo, s0
	s_and_saveexec_b32 s0, s34
	s_delay_alu instid0(SALU_CYCLE_1)
	s_xor_b32 s0, exec_lo, s0
	s_cbranch_execnz .LBB20_107
.LBB20_88:
	s_or_b32 exec_lo, exec_lo, s0
	s_and_saveexec_b32 s0, s19
	s_cbranch_execnz .LBB20_108
.LBB20_89:
	s_endpgm
.LBB20_90:
	s_wait_loadcnt 0x0
	v_sub_nc_u32_e32 v5, v2, v4
	s_mov_b32 s1, exec_lo
	s_delay_alu instid0(VALU_DEP_1) | instskip(SKIP_3) | instid1(SALU_CYCLE_1)
	v_cmp_le_i32_e32 vcc_lo, v3, v5
	v_cmp_ge_i32_e64 s0, s8, v5
	s_and_not1_b32 s8, s38, exec_lo
	s_and_b32 s0, vcc_lo, s0
	s_and_b32 s0, s29, s0
	s_delay_alu instid0(SALU_CYCLE_1) | instskip(NEXT) | instid1(SALU_CYCLE_1)
	s_xor_b32 s0, s0, -1
	s_and_b32 s0, s0, exec_lo
	s_delay_alu instid0(SALU_CYCLE_1)
	s_or_b32 s38, s8, s0
	s_or_b32 exec_lo, exec_lo, s15
	s_and_saveexec_b32 s0, s38
	s_cbranch_execz .LBB20_85
.LBB20_91:
	s_or_b32 s34, s34, exec_lo
	s_and_not1_b32 s1, s1, exec_lo
	s_trap 2
	s_or_b32 exec_lo, exec_lo, s0
	s_and_saveexec_b32 s20, s1
	s_cbranch_execz .LBB20_86
.LBB20_92:
	s_wait_loadcnt 0x2
	v_mov_b64_e32 v[8:9], 0
	s_and_not1_b32 vcc_lo, exec_lo, s9
	s_cbranch_vccnz .LBB20_99
; %bb.93:
	s_wait_loadcnt 0x1
	v_mul_u64_e32 v[10:11], s[10:11], v[6:7]
	s_ashr_i32 s15, s14, 31
	v_mov_b64_e32 v[8:9], 0
	s_lshl_b64 s[0:1], s[14:15], 3
	v_mov_b32_e32 v6, 0
	s_add_nc_u64 s[0:1], s[12:13], s[0:1]
	s_mov_b64 s[8:9], 0xffffffff
	s_add_nc_u64 s[10:11], s[0:1], 32
	s_mov_b32 s1, 0
	s_branch .LBB20_95
.LBB20_94:                              ;   in Loop: Header=BB20_95 Depth=1
	s_or_b32 exec_lo, exec_lo, s0
	s_wait_loadcnt 0x0
	s_delay_alu instid0(VALU_DEP_1)
	v_mul_u64_e32 v[14:15], s[12:13], v[12:13]
	s_load_b64 s[12:13], s[10:11], 0x40
	s_add_co_i32 s26, s26, -1
	s_wait_xcnt 0x0
	s_add_nc_u64 s[10:11], s[10:11], -8
	s_cmp_lg_u32 s26, 0
	s_delay_alu instid0(VALU_DEP_1) | instskip(SKIP_1) | instid1(VALU_DEP_1)
	v_sub_nc_u64_e32 v[10:11], v[10:11], v[14:15]
	s_wait_kmcnt 0x0
	v_mad_nc_u64_u32 v[8:9], v10, s12, v[8:9]
	s_delay_alu instid0(VALU_DEP_1) | instskip(NEXT) | instid1(VALU_DEP_1)
	v_mad_u32 v3, v11, s12, v9
	v_mad_u32 v9, v10, s13, v3
	v_mov_b64_e32 v[10:11], v[12:13]
	s_cbranch_scc0 .LBB20_99
.LBB20_95:                              ; =>This Inner Loop Header: Depth=1
	s_load_b64 s[12:13], s[10:11], 0x0
                                        ; implicit-def: $vgpr12_vgpr13
	s_mov_b32 s0, exec_lo
	s_wait_kmcnt 0x0
	s_delay_alu instid0(VALU_DEP_1) | instskip(NEXT) | instid1(VALU_DEP_1)
	v_or_b32_e32 v7, s13, v11
	v_cmpx_ne_u64_e32 0, v[6:7]
	s_xor_b32 s21, exec_lo, s0
	s_cbranch_execz .LBB20_97
; %bb.96:                               ;   in Loop: Header=BB20_95 Depth=1
	s_ashr_i32 s14, s13, 31
	s_wait_loadcnt 0x0
	v_dual_mov_b32 v19, v6 :: v_dual_ashrrev_i32 v12, 31, v11
	s_mov_b32 s15, s14
	s_delay_alu instid0(SALU_CYCLE_1) | instskip(NEXT) | instid1(VALU_DEP_1)
	s_add_nc_u64 s[16:17], s[12:13], s[14:15]
	v_mov_b32_e32 v13, v12
	s_xor_b64 s[16:17], s[16:17], s[14:15]
	s_delay_alu instid0(SALU_CYCLE_1)
	s_cvt_f32_u32 s0, s16
	s_cvt_f32_u32 s15, s17
	s_sub_nc_u64 s[24:25], 0, s[16:17]
	v_add_nc_u64_e32 v[14:15], v[10:11], v[12:13]
	v_mov_b32_e32 v25, v6
	s_fmamk_f32 s0, s15, 0x4f800000, s0
	s_delay_alu instid0(SALU_CYCLE_3) | instskip(NEXT) | instid1(VALU_DEP_2)
	v_s_rcp_f32 s0, s0
	v_xor_b32_e32 v18, v14, v12
	s_delay_alu instid0(VALU_DEP_3) | instskip(NEXT) | instid1(TRANS32_DEP_1)
	v_dual_mov_b32 v29, v6 :: v_dual_bitop2_b32 v24, v15, v12 bitop3:0x14
	s_mul_f32 s0, s0, 0x5f7ffffc
	s_delay_alu instid0(SALU_CYCLE_3) | instskip(NEXT) | instid1(SALU_CYCLE_3)
	s_mul_f32 s15, s0, 0x2f800000
	s_trunc_f32 s15, s15
	s_delay_alu instid0(SALU_CYCLE_3) | instskip(SKIP_1) | instid1(SALU_CYCLE_2)
	s_fmamk_f32 s0, s15, 0xcf800000, s0
	s_cvt_u32_f32 s23, s15
	s_cvt_u32_f32 s22, s0
	s_delay_alu instid0(SALU_CYCLE_3) | instskip(NEXT) | instid1(SALU_CYCLE_1)
	s_mul_u64 s[28:29], s[24:25], s[22:23]
	s_mul_hi_u32 s37, s22, s29
	s_mul_i32 s36, s22, s29
	s_mul_hi_u32 s0, s22, s28
	s_mul_i32 s30, s23, s28
	s_add_nc_u64 s[36:37], s[0:1], s[36:37]
	s_mul_hi_u32 s15, s23, s28
	s_mul_hi_u32 s35, s23, s29
	s_add_co_u32 s0, s36, s30
	s_add_co_ci_u32 s0, s37, s15
	s_mul_i32 s28, s23, s29
	s_add_co_ci_u32 s29, s35, 0
	s_delay_alu instid0(SALU_CYCLE_1) | instskip(NEXT) | instid1(SALU_CYCLE_1)
	s_add_nc_u64 s[28:29], s[0:1], s[28:29]
	s_add_co_u32 s22, s22, s28
	s_cselect_b32 s0, -1, 0
	s_delay_alu instid0(SALU_CYCLE_1) | instskip(SKIP_1) | instid1(SALU_CYCLE_1)
	s_cmp_lg_u32 s0, 0
	s_add_co_ci_u32 s23, s23, s29
	s_mul_u64 s[24:25], s[24:25], s[22:23]
	s_delay_alu instid0(SALU_CYCLE_1)
	s_mul_hi_u32 s29, s22, s25
	s_mul_i32 s28, s22, s25
	s_mul_hi_u32 s0, s22, s24
	s_mul_i32 s30, s23, s24
	s_add_nc_u64 s[28:29], s[0:1], s[28:29]
	s_mul_hi_u32 s15, s23, s24
	s_mul_hi_u32 s35, s23, s25
	s_add_co_u32 s0, s28, s30
	s_add_co_ci_u32 s0, s29, s15
	s_mul_i32 s24, s23, s25
	s_add_co_ci_u32 s25, s35, 0
	s_delay_alu instid0(SALU_CYCLE_1) | instskip(NEXT) | instid1(SALU_CYCLE_1)
	s_add_nc_u64 s[24:25], s[0:1], s[24:25]
	s_add_co_u32 s22, s22, s24
	s_cselect_b32 s0, -1, 0
	v_mul_hi_u32 v28, v18, s22
	s_cmp_lg_u32 s0, 0
	s_add_co_ci_u32 s0, s23, s25
	s_and_b64 s[24:25], s[22:23], s[8:9]
	v_mul_u64_e32 v[22:23], s[0:1], v[18:19]
	v_mul_u64_e32 v[14:15], s[24:25], v[24:25]
	;; [unrolled: 1-line block ×3, first 2 shown]
	s_delay_alu instid0(VALU_DEP_3) | instskip(NEXT) | instid1(VALU_DEP_1)
	v_add_nc_u64_e32 v[22:23], v[28:29], v[22:23]
	v_add_co_u32 v3, vcc_lo, v22, v14
	s_delay_alu instid0(VALU_DEP_2) | instskip(NEXT) | instid1(VALU_DEP_4)
	v_add_co_ci_u32_e32 v28, vcc_lo, v23, v15, vcc_lo
	v_add_co_ci_u32_e32 v27, vcc_lo, 0, v27, vcc_lo
	s_delay_alu instid0(VALU_DEP_1) | instskip(NEXT) | instid1(VALU_DEP_1)
	v_add_nc_u64_e32 v[14:15], v[28:29], v[26:27]
	v_mul_u64_e32 v[22:23], s[16:17], v[14:15]
	s_delay_alu instid0(VALU_DEP_1) | instskip(NEXT) | instid1(VALU_DEP_2)
	v_sub_nc_u32_e32 v3, v24, v23
	v_sub_co_u32 v5, vcc_lo, v18, v22
	s_delay_alu instid0(VALU_DEP_1) | instskip(NEXT) | instid1(VALU_DEP_3)
	v_sub_co_ci_u32_e64 v13, null, v24, v23, vcc_lo
	v_subrev_co_ci_u32_e64 v3, null, s17, v3, vcc_lo
	s_delay_alu instid0(VALU_DEP_3) | instskip(SKIP_1) | instid1(VALU_DEP_3)
	v_sub_co_u32 v7, s0, v5, s16
	v_add_nc_u64_e32 v[18:19], 2, v[14:15]
	v_subrev_co_ci_u32_e64 v3, null, 0, v3, s0
	s_delay_alu instid0(VALU_DEP_3) | instskip(SKIP_2) | instid1(VALU_DEP_4)
	v_cmp_le_u32_e32 vcc_lo, s16, v7
	v_add_nc_u64_e32 v[22:23], 1, v[14:15]
	v_cndmask_b32_e64 v7, 0, -1, vcc_lo
	v_cmp_le_u32_e32 vcc_lo, s17, v3
	v_cndmask_b32_e64 v16, 0, -1, vcc_lo
	v_cmp_le_u32_e32 vcc_lo, s16, v5
	v_cndmask_b32_e64 v5, 0, -1, vcc_lo
	v_cmp_le_u32_e32 vcc_lo, s17, v13
	v_cndmask_b32_e64 v21, 0, -1, vcc_lo
	v_cmp_eq_u32_e32 vcc_lo, s17, v3
	v_cndmask_b32_e32 v3, v16, v7, vcc_lo
	v_cmp_eq_u32_e32 vcc_lo, s17, v13
	s_delay_alu instid0(VALU_DEP_4) | instskip(NEXT) | instid1(VALU_DEP_3)
	v_cndmask_b32_e32 v5, v21, v5, vcc_lo
	v_cmp_ne_u32_e32 vcc_lo, 0, v3
	s_delay_alu instid0(VALU_DEP_2) | instskip(SKIP_1) | instid1(VALU_DEP_1)
	v_cmp_ne_u32_e64 s0, 0, v5
	v_dual_cndmask_b32 v3, v23, v19, vcc_lo :: v_dual_cndmask_b32 v5, v22, v18, vcc_lo
	v_dual_cndmask_b32 v3, v15, v3, s0 :: v_dual_bitop2_b32 v12, s14, v12 bitop3:0x14
	s_delay_alu instid0(VALU_DEP_1) | instskip(NEXT) | instid1(VALU_DEP_2)
	v_dual_cndmask_b32 v5, v14, v5, s0 :: v_dual_mov_b32 v13, v12
	v_xor_b32_e32 v15, v3, v12
	s_delay_alu instid0(VALU_DEP_2) | instskip(NEXT) | instid1(VALU_DEP_1)
	v_xor_b32_e32 v14, v5, v12
	v_sub_nc_u64_e32 v[12:13], v[14:15], v[12:13]
.LBB20_97:                              ;   in Loop: Header=BB20_95 Depth=1
	s_and_not1_saveexec_b32 s0, s21
	s_cbranch_execz .LBB20_94
; %bb.98:                               ;   in Loop: Header=BB20_95 Depth=1
	v_cvt_f32_u32_e32 v3, s12
	s_sub_co_i32 s14, 0, s12
	v_mov_b32_e32 v13, v6
	s_delay_alu instid0(VALU_DEP_2) | instskip(SKIP_1) | instid1(TRANS32_DEP_1)
	v_rcp_iflag_f32_e32 v3, v3
	v_nop
	v_mul_f32_e32 v3, 0x4f7ffffe, v3
	s_delay_alu instid0(VALU_DEP_1) | instskip(NEXT) | instid1(VALU_DEP_1)
	v_cvt_u32_f32_e32 v3, v3
	v_mul_lo_u32 v5, s14, v3
	s_delay_alu instid0(VALU_DEP_1) | instskip(NEXT) | instid1(VALU_DEP_1)
	v_mul_hi_u32 v5, v3, v5
	v_add_nc_u32_e32 v3, v3, v5
	s_delay_alu instid0(VALU_DEP_1) | instskip(NEXT) | instid1(VALU_DEP_1)
	v_mul_hi_u32 v3, v10, v3
	v_mul_lo_u32 v5, v3, s12
	s_delay_alu instid0(VALU_DEP_1) | instskip(SKIP_1) | instid1(VALU_DEP_1)
	v_sub_nc_u32_e32 v5, v10, v5
	s_wait_loadcnt 0x0
	v_subrev_nc_u32_e32 v12, s12, v5
	v_cmp_le_u32_e32 vcc_lo, s12, v5
	s_delay_alu instid0(VALU_DEP_2) | instskip(NEXT) | instid1(VALU_DEP_1)
	v_dual_add_nc_u32 v7, 1, v3 :: v_dual_cndmask_b32 v5, v5, v12, vcc_lo
	v_cndmask_b32_e32 v3, v3, v7, vcc_lo
	s_delay_alu instid0(VALU_DEP_2) | instskip(NEXT) | instid1(VALU_DEP_2)
	v_cmp_le_u32_e32 vcc_lo, s12, v5
	v_add_nc_u32_e32 v7, 1, v3
	s_delay_alu instid0(VALU_DEP_1)
	v_cndmask_b32_e32 v12, v3, v7, vcc_lo
	s_branch .LBB20_94
.LBB20_99:
	s_mov_b32 s1, s33
	s_mov_b32 s0, exec_lo
	s_wait_loadcnt 0x0
	v_cmpx_gt_i32_e64 v2, v4
	s_cbranch_execz .LBB20_105
; %bb.100:
	s_delay_alu instid0(VALU_DEP_2) | instskip(SKIP_2) | instid1(VALU_DEP_1)
	v_lshlrev_b64_e32 v[6:7], 2, v[8:9]
	v_dual_ashrrev_i32 v5, 31, v4 :: v_dual_ashrrev_i32 v3, 31, v2
	s_mov_b32 s1, 0
                                        ; implicit-def: $sgpr9
                                        ; implicit-def: $sgpr8
	v_lshl_add_u64 v[4:5], v[4:5], 2, v[6:7]
	v_add_nc_u64_e32 v[6:7], s[6:7], v[6:7]
	s_delay_alu instid0(VALU_DEP_2) | instskip(SKIP_1) | instid1(VALU_DEP_2)
	v_add_nc_u64_e32 v[4:5], s[6:7], v[4:5]
	s_xor_b32 s7, s27, -1
                                        ; implicit-def: $sgpr6
	v_lshl_add_u64 v[2:3], v[2:3], 2, v[6:7]
	s_delay_alu instid0(VALU_DEP_2)
	v_add_nc_u64_e32 v[4:5], 4, v[4:5]
	s_branch .LBB20_102
.LBB20_101:                             ;   in Loop: Header=BB20_102 Depth=1
	s_or_b32 exec_lo, exec_lo, s10
	s_xor_b32 s10, s8, -1
	s_and_b32 s11, exec_lo, s9
	s_delay_alu instid0(SALU_CYCLE_1) | instskip(SKIP_2) | instid1(SALU_CYCLE_1)
	s_or_b32 s1, s11, s1
	s_and_not1_b32 s6, s6, exec_lo
	s_and_b32 s10, s10, exec_lo
	s_or_b32 s6, s6, s10
	s_and_not1_b32 exec_lo, exec_lo, s1
	s_cbranch_execz .LBB20_104
.LBB20_102:                             ; =>This Inner Loop Header: Depth=1
	s_or_b32 s8, s8, exec_lo
	s_or_b32 s9, s9, exec_lo
	s_mov_b32 s10, exec_lo
	s_delay_alu instid0(VALU_DEP_1)
	v_cmpx_lt_u64_e64 v[4:5], v[2:3]
	s_cbranch_execz .LBB20_101
; %bb.103:                              ;   in Loop: Header=BB20_102 Depth=1
	global_load_b64 v[6:7], v[4:5], off offset:-4
	s_wait_xcnt 0x0
	v_add_nc_u64_e32 v[4:5], 4, v[4:5]
	s_and_not1_b32 s9, s9, exec_lo
	s_and_not1_b32 s8, s8, exec_lo
	s_wait_loadcnt 0x0
	v_cmp_ge_i32_e32 vcc_lo, v6, v7
	s_or_b32 s11, s7, vcc_lo
	s_delay_alu instid0(SALU_CYCLE_1) | instskip(NEXT) | instid1(SALU_CYCLE_1)
	s_and_b32 s11, s11, exec_lo
	s_or_b32 s9, s9, s11
	s_branch .LBB20_101
.LBB20_104:
	s_or_b32 exec_lo, exec_lo, s1
	s_delay_alu instid0(SALU_CYCLE_1) | instskip(SKIP_1) | instid1(SALU_CYCLE_1)
	s_and_not1_b32 s1, s33, exec_lo
	s_and_b32 s6, s6, exec_lo
	s_or_b32 s1, s1, s6
.LBB20_105:
	s_or_b32 exec_lo, exec_lo, s0
	s_delay_alu instid0(SALU_CYCLE_1)
	s_and_not1_b32 s0, s33, exec_lo
	s_and_b32 s1, s1, exec_lo
	s_or_b32 s19, s19, exec_lo
	s_or_b32 s33, s0, s1
	s_or_b32 exec_lo, exec_lo, s20
	s_and_saveexec_b32 s0, s33
	s_cbranch_execz .LBB20_87
.LBB20_106:
	s_and_not1_b32 s19, s19, exec_lo
	s_or_b32 s34, s34, exec_lo
	s_trap 2
	s_or_b32 exec_lo, exec_lo, s0
	s_and_saveexec_b32 s0, s34
	s_delay_alu instid0(SALU_CYCLE_1)
	s_xor_b32 s0, exec_lo, s0
	s_cbranch_execz .LBB20_88
.LBB20_107:
	; divergent unreachable
	s_or_b32 exec_lo, exec_lo, s0
	s_and_saveexec_b32 s0, s19
	s_cbranch_execz .LBB20_89
.LBB20_108:
	s_and_b32 exec_lo, exec_lo, s2
	s_cbranch_execz .LBB20_89
; %bb.109:
	s_wait_loadcnt 0x0
	v_dual_mov_b32 v0, 0 :: v_dual_bitop2_b32 v2, s3, v0 bitop3:0x54
	global_store_b32 v2, v0, s[4:5] scale_offset
	s_wait_xcnt 0x0
	s_and_b32 exec_lo, exec_lo, s31
	s_cbranch_execz .LBB20_89
; %bb.110:
	v_add_nc_u32_e32 v1, s3, v1
	global_store_b32 v1, v0, s[4:5] scale_offset
	s_wait_xcnt 0x0
	s_and_b32 exec_lo, exec_lo, s40
	s_cbranch_execz .LBB20_89
; %bb.111:
	v_dual_mov_b32 v0, 0 :: v_dual_add_nc_u32 v1, s3, v20
	global_store_b32 v1, v0, s[4:5] scale_offset
	s_wait_xcnt 0x0
	s_and_b32 exec_lo, exec_lo, s18
	s_cbranch_execz .LBB20_89
; %bb.112:
	v_add_nc_u32_e32 v1, s3, v17
	global_store_b32 v1, v0, s[4:5] scale_offset
	s_endpgm
.LBB20_113:
	s_mov_b32 s34, exec_lo
	s_and_not1_b32 s0, s0, exec_lo
	s_trap 2
	s_branch .LBB20_80
.LBB20_114:
	s_or_b32 s34, s34, exec_lo
	s_and_not1_b32 s15, s15, exec_lo
	s_trap 2
	s_branch .LBB20_83
	.section	.rodata,"a",@progbits
	.p2align	6, 0x0
	.amdhsa_kernel _ZN2at6native27unrolled_elementwise_kernelIZZZNS0_12_GLOBAL__N_142_validate_compressed_sparse_indices_kernelILNS2_8CDimNameE0ENS2_18CUDAKernelLauncherENS2_14EmptyVecKernelENS2_8DummyVecELm8EEEvRKNS_6TensorESA_lllENKUlvE1_clEvENKUlvE_clEvEUliiiiiE_St5arrayIPcLm6EELi4E23TrivialOffsetCalculatorILi5EjESH_ILi1EjENS0_6memory15LoadWithoutCastENSK_16StoreWithoutCastEEEviT_T0_T2_T3_T4_T5_
		.amdhsa_group_segment_fixed_size 0
		.amdhsa_private_segment_fixed_size 0
		.amdhsa_kernarg_size 228
		.amdhsa_user_sgpr_count 2
		.amdhsa_user_sgpr_dispatch_ptr 0
		.amdhsa_user_sgpr_queue_ptr 0
		.amdhsa_user_sgpr_kernarg_segment_ptr 1
		.amdhsa_user_sgpr_dispatch_id 0
		.amdhsa_user_sgpr_kernarg_preload_length 0
		.amdhsa_user_sgpr_kernarg_preload_offset 0
		.amdhsa_user_sgpr_private_segment_size 0
		.amdhsa_wavefront_size32 1
		.amdhsa_uses_dynamic_stack 0
		.amdhsa_enable_private_segment 0
		.amdhsa_system_sgpr_workgroup_id_x 1
		.amdhsa_system_sgpr_workgroup_id_y 0
		.amdhsa_system_sgpr_workgroup_id_z 0
		.amdhsa_system_sgpr_workgroup_info 0
		.amdhsa_system_vgpr_workitem_id 0
		.amdhsa_next_free_vgpr 44
		.amdhsa_next_free_sgpr 63
		.amdhsa_named_barrier_count 0
		.amdhsa_reserve_vcc 1
		.amdhsa_float_round_mode_32 0
		.amdhsa_float_round_mode_16_64 0
		.amdhsa_float_denorm_mode_32 3
		.amdhsa_float_denorm_mode_16_64 3
		.amdhsa_fp16_overflow 0
		.amdhsa_memory_ordered 1
		.amdhsa_forward_progress 1
		.amdhsa_inst_pref_size 56
		.amdhsa_round_robin_scheduling 0
		.amdhsa_exception_fp_ieee_invalid_op 0
		.amdhsa_exception_fp_denorm_src 0
		.amdhsa_exception_fp_ieee_div_zero 0
		.amdhsa_exception_fp_ieee_overflow 0
		.amdhsa_exception_fp_ieee_underflow 0
		.amdhsa_exception_fp_ieee_inexact 0
		.amdhsa_exception_int_div_zero 0
	.end_amdhsa_kernel
	.section	.text._ZN2at6native27unrolled_elementwise_kernelIZZZNS0_12_GLOBAL__N_142_validate_compressed_sparse_indices_kernelILNS2_8CDimNameE0ENS2_18CUDAKernelLauncherENS2_14EmptyVecKernelENS2_8DummyVecELm8EEEvRKNS_6TensorESA_lllENKUlvE1_clEvENKUlvE_clEvEUliiiiiE_St5arrayIPcLm6EELi4E23TrivialOffsetCalculatorILi5EjESH_ILi1EjENS0_6memory15LoadWithoutCastENSK_16StoreWithoutCastEEEviT_T0_T2_T3_T4_T5_,"axG",@progbits,_ZN2at6native27unrolled_elementwise_kernelIZZZNS0_12_GLOBAL__N_142_validate_compressed_sparse_indices_kernelILNS2_8CDimNameE0ENS2_18CUDAKernelLauncherENS2_14EmptyVecKernelENS2_8DummyVecELm8EEEvRKNS_6TensorESA_lllENKUlvE1_clEvENKUlvE_clEvEUliiiiiE_St5arrayIPcLm6EELi4E23TrivialOffsetCalculatorILi5EjESH_ILi1EjENS0_6memory15LoadWithoutCastENSK_16StoreWithoutCastEEEviT_T0_T2_T3_T4_T5_,comdat
.Lfunc_end20:
	.size	_ZN2at6native27unrolled_elementwise_kernelIZZZNS0_12_GLOBAL__N_142_validate_compressed_sparse_indices_kernelILNS2_8CDimNameE0ENS2_18CUDAKernelLauncherENS2_14EmptyVecKernelENS2_8DummyVecELm8EEEvRKNS_6TensorESA_lllENKUlvE1_clEvENKUlvE_clEvEUliiiiiE_St5arrayIPcLm6EELi4E23TrivialOffsetCalculatorILi5EjESH_ILi1EjENS0_6memory15LoadWithoutCastENSK_16StoreWithoutCastEEEviT_T0_T2_T3_T4_T5_, .Lfunc_end20-_ZN2at6native27unrolled_elementwise_kernelIZZZNS0_12_GLOBAL__N_142_validate_compressed_sparse_indices_kernelILNS2_8CDimNameE0ENS2_18CUDAKernelLauncherENS2_14EmptyVecKernelENS2_8DummyVecELm8EEEvRKNS_6TensorESA_lllENKUlvE1_clEvENKUlvE_clEvEUliiiiiE_St5arrayIPcLm6EELi4E23TrivialOffsetCalculatorILi5EjESH_ILi1EjENS0_6memory15LoadWithoutCastENSK_16StoreWithoutCastEEEviT_T0_T2_T3_T4_T5_
                                        ; -- End function
	.set _ZN2at6native27unrolled_elementwise_kernelIZZZNS0_12_GLOBAL__N_142_validate_compressed_sparse_indices_kernelILNS2_8CDimNameE0ENS2_18CUDAKernelLauncherENS2_14EmptyVecKernelENS2_8DummyVecELm8EEEvRKNS_6TensorESA_lllENKUlvE1_clEvENKUlvE_clEvEUliiiiiE_St5arrayIPcLm6EELi4E23TrivialOffsetCalculatorILi5EjESH_ILi1EjENS0_6memory15LoadWithoutCastENSK_16StoreWithoutCastEEEviT_T0_T2_T3_T4_T5_.num_vgpr, 44
	.set _ZN2at6native27unrolled_elementwise_kernelIZZZNS0_12_GLOBAL__N_142_validate_compressed_sparse_indices_kernelILNS2_8CDimNameE0ENS2_18CUDAKernelLauncherENS2_14EmptyVecKernelENS2_8DummyVecELm8EEEvRKNS_6TensorESA_lllENKUlvE1_clEvENKUlvE_clEvEUliiiiiE_St5arrayIPcLm6EELi4E23TrivialOffsetCalculatorILi5EjESH_ILi1EjENS0_6memory15LoadWithoutCastENSK_16StoreWithoutCastEEEviT_T0_T2_T3_T4_T5_.num_agpr, 0
	.set _ZN2at6native27unrolled_elementwise_kernelIZZZNS0_12_GLOBAL__N_142_validate_compressed_sparse_indices_kernelILNS2_8CDimNameE0ENS2_18CUDAKernelLauncherENS2_14EmptyVecKernelENS2_8DummyVecELm8EEEvRKNS_6TensorESA_lllENKUlvE1_clEvENKUlvE_clEvEUliiiiiE_St5arrayIPcLm6EELi4E23TrivialOffsetCalculatorILi5EjESH_ILi1EjENS0_6memory15LoadWithoutCastENSK_16StoreWithoutCastEEEviT_T0_T2_T3_T4_T5_.numbered_sgpr, 63
	.set _ZN2at6native27unrolled_elementwise_kernelIZZZNS0_12_GLOBAL__N_142_validate_compressed_sparse_indices_kernelILNS2_8CDimNameE0ENS2_18CUDAKernelLauncherENS2_14EmptyVecKernelENS2_8DummyVecELm8EEEvRKNS_6TensorESA_lllENKUlvE1_clEvENKUlvE_clEvEUliiiiiE_St5arrayIPcLm6EELi4E23TrivialOffsetCalculatorILi5EjESH_ILi1EjENS0_6memory15LoadWithoutCastENSK_16StoreWithoutCastEEEviT_T0_T2_T3_T4_T5_.num_named_barrier, 0
	.set _ZN2at6native27unrolled_elementwise_kernelIZZZNS0_12_GLOBAL__N_142_validate_compressed_sparse_indices_kernelILNS2_8CDimNameE0ENS2_18CUDAKernelLauncherENS2_14EmptyVecKernelENS2_8DummyVecELm8EEEvRKNS_6TensorESA_lllENKUlvE1_clEvENKUlvE_clEvEUliiiiiE_St5arrayIPcLm6EELi4E23TrivialOffsetCalculatorILi5EjESH_ILi1EjENS0_6memory15LoadWithoutCastENSK_16StoreWithoutCastEEEviT_T0_T2_T3_T4_T5_.private_seg_size, 0
	.set _ZN2at6native27unrolled_elementwise_kernelIZZZNS0_12_GLOBAL__N_142_validate_compressed_sparse_indices_kernelILNS2_8CDimNameE0ENS2_18CUDAKernelLauncherENS2_14EmptyVecKernelENS2_8DummyVecELm8EEEvRKNS_6TensorESA_lllENKUlvE1_clEvENKUlvE_clEvEUliiiiiE_St5arrayIPcLm6EELi4E23TrivialOffsetCalculatorILi5EjESH_ILi1EjENS0_6memory15LoadWithoutCastENSK_16StoreWithoutCastEEEviT_T0_T2_T3_T4_T5_.uses_vcc, 1
	.set _ZN2at6native27unrolled_elementwise_kernelIZZZNS0_12_GLOBAL__N_142_validate_compressed_sparse_indices_kernelILNS2_8CDimNameE0ENS2_18CUDAKernelLauncherENS2_14EmptyVecKernelENS2_8DummyVecELm8EEEvRKNS_6TensorESA_lllENKUlvE1_clEvENKUlvE_clEvEUliiiiiE_St5arrayIPcLm6EELi4E23TrivialOffsetCalculatorILi5EjESH_ILi1EjENS0_6memory15LoadWithoutCastENSK_16StoreWithoutCastEEEviT_T0_T2_T3_T4_T5_.uses_flat_scratch, 0
	.set _ZN2at6native27unrolled_elementwise_kernelIZZZNS0_12_GLOBAL__N_142_validate_compressed_sparse_indices_kernelILNS2_8CDimNameE0ENS2_18CUDAKernelLauncherENS2_14EmptyVecKernelENS2_8DummyVecELm8EEEvRKNS_6TensorESA_lllENKUlvE1_clEvENKUlvE_clEvEUliiiiiE_St5arrayIPcLm6EELi4E23TrivialOffsetCalculatorILi5EjESH_ILi1EjENS0_6memory15LoadWithoutCastENSK_16StoreWithoutCastEEEviT_T0_T2_T3_T4_T5_.has_dyn_sized_stack, 0
	.set _ZN2at6native27unrolled_elementwise_kernelIZZZNS0_12_GLOBAL__N_142_validate_compressed_sparse_indices_kernelILNS2_8CDimNameE0ENS2_18CUDAKernelLauncherENS2_14EmptyVecKernelENS2_8DummyVecELm8EEEvRKNS_6TensorESA_lllENKUlvE1_clEvENKUlvE_clEvEUliiiiiE_St5arrayIPcLm6EELi4E23TrivialOffsetCalculatorILi5EjESH_ILi1EjENS0_6memory15LoadWithoutCastENSK_16StoreWithoutCastEEEviT_T0_T2_T3_T4_T5_.has_recursion, 0
	.set _ZN2at6native27unrolled_elementwise_kernelIZZZNS0_12_GLOBAL__N_142_validate_compressed_sparse_indices_kernelILNS2_8CDimNameE0ENS2_18CUDAKernelLauncherENS2_14EmptyVecKernelENS2_8DummyVecELm8EEEvRKNS_6TensorESA_lllENKUlvE1_clEvENKUlvE_clEvEUliiiiiE_St5arrayIPcLm6EELi4E23TrivialOffsetCalculatorILi5EjESH_ILi1EjENS0_6memory15LoadWithoutCastENSK_16StoreWithoutCastEEEviT_T0_T2_T3_T4_T5_.has_indirect_call, 0
	.section	.AMDGPU.csdata,"",@progbits
; Kernel info:
; codeLenInByte = 7160
; TotalNumSgprs: 65
; NumVgprs: 44
; ScratchSize: 0
; MemoryBound: 0
; FloatMode: 240
; IeeeMode: 1
; LDSByteSize: 0 bytes/workgroup (compile time only)
; SGPRBlocks: 0
; VGPRBlocks: 2
; NumSGPRsForWavesPerEU: 65
; NumVGPRsForWavesPerEU: 44
; NamedBarCnt: 0
; Occupancy: 16
; WaveLimiterHint : 1
; COMPUTE_PGM_RSRC2:SCRATCH_EN: 0
; COMPUTE_PGM_RSRC2:USER_SGPR: 2
; COMPUTE_PGM_RSRC2:TRAP_HANDLER: 0
; COMPUTE_PGM_RSRC2:TGID_X_EN: 1
; COMPUTE_PGM_RSRC2:TGID_Y_EN: 0
; COMPUTE_PGM_RSRC2:TGID_Z_EN: 0
; COMPUTE_PGM_RSRC2:TIDIG_COMP_CNT: 0
	.section	.text._ZN2at6native32elementwise_kernel_manual_unrollILi128ELi4EZNS0_22gpu_kernel_impl_nocastIZZZNS0_12_GLOBAL__N_142_validate_compressed_sparse_indices_kernelILNS3_8CDimNameE0ENS3_18CUDAKernelLauncherENS3_14EmptyVecKernelENS3_8DummyVecELm8EEEvRKNS_6TensorESB_lllENKUlvE1_clEvENKUlvE_clEvEUliiiiiE_EEvRNS_18TensorIteratorBaseERKT_EUlibE_EEviT1_,"axG",@progbits,_ZN2at6native32elementwise_kernel_manual_unrollILi128ELi4EZNS0_22gpu_kernel_impl_nocastIZZZNS0_12_GLOBAL__N_142_validate_compressed_sparse_indices_kernelILNS3_8CDimNameE0ENS3_18CUDAKernelLauncherENS3_14EmptyVecKernelENS3_8DummyVecELm8EEEvRKNS_6TensorESB_lllENKUlvE1_clEvENKUlvE_clEvEUliiiiiE_EEvRNS_18TensorIteratorBaseERKT_EUlibE_EEviT1_,comdat
	.globl	_ZN2at6native32elementwise_kernel_manual_unrollILi128ELi4EZNS0_22gpu_kernel_impl_nocastIZZZNS0_12_GLOBAL__N_142_validate_compressed_sparse_indices_kernelILNS3_8CDimNameE0ENS3_18CUDAKernelLauncherENS3_14EmptyVecKernelENS3_8DummyVecELm8EEEvRKNS_6TensorESB_lllENKUlvE1_clEvENKUlvE_clEvEUliiiiiE_EEvRNS_18TensorIteratorBaseERKT_EUlibE_EEviT1_ ; -- Begin function _ZN2at6native32elementwise_kernel_manual_unrollILi128ELi4EZNS0_22gpu_kernel_impl_nocastIZZZNS0_12_GLOBAL__N_142_validate_compressed_sparse_indices_kernelILNS3_8CDimNameE0ENS3_18CUDAKernelLauncherENS3_14EmptyVecKernelENS3_8DummyVecELm8EEEvRKNS_6TensorESB_lllENKUlvE1_clEvENKUlvE_clEvEUliiiiiE_EEvRNS_18TensorIteratorBaseERKT_EUlibE_EEviT1_
	.p2align	8
	.type	_ZN2at6native32elementwise_kernel_manual_unrollILi128ELi4EZNS0_22gpu_kernel_impl_nocastIZZZNS0_12_GLOBAL__N_142_validate_compressed_sparse_indices_kernelILNS3_8CDimNameE0ENS3_18CUDAKernelLauncherENS3_14EmptyVecKernelENS3_8DummyVecELm8EEEvRKNS_6TensorESB_lllENKUlvE1_clEvENKUlvE_clEvEUliiiiiE_EEvRNS_18TensorIteratorBaseERKT_EUlibE_EEviT1_,@function
_ZN2at6native32elementwise_kernel_manual_unrollILi128ELi4EZNS0_22gpu_kernel_impl_nocastIZZZNS0_12_GLOBAL__N_142_validate_compressed_sparse_indices_kernelILNS3_8CDimNameE0ENS3_18CUDAKernelLauncherENS3_14EmptyVecKernelENS3_8DummyVecELm8EEEvRKNS_6TensorESB_lllENKUlvE1_clEvENKUlvE_clEvEUliiiiiE_EEvRNS_18TensorIteratorBaseERKT_EUlibE_EEviT1_: ; @_ZN2at6native32elementwise_kernel_manual_unrollILi128ELi4EZNS0_22gpu_kernel_impl_nocastIZZZNS0_12_GLOBAL__N_142_validate_compressed_sparse_indices_kernelILNS3_8CDimNameE0ENS3_18CUDAKernelLauncherENS3_14EmptyVecKernelENS3_8DummyVecELm8EEEvRKNS_6TensorESB_lllENKUlvE1_clEvENKUlvE_clEvEUliiiiiE_EEvRNS_18TensorIteratorBaseERKT_EUlibE_EEviT1_
; %bb.0:
	s_clause 0x1
	s_load_b32 s33, s[0:1], 0x8
	s_load_b32 s72, s[0:1], 0x0
	s_bfe_u32 s2, ttmp6, 0x4000c
	s_and_b32 s3, ttmp6, 15
	s_add_co_i32 s2, s2, 1
	s_getreg_b32 s4, hwreg(HW_REG_IB_STS2, 6, 4)
	s_mul_i32 s2, ttmp9, s2
	s_mov_b32 s61, 0
	s_add_co_i32 s3, s3, s2
	s_cmp_eq_u32 s4, 0
	s_mov_b32 s43, -1
	s_cselect_b32 s2, ttmp9, s3
	s_mov_b32 s36, 0
	v_lshl_or_b32 v0, s2, 9, v0
	s_add_nc_u64 s[2:3], s[0:1], 8
	s_get_pc_i64 s[34:35]
	s_add_nc_u64 s[34:35], s[34:35], .str.1@rel64+4
	s_wait_xcnt 0x0
	s_mov_b32 s0, exec_lo
	v_or_b32_e32 v5, 0x180, v0
	s_wait_kmcnt 0x0
	s_add_co_i32 s60, s33, -1
	s_delay_alu instid0(SALU_CYCLE_1)
	s_cmp_gt_u32 s60, 1
	s_cselect_b32 s62, -1, 0
	v_cmpx_le_i32_e64 s72, v5
	s_xor_b32 s63, exec_lo, s0
	s_cbranch_execz .LBB21_137
; %bb.1:
	s_cmp_lg_u32 s33, 0
	s_get_pc_i64 s[24:25]
	s_add_nc_u64 s[24:25], s[24:25], .str.2@rel64+4
	s_cselect_b32 s73, -1, 0
	s_min_u32 s70, s60, 15
	s_cmp_gt_u32 s33, 1
	s_get_pc_i64 s[40:41]
	s_add_nc_u64 s[40:41], s[40:41], .str.3@rel64+4
	s_cselect_b32 s69, -1, 0
	s_cmp_lg_u64 s[34:35], 0
	s_load_b128 s[20:23], s[2:3], 0x280
	s_cselect_b32 s68, -1, 0
	s_cmp_lg_u64 s[24:25], 0
	s_clause 0x1
	s_load_b128 s[36:39], s[2:3], 0x4
	s_load_b64 s[0:1], s[2:3], 0x14
	s_cselect_b32 s67, -1, 0
	s_cmp_lg_u64 s[40:41], 0
	s_load_b64 s[40:41], s[2:3], 0x318
	s_wait_kmcnt 0x0
	s_clause 0x5
	s_load_b32 s21, s[2:3], 0x290
	s_load_b128 s[28:31], s[2:3], 0xe4
	s_load_b256 s[12:19], s[2:3], 0xc4
	s_load_b256 s[4:11], s[2:3], 0x248
	s_load_b128 s[24:27], s[2:3], 0x268
	s_load_b32 s65, s[2:3], 0x278
	s_cselect_b32 s66, -1, 0
	s_get_pc_i64 s[48:49]
	s_add_nc_u64 s[48:49], s[48:49], .str.4@rel64+4
	s_mov_b32 s45, 0
	s_mov_b32 s77, exec_lo
	s_mov_b32 s76, s45
	s_mov_b32 s75, s45
	;; [unrolled: 1-line block ×4, first 2 shown]
	v_cmp_gt_i64_e64 s47, s[22:23], 0
	s_mov_b32 s44, s37
	s_mov_b32 s46, s0
	s_wait_kmcnt 0x0
	s_add_co_i32 s42, s21, -1
	s_delay_alu instid0(SALU_CYCLE_1) | instskip(SKIP_1) | instid1(SALU_CYCLE_1)
	s_cmp_gt_i32 s42, -1
	s_cselect_b32 s37, -1, 0
	s_and_b32 s64, s47, s37
	s_cmp_lg_u64 s[48:49], 0
	s_mov_b32 s47, s45
	s_cselect_b32 s37, -1, 0
	v_cmpx_gt_i32_e64 s72, v0
	s_cbranch_execz .LBB21_35
; %bb.2:
	s_and_not1_b32 vcc_lo, exec_lo, s62
	s_cbranch_vccnz .LBB21_8
; %bb.3:
	s_and_not1_b32 vcc_lo, exec_lo, s73
	s_cbranch_vccnz .LBB21_9
; %bb.4:
	v_dual_mov_b32 v6, 0 :: v_dual_mov_b32 v1, v0
	v_dual_mov_b32 v5, 0 :: v_dual_mov_b32 v7, 0
	;; [unrolled: 1-line block ×3, first 2 shown]
	v_mov_b32_e32 v8, 0
	s_add_co_i32 s0, s70, 1
	s_mov_b64 s[48:49], 0xffffffffffffffd0
	s_and_b32 s0, s0, 30
	s_add_nc_u64 s[48:49], s[2:3], s[48:49]
	s_mov_b64 s[50:51], s[2:3]
.LBB21_5:                               ; =>This Inner Loop Header: Depth=1
	s_clause 0x1
	s_load_b128 s[80:83], s[50:51], 0x4
	s_load_b64 s[74:75], s[50:51], 0x14
	s_clause 0x1
	s_load_b256 s[52:59], s[48:49], 0xf4
	s_load_b128 s[84:87], s[48:49], 0x114
	s_add_co_i32 s0, s0, -2
	s_wait_xcnt 0x0
	s_add_nc_u64 s[50:51], s[50:51], 24
	s_cmp_lg_u32 s0, 0
	s_add_nc_u64 s[48:49], s[48:49], 48
	s_wait_kmcnt 0x0
	v_mul_hi_u32 v2, s81, v1
	s_delay_alu instid0(VALU_DEP_1) | instskip(NEXT) | instid1(VALU_DEP_1)
	v_add_nc_u32_e32 v2, v1, v2
	v_lshrrev_b32_e32 v2, s82, v2
	s_delay_alu instid0(VALU_DEP_1) | instskip(SKIP_1) | instid1(VALU_DEP_1)
	v_mul_hi_u32 v3, s74, v2
	v_mul_lo_u32 v9, v2, s80
	v_dual_add_nc_u32 v3, v2, v3 :: v_dual_sub_nc_u32 v9, v1, v9
	s_delay_alu instid0(VALU_DEP_1) | instskip(NEXT) | instid1(VALU_DEP_2)
	v_lshrrev_b32_e32 v1, s75, v3
	v_mad_u32 v3, v9, s53, v8
	v_mad_u32 v10, v9, s52, v14
	;; [unrolled: 1-line block ×4, first 2 shown]
	v_mul_lo_u32 v8, v1, s83
	v_mad_u32 v5, s57, v9, v5
	v_mad_u32 v6, s56, v9, v6
	s_delay_alu instid0(VALU_DEP_3) | instskip(NEXT) | instid1(VALU_DEP_1)
	v_sub_nc_u32_e32 v2, v2, v8
	v_mad_u32 v8, v2, s59, v3
	v_mad_u32 v14, v2, s58, v10
	;; [unrolled: 1-line block ×6, first 2 shown]
	s_cbranch_scc1 .LBB21_5
; %bb.6:
	s_bitcmp1_b32 s70, 0
	s_cselect_b32 s0, -1, 0
	s_delay_alu instid0(SALU_CYCLE_1)
	s_and_b32 vcc_lo, exec_lo, s0
	s_cbranch_vccnz .LBB21_10
; %bb.7:
	s_load_b96 s[56:58], s[50:51], 0x4
	s_load_b128 s[52:55], s[48:49], 0xf4
	s_wait_xcnt 0x0
	s_load_b64 s[50:51], s[48:49], 0x104
	s_wait_kmcnt 0x0
	v_mul_hi_u32 v2, s57, v1
	s_delay_alu instid0(VALU_DEP_1) | instskip(NEXT) | instid1(VALU_DEP_1)
	v_add_nc_u32_e32 v2, v1, v2
	v_lshrrev_b32_e32 v2, s58, v2
	s_delay_alu instid0(VALU_DEP_1) | instskip(NEXT) | instid1(VALU_DEP_1)
	v_mul_lo_u32 v2, v2, s56
	v_sub_nc_u32_e32 v1, v1, v2
	s_delay_alu instid0(VALU_DEP_1)
	v_mad_u32 v14, v1, s52, v14
	v_mad_u32 v8, v1, s53, v8
	;; [unrolled: 1-line block ×6, first 2 shown]
	s_cbranch_execz .LBB21_11
	s_branch .LBB21_13
.LBB21_8:
                                        ; implicit-def: $vgpr8
                                        ; implicit-def: $vgpr14
                                        ; implicit-def: $vgpr4
                                        ; implicit-def: $vgpr7
                                        ; implicit-def: $vgpr5
                                        ; implicit-def: $vgpr6
	s_branch .LBB21_11
.LBB21_9:
	v_dual_mov_b32 v8, 0 :: v_dual_mov_b32 v14, 0
	v_dual_mov_b32 v4, 0 :: v_dual_mov_b32 v7, 0
	;; [unrolled: 1-line block ×3, first 2 shown]
.LBB21_10:
	s_cbranch_execnz .LBB21_13
.LBB21_11:
	v_mov_b32_e32 v1, 0
	s_and_not1_b32 vcc_lo, exec_lo, s69
	s_delay_alu instid0(VALU_DEP_1) | instskip(NEXT) | instid1(VALU_DEP_1)
	v_mul_u64_e32 v[2:3], s[44:45], v[0:1]
	v_add_nc_u32_e32 v2, v0, v3
	s_delay_alu instid0(VALU_DEP_1) | instskip(NEXT) | instid1(VALU_DEP_1)
	v_lshrrev_b32_e32 v2, s38, v2
	v_mul_lo_u32 v3, v2, s36
	s_delay_alu instid0(VALU_DEP_1) | instskip(NEXT) | instid1(VALU_DEP_1)
	v_sub_nc_u32_e32 v3, v0, v3
	v_mul_lo_u32 v8, v3, s13
	v_mul_lo_u32 v14, v3, s12
	;; [unrolled: 1-line block ×6, first 2 shown]
	s_cbranch_vccnz .LBB21_13
; %bb.12:
	v_mov_b32_e32 v3, v1
	s_delay_alu instid0(VALU_DEP_1) | instskip(NEXT) | instid1(VALU_DEP_1)
	v_mul_u64_e32 v[10:11], s[46:47], v[2:3]
	v_add_nc_u32_e32 v1, v2, v11
	s_delay_alu instid0(VALU_DEP_1) | instskip(NEXT) | instid1(VALU_DEP_1)
	v_lshrrev_b32_e32 v1, s1, v1
	v_mul_lo_u32 v1, v1, s39
	s_delay_alu instid0(VALU_DEP_1) | instskip(NEXT) | instid1(VALU_DEP_1)
	v_sub_nc_u32_e32 v1, v2, v1
	v_mad_u32 v14, v1, s18, v14
	v_mad_u32 v8, v1, s19, v8
	;; [unrolled: 1-line block ×6, first 2 shown]
.LBB21_13:
	global_load_b32 v1, v8, s[6:7]
	s_mov_b32 s43, -1
	s_mov_b32 s0, 0
	s_mov_b32 s48, 0
	;; [unrolled: 1-line block ×4, first 2 shown]
	s_wait_loadcnt 0x0
	v_cmp_eq_u32_e32 vcc_lo, s65, v1
	s_and_b32 s51, s68, vcc_lo
	s_delay_alu instid0(SALU_CYCLE_1)
	s_and_saveexec_b32 s71, s51
	s_cbranch_execz .LBB21_34
; %bb.14:
	global_load_b32 v1, v7, s[8:9]
	s_wait_loadcnt 0x0
	v_cmp_eq_u32_e32 vcc_lo, s22, v1
	s_and_b32 s50, s67, vcc_lo
	s_delay_alu instid0(SALU_CYCLE_1)
	s_and_saveexec_b32 s74, s50
	s_cbranch_execz .LBB21_33
; %bb.15:
	global_load_b32 v4, v4, s[10:11]
	global_load_b32 v2, v6, s[24:25]
	s_wait_loadcnt 0x0
	v_sub_nc_u32_e32 v1, v2, v4
	s_delay_alu instid0(VALU_DEP_1)
	v_cmp_le_i32_e32 vcc_lo, s65, v1
	v_cmp_ge_i32_e64 s0, s20, v1
	s_and_b32 s48, vcc_lo, s0
	s_mov_b32 s0, 0
	s_and_b32 s49, s66, s48
	s_mov_b32 s48, 0
	s_and_saveexec_b32 s75, s49
	s_cbranch_execz .LBB21_32
; %bb.16:
	v_mov_b64_e32 v[6:7], 0
	s_and_not1_b32 vcc_lo, exec_lo, s64
	s_cbranch_vccnz .LBB21_23
; %bb.17:
	global_load_b32 v6, v5, s[26:27]
	s_mov_b32 s49, 0
	s_mov_b64 s[50:51], 0xffffffff
	s_mov_b32 s43, s49
	v_mov_b32_e32 v8, 0
	s_lshl_b64 s[52:53], s[42:43], 3
	s_mov_b32 s43, s21
	s_add_nc_u64 s[52:53], s[2:3], s[52:53]
	s_delay_alu instid0(SALU_CYCLE_1) | instskip(SKIP_2) | instid1(VALU_DEP_1)
	s_add_nc_u64 s[52:53], s[52:53], 0x298
	s_wait_loadcnt 0x0
	v_ashrrev_i32_e32 v7, 31, v6
	v_mul_u64_e32 v[10:11], s[22:23], v[6:7]
	v_mov_b64_e32 v[6:7], 0
	s_branch .LBB21_19
.LBB21_18:                              ;   in Loop: Header=BB21_19 Depth=1
	s_or_b32 exec_lo, exec_lo, s0
	s_delay_alu instid0(VALU_DEP_1)
	v_mul_u64_e32 v[16:17], s[54:55], v[12:13]
	s_load_b64 s[54:55], s[52:53], 0x40
	s_add_co_i32 s43, s43, -1
	s_wait_xcnt 0x0
	s_add_nc_u64 s[52:53], s[52:53], -8
	s_cmp_eq_u32 s43, 0
	s_delay_alu instid0(VALU_DEP_1) | instskip(SKIP_1) | instid1(VALU_DEP_1)
	v_sub_nc_u64_e32 v[10:11], v[10:11], v[16:17]
	s_wait_kmcnt 0x0
	v_mad_nc_u64_u32 v[6:7], v10, s54, v[6:7]
	s_delay_alu instid0(VALU_DEP_1) | instskip(NEXT) | instid1(VALU_DEP_1)
	v_mad_u32 v1, v11, s54, v7
	v_mad_u32 v7, v10, s55, v1
	v_mov_b64_e32 v[10:11], v[12:13]
	s_cbranch_scc1 .LBB21_23
.LBB21_19:                              ; =>This Inner Loop Header: Depth=1
	s_load_b64 s[54:55], s[52:53], 0x0
                                        ; implicit-def: $vgpr12_vgpr13
	s_mov_b32 s0, exec_lo
	s_wait_kmcnt 0x0
	s_delay_alu instid0(VALU_DEP_1) | instskip(NEXT) | instid1(VALU_DEP_1)
	v_or_b32_e32 v9, s55, v11
	v_cmpx_ne_u64_e32 0, v[8:9]
	s_xor_b32 s76, exec_lo, s0
	s_cbranch_execz .LBB21_21
; %bb.20:                               ;   in Loop: Header=BB21_19 Depth=1
	s_ashr_i32 s56, s55, 31
	v_dual_mov_b32 v19, v8 :: v_dual_ashrrev_i32 v12, 31, v11
	s_mov_b32 s57, s56
	v_mov_b32_e32 v23, v8
	s_add_nc_u64 s[58:59], s[54:55], s[56:57]
	s_delay_alu instid0(VALU_DEP_2)
	v_mov_b32_e32 v13, v12
	s_xor_b64 s[58:59], s[58:59], s[56:57]
	v_mov_b32_e32 v27, v8
	s_cvt_f32_u32 s0, s58
	s_cvt_f32_u32 s48, s59
	s_sub_nc_u64 s[80:81], 0, s[58:59]
	v_add_nc_u64_e32 v[16:17], v[10:11], v[12:13]
	s_delay_alu instid0(SALU_CYCLE_1) | instskip(NEXT) | instid1(SALU_CYCLE_3)
	s_fmamk_f32 s0, s48, 0x4f800000, s0
	v_s_rcp_f32 s0, s0
	s_delay_alu instid0(VALU_DEP_1) | instskip(NEXT) | instid1(VALU_DEP_2)
	v_xor_b32_e32 v22, v17, v12
	v_xor_b32_e32 v18, v16, v12
	s_delay_alu instid0(TRANS32_DEP_1) | instskip(NEXT) | instid1(SALU_CYCLE_3)
	s_mul_f32 s0, s0, 0x5f7ffffc
	s_mul_f32 s48, s0, 0x2f800000
	s_delay_alu instid0(SALU_CYCLE_3) | instskip(NEXT) | instid1(SALU_CYCLE_3)
	s_trunc_f32 s48, s48
	s_fmamk_f32 s0, s48, 0xcf800000, s0
	s_cvt_u32_f32 s79, s48
	s_delay_alu instid0(SALU_CYCLE_2) | instskip(NEXT) | instid1(SALU_CYCLE_3)
	s_cvt_u32_f32 s78, s0
	s_mul_u64 s[82:83], s[80:81], s[78:79]
	s_delay_alu instid0(SALU_CYCLE_1)
	s_mul_hi_u32 s85, s78, s83
	s_mul_i32 s84, s78, s83
	s_mul_hi_u32 s48, s78, s82
	s_mul_i32 s57, s79, s82
	s_add_nc_u64 s[84:85], s[48:49], s[84:85]
	s_mul_hi_u32 s0, s79, s82
	s_mul_hi_u32 s86, s79, s83
	s_add_co_u32 s48, s84, s57
	s_add_co_ci_u32 s48, s85, s0
	s_mul_i32 s82, s79, s83
	s_add_co_ci_u32 s83, s86, 0
	s_delay_alu instid0(SALU_CYCLE_1) | instskip(NEXT) | instid1(SALU_CYCLE_1)
	s_add_nc_u64 s[82:83], s[48:49], s[82:83]
	s_add_co_u32 s78, s78, s82
	s_cselect_b32 s0, -1, 0
	s_delay_alu instid0(SALU_CYCLE_1) | instskip(SKIP_1) | instid1(SALU_CYCLE_1)
	s_cmp_lg_u32 s0, 0
	s_add_co_ci_u32 s79, s79, s83
	s_mul_u64 s[80:81], s[80:81], s[78:79]
	s_delay_alu instid0(SALU_CYCLE_1)
	s_mul_hi_u32 s83, s78, s81
	s_mul_i32 s82, s78, s81
	s_mul_hi_u32 s48, s78, s80
	s_mul_i32 s57, s79, s80
	s_add_nc_u64 s[82:83], s[48:49], s[82:83]
	s_mul_hi_u32 s0, s79, s80
	s_mul_hi_u32 s84, s79, s81
	s_add_co_u32 s48, s82, s57
	s_add_co_ci_u32 s48, s83, s0
	s_mul_i32 s80, s79, s81
	s_add_co_ci_u32 s81, s84, 0
	s_delay_alu instid0(SALU_CYCLE_1) | instskip(NEXT) | instid1(SALU_CYCLE_1)
	s_add_nc_u64 s[80:81], s[48:49], s[80:81]
	s_add_co_u32 s0, s78, s80
	s_cselect_b32 s48, -1, 0
	v_mul_hi_u32 v26, v18, s0
	s_cmp_lg_u32 s48, 0
	s_add_co_ci_u32 s48, s79, s81
	s_and_b64 s[78:79], s[0:1], s[50:51]
	v_mul_u64_e32 v[20:21], s[48:49], v[18:19]
	v_mul_u64_e32 v[16:17], s[78:79], v[22:23]
	;; [unrolled: 1-line block ×3, first 2 shown]
	s_delay_alu instid0(VALU_DEP_3) | instskip(NEXT) | instid1(VALU_DEP_1)
	v_add_nc_u64_e32 v[20:21], v[26:27], v[20:21]
	v_add_co_u32 v1, vcc_lo, v20, v16
	s_delay_alu instid0(VALU_DEP_2) | instskip(NEXT) | instid1(VALU_DEP_4)
	v_add_co_ci_u32_e32 v26, vcc_lo, v21, v17, vcc_lo
	v_add_co_ci_u32_e32 v25, vcc_lo, 0, v25, vcc_lo
	s_delay_alu instid0(VALU_DEP_1) | instskip(NEXT) | instid1(VALU_DEP_1)
	v_add_nc_u64_e32 v[16:17], v[26:27], v[24:25]
	v_mul_u64_e32 v[20:21], s[58:59], v[16:17]
	s_delay_alu instid0(VALU_DEP_1) | instskip(NEXT) | instid1(VALU_DEP_2)
	v_sub_nc_u32_e32 v1, v22, v21
	v_sub_co_u32 v3, vcc_lo, v18, v20
	s_delay_alu instid0(VALU_DEP_1) | instskip(NEXT) | instid1(VALU_DEP_3)
	v_sub_co_ci_u32_e64 v9, null, v22, v21, vcc_lo
	v_subrev_co_ci_u32_e64 v1, null, s59, v1, vcc_lo
	s_delay_alu instid0(VALU_DEP_3) | instskip(SKIP_1) | instid1(VALU_DEP_3)
	v_sub_co_u32 v5, s0, v3, s58
	v_add_nc_u64_e32 v[18:19], 2, v[16:17]
	v_subrev_co_ci_u32_e64 v1, null, 0, v1, s0
	s_delay_alu instid0(VALU_DEP_3) | instskip(SKIP_2) | instid1(VALU_DEP_4)
	v_cmp_le_u32_e32 vcc_lo, s58, v5
	v_add_nc_u64_e32 v[20:21], 1, v[16:17]
	v_cndmask_b32_e64 v5, 0, -1, vcc_lo
	v_cmp_le_u32_e32 vcc_lo, s59, v1
	v_cndmask_b32_e64 v13, 0, -1, vcc_lo
	v_cmp_le_u32_e32 vcc_lo, s58, v3
	;; [unrolled: 2-line block ×3, first 2 shown]
	v_cndmask_b32_e64 v15, 0, -1, vcc_lo
	v_cmp_eq_u32_e32 vcc_lo, s59, v1
	v_cndmask_b32_e32 v1, v13, v5, vcc_lo
	v_cmp_eq_u32_e32 vcc_lo, s59, v9
	s_delay_alu instid0(VALU_DEP_4) | instskip(NEXT) | instid1(VALU_DEP_3)
	v_cndmask_b32_e32 v3, v15, v3, vcc_lo
	v_cmp_ne_u32_e32 vcc_lo, 0, v1
	s_delay_alu instid0(VALU_DEP_2) | instskip(SKIP_1) | instid1(VALU_DEP_1)
	v_cmp_ne_u32_e64 s0, 0, v3
	v_dual_cndmask_b32 v1, v21, v19, vcc_lo :: v_dual_cndmask_b32 v3, v20, v18, vcc_lo
	v_dual_cndmask_b32 v1, v17, v1, s0 :: v_dual_bitop2_b32 v12, s56, v12 bitop3:0x14
	s_delay_alu instid0(VALU_DEP_1) | instskip(NEXT) | instid1(VALU_DEP_1)
	v_dual_cndmask_b32 v3, v16, v3, s0 :: v_dual_bitop2_b32 v17, v1, v12 bitop3:0x14
	v_dual_mov_b32 v13, v12 :: v_dual_bitop2_b32 v16, v3, v12 bitop3:0x14
	s_delay_alu instid0(VALU_DEP_1)
	v_sub_nc_u64_e32 v[12:13], v[16:17], v[12:13]
.LBB21_21:                              ;   in Loop: Header=BB21_19 Depth=1
	s_and_not1_saveexec_b32 s0, s76
	s_cbranch_execz .LBB21_18
; %bb.22:                               ;   in Loop: Header=BB21_19 Depth=1
	v_cvt_f32_u32_e32 v1, s54
	s_sub_co_i32 s48, 0, s54
	v_mov_b32_e32 v13, v8
	s_delay_alu instid0(VALU_DEP_2) | instskip(SKIP_1) | instid1(TRANS32_DEP_1)
	v_rcp_iflag_f32_e32 v1, v1
	v_nop
	v_mul_f32_e32 v1, 0x4f7ffffe, v1
	s_delay_alu instid0(VALU_DEP_1) | instskip(NEXT) | instid1(VALU_DEP_1)
	v_cvt_u32_f32_e32 v1, v1
	v_mul_lo_u32 v3, s48, v1
	s_delay_alu instid0(VALU_DEP_1) | instskip(NEXT) | instid1(VALU_DEP_1)
	v_mul_hi_u32 v3, v1, v3
	v_add_nc_u32_e32 v1, v1, v3
	s_delay_alu instid0(VALU_DEP_1) | instskip(NEXT) | instid1(VALU_DEP_1)
	v_mul_hi_u32 v1, v10, v1
	v_mul_lo_u32 v3, v1, s54
	s_delay_alu instid0(VALU_DEP_1) | instskip(NEXT) | instid1(VALU_DEP_1)
	v_dual_add_nc_u32 v5, 1, v1 :: v_dual_sub_nc_u32 v3, v10, v3
	v_subrev_nc_u32_e32 v9, s54, v3
	v_cmp_le_u32_e32 vcc_lo, s54, v3
	s_delay_alu instid0(VALU_DEP_2) | instskip(NEXT) | instid1(VALU_DEP_4)
	v_cndmask_b32_e32 v3, v3, v9, vcc_lo
	v_cndmask_b32_e32 v1, v1, v5, vcc_lo
	s_delay_alu instid0(VALU_DEP_2) | instskip(NEXT) | instid1(VALU_DEP_2)
	v_cmp_le_u32_e32 vcc_lo, s54, v3
	v_add_nc_u32_e32 v5, 1, v1
	s_delay_alu instid0(VALU_DEP_1)
	v_cndmask_b32_e32 v12, v1, v5, vcc_lo
	s_branch .LBB21_18
.LBB21_23:
	s_mov_b32 s49, -1
	s_mov_b32 s0, 0
	s_mov_b32 s48, 0
	s_mov_b32 s43, exec_lo
	v_cmpx_gt_i32_e64 v2, v4
	s_cbranch_execz .LBB21_29
; %bb.24:
	s_delay_alu instid0(VALU_DEP_2) | instskip(SKIP_2) | instid1(VALU_DEP_1)
	v_lshlrev_b64_e32 v[6:7], 2, v[6:7]
	v_dual_ashrrev_i32 v5, 31, v4 :: v_dual_ashrrev_i32 v3, 31, v2
	s_xor_b32 s50, s37, -1
                                        ; implicit-def: $sgpr49
                                        ; implicit-def: $sgpr52
                                        ; implicit-def: $sgpr51
	v_lshl_add_u64 v[4:5], v[4:5], 2, v[6:7]
	v_add_nc_u64_e32 v[6:7], s[40:41], v[6:7]
	s_delay_alu instid0(VALU_DEP_2) | instskip(NEXT) | instid1(VALU_DEP_2)
	v_add_nc_u64_e32 v[4:5], s[40:41], v[4:5]
	v_lshl_add_u64 v[2:3], v[2:3], 2, v[6:7]
	s_delay_alu instid0(VALU_DEP_2)
	v_add_nc_u64_e32 v[4:5], 4, v[4:5]
	s_branch .LBB21_26
.LBB21_25:                              ;   in Loop: Header=BB21_26 Depth=1
	s_or_b32 exec_lo, exec_lo, s53
	s_delay_alu instid0(SALU_CYCLE_1) | instskip(NEXT) | instid1(SALU_CYCLE_1)
	s_and_b32 s53, exec_lo, s52
	s_or_b32 s48, s53, s48
	s_and_not1_b32 s49, s49, exec_lo
	s_and_b32 s53, s51, exec_lo
	s_delay_alu instid0(SALU_CYCLE_1)
	s_or_b32 s49, s49, s53
	s_and_not1_b32 exec_lo, exec_lo, s48
	s_cbranch_execz .LBB21_28
.LBB21_26:                              ; =>This Inner Loop Header: Depth=1
	s_or_b32 s51, s51, exec_lo
	s_or_b32 s52, s52, exec_lo
	s_mov_b32 s53, exec_lo
	s_delay_alu instid0(VALU_DEP_1)
	v_cmpx_lt_u64_e64 v[4:5], v[2:3]
	s_cbranch_execz .LBB21_25
; %bb.27:                               ;   in Loop: Header=BB21_26 Depth=1
	global_load_b64 v[6:7], v[4:5], off offset:-4
	s_wait_xcnt 0x0
	v_add_nc_u64_e32 v[4:5], 4, v[4:5]
	s_and_not1_b32 s52, s52, exec_lo
	s_and_not1_b32 s51, s51, exec_lo
	s_wait_loadcnt 0x0
	v_cmp_ge_i32_e32 vcc_lo, v6, v7
	s_or_b32 s54, s50, vcc_lo
	s_delay_alu instid0(SALU_CYCLE_1) | instskip(NEXT) | instid1(SALU_CYCLE_1)
	s_and_b32 s54, s54, exec_lo
	s_or_b32 s52, s52, s54
	s_branch .LBB21_25
.LBB21_28:
	s_or_b32 exec_lo, exec_lo, s48
	s_delay_alu instid0(SALU_CYCLE_1)
	s_mov_b32 s48, exec_lo
	s_or_not1_b32 s49, s49, exec_lo
.LBB21_29:
	s_or_b32 exec_lo, exec_lo, s43
	s_and_saveexec_b32 s43, s49
	s_cbranch_execz .LBB21_31
; %bb.30:
	v_dual_mov_b32 v1, 0 :: v_dual_add_nc_u32 v0, 0x80, v0
	s_mov_b32 s0, exec_lo
	s_and_not1_b32 s48, s48, exec_lo
	global_store_b32 v14, v1, s[4:5]
.LBB21_31:
	s_wait_xcnt 0x0
	s_or_b32 exec_lo, exec_lo, s43
	s_delay_alu instid0(SALU_CYCLE_1)
	s_and_b32 s48, s48, exec_lo
	s_xor_b32 s43, exec_lo, -1
	s_and_b32 s0, s0, exec_lo
.LBB21_32:
	s_or_b32 exec_lo, exec_lo, s75
	s_delay_alu instid0(SALU_CYCLE_1)
	s_and_b32 s49, s48, exec_lo
	s_and_b32 s48, s43, exec_lo
	s_xor_b32 s43, exec_lo, -1
	s_and_b32 s0, s0, exec_lo
.LBB21_33:
	s_or_b32 exec_lo, exec_lo, s74
	s_delay_alu instid0(SALU_CYCLE_1)
	s_and_b32 s50, s49, exec_lo
	s_and_b32 s49, s48, exec_lo
	;; [unrolled: 1-line block ×3, first 2 shown]
	s_xor_b32 s43, exec_lo, -1
	s_and_b32 s0, s0, exec_lo
.LBB21_34:
	s_or_b32 exec_lo, exec_lo, s71
	s_delay_alu instid0(SALU_CYCLE_1)
	s_and_b32 s71, s50, exec_lo
	s_and_b32 s74, s49, exec_lo
	;; [unrolled: 1-line block ×4, first 2 shown]
	s_or_not1_b32 s43, s0, exec_lo
.LBB21_35:
	s_or_b32 exec_lo, exec_lo, s77
                                        ; implicit-def: $vgpr12
                                        ; implicit-def: $vgpr4
                                        ; implicit-def: $vgpr7
                                        ; implicit-def: $vgpr6
                                        ; implicit-def: $vgpr5
	s_and_saveexec_b32 s77, s43
	s_cbranch_execz .LBB21_124
; %bb.36:
	s_mov_b32 s43, -1
	s_mov_b32 s78, s76
	s_mov_b32 s81, s75
	;; [unrolled: 1-line block ×4, first 2 shown]
	s_mov_b32 s82, exec_lo
	v_cmpx_gt_i32_e64 s72, v0
	s_cbranch_execz .LBB21_70
; %bb.37:
	s_and_not1_b32 vcc_lo, exec_lo, s62
	s_cbranch_vccnz .LBB21_43
; %bb.38:
	s_and_not1_b32 vcc_lo, exec_lo, s73
	s_cbranch_vccnz .LBB21_44
; %bb.39:
	v_dual_mov_b32 v6, 0 :: v_dual_mov_b32 v1, v0
	v_dual_mov_b32 v5, 0 :: v_dual_mov_b32 v7, 0
	;; [unrolled: 1-line block ×3, first 2 shown]
	v_mov_b32_e32 v8, 0
	s_add_co_i32 s0, s70, 1
	s_mov_b64 s[48:49], 0xffffffffffffffd0
	s_and_b32 s0, s0, 30
	s_add_nc_u64 s[48:49], s[2:3], s[48:49]
	s_mov_b64 s[50:51], s[2:3]
.LBB21_40:                              ; =>This Inner Loop Header: Depth=1
	s_clause 0x1
	s_load_b128 s[84:87], s[50:51], 0x4
	s_load_b64 s[78:79], s[50:51], 0x14
	s_clause 0x1
	s_load_b256 s[52:59], s[48:49], 0xf4
	s_load_b128 s[88:91], s[48:49], 0x114
	s_add_co_i32 s0, s0, -2
	s_wait_xcnt 0x0
	s_add_nc_u64 s[50:51], s[50:51], 24
	s_cmp_eq_u32 s0, 0
	s_add_nc_u64 s[48:49], s[48:49], 48
	s_wait_kmcnt 0x0
	v_mul_hi_u32 v2, s85, v1
	s_delay_alu instid0(VALU_DEP_1) | instskip(NEXT) | instid1(VALU_DEP_1)
	v_add_nc_u32_e32 v2, v1, v2
	v_lshrrev_b32_e32 v2, s86, v2
	s_delay_alu instid0(VALU_DEP_1) | instskip(SKIP_1) | instid1(VALU_DEP_1)
	v_mul_hi_u32 v3, s78, v2
	v_mul_lo_u32 v9, v2, s84
	v_dual_add_nc_u32 v3, v2, v3 :: v_dual_sub_nc_u32 v9, v1, v9
	s_delay_alu instid0(VALU_DEP_1) | instskip(NEXT) | instid1(VALU_DEP_2)
	v_lshrrev_b32_e32 v1, s79, v3
	v_mad_u32 v3, v9, s53, v8
	v_mad_u32 v10, v9, s52, v14
	v_mad_u32 v4, v9, s55, v4
	v_mad_u32 v7, v9, s54, v7
	v_mul_lo_u32 v8, v1, s87
	v_mad_u32 v5, s57, v9, v5
	v_mad_u32 v6, s56, v9, v6
	s_delay_alu instid0(VALU_DEP_3) | instskip(NEXT) | instid1(VALU_DEP_1)
	v_sub_nc_u32_e32 v2, v2, v8
	v_mad_u32 v8, v2, s59, v3
	v_mad_u32 v14, v2, s58, v10
	v_mad_u32 v4, v2, s89, v4
	v_mad_u32 v7, v2, s88, v7
	v_mad_u32 v5, s91, v2, v5
	v_mad_u32 v6, s90, v2, v6
	s_cbranch_scc0 .LBB21_40
; %bb.41:
	s_bitcmp1_b32 s70, 0
	s_cselect_b32 s0, -1, 0
	s_delay_alu instid0(SALU_CYCLE_1)
	s_and_b32 vcc_lo, exec_lo, s0
	s_cbranch_vccnz .LBB21_45
; %bb.42:
	s_load_b96 s[56:58], s[50:51], 0x4
	s_load_b128 s[52:55], s[48:49], 0xf4
	s_wait_xcnt 0x0
	s_load_b64 s[50:51], s[48:49], 0x104
	s_wait_kmcnt 0x0
	v_mul_hi_u32 v2, s57, v1
	s_delay_alu instid0(VALU_DEP_1) | instskip(NEXT) | instid1(VALU_DEP_1)
	v_add_nc_u32_e32 v2, v1, v2
	v_lshrrev_b32_e32 v2, s58, v2
	s_delay_alu instid0(VALU_DEP_1) | instskip(NEXT) | instid1(VALU_DEP_1)
	v_mul_lo_u32 v2, v2, s56
	v_sub_nc_u32_e32 v1, v1, v2
	s_delay_alu instid0(VALU_DEP_1)
	v_mad_u32 v14, v1, s52, v14
	v_mad_u32 v8, v1, s53, v8
	;; [unrolled: 1-line block ×6, first 2 shown]
	s_branch .LBB21_45
.LBB21_43:
                                        ; implicit-def: $vgpr8
                                        ; implicit-def: $vgpr14
                                        ; implicit-def: $vgpr4
                                        ; implicit-def: $vgpr7
                                        ; implicit-def: $vgpr5
                                        ; implicit-def: $vgpr6
	s_branch .LBB21_46
.LBB21_44:
	v_dual_mov_b32 v8, 0 :: v_dual_mov_b32 v14, 0
	v_dual_mov_b32 v4, 0 :: v_dual_mov_b32 v7, 0
	;; [unrolled: 1-line block ×3, first 2 shown]
.LBB21_45:
	s_cbranch_execnz .LBB21_48
.LBB21_46:
	v_mov_b32_e32 v1, 0
	s_and_not1_b32 vcc_lo, exec_lo, s69
	s_delay_alu instid0(VALU_DEP_1) | instskip(NEXT) | instid1(VALU_DEP_1)
	v_mul_u64_e32 v[2:3], s[44:45], v[0:1]
	v_add_nc_u32_e32 v2, v0, v3
	s_delay_alu instid0(VALU_DEP_1) | instskip(NEXT) | instid1(VALU_DEP_1)
	v_lshrrev_b32_e32 v2, s38, v2
	v_mul_lo_u32 v3, v2, s36
	s_delay_alu instid0(VALU_DEP_1) | instskip(NEXT) | instid1(VALU_DEP_1)
	v_sub_nc_u32_e32 v3, v0, v3
	v_mul_lo_u32 v8, v3, s13
	v_mul_lo_u32 v14, v3, s12
	;; [unrolled: 1-line block ×6, first 2 shown]
	s_cbranch_vccnz .LBB21_48
; %bb.47:
	v_mov_b32_e32 v3, v1
	s_delay_alu instid0(VALU_DEP_1) | instskip(NEXT) | instid1(VALU_DEP_1)
	v_mul_u64_e32 v[10:11], s[46:47], v[2:3]
	v_add_nc_u32_e32 v1, v2, v11
	s_delay_alu instid0(VALU_DEP_1) | instskip(NEXT) | instid1(VALU_DEP_1)
	v_lshrrev_b32_e32 v1, s1, v1
	v_mul_lo_u32 v1, v1, s39
	s_delay_alu instid0(VALU_DEP_1) | instskip(NEXT) | instid1(VALU_DEP_1)
	v_sub_nc_u32_e32 v1, v2, v1
	v_mad_u32 v14, v1, s18, v14
	v_mad_u32 v8, v1, s19, v8
	;; [unrolled: 1-line block ×6, first 2 shown]
.LBB21_48:
	global_load_b32 v1, v8, s[6:7]
	s_mov_b32 s0, 0
	s_mov_b32 s43, -1
	s_mov_b32 s48, s75
	s_mov_b32 s50, s74
	;; [unrolled: 1-line block ×3, first 2 shown]
	s_wait_loadcnt 0x0
	v_cmp_eq_u32_e32 vcc_lo, s65, v1
	s_and_b32 s51, s68, vcc_lo
	s_wait_xcnt 0x0
	s_and_saveexec_b32 s78, s51
	s_cbranch_execz .LBB21_69
; %bb.49:
	global_load_b32 v1, v7, s[8:9]
	s_mov_b32 s50, s74
	s_mov_b32 s49, s71
	s_wait_loadcnt 0x0
	v_cmp_eq_u32_e32 vcc_lo, s22, v1
	s_and_b32 s48, s67, vcc_lo
	s_wait_xcnt 0x0
	s_and_saveexec_b32 s79, s48
	s_cbranch_execz .LBB21_68
; %bb.50:
	global_load_b32 v4, v4, s[10:11]
	global_load_b32 v2, v6, s[24:25]
	s_mov_b32 s48, 0
	s_wait_loadcnt 0x0
	v_sub_nc_u32_e32 v1, v2, v4
	s_delay_alu instid0(VALU_DEP_1)
	v_cmp_le_i32_e32 vcc_lo, s65, v1
	v_cmp_ge_i32_e64 s0, s20, v1
	s_and_b32 s43, vcc_lo, s0
	s_mov_b32 s0, -1
	s_and_b32 s49, s66, s43
	s_mov_b32 s43, s71
	s_wait_xcnt 0x0
	s_and_saveexec_b32 s80, s49
	s_cbranch_execz .LBB21_67
; %bb.51:
	v_mov_b64_e32 v[6:7], 0
	s_and_not1_b32 vcc_lo, exec_lo, s64
	s_cbranch_vccnz .LBB21_58
; %bb.52:
	global_load_b32 v6, v5, s[26:27]
	s_mov_b32 s49, 0
	s_mov_b64 s[50:51], 0xffffffff
	s_mov_b32 s43, s49
	v_mov_b32_e32 v8, 0
	s_lshl_b64 s[52:53], s[42:43], 3
	s_mov_b32 s43, s21
	s_add_nc_u64 s[52:53], s[2:3], s[52:53]
	s_delay_alu instid0(SALU_CYCLE_1) | instskip(SKIP_2) | instid1(VALU_DEP_1)
	s_add_nc_u64 s[52:53], s[52:53], 0x298
	s_wait_loadcnt 0x0
	v_ashrrev_i32_e32 v7, 31, v6
	v_mul_u64_e32 v[10:11], s[22:23], v[6:7]
	v_mov_b64_e32 v[6:7], 0
	s_branch .LBB21_54
.LBB21_53:                              ;   in Loop: Header=BB21_54 Depth=1
	s_or_b32 exec_lo, exec_lo, s0
	s_delay_alu instid0(VALU_DEP_1)
	v_mul_u64_e32 v[16:17], s[54:55], v[12:13]
	s_load_b64 s[54:55], s[52:53], 0x40
	s_add_co_i32 s43, s43, -1
	s_wait_xcnt 0x0
	s_add_nc_u64 s[52:53], s[52:53], -8
	s_cmp_lg_u32 s43, 0
	s_delay_alu instid0(VALU_DEP_1) | instskip(SKIP_1) | instid1(VALU_DEP_1)
	v_sub_nc_u64_e32 v[10:11], v[10:11], v[16:17]
	s_wait_kmcnt 0x0
	v_mad_nc_u64_u32 v[6:7], v10, s54, v[6:7]
	s_delay_alu instid0(VALU_DEP_1) | instskip(NEXT) | instid1(VALU_DEP_1)
	v_mad_u32 v1, v11, s54, v7
	v_mad_u32 v7, v10, s55, v1
	v_mov_b64_e32 v[10:11], v[12:13]
	s_cbranch_scc0 .LBB21_58
.LBB21_54:                              ; =>This Inner Loop Header: Depth=1
	s_load_b64 s[54:55], s[52:53], 0x0
                                        ; implicit-def: $vgpr12_vgpr13
	s_mov_b32 s0, exec_lo
	s_wait_kmcnt 0x0
	s_delay_alu instid0(VALU_DEP_1) | instskip(NEXT) | instid1(VALU_DEP_1)
	v_or_b32_e32 v9, s55, v11
	v_cmpx_ne_u64_e32 0, v[8:9]
	s_xor_b32 s81, exec_lo, s0
	s_cbranch_execz .LBB21_56
; %bb.55:                               ;   in Loop: Header=BB21_54 Depth=1
	s_ashr_i32 s56, s55, 31
	v_dual_mov_b32 v19, v8 :: v_dual_ashrrev_i32 v12, 31, v11
	s_mov_b32 s57, s56
	v_mov_b32_e32 v23, v8
	s_add_nc_u64 s[58:59], s[54:55], s[56:57]
	s_delay_alu instid0(VALU_DEP_2)
	v_mov_b32_e32 v13, v12
	s_xor_b64 s[58:59], s[58:59], s[56:57]
	v_mov_b32_e32 v27, v8
	s_cvt_f32_u32 s0, s58
	s_cvt_f32_u32 s48, s59
	s_sub_nc_u64 s[86:87], 0, s[58:59]
	v_add_nc_u64_e32 v[16:17], v[10:11], v[12:13]
	s_delay_alu instid0(SALU_CYCLE_1) | instskip(NEXT) | instid1(SALU_CYCLE_3)
	s_fmamk_f32 s0, s48, 0x4f800000, s0
	v_s_rcp_f32 s0, s0
	s_delay_alu instid0(VALU_DEP_1) | instskip(NEXT) | instid1(VALU_DEP_2)
	v_xor_b32_e32 v22, v17, v12
	v_xor_b32_e32 v18, v16, v12
	s_delay_alu instid0(TRANS32_DEP_1) | instskip(NEXT) | instid1(SALU_CYCLE_3)
	s_mul_f32 s0, s0, 0x5f7ffffc
	s_mul_f32 s48, s0, 0x2f800000
	s_delay_alu instid0(SALU_CYCLE_3) | instskip(NEXT) | instid1(SALU_CYCLE_3)
	s_trunc_f32 s48, s48
	s_fmamk_f32 s0, s48, 0xcf800000, s0
	s_cvt_u32_f32 s85, s48
	s_delay_alu instid0(SALU_CYCLE_2) | instskip(NEXT) | instid1(SALU_CYCLE_3)
	s_cvt_u32_f32 s84, s0
	s_mul_u64 s[88:89], s[86:87], s[84:85]
	s_delay_alu instid0(SALU_CYCLE_1)
	s_mul_hi_u32 s91, s84, s89
	s_mul_i32 s90, s84, s89
	s_mul_hi_u32 s48, s84, s88
	s_mul_i32 s57, s85, s88
	s_add_nc_u64 s[90:91], s[48:49], s[90:91]
	s_mul_hi_u32 s0, s85, s88
	s_mul_hi_u32 s83, s85, s89
	s_add_co_u32 s48, s90, s57
	s_add_co_ci_u32 s48, s91, s0
	s_mul_i32 s88, s85, s89
	s_add_co_ci_u32 s89, s83, 0
	s_delay_alu instid0(SALU_CYCLE_1) | instskip(NEXT) | instid1(SALU_CYCLE_1)
	s_add_nc_u64 s[88:89], s[48:49], s[88:89]
	s_add_co_u32 s84, s84, s88
	s_cselect_b32 s0, -1, 0
	s_delay_alu instid0(SALU_CYCLE_1) | instskip(SKIP_1) | instid1(SALU_CYCLE_1)
	s_cmp_lg_u32 s0, 0
	s_add_co_ci_u32 s85, s85, s89
	s_mul_u64 s[86:87], s[86:87], s[84:85]
	s_delay_alu instid0(SALU_CYCLE_1)
	s_mul_hi_u32 s89, s84, s87
	s_mul_i32 s88, s84, s87
	s_mul_hi_u32 s48, s84, s86
	s_mul_i32 s57, s85, s86
	s_add_nc_u64 s[88:89], s[48:49], s[88:89]
	s_mul_hi_u32 s0, s85, s86
	s_mul_hi_u32 s83, s85, s87
	s_add_co_u32 s48, s88, s57
	s_add_co_ci_u32 s48, s89, s0
	s_mul_i32 s86, s85, s87
	s_add_co_ci_u32 s87, s83, 0
	s_delay_alu instid0(SALU_CYCLE_1) | instskip(NEXT) | instid1(SALU_CYCLE_1)
	s_add_nc_u64 s[86:87], s[48:49], s[86:87]
	s_add_co_u32 s0, s84, s86
	s_cselect_b32 s48, -1, 0
	v_mul_hi_u32 v26, v18, s0
	s_cmp_lg_u32 s48, 0
	s_add_co_ci_u32 s48, s85, s87
	s_and_b64 s[84:85], s[0:1], s[50:51]
	v_mul_u64_e32 v[20:21], s[48:49], v[18:19]
	v_mul_u64_e32 v[16:17], s[84:85], v[22:23]
	v_mul_u64_e32 v[24:25], s[48:49], v[22:23]
	s_delay_alu instid0(VALU_DEP_3) | instskip(NEXT) | instid1(VALU_DEP_1)
	v_add_nc_u64_e32 v[20:21], v[26:27], v[20:21]
	v_add_co_u32 v1, vcc_lo, v20, v16
	s_delay_alu instid0(VALU_DEP_2) | instskip(NEXT) | instid1(VALU_DEP_4)
	v_add_co_ci_u32_e32 v26, vcc_lo, v21, v17, vcc_lo
	v_add_co_ci_u32_e32 v25, vcc_lo, 0, v25, vcc_lo
	s_delay_alu instid0(VALU_DEP_1) | instskip(NEXT) | instid1(VALU_DEP_1)
	v_add_nc_u64_e32 v[16:17], v[26:27], v[24:25]
	v_mul_u64_e32 v[20:21], s[58:59], v[16:17]
	s_delay_alu instid0(VALU_DEP_1) | instskip(NEXT) | instid1(VALU_DEP_2)
	v_sub_nc_u32_e32 v1, v22, v21
	v_sub_co_u32 v3, vcc_lo, v18, v20
	s_delay_alu instid0(VALU_DEP_1) | instskip(NEXT) | instid1(VALU_DEP_3)
	v_sub_co_ci_u32_e64 v9, null, v22, v21, vcc_lo
	v_subrev_co_ci_u32_e64 v1, null, s59, v1, vcc_lo
	s_delay_alu instid0(VALU_DEP_3) | instskip(SKIP_1) | instid1(VALU_DEP_3)
	v_sub_co_u32 v5, s0, v3, s58
	v_add_nc_u64_e32 v[18:19], 2, v[16:17]
	v_subrev_co_ci_u32_e64 v1, null, 0, v1, s0
	s_delay_alu instid0(VALU_DEP_3) | instskip(SKIP_2) | instid1(VALU_DEP_4)
	v_cmp_le_u32_e32 vcc_lo, s58, v5
	v_add_nc_u64_e32 v[20:21], 1, v[16:17]
	v_cndmask_b32_e64 v5, 0, -1, vcc_lo
	v_cmp_le_u32_e32 vcc_lo, s59, v1
	v_cndmask_b32_e64 v13, 0, -1, vcc_lo
	v_cmp_le_u32_e32 vcc_lo, s58, v3
	v_cndmask_b32_e64 v3, 0, -1, vcc_lo
	v_cmp_le_u32_e32 vcc_lo, s59, v9
	v_cndmask_b32_e64 v15, 0, -1, vcc_lo
	v_cmp_eq_u32_e32 vcc_lo, s59, v1
	v_cndmask_b32_e32 v1, v13, v5, vcc_lo
	v_cmp_eq_u32_e32 vcc_lo, s59, v9
	s_delay_alu instid0(VALU_DEP_4) | instskip(NEXT) | instid1(VALU_DEP_3)
	v_cndmask_b32_e32 v3, v15, v3, vcc_lo
	v_cmp_ne_u32_e32 vcc_lo, 0, v1
	s_delay_alu instid0(VALU_DEP_2) | instskip(SKIP_1) | instid1(VALU_DEP_1)
	v_cmp_ne_u32_e64 s0, 0, v3
	v_dual_cndmask_b32 v1, v21, v19, vcc_lo :: v_dual_cndmask_b32 v3, v20, v18, vcc_lo
	v_dual_cndmask_b32 v1, v17, v1, s0 :: v_dual_bitop2_b32 v12, s56, v12 bitop3:0x14
	s_delay_alu instid0(VALU_DEP_1) | instskip(NEXT) | instid1(VALU_DEP_1)
	v_dual_cndmask_b32 v3, v16, v3, s0 :: v_dual_bitop2_b32 v17, v1, v12 bitop3:0x14
	v_dual_mov_b32 v13, v12 :: v_dual_bitop2_b32 v16, v3, v12 bitop3:0x14
	s_delay_alu instid0(VALU_DEP_1)
	v_sub_nc_u64_e32 v[12:13], v[16:17], v[12:13]
.LBB21_56:                              ;   in Loop: Header=BB21_54 Depth=1
	s_and_not1_saveexec_b32 s0, s81
	s_cbranch_execz .LBB21_53
; %bb.57:                               ;   in Loop: Header=BB21_54 Depth=1
	v_cvt_f32_u32_e32 v1, s54
	s_sub_co_i32 s48, 0, s54
	v_mov_b32_e32 v13, v8
	s_delay_alu instid0(VALU_DEP_2) | instskip(SKIP_1) | instid1(TRANS32_DEP_1)
	v_rcp_iflag_f32_e32 v1, v1
	v_nop
	v_mul_f32_e32 v1, 0x4f7ffffe, v1
	s_delay_alu instid0(VALU_DEP_1) | instskip(NEXT) | instid1(VALU_DEP_1)
	v_cvt_u32_f32_e32 v1, v1
	v_mul_lo_u32 v3, s48, v1
	s_delay_alu instid0(VALU_DEP_1) | instskip(NEXT) | instid1(VALU_DEP_1)
	v_mul_hi_u32 v3, v1, v3
	v_add_nc_u32_e32 v1, v1, v3
	s_delay_alu instid0(VALU_DEP_1) | instskip(NEXT) | instid1(VALU_DEP_1)
	v_mul_hi_u32 v1, v10, v1
	v_mul_lo_u32 v3, v1, s54
	s_delay_alu instid0(VALU_DEP_1) | instskip(NEXT) | instid1(VALU_DEP_1)
	v_dual_add_nc_u32 v5, 1, v1 :: v_dual_sub_nc_u32 v3, v10, v3
	v_subrev_nc_u32_e32 v9, s54, v3
	v_cmp_le_u32_e32 vcc_lo, s54, v3
	s_delay_alu instid0(VALU_DEP_2) | instskip(NEXT) | instid1(VALU_DEP_4)
	v_cndmask_b32_e32 v3, v3, v9, vcc_lo
	v_cndmask_b32_e32 v1, v1, v5, vcc_lo
	s_delay_alu instid0(VALU_DEP_2) | instskip(NEXT) | instid1(VALU_DEP_2)
	v_cmp_le_u32_e32 vcc_lo, s54, v3
	v_add_nc_u32_e32 v5, 1, v1
	s_delay_alu instid0(VALU_DEP_1)
	v_cndmask_b32_e32 v12, v1, v5, vcc_lo
	s_branch .LBB21_53
.LBB21_58:
	s_mov_b32 s49, -1
	s_mov_b32 s43, s71
	s_mov_b32 s0, exec_lo
	v_cmpx_gt_i32_e64 v2, v4
	s_cbranch_execz .LBB21_64
; %bb.59:
	s_delay_alu instid0(VALU_DEP_2) | instskip(SKIP_3) | instid1(VALU_DEP_1)
	v_lshlrev_b64_e32 v[6:7], 2, v[6:7]
	v_dual_ashrrev_i32 v5, 31, v4 :: v_dual_ashrrev_i32 v3, 31, v2
	s_mov_b32 s43, 0
	s_xor_b32 s49, s37, -1
                                        ; implicit-def: $sgpr48
                                        ; implicit-def: $sgpr51
                                        ; implicit-def: $sgpr50
	v_lshl_add_u64 v[4:5], v[4:5], 2, v[6:7]
	v_add_nc_u64_e32 v[6:7], s[40:41], v[6:7]
	s_delay_alu instid0(VALU_DEP_2) | instskip(NEXT) | instid1(VALU_DEP_2)
	v_add_nc_u64_e32 v[4:5], s[40:41], v[4:5]
	v_lshl_add_u64 v[2:3], v[2:3], 2, v[6:7]
	s_delay_alu instid0(VALU_DEP_2)
	v_add_nc_u64_e32 v[4:5], 4, v[4:5]
	s_branch .LBB21_61
.LBB21_60:                              ;   in Loop: Header=BB21_61 Depth=1
	s_or_b32 exec_lo, exec_lo, s52
	s_delay_alu instid0(SALU_CYCLE_1) | instskip(NEXT) | instid1(SALU_CYCLE_1)
	s_and_b32 s52, exec_lo, s51
	s_or_b32 s43, s52, s43
	s_and_not1_b32 s48, s48, exec_lo
	s_and_b32 s52, s50, exec_lo
	s_delay_alu instid0(SALU_CYCLE_1)
	s_or_b32 s48, s48, s52
	s_and_not1_b32 exec_lo, exec_lo, s43
	s_cbranch_execz .LBB21_63
.LBB21_61:                              ; =>This Inner Loop Header: Depth=1
	s_or_b32 s50, s50, exec_lo
	s_or_b32 s51, s51, exec_lo
	s_mov_b32 s52, exec_lo
	s_delay_alu instid0(VALU_DEP_1)
	v_cmpx_lt_u64_e64 v[4:5], v[2:3]
	s_cbranch_execz .LBB21_60
; %bb.62:                               ;   in Loop: Header=BB21_61 Depth=1
	global_load_b64 v[6:7], v[4:5], off offset:-4
	s_wait_xcnt 0x0
	v_add_nc_u64_e32 v[4:5], 4, v[4:5]
	s_and_not1_b32 s51, s51, exec_lo
	s_and_not1_b32 s50, s50, exec_lo
	s_wait_loadcnt 0x0
	v_cmp_ge_i32_e32 vcc_lo, v6, v7
	s_or_b32 s53, s49, vcc_lo
	s_delay_alu instid0(SALU_CYCLE_1) | instskip(NEXT) | instid1(SALU_CYCLE_1)
	s_and_b32 s53, s53, exec_lo
	s_or_b32 s51, s51, s53
	s_branch .LBB21_60
.LBB21_63:
	s_or_b32 exec_lo, exec_lo, s43
	s_delay_alu instid0(SALU_CYCLE_1)
	s_or_b32 s43, s71, exec_lo
	s_or_not1_b32 s49, s48, exec_lo
.LBB21_64:
	s_or_b32 exec_lo, exec_lo, s0
	s_mov_b32 s48, 0
	s_and_saveexec_b32 s0, s49
	s_cbranch_execz .LBB21_66
; %bb.65:
	v_dual_mov_b32 v1, 0 :: v_dual_add_nc_u32 v0, 0x80, v0
	s_mov_b32 s48, exec_lo
	s_and_not1_b32 s43, s43, exec_lo
	global_store_b32 v14, v1, s[4:5]
.LBB21_66:
	s_wait_xcnt 0x0
	s_or_b32 exec_lo, exec_lo, s0
	s_delay_alu instid0(SALU_CYCLE_1)
	s_and_not1_b32 s0, s71, exec_lo
	s_and_b32 s43, s43, exec_lo
	s_and_b32 s48, s48, exec_lo
	s_or_b32 s43, s0, s43
	s_xor_b32 s0, exec_lo, -1
.LBB21_67:
	s_or_b32 exec_lo, exec_lo, s80
	s_delay_alu instid0(SALU_CYCLE_1)
	s_and_not1_b32 s49, s71, exec_lo
	s_and_b32 s43, s43, exec_lo
	s_and_not1_b32 s50, s74, exec_lo
	s_and_b32 s0, s0, exec_lo
	s_or_b32 s49, s49, s43
	s_or_b32 s50, s50, s0
	s_xor_b32 s43, exec_lo, -1
	s_and_b32 s0, s48, exec_lo
.LBB21_68:
	s_or_b32 exec_lo, exec_lo, s79
	s_delay_alu instid0(SALU_CYCLE_1)
	s_and_not1_b32 s48, s71, exec_lo
	s_and_b32 s49, s49, exec_lo
	s_and_b32 s50, s50, exec_lo
	s_or_b32 s49, s48, s49
	s_and_not1_b32 s48, s74, exec_lo
	s_and_not1_b32 s51, s75, exec_lo
	s_and_b32 s43, s43, exec_lo
	s_or_b32 s50, s48, s50
	s_or_b32 s48, s51, s43
	s_xor_b32 s43, exec_lo, -1
	s_and_b32 s0, s0, exec_lo
.LBB21_69:
	s_or_b32 exec_lo, exec_lo, s78
	s_delay_alu instid0(SALU_CYCLE_1)
	s_and_not1_b32 s51, s71, exec_lo
	s_and_b32 s49, s49, exec_lo
	s_and_not1_b32 s52, s74, exec_lo
	s_and_b32 s50, s50, exec_lo
	s_or_b32 s79, s51, s49
	s_or_b32 s80, s52, s50
	s_and_not1_b32 s49, s75, exec_lo
	s_and_b32 s48, s48, exec_lo
	s_and_not1_b32 s50, s76, exec_lo
	s_and_b32 s43, s43, exec_lo
	s_or_b32 s81, s49, s48
	s_or_b32 s78, s50, s43
	s_or_not1_b32 s43, s0, exec_lo
.LBB21_70:
	s_or_b32 exec_lo, exec_lo, s82
	s_mov_b32 s0, 0
                                        ; implicit-def: $vgpr12
                                        ; implicit-def: $vgpr4
                                        ; implicit-def: $vgpr7
                                        ; implicit-def: $vgpr6
                                        ; implicit-def: $vgpr5
	s_and_saveexec_b32 s82, s43
	s_cbranch_execz .LBB21_123
; %bb.71:
	s_mov_b32 s49, -1
	s_mov_b32 s0, s78
	s_mov_b32 s52, s81
	;; [unrolled: 1-line block ×4, first 2 shown]
	s_mov_b32 s83, exec_lo
	v_cmpx_gt_i32_e64 s72, v0
	s_cbranch_execz .LBB21_106
; %bb.72:
	s_and_not1_b32 vcc_lo, exec_lo, s62
	s_cbranch_vccnz .LBB21_78
; %bb.73:
	s_and_not1_b32 vcc_lo, exec_lo, s73
	s_cbranch_vccnz .LBB21_79
; %bb.74:
	v_dual_mov_b32 v6, 0 :: v_dual_mov_b32 v1, v0
	v_dual_mov_b32 v5, 0 :: v_dual_mov_b32 v7, 0
	;; [unrolled: 1-line block ×3, first 2 shown]
	v_mov_b32_e32 v8, 0
	s_add_co_i32 s0, s70, 1
	s_mov_b64 s[48:49], 0xffffffffffffffd0
	s_and_b32 s0, s0, 30
	s_add_nc_u64 s[48:49], s[2:3], s[48:49]
	s_mov_b64 s[50:51], s[2:3]
.LBB21_75:                              ; =>This Inner Loop Header: Depth=1
	s_clause 0x1
	s_load_b128 s[84:87], s[50:51], 0x4
	s_load_b64 s[92:93], s[50:51], 0x14
	s_clause 0x1
	s_load_b256 s[52:59], s[48:49], 0xf4
	s_load_b128 s[88:91], s[48:49], 0x114
	s_add_co_i32 s0, s0, -2
	s_wait_xcnt 0x0
	s_add_nc_u64 s[50:51], s[50:51], 24
	s_cmp_eq_u32 s0, 0
	s_add_nc_u64 s[48:49], s[48:49], 48
	s_wait_kmcnt 0x0
	v_mul_hi_u32 v2, s85, v1
	s_delay_alu instid0(VALU_DEP_1) | instskip(NEXT) | instid1(VALU_DEP_1)
	v_add_nc_u32_e32 v2, v1, v2
	v_lshrrev_b32_e32 v2, s86, v2
	s_delay_alu instid0(VALU_DEP_1) | instskip(SKIP_1) | instid1(VALU_DEP_1)
	v_mul_hi_u32 v3, s92, v2
	v_mul_lo_u32 v9, v2, s84
	v_dual_add_nc_u32 v3, v2, v3 :: v_dual_sub_nc_u32 v9, v1, v9
	s_delay_alu instid0(VALU_DEP_1) | instskip(NEXT) | instid1(VALU_DEP_2)
	v_lshrrev_b32_e32 v1, s93, v3
	v_mad_u32 v3, v9, s53, v8
	v_mad_u32 v10, v9, s52, v14
	;; [unrolled: 1-line block ×4, first 2 shown]
	v_mul_lo_u32 v8, v1, s87
	v_mad_u32 v5, s57, v9, v5
	v_mad_u32 v6, s56, v9, v6
	s_delay_alu instid0(VALU_DEP_3) | instskip(NEXT) | instid1(VALU_DEP_1)
	v_sub_nc_u32_e32 v2, v2, v8
	v_mad_u32 v8, v2, s59, v3
	v_mad_u32 v14, v2, s58, v10
	;; [unrolled: 1-line block ×6, first 2 shown]
	s_cbranch_scc0 .LBB21_75
; %bb.76:
	s_bitcmp1_b32 s70, 0
	s_cselect_b32 s0, -1, 0
	s_delay_alu instid0(SALU_CYCLE_1)
	s_and_b32 vcc_lo, exec_lo, s0
	s_cbranch_vccnz .LBB21_80
; %bb.77:
	s_load_b96 s[56:58], s[50:51], 0x4
	s_load_b128 s[52:55], s[48:49], 0xf4
	s_wait_xcnt 0x0
	s_load_b64 s[50:51], s[48:49], 0x104
	s_wait_kmcnt 0x0
	v_mul_hi_u32 v2, s57, v1
	s_delay_alu instid0(VALU_DEP_1) | instskip(NEXT) | instid1(VALU_DEP_1)
	v_add_nc_u32_e32 v2, v1, v2
	v_lshrrev_b32_e32 v2, s58, v2
	s_delay_alu instid0(VALU_DEP_1) | instskip(NEXT) | instid1(VALU_DEP_1)
	v_mul_lo_u32 v2, v2, s56
	v_sub_nc_u32_e32 v1, v1, v2
	s_delay_alu instid0(VALU_DEP_1)
	v_mad_u32 v14, v1, s52, v14
	v_mad_u32 v8, v1, s53, v8
	;; [unrolled: 1-line block ×6, first 2 shown]
	s_branch .LBB21_80
.LBB21_78:
	s_mov_b32 s0, -1
                                        ; implicit-def: $vgpr8
                                        ; implicit-def: $vgpr14
                                        ; implicit-def: $vgpr4
                                        ; implicit-def: $vgpr7
                                        ; implicit-def: $vgpr5
                                        ; implicit-def: $vgpr6
	s_branch .LBB21_81
.LBB21_79:
	v_dual_mov_b32 v8, 0 :: v_dual_mov_b32 v14, 0
	v_dual_mov_b32 v4, 0 :: v_dual_mov_b32 v7, 0
	;; [unrolled: 1-line block ×3, first 2 shown]
.LBB21_80:
	s_mov_b32 s0, 0
.LBB21_81:
	s_delay_alu instid0(SALU_CYCLE_1)
	s_and_not1_b32 vcc_lo, exec_lo, s0
	s_cbranch_vccnz .LBB21_84
; %bb.82:
	v_mov_b32_e32 v1, 0
	s_and_not1_b32 vcc_lo, exec_lo, s69
	s_delay_alu instid0(VALU_DEP_1) | instskip(NEXT) | instid1(VALU_DEP_1)
	v_mul_u64_e32 v[2:3], s[44:45], v[0:1]
	v_add_nc_u32_e32 v2, v0, v3
	s_delay_alu instid0(VALU_DEP_1) | instskip(NEXT) | instid1(VALU_DEP_1)
	v_lshrrev_b32_e32 v2, s38, v2
	v_mul_lo_u32 v3, v2, s36
	s_delay_alu instid0(VALU_DEP_1) | instskip(NEXT) | instid1(VALU_DEP_1)
	v_sub_nc_u32_e32 v3, v0, v3
	v_mul_lo_u32 v8, v3, s13
	v_mul_lo_u32 v14, v3, s12
	;; [unrolled: 1-line block ×6, first 2 shown]
	s_cbranch_vccnz .LBB21_84
; %bb.83:
	v_mov_b32_e32 v3, v1
	s_delay_alu instid0(VALU_DEP_1) | instskip(NEXT) | instid1(VALU_DEP_1)
	v_mul_u64_e32 v[10:11], s[46:47], v[2:3]
	v_add_nc_u32_e32 v1, v2, v11
	s_delay_alu instid0(VALU_DEP_1) | instskip(NEXT) | instid1(VALU_DEP_1)
	v_lshrrev_b32_e32 v1, s1, v1
	v_mul_lo_u32 v1, v1, s39
	s_delay_alu instid0(VALU_DEP_1) | instskip(NEXT) | instid1(VALU_DEP_1)
	v_sub_nc_u32_e32 v1, v2, v1
	v_mad_u32 v14, v1, s18, v14
	v_mad_u32 v8, v1, s19, v8
	;; [unrolled: 1-line block ×6, first 2 shown]
.LBB21_84:
	global_load_b32 v1, v8, s[6:7]
	s_mov_b32 s48, 0
	s_mov_b32 s0, -1
	s_mov_b32 s49, s81
	s_mov_b32 s51, s80
	;; [unrolled: 1-line block ×3, first 2 shown]
	s_wait_loadcnt 0x0
	v_cmp_eq_u32_e32 vcc_lo, s65, v1
	s_and_b32 s43, s68, vcc_lo
	s_wait_xcnt 0x0
	s_and_saveexec_b32 s84, s43
	s_cbranch_execz .LBB21_105
; %bb.85:
	global_load_b32 v1, v7, s[8:9]
	s_mov_b32 s43, 0
	s_mov_b32 s48, s80
	;; [unrolled: 1-line block ×3, first 2 shown]
	s_wait_loadcnt 0x0
	v_cmp_eq_u32_e32 vcc_lo, s22, v1
	s_and_b32 s50, s67, vcc_lo
	s_wait_xcnt 0x0
	s_and_saveexec_b32 s85, s50
	s_cbranch_execz .LBB21_104
; %bb.86:
	global_load_b32 v4, v4, s[10:11]
	global_load_b32 v2, v6, s[24:25]
	s_mov_b32 s49, s79
	s_wait_loadcnt 0x0
	v_sub_nc_u32_e32 v1, v2, v4
	s_delay_alu instid0(VALU_DEP_1)
	v_cmp_le_i32_e32 vcc_lo, s65, v1
	v_cmp_ge_i32_e64 s0, s20, v1
	s_and_b32 s48, vcc_lo, s0
	s_mov_b32 s0, -1
	s_and_b32 s48, s66, s48
	s_wait_xcnt 0x0
	s_and_saveexec_b32 s86, s48
	s_cbranch_execz .LBB21_103
; %bb.87:
	v_mov_b64_e32 v[6:7], 0
	s_and_not1_b32 vcc_lo, exec_lo, s64
	s_cbranch_vccnz .LBB21_94
; %bb.88:
	global_load_b32 v6, v5, s[26:27]
	s_mov_b32 s49, 0
	s_mov_b64 s[50:51], 0xffffffff
	s_mov_b32 s43, s49
	v_mov_b32_e32 v8, 0
	s_lshl_b64 s[52:53], s[42:43], 3
	s_mov_b32 s43, s21
	s_add_nc_u64 s[52:53], s[2:3], s[52:53]
	s_delay_alu instid0(SALU_CYCLE_1) | instskip(SKIP_2) | instid1(VALU_DEP_1)
	s_add_nc_u64 s[52:53], s[52:53], 0x298
	s_wait_loadcnt 0x0
	v_ashrrev_i32_e32 v7, 31, v6
	v_mul_u64_e32 v[10:11], s[22:23], v[6:7]
	v_mov_b64_e32 v[6:7], 0
	s_branch .LBB21_90
.LBB21_89:                              ;   in Loop: Header=BB21_90 Depth=1
	s_or_b32 exec_lo, exec_lo, s0
	s_delay_alu instid0(VALU_DEP_1)
	v_mul_u64_e32 v[16:17], s[54:55], v[12:13]
	s_load_b64 s[54:55], s[52:53], 0x40
	s_add_co_i32 s43, s43, -1
	s_wait_xcnt 0x0
	s_add_nc_u64 s[52:53], s[52:53], -8
	s_cmp_lg_u32 s43, 0
	s_delay_alu instid0(VALU_DEP_1) | instskip(SKIP_1) | instid1(VALU_DEP_1)
	v_sub_nc_u64_e32 v[10:11], v[10:11], v[16:17]
	s_wait_kmcnt 0x0
	v_mad_nc_u64_u32 v[6:7], v10, s54, v[6:7]
	s_delay_alu instid0(VALU_DEP_1) | instskip(NEXT) | instid1(VALU_DEP_1)
	v_mad_u32 v1, v11, s54, v7
	v_mad_u32 v7, v10, s55, v1
	v_mov_b64_e32 v[10:11], v[12:13]
	s_cbranch_scc0 .LBB21_94
.LBB21_90:                              ; =>This Inner Loop Header: Depth=1
	s_load_b64 s[54:55], s[52:53], 0x0
                                        ; implicit-def: $vgpr12_vgpr13
	s_mov_b32 s0, exec_lo
	s_wait_kmcnt 0x0
	s_delay_alu instid0(VALU_DEP_1) | instskip(NEXT) | instid1(VALU_DEP_1)
	v_or_b32_e32 v9, s55, v11
	v_cmpx_ne_u64_e32 0, v[8:9]
	s_xor_b32 s87, exec_lo, s0
	s_cbranch_execz .LBB21_92
; %bb.91:                               ;   in Loop: Header=BB21_90 Depth=1
	s_ashr_i32 s56, s55, 31
	v_dual_mov_b32 v19, v8 :: v_dual_ashrrev_i32 v12, 31, v11
	s_mov_b32 s57, s56
	v_mov_b32_e32 v23, v8
	s_add_nc_u64 s[58:59], s[54:55], s[56:57]
	s_delay_alu instid0(VALU_DEP_2)
	v_mov_b32_e32 v13, v12
	s_xor_b64 s[58:59], s[58:59], s[56:57]
	v_mov_b32_e32 v27, v8
	s_cvt_f32_u32 s0, s58
	s_cvt_f32_u32 s48, s59
	s_sub_nc_u64 s[90:91], 0, s[58:59]
	v_add_nc_u64_e32 v[16:17], v[10:11], v[12:13]
	s_delay_alu instid0(SALU_CYCLE_1) | instskip(NEXT) | instid1(SALU_CYCLE_3)
	s_fmamk_f32 s0, s48, 0x4f800000, s0
	v_s_rcp_f32 s0, s0
	s_delay_alu instid0(VALU_DEP_1) | instskip(NEXT) | instid1(VALU_DEP_2)
	v_xor_b32_e32 v22, v17, v12
	v_xor_b32_e32 v18, v16, v12
	s_delay_alu instid0(TRANS32_DEP_1) | instskip(NEXT) | instid1(SALU_CYCLE_3)
	s_mul_f32 s0, s0, 0x5f7ffffc
	s_mul_f32 s48, s0, 0x2f800000
	s_delay_alu instid0(SALU_CYCLE_3) | instskip(NEXT) | instid1(SALU_CYCLE_3)
	s_trunc_f32 s48, s48
	s_fmamk_f32 s0, s48, 0xcf800000, s0
	s_cvt_u32_f32 s89, s48
	s_delay_alu instid0(SALU_CYCLE_2) | instskip(NEXT) | instid1(SALU_CYCLE_3)
	s_cvt_u32_f32 s88, s0
	s_mul_u64 s[92:93], s[90:91], s[88:89]
	s_delay_alu instid0(SALU_CYCLE_1)
	s_mul_hi_u32 s95, s88, s93
	s_mul_i32 s94, s88, s93
	s_mul_hi_u32 s48, s88, s92
	s_mul_i32 s57, s89, s92
	s_add_nc_u64 s[94:95], s[48:49], s[94:95]
	s_mul_hi_u32 s0, s89, s92
	s_mul_hi_u32 s96, s89, s93
	s_add_co_u32 s48, s94, s57
	s_add_co_ci_u32 s48, s95, s0
	s_mul_i32 s92, s89, s93
	s_add_co_ci_u32 s93, s96, 0
	s_delay_alu instid0(SALU_CYCLE_1) | instskip(NEXT) | instid1(SALU_CYCLE_1)
	s_add_nc_u64 s[92:93], s[48:49], s[92:93]
	s_add_co_u32 s88, s88, s92
	s_cselect_b32 s0, -1, 0
	s_delay_alu instid0(SALU_CYCLE_1) | instskip(SKIP_1) | instid1(SALU_CYCLE_1)
	s_cmp_lg_u32 s0, 0
	s_add_co_ci_u32 s89, s89, s93
	s_mul_u64 s[90:91], s[90:91], s[88:89]
	s_delay_alu instid0(SALU_CYCLE_1)
	s_mul_hi_u32 s93, s88, s91
	s_mul_i32 s92, s88, s91
	s_mul_hi_u32 s48, s88, s90
	s_mul_i32 s57, s89, s90
	s_add_nc_u64 s[92:93], s[48:49], s[92:93]
	s_mul_hi_u32 s0, s89, s90
	s_mul_hi_u32 s94, s89, s91
	s_add_co_u32 s48, s92, s57
	s_add_co_ci_u32 s48, s93, s0
	s_mul_i32 s90, s89, s91
	s_add_co_ci_u32 s91, s94, 0
	s_delay_alu instid0(SALU_CYCLE_1) | instskip(NEXT) | instid1(SALU_CYCLE_1)
	s_add_nc_u64 s[90:91], s[48:49], s[90:91]
	s_add_co_u32 s0, s88, s90
	s_cselect_b32 s48, -1, 0
	v_mul_hi_u32 v26, v18, s0
	s_cmp_lg_u32 s48, 0
	s_add_co_ci_u32 s48, s89, s91
	s_and_b64 s[88:89], s[0:1], s[50:51]
	v_mul_u64_e32 v[20:21], s[48:49], v[18:19]
	v_mul_u64_e32 v[16:17], s[88:89], v[22:23]
	v_mul_u64_e32 v[24:25], s[48:49], v[22:23]
	s_delay_alu instid0(VALU_DEP_3) | instskip(NEXT) | instid1(VALU_DEP_1)
	v_add_nc_u64_e32 v[20:21], v[26:27], v[20:21]
	v_add_co_u32 v1, vcc_lo, v20, v16
	s_delay_alu instid0(VALU_DEP_2) | instskip(NEXT) | instid1(VALU_DEP_4)
	v_add_co_ci_u32_e32 v26, vcc_lo, v21, v17, vcc_lo
	v_add_co_ci_u32_e32 v25, vcc_lo, 0, v25, vcc_lo
	s_delay_alu instid0(VALU_DEP_1) | instskip(NEXT) | instid1(VALU_DEP_1)
	v_add_nc_u64_e32 v[16:17], v[26:27], v[24:25]
	v_mul_u64_e32 v[20:21], s[58:59], v[16:17]
	s_delay_alu instid0(VALU_DEP_1) | instskip(NEXT) | instid1(VALU_DEP_2)
	v_sub_nc_u32_e32 v1, v22, v21
	v_sub_co_u32 v3, vcc_lo, v18, v20
	s_delay_alu instid0(VALU_DEP_1) | instskip(NEXT) | instid1(VALU_DEP_3)
	v_sub_co_ci_u32_e64 v9, null, v22, v21, vcc_lo
	v_subrev_co_ci_u32_e64 v1, null, s59, v1, vcc_lo
	s_delay_alu instid0(VALU_DEP_3) | instskip(SKIP_1) | instid1(VALU_DEP_3)
	v_sub_co_u32 v5, s0, v3, s58
	v_add_nc_u64_e32 v[18:19], 2, v[16:17]
	v_subrev_co_ci_u32_e64 v1, null, 0, v1, s0
	s_delay_alu instid0(VALU_DEP_3) | instskip(SKIP_2) | instid1(VALU_DEP_4)
	v_cmp_le_u32_e32 vcc_lo, s58, v5
	v_add_nc_u64_e32 v[20:21], 1, v[16:17]
	v_cndmask_b32_e64 v5, 0, -1, vcc_lo
	v_cmp_le_u32_e32 vcc_lo, s59, v1
	v_cndmask_b32_e64 v13, 0, -1, vcc_lo
	v_cmp_le_u32_e32 vcc_lo, s58, v3
	;; [unrolled: 2-line block ×3, first 2 shown]
	v_cndmask_b32_e64 v15, 0, -1, vcc_lo
	v_cmp_eq_u32_e32 vcc_lo, s59, v1
	v_cndmask_b32_e32 v1, v13, v5, vcc_lo
	v_cmp_eq_u32_e32 vcc_lo, s59, v9
	s_delay_alu instid0(VALU_DEP_4) | instskip(NEXT) | instid1(VALU_DEP_3)
	v_cndmask_b32_e32 v3, v15, v3, vcc_lo
	v_cmp_ne_u32_e32 vcc_lo, 0, v1
	s_delay_alu instid0(VALU_DEP_2) | instskip(SKIP_1) | instid1(VALU_DEP_1)
	v_cmp_ne_u32_e64 s0, 0, v3
	v_dual_cndmask_b32 v1, v21, v19, vcc_lo :: v_dual_cndmask_b32 v3, v20, v18, vcc_lo
	v_dual_cndmask_b32 v1, v17, v1, s0 :: v_dual_bitop2_b32 v12, s56, v12 bitop3:0x14
	s_delay_alu instid0(VALU_DEP_1) | instskip(NEXT) | instid1(VALU_DEP_1)
	v_dual_cndmask_b32 v3, v16, v3, s0 :: v_dual_bitop2_b32 v17, v1, v12 bitop3:0x14
	v_dual_mov_b32 v13, v12 :: v_dual_bitop2_b32 v16, v3, v12 bitop3:0x14
	s_delay_alu instid0(VALU_DEP_1)
	v_sub_nc_u64_e32 v[12:13], v[16:17], v[12:13]
.LBB21_92:                              ;   in Loop: Header=BB21_90 Depth=1
	s_and_not1_saveexec_b32 s0, s87
	s_cbranch_execz .LBB21_89
; %bb.93:                               ;   in Loop: Header=BB21_90 Depth=1
	v_cvt_f32_u32_e32 v1, s54
	s_sub_co_i32 s48, 0, s54
	v_mov_b32_e32 v13, v8
	s_delay_alu instid0(VALU_DEP_2) | instskip(SKIP_1) | instid1(TRANS32_DEP_1)
	v_rcp_iflag_f32_e32 v1, v1
	v_nop
	v_mul_f32_e32 v1, 0x4f7ffffe, v1
	s_delay_alu instid0(VALU_DEP_1) | instskip(NEXT) | instid1(VALU_DEP_1)
	v_cvt_u32_f32_e32 v1, v1
	v_mul_lo_u32 v3, s48, v1
	s_delay_alu instid0(VALU_DEP_1) | instskip(NEXT) | instid1(VALU_DEP_1)
	v_mul_hi_u32 v3, v1, v3
	v_add_nc_u32_e32 v1, v1, v3
	s_delay_alu instid0(VALU_DEP_1) | instskip(NEXT) | instid1(VALU_DEP_1)
	v_mul_hi_u32 v1, v10, v1
	v_mul_lo_u32 v3, v1, s54
	s_delay_alu instid0(VALU_DEP_1) | instskip(NEXT) | instid1(VALU_DEP_1)
	v_dual_add_nc_u32 v5, 1, v1 :: v_dual_sub_nc_u32 v3, v10, v3
	v_subrev_nc_u32_e32 v9, s54, v3
	v_cmp_le_u32_e32 vcc_lo, s54, v3
	s_delay_alu instid0(VALU_DEP_2) | instskip(NEXT) | instid1(VALU_DEP_4)
	v_cndmask_b32_e32 v3, v3, v9, vcc_lo
	v_cndmask_b32_e32 v1, v1, v5, vcc_lo
	s_delay_alu instid0(VALU_DEP_2) | instskip(NEXT) | instid1(VALU_DEP_2)
	v_cmp_le_u32_e32 vcc_lo, s54, v3
	v_add_nc_u32_e32 v5, 1, v1
	s_delay_alu instid0(VALU_DEP_1)
	v_cndmask_b32_e32 v12, v1, v5, vcc_lo
	s_branch .LBB21_89
.LBB21_94:
	s_mov_b32 s49, -1
	s_mov_b32 s43, s79
	s_mov_b32 s0, exec_lo
	v_cmpx_gt_i32_e64 v2, v4
	s_cbranch_execz .LBB21_100
; %bb.95:
	s_delay_alu instid0(VALU_DEP_2) | instskip(SKIP_3) | instid1(VALU_DEP_1)
	v_lshlrev_b64_e32 v[6:7], 2, v[6:7]
	v_dual_ashrrev_i32 v5, 31, v4 :: v_dual_ashrrev_i32 v3, 31, v2
	s_mov_b32 s43, 0
	s_xor_b32 s49, s37, -1
                                        ; implicit-def: $sgpr48
                                        ; implicit-def: $sgpr51
                                        ; implicit-def: $sgpr50
	v_lshl_add_u64 v[4:5], v[4:5], 2, v[6:7]
	v_add_nc_u64_e32 v[6:7], s[40:41], v[6:7]
	s_delay_alu instid0(VALU_DEP_2) | instskip(NEXT) | instid1(VALU_DEP_2)
	v_add_nc_u64_e32 v[4:5], s[40:41], v[4:5]
	v_lshl_add_u64 v[2:3], v[2:3], 2, v[6:7]
	s_delay_alu instid0(VALU_DEP_2)
	v_add_nc_u64_e32 v[4:5], 4, v[4:5]
	s_branch .LBB21_97
.LBB21_96:                              ;   in Loop: Header=BB21_97 Depth=1
	s_or_b32 exec_lo, exec_lo, s52
	s_delay_alu instid0(SALU_CYCLE_1) | instskip(NEXT) | instid1(SALU_CYCLE_1)
	s_and_b32 s52, exec_lo, s51
	s_or_b32 s43, s52, s43
	s_and_not1_b32 s48, s48, exec_lo
	s_and_b32 s52, s50, exec_lo
	s_delay_alu instid0(SALU_CYCLE_1)
	s_or_b32 s48, s48, s52
	s_and_not1_b32 exec_lo, exec_lo, s43
	s_cbranch_execz .LBB21_99
.LBB21_97:                              ; =>This Inner Loop Header: Depth=1
	s_or_b32 s50, s50, exec_lo
	s_or_b32 s51, s51, exec_lo
	s_mov_b32 s52, exec_lo
	s_delay_alu instid0(VALU_DEP_1)
	v_cmpx_lt_u64_e64 v[4:5], v[2:3]
	s_cbranch_execz .LBB21_96
; %bb.98:                               ;   in Loop: Header=BB21_97 Depth=1
	global_load_b64 v[6:7], v[4:5], off offset:-4
	s_wait_xcnt 0x0
	v_add_nc_u64_e32 v[4:5], 4, v[4:5]
	s_and_not1_b32 s51, s51, exec_lo
	s_and_not1_b32 s50, s50, exec_lo
	s_wait_loadcnt 0x0
	v_cmp_ge_i32_e32 vcc_lo, v6, v7
	s_or_b32 s53, s49, vcc_lo
	s_delay_alu instid0(SALU_CYCLE_1) | instskip(NEXT) | instid1(SALU_CYCLE_1)
	s_and_b32 s53, s53, exec_lo
	s_or_b32 s51, s51, s53
	s_branch .LBB21_96
.LBB21_99:
	s_or_b32 exec_lo, exec_lo, s43
	s_delay_alu instid0(SALU_CYCLE_1)
	s_or_b32 s43, s79, exec_lo
	s_or_not1_b32 s49, s48, exec_lo
.LBB21_100:
	s_or_b32 exec_lo, exec_lo, s0
	s_mov_b32 s48, 0
	s_and_saveexec_b32 s0, s49
	s_cbranch_execz .LBB21_102
; %bb.101:
	v_dual_mov_b32 v1, 0 :: v_dual_add_nc_u32 v0, 0x80, v0
	s_mov_b32 s48, exec_lo
	s_and_not1_b32 s43, s43, exec_lo
	global_store_b32 v14, v1, s[4:5]
.LBB21_102:
	s_wait_xcnt 0x0
	s_or_b32 exec_lo, exec_lo, s0
	s_delay_alu instid0(SALU_CYCLE_1) | instskip(SKIP_1) | instid1(SALU_CYCLE_1)
	s_and_not1_b32 s0, s79, exec_lo
	s_and_b32 s43, s43, exec_lo
	s_or_b32 s49, s0, s43
	s_xor_b32 s0, exec_lo, -1
	s_and_b32 s43, s48, exec_lo
.LBB21_103:
	s_or_b32 exec_lo, exec_lo, s86
	s_delay_alu instid0(SALU_CYCLE_1)
	s_and_not1_b32 s48, s79, exec_lo
	s_and_b32 s49, s49, exec_lo
	s_and_not1_b32 s50, s80, exec_lo
	s_and_b32 s0, s0, exec_lo
	s_or_b32 s49, s48, s49
	s_or_b32 s48, s50, s0
	s_xor_b32 s0, exec_lo, -1
	s_and_b32 s43, s43, exec_lo
.LBB21_104:
	s_or_b32 exec_lo, exec_lo, s85
	s_delay_alu instid0(SALU_CYCLE_1)
	s_and_not1_b32 s50, s79, exec_lo
	s_and_b32 s49, s49, exec_lo
	s_and_b32 s48, s48, exec_lo
	s_or_b32 s50, s50, s49
	s_and_not1_b32 s49, s80, exec_lo
	s_and_not1_b32 s52, s81, exec_lo
	s_and_b32 s0, s0, exec_lo
	s_or_b32 s51, s49, s48
	s_or_b32 s49, s52, s0
	s_xor_b32 s0, exec_lo, -1
	s_and_b32 s48, s43, exec_lo
.LBB21_105:
	s_or_b32 exec_lo, exec_lo, s84
	s_delay_alu instid0(SALU_CYCLE_1)
	s_and_not1_b32 s43, s79, exec_lo
	s_and_b32 s50, s50, exec_lo
	s_and_not1_b32 s52, s80, exec_lo
	s_and_b32 s51, s51, exec_lo
	s_or_b32 s53, s43, s50
	s_or_b32 s43, s52, s51
	s_and_not1_b32 s50, s81, exec_lo
	s_and_b32 s49, s49, exec_lo
	s_and_not1_b32 s51, s78, exec_lo
	s_and_b32 s0, s0, exec_lo
	s_or_b32 s52, s50, s49
	s_or_b32 s0, s51, s0
	s_or_not1_b32 s49, s48, exec_lo
.LBB21_106:
	s_or_b32 exec_lo, exec_lo, s83
	s_mov_b32 s48, 0
                                        ; implicit-def: $vgpr12
                                        ; implicit-def: $vgpr4
                                        ; implicit-def: $vgpr7
                                        ; implicit-def: $vgpr6
                                        ; implicit-def: $vgpr5
	s_and_saveexec_b32 s54, s49
	s_cbranch_execz .LBB21_122
; %bb.107:
	s_mov_b32 s49, s0
	s_mov_b32 s55, exec_lo
                                        ; implicit-def: $vgpr12
                                        ; implicit-def: $vgpr4
                                        ; implicit-def: $vgpr7
                                        ; implicit-def: $vgpr6
                                        ; implicit-def: $vgpr5
	v_cmpx_gt_i32_e64 s72, v0
	s_cbranch_execz .LBB21_121
; %bb.108:
	s_and_not1_b32 vcc_lo, exec_lo, s62
	s_cbranch_vccnz .LBB21_114
; %bb.109:
	s_and_not1_b32 vcc_lo, exec_lo, s73
	s_cbranch_vccnz .LBB21_115
; %bb.110:
	v_dual_mov_b32 v5, 0 :: v_dual_mov_b32 v1, v0
	v_dual_mov_b32 v6, 0 :: v_dual_mov_b32 v7, 0
	;; [unrolled: 1-line block ×3, first 2 shown]
	v_mov_b32_e32 v8, 0
	s_add_co_i32 s50, s70, 1
	s_mov_b64 s[48:49], 0xffffffffffffffd0
	s_and_b32 s56, s50, 30
	s_add_nc_u64 s[48:49], s[2:3], s[48:49]
	s_mov_b64 s[50:51], s[2:3]
.LBB21_111:                             ; =>This Inner Loop Header: Depth=1
	s_clause 0x1
	s_load_b128 s[92:95], s[50:51], 0x4
	s_load_b64 s[58:59], s[50:51], 0x14
	s_clause 0x1
	s_load_b256 s[84:91], s[48:49], 0xf4
	s_load_b128 s[96:99], s[48:49], 0x114
	s_add_co_i32 s56, s56, -2
	s_wait_xcnt 0x0
	s_add_nc_u64 s[50:51], s[50:51], 24
	s_cmp_eq_u32 s56, 0
	s_add_nc_u64 s[48:49], s[48:49], 48
	s_wait_kmcnt 0x0
	v_mul_hi_u32 v2, s93, v1
	s_delay_alu instid0(VALU_DEP_1) | instskip(NEXT) | instid1(VALU_DEP_1)
	v_add_nc_u32_e32 v2, v1, v2
	v_lshrrev_b32_e32 v2, s94, v2
	s_delay_alu instid0(VALU_DEP_1) | instskip(SKIP_1) | instid1(VALU_DEP_1)
	v_mul_hi_u32 v3, s58, v2
	v_mul_lo_u32 v9, v2, s92
	v_dual_add_nc_u32 v3, v2, v3 :: v_dual_sub_nc_u32 v9, v1, v9
	s_delay_alu instid0(VALU_DEP_1) | instskip(NEXT) | instid1(VALU_DEP_2)
	v_lshrrev_b32_e32 v1, s59, v3
	v_mad_u32 v3, v9, s85, v8
	v_mad_u32 v10, v9, s84, v12
	;; [unrolled: 1-line block ×4, first 2 shown]
	v_mul_lo_u32 v8, v1, s95
	v_mad_u32 v6, s89, v9, v6
	v_mad_u32 v5, s88, v9, v5
	s_delay_alu instid0(VALU_DEP_3) | instskip(NEXT) | instid1(VALU_DEP_1)
	v_sub_nc_u32_e32 v2, v2, v8
	v_mad_u32 v8, v2, s91, v3
	v_mad_u32 v12, v2, s90, v10
	;; [unrolled: 1-line block ×6, first 2 shown]
	s_cbranch_scc0 .LBB21_111
; %bb.112:
	s_bitcmp1_b32 s70, 0
	s_cselect_b32 s56, -1, 0
	s_delay_alu instid0(SALU_CYCLE_1)
	s_and_b32 vcc_lo, exec_lo, s56
	s_cbranch_vccnz .LBB21_116
; %bb.113:
	s_load_b96 s[84:86], s[50:51], 0x4
	s_load_b128 s[56:59], s[48:49], 0xf4
	s_wait_xcnt 0x0
	s_load_b64 s[50:51], s[48:49], 0x104
	s_wait_kmcnt 0x0
	v_mul_hi_u32 v2, s85, v1
	s_delay_alu instid0(VALU_DEP_1) | instskip(NEXT) | instid1(VALU_DEP_1)
	v_add_nc_u32_e32 v2, v1, v2
	v_lshrrev_b32_e32 v2, s86, v2
	s_delay_alu instid0(VALU_DEP_1) | instskip(NEXT) | instid1(VALU_DEP_1)
	v_mul_lo_u32 v2, v2, s84
	v_sub_nc_u32_e32 v1, v1, v2
	s_delay_alu instid0(VALU_DEP_1)
	v_mad_u32 v12, v1, s56, v12
	v_mad_u32 v8, v1, s57, v8
	;; [unrolled: 1-line block ×6, first 2 shown]
	s_branch .LBB21_116
.LBB21_114:
	s_mov_b32 s48, -1
                                        ; implicit-def: $vgpr8
                                        ; implicit-def: $vgpr12
                                        ; implicit-def: $vgpr4
                                        ; implicit-def: $vgpr7
                                        ; implicit-def: $vgpr6
                                        ; implicit-def: $vgpr5
	s_branch .LBB21_117
.LBB21_115:
	v_dual_mov_b32 v8, 0 :: v_dual_mov_b32 v12, 0
	v_dual_mov_b32 v4, 0 :: v_dual_mov_b32 v7, 0
	;; [unrolled: 1-line block ×3, first 2 shown]
.LBB21_116:
	s_mov_b32 s48, 0
.LBB21_117:
	s_delay_alu instid0(SALU_CYCLE_1)
	s_and_not1_b32 vcc_lo, exec_lo, s48
	s_cbranch_vccnz .LBB21_120
; %bb.118:
	v_mov_b32_e32 v1, 0
	s_and_not1_b32 vcc_lo, exec_lo, s69
	s_delay_alu instid0(VALU_DEP_1) | instskip(NEXT) | instid1(VALU_DEP_1)
	v_mul_u64_e32 v[2:3], s[44:45], v[0:1]
	v_add_nc_u32_e32 v2, v0, v3
	s_delay_alu instid0(VALU_DEP_1) | instskip(NEXT) | instid1(VALU_DEP_1)
	v_lshrrev_b32_e32 v2, s38, v2
	v_mul_lo_u32 v3, v2, s36
	s_delay_alu instid0(VALU_DEP_1) | instskip(NEXT) | instid1(VALU_DEP_1)
	v_sub_nc_u32_e32 v0, v0, v3
	v_mul_lo_u32 v8, v0, s13
	v_mul_lo_u32 v12, v0, s12
	;; [unrolled: 1-line block ×6, first 2 shown]
	s_cbranch_vccnz .LBB21_120
; %bb.119:
	v_mov_b32_e32 v3, v1
	s_delay_alu instid0(VALU_DEP_1) | instskip(NEXT) | instid1(VALU_DEP_1)
	v_mul_u64_e32 v[0:1], s[46:47], v[2:3]
	v_add_nc_u32_e32 v0, v2, v1
	s_delay_alu instid0(VALU_DEP_1) | instskip(NEXT) | instid1(VALU_DEP_1)
	v_lshrrev_b32_e32 v0, s1, v0
	v_mul_lo_u32 v0, v0, s39
	s_delay_alu instid0(VALU_DEP_1) | instskip(NEXT) | instid1(VALU_DEP_1)
	v_sub_nc_u32_e32 v0, v2, v0
	v_mad_u32 v12, v0, s18, v12
	v_mad_u32 v8, v0, s19, v8
	;; [unrolled: 1-line block ×6, first 2 shown]
.LBB21_120:
	global_load_b32 v0, v8, s[6:7]
	s_xor_b32 s1, s68, -1
	s_wait_xcnt 0x0
	s_and_not1_b32 s6, s0, exec_lo
	s_mov_b32 s48, exec_lo
	s_wait_loadcnt 0x0
	v_cmp_ne_u32_e32 vcc_lo, s65, v0
	s_or_b32 s1, s1, vcc_lo
	s_delay_alu instid0(SALU_CYCLE_1) | instskip(NEXT) | instid1(SALU_CYCLE_1)
	s_and_b32 s1, s1, exec_lo
	s_or_b32 s49, s6, s1
.LBB21_121:
	s_or_b32 exec_lo, exec_lo, s55
	s_delay_alu instid0(SALU_CYCLE_1)
	s_and_not1_b32 s0, s0, exec_lo
	s_and_b32 s1, s49, exec_lo
	s_and_b32 s48, s48, exec_lo
	s_or_b32 s0, s0, s1
.LBB21_122:
	s_or_b32 exec_lo, exec_lo, s54
	s_delay_alu instid0(SALU_CYCLE_1)
	s_and_not1_b32 s1, s79, exec_lo
	s_and_b32 s6, s53, exec_lo
	s_and_not1_b32 s7, s81, exec_lo
	s_or_b32 s79, s1, s6
	s_and_not1_b32 s1, s80, exec_lo
	s_and_b32 s6, s43, exec_lo
	s_and_b32 s12, s52, exec_lo
	s_or_b32 s80, s1, s6
	s_and_not1_b32 s1, s78, exec_lo
	s_and_b32 s6, s0, exec_lo
	s_or_b32 s81, s7, s12
	s_and_b32 s0, s48, exec_lo
	s_or_b32 s78, s1, s6
.LBB21_123:
	s_or_b32 exec_lo, exec_lo, s82
	s_delay_alu instid0(SALU_CYCLE_1)
	s_and_not1_b32 s1, s71, exec_lo
	s_and_b32 s6, s79, exec_lo
	s_and_not1_b32 s7, s75, exec_lo
	s_or_b32 s71, s1, s6
	s_and_not1_b32 s1, s74, exec_lo
	s_and_b32 s6, s80, exec_lo
	s_and_b32 s12, s81, exec_lo
	s_or_b32 s74, s1, s6
	s_and_not1_b32 s1, s76, exec_lo
	s_and_b32 s6, s78, exec_lo
	s_or_b32 s75, s7, s12
	s_and_b32 s45, s0, exec_lo
	s_or_b32 s76, s1, s6
.LBB21_124:
	s_or_b32 exec_lo, exec_lo, s77
	s_mov_b32 s0, 0
	s_mov_b32 s1, 0
	s_and_saveexec_b32 s6, s76
	s_cbranch_execnz .LBB21_128
; %bb.125:
	s_or_b32 exec_lo, exec_lo, s6
	s_and_saveexec_b32 s6, s45
	s_delay_alu instid0(SALU_CYCLE_1)
	s_xor_b32 s6, exec_lo, s6
	s_cbranch_execz .LBB21_129
.LBB21_126:
	global_load_b32 v0, v7, s[8:9]
	s_xor_b32 s7, s67, -1
	s_wait_xcnt 0x0
	s_and_not1_b32 s8, s75, exec_lo
	s_mov_b32 s0, exec_lo
	s_wait_loadcnt 0x0
	v_cmp_ne_u32_e32 vcc_lo, s22, v0
	s_or_b32 s7, s7, vcc_lo
	s_delay_alu instid0(SALU_CYCLE_1) | instskip(NEXT) | instid1(SALU_CYCLE_1)
	s_and_b32 s7, s7, exec_lo
	s_or_b32 s75, s8, s7
	s_or_b32 exec_lo, exec_lo, s6
	s_and_saveexec_b32 s6, s75
	s_cbranch_execz .LBB21_130
.LBB21_127:
	s_or_b32 s1, s1, exec_lo
	s_and_not1_b32 s0, s0, exec_lo
	s_trap 2
	s_branch .LBB21_130
.LBB21_128:
	s_mov_b32 s1, exec_lo
	s_and_not1_b32 s45, s45, exec_lo
	s_trap 2
	s_or_b32 exec_lo, exec_lo, s6
	s_and_saveexec_b32 s6, s45
	s_delay_alu instid0(SALU_CYCLE_1)
	s_xor_b32 s6, exec_lo, s6
	s_cbranch_execnz .LBB21_126
.LBB21_129:
	s_or_b32 exec_lo, exec_lo, s6
	s_and_saveexec_b32 s6, s75
	s_cbranch_execnz .LBB21_127
.LBB21_130:
	s_or_b32 exec_lo, exec_lo, s6
	s_mov_b32 s6, 0
                                        ; implicit-def: $vgpr0
                                        ; implicit-def: $vgpr2
	s_and_saveexec_b32 s7, s0
	s_delay_alu instid0(SALU_CYCLE_1)
	s_xor_b32 s7, exec_lo, s7
	s_cbranch_execz .LBB21_147
; %bb.131:
	global_load_b32 v2, v4, s[10:11]
	global_load_b32 v0, v5, s[24:25]
	s_and_not1_b32 s8, s74, exec_lo
	s_mov_b32 s6, exec_lo
	s_wait_loadcnt 0x0
	v_sub_nc_u32_e32 v1, v0, v2
	s_delay_alu instid0(VALU_DEP_1) | instskip(SKIP_2) | instid1(SALU_CYCLE_1)
	v_cmp_le_i32_e32 vcc_lo, s65, v1
	v_cmp_ge_i32_e64 s0, s20, v1
	s_and_b32 s0, vcc_lo, s0
	s_and_b32 s0, s66, s0
	s_delay_alu instid0(SALU_CYCLE_1) | instskip(NEXT) | instid1(SALU_CYCLE_1)
	s_xor_b32 s0, s0, -1
	s_and_b32 s0, s0, exec_lo
	s_delay_alu instid0(SALU_CYCLE_1)
	s_or_b32 s74, s8, s0
	s_wait_xcnt 0x0
	s_or_b32 exec_lo, exec_lo, s7
	s_and_saveexec_b32 s0, s74
	s_cbranch_execz .LBB21_148
.LBB21_132:
	s_or_b32 s1, s1, exec_lo
	s_and_not1_b32 s6, s6, exec_lo
	s_trap 2
	s_or_b32 exec_lo, exec_lo, s0
	s_mov_b32 s0, 0
	s_and_saveexec_b32 s16, s6
	s_cbranch_execnz .LBB21_149
.LBB21_133:
	s_or_b32 exec_lo, exec_lo, s16
	s_and_saveexec_b32 s6, s71
	s_cbranch_execnz .LBB21_167
.LBB21_134:
	s_or_b32 exec_lo, exec_lo, s6
	s_and_saveexec_b32 s6, s0
	s_delay_alu instid0(SALU_CYCLE_1)
	s_xor_b32 s0, exec_lo, s6
	s_cbranch_execz .LBB21_136
.LBB21_135:
	v_mov_b32_e32 v0, 0
	global_store_b32 v12, v0, s[4:5]
.LBB21_136:
	s_wait_xcnt 0x0
	s_or_b32 exec_lo, exec_lo, s0
	s_delay_alu instid0(SALU_CYCLE_1)
	s_and_b32 s36, s1, exec_lo
                                        ; implicit-def: $vgpr5
                                        ; implicit-def: $vgpr0
.LBB21_137:
	s_or_saveexec_b32 s37, s63
                                        ; implicit-def: $sgpr4_sgpr5_sgpr6_sgpr7
                                        ; implicit-def: $vgpr15
                                        ; implicit-def: $vgpr14
                                        ; implicit-def: $vgpr13
                                        ; implicit-def: $vgpr12
	s_delay_alu instid0(SALU_CYCLE_1)
	s_xor_b32 exec_lo, exec_lo, s37
	s_cbranch_execz .LBB21_144
; %bb.138:
	v_cndmask_b32_e64 v7, 0, 1, s62
	s_and_not1_b32 vcc_lo, exec_lo, s62
	s_cbranch_vccnz .LBB21_156
; %bb.139:
	s_cmp_lg_u32 s33, 0
	s_mov_b32 s6, 0
	s_cbranch_scc0 .LBB21_168
; %bb.140:
	s_min_u32 s7, s60, 15
	v_dual_mov_b32 v3, 0 :: v_dual_mov_b32 v8, v0
	v_dual_mov_b32 v1, 0 :: v_dual_mov_b32 v2, 0
	v_dual_mov_b32 v4, 0 :: v_dual_mov_b32 v12, 0
	v_mov_b32_e32 v6, 0
	s_add_co_i32 s4, s7, 1
	s_mov_b64 s[0:1], 0xffffffffffffffd0
	s_and_b32 s8, s4, 30
	s_add_nc_u64 s[0:1], s[2:3], s[0:1]
	s_mov_b64 s[4:5], s[2:3]
.LBB21_141:                             ; =>This Inner Loop Header: Depth=1
	s_clause 0x1
	s_load_b128 s[20:23], s[4:5], 0x4
	s_load_b64 s[10:11], s[4:5], 0x14
	s_clause 0x1
	s_load_b256 s[12:19], s[0:1], 0xf4
	s_load_b128 s[24:27], s[0:1], 0x114
	s_add_co_i32 s8, s8, -2
	s_wait_xcnt 0x0
	s_add_nc_u64 s[4:5], s[4:5], 24
	s_cmp_lg_u32 s8, 0
	s_add_nc_u64 s[0:1], s[0:1], 48
	s_wait_kmcnt 0x0
	v_mul_hi_u32 v9, s21, v8
	s_delay_alu instid0(VALU_DEP_1) | instskip(NEXT) | instid1(VALU_DEP_1)
	v_add_nc_u32_e32 v9, v8, v9
	v_lshrrev_b32_e32 v9, s22, v9
	s_delay_alu instid0(VALU_DEP_1) | instskip(SKIP_1) | instid1(VALU_DEP_1)
	v_mul_hi_u32 v10, s10, v9
	v_mul_lo_u32 v11, v9, s20
	v_dual_add_nc_u32 v10, v9, v10 :: v_dual_sub_nc_u32 v11, v8, v11
	s_delay_alu instid0(VALU_DEP_1) | instskip(NEXT) | instid1(VALU_DEP_2)
	v_lshrrev_b32_e32 v8, s11, v10
	v_mad_u32 v6, v11, s13, v6
	v_mad_u32 v12, v11, s12, v12
	;; [unrolled: 1-line block ×4, first 2 shown]
	v_mul_lo_u32 v10, v8, s23
	v_mad_u32 v1, s17, v11, v1
	v_mad_u32 v3, s16, v11, v3
	s_delay_alu instid0(VALU_DEP_3) | instskip(NEXT) | instid1(VALU_DEP_1)
	v_sub_nc_u32_e32 v9, v9, v10
	v_mad_u32 v6, v9, s19, v6
	v_mad_u32 v12, v9, s18, v12
	;; [unrolled: 1-line block ×6, first 2 shown]
	s_cbranch_scc1 .LBB21_141
; %bb.142:
	s_bitcmp1_b32 s7, 0
	s_cselect_b32 s7, -1, 0
	s_delay_alu instid0(SALU_CYCLE_1)
	s_and_b32 vcc_lo, exec_lo, s7
	s_cbranch_vccnz .LBB21_157
; %bb.143:
	s_load_b96 s[12:14], s[4:5], 0x4
	s_load_b128 s[8:11], s[0:1], 0xf4
	s_wait_xcnt 0x0
	s_load_b64 s[4:5], s[0:1], 0x104
	s_wait_kmcnt 0x0
	v_mul_hi_u32 v9, s13, v8
	s_delay_alu instid0(VALU_DEP_1) | instskip(NEXT) | instid1(VALU_DEP_1)
	v_add_nc_u32_e32 v9, v8, v9
	v_lshrrev_b32_e32 v9, s14, v9
	s_delay_alu instid0(VALU_DEP_1) | instskip(NEXT) | instid1(VALU_DEP_1)
	v_mul_lo_u32 v9, v9, s12
	v_sub_nc_u32_e32 v8, v8, v9
	s_delay_alu instid0(VALU_DEP_1)
	v_mad_u32 v12, v8, s8, v12
	v_mad_u32 v6, v8, s9, v6
	;; [unrolled: 1-line block ×6, first 2 shown]
	s_and_not1_b32 vcc_lo, exec_lo, s6
	s_cbranch_vccz .LBB21_158
	s_branch .LBB21_169
.LBB21_144:
	s_or_b32 exec_lo, exec_lo, s37
	s_and_saveexec_b32 s0, s36
	s_cbranch_execz .LBB21_308
.LBB21_145:
	; divergent unreachable
	s_or_b32 exec_lo, exec_lo, s0
	s_and_saveexec_b32 s0, s61
	s_cbranch_execnz .LBB21_309
.LBB21_146:
	s_endpgm
.LBB21_147:
	s_or_b32 exec_lo, exec_lo, s7
	s_and_saveexec_b32 s0, s74
	s_cbranch_execnz .LBB21_132
.LBB21_148:
	s_or_b32 exec_lo, exec_lo, s0
	s_mov_b32 s0, 0
	s_and_saveexec_b32 s16, s6
	s_cbranch_execz .LBB21_133
.LBB21_149:
	v_mov_b64_e32 v[4:5], 0
	s_and_not1_b32 vcc_lo, exec_lo, s64
	s_cbranch_vccnz .LBB21_160
; %bb.150:
	global_load_b32 v4, v6, s[26:27]
	s_mov_b32 s43, 0
	s_mov_b64 s[6:7], 0xffffffff
	s_lshl_b64 s[8:9], s[42:43], 3
	s_wait_xcnt 0x0
	v_mov_b32_e32 v6, 0
	s_add_nc_u64 s[8:9], s[2:3], s[8:9]
	s_delay_alu instid0(SALU_CYCLE_1) | instskip(SKIP_2) | instid1(VALU_DEP_1)
	s_add_nc_u64 s[8:9], s[8:9], 0x298
	s_wait_loadcnt 0x0
	v_ashrrev_i32_e32 v5, 31, v4
	v_mul_u64_e32 v[8:9], s[22:23], v[4:5]
	v_mov_b64_e32 v[4:5], 0
	s_branch .LBB21_152
.LBB21_151:                             ;   in Loop: Header=BB21_152 Depth=1
	s_or_b32 exec_lo, exec_lo, s0
	s_delay_alu instid0(VALU_DEP_1)
	v_mul_u64_e32 v[14:15], s[10:11], v[10:11]
	s_load_b64 s[10:11], s[8:9], 0x40
	s_add_co_i32 s21, s21, -1
	s_wait_xcnt 0x0
	s_add_nc_u64 s[8:9], s[8:9], -8
	s_cmp_lg_u32 s21, 0
	s_delay_alu instid0(VALU_DEP_1) | instskip(SKIP_1) | instid1(VALU_DEP_1)
	v_sub_nc_u64_e32 v[8:9], v[8:9], v[14:15]
	s_wait_kmcnt 0x0
	v_mad_nc_u64_u32 v[4:5], v8, s10, v[4:5]
	s_delay_alu instid0(VALU_DEP_1) | instskip(NEXT) | instid1(VALU_DEP_1)
	v_mad_u32 v1, v9, s10, v5
	v_mad_u32 v5, v8, s11, v1
	v_mov_b64_e32 v[8:9], v[10:11]
	s_cbranch_scc0 .LBB21_160
.LBB21_152:                             ; =>This Inner Loop Header: Depth=1
	s_load_b64 s[10:11], s[8:9], 0x0
                                        ; implicit-def: $vgpr10_vgpr11
	s_mov_b32 s0, exec_lo
	s_wait_kmcnt 0x0
	s_delay_alu instid0(VALU_DEP_1) | instskip(NEXT) | instid1(VALU_DEP_1)
	v_or_b32_e32 v7, s11, v9
	v_cmpx_ne_u64_e32 0, v[6:7]
	s_xor_b32 s17, exec_lo, s0
	s_cbranch_execz .LBB21_154
; %bb.153:                              ;   in Loop: Header=BB21_152 Depth=1
	s_ashr_i32 s12, s11, 31
	v_dual_mov_b32 v17, v6 :: v_dual_ashrrev_i32 v10, 31, v9
	s_mov_b32 s13, s12
	v_mov_b32_e32 v21, v6
	s_add_nc_u64 s[14:15], s[10:11], s[12:13]
	s_delay_alu instid0(VALU_DEP_2)
	v_mov_b32_e32 v11, v10
	s_xor_b64 s[14:15], s[14:15], s[12:13]
	v_mov_b32_e32 v25, v6
	s_cvt_f32_u32 s0, s14
	s_cvt_f32_u32 s13, s15
	s_sub_nc_u64 s[22:23], 0, s[14:15]
	v_add_nc_u64_e32 v[14:15], v[8:9], v[10:11]
	s_delay_alu instid0(SALU_CYCLE_1) | instskip(NEXT) | instid1(SALU_CYCLE_3)
	s_fmamk_f32 s0, s13, 0x4f800000, s0
	v_s_rcp_f32 s0, s0
	s_delay_alu instid0(VALU_DEP_1) | instskip(NEXT) | instid1(VALU_DEP_2)
	v_xor_b32_e32 v20, v15, v10
	v_xor_b32_e32 v16, v14, v10
	s_delay_alu instid0(TRANS32_DEP_1) | instskip(NEXT) | instid1(SALU_CYCLE_3)
	s_mul_f32 s0, s0, 0x5f7ffffc
	s_mul_f32 s13, s0, 0x2f800000
	s_delay_alu instid0(SALU_CYCLE_3) | instskip(NEXT) | instid1(SALU_CYCLE_3)
	s_trunc_f32 s13, s13
	s_fmamk_f32 s0, s13, 0xcf800000, s0
	s_cvt_u32_f32 s19, s13
	s_delay_alu instid0(SALU_CYCLE_2) | instskip(NEXT) | instid1(SALU_CYCLE_3)
	s_cvt_u32_f32 s18, s0
	s_mul_u64 s[24:25], s[22:23], s[18:19]
	s_delay_alu instid0(SALU_CYCLE_1)
	s_mul_hi_u32 s27, s18, s25
	s_mul_i32 s26, s18, s25
	s_mul_hi_u32 s42, s18, s24
	s_mul_i32 s13, s19, s24
	s_add_nc_u64 s[26:27], s[42:43], s[26:27]
	s_mul_hi_u32 s0, s19, s24
	s_mul_hi_u32 s20, s19, s25
	s_add_co_u32 s13, s26, s13
	s_add_co_ci_u32 s42, s27, s0
	s_mul_i32 s24, s19, s25
	s_add_co_ci_u32 s25, s20, 0
	s_delay_alu instid0(SALU_CYCLE_1) | instskip(NEXT) | instid1(SALU_CYCLE_1)
	s_add_nc_u64 s[24:25], s[42:43], s[24:25]
	s_add_co_u32 s18, s18, s24
	s_cselect_b32 s0, -1, 0
	s_delay_alu instid0(SALU_CYCLE_1) | instskip(SKIP_1) | instid1(SALU_CYCLE_1)
	s_cmp_lg_u32 s0, 0
	s_add_co_ci_u32 s19, s19, s25
	s_mul_u64 s[22:23], s[22:23], s[18:19]
	s_delay_alu instid0(SALU_CYCLE_1)
	s_mul_hi_u32 s25, s18, s23
	s_mul_i32 s24, s18, s23
	s_mul_hi_u32 s42, s18, s22
	s_mul_i32 s13, s19, s22
	s_add_nc_u64 s[24:25], s[42:43], s[24:25]
	s_mul_hi_u32 s0, s19, s22
	s_mul_hi_u32 s20, s19, s23
	s_add_co_u32 s13, s24, s13
	s_add_co_ci_u32 s42, s25, s0
	s_mul_i32 s22, s19, s23
	s_add_co_ci_u32 s23, s20, 0
	s_delay_alu instid0(SALU_CYCLE_1) | instskip(NEXT) | instid1(SALU_CYCLE_1)
	s_add_nc_u64 s[22:23], s[42:43], s[22:23]
	s_add_co_u32 s0, s18, s22
	s_cselect_b32 s13, -1, 0
	v_mul_hi_u32 v24, v16, s0
	s_cmp_lg_u32 s13, 0
	s_add_co_ci_u32 s42, s19, s23
	s_and_b64 s[18:19], s[0:1], s[6:7]
	v_mul_u64_e32 v[18:19], s[42:43], v[16:17]
	v_mul_u64_e32 v[14:15], s[18:19], v[20:21]
	;; [unrolled: 1-line block ×3, first 2 shown]
	s_delay_alu instid0(VALU_DEP_3) | instskip(NEXT) | instid1(VALU_DEP_1)
	v_add_nc_u64_e32 v[18:19], v[24:25], v[18:19]
	v_add_co_u32 v1, vcc_lo, v18, v14
	s_delay_alu instid0(VALU_DEP_2) | instskip(NEXT) | instid1(VALU_DEP_4)
	v_add_co_ci_u32_e32 v24, vcc_lo, v19, v15, vcc_lo
	v_add_co_ci_u32_e32 v23, vcc_lo, 0, v23, vcc_lo
	s_delay_alu instid0(VALU_DEP_1) | instskip(NEXT) | instid1(VALU_DEP_1)
	v_add_nc_u64_e32 v[14:15], v[24:25], v[22:23]
	v_mul_u64_e32 v[18:19], s[14:15], v[14:15]
	s_delay_alu instid0(VALU_DEP_1) | instskip(NEXT) | instid1(VALU_DEP_2)
	v_sub_nc_u32_e32 v1, v20, v19
	v_sub_co_u32 v3, vcc_lo, v16, v18
	s_delay_alu instid0(VALU_DEP_1) | instskip(NEXT) | instid1(VALU_DEP_3)
	v_sub_co_ci_u32_e64 v11, null, v20, v19, vcc_lo
	v_subrev_co_ci_u32_e64 v1, null, s15, v1, vcc_lo
	s_delay_alu instid0(VALU_DEP_3) | instskip(SKIP_1) | instid1(VALU_DEP_3)
	v_sub_co_u32 v7, s0, v3, s14
	v_add_nc_u64_e32 v[16:17], 2, v[14:15]
	v_subrev_co_ci_u32_e64 v1, null, 0, v1, s0
	s_delay_alu instid0(VALU_DEP_3) | instskip(SKIP_2) | instid1(VALU_DEP_4)
	v_cmp_le_u32_e32 vcc_lo, s14, v7
	v_add_nc_u64_e32 v[18:19], 1, v[14:15]
	v_cndmask_b32_e64 v7, 0, -1, vcc_lo
	v_cmp_le_u32_e32 vcc_lo, s15, v1
	v_cndmask_b32_e64 v13, 0, -1, vcc_lo
	v_cmp_le_u32_e32 vcc_lo, s14, v3
	;; [unrolled: 2-line block ×3, first 2 shown]
	v_cndmask_b32_e64 v20, 0, -1, vcc_lo
	v_cmp_eq_u32_e32 vcc_lo, s15, v1
	v_cndmask_b32_e32 v1, v13, v7, vcc_lo
	v_cmp_eq_u32_e32 vcc_lo, s15, v11
	s_delay_alu instid0(VALU_DEP_4) | instskip(NEXT) | instid1(VALU_DEP_3)
	v_cndmask_b32_e32 v3, v20, v3, vcc_lo
	v_cmp_ne_u32_e32 vcc_lo, 0, v1
	v_cndmask_b32_e32 v1, v19, v17, vcc_lo
	s_delay_alu instid0(VALU_DEP_3) | instskip(SKIP_1) | instid1(VALU_DEP_1)
	v_cmp_ne_u32_e64 s0, 0, v3
	v_dual_cndmask_b32 v3, v18, v16, vcc_lo :: v_dual_bitop2_b32 v10, s12, v10 bitop3:0x14
	v_dual_cndmask_b32 v1, v15, v1, s0 :: v_dual_cndmask_b32 v3, v14, v3, s0
	s_delay_alu instid0(VALU_DEP_1) | instskip(NEXT) | instid1(VALU_DEP_2)
	v_dual_mov_b32 v11, v10 :: v_dual_bitop2_b32 v15, v1, v10 bitop3:0x14
	v_xor_b32_e32 v14, v3, v10
	s_delay_alu instid0(VALU_DEP_1)
	v_sub_nc_u64_e32 v[10:11], v[14:15], v[10:11]
.LBB21_154:                             ;   in Loop: Header=BB21_152 Depth=1
	s_and_not1_saveexec_b32 s0, s17
	s_cbranch_execz .LBB21_151
; %bb.155:                              ;   in Loop: Header=BB21_152 Depth=1
	v_cvt_f32_u32_e32 v1, s10
	s_sub_co_i32 s12, 0, s10
	v_mov_b32_e32 v11, v6
	s_delay_alu instid0(VALU_DEP_2) | instskip(SKIP_1) | instid1(TRANS32_DEP_1)
	v_rcp_iflag_f32_e32 v1, v1
	v_nop
	v_mul_f32_e32 v1, 0x4f7ffffe, v1
	s_delay_alu instid0(VALU_DEP_1) | instskip(NEXT) | instid1(VALU_DEP_1)
	v_cvt_u32_f32_e32 v1, v1
	v_mul_lo_u32 v3, s12, v1
	s_delay_alu instid0(VALU_DEP_1) | instskip(NEXT) | instid1(VALU_DEP_1)
	v_mul_hi_u32 v3, v1, v3
	v_add_nc_u32_e32 v1, v1, v3
	s_delay_alu instid0(VALU_DEP_1) | instskip(NEXT) | instid1(VALU_DEP_1)
	v_mul_hi_u32 v1, v8, v1
	v_mul_lo_u32 v3, v1, s10
	s_delay_alu instid0(VALU_DEP_1) | instskip(NEXT) | instid1(VALU_DEP_1)
	v_sub_nc_u32_e32 v3, v8, v3
	v_subrev_nc_u32_e32 v10, s10, v3
	v_cmp_le_u32_e32 vcc_lo, s10, v3
	s_delay_alu instid0(VALU_DEP_2) | instskip(NEXT) | instid1(VALU_DEP_1)
	v_dual_add_nc_u32 v7, 1, v1 :: v_dual_cndmask_b32 v3, v3, v10, vcc_lo
	v_cndmask_b32_e32 v1, v1, v7, vcc_lo
	s_delay_alu instid0(VALU_DEP_2) | instskip(NEXT) | instid1(VALU_DEP_2)
	v_cmp_le_u32_e32 vcc_lo, s10, v3
	v_add_nc_u32_e32 v7, 1, v1
	s_delay_alu instid0(VALU_DEP_1)
	v_cndmask_b32_e32 v10, v1, v7, vcc_lo
	s_branch .LBB21_151
.LBB21_156:
	s_mov_b32 s6, -1
                                        ; implicit-def: $vgpr6
                                        ; implicit-def: $vgpr12
                                        ; implicit-def: $vgpr4
                                        ; implicit-def: $vgpr2
                                        ; implicit-def: $vgpr1
                                        ; implicit-def: $vgpr3
.LBB21_157:
	s_delay_alu instid0(SALU_CYCLE_1)
	s_and_not1_b32 vcc_lo, exec_lo, s6
	s_cbranch_vccnz .LBB21_169
.LBB21_158:
	s_clause 0x2
	s_load_b96 s[8:10], s[2:3], 0x4
	s_load_b128 s[4:7], s[2:3], 0xc4
	s_load_b64 s[0:1], s[2:3], 0xd4
	s_cmp_lt_u32 s33, 2
	s_wait_kmcnt 0x0
	v_mul_hi_u32 v1, s9, v0
	s_delay_alu instid0(VALU_DEP_1) | instskip(NEXT) | instid1(VALU_DEP_1)
	v_add_nc_u32_e32 v1, v0, v1
	v_lshrrev_b32_e32 v8, s10, v1
	s_delay_alu instid0(VALU_DEP_1) | instskip(NEXT) | instid1(VALU_DEP_1)
	v_mul_lo_u32 v1, v8, s8
	v_sub_nc_u32_e32 v3, v0, v1
	s_delay_alu instid0(VALU_DEP_1)
	v_mul_lo_u32 v6, v3, s5
	v_mul_lo_u32 v12, v3, s4
	;; [unrolled: 1-line block ×6, first 2 shown]
	s_cbranch_scc1 .LBB21_169
; %bb.159:
	s_clause 0x2
	s_load_b96 s[8:10], s[2:3], 0x10
	s_load_b128 s[4:7], s[2:3], 0xdc
	s_load_b64 s[0:1], s[2:3], 0xec
	s_wait_kmcnt 0x0
	v_mul_hi_u32 v9, s9, v8
	s_delay_alu instid0(VALU_DEP_1) | instskip(NEXT) | instid1(VALU_DEP_1)
	v_add_nc_u32_e32 v9, v8, v9
	v_lshrrev_b32_e32 v9, s10, v9
	s_delay_alu instid0(VALU_DEP_1) | instskip(NEXT) | instid1(VALU_DEP_1)
	v_mul_lo_u32 v9, v9, s8
	v_sub_nc_u32_e32 v8, v8, v9
	s_delay_alu instid0(VALU_DEP_1)
	v_mad_u32 v12, v8, s4, v12
	v_mad_u32 v6, v8, s5, v6
	;; [unrolled: 1-line block ×6, first 2 shown]
	s_branch .LBB21_169
.LBB21_160:
	s_mov_b32 s6, s71
	s_mov_b32 s0, exec_lo
	v_cmpx_gt_i32_e64 v0, v2
	s_cbranch_execz .LBB21_166
; %bb.161:
	s_delay_alu instid0(VALU_DEP_2) | instskip(SKIP_3) | instid1(VALU_DEP_1)
	v_lshlrev_b64_e32 v[4:5], 2, v[4:5]
	v_dual_ashrrev_i32 v3, 31, v2 :: v_dual_ashrrev_i32 v1, 31, v0
	s_mov_b32 s6, 0
	s_xor_b32 s8, s37, -1
                                        ; implicit-def: $sgpr7
                                        ; implicit-def: $sgpr10
                                        ; implicit-def: $sgpr9
	v_lshl_add_u64 v[2:3], v[2:3], 2, v[4:5]
	v_add_nc_u64_e32 v[4:5], s[40:41], v[4:5]
	s_delay_alu instid0(VALU_DEP_2) | instskip(NEXT) | instid1(VALU_DEP_2)
	v_add_nc_u64_e32 v[2:3], s[40:41], v[2:3]
	v_lshl_add_u64 v[0:1], v[0:1], 2, v[4:5]
	s_delay_alu instid0(VALU_DEP_2)
	v_add_nc_u64_e32 v[2:3], 4, v[2:3]
	s_branch .LBB21_163
.LBB21_162:                             ;   in Loop: Header=BB21_163 Depth=1
	s_or_b32 exec_lo, exec_lo, s11
	s_xor_b32 s11, s9, -1
	s_and_b32 s12, exec_lo, s10
	s_delay_alu instid0(SALU_CYCLE_1) | instskip(SKIP_2) | instid1(SALU_CYCLE_1)
	s_or_b32 s6, s12, s6
	s_and_not1_b32 s7, s7, exec_lo
	s_and_b32 s11, s11, exec_lo
	s_or_b32 s7, s7, s11
	s_and_not1_b32 exec_lo, exec_lo, s6
	s_cbranch_execz .LBB21_165
.LBB21_163:                             ; =>This Inner Loop Header: Depth=1
	s_or_b32 s9, s9, exec_lo
	s_or_b32 s10, s10, exec_lo
	s_mov_b32 s11, exec_lo
	s_delay_alu instid0(VALU_DEP_1)
	v_cmpx_lt_u64_e64 v[2:3], v[0:1]
	s_cbranch_execz .LBB21_162
; %bb.164:                              ;   in Loop: Header=BB21_163 Depth=1
	global_load_b64 v[4:5], v[2:3], off offset:-4
	s_wait_xcnt 0x0
	v_add_nc_u64_e32 v[2:3], 4, v[2:3]
	s_and_not1_b32 s10, s10, exec_lo
	s_and_not1_b32 s9, s9, exec_lo
	s_wait_loadcnt 0x0
	v_cmp_ge_i32_e32 vcc_lo, v4, v5
	s_or_b32 s12, s8, vcc_lo
	s_delay_alu instid0(SALU_CYCLE_1) | instskip(NEXT) | instid1(SALU_CYCLE_1)
	s_and_b32 s12, s12, exec_lo
	s_or_b32 s10, s10, s12
	s_branch .LBB21_162
.LBB21_165:
	s_or_b32 exec_lo, exec_lo, s6
	s_delay_alu instid0(SALU_CYCLE_1) | instskip(SKIP_1) | instid1(SALU_CYCLE_1)
	s_and_not1_b32 s6, s71, exec_lo
	s_and_b32 s7, s7, exec_lo
	s_or_b32 s6, s6, s7
.LBB21_166:
	s_or_b32 exec_lo, exec_lo, s0
	s_delay_alu instid0(SALU_CYCLE_1)
	s_and_not1_b32 s7, s71, exec_lo
	s_and_b32 s6, s6, exec_lo
	s_mov_b32 s0, exec_lo
	s_or_b32 s71, s7, s6
	s_or_b32 exec_lo, exec_lo, s16
	s_and_saveexec_b32 s6, s71
	s_cbranch_execz .LBB21_134
.LBB21_167:
	s_or_b32 s1, s1, exec_lo
	s_and_not1_b32 s0, s0, exec_lo
	s_trap 2
	s_or_b32 exec_lo, exec_lo, s6
	s_and_saveexec_b32 s6, s0
	s_delay_alu instid0(SALU_CYCLE_1)
	s_xor_b32 s0, exec_lo, s6
	s_cbranch_execnz .LBB21_135
	s_branch .LBB21_136
.LBB21_168:
	v_dual_mov_b32 v6, 0 :: v_dual_mov_b32 v12, 0
	v_dual_mov_b32 v4, 0 :: v_dual_mov_b32 v2, 0
	;; [unrolled: 1-line block ×3, first 2 shown]
	s_and_not1_b32 vcc_lo, exec_lo, s6
	s_cbranch_vccz .LBB21_158
.LBB21_169:
	v_cmp_ne_u32_e32 vcc_lo, 1, v7
	v_add_nc_u32_e32 v8, 0x80, v0
	s_cbranch_vccnz .LBB21_175
; %bb.170:
	s_cmp_lg_u32 s33, 0
	s_mov_b32 s6, 0
	s_cbranch_scc0 .LBB21_179
; %bb.171:
	s_min_u32 s7, s60, 15
	v_dual_mov_b32 v30, 0 :: v_dual_mov_b32 v9, v8
	v_dual_mov_b32 v29, 0 :: v_dual_mov_b32 v32, 0
	;; [unrolled: 1-line block ×3, first 2 shown]
	v_mov_b32_e32 v33, 0
	s_add_co_i32 s4, s7, 1
	s_mov_b64 s[0:1], 0xffffffffffffffd0
	s_and_b32 s8, s4, 30
	s_add_nc_u64 s[0:1], s[2:3], s[0:1]
	s_mov_b64 s[4:5], s[2:3]
.LBB21_172:                             ; =>This Inner Loop Header: Depth=1
	s_clause 0x1
	s_load_b128 s[20:23], s[4:5], 0x4
	s_load_b64 s[10:11], s[4:5], 0x14
	s_clause 0x1
	s_load_b256 s[12:19], s[0:1], 0xf4
	s_load_b128 s[24:27], s[0:1], 0x114
	s_add_co_i32 s8, s8, -2
	s_wait_xcnt 0x0
	s_add_nc_u64 s[4:5], s[4:5], 24
	s_cmp_lg_u32 s8, 0
	s_add_nc_u64 s[0:1], s[0:1], 48
	s_wait_kmcnt 0x0
	v_mul_hi_u32 v10, s21, v9
	s_delay_alu instid0(VALU_DEP_1) | instskip(NEXT) | instid1(VALU_DEP_1)
	v_add_nc_u32_e32 v10, v9, v10
	v_lshrrev_b32_e32 v10, s22, v10
	s_delay_alu instid0(VALU_DEP_1) | instskip(SKIP_1) | instid1(VALU_DEP_1)
	v_mul_hi_u32 v11, s10, v10
	v_mul_lo_u32 v14, v10, s20
	v_dual_add_nc_u32 v11, v10, v11 :: v_dual_sub_nc_u32 v14, v9, v14
	s_delay_alu instid0(VALU_DEP_1) | instskip(NEXT) | instid1(VALU_DEP_2)
	v_lshrrev_b32_e32 v9, s11, v11
	v_mad_u32 v11, v14, s13, v33
	v_mad_u32 v13, v14, s12, v13
	;; [unrolled: 1-line block ×4, first 2 shown]
	v_mul_lo_u32 v15, v9, s23
	v_mad_u32 v18, s17, v14, v29
	v_mad_u32 v14, s16, v14, v30
	s_delay_alu instid0(VALU_DEP_3) | instskip(NEXT) | instid1(VALU_DEP_1)
	v_sub_nc_u32_e32 v10, v10, v15
	v_mad_u32 v33, v10, s19, v11
	v_mad_u32 v13, v10, s18, v13
	;; [unrolled: 1-line block ×6, first 2 shown]
	s_cbranch_scc1 .LBB21_172
; %bb.173:
	s_bitcmp1_b32 s7, 0
	s_cselect_b32 s7, -1, 0
	s_delay_alu instid0(SALU_CYCLE_1)
	s_and_b32 vcc_lo, exec_lo, s7
	s_cbranch_vccnz .LBB21_176
; %bb.174:
	s_load_b96 s[12:14], s[4:5], 0x4
	s_load_b128 s[8:11], s[0:1], 0xf4
	s_wait_xcnt 0x0
	s_load_b64 s[4:5], s[0:1], 0x104
	s_wait_kmcnt 0x0
	v_mul_hi_u32 v10, s13, v9
	s_delay_alu instid0(VALU_DEP_1) | instskip(NEXT) | instid1(VALU_DEP_1)
	v_add_nc_u32_e32 v10, v9, v10
	v_lshrrev_b32_e32 v10, s14, v10
	s_delay_alu instid0(VALU_DEP_1) | instskip(NEXT) | instid1(VALU_DEP_1)
	v_mul_lo_u32 v10, v10, s12
	v_sub_nc_u32_e32 v9, v9, v10
	s_delay_alu instid0(VALU_DEP_1)
	v_mad_u32 v13, v9, s8, v13
	v_mad_u32 v33, v9, s9, v33
	;; [unrolled: 1-line block ×6, first 2 shown]
	s_and_not1_b32 vcc_lo, exec_lo, s6
	s_cbranch_vccz .LBB21_177
	s_branch .LBB21_180
.LBB21_175:
	s_mov_b32 s6, -1
                                        ; implicit-def: $vgpr33
                                        ; implicit-def: $vgpr13
                                        ; implicit-def: $vgpr31
                                        ; implicit-def: $vgpr32
                                        ; implicit-def: $vgpr29
                                        ; implicit-def: $vgpr30
.LBB21_176:
	s_delay_alu instid0(SALU_CYCLE_1)
	s_and_not1_b32 vcc_lo, exec_lo, s6
	s_cbranch_vccnz .LBB21_180
.LBB21_177:
	s_clause 0x2
	s_load_b96 s[8:10], s[2:3], 0x4
	s_load_b128 s[4:7], s[2:3], 0xc4
	s_load_b64 s[0:1], s[2:3], 0xd4
	s_cmp_lt_u32 s33, 2
	s_wait_kmcnt 0x0
	v_mul_hi_u32 v9, s9, v8
	s_delay_alu instid0(VALU_DEP_1) | instskip(NEXT) | instid1(VALU_DEP_1)
	v_add_nc_u32_e32 v9, v8, v9
	v_lshrrev_b32_e32 v9, s10, v9
	s_delay_alu instid0(VALU_DEP_1) | instskip(NEXT) | instid1(VALU_DEP_1)
	v_mul_lo_u32 v10, v9, s8
	v_sub_nc_u32_e32 v8, v8, v10
	s_delay_alu instid0(VALU_DEP_1)
	v_mul_lo_u32 v33, v8, s5
	v_mul_lo_u32 v13, v8, s4
	;; [unrolled: 1-line block ×6, first 2 shown]
	s_cbranch_scc1 .LBB21_180
; %bb.178:
	s_clause 0x2
	s_load_b96 s[8:10], s[2:3], 0x10
	s_load_b128 s[4:7], s[2:3], 0xdc
	s_load_b64 s[0:1], s[2:3], 0xec
	s_wait_kmcnt 0x0
	v_mul_hi_u32 v8, s9, v9
	s_delay_alu instid0(VALU_DEP_1) | instskip(NEXT) | instid1(VALU_DEP_1)
	v_add_nc_u32_e32 v8, v9, v8
	v_lshrrev_b32_e32 v8, s10, v8
	s_delay_alu instid0(VALU_DEP_1) | instskip(NEXT) | instid1(VALU_DEP_1)
	v_mul_lo_u32 v8, v8, s8
	v_sub_nc_u32_e32 v8, v9, v8
	s_delay_alu instid0(VALU_DEP_1)
	v_mad_u32 v13, v8, s4, v13
	v_mad_u32 v33, v8, s5, v33
	v_mad_u32 v32, v8, s6, v32
	v_mad_u32 v31, v8, s7, v31
	v_mad_u32 v30, s0, v8, v30
	v_mad_u32 v29, s1, v8, v29
	s_branch .LBB21_180
.LBB21_179:
	v_dual_mov_b32 v33, 0 :: v_dual_mov_b32 v13, 0
	v_dual_mov_b32 v31, 0 :: v_dual_mov_b32 v32, 0
	;; [unrolled: 1-line block ×3, first 2 shown]
	s_and_not1_b32 vcc_lo, exec_lo, s6
	s_cbranch_vccz .LBB21_177
.LBB21_180:
	v_cmp_ne_u32_e32 vcc_lo, 1, v7
	v_add_nc_u32_e32 v0, 0x100, v0
	s_cbranch_vccnz .LBB21_186
; %bb.181:
	s_cmp_lg_u32 s33, 0
	s_mov_b32 s6, 0
	s_cbranch_scc0 .LBB21_190
; %bb.182:
	s_min_u32 s7, s60, 15
	v_dual_mov_b32 v22, 0 :: v_dual_mov_b32 v8, v0
	v_dual_mov_b32 v21, 0 :: v_dual_mov_b32 v26, 0
	;; [unrolled: 1-line block ×3, first 2 shown]
	v_mov_b32_e32 v27, 0
	s_add_co_i32 s4, s7, 1
	s_mov_b64 s[0:1], 0xffffffffffffffd0
	s_and_b32 s8, s4, 30
	s_add_nc_u64 s[0:1], s[2:3], s[0:1]
	s_mov_b64 s[4:5], s[2:3]
.LBB21_183:                             ; =>This Inner Loop Header: Depth=1
	s_clause 0x1
	s_load_b128 s[20:23], s[4:5], 0x4
	s_load_b64 s[10:11], s[4:5], 0x14
	s_clause 0x1
	s_load_b256 s[12:19], s[0:1], 0xf4
	s_load_b128 s[24:27], s[0:1], 0x114
	s_add_co_i32 s8, s8, -2
	s_wait_xcnt 0x0
	s_add_nc_u64 s[4:5], s[4:5], 24
	s_cmp_lg_u32 s8, 0
	s_add_nc_u64 s[0:1], s[0:1], 48
	s_wait_kmcnt 0x0
	v_mul_hi_u32 v9, s21, v8
	s_delay_alu instid0(VALU_DEP_1) | instskip(NEXT) | instid1(VALU_DEP_1)
	v_add_nc_u32_e32 v9, v8, v9
	v_lshrrev_b32_e32 v9, s22, v9
	s_delay_alu instid0(VALU_DEP_1) | instskip(SKIP_1) | instid1(VALU_DEP_1)
	v_mul_hi_u32 v10, s10, v9
	v_mul_lo_u32 v11, v9, s20
	v_dual_add_nc_u32 v10, v9, v10 :: v_dual_sub_nc_u32 v11, v8, v11
	s_delay_alu instid0(VALU_DEP_1) | instskip(NEXT) | instid1(VALU_DEP_2)
	v_lshrrev_b32_e32 v8, s11, v10
	v_mad_u32 v10, v11, s13, v27
	v_mad_u32 v14, v11, s12, v14
	;; [unrolled: 1-line block ×4, first 2 shown]
	v_mul_lo_u32 v15, v8, s23
	v_mad_u32 v18, s17, v11, v21
	v_mad_u32 v11, s16, v11, v22
	s_delay_alu instid0(VALU_DEP_3) | instskip(NEXT) | instid1(VALU_DEP_1)
	v_sub_nc_u32_e32 v9, v9, v15
	v_mad_u32 v27, v9, s19, v10
	v_mad_u32 v14, v9, s18, v14
	;; [unrolled: 1-line block ×6, first 2 shown]
	s_cbranch_scc1 .LBB21_183
; %bb.184:
	s_bitcmp1_b32 s7, 0
	s_cselect_b32 s7, -1, 0
	s_delay_alu instid0(SALU_CYCLE_1)
	s_and_b32 vcc_lo, exec_lo, s7
	s_cbranch_vccnz .LBB21_187
; %bb.185:
	s_load_b96 s[12:14], s[4:5], 0x4
	s_load_b128 s[8:11], s[0:1], 0xf4
	s_wait_xcnt 0x0
	s_load_b64 s[4:5], s[0:1], 0x104
	s_wait_kmcnt 0x0
	v_mul_hi_u32 v9, s13, v8
	s_delay_alu instid0(VALU_DEP_1) | instskip(NEXT) | instid1(VALU_DEP_1)
	v_add_nc_u32_e32 v9, v8, v9
	v_lshrrev_b32_e32 v9, s14, v9
	s_delay_alu instid0(VALU_DEP_1) | instskip(NEXT) | instid1(VALU_DEP_1)
	v_mul_lo_u32 v9, v9, s12
	v_sub_nc_u32_e32 v8, v8, v9
	s_delay_alu instid0(VALU_DEP_1)
	v_mad_u32 v14, v8, s8, v14
	v_mad_u32 v27, v8, s9, v27
	;; [unrolled: 1-line block ×6, first 2 shown]
	s_and_not1_b32 vcc_lo, exec_lo, s6
	s_cbranch_vccz .LBB21_188
	s_branch .LBB21_191
.LBB21_186:
	s_mov_b32 s6, -1
                                        ; implicit-def: $vgpr27
                                        ; implicit-def: $vgpr14
                                        ; implicit-def: $vgpr25
                                        ; implicit-def: $vgpr26
                                        ; implicit-def: $vgpr21
                                        ; implicit-def: $vgpr22
.LBB21_187:
	s_delay_alu instid0(SALU_CYCLE_1)
	s_and_not1_b32 vcc_lo, exec_lo, s6
	s_cbranch_vccnz .LBB21_191
.LBB21_188:
	s_clause 0x2
	s_load_b96 s[8:10], s[2:3], 0x4
	s_load_b128 s[4:7], s[2:3], 0xc4
	s_load_b64 s[0:1], s[2:3], 0xd4
	s_cmp_lt_u32 s33, 2
	s_wait_kmcnt 0x0
	v_mul_hi_u32 v8, s9, v0
	s_delay_alu instid0(VALU_DEP_1) | instskip(NEXT) | instid1(VALU_DEP_1)
	v_add_nc_u32_e32 v8, v0, v8
	v_lshrrev_b32_e32 v8, s10, v8
	s_delay_alu instid0(VALU_DEP_1) | instskip(NEXT) | instid1(VALU_DEP_1)
	v_mul_lo_u32 v9, v8, s8
	v_sub_nc_u32_e32 v0, v0, v9
	s_delay_alu instid0(VALU_DEP_1)
	v_mul_lo_u32 v27, v0, s5
	v_mul_lo_u32 v14, v0, s4
	;; [unrolled: 1-line block ×6, first 2 shown]
	s_cbranch_scc1 .LBB21_191
; %bb.189:
	s_clause 0x2
	s_load_b96 s[8:10], s[2:3], 0x10
	s_load_b128 s[4:7], s[2:3], 0xdc
	s_load_b64 s[0:1], s[2:3], 0xec
	s_wait_kmcnt 0x0
	v_mul_hi_u32 v0, s9, v8
	s_delay_alu instid0(VALU_DEP_1) | instskip(NEXT) | instid1(VALU_DEP_1)
	v_add_nc_u32_e32 v0, v8, v0
	v_lshrrev_b32_e32 v0, s10, v0
	s_delay_alu instid0(VALU_DEP_1) | instskip(NEXT) | instid1(VALU_DEP_1)
	v_mul_lo_u32 v0, v0, s8
	v_sub_nc_u32_e32 v0, v8, v0
	s_delay_alu instid0(VALU_DEP_1)
	v_mad_u32 v14, v0, s4, v14
	v_mad_u32 v27, v0, s5, v27
	;; [unrolled: 1-line block ×6, first 2 shown]
	s_branch .LBB21_191
.LBB21_190:
	v_dual_mov_b32 v27, 0 :: v_dual_mov_b32 v14, 0
	v_dual_mov_b32 v25, 0 :: v_dual_mov_b32 v26, 0
	;; [unrolled: 1-line block ×3, first 2 shown]
	s_and_not1_b32 vcc_lo, exec_lo, s6
	s_cbranch_vccz .LBB21_188
.LBB21_191:
	v_cmp_ne_u32_e32 vcc_lo, 1, v7
	s_cbranch_vccnz .LBB21_197
; %bb.192:
	s_cmp_lg_u32 s33, 0
	s_mov_b32 s6, 0
	s_cbranch_scc0 .LBB21_201
; %bb.193:
	s_min_u32 s7, s60, 15
	v_dual_mov_b32 v17, 0 :: v_dual_mov_b32 v0, v5
	v_dual_mov_b32 v16, 0 :: v_dual_mov_b32 v19, 0
	;; [unrolled: 1-line block ×3, first 2 shown]
	v_mov_b32_e32 v20, 0
	s_add_co_i32 s4, s7, 1
	s_mov_b64 s[0:1], 0xffffffffffffffd0
	s_and_b32 s8, s4, 30
	s_add_nc_u64 s[0:1], s[2:3], s[0:1]
	s_mov_b64 s[4:5], s[2:3]
.LBB21_194:                             ; =>This Inner Loop Header: Depth=1
	s_clause 0x1
	s_load_b128 s[20:23], s[4:5], 0x4
	s_load_b64 s[10:11], s[4:5], 0x14
	s_clause 0x1
	s_load_b256 s[12:19], s[0:1], 0xf4
	s_load_b128 s[24:27], s[0:1], 0x114
	s_add_co_i32 s8, s8, -2
	s_wait_xcnt 0x0
	s_add_nc_u64 s[4:5], s[4:5], 24
	s_cmp_lg_u32 s8, 0
	s_add_nc_u64 s[0:1], s[0:1], 48
	s_wait_kmcnt 0x0
	v_mul_hi_u32 v7, s21, v0
	s_delay_alu instid0(VALU_DEP_1) | instskip(NEXT) | instid1(VALU_DEP_1)
	v_add_nc_u32_e32 v7, v0, v7
	v_lshrrev_b32_e32 v7, s22, v7
	s_delay_alu instid0(VALU_DEP_1) | instskip(SKIP_1) | instid1(VALU_DEP_1)
	v_mul_hi_u32 v8, s10, v7
	v_mul_lo_u32 v9, v7, s20
	v_dual_add_nc_u32 v8, v7, v8 :: v_dual_sub_nc_u32 v9, v0, v9
	s_delay_alu instid0(VALU_DEP_1) | instskip(NEXT) | instid1(VALU_DEP_2)
	v_lshrrev_b32_e32 v0, s11, v8
	v_mad_u32 v8, v9, s13, v20
	v_mad_u32 v11, v9, s12, v15
	;; [unrolled: 1-line block ×4, first 2 shown]
	v_mul_lo_u32 v10, v0, s23
	v_mad_u32 v16, s17, v9, v16
	v_mad_u32 v9, s16, v9, v17
	s_delay_alu instid0(VALU_DEP_3) | instskip(NEXT) | instid1(VALU_DEP_1)
	v_sub_nc_u32_e32 v7, v7, v10
	v_mad_u32 v20, v7, s19, v8
	v_mad_u32 v15, v7, s18, v11
	;; [unrolled: 1-line block ×6, first 2 shown]
	s_cbranch_scc1 .LBB21_194
; %bb.195:
	s_bitcmp1_b32 s7, 0
	s_cselect_b32 s7, -1, 0
	s_delay_alu instid0(SALU_CYCLE_1)
	s_and_b32 vcc_lo, exec_lo, s7
	s_cbranch_vccnz .LBB21_198
; %bb.196:
	s_load_b96 s[12:14], s[4:5], 0x4
	s_load_b128 s[8:11], s[0:1], 0xf4
	s_wait_xcnt 0x0
	s_load_b64 s[4:5], s[0:1], 0x104
	s_wait_kmcnt 0x0
	v_mul_hi_u32 v7, s13, v0
	s_delay_alu instid0(VALU_DEP_1) | instskip(NEXT) | instid1(VALU_DEP_1)
	v_add_nc_u32_e32 v7, v0, v7
	v_lshrrev_b32_e32 v7, s14, v7
	s_delay_alu instid0(VALU_DEP_1) | instskip(NEXT) | instid1(VALU_DEP_1)
	v_mul_lo_u32 v7, v7, s12
	v_sub_nc_u32_e32 v0, v0, v7
	s_delay_alu instid0(VALU_DEP_1)
	v_mad_u32 v15, v0, s8, v15
	v_mad_u32 v20, v0, s9, v20
	;; [unrolled: 1-line block ×6, first 2 shown]
	s_and_not1_b32 vcc_lo, exec_lo, s6
	s_cbranch_vccz .LBB21_199
	s_branch .LBB21_202
.LBB21_197:
	s_mov_b32 s6, -1
                                        ; implicit-def: $vgpr20
                                        ; implicit-def: $vgpr15
                                        ; implicit-def: $vgpr18
                                        ; implicit-def: $vgpr19
                                        ; implicit-def: $vgpr16
                                        ; implicit-def: $vgpr17
.LBB21_198:
	s_delay_alu instid0(SALU_CYCLE_1)
	s_and_not1_b32 vcc_lo, exec_lo, s6
	s_cbranch_vccnz .LBB21_202
.LBB21_199:
	s_clause 0x2
	s_load_b96 s[8:10], s[2:3], 0x4
	s_load_b128 s[4:7], s[2:3], 0xc4
	s_load_b64 s[0:1], s[2:3], 0xd4
	s_cmp_lt_u32 s33, 2
	s_wait_kmcnt 0x0
	v_mul_hi_u32 v0, s9, v5
	s_delay_alu instid0(VALU_DEP_1) | instskip(NEXT) | instid1(VALU_DEP_1)
	v_add_nc_u32_e32 v0, v5, v0
	v_lshrrev_b32_e32 v0, s10, v0
	s_delay_alu instid0(VALU_DEP_1) | instskip(NEXT) | instid1(VALU_DEP_1)
	v_mul_lo_u32 v7, v0, s8
	v_sub_nc_u32_e32 v5, v5, v7
	s_delay_alu instid0(VALU_DEP_1)
	v_mul_lo_u32 v20, v5, s5
	v_mul_lo_u32 v15, v5, s4
	;; [unrolled: 1-line block ×6, first 2 shown]
	s_cbranch_scc1 .LBB21_202
; %bb.200:
	s_clause 0x2
	s_load_b96 s[8:10], s[2:3], 0x10
	s_load_b128 s[4:7], s[2:3], 0xdc
	s_load_b64 s[0:1], s[2:3], 0xec
	s_wait_kmcnt 0x0
	v_mul_hi_u32 v5, s9, v0
	s_delay_alu instid0(VALU_DEP_1) | instskip(NEXT) | instid1(VALU_DEP_1)
	v_add_nc_u32_e32 v5, v0, v5
	v_lshrrev_b32_e32 v5, s10, v5
	s_delay_alu instid0(VALU_DEP_1) | instskip(NEXT) | instid1(VALU_DEP_1)
	v_mul_lo_u32 v5, v5, s8
	v_sub_nc_u32_e32 v0, v0, v5
	s_delay_alu instid0(VALU_DEP_1)
	v_mad_u32 v15, v0, s4, v15
	v_mad_u32 v20, v0, s5, v20
	v_mad_u32 v19, v0, s6, v19
	v_mad_u32 v18, v0, s7, v18
	v_mad_u32 v17, s0, v0, v17
	v_mad_u32 v16, s1, v0, v16
	s_branch .LBB21_202
.LBB21_201:
	v_dual_mov_b32 v20, 0 :: v_dual_mov_b32 v15, 0
	v_dual_mov_b32 v18, 0 :: v_dual_mov_b32 v19, 0
	;; [unrolled: 1-line block ×3, first 2 shown]
	s_and_not1_b32 vcc_lo, exec_lo, s6
	s_cbranch_vccz .LBB21_199
.LBB21_202:
	s_clause 0x1
	s_load_b128 s[4:7], s[2:3], 0x248
	s_load_b32 s0, s[2:3], 0x278
	s_cmp_eq_u64 s[34:35], 0
	s_mov_b32 s33, s36
	s_wait_kmcnt 0x0
	global_load_b32 v24, v6, s[6:7]
	s_wait_loadcnt 0x0
	v_cmp_ne_u32_e32 vcc_lo, s0, v24
	s_cselect_b32 s0, -1, 0
	s_delay_alu instid0(SALU_CYCLE_1) | instskip(SKIP_2) | instid1(SALU_CYCLE_1)
	s_or_b32 s0, s0, vcc_lo
	s_wait_xcnt 0x0
	s_and_saveexec_b32 s1, s0
	s_xor_b32 s0, exec_lo, s1
	s_cbranch_execnz .LBB21_258
; %bb.203:
	s_or_saveexec_b32 s38, s0
	s_mov_b32 s0, 0
	s_xor_b32 exec_lo, exec_lo, s38
	s_cbranch_execz .LBB21_307
.LBB21_204:
	s_clause 0x1
	s_load_b64 s[16:17], s[2:3], 0x258
	s_load_b64 s[14:15], s[2:3], 0x288
	s_get_pc_i64 s[0:1]
	s_add_nc_u64 s[0:1], s[0:1], .str.2@rel64+4
	s_mov_b32 s39, s33
	s_cmp_eq_u64 s[0:1], 0
	s_cselect_b32 s0, -1, 0
	s_wait_kmcnt 0x0
	global_load_b32 v23, v2, s[16:17]
	s_wait_loadcnt 0x0
	v_cmp_ne_u32_e32 vcc_lo, s14, v23
	s_or_b32 s0, s0, vcc_lo
	s_wait_xcnt 0x0
	s_and_saveexec_b32 s1, s0
	s_delay_alu instid0(SALU_CYCLE_1)
	s_xor_b32 s0, exec_lo, s1
	s_cbranch_execnz .LBB21_264
; %bb.205:
	s_or_saveexec_b32 s40, s0
	s_mov_b32 s0, 0
	s_xor_b32 exec_lo, exec_lo, s40
	s_cbranch_execz .LBB21_306
.LBB21_206:
	s_clause 0x1
	s_load_b128 s[8:11], s[2:3], 0x260
	s_load_b64 s[18:19], s[2:3], 0x280
	s_get_pc_i64 s[12:13]
	s_add_nc_u64 s[12:13], s[12:13], .str.3@rel64+4
	s_wait_kmcnt 0x0
	s_mov_b32 s19, s39
	global_load_b32 v2, v4, s[8:9]
	global_load_b32 v0, v3, s[10:11]
	s_wait_loadcnt 0x0
	v_sub_nc_u32_e32 v3, v0, v2
	s_delay_alu instid0(VALU_DEP_1) | instskip(SKIP_4) | instid1(SALU_CYCLE_1)
	v_cmp_gt_i32_e32 vcc_lo, v24, v3
	v_cmp_lt_i32_e64 s0, s18, v3
	s_or_b32 s0, vcc_lo, s0
	s_cmp_eq_u64 s[12:13], 0
	s_cselect_b32 s1, -1, 0
	s_or_b32 s0, s1, s0
	s_delay_alu instid0(SALU_CYCLE_1) | instskip(NEXT) | instid1(SALU_CYCLE_1)
	s_and_saveexec_b32 s1, s0
	s_xor_b32 s0, exec_lo, s1
	s_cbranch_execnz .LBB21_282
; %bb.207:
	s_or_saveexec_b32 s41, s0
	s_mov_b32 s0, 0
	s_xor_b32 exec_lo, exec_lo, s41
	s_cbranch_execz .LBB21_305
.LBB21_208:
	s_clause 0x1
	s_load_b32 s42, s[2:3], 0x290
	s_load_b64 s[22:23], s[2:3], 0x270
	v_cmp_gt_i64_e64 s0, s[14:15], 0
	v_mov_b64_e32 v[4:5], 0
	s_wait_kmcnt 0x0
	s_add_co_i32 s12, s42, -1
	s_delay_alu instid0(SALU_CYCLE_1) | instskip(SKIP_1) | instid1(SALU_CYCLE_1)
	s_cmp_gt_i32 s12, -1
	s_cselect_b32 s1, -1, 0
	s_and_b32 s0, s0, s1
	s_delay_alu instid0(SALU_CYCLE_1) | instskip(NEXT) | instid1(VALU_DEP_1)
	v_cndmask_b32_e64 v28, 0, 1, s0
	v_cmp_ne_u32_e32 vcc_lo, 1, v28
	s_cbranch_vccnz .LBB21_215
; %bb.209:
	global_load_b32 v4, v1, s[22:23]
	s_mov_b32 s1, 0
	s_mov_b64 s[20:21], 0xffffffff
	s_mov_b32 s13, s1
	v_mov_b32_e32 v6, 0
	s_lshl_b64 s[24:25], s[12:13], 3
	s_mov_b32 s13, s42
	s_add_nc_u64 s[24:25], s[2:3], s[24:25]
	s_delay_alu instid0(SALU_CYCLE_1) | instskip(SKIP_2) | instid1(VALU_DEP_1)
	s_add_nc_u64 s[24:25], s[24:25], 0x298
	s_wait_loadcnt 0x0
	v_ashrrev_i32_e32 v5, 31, v4
	v_mul_u64_e32 v[8:9], s[14:15], v[4:5]
	v_mov_b64_e32 v[4:5], 0
	s_branch .LBB21_211
.LBB21_210:                             ;   in Loop: Header=BB21_211 Depth=1
	s_or_b32 exec_lo, exec_lo, s0
	s_delay_alu instid0(VALU_DEP_1)
	v_mul_u64_e32 v[34:35], s[26:27], v[10:11]
	s_load_b64 s[26:27], s[24:25], 0x40
	s_add_co_i32 s13, s13, -1
	s_wait_xcnt 0x0
	s_add_nc_u64 s[24:25], s[24:25], -8
	s_cmp_eq_u32 s13, 0
	s_delay_alu instid0(VALU_DEP_1) | instskip(SKIP_1) | instid1(VALU_DEP_1)
	v_sub_nc_u64_e32 v[8:9], v[8:9], v[34:35]
	s_wait_kmcnt 0x0
	v_mad_nc_u64_u32 v[4:5], v8, s26, v[4:5]
	s_delay_alu instid0(VALU_DEP_1) | instskip(NEXT) | instid1(VALU_DEP_1)
	v_mad_u32 v1, v9, s26, v5
	v_mad_u32 v5, v8, s27, v1
	v_mov_b64_e32 v[8:9], v[10:11]
	s_cbranch_scc1 .LBB21_215
.LBB21_211:                             ; =>This Inner Loop Header: Depth=1
	s_load_b64 s[26:27], s[24:25], 0x0
                                        ; implicit-def: $vgpr10_vgpr11
	s_mov_b32 s0, exec_lo
	s_wait_kmcnt 0x0
	s_delay_alu instid0(VALU_DEP_1) | instskip(NEXT) | instid1(VALU_DEP_1)
	v_or_b32_e32 v7, s27, v9
	v_cmpx_ne_u64_e32 0, v[6:7]
	s_xor_b32 s34, exec_lo, s0
	s_cbranch_execz .LBB21_213
; %bb.212:                              ;   in Loop: Header=BB21_211 Depth=1
	s_ashr_i32 s28, s27, 31
	v_dual_mov_b32 v37, v6 :: v_dual_ashrrev_i32 v10, 31, v9
	s_mov_b32 s29, s28
	v_mov_b32_e32 v41, v6
	s_add_nc_u64 s[30:31], s[26:27], s[28:29]
	s_delay_alu instid0(VALU_DEP_2)
	v_mov_b32_e32 v11, v10
	s_xor_b64 s[30:31], s[30:31], s[28:29]
	v_mov_b32_e32 v45, v6
	s_cvt_f32_u32 s0, s30
	s_cvt_f32_u32 s29, s31
	s_sub_nc_u64 s[46:47], 0, s[30:31]
	v_add_nc_u64_e32 v[34:35], v[8:9], v[10:11]
	s_delay_alu instid0(SALU_CYCLE_1) | instskip(NEXT) | instid1(SALU_CYCLE_3)
	s_fmamk_f32 s0, s29, 0x4f800000, s0
	v_s_rcp_f32 s0, s0
	s_delay_alu instid0(VALU_DEP_1) | instskip(NEXT) | instid1(VALU_DEP_2)
	v_xor_b32_e32 v40, v35, v10
	v_xor_b32_e32 v36, v34, v10
	s_delay_alu instid0(TRANS32_DEP_1) | instskip(NEXT) | instid1(SALU_CYCLE_3)
	s_mul_f32 s0, s0, 0x5f7ffffc
	s_mul_f32 s29, s0, 0x2f800000
	s_delay_alu instid0(SALU_CYCLE_3) | instskip(NEXT) | instid1(SALU_CYCLE_3)
	s_trunc_f32 s29, s29
	s_fmamk_f32 s0, s29, 0xcf800000, s0
	s_cvt_u32_f32 s45, s29
	s_delay_alu instid0(SALU_CYCLE_2) | instskip(NEXT) | instid1(SALU_CYCLE_3)
	s_cvt_u32_f32 s44, s0
	s_mul_u64 s[48:49], s[46:47], s[44:45]
	s_delay_alu instid0(SALU_CYCLE_1)
	s_mul_hi_u32 s51, s44, s49
	s_mul_i32 s50, s44, s49
	s_mul_hi_u32 s0, s44, s48
	s_mul_i32 s35, s45, s48
	s_add_nc_u64 s[50:51], s[0:1], s[50:51]
	s_mul_hi_u32 s29, s45, s48
	s_mul_hi_u32 s43, s45, s49
	s_add_co_u32 s0, s50, s35
	s_add_co_ci_u32 s0, s51, s29
	s_mul_i32 s48, s45, s49
	s_add_co_ci_u32 s49, s43, 0
	s_delay_alu instid0(SALU_CYCLE_1) | instskip(NEXT) | instid1(SALU_CYCLE_1)
	s_add_nc_u64 s[48:49], s[0:1], s[48:49]
	s_add_co_u32 s44, s44, s48
	s_cselect_b32 s0, -1, 0
	s_delay_alu instid0(SALU_CYCLE_1) | instskip(SKIP_1) | instid1(SALU_CYCLE_1)
	s_cmp_lg_u32 s0, 0
	s_add_co_ci_u32 s45, s45, s49
	s_mul_u64 s[46:47], s[46:47], s[44:45]
	s_delay_alu instid0(SALU_CYCLE_1)
	s_mul_hi_u32 s49, s44, s47
	s_mul_i32 s48, s44, s47
	s_mul_hi_u32 s0, s44, s46
	s_mul_i32 s35, s45, s46
	s_add_nc_u64 s[48:49], s[0:1], s[48:49]
	s_mul_hi_u32 s29, s45, s46
	s_mul_hi_u32 s43, s45, s47
	s_add_co_u32 s0, s48, s35
	s_add_co_ci_u32 s0, s49, s29
	s_mul_i32 s46, s45, s47
	s_add_co_ci_u32 s47, s43, 0
	s_delay_alu instid0(SALU_CYCLE_1) | instskip(NEXT) | instid1(SALU_CYCLE_1)
	s_add_nc_u64 s[46:47], s[0:1], s[46:47]
	s_add_co_u32 s44, s44, s46
	s_cselect_b32 s0, -1, 0
	v_mul_hi_u32 v44, v36, s44
	s_cmp_lg_u32 s0, 0
	s_add_co_ci_u32 s0, s45, s47
	s_and_b64 s[46:47], s[44:45], s[20:21]
	v_mul_u64_e32 v[38:39], s[0:1], v[36:37]
	v_mul_u64_e32 v[34:35], s[46:47], v[40:41]
	;; [unrolled: 1-line block ×3, first 2 shown]
	s_delay_alu instid0(VALU_DEP_3) | instskip(NEXT) | instid1(VALU_DEP_1)
	v_add_nc_u64_e32 v[38:39], v[44:45], v[38:39]
	v_add_co_u32 v1, vcc_lo, v38, v34
	s_delay_alu instid0(VALU_DEP_2) | instskip(NEXT) | instid1(VALU_DEP_4)
	v_add_co_ci_u32_e32 v44, vcc_lo, v39, v35, vcc_lo
	v_add_co_ci_u32_e32 v43, vcc_lo, 0, v43, vcc_lo
	s_delay_alu instid0(VALU_DEP_1) | instskip(NEXT) | instid1(VALU_DEP_1)
	v_add_nc_u64_e32 v[34:35], v[44:45], v[42:43]
	v_mul_u64_e32 v[38:39], s[30:31], v[34:35]
	s_delay_alu instid0(VALU_DEP_1) | instskip(NEXT) | instid1(VALU_DEP_2)
	v_sub_nc_u32_e32 v1, v40, v39
	v_sub_co_u32 v3, vcc_lo, v36, v38
	s_delay_alu instid0(VALU_DEP_1) | instskip(NEXT) | instid1(VALU_DEP_3)
	v_sub_co_ci_u32_e64 v11, null, v40, v39, vcc_lo
	v_subrev_co_ci_u32_e64 v1, null, s31, v1, vcc_lo
	s_delay_alu instid0(VALU_DEP_3) | instskip(SKIP_1) | instid1(VALU_DEP_3)
	v_sub_co_u32 v7, s0, v3, s30
	v_add_nc_u64_e32 v[38:39], 1, v[34:35]
	v_subrev_co_ci_u32_e64 v1, null, 0, v1, s0
	s_delay_alu instid0(VALU_DEP_3) | instskip(SKIP_1) | instid1(VALU_DEP_3)
	v_cmp_le_u32_e32 vcc_lo, s30, v7
	v_cndmask_b32_e64 v7, 0, -1, vcc_lo
	v_cmp_le_u32_e32 vcc_lo, s31, v1
	v_cndmask_b32_e64 v36, 0, -1, vcc_lo
	;; [unrolled: 2-line block ×4, first 2 shown]
	v_cmp_eq_u32_e32 vcc_lo, s31, v1
	v_cndmask_b32_e32 v1, v36, v7, vcc_lo
	v_cmp_eq_u32_e32 vcc_lo, s31, v11
	v_add_nc_u64_e32 v[36:37], 2, v[34:35]
	v_cndmask_b32_e32 v3, v40, v3, vcc_lo
	s_delay_alu instid0(VALU_DEP_4) | instskip(NEXT) | instid1(VALU_DEP_3)
	v_cmp_ne_u32_e32 vcc_lo, 0, v1
	v_cndmask_b32_e32 v1, v39, v37, vcc_lo
	s_delay_alu instid0(VALU_DEP_3) | instskip(SKIP_1) | instid1(VALU_DEP_1)
	v_cmp_ne_u32_e64 s0, 0, v3
	v_dual_cndmask_b32 v3, v38, v36, vcc_lo :: v_dual_bitop2_b32 v10, s28, v10 bitop3:0x14
	v_dual_cndmask_b32 v1, v35, v1, s0 :: v_dual_cndmask_b32 v3, v34, v3, s0
	s_delay_alu instid0(VALU_DEP_1) | instskip(NEXT) | instid1(VALU_DEP_2)
	v_dual_mov_b32 v11, v10 :: v_dual_bitop2_b32 v35, v1, v10 bitop3:0x14
	v_xor_b32_e32 v34, v3, v10
	s_delay_alu instid0(VALU_DEP_1)
	v_sub_nc_u64_e32 v[10:11], v[34:35], v[10:11]
.LBB21_213:                             ;   in Loop: Header=BB21_211 Depth=1
	s_and_not1_saveexec_b32 s0, s34
	s_cbranch_execz .LBB21_210
; %bb.214:                              ;   in Loop: Header=BB21_211 Depth=1
	v_cvt_f32_u32_e32 v1, s26
	s_sub_co_i32 s28, 0, s26
	v_mov_b32_e32 v11, v6
	s_delay_alu instid0(VALU_DEP_2) | instskip(SKIP_1) | instid1(TRANS32_DEP_1)
	v_rcp_iflag_f32_e32 v1, v1
	v_nop
	v_mul_f32_e32 v1, 0x4f7ffffe, v1
	s_delay_alu instid0(VALU_DEP_1) | instskip(NEXT) | instid1(VALU_DEP_1)
	v_cvt_u32_f32_e32 v1, v1
	v_mul_lo_u32 v3, s28, v1
	s_delay_alu instid0(VALU_DEP_1) | instskip(NEXT) | instid1(VALU_DEP_1)
	v_mul_hi_u32 v3, v1, v3
	v_add_nc_u32_e32 v1, v1, v3
	s_delay_alu instid0(VALU_DEP_1) | instskip(NEXT) | instid1(VALU_DEP_1)
	v_mul_hi_u32 v1, v8, v1
	v_mul_lo_u32 v3, v1, s26
	s_delay_alu instid0(VALU_DEP_1) | instskip(NEXT) | instid1(VALU_DEP_1)
	v_sub_nc_u32_e32 v3, v8, v3
	v_subrev_nc_u32_e32 v10, s26, v3
	v_cmp_le_u32_e32 vcc_lo, s26, v3
	s_delay_alu instid0(VALU_DEP_2) | instskip(NEXT) | instid1(VALU_DEP_1)
	v_dual_add_nc_u32 v7, 1, v1 :: v_dual_cndmask_b32 v3, v3, v10, vcc_lo
	v_cndmask_b32_e32 v1, v1, v7, vcc_lo
	s_delay_alu instid0(VALU_DEP_2) | instskip(NEXT) | instid1(VALU_DEP_2)
	v_cmp_le_u32_e32 vcc_lo, s26, v3
	v_add_nc_u32_e32 v7, 1, v1
	s_delay_alu instid0(VALU_DEP_1)
	v_cndmask_b32_e32 v10, v1, v7, vcc_lo
	s_branch .LBB21_210
.LBB21_215:
	s_load_b64 s[20:21], s[2:3], 0x318
	s_get_pc_i64 s[0:1]
	s_add_nc_u64 s[0:1], s[0:1], .str.4@rel64+4
	s_mov_b32 s43, s19
	s_cmp_lg_u64 s[0:1], 0
	s_mov_b32 s1, -1
	s_cselect_b32 s48, -1, 0
	s_mov_b32 s0, exec_lo
	v_cmpx_gt_i32_e64 v0, v2
	s_cbranch_execz .LBB21_222
; %bb.216:
	v_lshlrev_b64_e32 v[4:5], 2, v[4:5]
	v_dual_ashrrev_i32 v3, 31, v2 :: v_dual_ashrrev_i32 v1, 31, v0
	s_mov_b32 s13, 0
	s_xor_b32 s24, s48, -1
                                        ; implicit-def: $sgpr1
                                        ; implicit-def: $sgpr26
                                        ; implicit-def: $sgpr25
	s_delay_alu instid0(VALU_DEP_1) | instskip(SKIP_2) | instid1(VALU_DEP_2)
	v_lshl_add_u64 v[2:3], v[2:3], 2, v[4:5]
	s_wait_kmcnt 0x0
	v_add_nc_u64_e32 v[4:5], s[20:21], v[4:5]
	v_add_nc_u64_e32 v[2:3], s[20:21], v[2:3]
	s_delay_alu instid0(VALU_DEP_2) | instskip(NEXT) | instid1(VALU_DEP_2)
	v_lshl_add_u64 v[0:1], v[0:1], 2, v[4:5]
	v_add_nc_u64_e32 v[2:3], 4, v[2:3]
	s_branch .LBB21_218
.LBB21_217:                             ;   in Loop: Header=BB21_218 Depth=1
	s_or_b32 exec_lo, exec_lo, s27
	s_xor_b32 s27, s25, -1
	s_and_b32 s28, exec_lo, s26
	s_delay_alu instid0(SALU_CYCLE_1) | instskip(SKIP_2) | instid1(SALU_CYCLE_1)
	s_or_b32 s13, s28, s13
	s_and_not1_b32 s1, s1, exec_lo
	s_and_b32 s27, s27, exec_lo
	s_or_b32 s1, s1, s27
	s_and_not1_b32 exec_lo, exec_lo, s13
	s_cbranch_execz .LBB21_220
.LBB21_218:                             ; =>This Inner Loop Header: Depth=1
	s_or_b32 s25, s25, exec_lo
	s_or_b32 s26, s26, exec_lo
	s_mov_b32 s27, exec_lo
	s_delay_alu instid0(VALU_DEP_1)
	v_cmpx_lt_u64_e64 v[2:3], v[0:1]
	s_cbranch_execz .LBB21_217
; %bb.219:                              ;   in Loop: Header=BB21_218 Depth=1
	global_load_b64 v[4:5], v[2:3], off offset:-4
	s_wait_xcnt 0x0
	v_add_nc_u64_e32 v[2:3], 4, v[2:3]
	s_and_not1_b32 s26, s26, exec_lo
	s_and_not1_b32 s25, s25, exec_lo
	s_wait_loadcnt 0x0
	v_cmp_ge_i32_e32 vcc_lo, v4, v5
	s_or_b32 s28, s24, vcc_lo
	s_delay_alu instid0(SALU_CYCLE_1) | instskip(NEXT) | instid1(SALU_CYCLE_1)
	s_and_b32 s28, s28, exec_lo
	s_or_b32 s26, s26, s28
	s_branch .LBB21_217
.LBB21_220:
	s_or_b32 exec_lo, exec_lo, s13
	s_mov_b32 s13, -1
	s_mov_b32 s24, s19
	s_and_saveexec_b32 s25, s1
	s_delay_alu instid0(SALU_CYCLE_1)
	s_xor_b32 s1, exec_lo, s25
	s_cbranch_execnz .LBB21_257
.LBB21_221:
	s_or_b32 exec_lo, exec_lo, s1
	s_delay_alu instid0(SALU_CYCLE_1) | instskip(SKIP_1) | instid1(SALU_CYCLE_1)
	s_and_not1_b32 s1, s19, exec_lo
	s_and_b32 s24, s24, exec_lo
	s_or_b32 s43, s1, s24
	s_or_not1_b32 s1, s13, exec_lo
.LBB21_222:
	s_or_b32 exec_lo, exec_lo, s0
	s_mov_b32 s0, 0
	s_and_saveexec_b32 s44, s1
	s_cbranch_execz .LBB21_304
; %bb.223:
	global_load_b32 v0, v33, s[6:7]
	s_mov_b32 s45, s43
	s_mov_b32 s0, exec_lo
	s_wait_loadcnt 0x0
	v_cmpx_ne_u32_e64 v0, v24
	s_xor_b32 s0, exec_lo, s0
	s_cbranch_execnz .LBB21_283
; %bb.224:
	s_or_saveexec_b32 s46, s0
	s_mov_b32 s0, 0
	s_xor_b32 exec_lo, exec_lo, s46
	s_cbranch_execz .LBB21_303
.LBB21_225:
	global_load_b32 v0, v32, s[16:17]
	s_mov_b32 s47, s45
	s_mov_b32 s0, exec_lo
	s_wait_loadcnt 0x0
	v_cmpx_ne_u32_e64 v0, v23
	s_xor_b32 s0, exec_lo, s0
	s_cbranch_execnz .LBB21_289
; %bb.226:
	s_or_saveexec_b32 s49, s0
	s_mov_b32 s0, 0
	s_xor_b32 exec_lo, exec_lo, s49
	s_cbranch_execz .LBB21_302
.LBB21_227:
	global_load_b32 v2, v31, s[8:9]
	global_load_b32 v0, v30, s[10:11]
	s_mov_b32 s50, s47
	s_wait_loadcnt 0x0
	v_sub_nc_u32_e32 v1, v0, v2
	s_delay_alu instid0(VALU_DEP_1) | instskip(SKIP_4) | instid1(SALU_CYCLE_1)
	v_cmp_gt_i32_e32 vcc_lo, v24, v1
	v_cmp_lt_i32_e64 s0, s18, v1
	s_or_b32 s0, vcc_lo, s0
	s_wait_xcnt 0x0
	s_and_saveexec_b32 s1, s0
	s_xor_b32 s0, exec_lo, s1
	s_cbranch_execnz .LBB21_311
; %bb.228:
	s_or_saveexec_b32 s51, s0
	s_mov_b32 s0, 0
	s_xor_b32 exec_lo, exec_lo, s51
	s_cbranch_execz .LBB21_301
.LBB21_229:
	v_cmp_ne_u32_e32 vcc_lo, 1, v28
	v_mov_b64_e32 v[4:5], 0
	s_cbranch_vccnz .LBB21_236
; %bb.230:
	global_load_b32 v4, v29, s[22:23]
	s_mov_b32 s1, 0
	s_mov_b64 s[24:25], 0xffffffff
	s_mov_b32 s13, s1
	v_mov_b32_e32 v6, 0
	s_lshl_b64 s[26:27], s[12:13], 3
	s_mov_b32 s13, s42
	s_add_nc_u64 s[26:27], s[2:3], s[26:27]
	s_delay_alu instid0(SALU_CYCLE_1) | instskip(SKIP_2) | instid1(VALU_DEP_1)
	s_add_nc_u64 s[26:27], s[26:27], 0x298
	s_wait_loadcnt 0x0
	v_ashrrev_i32_e32 v5, 31, v4
	v_mul_u64_e32 v[8:9], s[14:15], v[4:5]
	v_mov_b64_e32 v[4:5], 0
	s_branch .LBB21_232
.LBB21_231:                             ;   in Loop: Header=BB21_232 Depth=1
	s_or_b32 exec_lo, exec_lo, s0
	s_delay_alu instid0(VALU_DEP_1)
	v_mul_u64_e32 v[30:31], s[28:29], v[10:11]
	s_load_b64 s[28:29], s[26:27], 0x40
	s_add_co_i32 s13, s13, -1
	s_wait_xcnt 0x0
	s_add_nc_u64 s[26:27], s[26:27], -8
	s_cmp_eq_u32 s13, 0
	s_delay_alu instid0(VALU_DEP_1) | instskip(SKIP_1) | instid1(VALU_DEP_1)
	v_sub_nc_u64_e32 v[8:9], v[8:9], v[30:31]
	s_wait_kmcnt 0x0
	v_mad_nc_u64_u32 v[4:5], v8, s28, v[4:5]
	s_delay_alu instid0(VALU_DEP_1) | instskip(NEXT) | instid1(VALU_DEP_1)
	v_mad_u32 v1, v9, s28, v5
	v_mad_u32 v5, v8, s29, v1
	v_mov_b64_e32 v[8:9], v[10:11]
	s_cbranch_scc1 .LBB21_236
.LBB21_232:                             ; =>This Inner Loop Header: Depth=1
	s_load_b64 s[28:29], s[26:27], 0x0
                                        ; implicit-def: $vgpr10_vgpr11
	s_mov_b32 s0, exec_lo
	s_wait_kmcnt 0x0
	s_delay_alu instid0(VALU_DEP_1) | instskip(NEXT) | instid1(VALU_DEP_1)
	v_or_b32_e32 v7, s29, v9
	v_cmpx_ne_u64_e32 0, v[6:7]
	s_xor_b32 s52, exec_lo, s0
	s_cbranch_execz .LBB21_234
; %bb.233:                              ;   in Loop: Header=BB21_232 Depth=1
	s_ashr_i32 s30, s29, 31
	v_dual_mov_b32 v33, v6 :: v_dual_ashrrev_i32 v10, 31, v9
	s_mov_b32 s31, s30
	v_mov_b32_e32 v37, v6
	s_add_nc_u64 s[34:35], s[28:29], s[30:31]
	s_delay_alu instid0(VALU_DEP_2)
	v_mov_b32_e32 v11, v10
	s_xor_b64 s[34:35], s[34:35], s[30:31]
	v_mov_b32_e32 v41, v6
	s_cvt_f32_u32 s0, s34
	s_cvt_f32_u32 s31, s35
	s_sub_nc_u64 s[56:57], 0, s[34:35]
	v_add_nc_u64_e32 v[30:31], v[8:9], v[10:11]
	s_delay_alu instid0(SALU_CYCLE_1) | instskip(NEXT) | instid1(SALU_CYCLE_3)
	s_fmamk_f32 s0, s31, 0x4f800000, s0
	v_s_rcp_f32 s0, s0
	s_delay_alu instid0(VALU_DEP_1) | instskip(NEXT) | instid1(VALU_DEP_2)
	v_xor_b32_e32 v36, v31, v10
	v_xor_b32_e32 v32, v30, v10
	s_delay_alu instid0(TRANS32_DEP_1) | instskip(NEXT) | instid1(SALU_CYCLE_3)
	s_mul_f32 s0, s0, 0x5f7ffffc
	s_mul_f32 s31, s0, 0x2f800000
	s_delay_alu instid0(SALU_CYCLE_3) | instskip(NEXT) | instid1(SALU_CYCLE_3)
	s_trunc_f32 s31, s31
	s_fmamk_f32 s0, s31, 0xcf800000, s0
	s_cvt_u32_f32 s55, s31
	s_delay_alu instid0(SALU_CYCLE_2) | instskip(NEXT) | instid1(SALU_CYCLE_3)
	s_cvt_u32_f32 s54, s0
	s_mul_u64 s[58:59], s[56:57], s[54:55]
	s_delay_alu instid0(SALU_CYCLE_1)
	s_mul_hi_u32 s61, s54, s59
	s_mul_i32 s60, s54, s59
	s_mul_hi_u32 s0, s54, s58
	s_mul_i32 s53, s55, s58
	s_add_nc_u64 s[60:61], s[0:1], s[60:61]
	s_mul_hi_u32 s31, s55, s58
	s_mul_hi_u32 s62, s55, s59
	s_add_co_u32 s0, s60, s53
	s_add_co_ci_u32 s0, s61, s31
	s_mul_i32 s58, s55, s59
	s_add_co_ci_u32 s59, s62, 0
	s_delay_alu instid0(SALU_CYCLE_1) | instskip(NEXT) | instid1(SALU_CYCLE_1)
	s_add_nc_u64 s[58:59], s[0:1], s[58:59]
	s_add_co_u32 s54, s54, s58
	s_cselect_b32 s0, -1, 0
	s_delay_alu instid0(SALU_CYCLE_1) | instskip(SKIP_1) | instid1(SALU_CYCLE_1)
	s_cmp_lg_u32 s0, 0
	s_add_co_ci_u32 s55, s55, s59
	s_mul_u64 s[56:57], s[56:57], s[54:55]
	s_delay_alu instid0(SALU_CYCLE_1)
	s_mul_hi_u32 s59, s54, s57
	s_mul_i32 s58, s54, s57
	s_mul_hi_u32 s0, s54, s56
	s_mul_i32 s53, s55, s56
	s_add_nc_u64 s[58:59], s[0:1], s[58:59]
	s_mul_hi_u32 s31, s55, s56
	s_mul_hi_u32 s60, s55, s57
	s_add_co_u32 s0, s58, s53
	s_add_co_ci_u32 s0, s59, s31
	s_mul_i32 s56, s55, s57
	s_add_co_ci_u32 s57, s60, 0
	s_delay_alu instid0(SALU_CYCLE_1) | instskip(NEXT) | instid1(SALU_CYCLE_1)
	s_add_nc_u64 s[56:57], s[0:1], s[56:57]
	s_add_co_u32 s54, s54, s56
	s_cselect_b32 s0, -1, 0
	v_mul_hi_u32 v40, v32, s54
	s_cmp_lg_u32 s0, 0
	s_add_co_ci_u32 s0, s55, s57
	s_and_b64 s[56:57], s[54:55], s[24:25]
	v_mul_u64_e32 v[34:35], s[0:1], v[32:33]
	v_mul_u64_e32 v[30:31], s[56:57], v[36:37]
	;; [unrolled: 1-line block ×3, first 2 shown]
	s_delay_alu instid0(VALU_DEP_3) | instskip(NEXT) | instid1(VALU_DEP_1)
	v_add_nc_u64_e32 v[34:35], v[40:41], v[34:35]
	v_add_co_u32 v1, vcc_lo, v34, v30
	s_delay_alu instid0(VALU_DEP_2) | instskip(NEXT) | instid1(VALU_DEP_4)
	v_add_co_ci_u32_e32 v40, vcc_lo, v35, v31, vcc_lo
	v_add_co_ci_u32_e32 v39, vcc_lo, 0, v39, vcc_lo
	s_delay_alu instid0(VALU_DEP_1) | instskip(NEXT) | instid1(VALU_DEP_1)
	v_add_nc_u64_e32 v[30:31], v[40:41], v[38:39]
	v_mul_u64_e32 v[34:35], s[34:35], v[30:31]
	s_delay_alu instid0(VALU_DEP_1) | instskip(NEXT) | instid1(VALU_DEP_2)
	v_sub_nc_u32_e32 v1, v36, v35
	v_sub_co_u32 v3, vcc_lo, v32, v34
	s_delay_alu instid0(VALU_DEP_1) | instskip(NEXT) | instid1(VALU_DEP_3)
	v_sub_co_ci_u32_e64 v11, null, v36, v35, vcc_lo
	v_subrev_co_ci_u32_e64 v1, null, s35, v1, vcc_lo
	s_delay_alu instid0(VALU_DEP_3) | instskip(SKIP_1) | instid1(VALU_DEP_3)
	v_sub_co_u32 v7, s0, v3, s34
	v_add_nc_u64_e32 v[32:33], 2, v[30:31]
	v_subrev_co_ci_u32_e64 v1, null, 0, v1, s0
	s_delay_alu instid0(VALU_DEP_3) | instskip(SKIP_2) | instid1(VALU_DEP_4)
	v_cmp_le_u32_e32 vcc_lo, s34, v7
	v_add_nc_u64_e32 v[34:35], 1, v[30:31]
	v_cndmask_b32_e64 v7, 0, -1, vcc_lo
	v_cmp_le_u32_e32 vcc_lo, s35, v1
	v_cndmask_b32_e64 v29, 0, -1, vcc_lo
	v_cmp_le_u32_e32 vcc_lo, s34, v3
	;; [unrolled: 2-line block ×3, first 2 shown]
	v_cndmask_b32_e64 v36, 0, -1, vcc_lo
	v_cmp_eq_u32_e32 vcc_lo, s35, v1
	v_cndmask_b32_e32 v1, v29, v7, vcc_lo
	v_cmp_eq_u32_e32 vcc_lo, s35, v11
	s_delay_alu instid0(VALU_DEP_4) | instskip(NEXT) | instid1(VALU_DEP_3)
	v_cndmask_b32_e32 v3, v36, v3, vcc_lo
	v_cmp_ne_u32_e32 vcc_lo, 0, v1
	v_cndmask_b32_e32 v1, v35, v33, vcc_lo
	s_delay_alu instid0(VALU_DEP_3) | instskip(SKIP_1) | instid1(VALU_DEP_1)
	v_cmp_ne_u32_e64 s0, 0, v3
	v_dual_cndmask_b32 v3, v34, v32, vcc_lo :: v_dual_bitop2_b32 v10, s30, v10 bitop3:0x14
	v_dual_cndmask_b32 v1, v31, v1, s0 :: v_dual_cndmask_b32 v3, v30, v3, s0
	s_delay_alu instid0(VALU_DEP_1) | instskip(NEXT) | instid1(VALU_DEP_2)
	v_dual_mov_b32 v11, v10 :: v_dual_bitop2_b32 v31, v1, v10 bitop3:0x14
	v_xor_b32_e32 v30, v3, v10
	s_delay_alu instid0(VALU_DEP_1)
	v_sub_nc_u64_e32 v[10:11], v[30:31], v[10:11]
.LBB21_234:                             ;   in Loop: Header=BB21_232 Depth=1
	s_and_not1_saveexec_b32 s0, s52
	s_cbranch_execz .LBB21_231
; %bb.235:                              ;   in Loop: Header=BB21_232 Depth=1
	v_cvt_f32_u32_e32 v1, s28
	s_sub_co_i32 s30, 0, s28
	v_mov_b32_e32 v11, v6
	s_delay_alu instid0(VALU_DEP_2) | instskip(SKIP_1) | instid1(TRANS32_DEP_1)
	v_rcp_iflag_f32_e32 v1, v1
	v_nop
	v_mul_f32_e32 v1, 0x4f7ffffe, v1
	s_delay_alu instid0(VALU_DEP_1) | instskip(NEXT) | instid1(VALU_DEP_1)
	v_cvt_u32_f32_e32 v1, v1
	v_mul_lo_u32 v3, s30, v1
	s_delay_alu instid0(VALU_DEP_1) | instskip(NEXT) | instid1(VALU_DEP_1)
	v_mul_hi_u32 v3, v1, v3
	v_add_nc_u32_e32 v1, v1, v3
	s_delay_alu instid0(VALU_DEP_1) | instskip(NEXT) | instid1(VALU_DEP_1)
	v_mul_hi_u32 v1, v8, v1
	v_mul_lo_u32 v3, v1, s28
	s_delay_alu instid0(VALU_DEP_1) | instskip(NEXT) | instid1(VALU_DEP_1)
	v_sub_nc_u32_e32 v3, v8, v3
	v_subrev_nc_u32_e32 v10, s28, v3
	v_cmp_le_u32_e32 vcc_lo, s28, v3
	s_delay_alu instid0(VALU_DEP_2) | instskip(NEXT) | instid1(VALU_DEP_1)
	v_dual_add_nc_u32 v7, 1, v1 :: v_dual_cndmask_b32 v3, v3, v10, vcc_lo
	v_cndmask_b32_e32 v1, v1, v7, vcc_lo
	s_delay_alu instid0(VALU_DEP_2) | instskip(NEXT) | instid1(VALU_DEP_2)
	v_cmp_le_u32_e32 vcc_lo, s28, v3
	v_add_nc_u32_e32 v7, 1, v1
	s_delay_alu instid0(VALU_DEP_1)
	v_cndmask_b32_e32 v10, v1, v7, vcc_lo
	s_branch .LBB21_231
.LBB21_236:
	s_mov_b32 s1, -1
	s_mov_b32 s52, s50
	s_mov_b32 s0, exec_lo
	v_cmpx_gt_i32_e64 v0, v2
	s_cbranch_execz .LBB21_243
; %bb.237:
	s_delay_alu instid0(VALU_DEP_2) | instskip(SKIP_3) | instid1(VALU_DEP_1)
	v_lshlrev_b64_e32 v[4:5], 2, v[4:5]
	v_dual_ashrrev_i32 v3, 31, v2 :: v_dual_ashrrev_i32 v1, 31, v0
	s_mov_b32 s13, 0
	s_xor_b32 s24, s48, -1
                                        ; implicit-def: $sgpr1
                                        ; implicit-def: $sgpr26
                                        ; implicit-def: $sgpr25
	v_lshl_add_u64 v[2:3], v[2:3], 2, v[4:5]
	s_wait_kmcnt 0x0
	v_add_nc_u64_e32 v[4:5], s[20:21], v[4:5]
	s_delay_alu instid0(VALU_DEP_2) | instskip(NEXT) | instid1(VALU_DEP_2)
	v_add_nc_u64_e32 v[2:3], s[20:21], v[2:3]
	v_lshl_add_u64 v[0:1], v[0:1], 2, v[4:5]
	s_delay_alu instid0(VALU_DEP_2)
	v_add_nc_u64_e32 v[2:3], 4, v[2:3]
	s_branch .LBB21_239
.LBB21_238:                             ;   in Loop: Header=BB21_239 Depth=1
	s_or_b32 exec_lo, exec_lo, s27
	s_xor_b32 s27, s25, -1
	s_and_b32 s28, exec_lo, s26
	s_delay_alu instid0(SALU_CYCLE_1) | instskip(SKIP_2) | instid1(SALU_CYCLE_1)
	s_or_b32 s13, s28, s13
	s_and_not1_b32 s1, s1, exec_lo
	s_and_b32 s27, s27, exec_lo
	s_or_b32 s1, s1, s27
	s_and_not1_b32 exec_lo, exec_lo, s13
	s_cbranch_execz .LBB21_241
.LBB21_239:                             ; =>This Inner Loop Header: Depth=1
	s_or_b32 s25, s25, exec_lo
	s_or_b32 s26, s26, exec_lo
	s_mov_b32 s27, exec_lo
	s_delay_alu instid0(VALU_DEP_1)
	v_cmpx_lt_u64_e64 v[2:3], v[0:1]
	s_cbranch_execz .LBB21_238
; %bb.240:                              ;   in Loop: Header=BB21_239 Depth=1
	global_load_b64 v[4:5], v[2:3], off offset:-4
	s_wait_xcnt 0x0
	v_add_nc_u64_e32 v[2:3], 4, v[2:3]
	s_and_not1_b32 s26, s26, exec_lo
	s_and_not1_b32 s25, s25, exec_lo
	s_wait_loadcnt 0x0
	v_cmp_ge_i32_e32 vcc_lo, v4, v5
	s_or_b32 s28, s24, vcc_lo
	s_delay_alu instid0(SALU_CYCLE_1) | instskip(NEXT) | instid1(SALU_CYCLE_1)
	s_and_b32 s28, s28, exec_lo
	s_or_b32 s26, s26, s28
	s_branch .LBB21_238
.LBB21_241:
	s_or_b32 exec_lo, exec_lo, s13
	s_mov_b32 s13, -1
	s_mov_b32 s24, s50
	s_and_saveexec_b32 s25, s1
	s_delay_alu instid0(SALU_CYCLE_1)
	s_xor_b32 s1, exec_lo, s25
	s_cbranch_execnz .LBB21_281
.LBB21_242:
	s_or_b32 exec_lo, exec_lo, s1
	s_delay_alu instid0(SALU_CYCLE_1) | instskip(SKIP_1) | instid1(SALU_CYCLE_1)
	s_and_not1_b32 s1, s50, exec_lo
	s_and_b32 s24, s24, exec_lo
	s_or_b32 s52, s1, s24
	s_or_not1_b32 s1, s13, exec_lo
.LBB21_243:
	s_or_b32 exec_lo, exec_lo, s0
	s_mov_b32 s0, 0
	s_and_saveexec_b32 s53, s1
	s_cbranch_execz .LBB21_300
; %bb.244:
	global_load_b32 v0, v27, s[6:7]
	s_mov_b32 s54, s52
	s_mov_b32 s0, exec_lo
	s_wait_loadcnt 0x0
	v_cmpx_ne_u32_e64 v0, v24
	s_xor_b32 s0, exec_lo, s0
	s_cbranch_execnz .LBB21_312
; %bb.245:
	s_or_saveexec_b32 s55, s0
	s_mov_b32 s0, 0
	s_xor_b32 exec_lo, exec_lo, s55
	s_cbranch_execz .LBB21_299
.LBB21_246:
	global_load_b32 v0, v26, s[16:17]
	s_mov_b32 s56, s54
	s_mov_b32 s0, exec_lo
	s_wait_loadcnt 0x0
	v_cmpx_ne_u32_e64 v0, v23
	s_xor_b32 s0, exec_lo, s0
	s_cbranch_execnz .LBB21_313
; %bb.247:
	s_or_saveexec_b32 s57, s0
	s_mov_b32 s0, 0
	s_xor_b32 exec_lo, exec_lo, s57
	s_cbranch_execz .LBB21_298
.LBB21_248:
	global_load_b32 v2, v25, s[8:9]
	global_load_b32 v0, v22, s[10:11]
	s_mov_b32 s58, s56
	s_wait_loadcnt 0x0
	v_sub_nc_u32_e32 v1, v0, v2
	s_delay_alu instid0(VALU_DEP_1) | instskip(SKIP_4) | instid1(SALU_CYCLE_1)
	v_cmp_gt_i32_e32 vcc_lo, v24, v1
	v_cmp_lt_i32_e64 s0, s18, v1
	s_or_b32 s0, vcc_lo, s0
	s_wait_xcnt 0x0
	s_and_saveexec_b32 s1, s0
	s_xor_b32 s0, exec_lo, s1
	s_cbranch_execnz .LBB21_315
; %bb.249:
	s_or_saveexec_b32 s59, s0
	s_mov_b32 s0, 0
	s_xor_b32 exec_lo, exec_lo, s59
	s_cbranch_execz .LBB21_297
.LBB21_250:
	v_cmp_ne_u32_e32 vcc_lo, 1, v28
	v_mov_b64_e32 v[4:5], 0
	s_cbranch_vccnz .LBB21_259
; %bb.251:
	global_load_b32 v4, v21, s[22:23]
	s_mov_b32 s1, 0
	s_mov_b64 s[24:25], 0xffffffff
	s_mov_b32 s13, s1
	v_mov_b32_e32 v6, 0
	s_lshl_b64 s[26:27], s[12:13], 3
	s_mov_b32 s13, s42
	s_add_nc_u64 s[26:27], s[2:3], s[26:27]
	s_delay_alu instid0(SALU_CYCLE_1) | instskip(SKIP_2) | instid1(VALU_DEP_1)
	s_add_nc_u64 s[26:27], s[26:27], 0x298
	s_wait_loadcnt 0x0
	v_ashrrev_i32_e32 v5, 31, v4
	v_mul_u64_e32 v[8:9], s[14:15], v[4:5]
	v_mov_b64_e32 v[4:5], 0
	s_branch .LBB21_253
.LBB21_252:                             ;   in Loop: Header=BB21_253 Depth=1
	s_or_b32 exec_lo, exec_lo, s0
	s_delay_alu instid0(VALU_DEP_1)
	v_mul_u64_e32 v[26:27], s[28:29], v[10:11]
	s_load_b64 s[28:29], s[26:27], 0x40
	s_add_co_i32 s13, s13, -1
	s_wait_xcnt 0x0
	s_add_nc_u64 s[26:27], s[26:27], -8
	s_cmp_eq_u32 s13, 0
	s_delay_alu instid0(VALU_DEP_1) | instskip(SKIP_1) | instid1(VALU_DEP_1)
	v_sub_nc_u64_e32 v[8:9], v[8:9], v[26:27]
	s_wait_kmcnt 0x0
	v_mad_nc_u64_u32 v[4:5], v8, s28, v[4:5]
	s_delay_alu instid0(VALU_DEP_1) | instskip(NEXT) | instid1(VALU_DEP_1)
	v_mad_u32 v1, v9, s28, v5
	v_mad_u32 v5, v8, s29, v1
	v_mov_b64_e32 v[8:9], v[10:11]
	s_cbranch_scc1 .LBB21_259
.LBB21_253:                             ; =>This Inner Loop Header: Depth=1
	s_load_b64 s[28:29], s[26:27], 0x0
                                        ; implicit-def: $vgpr10_vgpr11
	s_mov_b32 s0, exec_lo
	s_wait_kmcnt 0x0
	s_delay_alu instid0(VALU_DEP_1) | instskip(NEXT) | instid1(VALU_DEP_1)
	v_or_b32_e32 v7, s29, v9
	v_cmpx_ne_u64_e32 0, v[6:7]
	s_xor_b32 s60, exec_lo, s0
	s_cbranch_execz .LBB21_255
; %bb.254:                              ;   in Loop: Header=BB21_253 Depth=1
	s_ashr_i32 s30, s29, 31
	v_dual_mov_b32 v31, v6 :: v_dual_ashrrev_i32 v10, 31, v9
	s_mov_b32 s31, s30
	v_mov_b32_e32 v35, v6
	s_add_nc_u64 s[34:35], s[28:29], s[30:31]
	s_delay_alu instid0(VALU_DEP_2)
	v_mov_b32_e32 v11, v10
	s_xor_b64 s[34:35], s[34:35], s[30:31]
	v_mov_b32_e32 v39, v6
	s_cvt_f32_u32 s0, s34
	s_cvt_f32_u32 s31, s35
	s_sub_nc_u64 s[64:65], 0, s[34:35]
	v_add_nc_u64_e32 v[26:27], v[8:9], v[10:11]
	s_delay_alu instid0(SALU_CYCLE_1) | instskip(NEXT) | instid1(SALU_CYCLE_3)
	s_fmamk_f32 s0, s31, 0x4f800000, s0
	v_s_rcp_f32 s0, s0
	s_delay_alu instid0(VALU_DEP_1) | instskip(NEXT) | instid1(VALU_DEP_2)
	v_xor_b32_e32 v30, v26, v10
	v_xor_b32_e32 v34, v27, v10
	;; [unrolled: 1-line block ×3, first 2 shown]
	s_delay_alu instid0(TRANS32_DEP_1) | instskip(NEXT) | instid1(SALU_CYCLE_3)
	s_mul_f32 s0, s0, 0x5f7ffffc
	s_mul_f32 s31, s0, 0x2f800000
	s_delay_alu instid0(SALU_CYCLE_3) | instskip(NEXT) | instid1(SALU_CYCLE_3)
	s_trunc_f32 s31, s31
	s_fmamk_f32 s0, s31, 0xcf800000, s0
	s_cvt_u32_f32 s63, s31
	s_delay_alu instid0(SALU_CYCLE_2) | instskip(NEXT) | instid1(SALU_CYCLE_3)
	s_cvt_u32_f32 s62, s0
	s_mul_u64 s[66:67], s[64:65], s[62:63]
	s_delay_alu instid0(SALU_CYCLE_1)
	s_mul_hi_u32 s69, s62, s67
	s_mul_i32 s68, s62, s67
	s_mul_hi_u32 s0, s62, s66
	s_mul_i32 s61, s63, s66
	s_add_nc_u64 s[68:69], s[0:1], s[68:69]
	s_mul_hi_u32 s31, s63, s66
	s_mul_hi_u32 s70, s63, s67
	s_add_co_u32 s0, s68, s61
	s_add_co_ci_u32 s0, s69, s31
	s_mul_i32 s66, s63, s67
	s_add_co_ci_u32 s67, s70, 0
	s_delay_alu instid0(SALU_CYCLE_1) | instskip(NEXT) | instid1(SALU_CYCLE_1)
	s_add_nc_u64 s[66:67], s[0:1], s[66:67]
	s_add_co_u32 s62, s62, s66
	s_cselect_b32 s0, -1, 0
	s_delay_alu instid0(SALU_CYCLE_1) | instskip(SKIP_1) | instid1(SALU_CYCLE_1)
	s_cmp_lg_u32 s0, 0
	s_add_co_ci_u32 s63, s63, s67
	s_mul_u64 s[64:65], s[64:65], s[62:63]
	s_delay_alu instid0(SALU_CYCLE_1)
	s_mul_hi_u32 s67, s62, s65
	s_mul_i32 s66, s62, s65
	s_mul_hi_u32 s0, s62, s64
	s_mul_i32 s61, s63, s64
	s_add_nc_u64 s[66:67], s[0:1], s[66:67]
	s_mul_hi_u32 s31, s63, s64
	s_mul_hi_u32 s68, s63, s65
	s_add_co_u32 s0, s66, s61
	s_add_co_ci_u32 s0, s67, s31
	s_mul_i32 s64, s63, s65
	s_add_co_ci_u32 s65, s68, 0
	s_delay_alu instid0(SALU_CYCLE_1) | instskip(NEXT) | instid1(SALU_CYCLE_1)
	s_add_nc_u64 s[64:65], s[0:1], s[64:65]
	s_add_co_u32 s62, s62, s64
	s_cselect_b32 s0, -1, 0
	v_mul_hi_u32 v38, v30, s62
	s_cmp_lg_u32 s0, 0
	s_add_co_ci_u32 s0, s63, s65
	s_and_b64 s[64:65], s[62:63], s[24:25]
	v_mul_u64_e32 v[32:33], s[0:1], v[30:31]
	v_mul_u64_e32 v[26:27], s[64:65], v[34:35]
	;; [unrolled: 1-line block ×3, first 2 shown]
	s_delay_alu instid0(VALU_DEP_3) | instskip(NEXT) | instid1(VALU_DEP_1)
	v_add_nc_u64_e32 v[32:33], v[38:39], v[32:33]
	v_add_co_u32 v1, vcc_lo, v32, v26
	s_delay_alu instid0(VALU_DEP_2) | instskip(NEXT) | instid1(VALU_DEP_4)
	v_add_co_ci_u32_e32 v38, vcc_lo, v33, v27, vcc_lo
	v_add_co_ci_u32_e32 v37, vcc_lo, 0, v37, vcc_lo
	s_delay_alu instid0(VALU_DEP_1) | instskip(NEXT) | instid1(VALU_DEP_1)
	v_add_nc_u64_e32 v[26:27], v[38:39], v[36:37]
	v_mul_u64_e32 v[32:33], s[34:35], v[26:27]
	s_delay_alu instid0(VALU_DEP_1) | instskip(SKIP_1) | instid1(VALU_DEP_3)
	v_sub_co_u32 v3, vcc_lo, v30, v32
	v_add_nc_u64_e32 v[30:31], 2, v[26:27]
	v_sub_nc_u32_e32 v1, v34, v33
	v_sub_co_ci_u32_e64 v11, null, v34, v33, vcc_lo
	s_delay_alu instid0(VALU_DEP_4) | instskip(NEXT) | instid1(VALU_DEP_3)
	v_sub_co_u32 v7, s0, v3, s34
	v_subrev_co_ci_u32_e64 v1, null, s35, v1, vcc_lo
	v_add_nc_u64_e32 v[32:33], 1, v[26:27]
	s_delay_alu instid0(VALU_DEP_3) | instskip(NEXT) | instid1(VALU_DEP_3)
	v_cmp_le_u32_e32 vcc_lo, s34, v7
	v_subrev_co_ci_u32_e64 v1, null, 0, v1, s0
	v_cndmask_b32_e64 v7, 0, -1, vcc_lo
	s_delay_alu instid0(VALU_DEP_2)
	v_cmp_le_u32_e32 vcc_lo, s35, v1
	v_cndmask_b32_e64 v21, 0, -1, vcc_lo
	v_cmp_le_u32_e32 vcc_lo, s34, v3
	v_cndmask_b32_e64 v3, 0, -1, vcc_lo
	;; [unrolled: 2-line block ×3, first 2 shown]
	v_cmp_eq_u32_e32 vcc_lo, s35, v1
	v_cndmask_b32_e32 v1, v21, v7, vcc_lo
	v_cmp_eq_u32_e32 vcc_lo, s35, v11
	v_mov_b32_e32 v11, v10
	v_cndmask_b32_e32 v3, v22, v3, vcc_lo
	s_delay_alu instid0(VALU_DEP_4) | instskip(NEXT) | instid1(VALU_DEP_2)
	v_cmp_ne_u32_e32 vcc_lo, 0, v1
	v_cmp_ne_u32_e64 s0, 0, v3
	v_dual_cndmask_b32 v1, v33, v31, vcc_lo :: v_dual_cndmask_b32 v3, v32, v30, vcc_lo
	s_delay_alu instid0(VALU_DEP_1) | instskip(NEXT) | instid1(VALU_DEP_1)
	v_dual_cndmask_b32 v1, v27, v1, s0 :: v_dual_cndmask_b32 v3, v26, v3, s0
	v_xor_b32_e32 v27, v1, v10
	s_delay_alu instid0(VALU_DEP_2) | instskip(NEXT) | instid1(VALU_DEP_1)
	v_xor_b32_e32 v26, v3, v10
	v_sub_nc_u64_e32 v[10:11], v[26:27], v[10:11]
.LBB21_255:                             ;   in Loop: Header=BB21_253 Depth=1
	s_and_not1_saveexec_b32 s0, s60
	s_cbranch_execz .LBB21_252
; %bb.256:                              ;   in Loop: Header=BB21_253 Depth=1
	v_cvt_f32_u32_e32 v1, s28
	s_sub_co_i32 s30, 0, s28
	v_mov_b32_e32 v11, v6
	s_delay_alu instid0(VALU_DEP_2) | instskip(SKIP_1) | instid1(TRANS32_DEP_1)
	v_rcp_iflag_f32_e32 v1, v1
	v_nop
	v_mul_f32_e32 v1, 0x4f7ffffe, v1
	s_delay_alu instid0(VALU_DEP_1) | instskip(NEXT) | instid1(VALU_DEP_1)
	v_cvt_u32_f32_e32 v1, v1
	v_mul_lo_u32 v3, s30, v1
	s_delay_alu instid0(VALU_DEP_1) | instskip(NEXT) | instid1(VALU_DEP_1)
	v_mul_hi_u32 v3, v1, v3
	v_add_nc_u32_e32 v1, v1, v3
	s_delay_alu instid0(VALU_DEP_1) | instskip(NEXT) | instid1(VALU_DEP_1)
	v_mul_hi_u32 v1, v8, v1
	v_mul_lo_u32 v3, v1, s28
	s_delay_alu instid0(VALU_DEP_1) | instskip(NEXT) | instid1(VALU_DEP_1)
	v_sub_nc_u32_e32 v3, v8, v3
	v_subrev_nc_u32_e32 v10, s28, v3
	v_cmp_le_u32_e32 vcc_lo, s28, v3
	s_delay_alu instid0(VALU_DEP_2) | instskip(NEXT) | instid1(VALU_DEP_1)
	v_dual_add_nc_u32 v7, 1, v1 :: v_dual_cndmask_b32 v3, v3, v10, vcc_lo
	v_cndmask_b32_e32 v1, v1, v7, vcc_lo
	s_delay_alu instid0(VALU_DEP_2) | instskip(NEXT) | instid1(VALU_DEP_2)
	v_cmp_le_u32_e32 vcc_lo, s28, v3
	v_add_nc_u32_e32 v7, 1, v1
	s_delay_alu instid0(VALU_DEP_1)
	v_cndmask_b32_e32 v10, v1, v7, vcc_lo
	s_branch .LBB21_252
.LBB21_257:
	s_or_b32 s24, s19, exec_lo
	s_xor_b32 s13, exec_lo, -1
	s_trap 2
	s_branch .LBB21_221
.LBB21_258:
	s_or_b32 s33, s36, exec_lo
	s_trap 2
                                        ; implicit-def: $vgpr3
                                        ; implicit-def: $vgpr1
                                        ; implicit-def: $vgpr2
                                        ; implicit-def: $vgpr4
                                        ; implicit-def: $vgpr30
                                        ; implicit-def: $vgpr29
                                        ; implicit-def: $vgpr32
                                        ; implicit-def: $vgpr31
                                        ; implicit-def: $vgpr33
                                        ; implicit-def: $vgpr22
                                        ; implicit-def: $vgpr21
                                        ; implicit-def: $vgpr26
                                        ; implicit-def: $vgpr25
                                        ; implicit-def: $vgpr27
                                        ; implicit-def: $vgpr17
                                        ; implicit-def: $vgpr16
                                        ; implicit-def: $vgpr19
                                        ; implicit-def: $vgpr18
                                        ; implicit-def: $vgpr20
                                        ; implicit-def: $vgpr24
	s_or_saveexec_b32 s38, s0
	s_mov_b32 s0, 0
	s_xor_b32 exec_lo, exec_lo, s38
	s_cbranch_execnz .LBB21_204
	s_branch .LBB21_307
.LBB21_259:
	s_mov_b32 s13, -1
	s_mov_b32 s1, s58
	s_mov_b32 s0, exec_lo
	v_cmpx_gt_i32_e64 v0, v2
	s_cbranch_execz .LBB21_267
; %bb.260:
	s_delay_alu instid0(VALU_DEP_2) | instskip(SKIP_3) | instid1(VALU_DEP_1)
	v_lshlrev_b64_e32 v[4:5], 2, v[4:5]
	v_dual_ashrrev_i32 v3, 31, v2 :: v_dual_ashrrev_i32 v1, 31, v0
	s_mov_b32 s13, 0
	s_xor_b32 s24, s48, -1
                                        ; implicit-def: $sgpr1
                                        ; implicit-def: $sgpr26
                                        ; implicit-def: $sgpr25
	v_lshl_add_u64 v[2:3], v[2:3], 2, v[4:5]
	s_wait_kmcnt 0x0
	v_add_nc_u64_e32 v[4:5], s[20:21], v[4:5]
	s_delay_alu instid0(VALU_DEP_2) | instskip(NEXT) | instid1(VALU_DEP_2)
	v_add_nc_u64_e32 v[2:3], s[20:21], v[2:3]
	v_lshl_add_u64 v[0:1], v[0:1], 2, v[4:5]
	s_delay_alu instid0(VALU_DEP_2)
	v_add_nc_u64_e32 v[2:3], 4, v[2:3]
	s_branch .LBB21_262
.LBB21_261:                             ;   in Loop: Header=BB21_262 Depth=1
	s_or_b32 exec_lo, exec_lo, s27
	s_xor_b32 s27, s25, -1
	s_and_b32 s28, exec_lo, s26
	s_delay_alu instid0(SALU_CYCLE_1) | instskip(SKIP_2) | instid1(SALU_CYCLE_1)
	s_or_b32 s13, s28, s13
	s_and_not1_b32 s1, s1, exec_lo
	s_and_b32 s27, s27, exec_lo
	s_or_b32 s1, s1, s27
	s_and_not1_b32 exec_lo, exec_lo, s13
	s_cbranch_execz .LBB21_265
.LBB21_262:                             ; =>This Inner Loop Header: Depth=1
	s_or_b32 s25, s25, exec_lo
	s_or_b32 s26, s26, exec_lo
	s_mov_b32 s27, exec_lo
	s_delay_alu instid0(VALU_DEP_1)
	v_cmpx_lt_u64_e64 v[2:3], v[0:1]
	s_cbranch_execz .LBB21_261
; %bb.263:                              ;   in Loop: Header=BB21_262 Depth=1
	global_load_b64 v[4:5], v[2:3], off offset:-4
	s_wait_xcnt 0x0
	v_add_nc_u64_e32 v[2:3], 4, v[2:3]
	s_and_not1_b32 s26, s26, exec_lo
	s_and_not1_b32 s25, s25, exec_lo
	s_wait_loadcnt 0x0
	v_cmp_ge_i32_e32 vcc_lo, v4, v5
	s_or_b32 s28, s24, vcc_lo
	s_delay_alu instid0(SALU_CYCLE_1) | instskip(NEXT) | instid1(SALU_CYCLE_1)
	s_and_b32 s28, s28, exec_lo
	s_or_b32 s26, s26, s28
	s_branch .LBB21_261
.LBB21_264:
	s_or_b32 s39, s33, exec_lo
	s_trap 2
                                        ; implicit-def: $vgpr23
                                        ; implicit-def: $vgpr3
                                        ; implicit-def: $vgpr1
                                        ; implicit-def: $vgpr4
                                        ; implicit-def: $vgpr30
                                        ; implicit-def: $vgpr29
                                        ; implicit-def: $vgpr32
                                        ; implicit-def: $vgpr31
                                        ; implicit-def: $vgpr33
                                        ; implicit-def: $vgpr22
                                        ; implicit-def: $vgpr21
                                        ; implicit-def: $vgpr26
                                        ; implicit-def: $vgpr25
                                        ; implicit-def: $vgpr27
                                        ; implicit-def: $vgpr17
                                        ; implicit-def: $vgpr16
                                        ; implicit-def: $vgpr19
                                        ; implicit-def: $vgpr18
                                        ; implicit-def: $vgpr20
                                        ; implicit-def: $vgpr24
	s_or_saveexec_b32 s40, s0
	s_mov_b32 s0, 0
	s_xor_b32 exec_lo, exec_lo, s40
	s_cbranch_execnz .LBB21_206
	s_branch .LBB21_306
.LBB21_265:
	s_or_b32 exec_lo, exec_lo, s13
	s_mov_b32 s13, -1
	s_mov_b32 s24, s58
	s_and_saveexec_b32 s25, s1
	s_delay_alu instid0(SALU_CYCLE_1)
	s_xor_b32 s1, exec_lo, s25
	s_cbranch_execnz .LBB21_310
.LBB21_266:
	s_or_b32 exec_lo, exec_lo, s1
	s_delay_alu instid0(SALU_CYCLE_1)
	s_and_not1_b32 s1, s58, exec_lo
	s_and_b32 s24, s24, exec_lo
	s_or_not1_b32 s13, s13, exec_lo
	s_or_b32 s1, s1, s24
.LBB21_267:
	s_or_b32 exec_lo, exec_lo, s0
	s_mov_b32 s0, 0
	s_and_saveexec_b32 s24, s13
	s_cbranch_execz .LBB21_296
; %bb.268:
	global_load_b32 v0, v20, s[6:7]
	s_mov_b32 s25, s1
	s_mov_b32 s0, exec_lo
	s_wait_loadcnt 0x0
	v_cmpx_ne_u32_e64 v0, v24
	s_xor_b32 s0, exec_lo, s0
	s_cbranch_execnz .LBB21_316
; %bb.269:
	s_or_saveexec_b32 s26, s0
	s_mov_b32 s0, 0
	s_xor_b32 exec_lo, exec_lo, s26
	s_cbranch_execz .LBB21_295
.LBB21_270:
	global_load_b32 v0, v19, s[16:17]
	s_wait_xcnt 0x0
	s_mov_b32 s16, s25
	s_mov_b32 s0, exec_lo
	s_wait_loadcnt 0x0
	v_cmpx_ne_u32_e64 v0, v23
	s_xor_b32 s0, exec_lo, s0
	s_cbranch_execnz .LBB21_317
; %bb.271:
	s_or_saveexec_b32 s17, s0
	s_mov_b32 s0, 0
	s_xor_b32 exec_lo, exec_lo, s17
	s_cbranch_execz .LBB21_294
.LBB21_272:
	global_load_b32 v2, v18, s[8:9]
	global_load_b32 v0, v17, s[10:11]
	s_wait_loadcnt 0x0
	v_sub_nc_u32_e32 v1, v0, v2
	s_delay_alu instid0(VALU_DEP_1)
	v_cmp_gt_i32_e32 vcc_lo, v24, v1
	v_cmp_lt_i32_e64 s0, s18, v1
	s_mov_b32 s18, s16
	s_or_b32 s0, vcc_lo, s0
	s_wait_xcnt 0x0
	s_and_saveexec_b32 s6, s0
	s_delay_alu instid0(SALU_CYCLE_1)
	s_xor_b32 s0, exec_lo, s6
	s_cbranch_execnz .LBB21_318
; %bb.273:
	s_or_saveexec_b32 s27, s0
	s_mov_b32 s0, 0
	s_xor_b32 exec_lo, exec_lo, s27
	s_cbranch_execz .LBB21_293
.LBB21_274:
	v_cmp_ne_u32_e32 vcc_lo, 1, v28
	v_mov_b64_e32 v[4:5], 0
	s_cbranch_vccnz .LBB21_284
; %bb.275:
	global_load_b32 v4, v16, s[22:23]
	s_mov_b32 s13, 0
	s_mov_b64 s[6:7], 0xffffffff
	s_lshl_b64 s[8:9], s[12:13], 3
	v_mov_b32_e32 v6, 0
	s_add_nc_u64 s[2:3], s[2:3], s[8:9]
	s_delay_alu instid0(SALU_CYCLE_1) | instskip(SKIP_2) | instid1(VALU_DEP_1)
	s_add_nc_u64 s[2:3], s[2:3], 0x298
	s_wait_loadcnt 0x0
	v_ashrrev_i32_e32 v5, 31, v4
	v_mul_u64_e32 v[8:9], s[14:15], v[4:5]
	v_mov_b64_e32 v[4:5], 0
	s_branch .LBB21_277
.LBB21_276:                             ;   in Loop: Header=BB21_277 Depth=1
	s_or_b32 exec_lo, exec_lo, s0
	s_delay_alu instid0(VALU_DEP_1)
	v_mul_u64_e32 v[16:17], s[8:9], v[10:11]
	s_load_b64 s[8:9], s[2:3], 0x40
	s_add_co_i32 s42, s42, -1
	s_wait_xcnt 0x0
	s_add_nc_u64 s[2:3], s[2:3], -8
	s_cmp_eq_u32 s42, 0
	s_delay_alu instid0(VALU_DEP_1) | instskip(SKIP_1) | instid1(VALU_DEP_1)
	v_sub_nc_u64_e32 v[8:9], v[8:9], v[16:17]
	s_wait_kmcnt 0x0
	v_mad_nc_u64_u32 v[4:5], v8, s8, v[4:5]
	s_delay_alu instid0(VALU_DEP_1) | instskip(NEXT) | instid1(VALU_DEP_1)
	v_mad_u32 v1, v9, s8, v5
	v_mad_u32 v5, v8, s9, v1
	v_mov_b64_e32 v[8:9], v[10:11]
	s_cbranch_scc1 .LBB21_284
.LBB21_277:                             ; =>This Inner Loop Header: Depth=1
	s_load_b64 s[8:9], s[2:3], 0x0
                                        ; implicit-def: $vgpr10_vgpr11
	s_mov_b32 s0, exec_lo
	s_wait_kmcnt 0x0
	s_delay_alu instid0(VALU_DEP_1) | instskip(NEXT) | instid1(VALU_DEP_1)
	v_or_b32_e32 v7, s9, v9
	v_cmpx_ne_u64_e32 0, v[6:7]
	s_xor_b32 s22, exec_lo, s0
	s_cbranch_execz .LBB21_279
; %bb.278:                              ;   in Loop: Header=BB21_277 Depth=1
	s_ashr_i32 s10, s9, 31
	v_dual_mov_b32 v19, v6 :: v_dual_ashrrev_i32 v10, 31, v9
	s_mov_b32 s11, s10
	v_mov_b32_e32 v27, v6
	s_add_nc_u64 s[14:15], s[8:9], s[10:11]
	s_delay_alu instid0(VALU_DEP_2) | instskip(SKIP_1) | instid1(SALU_CYCLE_1)
	v_mov_b32_e32 v11, v10
	s_xor_b64 s[14:15], s[14:15], s[10:11]
	s_cvt_f32_u32 s0, s14
	s_cvt_f32_u32 s11, s15
	s_sub_nc_u64 s[30:31], 0, s[14:15]
	v_add_nc_u64_e32 v[16:17], v[8:9], v[10:11]
	v_mov_b32_e32 v23, v6
	s_fmamk_f32 s0, s11, 0x4f800000, s0
	s_delay_alu instid0(SALU_CYCLE_3) | instskip(NEXT) | instid1(VALU_DEP_2)
	v_s_rcp_f32 s0, s0
	v_xor_b32_e32 v18, v16, v10
	s_delay_alu instid0(VALU_DEP_3) | instskip(NEXT) | instid1(TRANS32_DEP_1)
	v_xor_b32_e32 v22, v17, v10
	s_mul_f32 s0, s0, 0x5f7ffffc
	s_delay_alu instid0(SALU_CYCLE_3) | instskip(NEXT) | instid1(SALU_CYCLE_3)
	s_mul_f32 s11, s0, 0x2f800000
	s_trunc_f32 s11, s11
	s_delay_alu instid0(SALU_CYCLE_3) | instskip(SKIP_1) | instid1(SALU_CYCLE_2)
	s_fmamk_f32 s0, s11, 0xcf800000, s0
	s_cvt_u32_f32 s29, s11
	s_cvt_u32_f32 s28, s0
	s_delay_alu instid0(SALU_CYCLE_3) | instskip(NEXT) | instid1(SALU_CYCLE_1)
	s_mul_u64 s[34:35], s[30:31], s[28:29]
	s_mul_hi_u32 s61, s28, s35
	s_mul_i32 s60, s28, s35
	s_mul_hi_u32 s12, s28, s34
	s_mul_i32 s11, s29, s34
	s_add_nc_u64 s[60:61], s[12:13], s[60:61]
	s_mul_hi_u32 s0, s29, s34
	s_mul_hi_u32 s23, s29, s35
	s_add_co_u32 s11, s60, s11
	s_add_co_ci_u32 s12, s61, s0
	s_mul_i32 s34, s29, s35
	s_add_co_ci_u32 s35, s23, 0
	s_delay_alu instid0(SALU_CYCLE_1) | instskip(NEXT) | instid1(SALU_CYCLE_1)
	s_add_nc_u64 s[34:35], s[12:13], s[34:35]
	s_add_co_u32 s28, s28, s34
	s_cselect_b32 s0, -1, 0
	s_delay_alu instid0(SALU_CYCLE_1) | instskip(SKIP_1) | instid1(SALU_CYCLE_1)
	s_cmp_lg_u32 s0, 0
	s_add_co_ci_u32 s29, s29, s35
	s_mul_u64 s[30:31], s[30:31], s[28:29]
	s_delay_alu instid0(SALU_CYCLE_1)
	s_mul_hi_u32 s35, s28, s31
	s_mul_i32 s34, s28, s31
	s_mul_hi_u32 s12, s28, s30
	s_mul_i32 s11, s29, s30
	s_add_nc_u64 s[34:35], s[12:13], s[34:35]
	s_mul_hi_u32 s0, s29, s30
	s_mul_hi_u32 s23, s29, s31
	s_add_co_u32 s11, s34, s11
	s_add_co_ci_u32 s12, s35, s0
	s_mul_i32 s30, s29, s31
	s_add_co_ci_u32 s31, s23, 0
	s_delay_alu instid0(SALU_CYCLE_1) | instskip(NEXT) | instid1(SALU_CYCLE_1)
	s_add_nc_u64 s[30:31], s[12:13], s[30:31]
	s_add_co_u32 s0, s28, s30
	s_cselect_b32 s11, -1, 0
	v_mul_hi_u32 v26, v18, s0
	s_cmp_lg_u32 s11, 0
	s_add_co_ci_u32 s12, s29, s31
	s_and_b64 s[28:29], s[0:1], s[6:7]
	v_mul_u64_e32 v[20:21], s[12:13], v[18:19]
	v_mul_u64_e32 v[16:17], s[28:29], v[22:23]
	;; [unrolled: 1-line block ×3, first 2 shown]
	s_delay_alu instid0(VALU_DEP_3) | instskip(NEXT) | instid1(VALU_DEP_1)
	v_add_nc_u64_e32 v[20:21], v[26:27], v[20:21]
	v_add_co_u32 v1, vcc_lo, v20, v16
	s_delay_alu instid0(VALU_DEP_2) | instskip(NEXT) | instid1(VALU_DEP_4)
	v_add_co_ci_u32_e32 v26, vcc_lo, v21, v17, vcc_lo
	v_add_co_ci_u32_e32 v25, vcc_lo, 0, v25, vcc_lo
	s_delay_alu instid0(VALU_DEP_1) | instskip(NEXT) | instid1(VALU_DEP_1)
	v_add_nc_u64_e32 v[16:17], v[26:27], v[24:25]
	v_mul_u64_e32 v[20:21], s[14:15], v[16:17]
	s_delay_alu instid0(VALU_DEP_1) | instskip(NEXT) | instid1(VALU_DEP_2)
	v_sub_nc_u32_e32 v1, v22, v21
	v_sub_co_u32 v3, vcc_lo, v18, v20
	s_delay_alu instid0(VALU_DEP_1) | instskip(NEXT) | instid1(VALU_DEP_3)
	v_sub_co_ci_u32_e64 v11, null, v22, v21, vcc_lo
	v_subrev_co_ci_u32_e64 v1, null, s15, v1, vcc_lo
	s_delay_alu instid0(VALU_DEP_3) | instskip(SKIP_1) | instid1(VALU_DEP_3)
	v_sub_co_u32 v7, s0, v3, s14
	v_add_nc_u64_e32 v[20:21], 1, v[16:17]
	v_subrev_co_ci_u32_e64 v1, null, 0, v1, s0
	s_delay_alu instid0(VALU_DEP_3) | instskip(SKIP_1) | instid1(VALU_DEP_3)
	v_cmp_le_u32_e32 vcc_lo, s14, v7
	v_cndmask_b32_e64 v7, 0, -1, vcc_lo
	v_cmp_le_u32_e32 vcc_lo, s15, v1
	v_cndmask_b32_e64 v18, 0, -1, vcc_lo
	;; [unrolled: 2-line block ×4, first 2 shown]
	v_cmp_eq_u32_e32 vcc_lo, s15, v1
	v_cndmask_b32_e32 v1, v18, v7, vcc_lo
	v_cmp_eq_u32_e32 vcc_lo, s15, v11
	v_add_nc_u64_e32 v[18:19], 2, v[16:17]
	v_cndmask_b32_e32 v3, v22, v3, vcc_lo
	s_delay_alu instid0(VALU_DEP_4) | instskip(NEXT) | instid1(VALU_DEP_2)
	v_cmp_ne_u32_e32 vcc_lo, 0, v1
	v_cmp_ne_u32_e64 s0, 0, v3
	s_delay_alu instid0(VALU_DEP_4) | instskip(NEXT) | instid1(VALU_DEP_1)
	v_dual_cndmask_b32 v1, v21, v19, vcc_lo :: v_dual_cndmask_b32 v3, v20, v18, vcc_lo
	v_dual_cndmask_b32 v1, v17, v1, s0 :: v_dual_bitop2_b32 v10, s10, v10 bitop3:0x14
	s_delay_alu instid0(VALU_DEP_1) | instskip(NEXT) | instid1(VALU_DEP_2)
	v_dual_cndmask_b32 v3, v16, v3, s0 :: v_dual_mov_b32 v11, v10
	v_xor_b32_e32 v17, v1, v10
	s_delay_alu instid0(VALU_DEP_2) | instskip(NEXT) | instid1(VALU_DEP_1)
	v_xor_b32_e32 v16, v3, v10
	v_sub_nc_u64_e32 v[10:11], v[16:17], v[10:11]
.LBB21_279:                             ;   in Loop: Header=BB21_277 Depth=1
	s_and_not1_saveexec_b32 s0, s22
	s_cbranch_execz .LBB21_276
; %bb.280:                              ;   in Loop: Header=BB21_277 Depth=1
	v_cvt_f32_u32_e32 v1, s8
	s_sub_co_i32 s10, 0, s8
	v_mov_b32_e32 v11, v6
	s_delay_alu instid0(VALU_DEP_2) | instskip(SKIP_1) | instid1(TRANS32_DEP_1)
	v_rcp_iflag_f32_e32 v1, v1
	v_nop
	v_mul_f32_e32 v1, 0x4f7ffffe, v1
	s_delay_alu instid0(VALU_DEP_1) | instskip(NEXT) | instid1(VALU_DEP_1)
	v_cvt_u32_f32_e32 v1, v1
	v_mul_lo_u32 v3, s10, v1
	s_delay_alu instid0(VALU_DEP_1) | instskip(NEXT) | instid1(VALU_DEP_1)
	v_mul_hi_u32 v3, v1, v3
	v_add_nc_u32_e32 v1, v1, v3
	s_delay_alu instid0(VALU_DEP_1) | instskip(NEXT) | instid1(VALU_DEP_1)
	v_mul_hi_u32 v1, v8, v1
	v_mul_lo_u32 v3, v1, s8
	s_delay_alu instid0(VALU_DEP_1) | instskip(NEXT) | instid1(VALU_DEP_1)
	v_sub_nc_u32_e32 v3, v8, v3
	v_subrev_nc_u32_e32 v10, s8, v3
	v_cmp_le_u32_e32 vcc_lo, s8, v3
	s_delay_alu instid0(VALU_DEP_2) | instskip(NEXT) | instid1(VALU_DEP_1)
	v_dual_add_nc_u32 v7, 1, v1 :: v_dual_cndmask_b32 v3, v3, v10, vcc_lo
	v_cndmask_b32_e32 v1, v1, v7, vcc_lo
	s_delay_alu instid0(VALU_DEP_2) | instskip(NEXT) | instid1(VALU_DEP_2)
	v_cmp_le_u32_e32 vcc_lo, s8, v3
	v_add_nc_u32_e32 v7, 1, v1
	s_delay_alu instid0(VALU_DEP_1)
	v_cndmask_b32_e32 v10, v1, v7, vcc_lo
	s_branch .LBB21_276
.LBB21_281:
	s_or_b32 s24, s50, exec_lo
	s_xor_b32 s13, exec_lo, -1
	s_trap 2
	s_branch .LBB21_242
.LBB21_282:
	s_or_b32 s19, s39, exec_lo
	s_trap 2
                                        ; implicit-def: $vgpr2
                                        ; implicit-def: $vgpr0
                                        ; implicit-def: $vgpr23
                                        ; implicit-def: $vgpr1
                                        ; implicit-def: $vgpr30
                                        ; implicit-def: $vgpr29
                                        ; implicit-def: $vgpr32
                                        ; implicit-def: $vgpr31
                                        ; implicit-def: $vgpr33
                                        ; implicit-def: $vgpr22
                                        ; implicit-def: $vgpr21
                                        ; implicit-def: $vgpr26
                                        ; implicit-def: $vgpr25
                                        ; implicit-def: $vgpr27
                                        ; implicit-def: $vgpr17
                                        ; implicit-def: $vgpr16
                                        ; implicit-def: $vgpr19
                                        ; implicit-def: $vgpr18
                                        ; implicit-def: $vgpr20
                                        ; implicit-def: $vgpr24
	s_or_saveexec_b32 s41, s0
	s_mov_b32 s0, 0
	s_xor_b32 exec_lo, exec_lo, s41
	s_cbranch_execnz .LBB21_208
	s_branch .LBB21_305
.LBB21_283:
	s_or_b32 s45, s43, exec_lo
	s_trap 2
                                        ; implicit-def: $vgpr28
                                        ; implicit-def: $vgpr23
                                        ; implicit-def: $vgpr30
                                        ; implicit-def: $vgpr29
                                        ; implicit-def: $vgpr32
                                        ; implicit-def: $vgpr31
                                        ; implicit-def: $vgpr22
                                        ; implicit-def: $vgpr21
                                        ; implicit-def: $vgpr26
                                        ; implicit-def: $vgpr25
                                        ; implicit-def: $vgpr27
                                        ; implicit-def: $vgpr17
                                        ; implicit-def: $vgpr16
                                        ; implicit-def: $vgpr19
                                        ; implicit-def: $vgpr18
                                        ; implicit-def: $vgpr20
                                        ; implicit-def: $vgpr24
	s_or_saveexec_b32 s46, s0
	s_mov_b32 s0, 0
	s_xor_b32 exec_lo, exec_lo, s46
	s_cbranch_execnz .LBB21_225
	s_branch .LBB21_303
.LBB21_284:
	s_mov_b32 s2, -1
	s_mov_b32 s3, s18
	s_mov_b32 s0, exec_lo
	v_cmpx_gt_i32_e64 v0, v2
	s_cbranch_execz .LBB21_292
; %bb.285:
	s_delay_alu instid0(VALU_DEP_2) | instskip(SKIP_3) | instid1(VALU_DEP_1)
	v_lshlrev_b64_e32 v[4:5], 2, v[4:5]
	v_dual_ashrrev_i32 v3, 31, v2 :: v_dual_ashrrev_i32 v1, 31, v0
	s_mov_b32 s3, 0
	s_xor_b32 s6, s48, -1
                                        ; implicit-def: $sgpr2
                                        ; implicit-def: $sgpr8
                                        ; implicit-def: $sgpr7
	v_lshl_add_u64 v[2:3], v[2:3], 2, v[4:5]
	s_wait_kmcnt 0x0
	v_add_nc_u64_e32 v[4:5], s[20:21], v[4:5]
	s_delay_alu instid0(VALU_DEP_2) | instskip(NEXT) | instid1(VALU_DEP_2)
	v_add_nc_u64_e32 v[2:3], s[20:21], v[2:3]
	v_lshl_add_u64 v[0:1], v[0:1], 2, v[4:5]
	s_delay_alu instid0(VALU_DEP_2)
	v_add_nc_u64_e32 v[2:3], 4, v[2:3]
	s_branch .LBB21_287
.LBB21_286:                             ;   in Loop: Header=BB21_287 Depth=1
	s_or_b32 exec_lo, exec_lo, s9
	s_xor_b32 s9, s7, -1
	s_and_b32 s10, exec_lo, s8
	s_delay_alu instid0(SALU_CYCLE_1) | instskip(SKIP_2) | instid1(SALU_CYCLE_1)
	s_or_b32 s3, s10, s3
	s_and_not1_b32 s2, s2, exec_lo
	s_and_b32 s9, s9, exec_lo
	s_or_b32 s2, s2, s9
	s_and_not1_b32 exec_lo, exec_lo, s3
	s_cbranch_execz .LBB21_290
.LBB21_287:                             ; =>This Inner Loop Header: Depth=1
	s_or_b32 s7, s7, exec_lo
	s_or_b32 s8, s8, exec_lo
	s_mov_b32 s9, exec_lo
	s_delay_alu instid0(VALU_DEP_1)
	v_cmpx_lt_u64_e64 v[2:3], v[0:1]
	s_cbranch_execz .LBB21_286
; %bb.288:                              ;   in Loop: Header=BB21_287 Depth=1
	global_load_b64 v[4:5], v[2:3], off offset:-4
	s_wait_xcnt 0x0
	v_add_nc_u64_e32 v[2:3], 4, v[2:3]
	s_and_not1_b32 s8, s8, exec_lo
	s_and_not1_b32 s7, s7, exec_lo
	s_wait_loadcnt 0x0
	v_cmp_ge_i32_e32 vcc_lo, v4, v5
	s_or_b32 s10, s6, vcc_lo
	s_delay_alu instid0(SALU_CYCLE_1) | instskip(NEXT) | instid1(SALU_CYCLE_1)
	s_and_b32 s10, s10, exec_lo
	s_or_b32 s8, s8, s10
	s_branch .LBB21_286
.LBB21_289:
	s_or_b32 s47, s45, exec_lo
	s_trap 2
                                        ; implicit-def: $vgpr28
                                        ; implicit-def: $vgpr23
                                        ; implicit-def: $vgpr30
                                        ; implicit-def: $vgpr29
                                        ; implicit-def: $vgpr31
                                        ; implicit-def: $vgpr22
                                        ; implicit-def: $vgpr21
                                        ; implicit-def: $vgpr26
                                        ; implicit-def: $vgpr25
                                        ; implicit-def: $vgpr27
                                        ; implicit-def: $vgpr17
                                        ; implicit-def: $vgpr16
                                        ; implicit-def: $vgpr19
                                        ; implicit-def: $vgpr18
                                        ; implicit-def: $vgpr20
                                        ; implicit-def: $vgpr24
	s_or_saveexec_b32 s49, s0
	s_mov_b32 s0, 0
	s_xor_b32 exec_lo, exec_lo, s49
	s_cbranch_execnz .LBB21_227
	s_branch .LBB21_302
.LBB21_290:
	s_or_b32 exec_lo, exec_lo, s3
	s_mov_b32 s3, -1
	s_mov_b32 s6, s18
	s_and_saveexec_b32 s7, s2
	s_delay_alu instid0(SALU_CYCLE_1)
	s_xor_b32 s2, exec_lo, s7
	s_cbranch_execnz .LBB21_314
.LBB21_291:
	s_or_b32 exec_lo, exec_lo, s2
	s_delay_alu instid0(SALU_CYCLE_1)
	s_and_not1_b32 s7, s18, exec_lo
	s_and_b32 s6, s6, exec_lo
	s_or_not1_b32 s2, s3, exec_lo
	s_or_b32 s3, s7, s6
.LBB21_292:
	s_or_b32 exec_lo, exec_lo, s0
	s_delay_alu instid0(SALU_CYCLE_1)
	s_and_not1_b32 s6, s18, exec_lo
	s_and_b32 s3, s3, exec_lo
	s_and_b32 s0, s2, exec_lo
	s_or_b32 s18, s6, s3
.LBB21_293:
	s_or_b32 exec_lo, exec_lo, s27
	s_delay_alu instid0(SALU_CYCLE_1)
	s_and_not1_b32 s2, s16, exec_lo
	s_and_b32 s3, s18, exec_lo
	s_and_b32 s0, s0, exec_lo
	s_or_b32 s16, s2, s3
.LBB21_294:
	s_or_b32 exec_lo, exec_lo, s17
	s_delay_alu instid0(SALU_CYCLE_1)
	s_and_not1_b32 s2, s25, exec_lo
	s_and_b32 s3, s16, exec_lo
	s_and_b32 s0, s0, exec_lo
	s_or_b32 s25, s2, s3
.LBB21_295:
	s_or_b32 exec_lo, exec_lo, s26
	s_delay_alu instid0(SALU_CYCLE_1)
	s_and_not1_b32 s1, s1, exec_lo
	s_and_b32 s2, s25, exec_lo
	s_and_b32 s0, s0, exec_lo
	s_or_b32 s1, s1, s2
.LBB21_296:
	s_or_b32 exec_lo, exec_lo, s24
	s_delay_alu instid0(SALU_CYCLE_1)
	s_and_not1_b32 s2, s58, exec_lo
	s_and_b32 s1, s1, exec_lo
	s_and_b32 s0, s0, exec_lo
	s_or_b32 s58, s2, s1
.LBB21_297:
	s_or_b32 exec_lo, exec_lo, s59
	s_delay_alu instid0(SALU_CYCLE_1)
	s_and_not1_b32 s1, s56, exec_lo
	s_and_b32 s2, s58, exec_lo
	s_and_b32 s0, s0, exec_lo
	s_or_b32 s56, s1, s2
.LBB21_298:
	s_or_b32 exec_lo, exec_lo, s57
	s_delay_alu instid0(SALU_CYCLE_1)
	s_and_not1_b32 s1, s54, exec_lo
	s_and_b32 s2, s56, exec_lo
	s_and_b32 s0, s0, exec_lo
	s_or_b32 s54, s1, s2
.LBB21_299:
	s_or_b32 exec_lo, exec_lo, s55
	s_delay_alu instid0(SALU_CYCLE_1)
	s_and_not1_b32 s1, s52, exec_lo
	s_and_b32 s2, s54, exec_lo
	s_and_b32 s0, s0, exec_lo
	s_or_b32 s52, s1, s2
.LBB21_300:
	s_or_b32 exec_lo, exec_lo, s53
	s_delay_alu instid0(SALU_CYCLE_1)
	s_and_not1_b32 s1, s50, exec_lo
	s_and_b32 s2, s52, exec_lo
	s_and_b32 s0, s0, exec_lo
	s_or_b32 s50, s1, s2
.LBB21_301:
	s_or_b32 exec_lo, exec_lo, s51
	s_delay_alu instid0(SALU_CYCLE_1)
	s_and_not1_b32 s1, s47, exec_lo
	s_and_b32 s2, s50, exec_lo
	s_and_b32 s0, s0, exec_lo
	s_or_b32 s47, s1, s2
.LBB21_302:
	s_or_b32 exec_lo, exec_lo, s49
	s_delay_alu instid0(SALU_CYCLE_1)
	s_and_not1_b32 s1, s45, exec_lo
	s_and_b32 s2, s47, exec_lo
	s_and_b32 s0, s0, exec_lo
	s_or_b32 s45, s1, s2
.LBB21_303:
	s_or_b32 exec_lo, exec_lo, s46
	s_delay_alu instid0(SALU_CYCLE_1)
	s_and_not1_b32 s1, s43, exec_lo
	s_and_b32 s2, s45, exec_lo
	s_and_b32 s0, s0, exec_lo
	s_or_b32 s43, s1, s2
.LBB21_304:
	s_or_b32 exec_lo, exec_lo, s44
	s_delay_alu instid0(SALU_CYCLE_1)
	s_and_not1_b32 s1, s19, exec_lo
	s_wait_xcnt 0x0
	s_and_b32 s2, s43, exec_lo
	s_and_b32 s0, s0, exec_lo
	s_or_b32 s19, s1, s2
.LBB21_305:
	s_or_b32 exec_lo, exec_lo, s41
	s_delay_alu instid0(SALU_CYCLE_1)
	s_and_not1_b32 s1, s39, exec_lo
	s_and_b32 s2, s19, exec_lo
	s_and_b32 s0, s0, exec_lo
	s_or_b32 s39, s1, s2
.LBB21_306:
	s_or_b32 exec_lo, exec_lo, s40
	s_delay_alu instid0(SALU_CYCLE_1)
	s_and_not1_b32 s1, s33, exec_lo
	s_and_b32 s2, s39, exec_lo
	s_and_b32 s0, s0, exec_lo
	s_or_b32 s33, s1, s2
.LBB21_307:
	s_or_b32 exec_lo, exec_lo, s38
	s_delay_alu instid0(SALU_CYCLE_1)
	s_and_not1_b32 s1, s36, exec_lo
	s_and_b32 s2, s33, exec_lo
	s_and_b32 s61, s0, exec_lo
	s_or_b32 s36, s1, s2
	s_or_b32 exec_lo, exec_lo, s37
	s_and_saveexec_b32 s0, s36
	s_cbranch_execnz .LBB21_145
.LBB21_308:
	s_or_b32 exec_lo, exec_lo, s0
	s_and_saveexec_b32 s0, s61
	s_cbranch_execz .LBB21_146
.LBB21_309:
	v_mov_b32_e32 v0, 0
	s_clause 0x3
	global_store_b32 v12, v0, s[4:5]
	global_store_b32 v13, v0, s[4:5]
	;; [unrolled: 1-line block ×4, first 2 shown]
	s_endpgm
.LBB21_310:
	s_or_b32 s24, s58, exec_lo
	s_xor_b32 s13, exec_lo, -1
	s_trap 2
	s_branch .LBB21_266
.LBB21_311:
	s_or_b32 s50, s47, exec_lo
	s_trap 2
                                        ; implicit-def: $vgpr2
                                        ; implicit-def: $vgpr0
                                        ; implicit-def: $vgpr28
                                        ; implicit-def: $vgpr23
                                        ; implicit-def: $vgpr29
                                        ; implicit-def: $vgpr22
                                        ; implicit-def: $vgpr21
                                        ; implicit-def: $vgpr26
                                        ; implicit-def: $vgpr25
                                        ; implicit-def: $vgpr27
                                        ; implicit-def: $vgpr17
                                        ; implicit-def: $vgpr16
                                        ; implicit-def: $vgpr19
                                        ; implicit-def: $vgpr18
                                        ; implicit-def: $vgpr20
                                        ; implicit-def: $vgpr24
	s_or_saveexec_b32 s51, s0
	s_mov_b32 s0, 0
	s_xor_b32 exec_lo, exec_lo, s51
	s_cbranch_execnz .LBB21_229
	s_branch .LBB21_301
.LBB21_312:
	s_or_b32 s54, s52, exec_lo
	s_trap 2
                                        ; implicit-def: $vgpr28
                                        ; implicit-def: $vgpr23
                                        ; implicit-def: $vgpr22
                                        ; implicit-def: $vgpr21
                                        ; implicit-def: $vgpr26
                                        ; implicit-def: $vgpr25
                                        ; implicit-def: $vgpr17
                                        ; implicit-def: $vgpr16
                                        ; implicit-def: $vgpr19
                                        ; implicit-def: $vgpr18
                                        ; implicit-def: $vgpr20
                                        ; implicit-def: $vgpr24
	s_or_saveexec_b32 s55, s0
	s_mov_b32 s0, 0
	s_xor_b32 exec_lo, exec_lo, s55
	s_cbranch_execnz .LBB21_246
	s_branch .LBB21_299
.LBB21_313:
	s_or_b32 s56, s54, exec_lo
	s_trap 2
                                        ; implicit-def: $vgpr28
                                        ; implicit-def: $vgpr23
                                        ; implicit-def: $vgpr22
                                        ; implicit-def: $vgpr21
                                        ; implicit-def: $vgpr25
                                        ; implicit-def: $vgpr17
                                        ; implicit-def: $vgpr16
                                        ; implicit-def: $vgpr19
                                        ; implicit-def: $vgpr18
                                        ; implicit-def: $vgpr20
                                        ; implicit-def: $vgpr24
	s_or_saveexec_b32 s57, s0
	s_mov_b32 s0, 0
	s_xor_b32 exec_lo, exec_lo, s57
	s_cbranch_execnz .LBB21_248
	s_branch .LBB21_298
.LBB21_314:
	s_xor_b32 s3, exec_lo, -1
	s_or_b32 s6, s18, exec_lo
	s_trap 2
	s_branch .LBB21_291
.LBB21_315:
	s_or_b32 s58, s56, exec_lo
	s_trap 2
                                        ; implicit-def: $vgpr2
                                        ; implicit-def: $vgpr0
                                        ; implicit-def: $vgpr28
                                        ; implicit-def: $vgpr23
                                        ; implicit-def: $vgpr21
                                        ; implicit-def: $vgpr17
                                        ; implicit-def: $vgpr16
                                        ; implicit-def: $vgpr19
                                        ; implicit-def: $vgpr18
                                        ; implicit-def: $vgpr20
                                        ; implicit-def: $vgpr24
	s_or_saveexec_b32 s59, s0
	s_mov_b32 s0, 0
	s_xor_b32 exec_lo, exec_lo, s59
	s_cbranch_execnz .LBB21_250
	s_branch .LBB21_297
.LBB21_316:
	s_or_b32 s25, s1, exec_lo
	s_trap 2
                                        ; implicit-def: $vgpr19
                                        ; implicit-def: $vgpr23
                                        ; implicit-def: $vgpr18
                                        ; implicit-def: $vgpr17
                                        ; implicit-def: $vgpr24
                                        ; implicit-def: $vgpr28
                                        ; implicit-def: $vgpr16
	s_or_saveexec_b32 s26, s0
	s_mov_b32 s0, 0
	s_xor_b32 exec_lo, exec_lo, s26
	s_cbranch_execnz .LBB21_270
	s_branch .LBB21_295
.LBB21_317:
	s_or_b32 s16, s25, exec_lo
	s_trap 2
                                        ; implicit-def: $vgpr18
                                        ; implicit-def: $vgpr17
                                        ; implicit-def: $vgpr24
                                        ; implicit-def: $vgpr28
                                        ; implicit-def: $vgpr16
	s_or_saveexec_b32 s17, s0
	s_mov_b32 s0, 0
	s_xor_b32 exec_lo, exec_lo, s17
	s_cbranch_execnz .LBB21_272
	s_branch .LBB21_294
.LBB21_318:
	s_or_b32 s18, s16, exec_lo
	s_trap 2
                                        ; implicit-def: $vgpr0
                                        ; implicit-def: $vgpr2
                                        ; implicit-def: $vgpr28
                                        ; implicit-def: $vgpr16
	s_or_saveexec_b32 s27, s0
	s_mov_b32 s0, 0
	s_xor_b32 exec_lo, exec_lo, s27
	s_cbranch_execnz .LBB21_274
	s_branch .LBB21_293
	.section	.rodata,"a",@progbits
	.p2align	6, 0x0
	.amdhsa_kernel _ZN2at6native32elementwise_kernel_manual_unrollILi128ELi4EZNS0_22gpu_kernel_impl_nocastIZZZNS0_12_GLOBAL__N_142_validate_compressed_sparse_indices_kernelILNS3_8CDimNameE0ENS3_18CUDAKernelLauncherENS3_14EmptyVecKernelENS3_8DummyVecELm8EEEvRKNS_6TensorESB_lllENKUlvE1_clEvENKUlvE_clEvEUliiiiiE_EEvRNS_18TensorIteratorBaseERKT_EUlibE_EEviT1_
		.amdhsa_group_segment_fixed_size 0
		.amdhsa_private_segment_fixed_size 0
		.amdhsa_kernarg_size 808
		.amdhsa_user_sgpr_count 2
		.amdhsa_user_sgpr_dispatch_ptr 0
		.amdhsa_user_sgpr_queue_ptr 0
		.amdhsa_user_sgpr_kernarg_segment_ptr 1
		.amdhsa_user_sgpr_dispatch_id 0
		.amdhsa_user_sgpr_kernarg_preload_length 0
		.amdhsa_user_sgpr_kernarg_preload_offset 0
		.amdhsa_user_sgpr_private_segment_size 0
		.amdhsa_wavefront_size32 1
		.amdhsa_uses_dynamic_stack 0
		.amdhsa_enable_private_segment 0
		.amdhsa_system_sgpr_workgroup_id_x 1
		.amdhsa_system_sgpr_workgroup_id_y 0
		.amdhsa_system_sgpr_workgroup_id_z 0
		.amdhsa_system_sgpr_workgroup_info 0
		.amdhsa_system_vgpr_workitem_id 0
		.amdhsa_next_free_vgpr 46
		.amdhsa_next_free_sgpr 100
		.amdhsa_named_barrier_count 0
		.amdhsa_reserve_vcc 1
		.amdhsa_float_round_mode_32 0
		.amdhsa_float_round_mode_16_64 0
		.amdhsa_float_denorm_mode_32 3
		.amdhsa_float_denorm_mode_16_64 3
		.amdhsa_fp16_overflow 0
		.amdhsa_memory_ordered 1
		.amdhsa_forward_progress 1
		.amdhsa_inst_pref_size 154
		.amdhsa_round_robin_scheduling 0
		.amdhsa_exception_fp_ieee_invalid_op 0
		.amdhsa_exception_fp_denorm_src 0
		.amdhsa_exception_fp_ieee_div_zero 0
		.amdhsa_exception_fp_ieee_overflow 0
		.amdhsa_exception_fp_ieee_underflow 0
		.amdhsa_exception_fp_ieee_inexact 0
		.amdhsa_exception_int_div_zero 0
	.end_amdhsa_kernel
	.section	.text._ZN2at6native32elementwise_kernel_manual_unrollILi128ELi4EZNS0_22gpu_kernel_impl_nocastIZZZNS0_12_GLOBAL__N_142_validate_compressed_sparse_indices_kernelILNS3_8CDimNameE0ENS3_18CUDAKernelLauncherENS3_14EmptyVecKernelENS3_8DummyVecELm8EEEvRKNS_6TensorESB_lllENKUlvE1_clEvENKUlvE_clEvEUliiiiiE_EEvRNS_18TensorIteratorBaseERKT_EUlibE_EEviT1_,"axG",@progbits,_ZN2at6native32elementwise_kernel_manual_unrollILi128ELi4EZNS0_22gpu_kernel_impl_nocastIZZZNS0_12_GLOBAL__N_142_validate_compressed_sparse_indices_kernelILNS3_8CDimNameE0ENS3_18CUDAKernelLauncherENS3_14EmptyVecKernelENS3_8DummyVecELm8EEEvRKNS_6TensorESB_lllENKUlvE1_clEvENKUlvE_clEvEUliiiiiE_EEvRNS_18TensorIteratorBaseERKT_EUlibE_EEviT1_,comdat
.Lfunc_end21:
	.size	_ZN2at6native32elementwise_kernel_manual_unrollILi128ELi4EZNS0_22gpu_kernel_impl_nocastIZZZNS0_12_GLOBAL__N_142_validate_compressed_sparse_indices_kernelILNS3_8CDimNameE0ENS3_18CUDAKernelLauncherENS3_14EmptyVecKernelENS3_8DummyVecELm8EEEvRKNS_6TensorESB_lllENKUlvE1_clEvENKUlvE_clEvEUliiiiiE_EEvRNS_18TensorIteratorBaseERKT_EUlibE_EEviT1_, .Lfunc_end21-_ZN2at6native32elementwise_kernel_manual_unrollILi128ELi4EZNS0_22gpu_kernel_impl_nocastIZZZNS0_12_GLOBAL__N_142_validate_compressed_sparse_indices_kernelILNS3_8CDimNameE0ENS3_18CUDAKernelLauncherENS3_14EmptyVecKernelENS3_8DummyVecELm8EEEvRKNS_6TensorESB_lllENKUlvE1_clEvENKUlvE_clEvEUliiiiiE_EEvRNS_18TensorIteratorBaseERKT_EUlibE_EEviT1_
                                        ; -- End function
	.set _ZN2at6native32elementwise_kernel_manual_unrollILi128ELi4EZNS0_22gpu_kernel_impl_nocastIZZZNS0_12_GLOBAL__N_142_validate_compressed_sparse_indices_kernelILNS3_8CDimNameE0ENS3_18CUDAKernelLauncherENS3_14EmptyVecKernelENS3_8DummyVecELm8EEEvRKNS_6TensorESB_lllENKUlvE1_clEvENKUlvE_clEvEUliiiiiE_EEvRNS_18TensorIteratorBaseERKT_EUlibE_EEviT1_.num_vgpr, 46
	.set _ZN2at6native32elementwise_kernel_manual_unrollILi128ELi4EZNS0_22gpu_kernel_impl_nocastIZZZNS0_12_GLOBAL__N_142_validate_compressed_sparse_indices_kernelILNS3_8CDimNameE0ENS3_18CUDAKernelLauncherENS3_14EmptyVecKernelENS3_8DummyVecELm8EEEvRKNS_6TensorESB_lllENKUlvE1_clEvENKUlvE_clEvEUliiiiiE_EEvRNS_18TensorIteratorBaseERKT_EUlibE_EEviT1_.num_agpr, 0
	.set _ZN2at6native32elementwise_kernel_manual_unrollILi128ELi4EZNS0_22gpu_kernel_impl_nocastIZZZNS0_12_GLOBAL__N_142_validate_compressed_sparse_indices_kernelILNS3_8CDimNameE0ENS3_18CUDAKernelLauncherENS3_14EmptyVecKernelENS3_8DummyVecELm8EEEvRKNS_6TensorESB_lllENKUlvE1_clEvENKUlvE_clEvEUliiiiiE_EEvRNS_18TensorIteratorBaseERKT_EUlibE_EEviT1_.numbered_sgpr, 100
	.set _ZN2at6native32elementwise_kernel_manual_unrollILi128ELi4EZNS0_22gpu_kernel_impl_nocastIZZZNS0_12_GLOBAL__N_142_validate_compressed_sparse_indices_kernelILNS3_8CDimNameE0ENS3_18CUDAKernelLauncherENS3_14EmptyVecKernelENS3_8DummyVecELm8EEEvRKNS_6TensorESB_lllENKUlvE1_clEvENKUlvE_clEvEUliiiiiE_EEvRNS_18TensorIteratorBaseERKT_EUlibE_EEviT1_.num_named_barrier, 0
	.set _ZN2at6native32elementwise_kernel_manual_unrollILi128ELi4EZNS0_22gpu_kernel_impl_nocastIZZZNS0_12_GLOBAL__N_142_validate_compressed_sparse_indices_kernelILNS3_8CDimNameE0ENS3_18CUDAKernelLauncherENS3_14EmptyVecKernelENS3_8DummyVecELm8EEEvRKNS_6TensorESB_lllENKUlvE1_clEvENKUlvE_clEvEUliiiiiE_EEvRNS_18TensorIteratorBaseERKT_EUlibE_EEviT1_.private_seg_size, 0
	.set _ZN2at6native32elementwise_kernel_manual_unrollILi128ELi4EZNS0_22gpu_kernel_impl_nocastIZZZNS0_12_GLOBAL__N_142_validate_compressed_sparse_indices_kernelILNS3_8CDimNameE0ENS3_18CUDAKernelLauncherENS3_14EmptyVecKernelENS3_8DummyVecELm8EEEvRKNS_6TensorESB_lllENKUlvE1_clEvENKUlvE_clEvEUliiiiiE_EEvRNS_18TensorIteratorBaseERKT_EUlibE_EEviT1_.uses_vcc, 1
	.set _ZN2at6native32elementwise_kernel_manual_unrollILi128ELi4EZNS0_22gpu_kernel_impl_nocastIZZZNS0_12_GLOBAL__N_142_validate_compressed_sparse_indices_kernelILNS3_8CDimNameE0ENS3_18CUDAKernelLauncherENS3_14EmptyVecKernelENS3_8DummyVecELm8EEEvRKNS_6TensorESB_lllENKUlvE1_clEvENKUlvE_clEvEUliiiiiE_EEvRNS_18TensorIteratorBaseERKT_EUlibE_EEviT1_.uses_flat_scratch, 0
	.set _ZN2at6native32elementwise_kernel_manual_unrollILi128ELi4EZNS0_22gpu_kernel_impl_nocastIZZZNS0_12_GLOBAL__N_142_validate_compressed_sparse_indices_kernelILNS3_8CDimNameE0ENS3_18CUDAKernelLauncherENS3_14EmptyVecKernelENS3_8DummyVecELm8EEEvRKNS_6TensorESB_lllENKUlvE1_clEvENKUlvE_clEvEUliiiiiE_EEvRNS_18TensorIteratorBaseERKT_EUlibE_EEviT1_.has_dyn_sized_stack, 0
	.set _ZN2at6native32elementwise_kernel_manual_unrollILi128ELi4EZNS0_22gpu_kernel_impl_nocastIZZZNS0_12_GLOBAL__N_142_validate_compressed_sparse_indices_kernelILNS3_8CDimNameE0ENS3_18CUDAKernelLauncherENS3_14EmptyVecKernelENS3_8DummyVecELm8EEEvRKNS_6TensorESB_lllENKUlvE1_clEvENKUlvE_clEvEUliiiiiE_EEvRNS_18TensorIteratorBaseERKT_EUlibE_EEviT1_.has_recursion, 0
	.set _ZN2at6native32elementwise_kernel_manual_unrollILi128ELi4EZNS0_22gpu_kernel_impl_nocastIZZZNS0_12_GLOBAL__N_142_validate_compressed_sparse_indices_kernelILNS3_8CDimNameE0ENS3_18CUDAKernelLauncherENS3_14EmptyVecKernelENS3_8DummyVecELm8EEEvRKNS_6TensorESB_lllENKUlvE1_clEvENKUlvE_clEvEUliiiiiE_EEvRNS_18TensorIteratorBaseERKT_EUlibE_EEviT1_.has_indirect_call, 0
	.section	.AMDGPU.csdata,"",@progbits
; Kernel info:
; codeLenInByte = 19656
; TotalNumSgprs: 102
; NumVgprs: 46
; ScratchSize: 0
; MemoryBound: 0
; FloatMode: 240
; IeeeMode: 1
; LDSByteSize: 0 bytes/workgroup (compile time only)
; SGPRBlocks: 0
; VGPRBlocks: 2
; NumSGPRsForWavesPerEU: 102
; NumVGPRsForWavesPerEU: 46
; NamedBarCnt: 0
; Occupancy: 16
; WaveLimiterHint : 1
; COMPUTE_PGM_RSRC2:SCRATCH_EN: 0
; COMPUTE_PGM_RSRC2:USER_SGPR: 2
; COMPUTE_PGM_RSRC2:TRAP_HANDLER: 0
; COMPUTE_PGM_RSRC2:TGID_X_EN: 1
; COMPUTE_PGM_RSRC2:TGID_Y_EN: 0
; COMPUTE_PGM_RSRC2:TGID_Z_EN: 0
; COMPUTE_PGM_RSRC2:TIDIG_COMP_CNT: 0
	.section	.text._ZN2at6native32elementwise_kernel_manual_unrollILi128ELi4EZNS0_15gpu_kernel_implIZZZNS0_12_GLOBAL__N_142_validate_compressed_sparse_indices_kernelILNS3_8CDimNameE0ENS3_18CUDAKernelLauncherENS3_14EmptyVecKernelENS3_8DummyVecELm8EEEvRKNS_6TensorESB_lllENKUlvE1_clEvENKUlvE_clEvEUliiiiiE_EEvRNS_18TensorIteratorBaseERKT_EUlibE_EEviT1_,"axG",@progbits,_ZN2at6native32elementwise_kernel_manual_unrollILi128ELi4EZNS0_15gpu_kernel_implIZZZNS0_12_GLOBAL__N_142_validate_compressed_sparse_indices_kernelILNS3_8CDimNameE0ENS3_18CUDAKernelLauncherENS3_14EmptyVecKernelENS3_8DummyVecELm8EEEvRKNS_6TensorESB_lllENKUlvE1_clEvENKUlvE_clEvEUliiiiiE_EEvRNS_18TensorIteratorBaseERKT_EUlibE_EEviT1_,comdat
	.globl	_ZN2at6native32elementwise_kernel_manual_unrollILi128ELi4EZNS0_15gpu_kernel_implIZZZNS0_12_GLOBAL__N_142_validate_compressed_sparse_indices_kernelILNS3_8CDimNameE0ENS3_18CUDAKernelLauncherENS3_14EmptyVecKernelENS3_8DummyVecELm8EEEvRKNS_6TensorESB_lllENKUlvE1_clEvENKUlvE_clEvEUliiiiiE_EEvRNS_18TensorIteratorBaseERKT_EUlibE_EEviT1_ ; -- Begin function _ZN2at6native32elementwise_kernel_manual_unrollILi128ELi4EZNS0_15gpu_kernel_implIZZZNS0_12_GLOBAL__N_142_validate_compressed_sparse_indices_kernelILNS3_8CDimNameE0ENS3_18CUDAKernelLauncherENS3_14EmptyVecKernelENS3_8DummyVecELm8EEEvRKNS_6TensorESB_lllENKUlvE1_clEvENKUlvE_clEvEUliiiiiE_EEvRNS_18TensorIteratorBaseERKT_EUlibE_EEviT1_
	.p2align	8
	.type	_ZN2at6native32elementwise_kernel_manual_unrollILi128ELi4EZNS0_15gpu_kernel_implIZZZNS0_12_GLOBAL__N_142_validate_compressed_sparse_indices_kernelILNS3_8CDimNameE0ENS3_18CUDAKernelLauncherENS3_14EmptyVecKernelENS3_8DummyVecELm8EEEvRKNS_6TensorESB_lllENKUlvE1_clEvENKUlvE_clEvEUliiiiiE_EEvRNS_18TensorIteratorBaseERKT_EUlibE_EEviT1_,@function
_ZN2at6native32elementwise_kernel_manual_unrollILi128ELi4EZNS0_15gpu_kernel_implIZZZNS0_12_GLOBAL__N_142_validate_compressed_sparse_indices_kernelILNS3_8CDimNameE0ENS3_18CUDAKernelLauncherENS3_14EmptyVecKernelENS3_8DummyVecELm8EEEvRKNS_6TensorESB_lllENKUlvE1_clEvENKUlvE_clEvEUliiiiiE_EEvRNS_18TensorIteratorBaseERKT_EUlibE_EEviT1_: ; @_ZN2at6native32elementwise_kernel_manual_unrollILi128ELi4EZNS0_15gpu_kernel_implIZZZNS0_12_GLOBAL__N_142_validate_compressed_sparse_indices_kernelILNS3_8CDimNameE0ENS3_18CUDAKernelLauncherENS3_14EmptyVecKernelENS3_8DummyVecELm8EEEvRKNS_6TensorESB_lllENKUlvE1_clEvENKUlvE_clEvEUliiiiiE_EEvRNS_18TensorIteratorBaseERKT_EUlibE_EEviT1_
; %bb.0:
	s_bfe_u32 s4, ttmp6, 0x4000c
	s_clause 0x2
	s_load_b32 s55, s[0:1], 0x0
	s_load_b64 s[2:3], s[0:1], 0x8
	s_load_b32 s33, s[0:1], 0x38
	s_add_co_i32 s4, s4, 1
	s_and_b32 s5, ttmp6, 15
	s_mul_i32 s4, ttmp9, s4
	s_getreg_b32 s6, hwreg(HW_REG_IB_STS2, 6, 4)
	s_add_co_i32 s5, s5, s4
	s_cmp_eq_u32 s6, 0
	s_add_nc_u64 s[24:25], s[0:1], 8
	s_cselect_b32 s4, ttmp9, s5
	s_mov_b32 s46, 0
	v_lshl_or_b32 v22, s4, 9, v0
	s_mov_b32 s36, 0
	s_wait_xcnt 0x0
	s_mov_b32 s0, exec_lo
	s_delay_alu instid0(VALU_DEP_1) | instskip(SKIP_1) | instid1(VALU_DEP_1)
	v_or_b32_e32 v0, 0x180, v22
	s_wait_kmcnt 0x0
	v_cmpx_le_i32_e64 s55, v0
	s_xor_b32 s47, exec_lo, s0
	s_cbranch_execz .LBB22_2803
; %bb.1:
	s_clause 0x6
	s_load_b128 s[12:15], s[24:25], 0xe8
	s_load_b256 s[4:11], s[24:25], 0x8
	s_load_b64 s[30:31], s[24:25], 0x28
	s_load_b128 s[20:23], s[24:25], 0x34
	s_load_b64 s[28:29], s[24:25], 0x44
	s_load_b128 s[16:19], s[24:25], 0x50
	s_load_b32 s48, s[24:25], 0x60
	s_get_pc_i64 s[26:27]
	s_add_nc_u64 s[26:27], s[26:27], .str.1@rel64+4
	s_get_pc_i64 s[36:37]
	s_add_nc_u64 s[36:37], s[36:37], .str.2@rel64+4
	;; [unrolled: 2-line block ×4, first 2 shown]
	v_cmp_gt_i32_e32 vcc_lo, s55, v22
	s_mov_b32 s1, -1
	s_mov_b32 s67, 0
	s_mov_b32 s65, 0
	;; [unrolled: 1-line block ×7, first 2 shown]
	s_wait_kmcnt 0x0
	s_lshr_b32 s56, s14, 8
	s_lshr_b32 s53, s14, 16
	s_lshr_b64 s[34:35], s[14:15], 24
	s_lshr_b32 s52, s15, 8
	s_cmp_lg_u64 s[26:27], 0
	v_cmp_gt_i64_e64 s0, s[18:19], 0
	s_cselect_b32 s51, -1, 0
	s_cmp_lg_u64 s[36:37], 0
	s_mov_b32 s59, 0
	s_cselect_b32 s50, -1, 0
	s_cmp_lg_u64 s[38:39], 0
	s_mov_b32 s58, 0
	s_cselect_b32 s49, -1, 0
	s_add_co_i32 s26, s48, -1
	s_mov_b32 s57, 0
	s_cmp_gt_i32 s26, -1
	s_mov_b32 s54, 0
	s_cselect_b32 s17, -1, 0
	s_delay_alu instid0(SALU_CYCLE_1)
	s_and_b32 s17, s0, s17
	s_cmp_lg_u64 s[40:41], 0
	s_cselect_b32 s35, -1, 0
	s_and_saveexec_b32 s66, vcc_lo
	s_cbranch_execz .LBB22_630
; %bb.2:
	v_mul_lo_u32 v0, s20, v22
	s_and_b32 s0, s56, 0xff
	s_delay_alu instid0(SALU_CYCLE_1) | instskip(NEXT) | instid1(VALU_DEP_1)
	s_cmp_lt_i32 s0, 11
	v_ashrrev_i32_e32 v1, 31, v0
	s_delay_alu instid0(VALU_DEP_1)
	v_add_nc_u64_e32 v[0:1], s[4:5], v[0:1]
	s_cbranch_scc1 .LBB22_9
; %bb.3:
	s_and_b32 s1, 0xffff, s0
	s_delay_alu instid0(SALU_CYCLE_1)
	s_cmp_gt_i32 s1, 25
	s_cbranch_scc0 .LBB22_11
; %bb.4:
	s_cmp_gt_i32 s1, 28
	s_cbranch_scc0 .LBB22_12
; %bb.5:
	;; [unrolled: 3-line block ×4, first 2 shown]
	s_cmp_eq_u32 s1, 46
	s_mov_b32 s36, 0
	s_cbranch_scc0 .LBB22_15
; %bb.8:
	global_load_b32 v2, v[0:1], off
	s_mov_b32 s27, -1
	s_wait_loadcnt 0x0
	v_lshlrev_b32_e32 v2, 16, v2
	s_delay_alu instid0(VALU_DEP_1)
	v_cvt_i32_f32_e32 v7, v2
	s_branch .LBB22_17
.LBB22_9:
	s_mov_b32 s27, 0
                                        ; implicit-def: $vgpr7
	s_and_b32 vcc_lo, exec_lo, s1
	s_cbranch_vccnz .LBB22_77
.LBB22_10:
	s_and_not1_b32 vcc_lo, exec_lo, s27
	s_cbranch_vccz .LBB22_124
	s_branch .LBB22_628
.LBB22_11:
	s_mov_b32 s27, 0
                                        ; implicit-def: $vgpr7
	s_cbranch_execnz .LBB22_44
	s_branch .LBB22_76
.LBB22_12:
	s_mov_b32 s36, -1
	s_mov_b32 s27, 0
                                        ; implicit-def: $vgpr7
	s_branch .LBB22_27
.LBB22_13:
	s_mov_b32 s36, -1
	s_mov_b32 s27, 0
                                        ; implicit-def: $vgpr7
	s_branch .LBB22_22
.LBB22_14:
	s_mov_b32 s36, -1
	s_branch .LBB22_16
.LBB22_15:
	s_mov_b32 s65, -1
.LBB22_16:
	s_mov_b32 s27, 0
                                        ; implicit-def: $vgpr7
.LBB22_17:
	s_and_b32 vcc_lo, exec_lo, s36
	s_cbranch_vccz .LBB22_21
; %bb.18:
	s_cmp_eq_u32 s1, 44
	s_cbranch_scc0 .LBB22_20
; %bb.19:
	global_load_u8 v2, v[0:1], off
	s_mov_b32 s65, 0
	s_mov_b32 s27, -1
	s_wait_loadcnt 0x0
	v_lshlrev_b32_e32 v3, 23, v2
	v_cmp_ne_u32_e32 vcc_lo, 0, v2
	s_delay_alu instid0(VALU_DEP_2) | instskip(NEXT) | instid1(VALU_DEP_1)
	v_cvt_i32_f32_e32 v3, v3
	v_cndmask_b32_e32 v7, 0, v3, vcc_lo
	s_branch .LBB22_21
.LBB22_20:
	s_mov_b32 s65, -1
                                        ; implicit-def: $vgpr7
.LBB22_21:
	s_mov_b32 s36, 0
.LBB22_22:
	s_delay_alu instid0(SALU_CYCLE_1)
	s_and_b32 vcc_lo, exec_lo, s36
	s_cbranch_vccz .LBB22_26
; %bb.23:
	s_cmp_eq_u32 s1, 29
	s_cbranch_scc0 .LBB22_25
; %bb.24:
	global_load_b32 v7, v[0:1], off
	s_mov_b32 s27, -1
	s_mov_b32 s65, 0
	s_branch .LBB22_26
.LBB22_25:
	s_mov_b32 s65, -1
                                        ; implicit-def: $vgpr7
.LBB22_26:
	s_mov_b32 s36, 0
.LBB22_27:
	s_delay_alu instid0(SALU_CYCLE_1)
	s_and_b32 vcc_lo, exec_lo, s36
	s_cbranch_vccz .LBB22_43
; %bb.28:
	s_cmp_lt_i32 s1, 27
	s_cbranch_scc1 .LBB22_31
; %bb.29:
	s_cmp_gt_i32 s1, 27
	s_cbranch_scc0 .LBB22_32
; %bb.30:
	s_wait_loadcnt 0x0
	global_load_b32 v7, v[0:1], off
	s_mov_b32 s27, 0
	s_branch .LBB22_33
.LBB22_31:
	s_mov_b32 s27, -1
                                        ; implicit-def: $vgpr7
	s_branch .LBB22_36
.LBB22_32:
	s_mov_b32 s27, -1
                                        ; implicit-def: $vgpr7
.LBB22_33:
	s_delay_alu instid0(SALU_CYCLE_1)
	s_and_not1_b32 vcc_lo, exec_lo, s27
	s_cbranch_vccnz .LBB22_35
; %bb.34:
	s_wait_loadcnt 0x0
	global_load_u16 v7, v[0:1], off
.LBB22_35:
	s_mov_b32 s27, 0
.LBB22_36:
	s_delay_alu instid0(SALU_CYCLE_1)
	s_and_not1_b32 vcc_lo, exec_lo, s27
	s_cbranch_vccnz .LBB22_42
; %bb.37:
	global_load_u8 v2, v[0:1], off
	s_mov_b32 s36, 0
	s_mov_b32 s27, exec_lo
	s_wait_loadcnt 0x0
	v_cmpx_lt_i16_e32 0x7f, v2
	s_xor_b32 s27, exec_lo, s27
	s_cbranch_execz .LBB22_53
; %bb.38:
	v_cmp_ne_u16_e32 vcc_lo, 0x80, v2
	s_and_b32 s36, vcc_lo, exec_lo
	s_and_not1_saveexec_b32 s27, s27
	s_cbranch_execnz .LBB22_54
.LBB22_39:
	s_or_b32 exec_lo, exec_lo, s27
	v_mov_b32_e32 v7, 0
	s_and_saveexec_b32 s27, s36
	s_cbranch_execz .LBB22_41
.LBB22_40:
	v_and_b32_e32 v3, 0xffff, v2
	s_delay_alu instid0(VALU_DEP_1) | instskip(SKIP_1) | instid1(VALU_DEP_2)
	v_and_b32_e32 v4, 7, v3
	v_bfe_u32 v7, v3, 3, 4
	v_clz_i32_u32_e32 v5, v4
	s_delay_alu instid0(VALU_DEP_2) | instskip(NEXT) | instid1(VALU_DEP_2)
	v_cmp_eq_u32_e32 vcc_lo, 0, v7
	v_min_u32_e32 v5, 32, v5
	s_delay_alu instid0(VALU_DEP_1) | instskip(NEXT) | instid1(VALU_DEP_1)
	v_subrev_nc_u32_e32 v6, 28, v5
	v_dual_lshlrev_b32 v3, v6, v3 :: v_dual_sub_nc_u32 v5, 29, v5
	s_delay_alu instid0(VALU_DEP_1) | instskip(NEXT) | instid1(VALU_DEP_1)
	v_dual_lshlrev_b32 v2, 24, v2 :: v_dual_bitop2_b32 v3, 7, v3 bitop3:0x40
	v_dual_cndmask_b32 v5, v7, v5, vcc_lo :: v_dual_cndmask_b32 v3, v4, v3, vcc_lo
	s_delay_alu instid0(VALU_DEP_2) | instskip(NEXT) | instid1(VALU_DEP_2)
	v_and_b32_e32 v2, 0x80000000, v2
	v_lshl_add_u32 v4, v5, 23, 0x3b800000
	s_delay_alu instid0(VALU_DEP_3) | instskip(NEXT) | instid1(VALU_DEP_1)
	v_lshlrev_b32_e32 v3, 20, v3
	v_or3_b32 v2, v2, v4, v3
	s_delay_alu instid0(VALU_DEP_1)
	v_cvt_i32_f32_e32 v7, v2
.LBB22_41:
	s_or_b32 exec_lo, exec_lo, s27
.LBB22_42:
	s_mov_b32 s27, -1
.LBB22_43:
	s_branch .LBB22_76
.LBB22_44:
	s_cmp_gt_i32 s1, 22
	s_cbranch_scc0 .LBB22_52
; %bb.45:
	s_cmp_lt_i32 s1, 24
	s_cbranch_scc1 .LBB22_55
; %bb.46:
	s_cmp_gt_i32 s1, 24
	s_cbranch_scc0 .LBB22_56
; %bb.47:
	global_load_u8 v2, v[0:1], off
	s_mov_b32 s36, 0
	s_mov_b32 s27, exec_lo
	s_wait_loadcnt 0x0
	v_cmpx_lt_i16_e32 0x7f, v2
	s_xor_b32 s27, exec_lo, s27
	s_cbranch_execz .LBB22_68
; %bb.48:
	v_cmp_ne_u16_e32 vcc_lo, 0x80, v2
	s_and_b32 s36, vcc_lo, exec_lo
	s_and_not1_saveexec_b32 s27, s27
	s_cbranch_execnz .LBB22_69
.LBB22_49:
	s_or_b32 exec_lo, exec_lo, s27
	v_mov_b32_e32 v7, 0
	s_and_saveexec_b32 s27, s36
	s_cbranch_execz .LBB22_51
.LBB22_50:
	v_and_b32_e32 v3, 0xffff, v2
	s_delay_alu instid0(VALU_DEP_1) | instskip(SKIP_1) | instid1(VALU_DEP_2)
	v_and_b32_e32 v4, 3, v3
	v_bfe_u32 v7, v3, 2, 5
	v_clz_i32_u32_e32 v5, v4
	s_delay_alu instid0(VALU_DEP_2) | instskip(NEXT) | instid1(VALU_DEP_2)
	v_cmp_eq_u32_e32 vcc_lo, 0, v7
	v_min_u32_e32 v5, 32, v5
	s_delay_alu instid0(VALU_DEP_1) | instskip(NEXT) | instid1(VALU_DEP_1)
	v_subrev_nc_u32_e32 v6, 29, v5
	v_dual_lshlrev_b32 v3, v6, v3 :: v_dual_sub_nc_u32 v5, 30, v5
	s_delay_alu instid0(VALU_DEP_1) | instskip(NEXT) | instid1(VALU_DEP_1)
	v_dual_lshlrev_b32 v2, 24, v2 :: v_dual_bitop2_b32 v3, 3, v3 bitop3:0x40
	v_dual_cndmask_b32 v5, v7, v5, vcc_lo :: v_dual_cndmask_b32 v3, v4, v3, vcc_lo
	s_delay_alu instid0(VALU_DEP_2) | instskip(NEXT) | instid1(VALU_DEP_2)
	v_and_b32_e32 v2, 0x80000000, v2
	v_lshl_add_u32 v4, v5, 23, 0x37800000
	s_delay_alu instid0(VALU_DEP_3) | instskip(NEXT) | instid1(VALU_DEP_1)
	v_lshlrev_b32_e32 v3, 21, v3
	v_or3_b32 v2, v2, v4, v3
	s_delay_alu instid0(VALU_DEP_1)
	v_cvt_i32_f32_e32 v7, v2
.LBB22_51:
	s_or_b32 exec_lo, exec_lo, s27
	s_mov_b32 s27, 0
	s_branch .LBB22_57
.LBB22_52:
	s_mov_b32 s36, -1
                                        ; implicit-def: $vgpr7
	s_branch .LBB22_63
.LBB22_53:
	s_and_not1_saveexec_b32 s27, s27
	s_cbranch_execz .LBB22_39
.LBB22_54:
	v_cmp_ne_u16_e32 vcc_lo, 0, v2
	s_and_not1_b32 s36, s36, exec_lo
	s_and_b32 s37, vcc_lo, exec_lo
	s_delay_alu instid0(SALU_CYCLE_1)
	s_or_b32 s36, s36, s37
	s_or_b32 exec_lo, exec_lo, s27
	v_mov_b32_e32 v7, 0
	s_and_saveexec_b32 s27, s36
	s_cbranch_execnz .LBB22_40
	s_branch .LBB22_41
.LBB22_55:
	s_mov_b32 s27, -1
                                        ; implicit-def: $vgpr7
	s_branch .LBB22_60
.LBB22_56:
	s_mov_b32 s27, -1
                                        ; implicit-def: $vgpr7
.LBB22_57:
	s_delay_alu instid0(SALU_CYCLE_1)
	s_and_b32 vcc_lo, exec_lo, s27
	s_cbranch_vccz .LBB22_59
; %bb.58:
	global_load_u8 v2, v[0:1], off
	s_wait_loadcnt 0x0
	v_lshlrev_b32_e32 v2, 24, v2
	s_delay_alu instid0(VALU_DEP_1) | instskip(NEXT) | instid1(VALU_DEP_1)
	v_and_b32_e32 v3, 0x7f000000, v2
	v_clz_i32_u32_e32 v4, v3
	v_cmp_ne_u32_e32 vcc_lo, 0, v3
	v_add_nc_u32_e32 v6, 0x1000000, v3
	s_delay_alu instid0(VALU_DEP_3) | instskip(NEXT) | instid1(VALU_DEP_1)
	v_min_u32_e32 v4, 32, v4
	v_sub_nc_u32_e64 v4, v4, 4 clamp
	s_delay_alu instid0(VALU_DEP_1) | instskip(NEXT) | instid1(VALU_DEP_1)
	v_dual_lshlrev_b32 v5, v4, v3 :: v_dual_lshlrev_b32 v4, 23, v4
	v_lshrrev_b32_e32 v5, 4, v5
	s_delay_alu instid0(VALU_DEP_1) | instskip(NEXT) | instid1(VALU_DEP_1)
	v_dual_sub_nc_u32 v4, v5, v4 :: v_dual_ashrrev_i32 v5, 8, v6
	v_add_nc_u32_e32 v4, 0x3c000000, v4
	s_delay_alu instid0(VALU_DEP_1) | instskip(NEXT) | instid1(VALU_DEP_1)
	v_and_or_b32 v4, 0x7f800000, v5, v4
	v_cndmask_b32_e32 v3, 0, v4, vcc_lo
	s_delay_alu instid0(VALU_DEP_1) | instskip(NEXT) | instid1(VALU_DEP_1)
	v_and_or_b32 v2, 0x80000000, v2, v3
	v_cvt_i32_f32_e32 v7, v2
.LBB22_59:
	s_mov_b32 s27, 0
.LBB22_60:
	s_delay_alu instid0(SALU_CYCLE_1)
	s_and_not1_b32 vcc_lo, exec_lo, s27
	s_cbranch_vccnz .LBB22_62
; %bb.61:
	global_load_u8 v2, v[0:1], off
	s_wait_loadcnt 0x0
	v_lshlrev_b32_e32 v3, 25, v2
	v_lshlrev_b16 v2, 8, v2
	s_delay_alu instid0(VALU_DEP_1) | instskip(SKIP_1) | instid1(VALU_DEP_2)
	v_and_or_b32 v5, 0x7f00, v2, 0.5
	v_bfe_i32 v2, v2, 0, 16
	v_dual_add_f32 v5, -0.5, v5 :: v_dual_lshrrev_b32 v4, 4, v3
	v_cmp_gt_u32_e32 vcc_lo, 0x8000000, v3
	s_delay_alu instid0(VALU_DEP_2) | instskip(NEXT) | instid1(VALU_DEP_1)
	v_or_b32_e32 v4, 0x70000000, v4
	v_mul_f32_e32 v4, 0x7800000, v4
	s_delay_alu instid0(VALU_DEP_1) | instskip(NEXT) | instid1(VALU_DEP_1)
	v_cndmask_b32_e32 v3, v4, v5, vcc_lo
	v_and_or_b32 v2, 0x80000000, v2, v3
	s_delay_alu instid0(VALU_DEP_1)
	v_cvt_i32_f32_e32 v7, v2
.LBB22_62:
	s_mov_b32 s36, 0
	s_mov_b32 s27, -1
.LBB22_63:
	s_and_not1_b32 vcc_lo, exec_lo, s36
	s_cbranch_vccnz .LBB22_76
; %bb.64:
	s_cmp_gt_i32 s1, 14
	s_cbranch_scc0 .LBB22_67
; %bb.65:
	s_cmp_eq_u32 s1, 15
	s_cbranch_scc0 .LBB22_70
; %bb.66:
	global_load_u16 v2, v[0:1], off
	s_mov_b32 s27, -1
	s_mov_b32 s65, 0
	s_wait_loadcnt 0x0
	v_lshlrev_b32_e32 v2, 16, v2
	s_delay_alu instid0(VALU_DEP_1)
	v_cvt_i32_f32_e32 v7, v2
	s_branch .LBB22_71
.LBB22_67:
	s_mov_b32 s36, -1
                                        ; implicit-def: $vgpr7
	s_branch .LBB22_72
.LBB22_68:
	s_and_not1_saveexec_b32 s27, s27
	s_cbranch_execz .LBB22_49
.LBB22_69:
	v_cmp_ne_u16_e32 vcc_lo, 0, v2
	s_and_not1_b32 s36, s36, exec_lo
	s_and_b32 s37, vcc_lo, exec_lo
	s_delay_alu instid0(SALU_CYCLE_1)
	s_or_b32 s36, s36, s37
	s_or_b32 exec_lo, exec_lo, s27
	v_mov_b32_e32 v7, 0
	s_and_saveexec_b32 s27, s36
	s_cbranch_execnz .LBB22_50
	s_branch .LBB22_51
.LBB22_70:
	s_mov_b32 s65, -1
                                        ; implicit-def: $vgpr7
.LBB22_71:
	s_mov_b32 s36, 0
.LBB22_72:
	s_delay_alu instid0(SALU_CYCLE_1)
	s_and_b32 vcc_lo, exec_lo, s36
	s_cbranch_vccz .LBB22_76
; %bb.73:
	s_cmp_eq_u32 s1, 11
	s_cbranch_scc0 .LBB22_75
; %bb.74:
	global_load_u8 v2, v[0:1], off
	s_mov_b32 s65, 0
	s_mov_b32 s27, -1
	s_wait_loadcnt 0x0
	v_cmp_ne_u16_e32 vcc_lo, 0, v2
	v_cndmask_b32_e64 v7, 0, 1, vcc_lo
	s_branch .LBB22_76
.LBB22_75:
	s_mov_b32 s65, -1
                                        ; implicit-def: $vgpr7
.LBB22_76:
	s_branch .LBB22_10
.LBB22_77:
	s_and_b32 s0, 0xffff, s0
	s_delay_alu instid0(SALU_CYCLE_1)
	s_cmp_lt_i32 s0, 5
	s_cbranch_scc1 .LBB22_82
; %bb.78:
	s_cmp_lt_i32 s0, 8
	s_cbranch_scc1 .LBB22_83
; %bb.79:
	;; [unrolled: 3-line block ×3, first 2 shown]
	s_cmp_gt_i32 s0, 9
	s_cbranch_scc0 .LBB22_85
; %bb.81:
	global_load_b64 v[2:3], v[0:1], off
	s_mov_b32 s1, 0
	s_wait_loadcnt 0x0
	v_cvt_i32_f64_e32 v7, v[2:3]
	s_branch .LBB22_86
.LBB22_82:
                                        ; implicit-def: $vgpr7
	s_branch .LBB22_104
.LBB22_83:
	s_mov_b32 s1, -1
                                        ; implicit-def: $vgpr7
	s_branch .LBB22_92
.LBB22_84:
	s_mov_b32 s1, -1
                                        ; implicit-def: $vgpr7
	s_branch .LBB22_89
.LBB22_85:
	s_mov_b32 s1, -1
                                        ; implicit-def: $vgpr7
.LBB22_86:
	s_delay_alu instid0(SALU_CYCLE_1)
	s_and_not1_b32 vcc_lo, exec_lo, s1
	s_cbranch_vccnz .LBB22_88
; %bb.87:
	global_load_b32 v2, v[0:1], off
	s_wait_loadcnt 0x0
	v_cvt_i32_f32_e32 v7, v2
.LBB22_88:
	s_mov_b32 s1, 0
.LBB22_89:
	s_delay_alu instid0(SALU_CYCLE_1)
	s_and_not1_b32 vcc_lo, exec_lo, s1
	s_cbranch_vccnz .LBB22_91
; %bb.90:
	global_load_b32 v2, v[0:1], off
	s_wait_loadcnt 0x0
	v_cvt_f32_f16_e32 v2, v2
	s_delay_alu instid0(VALU_DEP_1)
	v_cvt_i32_f32_e32 v7, v2
.LBB22_91:
	s_mov_b32 s1, 0
.LBB22_92:
	s_delay_alu instid0(SALU_CYCLE_1)
	s_and_not1_b32 vcc_lo, exec_lo, s1
	s_cbranch_vccnz .LBB22_103
; %bb.93:
	s_cmp_lt_i32 s0, 6
	s_cbranch_scc1 .LBB22_96
; %bb.94:
	s_cmp_gt_i32 s0, 6
	s_cbranch_scc0 .LBB22_97
; %bb.95:
	global_load_b64 v[2:3], v[0:1], off
	s_mov_b32 s1, 0
	s_wait_loadcnt 0x0
	v_cvt_i32_f64_e32 v7, v[2:3]
	s_branch .LBB22_98
.LBB22_96:
	s_mov_b32 s1, -1
                                        ; implicit-def: $vgpr7
	s_branch .LBB22_101
.LBB22_97:
	s_mov_b32 s1, -1
                                        ; implicit-def: $vgpr7
.LBB22_98:
	s_delay_alu instid0(SALU_CYCLE_1)
	s_and_not1_b32 vcc_lo, exec_lo, s1
	s_cbranch_vccnz .LBB22_100
; %bb.99:
	global_load_b32 v2, v[0:1], off
	s_wait_loadcnt 0x0
	v_cvt_i32_f32_e32 v7, v2
.LBB22_100:
	s_mov_b32 s1, 0
.LBB22_101:
	s_delay_alu instid0(SALU_CYCLE_1)
	s_and_not1_b32 vcc_lo, exec_lo, s1
	s_cbranch_vccnz .LBB22_103
; %bb.102:
	global_load_u16 v2, v[0:1], off
	s_wait_loadcnt 0x0
	v_cvt_f32_f16_e32 v2, v2
	s_delay_alu instid0(VALU_DEP_1)
	v_cvt_i32_f32_e32 v7, v2
.LBB22_103:
	s_cbranch_execnz .LBB22_123
.LBB22_104:
	s_cmp_lt_i32 s0, 2
	s_cbranch_scc1 .LBB22_108
; %bb.105:
	s_cmp_lt_i32 s0, 3
	s_cbranch_scc1 .LBB22_109
; %bb.106:
	s_cmp_gt_i32 s0, 3
	s_cbranch_scc0 .LBB22_110
; %bb.107:
	s_wait_loadcnt 0x0
	global_load_b32 v7, v[0:1], off
	s_mov_b32 s1, 0
	s_branch .LBB22_111
.LBB22_108:
	s_mov_b32 s1, -1
                                        ; implicit-def: $vgpr7
	s_branch .LBB22_117
.LBB22_109:
	s_mov_b32 s1, -1
                                        ; implicit-def: $vgpr7
	s_branch .LBB22_114
.LBB22_110:
	s_mov_b32 s1, -1
                                        ; implicit-def: $vgpr7
.LBB22_111:
	s_delay_alu instid0(SALU_CYCLE_1)
	s_and_not1_b32 vcc_lo, exec_lo, s1
	s_cbranch_vccnz .LBB22_113
; %bb.112:
	s_wait_loadcnt 0x0
	global_load_b32 v7, v[0:1], off
.LBB22_113:
	s_mov_b32 s1, 0
.LBB22_114:
	s_delay_alu instid0(SALU_CYCLE_1)
	s_and_not1_b32 vcc_lo, exec_lo, s1
	s_cbranch_vccnz .LBB22_116
; %bb.115:
	s_wait_loadcnt 0x0
	global_load_i16 v7, v[0:1], off
.LBB22_116:
	s_mov_b32 s1, 0
.LBB22_117:
	s_delay_alu instid0(SALU_CYCLE_1)
	s_and_not1_b32 vcc_lo, exec_lo, s1
	s_cbranch_vccnz .LBB22_123
; %bb.118:
	s_cmp_gt_i32 s0, 0
	s_mov_b32 s0, 0
	s_cbranch_scc0 .LBB22_120
; %bb.119:
	s_wait_loadcnt 0x0
	global_load_i8 v7, v[0:1], off
	s_branch .LBB22_121
.LBB22_120:
	s_mov_b32 s0, -1
                                        ; implicit-def: $vgpr7
.LBB22_121:
	s_delay_alu instid0(SALU_CYCLE_1)
	s_and_not1_b32 vcc_lo, exec_lo, s0
	s_cbranch_vccnz .LBB22_123
; %bb.122:
	s_wait_loadcnt 0x0
	global_load_u8 v7, v[0:1], off
.LBB22_123:
.LBB22_124:
	s_wait_xcnt 0x0
	v_mul_lo_u32 v0, s21, v22
	s_and_b32 s0, s53, 0xff
	s_delay_alu instid0(SALU_CYCLE_1) | instskip(NEXT) | instid1(VALU_DEP_1)
	s_cmp_lt_i32 s0, 11
	v_ashrrev_i32_e32 v1, 31, v0
	s_delay_alu instid0(VALU_DEP_1)
	v_add_nc_u64_e32 v[0:1], s[6:7], v[0:1]
	s_cbranch_scc1 .LBB22_131
; %bb.125:
	s_and_b32 s1, 0xffff, s0
	s_delay_alu instid0(SALU_CYCLE_1)
	s_cmp_gt_i32 s1, 25
	s_cbranch_scc0 .LBB22_133
; %bb.126:
	s_cmp_gt_i32 s1, 28
	s_cbranch_scc0 .LBB22_134
; %bb.127:
	;; [unrolled: 3-line block ×4, first 2 shown]
	s_cmp_eq_u32 s1, 46
	s_mov_b32 s36, 0
	s_cbranch_scc0 .LBB22_137
; %bb.130:
	global_load_b32 v2, v[0:1], off
	s_mov_b32 s27, -1
	s_wait_loadcnt 0x0
	v_lshlrev_b32_e32 v2, 16, v2
	s_delay_alu instid0(VALU_DEP_1)
	v_cvt_i32_f32_e32 v8, v2
	s_branch .LBB22_139
.LBB22_131:
	s_mov_b32 s27, 0
                                        ; implicit-def: $vgpr8
	s_cbranch_execnz .LBB22_200
.LBB22_132:
	s_and_not1_b32 vcc_lo, exec_lo, s27
	s_cbranch_vccnz .LBB22_628
	s_branch .LBB22_248
.LBB22_133:
	s_mov_b32 s36, -1
	s_mov_b32 s27, 0
                                        ; implicit-def: $vgpr8
	s_branch .LBB22_166
.LBB22_134:
	s_mov_b32 s36, -1
	s_mov_b32 s27, 0
                                        ; implicit-def: $vgpr8
	s_branch .LBB22_149
.LBB22_135:
	s_mov_b32 s36, -1
	s_mov_b32 s27, 0
                                        ; implicit-def: $vgpr8
	s_branch .LBB22_144
.LBB22_136:
	s_mov_b32 s36, -1
	s_branch .LBB22_138
.LBB22_137:
	s_mov_b32 s64, -1
.LBB22_138:
	s_mov_b32 s27, 0
                                        ; implicit-def: $vgpr8
.LBB22_139:
	s_and_b32 vcc_lo, exec_lo, s36
	s_cbranch_vccz .LBB22_143
; %bb.140:
	s_cmp_eq_u32 s1, 44
	s_cbranch_scc0 .LBB22_142
; %bb.141:
	global_load_u8 v2, v[0:1], off
	s_mov_b32 s64, 0
	s_mov_b32 s27, -1
	s_wait_loadcnt 0x0
	v_lshlrev_b32_e32 v3, 23, v2
	v_cmp_ne_u32_e32 vcc_lo, 0, v2
	s_delay_alu instid0(VALU_DEP_2) | instskip(NEXT) | instid1(VALU_DEP_1)
	v_cvt_i32_f32_e32 v3, v3
	v_cndmask_b32_e32 v8, 0, v3, vcc_lo
	s_branch .LBB22_143
.LBB22_142:
	s_mov_b32 s64, -1
                                        ; implicit-def: $vgpr8
.LBB22_143:
	s_mov_b32 s36, 0
.LBB22_144:
	s_delay_alu instid0(SALU_CYCLE_1)
	s_and_b32 vcc_lo, exec_lo, s36
	s_cbranch_vccz .LBB22_148
; %bb.145:
	s_cmp_eq_u32 s1, 29
	s_cbranch_scc0 .LBB22_147
; %bb.146:
	global_load_b32 v8, v[0:1], off
	s_mov_b32 s27, -1
	s_mov_b32 s64, 0
	s_branch .LBB22_148
.LBB22_147:
	s_mov_b32 s64, -1
                                        ; implicit-def: $vgpr8
.LBB22_148:
	s_mov_b32 s36, 0
.LBB22_149:
	s_delay_alu instid0(SALU_CYCLE_1)
	s_and_b32 vcc_lo, exec_lo, s36
	s_cbranch_vccz .LBB22_165
; %bb.150:
	s_cmp_lt_i32 s1, 27
	s_cbranch_scc1 .LBB22_153
; %bb.151:
	s_cmp_gt_i32 s1, 27
	s_cbranch_scc0 .LBB22_154
; %bb.152:
	s_wait_loadcnt 0x0
	global_load_b32 v8, v[0:1], off
	s_mov_b32 s27, 0
	s_branch .LBB22_155
.LBB22_153:
	s_mov_b32 s27, -1
                                        ; implicit-def: $vgpr8
	s_branch .LBB22_158
.LBB22_154:
	s_mov_b32 s27, -1
                                        ; implicit-def: $vgpr8
.LBB22_155:
	s_delay_alu instid0(SALU_CYCLE_1)
	s_and_not1_b32 vcc_lo, exec_lo, s27
	s_cbranch_vccnz .LBB22_157
; %bb.156:
	s_wait_loadcnt 0x0
	global_load_u16 v8, v[0:1], off
.LBB22_157:
	s_mov_b32 s27, 0
.LBB22_158:
	s_delay_alu instid0(SALU_CYCLE_1)
	s_and_not1_b32 vcc_lo, exec_lo, s27
	s_cbranch_vccnz .LBB22_164
; %bb.159:
	global_load_u8 v2, v[0:1], off
	s_mov_b32 s36, 0
	s_mov_b32 s27, exec_lo
	s_wait_loadcnt 0x0
	v_cmpx_lt_i16_e32 0x7f, v2
	s_xor_b32 s27, exec_lo, s27
	s_cbranch_execz .LBB22_176
; %bb.160:
	v_cmp_ne_u16_e32 vcc_lo, 0x80, v2
	s_and_b32 s36, vcc_lo, exec_lo
	s_and_not1_saveexec_b32 s27, s27
	s_cbranch_execnz .LBB22_177
.LBB22_161:
	s_or_b32 exec_lo, exec_lo, s27
	v_mov_b32_e32 v8, 0
	s_and_saveexec_b32 s27, s36
	s_cbranch_execz .LBB22_163
.LBB22_162:
	v_and_b32_e32 v3, 0xffff, v2
	s_delay_alu instid0(VALU_DEP_1) | instskip(SKIP_1) | instid1(VALU_DEP_2)
	v_and_b32_e32 v4, 7, v3
	v_bfe_u32 v8, v3, 3, 4
	v_clz_i32_u32_e32 v5, v4
	s_delay_alu instid0(VALU_DEP_2) | instskip(NEXT) | instid1(VALU_DEP_2)
	v_cmp_eq_u32_e32 vcc_lo, 0, v8
	v_min_u32_e32 v5, 32, v5
	s_delay_alu instid0(VALU_DEP_1) | instskip(NEXT) | instid1(VALU_DEP_1)
	v_subrev_nc_u32_e32 v6, 28, v5
	v_dual_lshlrev_b32 v3, v6, v3 :: v_dual_sub_nc_u32 v5, 29, v5
	s_delay_alu instid0(VALU_DEP_1) | instskip(NEXT) | instid1(VALU_DEP_2)
	v_dual_lshlrev_b32 v2, 24, v2 :: v_dual_bitop2_b32 v3, 7, v3 bitop3:0x40
	v_cndmask_b32_e32 v5, v8, v5, vcc_lo
	s_delay_alu instid0(VALU_DEP_2) | instskip(NEXT) | instid1(VALU_DEP_3)
	v_cndmask_b32_e32 v3, v4, v3, vcc_lo
	v_and_b32_e32 v2, 0x80000000, v2
	s_delay_alu instid0(VALU_DEP_3) | instskip(NEXT) | instid1(VALU_DEP_3)
	v_lshl_add_u32 v4, v5, 23, 0x3b800000
	v_lshlrev_b32_e32 v3, 20, v3
	s_delay_alu instid0(VALU_DEP_1) | instskip(NEXT) | instid1(VALU_DEP_1)
	v_or3_b32 v2, v2, v4, v3
	v_cvt_i32_f32_e32 v8, v2
.LBB22_163:
	s_or_b32 exec_lo, exec_lo, s27
.LBB22_164:
	s_mov_b32 s27, -1
.LBB22_165:
	s_mov_b32 s36, 0
.LBB22_166:
	s_delay_alu instid0(SALU_CYCLE_1)
	s_and_b32 vcc_lo, exec_lo, s36
	s_cbranch_vccz .LBB22_199
; %bb.167:
	s_cmp_gt_i32 s1, 22
	s_cbranch_scc0 .LBB22_175
; %bb.168:
	s_cmp_lt_i32 s1, 24
	s_cbranch_scc1 .LBB22_178
; %bb.169:
	s_cmp_gt_i32 s1, 24
	s_cbranch_scc0 .LBB22_179
; %bb.170:
	global_load_u8 v2, v[0:1], off
	s_mov_b32 s36, 0
	s_mov_b32 s27, exec_lo
	s_wait_loadcnt 0x0
	v_cmpx_lt_i16_e32 0x7f, v2
	s_xor_b32 s27, exec_lo, s27
	s_cbranch_execz .LBB22_191
; %bb.171:
	v_cmp_ne_u16_e32 vcc_lo, 0x80, v2
	s_and_b32 s36, vcc_lo, exec_lo
	s_and_not1_saveexec_b32 s27, s27
	s_cbranch_execnz .LBB22_192
.LBB22_172:
	s_or_b32 exec_lo, exec_lo, s27
	v_mov_b32_e32 v8, 0
	s_and_saveexec_b32 s27, s36
	s_cbranch_execz .LBB22_174
.LBB22_173:
	v_and_b32_e32 v3, 0xffff, v2
	s_delay_alu instid0(VALU_DEP_1) | instskip(SKIP_1) | instid1(VALU_DEP_2)
	v_and_b32_e32 v4, 3, v3
	v_bfe_u32 v8, v3, 2, 5
	v_clz_i32_u32_e32 v5, v4
	s_delay_alu instid0(VALU_DEP_2) | instskip(NEXT) | instid1(VALU_DEP_2)
	v_cmp_eq_u32_e32 vcc_lo, 0, v8
	v_min_u32_e32 v5, 32, v5
	s_delay_alu instid0(VALU_DEP_1) | instskip(NEXT) | instid1(VALU_DEP_1)
	v_subrev_nc_u32_e32 v6, 29, v5
	v_dual_lshlrev_b32 v3, v6, v3 :: v_dual_sub_nc_u32 v5, 30, v5
	s_delay_alu instid0(VALU_DEP_1) | instskip(NEXT) | instid1(VALU_DEP_2)
	v_dual_lshlrev_b32 v2, 24, v2 :: v_dual_bitop2_b32 v3, 3, v3 bitop3:0x40
	v_cndmask_b32_e32 v5, v8, v5, vcc_lo
	s_delay_alu instid0(VALU_DEP_2) | instskip(NEXT) | instid1(VALU_DEP_3)
	v_cndmask_b32_e32 v3, v4, v3, vcc_lo
	v_and_b32_e32 v2, 0x80000000, v2
	s_delay_alu instid0(VALU_DEP_3) | instskip(NEXT) | instid1(VALU_DEP_3)
	v_lshl_add_u32 v4, v5, 23, 0x37800000
	v_lshlrev_b32_e32 v3, 21, v3
	s_delay_alu instid0(VALU_DEP_1) | instskip(NEXT) | instid1(VALU_DEP_1)
	v_or3_b32 v2, v2, v4, v3
	v_cvt_i32_f32_e32 v8, v2
.LBB22_174:
	s_or_b32 exec_lo, exec_lo, s27
	s_mov_b32 s27, 0
	s_branch .LBB22_180
.LBB22_175:
	s_mov_b32 s36, -1
                                        ; implicit-def: $vgpr8
	s_branch .LBB22_186
.LBB22_176:
	s_and_not1_saveexec_b32 s27, s27
	s_cbranch_execz .LBB22_161
.LBB22_177:
	v_cmp_ne_u16_e32 vcc_lo, 0, v2
	s_and_not1_b32 s36, s36, exec_lo
	s_and_b32 s37, vcc_lo, exec_lo
	s_delay_alu instid0(SALU_CYCLE_1)
	s_or_b32 s36, s36, s37
	s_or_b32 exec_lo, exec_lo, s27
	v_mov_b32_e32 v8, 0
	s_and_saveexec_b32 s27, s36
	s_cbranch_execnz .LBB22_162
	s_branch .LBB22_163
.LBB22_178:
	s_mov_b32 s27, -1
                                        ; implicit-def: $vgpr8
	s_branch .LBB22_183
.LBB22_179:
	s_mov_b32 s27, -1
                                        ; implicit-def: $vgpr8
.LBB22_180:
	s_delay_alu instid0(SALU_CYCLE_1)
	s_and_b32 vcc_lo, exec_lo, s27
	s_cbranch_vccz .LBB22_182
; %bb.181:
	global_load_u8 v2, v[0:1], off
	s_wait_loadcnt 0x0
	v_lshlrev_b32_e32 v2, 24, v2
	s_delay_alu instid0(VALU_DEP_1) | instskip(NEXT) | instid1(VALU_DEP_1)
	v_and_b32_e32 v3, 0x7f000000, v2
	v_clz_i32_u32_e32 v4, v3
	v_cmp_ne_u32_e32 vcc_lo, 0, v3
	v_add_nc_u32_e32 v6, 0x1000000, v3
	s_delay_alu instid0(VALU_DEP_3) | instskip(NEXT) | instid1(VALU_DEP_1)
	v_min_u32_e32 v4, 32, v4
	v_sub_nc_u32_e64 v4, v4, 4 clamp
	s_delay_alu instid0(VALU_DEP_1) | instskip(NEXT) | instid1(VALU_DEP_1)
	v_dual_lshlrev_b32 v5, v4, v3 :: v_dual_lshlrev_b32 v4, 23, v4
	v_lshrrev_b32_e32 v5, 4, v5
	s_delay_alu instid0(VALU_DEP_1) | instskip(NEXT) | instid1(VALU_DEP_1)
	v_dual_sub_nc_u32 v4, v5, v4 :: v_dual_ashrrev_i32 v5, 8, v6
	v_add_nc_u32_e32 v4, 0x3c000000, v4
	s_delay_alu instid0(VALU_DEP_1) | instskip(NEXT) | instid1(VALU_DEP_1)
	v_and_or_b32 v4, 0x7f800000, v5, v4
	v_cndmask_b32_e32 v3, 0, v4, vcc_lo
	s_delay_alu instid0(VALU_DEP_1) | instskip(NEXT) | instid1(VALU_DEP_1)
	v_and_or_b32 v2, 0x80000000, v2, v3
	v_cvt_i32_f32_e32 v8, v2
.LBB22_182:
	s_mov_b32 s27, 0
.LBB22_183:
	s_delay_alu instid0(SALU_CYCLE_1)
	s_and_not1_b32 vcc_lo, exec_lo, s27
	s_cbranch_vccnz .LBB22_185
; %bb.184:
	global_load_u8 v2, v[0:1], off
	s_wait_loadcnt 0x0
	v_lshlrev_b32_e32 v3, 25, v2
	v_lshlrev_b16 v2, 8, v2
	s_delay_alu instid0(VALU_DEP_1) | instskip(SKIP_1) | instid1(VALU_DEP_2)
	v_and_or_b32 v5, 0x7f00, v2, 0.5
	v_bfe_i32 v2, v2, 0, 16
	v_dual_add_f32 v5, -0.5, v5 :: v_dual_lshrrev_b32 v4, 4, v3
	v_cmp_gt_u32_e32 vcc_lo, 0x8000000, v3
	s_delay_alu instid0(VALU_DEP_2) | instskip(NEXT) | instid1(VALU_DEP_1)
	v_or_b32_e32 v4, 0x70000000, v4
	v_mul_f32_e32 v4, 0x7800000, v4
	s_delay_alu instid0(VALU_DEP_1) | instskip(NEXT) | instid1(VALU_DEP_1)
	v_cndmask_b32_e32 v3, v4, v5, vcc_lo
	v_and_or_b32 v2, 0x80000000, v2, v3
	s_delay_alu instid0(VALU_DEP_1)
	v_cvt_i32_f32_e32 v8, v2
.LBB22_185:
	s_mov_b32 s36, 0
	s_mov_b32 s27, -1
.LBB22_186:
	s_and_not1_b32 vcc_lo, exec_lo, s36
	s_cbranch_vccnz .LBB22_199
; %bb.187:
	s_cmp_gt_i32 s1, 14
	s_cbranch_scc0 .LBB22_190
; %bb.188:
	s_cmp_eq_u32 s1, 15
	s_cbranch_scc0 .LBB22_193
; %bb.189:
	global_load_u16 v2, v[0:1], off
	s_mov_b32 s27, -1
	s_mov_b32 s64, 0
	s_wait_loadcnt 0x0
	v_lshlrev_b32_e32 v2, 16, v2
	s_delay_alu instid0(VALU_DEP_1)
	v_cvt_i32_f32_e32 v8, v2
	s_branch .LBB22_194
.LBB22_190:
	s_mov_b32 s36, -1
                                        ; implicit-def: $vgpr8
	s_branch .LBB22_195
.LBB22_191:
	s_and_not1_saveexec_b32 s27, s27
	s_cbranch_execz .LBB22_172
.LBB22_192:
	v_cmp_ne_u16_e32 vcc_lo, 0, v2
	s_and_not1_b32 s36, s36, exec_lo
	s_and_b32 s37, vcc_lo, exec_lo
	s_delay_alu instid0(SALU_CYCLE_1)
	s_or_b32 s36, s36, s37
	s_or_b32 exec_lo, exec_lo, s27
	v_mov_b32_e32 v8, 0
	s_and_saveexec_b32 s27, s36
	s_cbranch_execnz .LBB22_173
	s_branch .LBB22_174
.LBB22_193:
	s_mov_b32 s64, -1
                                        ; implicit-def: $vgpr8
.LBB22_194:
	s_mov_b32 s36, 0
.LBB22_195:
	s_delay_alu instid0(SALU_CYCLE_1)
	s_and_b32 vcc_lo, exec_lo, s36
	s_cbranch_vccz .LBB22_199
; %bb.196:
	s_cmp_eq_u32 s1, 11
	s_cbranch_scc0 .LBB22_198
; %bb.197:
	global_load_u8 v2, v[0:1], off
	s_mov_b32 s64, 0
	s_mov_b32 s27, -1
	s_wait_loadcnt 0x0
	v_cmp_ne_u16_e32 vcc_lo, 0, v2
	v_cndmask_b32_e64 v8, 0, 1, vcc_lo
	s_branch .LBB22_199
.LBB22_198:
	s_mov_b32 s64, -1
                                        ; implicit-def: $vgpr8
.LBB22_199:
	s_branch .LBB22_132
.LBB22_200:
	s_and_b32 s0, 0xffff, s0
	s_delay_alu instid0(SALU_CYCLE_1)
	s_cmp_lt_i32 s0, 5
	s_cbranch_scc1 .LBB22_205
; %bb.201:
	s_cmp_lt_i32 s0, 8
	s_cbranch_scc1 .LBB22_206
; %bb.202:
	;; [unrolled: 3-line block ×3, first 2 shown]
	s_cmp_gt_i32 s0, 9
	s_cbranch_scc0 .LBB22_208
; %bb.204:
	global_load_b64 v[2:3], v[0:1], off
	s_mov_b32 s1, 0
	s_wait_loadcnt 0x0
	v_cvt_i32_f64_e32 v8, v[2:3]
	s_branch .LBB22_209
.LBB22_205:
	s_mov_b32 s1, -1
                                        ; implicit-def: $vgpr8
	s_branch .LBB22_227
.LBB22_206:
	s_mov_b32 s1, -1
                                        ; implicit-def: $vgpr8
	s_branch .LBB22_215
.LBB22_207:
	s_mov_b32 s1, -1
                                        ; implicit-def: $vgpr8
	s_branch .LBB22_212
.LBB22_208:
	s_mov_b32 s1, -1
                                        ; implicit-def: $vgpr8
.LBB22_209:
	s_delay_alu instid0(SALU_CYCLE_1)
	s_and_not1_b32 vcc_lo, exec_lo, s1
	s_cbranch_vccnz .LBB22_211
; %bb.210:
	global_load_b32 v2, v[0:1], off
	s_wait_loadcnt 0x0
	v_cvt_i32_f32_e32 v8, v2
.LBB22_211:
	s_mov_b32 s1, 0
.LBB22_212:
	s_delay_alu instid0(SALU_CYCLE_1)
	s_and_not1_b32 vcc_lo, exec_lo, s1
	s_cbranch_vccnz .LBB22_214
; %bb.213:
	global_load_b32 v2, v[0:1], off
	s_wait_loadcnt 0x0
	v_cvt_f32_f16_e32 v2, v2
	s_delay_alu instid0(VALU_DEP_1)
	v_cvt_i32_f32_e32 v8, v2
.LBB22_214:
	s_mov_b32 s1, 0
.LBB22_215:
	s_delay_alu instid0(SALU_CYCLE_1)
	s_and_not1_b32 vcc_lo, exec_lo, s1
	s_cbranch_vccnz .LBB22_226
; %bb.216:
	s_cmp_lt_i32 s0, 6
	s_cbranch_scc1 .LBB22_219
; %bb.217:
	s_cmp_gt_i32 s0, 6
	s_cbranch_scc0 .LBB22_220
; %bb.218:
	global_load_b64 v[2:3], v[0:1], off
	s_mov_b32 s1, 0
	s_wait_loadcnt 0x0
	v_cvt_i32_f64_e32 v8, v[2:3]
	s_branch .LBB22_221
.LBB22_219:
	s_mov_b32 s1, -1
                                        ; implicit-def: $vgpr8
	s_branch .LBB22_224
.LBB22_220:
	s_mov_b32 s1, -1
                                        ; implicit-def: $vgpr8
.LBB22_221:
	s_delay_alu instid0(SALU_CYCLE_1)
	s_and_not1_b32 vcc_lo, exec_lo, s1
	s_cbranch_vccnz .LBB22_223
; %bb.222:
	global_load_b32 v2, v[0:1], off
	s_wait_loadcnt 0x0
	v_cvt_i32_f32_e32 v8, v2
.LBB22_223:
	s_mov_b32 s1, 0
.LBB22_224:
	s_delay_alu instid0(SALU_CYCLE_1)
	s_and_not1_b32 vcc_lo, exec_lo, s1
	s_cbranch_vccnz .LBB22_226
; %bb.225:
	global_load_u16 v2, v[0:1], off
	s_wait_loadcnt 0x0
	v_cvt_f32_f16_e32 v2, v2
	s_delay_alu instid0(VALU_DEP_1)
	v_cvt_i32_f32_e32 v8, v2
.LBB22_226:
	s_mov_b32 s1, 0
.LBB22_227:
	s_delay_alu instid0(SALU_CYCLE_1)
	s_and_not1_b32 vcc_lo, exec_lo, s1
	s_cbranch_vccnz .LBB22_247
; %bb.228:
	s_cmp_lt_i32 s0, 2
	s_cbranch_scc1 .LBB22_232
; %bb.229:
	s_cmp_lt_i32 s0, 3
	s_cbranch_scc1 .LBB22_233
; %bb.230:
	s_cmp_gt_i32 s0, 3
	s_cbranch_scc0 .LBB22_234
; %bb.231:
	s_wait_loadcnt 0x0
	global_load_b32 v8, v[0:1], off
	s_mov_b32 s1, 0
	s_branch .LBB22_235
.LBB22_232:
	s_mov_b32 s1, -1
                                        ; implicit-def: $vgpr8
	s_branch .LBB22_241
.LBB22_233:
	s_mov_b32 s1, -1
                                        ; implicit-def: $vgpr8
	s_branch .LBB22_238
.LBB22_234:
	s_mov_b32 s1, -1
                                        ; implicit-def: $vgpr8
.LBB22_235:
	s_delay_alu instid0(SALU_CYCLE_1)
	s_and_not1_b32 vcc_lo, exec_lo, s1
	s_cbranch_vccnz .LBB22_237
; %bb.236:
	s_wait_loadcnt 0x0
	global_load_b32 v8, v[0:1], off
.LBB22_237:
	s_mov_b32 s1, 0
.LBB22_238:
	s_delay_alu instid0(SALU_CYCLE_1)
	s_and_not1_b32 vcc_lo, exec_lo, s1
	s_cbranch_vccnz .LBB22_240
; %bb.239:
	s_wait_loadcnt 0x0
	global_load_i16 v8, v[0:1], off
.LBB22_240:
	s_mov_b32 s1, 0
.LBB22_241:
	s_delay_alu instid0(SALU_CYCLE_1)
	s_and_not1_b32 vcc_lo, exec_lo, s1
	s_cbranch_vccnz .LBB22_247
; %bb.242:
	s_cmp_gt_i32 s0, 0
	s_mov_b32 s0, 0
	s_cbranch_scc0 .LBB22_244
; %bb.243:
	s_wait_loadcnt 0x0
	global_load_i8 v8, v[0:1], off
	s_branch .LBB22_245
.LBB22_244:
	s_mov_b32 s0, -1
                                        ; implicit-def: $vgpr8
.LBB22_245:
	s_delay_alu instid0(SALU_CYCLE_1)
	s_and_not1_b32 vcc_lo, exec_lo, s0
	s_cbranch_vccnz .LBB22_247
; %bb.246:
	s_wait_loadcnt 0x0
	global_load_u8 v8, v[0:1], off
.LBB22_247:
.LBB22_248:
	s_wait_xcnt 0x0
	v_mul_lo_u32 v0, s22, v22
	s_and_b32 s0, s34, 0xff
	s_delay_alu instid0(SALU_CYCLE_1) | instskip(NEXT) | instid1(VALU_DEP_1)
	s_cmp_lt_i32 s0, 11
	v_ashrrev_i32_e32 v1, 31, v0
	s_delay_alu instid0(VALU_DEP_1)
	v_add_nc_u64_e32 v[2:3], s[8:9], v[0:1]
	s_cbranch_scc1 .LBB22_255
; %bb.249:
	s_and_b32 s1, 0xffff, s0
	s_delay_alu instid0(SALU_CYCLE_1)
	s_cmp_gt_i32 s1, 25
	s_cbranch_scc0 .LBB22_256
; %bb.250:
	s_cmp_gt_i32 s1, 28
	s_cbranch_scc0 .LBB22_257
; %bb.251:
	s_cmp_gt_i32 s1, 43
	s_cbranch_scc0 .LBB22_258
; %bb.252:
	s_cmp_gt_i32 s1, 45
	s_cbranch_scc0 .LBB22_259
; %bb.253:
	s_cmp_eq_u32 s1, 46
	s_mov_b32 s36, 0
	s_cbranch_scc0 .LBB22_260
; %bb.254:
	global_load_b32 v0, v[2:3], off
	s_mov_b32 s27, -1
	s_wait_loadcnt 0x0
	v_lshlrev_b32_e32 v0, 16, v0
	s_delay_alu instid0(VALU_DEP_1)
	v_cvt_i32_f32_e32 v0, v0
	s_branch .LBB22_262
.LBB22_255:
	s_mov_b32 s1, -1
	s_mov_b32 s27, 0
                                        ; implicit-def: $vgpr0
	s_branch .LBB22_323
.LBB22_256:
	s_mov_b32 s36, -1
	s_mov_b32 s27, 0
                                        ; implicit-def: $vgpr0
	s_branch .LBB22_289
.LBB22_257:
	s_mov_b32 s36, -1
	s_mov_b32 s27, 0
                                        ; implicit-def: $vgpr0
	s_branch .LBB22_272
.LBB22_258:
	s_mov_b32 s36, -1
	s_mov_b32 s27, 0
                                        ; implicit-def: $vgpr0
	s_branch .LBB22_267
.LBB22_259:
	s_mov_b32 s36, -1
	s_branch .LBB22_261
.LBB22_260:
	s_mov_b32 s63, -1
.LBB22_261:
	s_mov_b32 s27, 0
                                        ; implicit-def: $vgpr0
.LBB22_262:
	s_and_b32 vcc_lo, exec_lo, s36
	s_cbranch_vccz .LBB22_266
; %bb.263:
	s_cmp_eq_u32 s1, 44
	s_cbranch_scc0 .LBB22_265
; %bb.264:
	global_load_u8 v0, v[2:3], off
	s_mov_b32 s63, 0
	s_mov_b32 s27, -1
	s_wait_loadcnt 0x0
	v_lshlrev_b32_e32 v1, 23, v0
	v_cmp_ne_u32_e32 vcc_lo, 0, v0
	s_delay_alu instid0(VALU_DEP_2) | instskip(NEXT) | instid1(VALU_DEP_1)
	v_cvt_i32_f32_e32 v1, v1
	v_cndmask_b32_e32 v0, 0, v1, vcc_lo
	s_branch .LBB22_266
.LBB22_265:
	s_mov_b32 s63, -1
                                        ; implicit-def: $vgpr0
.LBB22_266:
	s_mov_b32 s36, 0
.LBB22_267:
	s_delay_alu instid0(SALU_CYCLE_1)
	s_and_b32 vcc_lo, exec_lo, s36
	s_cbranch_vccz .LBB22_271
; %bb.268:
	s_cmp_eq_u32 s1, 29
	s_cbranch_scc0 .LBB22_270
; %bb.269:
	global_load_b32 v0, v[2:3], off
	s_mov_b32 s27, -1
	s_mov_b32 s63, 0
	s_branch .LBB22_271
.LBB22_270:
	s_mov_b32 s63, -1
                                        ; implicit-def: $vgpr0
.LBB22_271:
	s_mov_b32 s36, 0
.LBB22_272:
	s_delay_alu instid0(SALU_CYCLE_1)
	s_and_b32 vcc_lo, exec_lo, s36
	s_cbranch_vccz .LBB22_288
; %bb.273:
	s_cmp_lt_i32 s1, 27
	s_cbranch_scc1 .LBB22_276
; %bb.274:
	s_cmp_gt_i32 s1, 27
	s_cbranch_scc0 .LBB22_277
; %bb.275:
	s_wait_loadcnt 0x0
	global_load_b32 v0, v[2:3], off
	s_mov_b32 s27, 0
	s_branch .LBB22_278
.LBB22_276:
	s_mov_b32 s27, -1
                                        ; implicit-def: $vgpr0
	s_branch .LBB22_281
.LBB22_277:
	s_mov_b32 s27, -1
                                        ; implicit-def: $vgpr0
.LBB22_278:
	s_delay_alu instid0(SALU_CYCLE_1)
	s_and_not1_b32 vcc_lo, exec_lo, s27
	s_cbranch_vccnz .LBB22_280
; %bb.279:
	s_wait_loadcnt 0x0
	global_load_u16 v0, v[2:3], off
.LBB22_280:
	s_mov_b32 s27, 0
.LBB22_281:
	s_delay_alu instid0(SALU_CYCLE_1)
	s_and_not1_b32 vcc_lo, exec_lo, s27
	s_cbranch_vccnz .LBB22_287
; %bb.282:
	global_load_u8 v1, v[2:3], off
	s_mov_b32 s36, 0
	s_mov_b32 s27, exec_lo
	s_wait_loadcnt 0x0
	v_cmpx_lt_i16_e32 0x7f, v1
	s_xor_b32 s27, exec_lo, s27
	s_cbranch_execz .LBB22_299
; %bb.283:
	v_cmp_ne_u16_e32 vcc_lo, 0x80, v1
	s_and_b32 s36, vcc_lo, exec_lo
	s_and_not1_saveexec_b32 s27, s27
	s_cbranch_execnz .LBB22_300
.LBB22_284:
	s_or_b32 exec_lo, exec_lo, s27
	v_mov_b32_e32 v0, 0
	s_and_saveexec_b32 s27, s36
	s_cbranch_execz .LBB22_286
.LBB22_285:
	v_and_b32_e32 v0, 0xffff, v1
	s_delay_alu instid0(VALU_DEP_1) | instskip(SKIP_1) | instid1(VALU_DEP_2)
	v_and_b32_e32 v4, 7, v0
	v_bfe_u32 v9, v0, 3, 4
	v_clz_i32_u32_e32 v5, v4
	s_delay_alu instid0(VALU_DEP_2) | instskip(NEXT) | instid1(VALU_DEP_2)
	v_cmp_eq_u32_e32 vcc_lo, 0, v9
	v_min_u32_e32 v5, 32, v5
	s_delay_alu instid0(VALU_DEP_1) | instskip(NEXT) | instid1(VALU_DEP_1)
	v_subrev_nc_u32_e32 v6, 28, v5
	v_dual_lshlrev_b32 v0, v6, v0 :: v_dual_sub_nc_u32 v5, 29, v5
	s_delay_alu instid0(VALU_DEP_1) | instskip(NEXT) | instid1(VALU_DEP_1)
	v_dual_lshlrev_b32 v1, 24, v1 :: v_dual_bitop2_b32 v0, 7, v0 bitop3:0x40
	v_dual_cndmask_b32 v0, v4, v0 :: v_dual_cndmask_b32 v5, v9, v5
	s_delay_alu instid0(VALU_DEP_2) | instskip(NEXT) | instid1(VALU_DEP_2)
	v_and_b32_e32 v1, 0x80000000, v1
	v_lshlrev_b32_e32 v0, 20, v0
	s_delay_alu instid0(VALU_DEP_3) | instskip(NEXT) | instid1(VALU_DEP_1)
	v_lshl_add_u32 v4, v5, 23, 0x3b800000
	v_or3_b32 v0, v1, v4, v0
	s_delay_alu instid0(VALU_DEP_1)
	v_cvt_i32_f32_e32 v0, v0
.LBB22_286:
	s_or_b32 exec_lo, exec_lo, s27
.LBB22_287:
	s_mov_b32 s27, -1
.LBB22_288:
	s_mov_b32 s36, 0
.LBB22_289:
	s_delay_alu instid0(SALU_CYCLE_1)
	s_and_b32 vcc_lo, exec_lo, s36
	s_cbranch_vccz .LBB22_322
; %bb.290:
	s_cmp_gt_i32 s1, 22
	s_cbranch_scc0 .LBB22_298
; %bb.291:
	s_cmp_lt_i32 s1, 24
	s_cbranch_scc1 .LBB22_301
; %bb.292:
	s_cmp_gt_i32 s1, 24
	s_cbranch_scc0 .LBB22_302
; %bb.293:
	global_load_u8 v1, v[2:3], off
	s_mov_b32 s36, 0
	s_mov_b32 s27, exec_lo
	s_wait_loadcnt 0x0
	v_cmpx_lt_i16_e32 0x7f, v1
	s_xor_b32 s27, exec_lo, s27
	s_cbranch_execz .LBB22_314
; %bb.294:
	v_cmp_ne_u16_e32 vcc_lo, 0x80, v1
	s_and_b32 s36, vcc_lo, exec_lo
	s_and_not1_saveexec_b32 s27, s27
	s_cbranch_execnz .LBB22_315
.LBB22_295:
	s_or_b32 exec_lo, exec_lo, s27
	v_mov_b32_e32 v0, 0
	s_and_saveexec_b32 s27, s36
	s_cbranch_execz .LBB22_297
.LBB22_296:
	v_and_b32_e32 v0, 0xffff, v1
	s_delay_alu instid0(VALU_DEP_1) | instskip(SKIP_1) | instid1(VALU_DEP_2)
	v_and_b32_e32 v4, 3, v0
	v_bfe_u32 v9, v0, 2, 5
	v_clz_i32_u32_e32 v5, v4
	s_delay_alu instid0(VALU_DEP_2) | instskip(NEXT) | instid1(VALU_DEP_2)
	v_cmp_eq_u32_e32 vcc_lo, 0, v9
	v_min_u32_e32 v5, 32, v5
	s_delay_alu instid0(VALU_DEP_1) | instskip(NEXT) | instid1(VALU_DEP_1)
	v_subrev_nc_u32_e32 v6, 29, v5
	v_dual_lshlrev_b32 v0, v6, v0 :: v_dual_sub_nc_u32 v5, 30, v5
	s_delay_alu instid0(VALU_DEP_1) | instskip(NEXT) | instid1(VALU_DEP_1)
	v_dual_lshlrev_b32 v1, 24, v1 :: v_dual_bitop2_b32 v0, 3, v0 bitop3:0x40
	v_dual_cndmask_b32 v0, v4, v0 :: v_dual_cndmask_b32 v5, v9, v5
	s_delay_alu instid0(VALU_DEP_2) | instskip(NEXT) | instid1(VALU_DEP_2)
	v_and_b32_e32 v1, 0x80000000, v1
	v_lshlrev_b32_e32 v0, 21, v0
	s_delay_alu instid0(VALU_DEP_3) | instskip(NEXT) | instid1(VALU_DEP_1)
	v_lshl_add_u32 v4, v5, 23, 0x37800000
	v_or3_b32 v0, v1, v4, v0
	s_delay_alu instid0(VALU_DEP_1)
	v_cvt_i32_f32_e32 v0, v0
.LBB22_297:
	s_or_b32 exec_lo, exec_lo, s27
	s_mov_b32 s27, 0
	s_branch .LBB22_303
.LBB22_298:
	s_mov_b32 s36, -1
                                        ; implicit-def: $vgpr0
	s_branch .LBB22_309
.LBB22_299:
	s_and_not1_saveexec_b32 s27, s27
	s_cbranch_execz .LBB22_284
.LBB22_300:
	v_cmp_ne_u16_e32 vcc_lo, 0, v1
	s_and_not1_b32 s36, s36, exec_lo
	s_and_b32 s37, vcc_lo, exec_lo
	s_delay_alu instid0(SALU_CYCLE_1)
	s_or_b32 s36, s36, s37
	s_or_b32 exec_lo, exec_lo, s27
	v_mov_b32_e32 v0, 0
	s_and_saveexec_b32 s27, s36
	s_cbranch_execnz .LBB22_285
	s_branch .LBB22_286
.LBB22_301:
	s_mov_b32 s27, -1
                                        ; implicit-def: $vgpr0
	s_branch .LBB22_306
.LBB22_302:
	s_mov_b32 s27, -1
                                        ; implicit-def: $vgpr0
.LBB22_303:
	s_delay_alu instid0(SALU_CYCLE_1)
	s_and_b32 vcc_lo, exec_lo, s27
	s_cbranch_vccz .LBB22_305
; %bb.304:
	s_wait_loadcnt 0x0
	global_load_u8 v0, v[2:3], off
	s_wait_loadcnt 0x0
	v_lshlrev_b32_e32 v0, 24, v0
	s_delay_alu instid0(VALU_DEP_1) | instskip(NEXT) | instid1(VALU_DEP_1)
	v_and_b32_e32 v1, 0x7f000000, v0
	v_clz_i32_u32_e32 v4, v1
	v_cmp_ne_u32_e32 vcc_lo, 0, v1
	v_add_nc_u32_e32 v6, 0x1000000, v1
	s_delay_alu instid0(VALU_DEP_3) | instskip(NEXT) | instid1(VALU_DEP_1)
	v_min_u32_e32 v4, 32, v4
	v_sub_nc_u32_e64 v4, v4, 4 clamp
	s_delay_alu instid0(VALU_DEP_1) | instskip(NEXT) | instid1(VALU_DEP_1)
	v_dual_lshlrev_b32 v5, v4, v1 :: v_dual_lshlrev_b32 v4, 23, v4
	v_lshrrev_b32_e32 v5, 4, v5
	s_delay_alu instid0(VALU_DEP_1) | instskip(NEXT) | instid1(VALU_DEP_1)
	v_dual_sub_nc_u32 v4, v5, v4 :: v_dual_ashrrev_i32 v5, 8, v6
	v_add_nc_u32_e32 v4, 0x3c000000, v4
	s_delay_alu instid0(VALU_DEP_1) | instskip(NEXT) | instid1(VALU_DEP_1)
	v_and_or_b32 v4, 0x7f800000, v5, v4
	v_cndmask_b32_e32 v1, 0, v4, vcc_lo
	s_delay_alu instid0(VALU_DEP_1) | instskip(NEXT) | instid1(VALU_DEP_1)
	v_and_or_b32 v0, 0x80000000, v0, v1
	v_cvt_i32_f32_e32 v0, v0
.LBB22_305:
	s_mov_b32 s27, 0
.LBB22_306:
	s_delay_alu instid0(SALU_CYCLE_1)
	s_and_not1_b32 vcc_lo, exec_lo, s27
	s_cbranch_vccnz .LBB22_308
; %bb.307:
	s_wait_loadcnt 0x0
	global_load_u8 v0, v[2:3], off
	s_wait_loadcnt 0x0
	v_lshlrev_b32_e32 v1, 25, v0
	v_lshlrev_b16 v0, 8, v0
	s_delay_alu instid0(VALU_DEP_1) | instskip(SKIP_1) | instid1(VALU_DEP_2)
	v_and_or_b32 v5, 0x7f00, v0, 0.5
	v_bfe_i32 v0, v0, 0, 16
	v_add_f32_e32 v5, -0.5, v5
	v_lshrrev_b32_e32 v4, 4, v1
	v_cmp_gt_u32_e32 vcc_lo, 0x8000000, v1
	s_delay_alu instid0(VALU_DEP_2) | instskip(NEXT) | instid1(VALU_DEP_1)
	v_or_b32_e32 v4, 0x70000000, v4
	v_mul_f32_e32 v4, 0x7800000, v4
	s_delay_alu instid0(VALU_DEP_1) | instskip(NEXT) | instid1(VALU_DEP_1)
	v_cndmask_b32_e32 v1, v4, v5, vcc_lo
	v_and_or_b32 v0, 0x80000000, v0, v1
	s_delay_alu instid0(VALU_DEP_1)
	v_cvt_i32_f32_e32 v0, v0
.LBB22_308:
	s_mov_b32 s36, 0
	s_mov_b32 s27, -1
.LBB22_309:
	s_and_not1_b32 vcc_lo, exec_lo, s36
	s_cbranch_vccnz .LBB22_322
; %bb.310:
	s_cmp_gt_i32 s1, 14
	s_cbranch_scc0 .LBB22_313
; %bb.311:
	s_cmp_eq_u32 s1, 15
	s_cbranch_scc0 .LBB22_316
; %bb.312:
	s_wait_loadcnt 0x0
	global_load_u16 v0, v[2:3], off
	s_mov_b32 s27, -1
	s_mov_b32 s63, 0
	s_wait_loadcnt 0x0
	v_lshlrev_b32_e32 v0, 16, v0
	s_delay_alu instid0(VALU_DEP_1)
	v_cvt_i32_f32_e32 v0, v0
	s_branch .LBB22_317
.LBB22_313:
	s_mov_b32 s36, -1
                                        ; implicit-def: $vgpr0
	s_branch .LBB22_318
.LBB22_314:
	s_and_not1_saveexec_b32 s27, s27
	s_cbranch_execz .LBB22_295
.LBB22_315:
	v_cmp_ne_u16_e32 vcc_lo, 0, v1
	s_and_not1_b32 s36, s36, exec_lo
	s_and_b32 s37, vcc_lo, exec_lo
	s_delay_alu instid0(SALU_CYCLE_1)
	s_or_b32 s36, s36, s37
	s_or_b32 exec_lo, exec_lo, s27
	v_mov_b32_e32 v0, 0
	s_and_saveexec_b32 s27, s36
	s_cbranch_execnz .LBB22_296
	s_branch .LBB22_297
.LBB22_316:
	s_mov_b32 s63, -1
                                        ; implicit-def: $vgpr0
.LBB22_317:
	s_mov_b32 s36, 0
.LBB22_318:
	s_delay_alu instid0(SALU_CYCLE_1)
	s_and_b32 vcc_lo, exec_lo, s36
	s_cbranch_vccz .LBB22_322
; %bb.319:
	s_cmp_eq_u32 s1, 11
	s_cbranch_scc0 .LBB22_321
; %bb.320:
	s_wait_loadcnt 0x0
	global_load_u8 v0, v[2:3], off
	s_mov_b32 s63, 0
	s_mov_b32 s27, -1
	s_wait_loadcnt 0x0
	v_cmp_ne_u16_e32 vcc_lo, 0, v0
	v_cndmask_b32_e64 v0, 0, 1, vcc_lo
	s_branch .LBB22_322
.LBB22_321:
	s_mov_b32 s63, -1
                                        ; implicit-def: $vgpr0
.LBB22_322:
	s_mov_b32 s1, 0
.LBB22_323:
	s_delay_alu instid0(SALU_CYCLE_1)
	s_and_b32 vcc_lo, exec_lo, s1
	s_cbranch_vccz .LBB22_372
; %bb.324:
	s_and_b32 s0, 0xffff, s0
	s_delay_alu instid0(SALU_CYCLE_1)
	s_cmp_lt_i32 s0, 5
	s_cbranch_scc1 .LBB22_329
; %bb.325:
	s_cmp_lt_i32 s0, 8
	s_cbranch_scc1 .LBB22_330
; %bb.326:
	;; [unrolled: 3-line block ×3, first 2 shown]
	s_cmp_gt_i32 s0, 9
	s_cbranch_scc0 .LBB22_332
; %bb.328:
	s_wait_loadcnt 0x0
	global_load_b64 v[0:1], v[2:3], off
	s_mov_b32 s1, 0
	s_wait_loadcnt 0x0
	v_cvt_i32_f64_e32 v0, v[0:1]
	s_branch .LBB22_333
.LBB22_329:
	s_mov_b32 s1, -1
                                        ; implicit-def: $vgpr0
	s_branch .LBB22_351
.LBB22_330:
	s_mov_b32 s1, -1
                                        ; implicit-def: $vgpr0
	s_branch .LBB22_339
.LBB22_331:
	s_mov_b32 s1, -1
                                        ; implicit-def: $vgpr0
	s_branch .LBB22_336
.LBB22_332:
	s_mov_b32 s1, -1
                                        ; implicit-def: $vgpr0
.LBB22_333:
	s_delay_alu instid0(SALU_CYCLE_1)
	s_and_not1_b32 vcc_lo, exec_lo, s1
	s_cbranch_vccnz .LBB22_335
; %bb.334:
	s_wait_loadcnt 0x0
	global_load_b32 v0, v[2:3], off
	s_wait_loadcnt 0x0
	v_cvt_i32_f32_e32 v0, v0
.LBB22_335:
	s_mov_b32 s1, 0
.LBB22_336:
	s_delay_alu instid0(SALU_CYCLE_1)
	s_and_not1_b32 vcc_lo, exec_lo, s1
	s_cbranch_vccnz .LBB22_338
; %bb.337:
	s_wait_loadcnt 0x0
	global_load_b32 v0, v[2:3], off
	s_wait_loadcnt 0x0
	v_cvt_f32_f16_e32 v0, v0
	s_delay_alu instid0(VALU_DEP_1)
	v_cvt_i32_f32_e32 v0, v0
.LBB22_338:
	s_mov_b32 s1, 0
.LBB22_339:
	s_delay_alu instid0(SALU_CYCLE_1)
	s_and_not1_b32 vcc_lo, exec_lo, s1
	s_cbranch_vccnz .LBB22_350
; %bb.340:
	s_cmp_lt_i32 s0, 6
	s_cbranch_scc1 .LBB22_343
; %bb.341:
	s_cmp_gt_i32 s0, 6
	s_cbranch_scc0 .LBB22_344
; %bb.342:
	s_wait_loadcnt 0x0
	global_load_b64 v[0:1], v[2:3], off
	s_mov_b32 s1, 0
	s_wait_loadcnt 0x0
	v_cvt_i32_f64_e32 v0, v[0:1]
	s_branch .LBB22_345
.LBB22_343:
	s_mov_b32 s1, -1
                                        ; implicit-def: $vgpr0
	s_branch .LBB22_348
.LBB22_344:
	s_mov_b32 s1, -1
                                        ; implicit-def: $vgpr0
.LBB22_345:
	s_delay_alu instid0(SALU_CYCLE_1)
	s_and_not1_b32 vcc_lo, exec_lo, s1
	s_cbranch_vccnz .LBB22_347
; %bb.346:
	s_wait_loadcnt 0x0
	global_load_b32 v0, v[2:3], off
	s_wait_loadcnt 0x0
	v_cvt_i32_f32_e32 v0, v0
.LBB22_347:
	s_mov_b32 s1, 0
.LBB22_348:
	s_delay_alu instid0(SALU_CYCLE_1)
	s_and_not1_b32 vcc_lo, exec_lo, s1
	s_cbranch_vccnz .LBB22_350
; %bb.349:
	s_wait_loadcnt 0x0
	global_load_u16 v0, v[2:3], off
	s_wait_loadcnt 0x0
	v_cvt_f32_f16_e32 v0, v0
	s_delay_alu instid0(VALU_DEP_1)
	v_cvt_i32_f32_e32 v0, v0
.LBB22_350:
	s_mov_b32 s1, 0
.LBB22_351:
	s_delay_alu instid0(SALU_CYCLE_1)
	s_and_not1_b32 vcc_lo, exec_lo, s1
	s_cbranch_vccnz .LBB22_371
; %bb.352:
	s_cmp_lt_i32 s0, 2
	s_cbranch_scc1 .LBB22_356
; %bb.353:
	s_cmp_lt_i32 s0, 3
	s_cbranch_scc1 .LBB22_357
; %bb.354:
	s_cmp_gt_i32 s0, 3
	s_cbranch_scc0 .LBB22_358
; %bb.355:
	s_wait_loadcnt 0x0
	global_load_b32 v0, v[2:3], off
	s_mov_b32 s1, 0
	s_branch .LBB22_359
.LBB22_356:
	s_mov_b32 s1, -1
                                        ; implicit-def: $vgpr0
	s_branch .LBB22_365
.LBB22_357:
	s_mov_b32 s1, -1
                                        ; implicit-def: $vgpr0
	s_branch .LBB22_362
.LBB22_358:
	s_mov_b32 s1, -1
                                        ; implicit-def: $vgpr0
.LBB22_359:
	s_delay_alu instid0(SALU_CYCLE_1)
	s_and_not1_b32 vcc_lo, exec_lo, s1
	s_cbranch_vccnz .LBB22_361
; %bb.360:
	s_wait_loadcnt 0x0
	global_load_b32 v0, v[2:3], off
.LBB22_361:
	s_mov_b32 s1, 0
.LBB22_362:
	s_delay_alu instid0(SALU_CYCLE_1)
	s_and_not1_b32 vcc_lo, exec_lo, s1
	s_cbranch_vccnz .LBB22_364
; %bb.363:
	s_wait_loadcnt 0x0
	global_load_i16 v0, v[2:3], off
.LBB22_364:
	s_mov_b32 s1, 0
.LBB22_365:
	s_delay_alu instid0(SALU_CYCLE_1)
	s_and_not1_b32 vcc_lo, exec_lo, s1
	s_cbranch_vccnz .LBB22_371
; %bb.366:
	s_cmp_gt_i32 s0, 0
	s_mov_b32 s0, 0
	s_cbranch_scc0 .LBB22_368
; %bb.367:
	s_wait_loadcnt 0x0
	global_load_i8 v0, v[2:3], off
	s_branch .LBB22_369
.LBB22_368:
	s_mov_b32 s0, -1
                                        ; implicit-def: $vgpr0
.LBB22_369:
	s_delay_alu instid0(SALU_CYCLE_1)
	s_and_not1_b32 vcc_lo, exec_lo, s0
	s_cbranch_vccnz .LBB22_371
; %bb.370:
	s_wait_loadcnt 0x0
	global_load_u8 v0, v[2:3], off
.LBB22_371:
	s_mov_b32 s27, -1
.LBB22_372:
	s_delay_alu instid0(SALU_CYCLE_1)
	s_and_not1_b32 vcc_lo, exec_lo, s27
	s_cbranch_vccnz .LBB22_628
; %bb.373:
	s_wait_xcnt 0x0
	v_mul_lo_u32 v2, s23, v22
	s_and_b32 s0, s15, 0xff
	s_delay_alu instid0(SALU_CYCLE_1) | instskip(NEXT) | instid1(VALU_DEP_1)
	s_cmp_lt_i32 s0, 11
	v_ashrrev_i32_e32 v3, 31, v2
	s_delay_alu instid0(VALU_DEP_1)
	v_add_nc_u64_e32 v[4:5], s[10:11], v[2:3]
	s_cbranch_scc1 .LBB22_380
; %bb.374:
	s_and_b32 s1, 0xffff, s0
	s_delay_alu instid0(SALU_CYCLE_1)
	s_cmp_gt_i32 s1, 25
	s_cbranch_scc0 .LBB22_381
; %bb.375:
	s_cmp_gt_i32 s1, 28
	s_cbranch_scc0 .LBB22_382
; %bb.376:
	s_cmp_gt_i32 s1, 43
	s_cbranch_scc0 .LBB22_383
; %bb.377:
	s_cmp_gt_i32 s1, 45
	s_cbranch_scc0 .LBB22_384
; %bb.378:
	s_cmp_eq_u32 s1, 46
	s_mov_b32 s36, 0
	s_cbranch_scc0 .LBB22_385
; %bb.379:
	global_load_b32 v1, v[4:5], off
	s_mov_b32 s27, -1
	s_wait_loadcnt 0x0
	v_lshlrev_b32_e32 v1, 16, v1
	s_delay_alu instid0(VALU_DEP_1)
	v_cvt_i32_f32_e32 v2, v1
	s_branch .LBB22_387
.LBB22_380:
	s_mov_b32 s1, -1
	s_mov_b32 s27, 0
                                        ; implicit-def: $vgpr2
	s_branch .LBB22_448
.LBB22_381:
	s_mov_b32 s36, -1
	s_mov_b32 s27, 0
                                        ; implicit-def: $vgpr2
	s_branch .LBB22_414
.LBB22_382:
	s_mov_b32 s36, -1
	s_mov_b32 s27, 0
                                        ; implicit-def: $vgpr2
	s_branch .LBB22_397
.LBB22_383:
	s_mov_b32 s36, -1
	s_mov_b32 s27, 0
                                        ; implicit-def: $vgpr2
	s_branch .LBB22_392
.LBB22_384:
	s_mov_b32 s36, -1
	s_branch .LBB22_386
.LBB22_385:
	s_mov_b32 s62, -1
.LBB22_386:
	s_mov_b32 s27, 0
                                        ; implicit-def: $vgpr2
.LBB22_387:
	s_and_b32 vcc_lo, exec_lo, s36
	s_cbranch_vccz .LBB22_391
; %bb.388:
	s_cmp_eq_u32 s1, 44
	s_cbranch_scc0 .LBB22_390
; %bb.389:
	global_load_u8 v1, v[4:5], off
	s_mov_b32 s62, 0
	s_mov_b32 s27, -1
	s_wait_loadcnt 0x0
	v_lshlrev_b32_e32 v2, 23, v1
	v_cmp_ne_u32_e32 vcc_lo, 0, v1
	s_delay_alu instid0(VALU_DEP_2) | instskip(NEXT) | instid1(VALU_DEP_1)
	v_cvt_i32_f32_e32 v2, v2
	v_cndmask_b32_e32 v2, 0, v2, vcc_lo
	s_branch .LBB22_391
.LBB22_390:
	s_mov_b32 s62, -1
                                        ; implicit-def: $vgpr2
.LBB22_391:
	s_mov_b32 s36, 0
.LBB22_392:
	s_delay_alu instid0(SALU_CYCLE_1)
	s_and_b32 vcc_lo, exec_lo, s36
	s_cbranch_vccz .LBB22_396
; %bb.393:
	s_cmp_eq_u32 s1, 29
	s_cbranch_scc0 .LBB22_395
; %bb.394:
	global_load_b32 v2, v[4:5], off
	s_mov_b32 s27, -1
	s_mov_b32 s62, 0
	s_branch .LBB22_396
.LBB22_395:
	s_mov_b32 s62, -1
                                        ; implicit-def: $vgpr2
.LBB22_396:
	s_mov_b32 s36, 0
.LBB22_397:
	s_delay_alu instid0(SALU_CYCLE_1)
	s_and_b32 vcc_lo, exec_lo, s36
	s_cbranch_vccz .LBB22_413
; %bb.398:
	s_cmp_lt_i32 s1, 27
	s_cbranch_scc1 .LBB22_401
; %bb.399:
	s_cmp_gt_i32 s1, 27
	s_cbranch_scc0 .LBB22_402
; %bb.400:
	s_wait_loadcnt 0x0
	global_load_b32 v2, v[4:5], off
	s_mov_b32 s27, 0
	s_branch .LBB22_403
.LBB22_401:
	s_mov_b32 s27, -1
                                        ; implicit-def: $vgpr2
	s_branch .LBB22_406
.LBB22_402:
	s_mov_b32 s27, -1
                                        ; implicit-def: $vgpr2
.LBB22_403:
	s_delay_alu instid0(SALU_CYCLE_1)
	s_and_not1_b32 vcc_lo, exec_lo, s27
	s_cbranch_vccnz .LBB22_405
; %bb.404:
	s_wait_loadcnt 0x0
	global_load_u16 v2, v[4:5], off
.LBB22_405:
	s_mov_b32 s27, 0
.LBB22_406:
	s_delay_alu instid0(SALU_CYCLE_1)
	s_and_not1_b32 vcc_lo, exec_lo, s27
	s_cbranch_vccnz .LBB22_412
; %bb.407:
	global_load_u8 v1, v[4:5], off
	s_mov_b32 s36, 0
	s_mov_b32 s27, exec_lo
	s_wait_loadcnt 0x0
	v_cmpx_lt_i16_e32 0x7f, v1
	s_xor_b32 s27, exec_lo, s27
	s_cbranch_execz .LBB22_424
; %bb.408:
	v_cmp_ne_u16_e32 vcc_lo, 0x80, v1
	s_and_b32 s36, vcc_lo, exec_lo
	s_and_not1_saveexec_b32 s27, s27
	s_cbranch_execnz .LBB22_425
.LBB22_409:
	s_or_b32 exec_lo, exec_lo, s27
	v_mov_b32_e32 v2, 0
	s_and_saveexec_b32 s27, s36
	s_cbranch_execz .LBB22_411
.LBB22_410:
	v_and_b32_e32 v2, 0xffff, v1
	s_delay_alu instid0(VALU_DEP_1) | instskip(SKIP_1) | instid1(VALU_DEP_2)
	v_dual_lshlrev_b32 v1, 24, v1 :: v_dual_bitop2_b32 v3, 7, v2 bitop3:0x40
	v_bfe_u32 v10, v2, 3, 4
	v_and_b32_e32 v1, 0x80000000, v1
	s_delay_alu instid0(VALU_DEP_3) | instskip(NEXT) | instid1(VALU_DEP_3)
	v_clz_i32_u32_e32 v6, v3
	v_cmp_eq_u32_e32 vcc_lo, 0, v10
	s_delay_alu instid0(VALU_DEP_2) | instskip(NEXT) | instid1(VALU_DEP_1)
	v_min_u32_e32 v6, 32, v6
	v_subrev_nc_u32_e32 v9, 28, v6
	v_sub_nc_u32_e32 v6, 29, v6
	s_delay_alu instid0(VALU_DEP_2) | instskip(NEXT) | instid1(VALU_DEP_2)
	v_lshlrev_b32_e32 v2, v9, v2
	v_cndmask_b32_e32 v6, v10, v6, vcc_lo
	s_delay_alu instid0(VALU_DEP_2) | instskip(NEXT) | instid1(VALU_DEP_1)
	v_and_b32_e32 v2, 7, v2
	v_cndmask_b32_e32 v2, v3, v2, vcc_lo
	s_delay_alu instid0(VALU_DEP_3) | instskip(NEXT) | instid1(VALU_DEP_2)
	v_lshl_add_u32 v3, v6, 23, 0x3b800000
	v_lshlrev_b32_e32 v2, 20, v2
	s_delay_alu instid0(VALU_DEP_1) | instskip(NEXT) | instid1(VALU_DEP_1)
	v_or3_b32 v1, v1, v3, v2
	v_cvt_i32_f32_e32 v2, v1
.LBB22_411:
	s_or_b32 exec_lo, exec_lo, s27
.LBB22_412:
	s_mov_b32 s27, -1
.LBB22_413:
	s_mov_b32 s36, 0
.LBB22_414:
	s_delay_alu instid0(SALU_CYCLE_1)
	s_and_b32 vcc_lo, exec_lo, s36
	s_cbranch_vccz .LBB22_447
; %bb.415:
	s_cmp_gt_i32 s1, 22
	s_cbranch_scc0 .LBB22_423
; %bb.416:
	s_cmp_lt_i32 s1, 24
	s_cbranch_scc1 .LBB22_426
; %bb.417:
	s_cmp_gt_i32 s1, 24
	s_cbranch_scc0 .LBB22_427
; %bb.418:
	global_load_u8 v1, v[4:5], off
	s_mov_b32 s36, 0
	s_mov_b32 s27, exec_lo
	s_wait_loadcnt 0x0
	v_cmpx_lt_i16_e32 0x7f, v1
	s_xor_b32 s27, exec_lo, s27
	s_cbranch_execz .LBB22_439
; %bb.419:
	v_cmp_ne_u16_e32 vcc_lo, 0x80, v1
	s_and_b32 s36, vcc_lo, exec_lo
	s_and_not1_saveexec_b32 s27, s27
	s_cbranch_execnz .LBB22_440
.LBB22_420:
	s_or_b32 exec_lo, exec_lo, s27
	v_mov_b32_e32 v2, 0
	s_and_saveexec_b32 s27, s36
	s_cbranch_execz .LBB22_422
.LBB22_421:
	v_and_b32_e32 v2, 0xffff, v1
	s_delay_alu instid0(VALU_DEP_1) | instskip(SKIP_1) | instid1(VALU_DEP_2)
	v_dual_lshlrev_b32 v1, 24, v1 :: v_dual_bitop2_b32 v3, 3, v2 bitop3:0x40
	v_bfe_u32 v10, v2, 2, 5
	v_and_b32_e32 v1, 0x80000000, v1
	s_delay_alu instid0(VALU_DEP_3) | instskip(NEXT) | instid1(VALU_DEP_3)
	v_clz_i32_u32_e32 v6, v3
	v_cmp_eq_u32_e32 vcc_lo, 0, v10
	s_delay_alu instid0(VALU_DEP_2) | instskip(NEXT) | instid1(VALU_DEP_1)
	v_min_u32_e32 v6, 32, v6
	v_subrev_nc_u32_e32 v9, 29, v6
	v_sub_nc_u32_e32 v6, 30, v6
	s_delay_alu instid0(VALU_DEP_2) | instskip(NEXT) | instid1(VALU_DEP_2)
	v_lshlrev_b32_e32 v2, v9, v2
	v_cndmask_b32_e32 v6, v10, v6, vcc_lo
	s_delay_alu instid0(VALU_DEP_2) | instskip(NEXT) | instid1(VALU_DEP_1)
	v_and_b32_e32 v2, 3, v2
	v_cndmask_b32_e32 v2, v3, v2, vcc_lo
	s_delay_alu instid0(VALU_DEP_3) | instskip(NEXT) | instid1(VALU_DEP_2)
	v_lshl_add_u32 v3, v6, 23, 0x37800000
	v_lshlrev_b32_e32 v2, 21, v2
	s_delay_alu instid0(VALU_DEP_1) | instskip(NEXT) | instid1(VALU_DEP_1)
	v_or3_b32 v1, v1, v3, v2
	v_cvt_i32_f32_e32 v2, v1
.LBB22_422:
	s_or_b32 exec_lo, exec_lo, s27
	s_mov_b32 s27, 0
	s_branch .LBB22_428
.LBB22_423:
	s_mov_b32 s36, -1
                                        ; implicit-def: $vgpr2
	s_branch .LBB22_434
.LBB22_424:
	s_and_not1_saveexec_b32 s27, s27
	s_cbranch_execz .LBB22_409
.LBB22_425:
	v_cmp_ne_u16_e32 vcc_lo, 0, v1
	s_and_not1_b32 s36, s36, exec_lo
	s_and_b32 s37, vcc_lo, exec_lo
	s_delay_alu instid0(SALU_CYCLE_1)
	s_or_b32 s36, s36, s37
	s_or_b32 exec_lo, exec_lo, s27
	v_mov_b32_e32 v2, 0
	s_and_saveexec_b32 s27, s36
	s_cbranch_execnz .LBB22_410
	s_branch .LBB22_411
.LBB22_426:
	s_mov_b32 s27, -1
                                        ; implicit-def: $vgpr2
	s_branch .LBB22_431
.LBB22_427:
	s_mov_b32 s27, -1
                                        ; implicit-def: $vgpr2
.LBB22_428:
	s_delay_alu instid0(SALU_CYCLE_1)
	s_and_b32 vcc_lo, exec_lo, s27
	s_cbranch_vccz .LBB22_430
; %bb.429:
	global_load_u8 v1, v[4:5], off
	s_wait_loadcnt 0x0
	v_lshlrev_b32_e32 v1, 24, v1
	s_delay_alu instid0(VALU_DEP_1) | instskip(NEXT) | instid1(VALU_DEP_1)
	v_and_b32_e32 v2, 0x7f000000, v1
	v_clz_i32_u32_e32 v3, v2
	v_cmp_ne_u32_e32 vcc_lo, 0, v2
	v_add_nc_u32_e32 v9, 0x1000000, v2
	s_delay_alu instid0(VALU_DEP_3) | instskip(NEXT) | instid1(VALU_DEP_1)
	v_min_u32_e32 v3, 32, v3
	v_sub_nc_u32_e64 v3, v3, 4 clamp
	s_delay_alu instid0(VALU_DEP_1) | instskip(NEXT) | instid1(VALU_DEP_1)
	v_dual_lshlrev_b32 v6, v3, v2 :: v_dual_lshlrev_b32 v3, 23, v3
	v_lshrrev_b32_e32 v6, 4, v6
	s_delay_alu instid0(VALU_DEP_1) | instskip(NEXT) | instid1(VALU_DEP_1)
	v_dual_sub_nc_u32 v3, v6, v3 :: v_dual_ashrrev_i32 v6, 8, v9
	v_add_nc_u32_e32 v3, 0x3c000000, v3
	s_delay_alu instid0(VALU_DEP_1) | instskip(NEXT) | instid1(VALU_DEP_1)
	v_and_or_b32 v3, 0x7f800000, v6, v3
	v_cndmask_b32_e32 v2, 0, v3, vcc_lo
	s_delay_alu instid0(VALU_DEP_1) | instskip(NEXT) | instid1(VALU_DEP_1)
	v_and_or_b32 v1, 0x80000000, v1, v2
	v_cvt_i32_f32_e32 v2, v1
.LBB22_430:
	s_mov_b32 s27, 0
.LBB22_431:
	s_delay_alu instid0(SALU_CYCLE_1)
	s_and_not1_b32 vcc_lo, exec_lo, s27
	s_cbranch_vccnz .LBB22_433
; %bb.432:
	global_load_u8 v1, v[4:5], off
	s_wait_loadcnt 0x0
	v_lshlrev_b32_e32 v2, 25, v1
	v_lshlrev_b16 v1, 8, v1
	s_delay_alu instid0(VALU_DEP_1) | instskip(SKIP_1) | instid1(VALU_DEP_2)
	v_and_or_b32 v6, 0x7f00, v1, 0.5
	v_bfe_i32 v1, v1, 0, 16
	v_add_f32_e32 v6, -0.5, v6
	v_lshrrev_b32_e32 v3, 4, v2
	v_cmp_gt_u32_e32 vcc_lo, 0x8000000, v2
	s_delay_alu instid0(VALU_DEP_2) | instskip(NEXT) | instid1(VALU_DEP_1)
	v_or_b32_e32 v3, 0x70000000, v3
	v_mul_f32_e32 v3, 0x7800000, v3
	s_delay_alu instid0(VALU_DEP_1) | instskip(NEXT) | instid1(VALU_DEP_1)
	v_cndmask_b32_e32 v2, v3, v6, vcc_lo
	v_and_or_b32 v1, 0x80000000, v1, v2
	s_delay_alu instid0(VALU_DEP_1)
	v_cvt_i32_f32_e32 v2, v1
.LBB22_433:
	s_mov_b32 s36, 0
	s_mov_b32 s27, -1
.LBB22_434:
	s_and_not1_b32 vcc_lo, exec_lo, s36
	s_cbranch_vccnz .LBB22_447
; %bb.435:
	s_cmp_gt_i32 s1, 14
	s_cbranch_scc0 .LBB22_438
; %bb.436:
	s_cmp_eq_u32 s1, 15
	s_cbranch_scc0 .LBB22_441
; %bb.437:
	global_load_u16 v1, v[4:5], off
	s_mov_b32 s27, -1
	s_mov_b32 s62, 0
	s_wait_loadcnt 0x0
	v_lshlrev_b32_e32 v1, 16, v1
	s_delay_alu instid0(VALU_DEP_1)
	v_cvt_i32_f32_e32 v2, v1
	s_branch .LBB22_442
.LBB22_438:
	s_mov_b32 s36, -1
                                        ; implicit-def: $vgpr2
	s_branch .LBB22_443
.LBB22_439:
	s_and_not1_saveexec_b32 s27, s27
	s_cbranch_execz .LBB22_420
.LBB22_440:
	v_cmp_ne_u16_e32 vcc_lo, 0, v1
	s_and_not1_b32 s36, s36, exec_lo
	s_and_b32 s37, vcc_lo, exec_lo
	s_delay_alu instid0(SALU_CYCLE_1)
	s_or_b32 s36, s36, s37
	s_or_b32 exec_lo, exec_lo, s27
	v_mov_b32_e32 v2, 0
	s_and_saveexec_b32 s27, s36
	s_cbranch_execnz .LBB22_421
	s_branch .LBB22_422
.LBB22_441:
	s_mov_b32 s62, -1
                                        ; implicit-def: $vgpr2
.LBB22_442:
	s_mov_b32 s36, 0
.LBB22_443:
	s_delay_alu instid0(SALU_CYCLE_1)
	s_and_b32 vcc_lo, exec_lo, s36
	s_cbranch_vccz .LBB22_447
; %bb.444:
	s_cmp_eq_u32 s1, 11
	s_cbranch_scc0 .LBB22_446
; %bb.445:
	global_load_u8 v1, v[4:5], off
	s_mov_b32 s62, 0
	s_mov_b32 s27, -1
	s_wait_loadcnt 0x0
	v_cmp_ne_u16_e32 vcc_lo, 0, v1
	v_cndmask_b32_e64 v2, 0, 1, vcc_lo
	s_branch .LBB22_447
.LBB22_446:
	s_mov_b32 s62, -1
                                        ; implicit-def: $vgpr2
.LBB22_447:
	s_mov_b32 s1, 0
.LBB22_448:
	s_delay_alu instid0(SALU_CYCLE_1)
	s_and_b32 vcc_lo, exec_lo, s1
	s_cbranch_vccz .LBB22_497
; %bb.449:
	s_and_b32 s0, 0xffff, s0
	s_delay_alu instid0(SALU_CYCLE_1)
	s_cmp_lt_i32 s0, 5
	s_cbranch_scc1 .LBB22_454
; %bb.450:
	s_cmp_lt_i32 s0, 8
	s_cbranch_scc1 .LBB22_455
; %bb.451:
	;; [unrolled: 3-line block ×3, first 2 shown]
	s_cmp_gt_i32 s0, 9
	s_cbranch_scc0 .LBB22_457
; %bb.453:
	s_wait_loadcnt 0x0
	global_load_b64 v[2:3], v[4:5], off
	s_mov_b32 s1, 0
	s_wait_loadcnt 0x0
	v_cvt_i32_f64_e32 v2, v[2:3]
	s_branch .LBB22_458
.LBB22_454:
	s_mov_b32 s1, -1
                                        ; implicit-def: $vgpr2
	s_branch .LBB22_476
.LBB22_455:
	s_mov_b32 s1, -1
                                        ; implicit-def: $vgpr2
	s_branch .LBB22_464
.LBB22_456:
	s_mov_b32 s1, -1
                                        ; implicit-def: $vgpr2
	s_branch .LBB22_461
.LBB22_457:
	s_mov_b32 s1, -1
                                        ; implicit-def: $vgpr2
.LBB22_458:
	s_delay_alu instid0(SALU_CYCLE_1)
	s_and_not1_b32 vcc_lo, exec_lo, s1
	s_cbranch_vccnz .LBB22_460
; %bb.459:
	global_load_b32 v1, v[4:5], off
	s_wait_loadcnt 0x0
	v_cvt_i32_f32_e32 v2, v1
.LBB22_460:
	s_mov_b32 s1, 0
.LBB22_461:
	s_delay_alu instid0(SALU_CYCLE_1)
	s_and_not1_b32 vcc_lo, exec_lo, s1
	s_cbranch_vccnz .LBB22_463
; %bb.462:
	global_load_b32 v1, v[4:5], off
	s_wait_loadcnt 0x0
	v_cvt_f32_f16_e32 v1, v1
	s_delay_alu instid0(VALU_DEP_1)
	v_cvt_i32_f32_e32 v2, v1
.LBB22_463:
	s_mov_b32 s1, 0
.LBB22_464:
	s_delay_alu instid0(SALU_CYCLE_1)
	s_and_not1_b32 vcc_lo, exec_lo, s1
	s_cbranch_vccnz .LBB22_475
; %bb.465:
	s_cmp_lt_i32 s0, 6
	s_cbranch_scc1 .LBB22_468
; %bb.466:
	s_cmp_gt_i32 s0, 6
	s_cbranch_scc0 .LBB22_469
; %bb.467:
	s_wait_loadcnt 0x0
	global_load_b64 v[2:3], v[4:5], off
	s_mov_b32 s1, 0
	s_wait_loadcnt 0x0
	v_cvt_i32_f64_e32 v2, v[2:3]
	s_branch .LBB22_470
.LBB22_468:
	s_mov_b32 s1, -1
                                        ; implicit-def: $vgpr2
	s_branch .LBB22_473
.LBB22_469:
	s_mov_b32 s1, -1
                                        ; implicit-def: $vgpr2
.LBB22_470:
	s_delay_alu instid0(SALU_CYCLE_1)
	s_and_not1_b32 vcc_lo, exec_lo, s1
	s_cbranch_vccnz .LBB22_472
; %bb.471:
	global_load_b32 v1, v[4:5], off
	s_wait_loadcnt 0x0
	v_cvt_i32_f32_e32 v2, v1
.LBB22_472:
	s_mov_b32 s1, 0
.LBB22_473:
	s_delay_alu instid0(SALU_CYCLE_1)
	s_and_not1_b32 vcc_lo, exec_lo, s1
	s_cbranch_vccnz .LBB22_475
; %bb.474:
	global_load_u16 v1, v[4:5], off
	s_wait_loadcnt 0x0
	v_cvt_f32_f16_e32 v1, v1
	s_delay_alu instid0(VALU_DEP_1)
	v_cvt_i32_f32_e32 v2, v1
.LBB22_475:
	s_mov_b32 s1, 0
.LBB22_476:
	s_delay_alu instid0(SALU_CYCLE_1)
	s_and_not1_b32 vcc_lo, exec_lo, s1
	s_cbranch_vccnz .LBB22_496
; %bb.477:
	s_cmp_lt_i32 s0, 2
	s_cbranch_scc1 .LBB22_481
; %bb.478:
	s_cmp_lt_i32 s0, 3
	s_cbranch_scc1 .LBB22_482
; %bb.479:
	s_cmp_gt_i32 s0, 3
	s_cbranch_scc0 .LBB22_483
; %bb.480:
	s_wait_loadcnt 0x0
	global_load_b32 v2, v[4:5], off
	s_mov_b32 s1, 0
	s_branch .LBB22_484
.LBB22_481:
	s_mov_b32 s1, -1
                                        ; implicit-def: $vgpr2
	s_branch .LBB22_490
.LBB22_482:
	s_mov_b32 s1, -1
                                        ; implicit-def: $vgpr2
	s_branch .LBB22_487
.LBB22_483:
	s_mov_b32 s1, -1
                                        ; implicit-def: $vgpr2
.LBB22_484:
	s_delay_alu instid0(SALU_CYCLE_1)
	s_and_not1_b32 vcc_lo, exec_lo, s1
	s_cbranch_vccnz .LBB22_486
; %bb.485:
	s_wait_loadcnt 0x0
	global_load_b32 v2, v[4:5], off
.LBB22_486:
	s_mov_b32 s1, 0
.LBB22_487:
	s_delay_alu instid0(SALU_CYCLE_1)
	s_and_not1_b32 vcc_lo, exec_lo, s1
	s_cbranch_vccnz .LBB22_489
; %bb.488:
	s_wait_loadcnt 0x0
	global_load_i16 v2, v[4:5], off
.LBB22_489:
	s_mov_b32 s1, 0
.LBB22_490:
	s_delay_alu instid0(SALU_CYCLE_1)
	s_and_not1_b32 vcc_lo, exec_lo, s1
	s_cbranch_vccnz .LBB22_496
; %bb.491:
	s_cmp_gt_i32 s0, 0
	s_mov_b32 s0, 0
	s_cbranch_scc0 .LBB22_493
; %bb.492:
	s_wait_loadcnt 0x0
	global_load_i8 v2, v[4:5], off
	s_branch .LBB22_494
.LBB22_493:
	s_mov_b32 s0, -1
                                        ; implicit-def: $vgpr2
.LBB22_494:
	s_delay_alu instid0(SALU_CYCLE_1)
	s_and_not1_b32 vcc_lo, exec_lo, s0
	s_cbranch_vccnz .LBB22_496
; %bb.495:
	s_wait_loadcnt 0x0
	global_load_u8 v2, v[4:5], off
.LBB22_496:
	s_mov_b32 s27, -1
.LBB22_497:
	s_delay_alu instid0(SALU_CYCLE_1)
	s_and_not1_b32 vcc_lo, exec_lo, s27
	s_cbranch_vccnz .LBB22_628
; %bb.498:
	s_wait_xcnt 0x0
	v_mul_lo_u32 v4, s28, v22
	s_and_b32 s0, s52, 0xff
	s_delay_alu instid0(SALU_CYCLE_1) | instskip(NEXT) | instid1(VALU_DEP_1)
	s_cmp_lt_i32 s0, 11
	v_ashrrev_i32_e32 v5, 31, v4
	s_delay_alu instid0(VALU_DEP_1)
	v_add_nc_u64_e32 v[4:5], s[30:31], v[4:5]
	s_cbranch_scc1 .LBB22_505
; %bb.499:
	s_and_b32 s1, 0xffff, s0
	s_delay_alu instid0(SALU_CYCLE_1)
	s_cmp_gt_i32 s1, 25
	s_cbranch_scc0 .LBB22_506
; %bb.500:
	s_cmp_gt_i32 s1, 28
	s_cbranch_scc0 .LBB22_507
; %bb.501:
	;; [unrolled: 3-line block ×4, first 2 shown]
	s_cmp_eq_u32 s1, 46
	s_mov_b32 s36, 0
	s_cbranch_scc0 .LBB22_510
; %bb.504:
	global_load_b32 v1, v[4:5], off
	s_mov_b32 s27, -1
	s_wait_loadcnt 0x0
	v_lshlrev_b32_e32 v1, 16, v1
	s_delay_alu instid0(VALU_DEP_1)
	v_cvt_i32_f32_e32 v6, v1
	s_branch .LBB22_512
.LBB22_505:
	s_mov_b32 s1, -1
	s_mov_b32 s27, 0
                                        ; implicit-def: $vgpr6
	s_branch .LBB22_573
.LBB22_506:
	s_mov_b32 s36, -1
	s_mov_b32 s27, 0
                                        ; implicit-def: $vgpr6
	s_branch .LBB22_539
.LBB22_507:
	s_mov_b32 s36, -1
	s_mov_b32 s27, 0
                                        ; implicit-def: $vgpr6
	s_branch .LBB22_522
.LBB22_508:
	s_mov_b32 s36, -1
	s_mov_b32 s27, 0
                                        ; implicit-def: $vgpr6
	s_branch .LBB22_517
.LBB22_509:
	s_mov_b32 s36, -1
	s_branch .LBB22_511
.LBB22_510:
	s_mov_b32 s61, -1
.LBB22_511:
	s_mov_b32 s27, 0
                                        ; implicit-def: $vgpr6
.LBB22_512:
	s_and_b32 vcc_lo, exec_lo, s36
	s_cbranch_vccz .LBB22_516
; %bb.513:
	s_cmp_eq_u32 s1, 44
	s_cbranch_scc0 .LBB22_515
; %bb.514:
	global_load_u8 v1, v[4:5], off
	s_mov_b32 s61, 0
	s_mov_b32 s27, -1
	s_wait_loadcnt 0x0
	v_lshlrev_b32_e32 v3, 23, v1
	v_cmp_ne_u32_e32 vcc_lo, 0, v1
	s_delay_alu instid0(VALU_DEP_2) | instskip(NEXT) | instid1(VALU_DEP_1)
	v_cvt_i32_f32_e32 v3, v3
	v_cndmask_b32_e32 v6, 0, v3, vcc_lo
	s_branch .LBB22_516
.LBB22_515:
	s_mov_b32 s61, -1
                                        ; implicit-def: $vgpr6
.LBB22_516:
	s_mov_b32 s36, 0
.LBB22_517:
	s_delay_alu instid0(SALU_CYCLE_1)
	s_and_b32 vcc_lo, exec_lo, s36
	s_cbranch_vccz .LBB22_521
; %bb.518:
	s_cmp_eq_u32 s1, 29
	s_cbranch_scc0 .LBB22_520
; %bb.519:
	global_load_b32 v6, v[4:5], off
	s_mov_b32 s27, -1
	s_mov_b32 s61, 0
	s_branch .LBB22_521
.LBB22_520:
	s_mov_b32 s61, -1
                                        ; implicit-def: $vgpr6
.LBB22_521:
	s_mov_b32 s36, 0
.LBB22_522:
	s_delay_alu instid0(SALU_CYCLE_1)
	s_and_b32 vcc_lo, exec_lo, s36
	s_cbranch_vccz .LBB22_538
; %bb.523:
	s_cmp_lt_i32 s1, 27
	s_cbranch_scc1 .LBB22_526
; %bb.524:
	s_cmp_gt_i32 s1, 27
	s_cbranch_scc0 .LBB22_527
; %bb.525:
	s_wait_loadcnt 0x0
	global_load_b32 v6, v[4:5], off
	s_mov_b32 s27, 0
	s_branch .LBB22_528
.LBB22_526:
	s_mov_b32 s27, -1
                                        ; implicit-def: $vgpr6
	s_branch .LBB22_531
.LBB22_527:
	s_mov_b32 s27, -1
                                        ; implicit-def: $vgpr6
.LBB22_528:
	s_delay_alu instid0(SALU_CYCLE_1)
	s_and_not1_b32 vcc_lo, exec_lo, s27
	s_cbranch_vccnz .LBB22_530
; %bb.529:
	s_wait_loadcnt 0x0
	global_load_u16 v6, v[4:5], off
.LBB22_530:
	s_mov_b32 s27, 0
.LBB22_531:
	s_delay_alu instid0(SALU_CYCLE_1)
	s_and_not1_b32 vcc_lo, exec_lo, s27
	s_cbranch_vccnz .LBB22_537
; %bb.532:
	global_load_u8 v1, v[4:5], off
	s_mov_b32 s36, 0
	s_mov_b32 s27, exec_lo
	s_wait_loadcnt 0x0
	v_cmpx_lt_i16_e32 0x7f, v1
	s_xor_b32 s27, exec_lo, s27
	s_cbranch_execz .LBB22_549
; %bb.533:
	v_cmp_ne_u16_e32 vcc_lo, 0x80, v1
	s_and_b32 s36, vcc_lo, exec_lo
	s_and_not1_saveexec_b32 s27, s27
	s_cbranch_execnz .LBB22_550
.LBB22_534:
	s_or_b32 exec_lo, exec_lo, s27
	v_mov_b32_e32 v6, 0
	s_and_saveexec_b32 s27, s36
	s_cbranch_execz .LBB22_536
.LBB22_535:
	v_and_b32_e32 v3, 0xffff, v1
	s_delay_alu instid0(VALU_DEP_1) | instskip(SKIP_1) | instid1(VALU_DEP_2)
	v_and_b32_e32 v6, 7, v3
	v_bfe_u32 v11, v3, 3, 4
	v_clz_i32_u32_e32 v9, v6
	s_delay_alu instid0(VALU_DEP_2) | instskip(NEXT) | instid1(VALU_DEP_2)
	v_cmp_eq_u32_e32 vcc_lo, 0, v11
	v_min_u32_e32 v9, 32, v9
	s_delay_alu instid0(VALU_DEP_1) | instskip(NEXT) | instid1(VALU_DEP_1)
	v_subrev_nc_u32_e32 v10, 28, v9
	v_dual_lshlrev_b32 v3, v10, v3 :: v_dual_sub_nc_u32 v9, 29, v9
	s_delay_alu instid0(VALU_DEP_1) | instskip(NEXT) | instid1(VALU_DEP_1)
	v_dual_lshlrev_b32 v1, 24, v1 :: v_dual_bitop2_b32 v3, 7, v3 bitop3:0x40
	v_dual_cndmask_b32 v3, v6, v3, vcc_lo :: v_dual_cndmask_b32 v9, v11, v9, vcc_lo
	s_delay_alu instid0(VALU_DEP_2) | instskip(NEXT) | instid1(VALU_DEP_2)
	v_and_b32_e32 v1, 0x80000000, v1
	v_lshlrev_b32_e32 v3, 20, v3
	s_delay_alu instid0(VALU_DEP_3) | instskip(NEXT) | instid1(VALU_DEP_1)
	v_lshl_add_u32 v6, v9, 23, 0x3b800000
	v_or3_b32 v1, v1, v6, v3
	s_delay_alu instid0(VALU_DEP_1)
	v_cvt_i32_f32_e32 v6, v1
.LBB22_536:
	s_or_b32 exec_lo, exec_lo, s27
.LBB22_537:
	s_mov_b32 s27, -1
.LBB22_538:
	s_mov_b32 s36, 0
.LBB22_539:
	s_delay_alu instid0(SALU_CYCLE_1)
	s_and_b32 vcc_lo, exec_lo, s36
	s_cbranch_vccz .LBB22_572
; %bb.540:
	s_cmp_gt_i32 s1, 22
	s_cbranch_scc0 .LBB22_548
; %bb.541:
	s_cmp_lt_i32 s1, 24
	s_cbranch_scc1 .LBB22_551
; %bb.542:
	s_cmp_gt_i32 s1, 24
	s_cbranch_scc0 .LBB22_552
; %bb.543:
	global_load_u8 v1, v[4:5], off
	s_mov_b32 s36, 0
	s_mov_b32 s27, exec_lo
	s_wait_loadcnt 0x0
	v_cmpx_lt_i16_e32 0x7f, v1
	s_xor_b32 s27, exec_lo, s27
	s_cbranch_execz .LBB22_564
; %bb.544:
	v_cmp_ne_u16_e32 vcc_lo, 0x80, v1
	s_and_b32 s36, vcc_lo, exec_lo
	s_and_not1_saveexec_b32 s27, s27
	s_cbranch_execnz .LBB22_565
.LBB22_545:
	s_or_b32 exec_lo, exec_lo, s27
	v_mov_b32_e32 v6, 0
	s_and_saveexec_b32 s27, s36
	s_cbranch_execz .LBB22_547
.LBB22_546:
	v_and_b32_e32 v3, 0xffff, v1
	s_delay_alu instid0(VALU_DEP_1) | instskip(SKIP_1) | instid1(VALU_DEP_2)
	v_and_b32_e32 v6, 3, v3
	v_bfe_u32 v11, v3, 2, 5
	v_clz_i32_u32_e32 v9, v6
	s_delay_alu instid0(VALU_DEP_2) | instskip(NEXT) | instid1(VALU_DEP_2)
	v_cmp_eq_u32_e32 vcc_lo, 0, v11
	v_min_u32_e32 v9, 32, v9
	s_delay_alu instid0(VALU_DEP_1) | instskip(NEXT) | instid1(VALU_DEP_1)
	v_subrev_nc_u32_e32 v10, 29, v9
	v_dual_lshlrev_b32 v3, v10, v3 :: v_dual_sub_nc_u32 v9, 30, v9
	s_delay_alu instid0(VALU_DEP_1) | instskip(NEXT) | instid1(VALU_DEP_1)
	v_dual_lshlrev_b32 v1, 24, v1 :: v_dual_bitop2_b32 v3, 3, v3 bitop3:0x40
	v_dual_cndmask_b32 v3, v6, v3, vcc_lo :: v_dual_cndmask_b32 v9, v11, v9, vcc_lo
	s_delay_alu instid0(VALU_DEP_2) | instskip(NEXT) | instid1(VALU_DEP_2)
	v_and_b32_e32 v1, 0x80000000, v1
	v_lshlrev_b32_e32 v3, 21, v3
	s_delay_alu instid0(VALU_DEP_3) | instskip(NEXT) | instid1(VALU_DEP_1)
	v_lshl_add_u32 v6, v9, 23, 0x37800000
	v_or3_b32 v1, v1, v6, v3
	s_delay_alu instid0(VALU_DEP_1)
	v_cvt_i32_f32_e32 v6, v1
.LBB22_547:
	s_or_b32 exec_lo, exec_lo, s27
	s_mov_b32 s27, 0
	s_branch .LBB22_553
.LBB22_548:
	s_mov_b32 s36, -1
                                        ; implicit-def: $vgpr6
	s_branch .LBB22_559
.LBB22_549:
	s_and_not1_saveexec_b32 s27, s27
	s_cbranch_execz .LBB22_534
.LBB22_550:
	v_cmp_ne_u16_e32 vcc_lo, 0, v1
	s_and_not1_b32 s36, s36, exec_lo
	s_and_b32 s37, vcc_lo, exec_lo
	s_delay_alu instid0(SALU_CYCLE_1)
	s_or_b32 s36, s36, s37
	s_or_b32 exec_lo, exec_lo, s27
	v_mov_b32_e32 v6, 0
	s_and_saveexec_b32 s27, s36
	s_cbranch_execnz .LBB22_535
	s_branch .LBB22_536
.LBB22_551:
	s_mov_b32 s27, -1
                                        ; implicit-def: $vgpr6
	s_branch .LBB22_556
.LBB22_552:
	s_mov_b32 s27, -1
                                        ; implicit-def: $vgpr6
.LBB22_553:
	s_delay_alu instid0(SALU_CYCLE_1)
	s_and_b32 vcc_lo, exec_lo, s27
	s_cbranch_vccz .LBB22_555
; %bb.554:
	global_load_u8 v1, v[4:5], off
	s_wait_loadcnt 0x0
	v_lshlrev_b32_e32 v1, 24, v1
	s_delay_alu instid0(VALU_DEP_1) | instskip(NEXT) | instid1(VALU_DEP_1)
	v_and_b32_e32 v3, 0x7f000000, v1
	v_clz_i32_u32_e32 v6, v3
	v_cmp_ne_u32_e32 vcc_lo, 0, v3
	v_add_nc_u32_e32 v10, 0x1000000, v3
	s_delay_alu instid0(VALU_DEP_3) | instskip(NEXT) | instid1(VALU_DEP_1)
	v_min_u32_e32 v6, 32, v6
	v_sub_nc_u32_e64 v6, v6, 4 clamp
	s_delay_alu instid0(VALU_DEP_1) | instskip(NEXT) | instid1(VALU_DEP_1)
	v_dual_lshlrev_b32 v9, v6, v3 :: v_dual_lshlrev_b32 v6, 23, v6
	v_lshrrev_b32_e32 v9, 4, v9
	s_delay_alu instid0(VALU_DEP_1) | instskip(SKIP_1) | instid1(VALU_DEP_2)
	v_sub_nc_u32_e32 v6, v9, v6
	v_ashrrev_i32_e32 v9, 8, v10
	v_add_nc_u32_e32 v6, 0x3c000000, v6
	s_delay_alu instid0(VALU_DEP_1) | instskip(NEXT) | instid1(VALU_DEP_1)
	v_and_or_b32 v6, 0x7f800000, v9, v6
	v_cndmask_b32_e32 v3, 0, v6, vcc_lo
	s_delay_alu instid0(VALU_DEP_1) | instskip(NEXT) | instid1(VALU_DEP_1)
	v_and_or_b32 v1, 0x80000000, v1, v3
	v_cvt_i32_f32_e32 v6, v1
.LBB22_555:
	s_mov_b32 s27, 0
.LBB22_556:
	s_delay_alu instid0(SALU_CYCLE_1)
	s_and_not1_b32 vcc_lo, exec_lo, s27
	s_cbranch_vccnz .LBB22_558
; %bb.557:
	global_load_u8 v1, v[4:5], off
	s_wait_loadcnt 0x0
	v_lshlrev_b32_e32 v3, 25, v1
	v_lshlrev_b16 v1, 8, v1
	s_delay_alu instid0(VALU_DEP_1) | instskip(NEXT) | instid1(VALU_DEP_3)
	v_and_or_b32 v9, 0x7f00, v1, 0.5
	v_lshrrev_b32_e32 v6, 4, v3
	v_bfe_i32 v1, v1, 0, 16
	s_delay_alu instid0(VALU_DEP_3) | instskip(NEXT) | instid1(VALU_DEP_3)
	v_add_f32_e32 v9, -0.5, v9
	v_or_b32_e32 v6, 0x70000000, v6
	s_delay_alu instid0(VALU_DEP_1) | instskip(SKIP_1) | instid1(VALU_DEP_2)
	v_mul_f32_e32 v6, 0x7800000, v6
	v_cmp_gt_u32_e32 vcc_lo, 0x8000000, v3
	v_cndmask_b32_e32 v3, v6, v9, vcc_lo
	s_delay_alu instid0(VALU_DEP_1) | instskip(NEXT) | instid1(VALU_DEP_1)
	v_and_or_b32 v1, 0x80000000, v1, v3
	v_cvt_i32_f32_e32 v6, v1
.LBB22_558:
	s_mov_b32 s36, 0
	s_mov_b32 s27, -1
.LBB22_559:
	s_and_not1_b32 vcc_lo, exec_lo, s36
	s_cbranch_vccnz .LBB22_572
; %bb.560:
	s_cmp_gt_i32 s1, 14
	s_cbranch_scc0 .LBB22_563
; %bb.561:
	s_cmp_eq_u32 s1, 15
	s_cbranch_scc0 .LBB22_566
; %bb.562:
	global_load_u16 v1, v[4:5], off
	s_mov_b32 s27, -1
	s_mov_b32 s61, 0
	s_wait_loadcnt 0x0
	v_lshlrev_b32_e32 v1, 16, v1
	s_delay_alu instid0(VALU_DEP_1)
	v_cvt_i32_f32_e32 v6, v1
	s_branch .LBB22_567
.LBB22_563:
	s_mov_b32 s36, -1
                                        ; implicit-def: $vgpr6
	s_branch .LBB22_568
.LBB22_564:
	s_and_not1_saveexec_b32 s27, s27
	s_cbranch_execz .LBB22_545
.LBB22_565:
	v_cmp_ne_u16_e32 vcc_lo, 0, v1
	s_and_not1_b32 s36, s36, exec_lo
	s_and_b32 s37, vcc_lo, exec_lo
	s_delay_alu instid0(SALU_CYCLE_1)
	s_or_b32 s36, s36, s37
	s_or_b32 exec_lo, exec_lo, s27
	v_mov_b32_e32 v6, 0
	s_and_saveexec_b32 s27, s36
	s_cbranch_execnz .LBB22_546
	s_branch .LBB22_547
.LBB22_566:
	s_mov_b32 s61, -1
                                        ; implicit-def: $vgpr6
.LBB22_567:
	s_mov_b32 s36, 0
.LBB22_568:
	s_delay_alu instid0(SALU_CYCLE_1)
	s_and_b32 vcc_lo, exec_lo, s36
	s_cbranch_vccz .LBB22_572
; %bb.569:
	s_cmp_eq_u32 s1, 11
	s_cbranch_scc0 .LBB22_571
; %bb.570:
	global_load_u8 v1, v[4:5], off
	s_mov_b32 s61, 0
	s_mov_b32 s27, -1
	s_wait_loadcnt 0x0
	v_cmp_ne_u16_e32 vcc_lo, 0, v1
	v_cndmask_b32_e64 v6, 0, 1, vcc_lo
	s_branch .LBB22_572
.LBB22_571:
	s_mov_b32 s61, -1
                                        ; implicit-def: $vgpr6
.LBB22_572:
	s_mov_b32 s1, 0
.LBB22_573:
	s_delay_alu instid0(SALU_CYCLE_1)
	s_and_b32 vcc_lo, exec_lo, s1
	s_cbranch_vccz .LBB22_622
; %bb.574:
	s_and_b32 s0, 0xffff, s0
	s_delay_alu instid0(SALU_CYCLE_1)
	s_cmp_lt_i32 s0, 5
	s_cbranch_scc1 .LBB22_579
; %bb.575:
	s_cmp_lt_i32 s0, 8
	s_cbranch_scc1 .LBB22_580
; %bb.576:
	;; [unrolled: 3-line block ×3, first 2 shown]
	s_cmp_gt_i32 s0, 9
	s_cbranch_scc0 .LBB22_582
; %bb.578:
	global_load_b64 v[10:11], v[4:5], off
	s_mov_b32 s1, 0
	s_wait_loadcnt 0x0
	v_cvt_i32_f64_e32 v6, v[10:11]
	s_branch .LBB22_583
.LBB22_579:
	s_mov_b32 s1, -1
                                        ; implicit-def: $vgpr6
	s_branch .LBB22_601
.LBB22_580:
	s_mov_b32 s1, -1
                                        ; implicit-def: $vgpr6
	s_branch .LBB22_589
.LBB22_581:
	s_mov_b32 s1, -1
                                        ; implicit-def: $vgpr6
	s_branch .LBB22_586
.LBB22_582:
	s_mov_b32 s1, -1
                                        ; implicit-def: $vgpr6
.LBB22_583:
	s_delay_alu instid0(SALU_CYCLE_1)
	s_and_not1_b32 vcc_lo, exec_lo, s1
	s_cbranch_vccnz .LBB22_585
; %bb.584:
	global_load_b32 v1, v[4:5], off
	s_wait_loadcnt 0x0
	v_cvt_i32_f32_e32 v6, v1
.LBB22_585:
	s_mov_b32 s1, 0
.LBB22_586:
	s_delay_alu instid0(SALU_CYCLE_1)
	s_and_not1_b32 vcc_lo, exec_lo, s1
	s_cbranch_vccnz .LBB22_588
; %bb.587:
	global_load_b32 v1, v[4:5], off
	s_wait_loadcnt 0x0
	v_cvt_f32_f16_e32 v1, v1
	s_delay_alu instid0(VALU_DEP_1)
	v_cvt_i32_f32_e32 v6, v1
.LBB22_588:
	s_mov_b32 s1, 0
.LBB22_589:
	s_delay_alu instid0(SALU_CYCLE_1)
	s_and_not1_b32 vcc_lo, exec_lo, s1
	s_cbranch_vccnz .LBB22_600
; %bb.590:
	s_cmp_lt_i32 s0, 6
	s_cbranch_scc1 .LBB22_593
; %bb.591:
	s_cmp_gt_i32 s0, 6
	s_cbranch_scc0 .LBB22_594
; %bb.592:
	global_load_b64 v[10:11], v[4:5], off
	s_mov_b32 s1, 0
	s_wait_loadcnt 0x0
	v_cvt_i32_f64_e32 v6, v[10:11]
	s_branch .LBB22_595
.LBB22_593:
	s_mov_b32 s1, -1
                                        ; implicit-def: $vgpr6
	s_branch .LBB22_598
.LBB22_594:
	s_mov_b32 s1, -1
                                        ; implicit-def: $vgpr6
.LBB22_595:
	s_delay_alu instid0(SALU_CYCLE_1)
	s_and_not1_b32 vcc_lo, exec_lo, s1
	s_cbranch_vccnz .LBB22_597
; %bb.596:
	global_load_b32 v1, v[4:5], off
	s_wait_loadcnt 0x0
	v_cvt_i32_f32_e32 v6, v1
.LBB22_597:
	s_mov_b32 s1, 0
.LBB22_598:
	s_delay_alu instid0(SALU_CYCLE_1)
	s_and_not1_b32 vcc_lo, exec_lo, s1
	s_cbranch_vccnz .LBB22_600
; %bb.599:
	global_load_u16 v1, v[4:5], off
	s_wait_loadcnt 0x0
	v_cvt_f32_f16_e32 v1, v1
	s_delay_alu instid0(VALU_DEP_1)
	v_cvt_i32_f32_e32 v6, v1
.LBB22_600:
	s_mov_b32 s1, 0
.LBB22_601:
	s_delay_alu instid0(SALU_CYCLE_1)
	s_and_not1_b32 vcc_lo, exec_lo, s1
	s_cbranch_vccnz .LBB22_621
; %bb.602:
	s_cmp_lt_i32 s0, 2
	s_cbranch_scc1 .LBB22_606
; %bb.603:
	s_cmp_lt_i32 s0, 3
	s_cbranch_scc1 .LBB22_607
; %bb.604:
	s_cmp_gt_i32 s0, 3
	s_cbranch_scc0 .LBB22_608
; %bb.605:
	s_wait_loadcnt 0x0
	global_load_b32 v6, v[4:5], off
	s_mov_b32 s1, 0
	s_branch .LBB22_609
.LBB22_606:
	s_mov_b32 s1, -1
                                        ; implicit-def: $vgpr6
	s_branch .LBB22_615
.LBB22_607:
	s_mov_b32 s1, -1
                                        ; implicit-def: $vgpr6
	s_branch .LBB22_612
.LBB22_608:
	s_mov_b32 s1, -1
                                        ; implicit-def: $vgpr6
.LBB22_609:
	s_delay_alu instid0(SALU_CYCLE_1)
	s_and_not1_b32 vcc_lo, exec_lo, s1
	s_cbranch_vccnz .LBB22_611
; %bb.610:
	s_wait_loadcnt 0x0
	global_load_b32 v6, v[4:5], off
.LBB22_611:
	s_mov_b32 s1, 0
.LBB22_612:
	s_delay_alu instid0(SALU_CYCLE_1)
	s_and_not1_b32 vcc_lo, exec_lo, s1
	s_cbranch_vccnz .LBB22_614
; %bb.613:
	s_wait_loadcnt 0x0
	global_load_i16 v6, v[4:5], off
.LBB22_614:
	s_mov_b32 s1, 0
.LBB22_615:
	s_delay_alu instid0(SALU_CYCLE_1)
	s_and_not1_b32 vcc_lo, exec_lo, s1
	s_cbranch_vccnz .LBB22_621
; %bb.616:
	s_cmp_gt_i32 s0, 0
	s_mov_b32 s0, 0
	s_cbranch_scc0 .LBB22_618
; %bb.617:
	s_wait_loadcnt 0x0
	global_load_i8 v6, v[4:5], off
	s_branch .LBB22_619
.LBB22_618:
	s_mov_b32 s0, -1
                                        ; implicit-def: $vgpr6
.LBB22_619:
	s_delay_alu instid0(SALU_CYCLE_1)
	s_and_not1_b32 vcc_lo, exec_lo, s0
	s_cbranch_vccnz .LBB22_621
; %bb.620:
	s_wait_loadcnt 0x0
	global_load_u8 v6, v[4:5], off
.LBB22_621:
	s_mov_b32 s27, -1
.LBB22_622:
	s_delay_alu instid0(SALU_CYCLE_1)
	s_and_not1_b32 vcc_lo, exec_lo, s27
	s_cbranch_vccnz .LBB22_628
; %bb.623:
	s_wait_loadcnt 0x0
	v_cmp_eq_u32_e32 vcc_lo, s29, v7
	s_mov_b32 s1, -1
	s_mov_b32 s0, 0
	s_mov_b32 s27, 0
	;; [unrolled: 1-line block ×3, first 2 shown]
	s_and_b32 s39, s51, vcc_lo
	s_mov_b32 s37, 0
	s_mov_b32 s38, 0
	s_and_saveexec_b32 s54, s39
	s_cbranch_execz .LBB22_3937
; %bb.624:
	v_cmp_eq_u32_e32 vcc_lo, s18, v8
	s_and_b32 s27, s50, vcc_lo
	s_delay_alu instid0(SALU_CYCLE_1)
	s_and_saveexec_b32 s57, s27
	s_cbranch_execz .LBB22_1919
; %bb.625:
	v_sub_nc_u32_e32 v1, v2, v0
	s_mov_b32 s27, 0
	s_delay_alu instid0(VALU_DEP_1)
	v_cmp_le_i32_e32 vcc_lo, s29, v1
	v_cmp_ge_i32_e64 s0, s16, v1
	s_and_b32 s36, vcc_lo, s0
	s_mov_b32 s0, 0
	s_and_b32 s37, s49, s36
	s_mov_b32 s36, 0
	s_and_saveexec_b32 s58, s37
	s_cbranch_execz .LBB22_1918
; %bb.626:
	v_mov_b64_e32 v[4:5], 0
	s_and_not1_b32 vcc_lo, exec_lo, s17
	s_cbranch_vccnz .LBB22_662
; %bb.627:
	v_ashrrev_i32_e32 v7, 31, v6
	s_mov_b32 s1, 0
	v_mov_b64_e32 v[4:5], 0
	s_mov_b32 s27, s1
	s_mov_b64 s[36:37], 0xffffffff
	v_mul_u64_e32 v[8:9], s[18:19], v[6:7]
	s_lshl_b64 s[38:39], s[26:27], 3
	v_mov_b32_e32 v6, 0
	s_add_nc_u64 s[38:39], s[24:25], s[38:39]
	s_mov_b32 s27, s48
	s_add_nc_u64 s[38:39], s[38:39], 0x68
	s_branch .LBB22_643
.LBB22_628:
	s_mov_b32 s0, 0
	s_mov_b32 s1, 0
	;; [unrolled: 1-line block ×6, first 2 shown]
                                        ; implicit-def: $vgpr22
.LBB22_629:
	s_delay_alu instid0(SALU_CYCLE_1)
	s_and_b32 s54, s38, exec_lo
	s_and_b32 s57, s37, exec_lo
	;; [unrolled: 1-line block ×10, first 2 shown]
	s_or_not1_b32 s1, s0, exec_lo
.LBB22_630:
	s_wait_xcnt 0x0
	s_or_b32 exec_lo, exec_lo, s66
	s_mov_b32 s36, 0
	s_mov_b32 s27, 0
                                        ; implicit-def: $sgpr0
                                        ; implicit-def: $vgpr0_vgpr1
                                        ; implicit-def: $vgpr7
	s_and_saveexec_b32 s66, s1
	s_cbranch_execz .LBB22_639
; %bb.631:
	s_mov_b32 s37, -1
	s_mov_b32 s67, s65
	s_mov_b32 s69, s64
	;; [unrolled: 1-line block ×10, first 2 shown]
	s_mov_b32 s77, exec_lo
	v_cmpx_gt_i32_e64 s55, v22
	s_cbranch_execz .LBB22_1299
; %bb.632:
	s_wait_loadcnt 0x0
	v_mul_lo_u32 v0, s20, v22
	s_and_b32 s0, s56, 0xff
	s_delay_alu instid0(SALU_CYCLE_1) | instskip(NEXT) | instid1(VALU_DEP_1)
	s_cmp_lt_i32 s0, 11
	v_ashrrev_i32_e32 v1, 31, v0
	s_delay_alu instid0(VALU_DEP_1)
	v_add_nc_u64_e32 v[0:1], s[4:5], v[0:1]
	s_cbranch_scc1 .LBB22_647
; %bb.633:
	s_and_b32 s1, 0xffff, s0
	s_delay_alu instid0(SALU_CYCLE_1)
	s_cmp_gt_i32 s1, 25
	s_cbranch_scc0 .LBB22_656
; %bb.634:
	s_cmp_gt_i32 s1, 28
	s_cbranch_scc0 .LBB22_658
; %bb.635:
	;; [unrolled: 3-line block ×4, first 2 shown]
	s_cmp_eq_u32 s1, 46
	s_cbranch_scc0 .LBB22_678
; %bb.638:
	global_load_b32 v2, v[0:1], off
	s_mov_b32 s27, -1
	s_mov_b32 s67, 0
	s_wait_loadcnt 0x0
	v_lshlrev_b32_e32 v2, 16, v2
	s_delay_alu instid0(VALU_DEP_1)
	v_cvt_i32_f32_e32 v7, v2
	s_branch .LBB22_680
.LBB22_639:
	s_or_b32 exec_lo, exec_lo, s66
	s_mov_b32 s1, 0
	s_and_saveexec_b32 s4, s65
	s_cbranch_execnz .LBB22_2140
.LBB22_640:
	s_or_b32 exec_lo, exec_lo, s4
	s_and_saveexec_b32 s4, s67
	s_delay_alu instid0(SALU_CYCLE_1)
	s_xor_b32 s4, exec_lo, s4
	s_cbranch_execz .LBB22_2141
.LBB22_641:
	s_wait_loadcnt 0x0
	global_load_u8 v2, v[0:1], off
	s_or_b32 s27, s27, exec_lo
	s_wait_loadcnt 0x0
	v_cmp_ne_u16_e32 vcc_lo, 0, v2
	v_cndmask_b32_e64 v7, 0, 1, vcc_lo
	s_wait_xcnt 0x0
	s_or_b32 exec_lo, exec_lo, s4
	s_and_saveexec_b32 s4, s36
	s_cbranch_execz .LBB22_2187
	s_branch .LBB22_2142
.LBB22_642:                             ;   in Loop: Header=BB22_643 Depth=1
	s_or_b32 exec_lo, exec_lo, s0
	s_delay_alu instid0(VALU_DEP_1)
	v_mul_u64_e32 v[12:13], s[40:41], v[10:11]
	s_load_b64 s[40:41], s[38:39], 0x40
	s_add_co_i32 s27, s27, -1
	s_wait_xcnt 0x0
	s_add_nc_u64 s[38:39], s[38:39], -8
	s_cmp_eq_u32 s27, 0
	s_delay_alu instid0(VALU_DEP_1) | instskip(SKIP_1) | instid1(VALU_DEP_1)
	v_sub_nc_u64_e32 v[8:9], v[8:9], v[12:13]
	s_wait_kmcnt 0x0
	v_mad_nc_u64_u32 v[4:5], v8, s40, v[4:5]
	s_delay_alu instid0(VALU_DEP_1) | instskip(NEXT) | instid1(VALU_DEP_1)
	v_mad_u32 v1, v9, s40, v5
	v_mad_u32 v5, v8, s41, v1
	v_mov_b64_e32 v[8:9], v[10:11]
	s_cbranch_scc1 .LBB22_662
.LBB22_643:                             ; =>This Inner Loop Header: Depth=1
	s_load_b64 s[40:41], s[38:39], 0x0
                                        ; implicit-def: $vgpr10_vgpr11
	s_mov_b32 s0, exec_lo
	s_wait_kmcnt 0x0
	s_delay_alu instid0(VALU_DEP_1) | instskip(NEXT) | instid1(VALU_DEP_1)
	v_or_b32_e32 v7, s41, v9
	v_cmpx_ne_u64_e32 0, v[6:7]
	s_xor_b32 s59, exec_lo, s0
	s_cbranch_execz .LBB22_645
; %bb.644:                              ;   in Loop: Header=BB22_643 Depth=1
	s_ashr_i32 s42, s41, 31
	v_dual_mov_b32 v15, v6 :: v_dual_ashrrev_i32 v10, 31, v9
	s_mov_b32 s43, s42
	v_mov_b32_e32 v25, v6
	s_add_nc_u64 s[44:45], s[40:41], s[42:43]
	s_delay_alu instid0(VALU_DEP_2) | instskip(SKIP_1) | instid1(SALU_CYCLE_1)
	v_mov_b32_e32 v11, v10
	s_xor_b64 s[44:45], s[44:45], s[42:43]
	s_cvt_f32_u32 s0, s44
	s_cvt_f32_u32 s43, s45
	s_sub_nc_u64 s[70:71], 0, s[44:45]
	v_add_nc_u64_e32 v[12:13], v[8:9], v[10:11]
	v_mov_b32_e32 v19, v6
	s_fmamk_f32 s0, s43, 0x4f800000, s0
	s_delay_alu instid0(SALU_CYCLE_3) | instskip(NEXT) | instid1(VALU_DEP_2)
	v_s_rcp_f32 s0, s0
	v_xor_b32_e32 v14, v12, v10
	s_delay_alu instid0(VALU_DEP_3) | instskip(NEXT) | instid1(TRANS32_DEP_1)
	v_xor_b32_e32 v18, v13, v10
	s_mul_f32 s0, s0, 0x5f7ffffc
	s_delay_alu instid0(SALU_CYCLE_3) | instskip(NEXT) | instid1(SALU_CYCLE_3)
	s_mul_f32 s43, s0, 0x2f800000
	s_trunc_f32 s43, s43
	s_delay_alu instid0(SALU_CYCLE_3) | instskip(SKIP_1) | instid1(SALU_CYCLE_2)
	s_fmamk_f32 s0, s43, 0xcf800000, s0
	s_cvt_u32_f32 s69, s43
	s_cvt_u32_f32 s68, s0
	s_delay_alu instid0(SALU_CYCLE_3) | instskip(NEXT) | instid1(SALU_CYCLE_1)
	s_mul_u64 s[72:73], s[70:71], s[68:69]
	s_mul_hi_u32 s75, s68, s73
	s_mul_i32 s74, s68, s73
	s_mul_hi_u32 s0, s68, s72
	s_mul_i32 s60, s69, s72
	s_add_nc_u64 s[74:75], s[0:1], s[74:75]
	s_mul_hi_u32 s43, s69, s72
	s_mul_hi_u32 s76, s69, s73
	s_add_co_u32 s0, s74, s60
	s_add_co_ci_u32 s0, s75, s43
	s_mul_i32 s72, s69, s73
	s_add_co_ci_u32 s73, s76, 0
	s_delay_alu instid0(SALU_CYCLE_1) | instskip(NEXT) | instid1(SALU_CYCLE_1)
	s_add_nc_u64 s[72:73], s[0:1], s[72:73]
	s_add_co_u32 s68, s68, s72
	s_cselect_b32 s0, -1, 0
	s_delay_alu instid0(SALU_CYCLE_1) | instskip(SKIP_1) | instid1(SALU_CYCLE_1)
	s_cmp_lg_u32 s0, 0
	s_add_co_ci_u32 s69, s69, s73
	s_mul_u64 s[70:71], s[70:71], s[68:69]
	s_delay_alu instid0(SALU_CYCLE_1)
	s_mul_hi_u32 s73, s68, s71
	s_mul_i32 s72, s68, s71
	s_mul_hi_u32 s0, s68, s70
	s_mul_i32 s60, s69, s70
	s_add_nc_u64 s[72:73], s[0:1], s[72:73]
	s_mul_hi_u32 s43, s69, s70
	s_mul_hi_u32 s74, s69, s71
	s_add_co_u32 s0, s72, s60
	s_add_co_ci_u32 s0, s73, s43
	s_mul_i32 s70, s69, s71
	s_add_co_ci_u32 s71, s74, 0
	s_delay_alu instid0(SALU_CYCLE_1) | instskip(NEXT) | instid1(SALU_CYCLE_1)
	s_add_nc_u64 s[70:71], s[0:1], s[70:71]
	s_add_co_u32 s60, s68, s70
	s_cselect_b32 s0, -1, 0
	v_mul_hi_u32 v24, v14, s60
	s_cmp_lg_u32 s0, 0
	s_add_co_ci_u32 s0, s69, s71
	s_and_b64 s[68:69], s[60:61], s[36:37]
	v_mul_u64_e32 v[16:17], s[0:1], v[14:15]
	v_mul_u64_e32 v[12:13], s[68:69], v[18:19]
	v_mul_u64_e32 v[20:21], s[0:1], v[18:19]
	s_delay_alu instid0(VALU_DEP_3) | instskip(NEXT) | instid1(VALU_DEP_1)
	v_add_nc_u64_e32 v[16:17], v[24:25], v[16:17]
	v_add_co_u32 v1, vcc_lo, v16, v12
	s_delay_alu instid0(VALU_DEP_2) | instskip(NEXT) | instid1(VALU_DEP_4)
	v_add_co_ci_u32_e32 v24, vcc_lo, v17, v13, vcc_lo
	v_add_co_ci_u32_e32 v21, vcc_lo, 0, v21, vcc_lo
	s_delay_alu instid0(VALU_DEP_1) | instskip(NEXT) | instid1(VALU_DEP_1)
	v_add_nc_u64_e32 v[12:13], v[24:25], v[20:21]
	v_mul_u64_e32 v[16:17], s[44:45], v[12:13]
	s_delay_alu instid0(VALU_DEP_1) | instskip(NEXT) | instid1(VALU_DEP_2)
	v_sub_nc_u32_e32 v1, v18, v17
	v_sub_co_u32 v3, vcc_lo, v14, v16
	s_delay_alu instid0(VALU_DEP_1) | instskip(NEXT) | instid1(VALU_DEP_3)
	v_sub_co_ci_u32_e64 v11, null, v18, v17, vcc_lo
	v_subrev_co_ci_u32_e64 v1, null, s45, v1, vcc_lo
	s_delay_alu instid0(VALU_DEP_3) | instskip(SKIP_1) | instid1(VALU_DEP_3)
	v_sub_co_u32 v7, s0, v3, s44
	v_add_nc_u64_e32 v[16:17], 1, v[12:13]
	v_subrev_co_ci_u32_e64 v1, null, 0, v1, s0
	s_delay_alu instid0(VALU_DEP_3) | instskip(SKIP_1) | instid1(VALU_DEP_3)
	v_cmp_le_u32_e32 vcc_lo, s44, v7
	v_cndmask_b32_e64 v7, 0, -1, vcc_lo
	v_cmp_le_u32_e32 vcc_lo, s45, v1
	v_cndmask_b32_e64 v14, 0, -1, vcc_lo
	;; [unrolled: 2-line block ×4, first 2 shown]
	v_cmp_eq_u32_e32 vcc_lo, s45, v1
	v_cndmask_b32_e32 v1, v14, v7, vcc_lo
	v_cmp_eq_u32_e32 vcc_lo, s45, v11
	v_add_nc_u64_e32 v[14:15], 2, v[12:13]
	v_cndmask_b32_e32 v3, v18, v3, vcc_lo
	s_delay_alu instid0(VALU_DEP_4) | instskip(NEXT) | instid1(VALU_DEP_2)
	v_cmp_ne_u32_e32 vcc_lo, 0, v1
	v_cmp_ne_u32_e64 s0, 0, v3
	s_delay_alu instid0(VALU_DEP_4) | instskip(NEXT) | instid1(VALU_DEP_1)
	v_dual_cndmask_b32 v1, v17, v15, vcc_lo :: v_dual_cndmask_b32 v3, v16, v14, vcc_lo
	v_dual_cndmask_b32 v1, v13, v1, s0 :: v_dual_bitop2_b32 v10, s42, v10 bitop3:0x14
	s_delay_alu instid0(VALU_DEP_1) | instskip(NEXT) | instid1(VALU_DEP_2)
	v_dual_cndmask_b32 v3, v12, v3, s0 :: v_dual_mov_b32 v11, v10
	v_xor_b32_e32 v13, v1, v10
	s_delay_alu instid0(VALU_DEP_2) | instskip(NEXT) | instid1(VALU_DEP_1)
	v_xor_b32_e32 v12, v3, v10
	v_sub_nc_u64_e32 v[10:11], v[12:13], v[10:11]
.LBB22_645:                             ;   in Loop: Header=BB22_643 Depth=1
	s_and_not1_saveexec_b32 s0, s59
	s_cbranch_execz .LBB22_642
; %bb.646:                              ;   in Loop: Header=BB22_643 Depth=1
	v_cvt_f32_u32_e32 v1, s40
	s_sub_co_i32 s42, 0, s40
	v_mov_b32_e32 v11, v6
	s_delay_alu instid0(VALU_DEP_2) | instskip(SKIP_1) | instid1(TRANS32_DEP_1)
	v_rcp_iflag_f32_e32 v1, v1
	v_nop
	v_mul_f32_e32 v1, 0x4f7ffffe, v1
	s_delay_alu instid0(VALU_DEP_1) | instskip(NEXT) | instid1(VALU_DEP_1)
	v_cvt_u32_f32_e32 v1, v1
	v_mul_lo_u32 v3, s42, v1
	s_delay_alu instid0(VALU_DEP_1) | instskip(NEXT) | instid1(VALU_DEP_1)
	v_mul_hi_u32 v3, v1, v3
	v_add_nc_u32_e32 v1, v1, v3
	s_delay_alu instid0(VALU_DEP_1) | instskip(NEXT) | instid1(VALU_DEP_1)
	v_mul_hi_u32 v1, v8, v1
	v_mul_lo_u32 v3, v1, s40
	s_delay_alu instid0(VALU_DEP_1) | instskip(NEXT) | instid1(VALU_DEP_1)
	v_sub_nc_u32_e32 v3, v8, v3
	v_subrev_nc_u32_e32 v10, s40, v3
	v_cmp_le_u32_e32 vcc_lo, s40, v3
	s_delay_alu instid0(VALU_DEP_2) | instskip(NEXT) | instid1(VALU_DEP_1)
	v_dual_add_nc_u32 v7, 1, v1 :: v_dual_cndmask_b32 v3, v3, v10, vcc_lo
	v_cndmask_b32_e32 v1, v1, v7, vcc_lo
	s_delay_alu instid0(VALU_DEP_2) | instskip(NEXT) | instid1(VALU_DEP_2)
	v_cmp_le_u32_e32 vcc_lo, s40, v3
	v_add_nc_u32_e32 v7, 1, v1
	s_delay_alu instid0(VALU_DEP_1)
	v_cndmask_b32_e32 v10, v1, v7, vcc_lo
	s_branch .LBB22_642
.LBB22_647:
	s_mov_b32 s67, s65
                                        ; implicit-def: $vgpr7
	s_cbranch_execnz .LBB22_742
.LBB22_648:
	s_and_not1_b32 vcc_lo, exec_lo, s27
	s_cbranch_vccnz .LBB22_790
.LBB22_649:
	s_wait_xcnt 0x0
	v_mul_lo_u32 v0, s21, v22
	s_and_b32 s0, s53, 0xff
	s_delay_alu instid0(SALU_CYCLE_1) | instskip(NEXT) | instid1(VALU_DEP_1)
	s_cmp_lt_i32 s0, 11
	v_ashrrev_i32_e32 v1, 31, v0
	s_delay_alu instid0(VALU_DEP_1)
	v_add_nc_u64_e32 v[0:1], s[6:7], v[0:1]
	s_cbranch_scc1 .LBB22_657
; %bb.650:
	s_and_b32 s1, 0xffff, s0
	s_delay_alu instid0(SALU_CYCLE_1)
	s_cmp_gt_i32 s1, 25
	s_cbranch_scc0 .LBB22_659
; %bb.651:
	s_cmp_gt_i32 s1, 28
	s_cbranch_scc0 .LBB22_661
; %bb.652:
	;; [unrolled: 3-line block ×4, first 2 shown]
	s_cmp_eq_u32 s1, 46
	s_mov_b32 s36, 0
	s_cbranch_scc0 .LBB22_792
; %bb.655:
	global_load_b32 v2, v[0:1], off
	s_mov_b32 s27, -1
	s_mov_b32 s69, 0
	s_wait_loadcnt 0x0
	v_lshlrev_b32_e32 v2, 16, v2
	s_delay_alu instid0(VALU_DEP_1)
	v_cvt_i32_f32_e32 v8, v2
	s_branch .LBB22_794
.LBB22_656:
	s_mov_b32 s36, -1
	s_mov_b32 s67, s65
                                        ; implicit-def: $vgpr7
	s_branch .LBB22_708
.LBB22_657:
	s_mov_b32 s1, -1
	s_mov_b32 s27, 0
	s_mov_b32 s69, s64
                                        ; implicit-def: $vgpr8
	s_branch .LBB22_855
.LBB22_658:
	s_mov_b32 s36, -1
	s_mov_b32 s67, s65
                                        ; implicit-def: $vgpr7
	s_branch .LBB22_691
.LBB22_659:
	s_mov_b32 s36, -1
	s_mov_b32 s27, 0
	s_mov_b32 s69, s64
                                        ; implicit-def: $vgpr8
	s_branch .LBB22_821
.LBB22_660:
	s_mov_b32 s36, -1
	s_mov_b32 s67, s65
                                        ; implicit-def: $vgpr7
	s_branch .LBB22_686
.LBB22_661:
	s_mov_b32 s36, -1
	s_mov_b32 s27, 0
	s_mov_b32 s69, s64
                                        ; implicit-def: $vgpr8
	s_branch .LBB22_804
.LBB22_662:
	s_mov_b32 s37, -1
	s_mov_b32 s27, 0
	s_mov_b32 s0, 0
	s_mov_b32 s1, exec_lo
	v_cmpx_gt_i32_e64 v2, v0
	s_cbranch_execz .LBB22_670
; %bb.663:
	s_delay_alu instid0(VALU_DEP_2) | instskip(SKIP_2) | instid1(VALU_DEP_1)
	v_lshlrev_b64_e32 v[4:5], 2, v[4:5]
	v_dual_ashrrev_i32 v1, 31, v0 :: v_dual_ashrrev_i32 v3, 31, v2
	s_xor_b32 s37, s35, -1
                                        ; implicit-def: $sgpr36
                                        ; implicit-def: $sgpr39
                                        ; implicit-def: $sgpr38
	v_lshl_add_u64 v[0:1], v[0:1], 2, v[4:5]
	v_add_nc_u64_e32 v[4:5], s[12:13], v[4:5]
	s_delay_alu instid0(VALU_DEP_2) | instskip(NEXT) | instid1(VALU_DEP_2)
	v_add_nc_u64_e32 v[0:1], s[12:13], v[0:1]
	v_lshl_add_u64 v[2:3], v[2:3], 2, v[4:5]
	s_delay_alu instid0(VALU_DEP_2)
	v_add_nc_u64_e32 v[0:1], 4, v[0:1]
	s_branch .LBB22_665
.LBB22_664:                             ;   in Loop: Header=BB22_665 Depth=1
	s_or_b32 exec_lo, exec_lo, s40
	s_delay_alu instid0(SALU_CYCLE_1) | instskip(NEXT) | instid1(SALU_CYCLE_1)
	s_and_b32 s40, exec_lo, s39
	s_or_b32 s0, s40, s0
	s_and_not1_b32 s36, s36, exec_lo
	s_and_b32 s40, s38, exec_lo
	s_delay_alu instid0(SALU_CYCLE_1)
	s_or_b32 s36, s36, s40
	s_and_not1_b32 exec_lo, exec_lo, s0
	s_cbranch_execz .LBB22_669
.LBB22_665:                             ; =>This Inner Loop Header: Depth=1
	s_or_b32 s38, s38, exec_lo
	s_or_b32 s39, s39, exec_lo
	s_mov_b32 s40, exec_lo
	s_delay_alu instid0(VALU_DEP_1)
	v_cmpx_lt_u64_e64 v[0:1], v[2:3]
	s_cbranch_execz .LBB22_664
; %bb.666:                              ;   in Loop: Header=BB22_665 Depth=1
	global_load_b64 v[4:5], v[0:1], off offset:-4
	s_wait_xcnt 0x0
	v_add_nc_u64_e32 v[0:1], 4, v[0:1]
	s_and_not1_b32 s39, s39, exec_lo
	s_and_not1_b32 s38, s38, exec_lo
	s_wait_loadcnt 0x0
	v_cmp_ge_i32_e32 vcc_lo, v4, v5
	s_or_b32 s41, s37, vcc_lo
	s_delay_alu instid0(SALU_CYCLE_1) | instskip(NEXT) | instid1(SALU_CYCLE_1)
	s_and_b32 s41, s41, exec_lo
	s_or_b32 s39, s39, s41
	s_branch .LBB22_664
.LBB22_667:
	s_mov_b32 s36, -1
	s_mov_b32 s67, s65
	s_branch .LBB22_679
.LBB22_668:
	s_mov_b32 s36, -1
	s_mov_b32 s27, 0
	s_mov_b32 s69, s64
                                        ; implicit-def: $vgpr8
	s_branch .LBB22_799
.LBB22_669:
	s_or_b32 exec_lo, exec_lo, s0
	s_delay_alu instid0(SALU_CYCLE_1)
	s_mov_b32 s0, exec_lo
	s_or_not1_b32 s37, s36, exec_lo
.LBB22_670:
	s_or_b32 exec_lo, exec_lo, s1
	s_mov_b32 s36, 0
	s_and_saveexec_b32 s1, s37
	s_cbranch_execz .LBB22_1917
; %bb.671:
	v_mul_lo_u32 v0, s33, v22
	s_and_b32 s36, s14, 0xff
	s_delay_alu instid0(SALU_CYCLE_1) | instskip(NEXT) | instid1(VALU_DEP_1)
	s_cmp_lt_i32 s36, 11
	v_ashrrev_i32_e32 v1, 31, v0
	s_delay_alu instid0(VALU_DEP_1)
	v_add_nc_u64_e32 v[0:1], s[2:3], v[0:1]
	s_cbranch_scc1 .LBB22_791
; %bb.672:
	s_and_b32 s37, 0xffff, s36
	s_delay_alu instid0(SALU_CYCLE_1)
	s_cmp_gt_i32 s37, 25
	s_cbranch_scc0 .LBB22_918
; %bb.673:
	s_cmp_gt_i32 s37, 28
	s_cbranch_scc0 .LBB22_1045
; %bb.674:
	;; [unrolled: 3-line block ×4, first 2 shown]
	s_mov_b32 s39, 0
	s_mov_b32 s27, -1
	s_cmp_eq_u32 s37, 46
	s_mov_b32 s38, 0
	s_cbranch_scc0 .LBB22_1835
; %bb.677:
	v_mov_b32_e32 v2, 0
	s_mov_b32 s38, -1
	s_mov_b32 s27, 0
	global_store_b32 v[0:1], v2, off
	s_branch .LBB22_1835
.LBB22_678:
	s_mov_b32 s67, -1
.LBB22_679:
                                        ; implicit-def: $vgpr7
.LBB22_680:
	s_and_b32 vcc_lo, exec_lo, s36
	s_cbranch_vccz .LBB22_685
; %bb.681:
	s_cmp_eq_u32 s1, 44
	s_cbranch_scc0 .LBB22_684
; %bb.682:
	global_load_u8 v2, v[0:1], off
	s_mov_b32 s67, 0
	s_mov_b32 s27, -1
	s_wait_loadcnt 0x0
	v_lshlrev_b32_e32 v3, 23, v2
	v_cmp_ne_u32_e32 vcc_lo, 0, v2
	s_delay_alu instid0(VALU_DEP_2) | instskip(NEXT) | instid1(VALU_DEP_1)
	v_cvt_i32_f32_e32 v3, v3
	v_cndmask_b32_e32 v7, 0, v3, vcc_lo
	s_branch .LBB22_685
.LBB22_683:
	s_mov_b32 s36, -1
	s_mov_b32 s27, 0
	s_mov_b32 s69, s64
	s_branch .LBB22_793
.LBB22_684:
	s_mov_b32 s67, -1
                                        ; implicit-def: $vgpr7
.LBB22_685:
	s_mov_b32 s36, 0
.LBB22_686:
	s_delay_alu instid0(SALU_CYCLE_1)
	s_and_b32 vcc_lo, exec_lo, s36
	s_cbranch_vccz .LBB22_690
; %bb.687:
	s_cmp_eq_u32 s1, 29
	s_cbranch_scc0 .LBB22_689
; %bb.688:
	global_load_b32 v7, v[0:1], off
	s_mov_b32 s27, -1
	s_mov_b32 s67, 0
	s_branch .LBB22_690
.LBB22_689:
	s_mov_b32 s67, -1
                                        ; implicit-def: $vgpr7
.LBB22_690:
	s_mov_b32 s36, 0
.LBB22_691:
	s_delay_alu instid0(SALU_CYCLE_1)
	s_and_b32 vcc_lo, exec_lo, s36
	s_cbranch_vccz .LBB22_707
; %bb.692:
	s_cmp_lt_i32 s1, 27
	s_cbranch_scc1 .LBB22_695
; %bb.693:
	s_cmp_gt_i32 s1, 27
	s_cbranch_scc0 .LBB22_696
; %bb.694:
	s_wait_loadcnt 0x0
	global_load_b32 v7, v[0:1], off
	s_mov_b32 s27, 0
	s_branch .LBB22_697
.LBB22_695:
	s_mov_b32 s27, -1
                                        ; implicit-def: $vgpr7
	s_branch .LBB22_700
.LBB22_696:
	s_mov_b32 s27, -1
                                        ; implicit-def: $vgpr7
.LBB22_697:
	s_delay_alu instid0(SALU_CYCLE_1)
	s_and_not1_b32 vcc_lo, exec_lo, s27
	s_cbranch_vccnz .LBB22_699
; %bb.698:
	s_wait_loadcnt 0x0
	global_load_u16 v7, v[0:1], off
.LBB22_699:
	s_mov_b32 s27, 0
.LBB22_700:
	s_delay_alu instid0(SALU_CYCLE_1)
	s_and_not1_b32 vcc_lo, exec_lo, s27
	s_cbranch_vccnz .LBB22_706
; %bb.701:
	global_load_u8 v2, v[0:1], off
	s_mov_b32 s36, 0
	s_mov_b32 s27, exec_lo
	s_wait_loadcnt 0x0
	v_cmpx_lt_i16_e32 0x7f, v2
	s_xor_b32 s27, exec_lo, s27
	s_cbranch_execz .LBB22_718
; %bb.702:
	v_cmp_ne_u16_e32 vcc_lo, 0x80, v2
	s_and_b32 s36, vcc_lo, exec_lo
	s_and_not1_saveexec_b32 s27, s27
	s_cbranch_execnz .LBB22_719
.LBB22_703:
	s_or_b32 exec_lo, exec_lo, s27
	v_mov_b32_e32 v7, 0
	s_and_saveexec_b32 s27, s36
	s_cbranch_execz .LBB22_705
.LBB22_704:
	v_and_b32_e32 v3, 0xffff, v2
	s_delay_alu instid0(VALU_DEP_1) | instskip(SKIP_1) | instid1(VALU_DEP_2)
	v_and_b32_e32 v4, 7, v3
	v_bfe_u32 v7, v3, 3, 4
	v_clz_i32_u32_e32 v5, v4
	s_delay_alu instid0(VALU_DEP_2) | instskip(NEXT) | instid1(VALU_DEP_2)
	v_cmp_eq_u32_e32 vcc_lo, 0, v7
	v_min_u32_e32 v5, 32, v5
	s_delay_alu instid0(VALU_DEP_1) | instskip(NEXT) | instid1(VALU_DEP_1)
	v_subrev_nc_u32_e32 v6, 28, v5
	v_dual_lshlrev_b32 v3, v6, v3 :: v_dual_sub_nc_u32 v5, 29, v5
	s_delay_alu instid0(VALU_DEP_1) | instskip(NEXT) | instid1(VALU_DEP_1)
	v_dual_lshlrev_b32 v2, 24, v2 :: v_dual_bitop2_b32 v3, 7, v3 bitop3:0x40
	v_dual_cndmask_b32 v5, v7, v5, vcc_lo :: v_dual_cndmask_b32 v3, v4, v3, vcc_lo
	s_delay_alu instid0(VALU_DEP_2) | instskip(NEXT) | instid1(VALU_DEP_2)
	v_and_b32_e32 v2, 0x80000000, v2
	v_lshl_add_u32 v4, v5, 23, 0x3b800000
	s_delay_alu instid0(VALU_DEP_3) | instskip(NEXT) | instid1(VALU_DEP_1)
	v_lshlrev_b32_e32 v3, 20, v3
	v_or3_b32 v2, v2, v4, v3
	s_delay_alu instid0(VALU_DEP_1)
	v_cvt_i32_f32_e32 v7, v2
.LBB22_705:
	s_or_b32 exec_lo, exec_lo, s27
.LBB22_706:
	s_mov_b32 s27, -1
.LBB22_707:
	s_mov_b32 s36, 0
.LBB22_708:
	s_delay_alu instid0(SALU_CYCLE_1)
	s_and_b32 vcc_lo, exec_lo, s36
	s_cbranch_vccz .LBB22_741
; %bb.709:
	s_cmp_gt_i32 s1, 22
	s_cbranch_scc0 .LBB22_717
; %bb.710:
	s_cmp_lt_i32 s1, 24
	s_cbranch_scc1 .LBB22_720
; %bb.711:
	s_cmp_gt_i32 s1, 24
	s_cbranch_scc0 .LBB22_721
; %bb.712:
	global_load_u8 v2, v[0:1], off
	s_mov_b32 s36, 0
	s_mov_b32 s27, exec_lo
	s_wait_loadcnt 0x0
	v_cmpx_lt_i16_e32 0x7f, v2
	s_xor_b32 s27, exec_lo, s27
	s_cbranch_execz .LBB22_733
; %bb.713:
	v_cmp_ne_u16_e32 vcc_lo, 0x80, v2
	s_and_b32 s36, vcc_lo, exec_lo
	s_and_not1_saveexec_b32 s27, s27
	s_cbranch_execnz .LBB22_734
.LBB22_714:
	s_or_b32 exec_lo, exec_lo, s27
	v_mov_b32_e32 v7, 0
	s_and_saveexec_b32 s27, s36
	s_cbranch_execz .LBB22_716
.LBB22_715:
	v_and_b32_e32 v3, 0xffff, v2
	s_delay_alu instid0(VALU_DEP_1) | instskip(SKIP_1) | instid1(VALU_DEP_2)
	v_and_b32_e32 v4, 3, v3
	v_bfe_u32 v7, v3, 2, 5
	v_clz_i32_u32_e32 v5, v4
	s_delay_alu instid0(VALU_DEP_2) | instskip(NEXT) | instid1(VALU_DEP_2)
	v_cmp_eq_u32_e32 vcc_lo, 0, v7
	v_min_u32_e32 v5, 32, v5
	s_delay_alu instid0(VALU_DEP_1) | instskip(NEXT) | instid1(VALU_DEP_1)
	v_subrev_nc_u32_e32 v6, 29, v5
	v_dual_lshlrev_b32 v3, v6, v3 :: v_dual_sub_nc_u32 v5, 30, v5
	s_delay_alu instid0(VALU_DEP_1) | instskip(NEXT) | instid1(VALU_DEP_1)
	v_dual_lshlrev_b32 v2, 24, v2 :: v_dual_bitop2_b32 v3, 3, v3 bitop3:0x40
	v_dual_cndmask_b32 v5, v7, v5, vcc_lo :: v_dual_cndmask_b32 v3, v4, v3, vcc_lo
	s_delay_alu instid0(VALU_DEP_2) | instskip(NEXT) | instid1(VALU_DEP_2)
	v_and_b32_e32 v2, 0x80000000, v2
	v_lshl_add_u32 v4, v5, 23, 0x37800000
	s_delay_alu instid0(VALU_DEP_3) | instskip(NEXT) | instid1(VALU_DEP_1)
	v_lshlrev_b32_e32 v3, 21, v3
	v_or3_b32 v2, v2, v4, v3
	s_delay_alu instid0(VALU_DEP_1)
	v_cvt_i32_f32_e32 v7, v2
.LBB22_716:
	s_or_b32 exec_lo, exec_lo, s27
	s_mov_b32 s27, 0
	s_branch .LBB22_722
.LBB22_717:
	s_mov_b32 s36, -1
                                        ; implicit-def: $vgpr7
	s_branch .LBB22_728
.LBB22_718:
	s_and_not1_saveexec_b32 s27, s27
	s_cbranch_execz .LBB22_703
.LBB22_719:
	v_cmp_ne_u16_e32 vcc_lo, 0, v2
	s_and_not1_b32 s36, s36, exec_lo
	s_and_b32 s37, vcc_lo, exec_lo
	s_delay_alu instid0(SALU_CYCLE_1)
	s_or_b32 s36, s36, s37
	s_or_b32 exec_lo, exec_lo, s27
	v_mov_b32_e32 v7, 0
	s_and_saveexec_b32 s27, s36
	s_cbranch_execnz .LBB22_704
	s_branch .LBB22_705
.LBB22_720:
	s_mov_b32 s27, -1
                                        ; implicit-def: $vgpr7
	s_branch .LBB22_725
.LBB22_721:
	s_mov_b32 s27, -1
                                        ; implicit-def: $vgpr7
.LBB22_722:
	s_delay_alu instid0(SALU_CYCLE_1)
	s_and_b32 vcc_lo, exec_lo, s27
	s_cbranch_vccz .LBB22_724
; %bb.723:
	global_load_u8 v2, v[0:1], off
	s_wait_loadcnt 0x0
	v_lshlrev_b32_e32 v2, 24, v2
	s_delay_alu instid0(VALU_DEP_1) | instskip(NEXT) | instid1(VALU_DEP_1)
	v_and_b32_e32 v3, 0x7f000000, v2
	v_clz_i32_u32_e32 v4, v3
	v_cmp_ne_u32_e32 vcc_lo, 0, v3
	v_add_nc_u32_e32 v6, 0x1000000, v3
	s_delay_alu instid0(VALU_DEP_3) | instskip(NEXT) | instid1(VALU_DEP_1)
	v_min_u32_e32 v4, 32, v4
	v_sub_nc_u32_e64 v4, v4, 4 clamp
	s_delay_alu instid0(VALU_DEP_1) | instskip(NEXT) | instid1(VALU_DEP_1)
	v_dual_lshlrev_b32 v5, v4, v3 :: v_dual_lshlrev_b32 v4, 23, v4
	v_lshrrev_b32_e32 v5, 4, v5
	s_delay_alu instid0(VALU_DEP_1) | instskip(NEXT) | instid1(VALU_DEP_1)
	v_dual_sub_nc_u32 v4, v5, v4 :: v_dual_ashrrev_i32 v5, 8, v6
	v_add_nc_u32_e32 v4, 0x3c000000, v4
	s_delay_alu instid0(VALU_DEP_1) | instskip(NEXT) | instid1(VALU_DEP_1)
	v_and_or_b32 v4, 0x7f800000, v5, v4
	v_cndmask_b32_e32 v3, 0, v4, vcc_lo
	s_delay_alu instid0(VALU_DEP_1) | instskip(NEXT) | instid1(VALU_DEP_1)
	v_and_or_b32 v2, 0x80000000, v2, v3
	v_cvt_i32_f32_e32 v7, v2
.LBB22_724:
	s_mov_b32 s27, 0
.LBB22_725:
	s_delay_alu instid0(SALU_CYCLE_1)
	s_and_not1_b32 vcc_lo, exec_lo, s27
	s_cbranch_vccnz .LBB22_727
; %bb.726:
	global_load_u8 v2, v[0:1], off
	s_wait_loadcnt 0x0
	v_lshlrev_b32_e32 v3, 25, v2
	v_lshlrev_b16 v2, 8, v2
	s_delay_alu instid0(VALU_DEP_1) | instskip(SKIP_1) | instid1(VALU_DEP_2)
	v_and_or_b32 v5, 0x7f00, v2, 0.5
	v_bfe_i32 v2, v2, 0, 16
	v_dual_add_f32 v5, -0.5, v5 :: v_dual_lshrrev_b32 v4, 4, v3
	v_cmp_gt_u32_e32 vcc_lo, 0x8000000, v3
	s_delay_alu instid0(VALU_DEP_2) | instskip(NEXT) | instid1(VALU_DEP_1)
	v_or_b32_e32 v4, 0x70000000, v4
	v_mul_f32_e32 v4, 0x7800000, v4
	s_delay_alu instid0(VALU_DEP_1) | instskip(NEXT) | instid1(VALU_DEP_1)
	v_cndmask_b32_e32 v3, v4, v5, vcc_lo
	v_and_or_b32 v2, 0x80000000, v2, v3
	s_delay_alu instid0(VALU_DEP_1)
	v_cvt_i32_f32_e32 v7, v2
.LBB22_727:
	s_mov_b32 s36, 0
	s_mov_b32 s27, -1
.LBB22_728:
	s_and_not1_b32 vcc_lo, exec_lo, s36
	s_cbranch_vccnz .LBB22_741
; %bb.729:
	s_cmp_gt_i32 s1, 14
	s_cbranch_scc0 .LBB22_732
; %bb.730:
	s_cmp_eq_u32 s1, 15
	s_cbranch_scc0 .LBB22_735
; %bb.731:
	global_load_u16 v2, v[0:1], off
	s_mov_b32 s27, -1
	s_mov_b32 s67, 0
	s_wait_loadcnt 0x0
	v_lshlrev_b32_e32 v2, 16, v2
	s_delay_alu instid0(VALU_DEP_1)
	v_cvt_i32_f32_e32 v7, v2
	s_branch .LBB22_736
.LBB22_732:
	s_mov_b32 s36, -1
                                        ; implicit-def: $vgpr7
	s_branch .LBB22_737
.LBB22_733:
	s_and_not1_saveexec_b32 s27, s27
	s_cbranch_execz .LBB22_714
.LBB22_734:
	v_cmp_ne_u16_e32 vcc_lo, 0, v2
	s_and_not1_b32 s36, s36, exec_lo
	s_and_b32 s37, vcc_lo, exec_lo
	s_delay_alu instid0(SALU_CYCLE_1)
	s_or_b32 s36, s36, s37
	s_or_b32 exec_lo, exec_lo, s27
	v_mov_b32_e32 v7, 0
	s_and_saveexec_b32 s27, s36
	s_cbranch_execnz .LBB22_715
	s_branch .LBB22_716
.LBB22_735:
	s_mov_b32 s67, -1
                                        ; implicit-def: $vgpr7
.LBB22_736:
	s_mov_b32 s36, 0
.LBB22_737:
	s_delay_alu instid0(SALU_CYCLE_1)
	s_and_b32 vcc_lo, exec_lo, s36
	s_cbranch_vccz .LBB22_741
; %bb.738:
	s_cmp_eq_u32 s1, 11
	s_cbranch_scc0 .LBB22_740
; %bb.739:
	global_load_u8 v2, v[0:1], off
	s_mov_b32 s67, 0
	s_mov_b32 s27, -1
	s_wait_loadcnt 0x0
	v_cmp_ne_u16_e32 vcc_lo, 0, v2
	v_cndmask_b32_e64 v7, 0, 1, vcc_lo
	s_branch .LBB22_741
.LBB22_740:
	s_mov_b32 s67, -1
                                        ; implicit-def: $vgpr7
.LBB22_741:
	s_branch .LBB22_648
.LBB22_742:
	s_and_b32 s0, 0xffff, s0
	s_delay_alu instid0(SALU_CYCLE_1)
	s_cmp_lt_i32 s0, 5
	s_cbranch_scc1 .LBB22_747
; %bb.743:
	s_cmp_lt_i32 s0, 8
	s_cbranch_scc1 .LBB22_748
; %bb.744:
	;; [unrolled: 3-line block ×3, first 2 shown]
	s_cmp_gt_i32 s0, 9
	s_cbranch_scc0 .LBB22_750
; %bb.746:
	global_load_b64 v[2:3], v[0:1], off
	s_mov_b32 s1, 0
	s_wait_loadcnt 0x0
	v_cvt_i32_f64_e32 v7, v[2:3]
	s_branch .LBB22_751
.LBB22_747:
	s_mov_b32 s1, -1
                                        ; implicit-def: $vgpr7
	s_branch .LBB22_769
.LBB22_748:
	s_mov_b32 s1, -1
                                        ; implicit-def: $vgpr7
	s_branch .LBB22_757
.LBB22_749:
	s_mov_b32 s1, -1
                                        ; implicit-def: $vgpr7
	s_branch .LBB22_754
.LBB22_750:
	s_mov_b32 s1, -1
                                        ; implicit-def: $vgpr7
.LBB22_751:
	s_delay_alu instid0(SALU_CYCLE_1)
	s_and_not1_b32 vcc_lo, exec_lo, s1
	s_cbranch_vccnz .LBB22_753
; %bb.752:
	global_load_b32 v2, v[0:1], off
	s_wait_loadcnt 0x0
	v_cvt_i32_f32_e32 v7, v2
.LBB22_753:
	s_mov_b32 s1, 0
.LBB22_754:
	s_delay_alu instid0(SALU_CYCLE_1)
	s_and_not1_b32 vcc_lo, exec_lo, s1
	s_cbranch_vccnz .LBB22_756
; %bb.755:
	global_load_b32 v2, v[0:1], off
	s_wait_loadcnt 0x0
	v_cvt_f32_f16_e32 v2, v2
	s_delay_alu instid0(VALU_DEP_1)
	v_cvt_i32_f32_e32 v7, v2
.LBB22_756:
	s_mov_b32 s1, 0
.LBB22_757:
	s_delay_alu instid0(SALU_CYCLE_1)
	s_and_not1_b32 vcc_lo, exec_lo, s1
	s_cbranch_vccnz .LBB22_768
; %bb.758:
	s_cmp_lt_i32 s0, 6
	s_cbranch_scc1 .LBB22_761
; %bb.759:
	s_cmp_gt_i32 s0, 6
	s_cbranch_scc0 .LBB22_762
; %bb.760:
	global_load_b64 v[2:3], v[0:1], off
	s_mov_b32 s1, 0
	s_wait_loadcnt 0x0
	v_cvt_i32_f64_e32 v7, v[2:3]
	s_branch .LBB22_763
.LBB22_761:
	s_mov_b32 s1, -1
                                        ; implicit-def: $vgpr7
	s_branch .LBB22_766
.LBB22_762:
	s_mov_b32 s1, -1
                                        ; implicit-def: $vgpr7
.LBB22_763:
	s_delay_alu instid0(SALU_CYCLE_1)
	s_and_not1_b32 vcc_lo, exec_lo, s1
	s_cbranch_vccnz .LBB22_765
; %bb.764:
	global_load_b32 v2, v[0:1], off
	s_wait_loadcnt 0x0
	v_cvt_i32_f32_e32 v7, v2
.LBB22_765:
	s_mov_b32 s1, 0
.LBB22_766:
	s_delay_alu instid0(SALU_CYCLE_1)
	s_and_not1_b32 vcc_lo, exec_lo, s1
	s_cbranch_vccnz .LBB22_768
; %bb.767:
	global_load_u16 v2, v[0:1], off
	s_wait_loadcnt 0x0
	v_cvt_f32_f16_e32 v2, v2
	s_delay_alu instid0(VALU_DEP_1)
	v_cvt_i32_f32_e32 v7, v2
.LBB22_768:
	s_mov_b32 s1, 0
.LBB22_769:
	s_delay_alu instid0(SALU_CYCLE_1)
	s_and_not1_b32 vcc_lo, exec_lo, s1
	s_cbranch_vccnz .LBB22_789
; %bb.770:
	s_cmp_lt_i32 s0, 2
	s_cbranch_scc1 .LBB22_774
; %bb.771:
	s_cmp_lt_i32 s0, 3
	s_cbranch_scc1 .LBB22_775
; %bb.772:
	s_cmp_gt_i32 s0, 3
	s_cbranch_scc0 .LBB22_776
; %bb.773:
	s_wait_loadcnt 0x0
	global_load_b32 v7, v[0:1], off
	s_mov_b32 s1, 0
	s_branch .LBB22_777
.LBB22_774:
	s_mov_b32 s1, -1
                                        ; implicit-def: $vgpr7
	s_branch .LBB22_783
.LBB22_775:
	s_mov_b32 s1, -1
                                        ; implicit-def: $vgpr7
	s_branch .LBB22_780
.LBB22_776:
	s_mov_b32 s1, -1
                                        ; implicit-def: $vgpr7
.LBB22_777:
	s_delay_alu instid0(SALU_CYCLE_1)
	s_and_not1_b32 vcc_lo, exec_lo, s1
	s_cbranch_vccnz .LBB22_779
; %bb.778:
	s_wait_loadcnt 0x0
	global_load_b32 v7, v[0:1], off
.LBB22_779:
	s_mov_b32 s1, 0
.LBB22_780:
	s_delay_alu instid0(SALU_CYCLE_1)
	s_and_not1_b32 vcc_lo, exec_lo, s1
	s_cbranch_vccnz .LBB22_782
; %bb.781:
	s_wait_loadcnt 0x0
	global_load_i16 v7, v[0:1], off
.LBB22_782:
	s_mov_b32 s1, 0
.LBB22_783:
	s_delay_alu instid0(SALU_CYCLE_1)
	s_and_not1_b32 vcc_lo, exec_lo, s1
	s_cbranch_vccnz .LBB22_789
; %bb.784:
	s_cmp_gt_i32 s0, 0
	s_mov_b32 s0, 0
	s_cbranch_scc0 .LBB22_786
; %bb.785:
	s_wait_loadcnt 0x0
	global_load_i8 v7, v[0:1], off
	s_branch .LBB22_787
.LBB22_786:
	s_mov_b32 s0, -1
                                        ; implicit-def: $vgpr7
.LBB22_787:
	s_delay_alu instid0(SALU_CYCLE_1)
	s_and_not1_b32 vcc_lo, exec_lo, s0
	s_cbranch_vccnz .LBB22_789
; %bb.788:
	s_wait_loadcnt 0x0
	global_load_u8 v7, v[0:1], off
.LBB22_789:
	s_branch .LBB22_649
.LBB22_790:
	s_mov_b32 s0, 0
	s_mov_b32 s1, s54
	s_mov_b32 s27, s57
	s_mov_b32 s36, s58
	s_mov_b32 s38, s59
	s_mov_b32 s37, s60
	s_mov_b32 s70, s61
	s_mov_b32 s71, s62
	s_mov_b32 s68, s63
	s_mov_b32 s69, s64
	s_branch .LBB22_1297
.LBB22_791:
	s_mov_b32 s37, -1
	s_mov_b32 s27, 0
	s_mov_b32 s38, 0
	s_branch .LBB22_1874
.LBB22_792:
	s_mov_b32 s69, -1
	s_mov_b32 s27, 0
.LBB22_793:
                                        ; implicit-def: $vgpr8
.LBB22_794:
	s_and_b32 vcc_lo, exec_lo, s36
	s_cbranch_vccz .LBB22_798
; %bb.795:
	s_cmp_eq_u32 s1, 44
	s_cbranch_scc0 .LBB22_797
; %bb.796:
	global_load_u8 v2, v[0:1], off
	s_mov_b32 s69, 0
	s_mov_b32 s27, -1
	s_wait_loadcnt 0x0
	v_lshlrev_b32_e32 v3, 23, v2
	v_cmp_ne_u32_e32 vcc_lo, 0, v2
	s_delay_alu instid0(VALU_DEP_2) | instskip(NEXT) | instid1(VALU_DEP_1)
	v_cvt_i32_f32_e32 v3, v3
	v_cndmask_b32_e32 v8, 0, v3, vcc_lo
	s_branch .LBB22_798
.LBB22_797:
	s_mov_b32 s69, -1
                                        ; implicit-def: $vgpr8
.LBB22_798:
	s_mov_b32 s36, 0
.LBB22_799:
	s_delay_alu instid0(SALU_CYCLE_1)
	s_and_b32 vcc_lo, exec_lo, s36
	s_cbranch_vccz .LBB22_803
; %bb.800:
	s_cmp_eq_u32 s1, 29
	s_cbranch_scc0 .LBB22_802
; %bb.801:
	global_load_b32 v8, v[0:1], off
	s_mov_b32 s27, -1
	s_mov_b32 s69, 0
	s_branch .LBB22_803
.LBB22_802:
	s_mov_b32 s69, -1
                                        ; implicit-def: $vgpr8
.LBB22_803:
	s_mov_b32 s36, 0
.LBB22_804:
	s_delay_alu instid0(SALU_CYCLE_1)
	s_and_b32 vcc_lo, exec_lo, s36
	s_cbranch_vccz .LBB22_820
; %bb.805:
	s_cmp_lt_i32 s1, 27
	s_cbranch_scc1 .LBB22_808
; %bb.806:
	s_cmp_gt_i32 s1, 27
	s_cbranch_scc0 .LBB22_809
; %bb.807:
	s_wait_loadcnt 0x0
	global_load_b32 v8, v[0:1], off
	s_mov_b32 s27, 0
	s_branch .LBB22_810
.LBB22_808:
	s_mov_b32 s27, -1
                                        ; implicit-def: $vgpr8
	s_branch .LBB22_813
.LBB22_809:
	s_mov_b32 s27, -1
                                        ; implicit-def: $vgpr8
.LBB22_810:
	s_delay_alu instid0(SALU_CYCLE_1)
	s_and_not1_b32 vcc_lo, exec_lo, s27
	s_cbranch_vccnz .LBB22_812
; %bb.811:
	s_wait_loadcnt 0x0
	global_load_u16 v8, v[0:1], off
.LBB22_812:
	s_mov_b32 s27, 0
.LBB22_813:
	s_delay_alu instid0(SALU_CYCLE_1)
	s_and_not1_b32 vcc_lo, exec_lo, s27
	s_cbranch_vccnz .LBB22_819
; %bb.814:
	global_load_u8 v2, v[0:1], off
	s_mov_b32 s36, 0
	s_mov_b32 s27, exec_lo
	s_wait_loadcnt 0x0
	v_cmpx_lt_i16_e32 0x7f, v2
	s_xor_b32 s27, exec_lo, s27
	s_cbranch_execz .LBB22_831
; %bb.815:
	v_cmp_ne_u16_e32 vcc_lo, 0x80, v2
	s_and_b32 s36, vcc_lo, exec_lo
	s_and_not1_saveexec_b32 s27, s27
	s_cbranch_execnz .LBB22_832
.LBB22_816:
	s_or_b32 exec_lo, exec_lo, s27
	v_mov_b32_e32 v8, 0
	s_and_saveexec_b32 s27, s36
	s_cbranch_execz .LBB22_818
.LBB22_817:
	v_and_b32_e32 v3, 0xffff, v2
	s_delay_alu instid0(VALU_DEP_1) | instskip(SKIP_1) | instid1(VALU_DEP_2)
	v_and_b32_e32 v4, 7, v3
	v_bfe_u32 v8, v3, 3, 4
	v_clz_i32_u32_e32 v5, v4
	s_delay_alu instid0(VALU_DEP_2) | instskip(NEXT) | instid1(VALU_DEP_2)
	v_cmp_eq_u32_e32 vcc_lo, 0, v8
	v_min_u32_e32 v5, 32, v5
	s_delay_alu instid0(VALU_DEP_1) | instskip(NEXT) | instid1(VALU_DEP_1)
	v_subrev_nc_u32_e32 v6, 28, v5
	v_dual_lshlrev_b32 v3, v6, v3 :: v_dual_sub_nc_u32 v5, 29, v5
	s_delay_alu instid0(VALU_DEP_1) | instskip(NEXT) | instid1(VALU_DEP_2)
	v_dual_lshlrev_b32 v2, 24, v2 :: v_dual_bitop2_b32 v3, 7, v3 bitop3:0x40
	v_cndmask_b32_e32 v5, v8, v5, vcc_lo
	s_delay_alu instid0(VALU_DEP_2) | instskip(NEXT) | instid1(VALU_DEP_3)
	v_cndmask_b32_e32 v3, v4, v3, vcc_lo
	v_and_b32_e32 v2, 0x80000000, v2
	s_delay_alu instid0(VALU_DEP_3) | instskip(NEXT) | instid1(VALU_DEP_3)
	v_lshl_add_u32 v4, v5, 23, 0x3b800000
	v_lshlrev_b32_e32 v3, 20, v3
	s_delay_alu instid0(VALU_DEP_1) | instskip(NEXT) | instid1(VALU_DEP_1)
	v_or3_b32 v2, v2, v4, v3
	v_cvt_i32_f32_e32 v8, v2
.LBB22_818:
	s_or_b32 exec_lo, exec_lo, s27
.LBB22_819:
	s_mov_b32 s27, -1
.LBB22_820:
	s_mov_b32 s36, 0
.LBB22_821:
	s_delay_alu instid0(SALU_CYCLE_1)
	s_and_b32 vcc_lo, exec_lo, s36
	s_cbranch_vccz .LBB22_854
; %bb.822:
	s_cmp_gt_i32 s1, 22
	s_cbranch_scc0 .LBB22_830
; %bb.823:
	s_cmp_lt_i32 s1, 24
	s_cbranch_scc1 .LBB22_833
; %bb.824:
	s_cmp_gt_i32 s1, 24
	s_cbranch_scc0 .LBB22_834
; %bb.825:
	global_load_u8 v2, v[0:1], off
	s_mov_b32 s36, 0
	s_mov_b32 s27, exec_lo
	s_wait_loadcnt 0x0
	v_cmpx_lt_i16_e32 0x7f, v2
	s_xor_b32 s27, exec_lo, s27
	s_cbranch_execz .LBB22_846
; %bb.826:
	v_cmp_ne_u16_e32 vcc_lo, 0x80, v2
	s_and_b32 s36, vcc_lo, exec_lo
	s_and_not1_saveexec_b32 s27, s27
	s_cbranch_execnz .LBB22_847
.LBB22_827:
	s_or_b32 exec_lo, exec_lo, s27
	v_mov_b32_e32 v8, 0
	s_and_saveexec_b32 s27, s36
	s_cbranch_execz .LBB22_829
.LBB22_828:
	v_and_b32_e32 v3, 0xffff, v2
	s_delay_alu instid0(VALU_DEP_1) | instskip(SKIP_1) | instid1(VALU_DEP_2)
	v_and_b32_e32 v4, 3, v3
	v_bfe_u32 v8, v3, 2, 5
	v_clz_i32_u32_e32 v5, v4
	s_delay_alu instid0(VALU_DEP_2) | instskip(NEXT) | instid1(VALU_DEP_2)
	v_cmp_eq_u32_e32 vcc_lo, 0, v8
	v_min_u32_e32 v5, 32, v5
	s_delay_alu instid0(VALU_DEP_1) | instskip(NEXT) | instid1(VALU_DEP_1)
	v_subrev_nc_u32_e32 v6, 29, v5
	v_dual_lshlrev_b32 v3, v6, v3 :: v_dual_sub_nc_u32 v5, 30, v5
	s_delay_alu instid0(VALU_DEP_1) | instskip(NEXT) | instid1(VALU_DEP_2)
	v_dual_lshlrev_b32 v2, 24, v2 :: v_dual_bitop2_b32 v3, 3, v3 bitop3:0x40
	v_cndmask_b32_e32 v5, v8, v5, vcc_lo
	s_delay_alu instid0(VALU_DEP_2) | instskip(NEXT) | instid1(VALU_DEP_3)
	v_cndmask_b32_e32 v3, v4, v3, vcc_lo
	v_and_b32_e32 v2, 0x80000000, v2
	s_delay_alu instid0(VALU_DEP_3) | instskip(NEXT) | instid1(VALU_DEP_3)
	v_lshl_add_u32 v4, v5, 23, 0x37800000
	v_lshlrev_b32_e32 v3, 21, v3
	s_delay_alu instid0(VALU_DEP_1) | instskip(NEXT) | instid1(VALU_DEP_1)
	v_or3_b32 v2, v2, v4, v3
	v_cvt_i32_f32_e32 v8, v2
.LBB22_829:
	s_or_b32 exec_lo, exec_lo, s27
	s_mov_b32 s27, 0
	s_branch .LBB22_835
.LBB22_830:
	s_mov_b32 s36, -1
                                        ; implicit-def: $vgpr8
	s_branch .LBB22_841
.LBB22_831:
	s_and_not1_saveexec_b32 s27, s27
	s_cbranch_execz .LBB22_816
.LBB22_832:
	v_cmp_ne_u16_e32 vcc_lo, 0, v2
	s_and_not1_b32 s36, s36, exec_lo
	s_and_b32 s37, vcc_lo, exec_lo
	s_delay_alu instid0(SALU_CYCLE_1)
	s_or_b32 s36, s36, s37
	s_or_b32 exec_lo, exec_lo, s27
	v_mov_b32_e32 v8, 0
	s_and_saveexec_b32 s27, s36
	s_cbranch_execnz .LBB22_817
	s_branch .LBB22_818
.LBB22_833:
	s_mov_b32 s27, -1
                                        ; implicit-def: $vgpr8
	s_branch .LBB22_838
.LBB22_834:
	s_mov_b32 s27, -1
                                        ; implicit-def: $vgpr8
.LBB22_835:
	s_delay_alu instid0(SALU_CYCLE_1)
	s_and_b32 vcc_lo, exec_lo, s27
	s_cbranch_vccz .LBB22_837
; %bb.836:
	global_load_u8 v2, v[0:1], off
	s_wait_loadcnt 0x0
	v_lshlrev_b32_e32 v2, 24, v2
	s_delay_alu instid0(VALU_DEP_1) | instskip(NEXT) | instid1(VALU_DEP_1)
	v_and_b32_e32 v3, 0x7f000000, v2
	v_clz_i32_u32_e32 v4, v3
	v_cmp_ne_u32_e32 vcc_lo, 0, v3
	v_add_nc_u32_e32 v6, 0x1000000, v3
	s_delay_alu instid0(VALU_DEP_3) | instskip(NEXT) | instid1(VALU_DEP_1)
	v_min_u32_e32 v4, 32, v4
	v_sub_nc_u32_e64 v4, v4, 4 clamp
	s_delay_alu instid0(VALU_DEP_1) | instskip(NEXT) | instid1(VALU_DEP_1)
	v_dual_lshlrev_b32 v5, v4, v3 :: v_dual_lshlrev_b32 v4, 23, v4
	v_lshrrev_b32_e32 v5, 4, v5
	s_delay_alu instid0(VALU_DEP_1) | instskip(NEXT) | instid1(VALU_DEP_1)
	v_dual_sub_nc_u32 v4, v5, v4 :: v_dual_ashrrev_i32 v5, 8, v6
	v_add_nc_u32_e32 v4, 0x3c000000, v4
	s_delay_alu instid0(VALU_DEP_1) | instskip(NEXT) | instid1(VALU_DEP_1)
	v_and_or_b32 v4, 0x7f800000, v5, v4
	v_cndmask_b32_e32 v3, 0, v4, vcc_lo
	s_delay_alu instid0(VALU_DEP_1) | instskip(NEXT) | instid1(VALU_DEP_1)
	v_and_or_b32 v2, 0x80000000, v2, v3
	v_cvt_i32_f32_e32 v8, v2
.LBB22_837:
	s_mov_b32 s27, 0
.LBB22_838:
	s_delay_alu instid0(SALU_CYCLE_1)
	s_and_not1_b32 vcc_lo, exec_lo, s27
	s_cbranch_vccnz .LBB22_840
; %bb.839:
	global_load_u8 v2, v[0:1], off
	s_wait_loadcnt 0x0
	v_lshlrev_b32_e32 v3, 25, v2
	v_lshlrev_b16 v2, 8, v2
	s_delay_alu instid0(VALU_DEP_1) | instskip(SKIP_1) | instid1(VALU_DEP_2)
	v_and_or_b32 v5, 0x7f00, v2, 0.5
	v_bfe_i32 v2, v2, 0, 16
	v_dual_add_f32 v5, -0.5, v5 :: v_dual_lshrrev_b32 v4, 4, v3
	v_cmp_gt_u32_e32 vcc_lo, 0x8000000, v3
	s_delay_alu instid0(VALU_DEP_2) | instskip(NEXT) | instid1(VALU_DEP_1)
	v_or_b32_e32 v4, 0x70000000, v4
	v_mul_f32_e32 v4, 0x7800000, v4
	s_delay_alu instid0(VALU_DEP_1) | instskip(NEXT) | instid1(VALU_DEP_1)
	v_cndmask_b32_e32 v3, v4, v5, vcc_lo
	v_and_or_b32 v2, 0x80000000, v2, v3
	s_delay_alu instid0(VALU_DEP_1)
	v_cvt_i32_f32_e32 v8, v2
.LBB22_840:
	s_mov_b32 s36, 0
	s_mov_b32 s27, -1
.LBB22_841:
	s_and_not1_b32 vcc_lo, exec_lo, s36
	s_cbranch_vccnz .LBB22_854
; %bb.842:
	s_cmp_gt_i32 s1, 14
	s_cbranch_scc0 .LBB22_845
; %bb.843:
	s_cmp_eq_u32 s1, 15
	s_cbranch_scc0 .LBB22_848
; %bb.844:
	global_load_u16 v2, v[0:1], off
	s_mov_b32 s27, -1
	s_mov_b32 s69, 0
	s_wait_loadcnt 0x0
	v_lshlrev_b32_e32 v2, 16, v2
	s_delay_alu instid0(VALU_DEP_1)
	v_cvt_i32_f32_e32 v8, v2
	s_branch .LBB22_849
.LBB22_845:
	s_mov_b32 s36, -1
                                        ; implicit-def: $vgpr8
	s_branch .LBB22_850
.LBB22_846:
	s_and_not1_saveexec_b32 s27, s27
	s_cbranch_execz .LBB22_827
.LBB22_847:
	v_cmp_ne_u16_e32 vcc_lo, 0, v2
	s_and_not1_b32 s36, s36, exec_lo
	s_and_b32 s37, vcc_lo, exec_lo
	s_delay_alu instid0(SALU_CYCLE_1)
	s_or_b32 s36, s36, s37
	s_or_b32 exec_lo, exec_lo, s27
	v_mov_b32_e32 v8, 0
	s_and_saveexec_b32 s27, s36
	s_cbranch_execnz .LBB22_828
	s_branch .LBB22_829
.LBB22_848:
	s_mov_b32 s69, -1
                                        ; implicit-def: $vgpr8
.LBB22_849:
	s_mov_b32 s36, 0
.LBB22_850:
	s_delay_alu instid0(SALU_CYCLE_1)
	s_and_b32 vcc_lo, exec_lo, s36
	s_cbranch_vccz .LBB22_854
; %bb.851:
	s_cmp_eq_u32 s1, 11
	s_cbranch_scc0 .LBB22_853
; %bb.852:
	global_load_u8 v2, v[0:1], off
	s_mov_b32 s69, 0
	s_mov_b32 s27, -1
	s_wait_loadcnt 0x0
	v_cmp_ne_u16_e32 vcc_lo, 0, v2
	v_cndmask_b32_e64 v8, 0, 1, vcc_lo
	s_branch .LBB22_854
.LBB22_853:
	s_mov_b32 s69, -1
                                        ; implicit-def: $vgpr8
.LBB22_854:
	s_mov_b32 s1, 0
.LBB22_855:
	s_delay_alu instid0(SALU_CYCLE_1)
	s_and_b32 vcc_lo, exec_lo, s1
	s_cbranch_vccz .LBB22_904
; %bb.856:
	s_and_b32 s0, 0xffff, s0
	s_delay_alu instid0(SALU_CYCLE_1)
	s_cmp_lt_i32 s0, 5
	s_cbranch_scc1 .LBB22_861
; %bb.857:
	s_cmp_lt_i32 s0, 8
	s_cbranch_scc1 .LBB22_862
; %bb.858:
	;; [unrolled: 3-line block ×3, first 2 shown]
	s_cmp_gt_i32 s0, 9
	s_cbranch_scc0 .LBB22_864
; %bb.860:
	global_load_b64 v[2:3], v[0:1], off
	s_mov_b32 s1, 0
	s_wait_loadcnt 0x0
	v_cvt_i32_f64_e32 v8, v[2:3]
	s_branch .LBB22_865
.LBB22_861:
	s_mov_b32 s1, -1
                                        ; implicit-def: $vgpr8
	s_branch .LBB22_883
.LBB22_862:
	s_mov_b32 s1, -1
                                        ; implicit-def: $vgpr8
	s_branch .LBB22_871
.LBB22_863:
	s_mov_b32 s1, -1
                                        ; implicit-def: $vgpr8
	s_branch .LBB22_868
.LBB22_864:
	s_mov_b32 s1, -1
                                        ; implicit-def: $vgpr8
.LBB22_865:
	s_delay_alu instid0(SALU_CYCLE_1)
	s_and_not1_b32 vcc_lo, exec_lo, s1
	s_cbranch_vccnz .LBB22_867
; %bb.866:
	global_load_b32 v2, v[0:1], off
	s_wait_loadcnt 0x0
	v_cvt_i32_f32_e32 v8, v2
.LBB22_867:
	s_mov_b32 s1, 0
.LBB22_868:
	s_delay_alu instid0(SALU_CYCLE_1)
	s_and_not1_b32 vcc_lo, exec_lo, s1
	s_cbranch_vccnz .LBB22_870
; %bb.869:
	global_load_b32 v2, v[0:1], off
	s_wait_loadcnt 0x0
	v_cvt_f32_f16_e32 v2, v2
	s_delay_alu instid0(VALU_DEP_1)
	v_cvt_i32_f32_e32 v8, v2
.LBB22_870:
	s_mov_b32 s1, 0
.LBB22_871:
	s_delay_alu instid0(SALU_CYCLE_1)
	s_and_not1_b32 vcc_lo, exec_lo, s1
	s_cbranch_vccnz .LBB22_882
; %bb.872:
	s_cmp_lt_i32 s0, 6
	s_cbranch_scc1 .LBB22_875
; %bb.873:
	s_cmp_gt_i32 s0, 6
	s_cbranch_scc0 .LBB22_876
; %bb.874:
	global_load_b64 v[2:3], v[0:1], off
	s_mov_b32 s1, 0
	s_wait_loadcnt 0x0
	v_cvt_i32_f64_e32 v8, v[2:3]
	s_branch .LBB22_877
.LBB22_875:
	s_mov_b32 s1, -1
                                        ; implicit-def: $vgpr8
	s_branch .LBB22_880
.LBB22_876:
	s_mov_b32 s1, -1
                                        ; implicit-def: $vgpr8
.LBB22_877:
	s_delay_alu instid0(SALU_CYCLE_1)
	s_and_not1_b32 vcc_lo, exec_lo, s1
	s_cbranch_vccnz .LBB22_879
; %bb.878:
	global_load_b32 v2, v[0:1], off
	s_wait_loadcnt 0x0
	v_cvt_i32_f32_e32 v8, v2
.LBB22_879:
	s_mov_b32 s1, 0
.LBB22_880:
	s_delay_alu instid0(SALU_CYCLE_1)
	s_and_not1_b32 vcc_lo, exec_lo, s1
	s_cbranch_vccnz .LBB22_882
; %bb.881:
	global_load_u16 v2, v[0:1], off
	s_wait_loadcnt 0x0
	v_cvt_f32_f16_e32 v2, v2
	s_delay_alu instid0(VALU_DEP_1)
	v_cvt_i32_f32_e32 v8, v2
.LBB22_882:
	s_mov_b32 s1, 0
.LBB22_883:
	s_delay_alu instid0(SALU_CYCLE_1)
	s_and_not1_b32 vcc_lo, exec_lo, s1
	s_cbranch_vccnz .LBB22_903
; %bb.884:
	s_cmp_lt_i32 s0, 2
	s_cbranch_scc1 .LBB22_888
; %bb.885:
	s_cmp_lt_i32 s0, 3
	s_cbranch_scc1 .LBB22_889
; %bb.886:
	s_cmp_gt_i32 s0, 3
	s_cbranch_scc0 .LBB22_890
; %bb.887:
	s_wait_loadcnt 0x0
	global_load_b32 v8, v[0:1], off
	s_mov_b32 s1, 0
	s_branch .LBB22_891
.LBB22_888:
	s_mov_b32 s1, -1
                                        ; implicit-def: $vgpr8
	s_branch .LBB22_897
.LBB22_889:
	s_mov_b32 s1, -1
                                        ; implicit-def: $vgpr8
	s_branch .LBB22_894
.LBB22_890:
	s_mov_b32 s1, -1
                                        ; implicit-def: $vgpr8
.LBB22_891:
	s_delay_alu instid0(SALU_CYCLE_1)
	s_and_not1_b32 vcc_lo, exec_lo, s1
	s_cbranch_vccnz .LBB22_893
; %bb.892:
	s_wait_loadcnt 0x0
	global_load_b32 v8, v[0:1], off
.LBB22_893:
	s_mov_b32 s1, 0
.LBB22_894:
	s_delay_alu instid0(SALU_CYCLE_1)
	s_and_not1_b32 vcc_lo, exec_lo, s1
	s_cbranch_vccnz .LBB22_896
; %bb.895:
	s_wait_loadcnt 0x0
	global_load_i16 v8, v[0:1], off
.LBB22_896:
	s_mov_b32 s1, 0
.LBB22_897:
	s_delay_alu instid0(SALU_CYCLE_1)
	s_and_not1_b32 vcc_lo, exec_lo, s1
	s_cbranch_vccnz .LBB22_903
; %bb.898:
	s_cmp_gt_i32 s0, 0
	s_mov_b32 s0, 0
	s_cbranch_scc0 .LBB22_900
; %bb.899:
	s_wait_loadcnt 0x0
	global_load_i8 v8, v[0:1], off
	s_branch .LBB22_901
.LBB22_900:
	s_mov_b32 s0, -1
                                        ; implicit-def: $vgpr8
.LBB22_901:
	s_delay_alu instid0(SALU_CYCLE_1)
	s_and_not1_b32 vcc_lo, exec_lo, s0
	s_cbranch_vccnz .LBB22_903
; %bb.902:
	s_wait_loadcnt 0x0
	global_load_u8 v8, v[0:1], off
.LBB22_903:
	s_mov_b32 s27, -1
.LBB22_904:
	s_delay_alu instid0(SALU_CYCLE_1)
	s_and_not1_b32 vcc_lo, exec_lo, s27
	s_cbranch_vccnz .LBB22_912
; %bb.905:
	s_wait_xcnt 0x0
	v_mul_lo_u32 v0, s22, v22
	s_and_b32 s0, s34, 0xff
	s_delay_alu instid0(SALU_CYCLE_1) | instskip(NEXT) | instid1(VALU_DEP_1)
	s_cmp_lt_i32 s0, 11
	v_ashrrev_i32_e32 v1, 31, v0
	s_delay_alu instid0(VALU_DEP_1)
	v_add_nc_u64_e32 v[2:3], s[8:9], v[0:1]
	s_cbranch_scc1 .LBB22_913
; %bb.906:
	s_and_b32 s1, 0xffff, s0
	s_delay_alu instid0(SALU_CYCLE_1)
	s_cmp_gt_i32 s1, 25
	s_cbranch_scc0 .LBB22_914
; %bb.907:
	s_cmp_gt_i32 s1, 28
	s_cbranch_scc0 .LBB22_915
; %bb.908:
	;; [unrolled: 3-line block ×4, first 2 shown]
	s_cmp_eq_u32 s1, 46
	s_mov_b32 s36, 0
	s_cbranch_scc0 .LBB22_919
; %bb.911:
	global_load_b32 v0, v[2:3], off
	s_mov_b32 s27, -1
	s_mov_b32 s68, 0
	s_wait_loadcnt 0x0
	v_lshlrev_b32_e32 v0, 16, v0
	s_delay_alu instid0(VALU_DEP_1)
	v_cvt_i32_f32_e32 v0, v0
	s_branch .LBB22_921
.LBB22_912:
	s_mov_b32 s0, 0
	s_mov_b32 s1, s54
	;; [unrolled: 1-line block ×9, first 2 shown]
	s_branch .LBB22_1297
.LBB22_913:
	s_mov_b32 s1, -1
	s_mov_b32 s27, 0
	s_mov_b32 s68, s63
                                        ; implicit-def: $vgpr0
	s_branch .LBB22_982
.LBB22_914:
	s_mov_b32 s36, -1
	s_mov_b32 s27, 0
	s_mov_b32 s68, s63
                                        ; implicit-def: $vgpr0
	s_branch .LBB22_948
.LBB22_915:
	s_mov_b32 s36, -1
	s_mov_b32 s27, 0
	s_mov_b32 s68, s63
                                        ; implicit-def: $vgpr0
	s_branch .LBB22_931
.LBB22_916:
	s_mov_b32 s36, -1
	s_mov_b32 s27, 0
	s_mov_b32 s68, s63
                                        ; implicit-def: $vgpr0
	s_branch .LBB22_926
.LBB22_917:
	s_mov_b32 s36, -1
	s_mov_b32 s27, 0
	s_mov_b32 s68, s63
	s_branch .LBB22_920
.LBB22_918:
	s_mov_b32 s39, -1
	s_mov_b32 s27, 0
	s_mov_b32 s38, 0
	s_branch .LBB22_1854
.LBB22_919:
	s_mov_b32 s68, -1
	s_mov_b32 s27, 0
.LBB22_920:
                                        ; implicit-def: $vgpr0
.LBB22_921:
	s_and_b32 vcc_lo, exec_lo, s36
	s_cbranch_vccz .LBB22_925
; %bb.922:
	s_cmp_eq_u32 s1, 44
	s_cbranch_scc0 .LBB22_924
; %bb.923:
	global_load_u8 v0, v[2:3], off
	s_mov_b32 s68, 0
	s_mov_b32 s27, -1
	s_wait_loadcnt 0x0
	v_lshlrev_b32_e32 v1, 23, v0
	v_cmp_ne_u32_e32 vcc_lo, 0, v0
	s_delay_alu instid0(VALU_DEP_2) | instskip(NEXT) | instid1(VALU_DEP_1)
	v_cvt_i32_f32_e32 v1, v1
	v_cndmask_b32_e32 v0, 0, v1, vcc_lo
	s_branch .LBB22_925
.LBB22_924:
	s_mov_b32 s68, -1
                                        ; implicit-def: $vgpr0
.LBB22_925:
	s_mov_b32 s36, 0
.LBB22_926:
	s_delay_alu instid0(SALU_CYCLE_1)
	s_and_b32 vcc_lo, exec_lo, s36
	s_cbranch_vccz .LBB22_930
; %bb.927:
	s_cmp_eq_u32 s1, 29
	s_cbranch_scc0 .LBB22_929
; %bb.928:
	global_load_b32 v0, v[2:3], off
	s_mov_b32 s27, -1
	s_mov_b32 s68, 0
	s_branch .LBB22_930
.LBB22_929:
	s_mov_b32 s68, -1
                                        ; implicit-def: $vgpr0
.LBB22_930:
	s_mov_b32 s36, 0
.LBB22_931:
	s_delay_alu instid0(SALU_CYCLE_1)
	s_and_b32 vcc_lo, exec_lo, s36
	s_cbranch_vccz .LBB22_947
; %bb.932:
	s_cmp_lt_i32 s1, 27
	s_cbranch_scc1 .LBB22_935
; %bb.933:
	s_cmp_gt_i32 s1, 27
	s_cbranch_scc0 .LBB22_936
; %bb.934:
	s_wait_loadcnt 0x0
	global_load_b32 v0, v[2:3], off
	s_mov_b32 s27, 0
	s_branch .LBB22_937
.LBB22_935:
	s_mov_b32 s27, -1
                                        ; implicit-def: $vgpr0
	s_branch .LBB22_940
.LBB22_936:
	s_mov_b32 s27, -1
                                        ; implicit-def: $vgpr0
.LBB22_937:
	s_delay_alu instid0(SALU_CYCLE_1)
	s_and_not1_b32 vcc_lo, exec_lo, s27
	s_cbranch_vccnz .LBB22_939
; %bb.938:
	s_wait_loadcnt 0x0
	global_load_u16 v0, v[2:3], off
.LBB22_939:
	s_mov_b32 s27, 0
.LBB22_940:
	s_delay_alu instid0(SALU_CYCLE_1)
	s_and_not1_b32 vcc_lo, exec_lo, s27
	s_cbranch_vccnz .LBB22_946
; %bb.941:
	global_load_u8 v1, v[2:3], off
	s_mov_b32 s36, 0
	s_mov_b32 s27, exec_lo
	s_wait_loadcnt 0x0
	v_cmpx_lt_i16_e32 0x7f, v1
	s_xor_b32 s27, exec_lo, s27
	s_cbranch_execz .LBB22_958
; %bb.942:
	v_cmp_ne_u16_e32 vcc_lo, 0x80, v1
	s_and_b32 s36, vcc_lo, exec_lo
	s_and_not1_saveexec_b32 s27, s27
	s_cbranch_execnz .LBB22_959
.LBB22_943:
	s_or_b32 exec_lo, exec_lo, s27
	v_mov_b32_e32 v0, 0
	s_and_saveexec_b32 s27, s36
	s_cbranch_execz .LBB22_945
.LBB22_944:
	v_and_b32_e32 v0, 0xffff, v1
	s_delay_alu instid0(VALU_DEP_1) | instskip(SKIP_1) | instid1(VALU_DEP_2)
	v_and_b32_e32 v4, 7, v0
	v_bfe_u32 v9, v0, 3, 4
	v_clz_i32_u32_e32 v5, v4
	s_delay_alu instid0(VALU_DEP_2) | instskip(NEXT) | instid1(VALU_DEP_2)
	v_cmp_eq_u32_e32 vcc_lo, 0, v9
	v_min_u32_e32 v5, 32, v5
	s_delay_alu instid0(VALU_DEP_1) | instskip(NEXT) | instid1(VALU_DEP_1)
	v_subrev_nc_u32_e32 v6, 28, v5
	v_dual_lshlrev_b32 v0, v6, v0 :: v_dual_sub_nc_u32 v5, 29, v5
	s_delay_alu instid0(VALU_DEP_1) | instskip(NEXT) | instid1(VALU_DEP_1)
	v_dual_lshlrev_b32 v1, 24, v1 :: v_dual_bitop2_b32 v0, 7, v0 bitop3:0x40
	v_dual_cndmask_b32 v0, v4, v0 :: v_dual_cndmask_b32 v5, v9, v5
	s_delay_alu instid0(VALU_DEP_2) | instskip(NEXT) | instid1(VALU_DEP_2)
	v_and_b32_e32 v1, 0x80000000, v1
	v_lshlrev_b32_e32 v0, 20, v0
	s_delay_alu instid0(VALU_DEP_3) | instskip(NEXT) | instid1(VALU_DEP_1)
	v_lshl_add_u32 v4, v5, 23, 0x3b800000
	v_or3_b32 v0, v1, v4, v0
	s_delay_alu instid0(VALU_DEP_1)
	v_cvt_i32_f32_e32 v0, v0
.LBB22_945:
	s_or_b32 exec_lo, exec_lo, s27
.LBB22_946:
	s_mov_b32 s27, -1
.LBB22_947:
	s_mov_b32 s36, 0
.LBB22_948:
	s_delay_alu instid0(SALU_CYCLE_1)
	s_and_b32 vcc_lo, exec_lo, s36
	s_cbranch_vccz .LBB22_981
; %bb.949:
	s_cmp_gt_i32 s1, 22
	s_cbranch_scc0 .LBB22_957
; %bb.950:
	s_cmp_lt_i32 s1, 24
	s_cbranch_scc1 .LBB22_960
; %bb.951:
	s_cmp_gt_i32 s1, 24
	s_cbranch_scc0 .LBB22_961
; %bb.952:
	global_load_u8 v1, v[2:3], off
	s_mov_b32 s36, 0
	s_mov_b32 s27, exec_lo
	s_wait_loadcnt 0x0
	v_cmpx_lt_i16_e32 0x7f, v1
	s_xor_b32 s27, exec_lo, s27
	s_cbranch_execz .LBB22_973
; %bb.953:
	v_cmp_ne_u16_e32 vcc_lo, 0x80, v1
	s_and_b32 s36, vcc_lo, exec_lo
	s_and_not1_saveexec_b32 s27, s27
	s_cbranch_execnz .LBB22_974
.LBB22_954:
	s_or_b32 exec_lo, exec_lo, s27
	v_mov_b32_e32 v0, 0
	s_and_saveexec_b32 s27, s36
	s_cbranch_execz .LBB22_956
.LBB22_955:
	v_and_b32_e32 v0, 0xffff, v1
	s_delay_alu instid0(VALU_DEP_1) | instskip(SKIP_1) | instid1(VALU_DEP_2)
	v_and_b32_e32 v4, 3, v0
	v_bfe_u32 v9, v0, 2, 5
	v_clz_i32_u32_e32 v5, v4
	s_delay_alu instid0(VALU_DEP_2) | instskip(NEXT) | instid1(VALU_DEP_2)
	v_cmp_eq_u32_e32 vcc_lo, 0, v9
	v_min_u32_e32 v5, 32, v5
	s_delay_alu instid0(VALU_DEP_1) | instskip(NEXT) | instid1(VALU_DEP_1)
	v_subrev_nc_u32_e32 v6, 29, v5
	v_dual_lshlrev_b32 v0, v6, v0 :: v_dual_sub_nc_u32 v5, 30, v5
	s_delay_alu instid0(VALU_DEP_1) | instskip(NEXT) | instid1(VALU_DEP_1)
	v_dual_lshlrev_b32 v1, 24, v1 :: v_dual_bitop2_b32 v0, 3, v0 bitop3:0x40
	v_dual_cndmask_b32 v0, v4, v0 :: v_dual_cndmask_b32 v5, v9, v5
	s_delay_alu instid0(VALU_DEP_2) | instskip(NEXT) | instid1(VALU_DEP_2)
	v_and_b32_e32 v1, 0x80000000, v1
	v_lshlrev_b32_e32 v0, 21, v0
	s_delay_alu instid0(VALU_DEP_3) | instskip(NEXT) | instid1(VALU_DEP_1)
	v_lshl_add_u32 v4, v5, 23, 0x37800000
	v_or3_b32 v0, v1, v4, v0
	s_delay_alu instid0(VALU_DEP_1)
	v_cvt_i32_f32_e32 v0, v0
.LBB22_956:
	s_or_b32 exec_lo, exec_lo, s27
	s_mov_b32 s27, 0
	s_branch .LBB22_962
.LBB22_957:
	s_mov_b32 s36, -1
                                        ; implicit-def: $vgpr0
	s_branch .LBB22_968
.LBB22_958:
	s_and_not1_saveexec_b32 s27, s27
	s_cbranch_execz .LBB22_943
.LBB22_959:
	v_cmp_ne_u16_e32 vcc_lo, 0, v1
	s_and_not1_b32 s36, s36, exec_lo
	s_and_b32 s37, vcc_lo, exec_lo
	s_delay_alu instid0(SALU_CYCLE_1)
	s_or_b32 s36, s36, s37
	s_or_b32 exec_lo, exec_lo, s27
	v_mov_b32_e32 v0, 0
	s_and_saveexec_b32 s27, s36
	s_cbranch_execnz .LBB22_944
	s_branch .LBB22_945
.LBB22_960:
	s_mov_b32 s27, -1
                                        ; implicit-def: $vgpr0
	s_branch .LBB22_965
.LBB22_961:
	s_mov_b32 s27, -1
                                        ; implicit-def: $vgpr0
.LBB22_962:
	s_delay_alu instid0(SALU_CYCLE_1)
	s_and_b32 vcc_lo, exec_lo, s27
	s_cbranch_vccz .LBB22_964
; %bb.963:
	s_wait_loadcnt 0x0
	global_load_u8 v0, v[2:3], off
	s_wait_loadcnt 0x0
	v_lshlrev_b32_e32 v0, 24, v0
	s_delay_alu instid0(VALU_DEP_1) | instskip(NEXT) | instid1(VALU_DEP_1)
	v_and_b32_e32 v1, 0x7f000000, v0
	v_clz_i32_u32_e32 v4, v1
	v_cmp_ne_u32_e32 vcc_lo, 0, v1
	v_add_nc_u32_e32 v6, 0x1000000, v1
	s_delay_alu instid0(VALU_DEP_3) | instskip(NEXT) | instid1(VALU_DEP_1)
	v_min_u32_e32 v4, 32, v4
	v_sub_nc_u32_e64 v4, v4, 4 clamp
	s_delay_alu instid0(VALU_DEP_1) | instskip(NEXT) | instid1(VALU_DEP_1)
	v_dual_lshlrev_b32 v5, v4, v1 :: v_dual_lshlrev_b32 v4, 23, v4
	v_lshrrev_b32_e32 v5, 4, v5
	s_delay_alu instid0(VALU_DEP_1) | instskip(NEXT) | instid1(VALU_DEP_1)
	v_dual_sub_nc_u32 v4, v5, v4 :: v_dual_ashrrev_i32 v5, 8, v6
	v_add_nc_u32_e32 v4, 0x3c000000, v4
	s_delay_alu instid0(VALU_DEP_1) | instskip(NEXT) | instid1(VALU_DEP_1)
	v_and_or_b32 v4, 0x7f800000, v5, v4
	v_cndmask_b32_e32 v1, 0, v4, vcc_lo
	s_delay_alu instid0(VALU_DEP_1) | instskip(NEXT) | instid1(VALU_DEP_1)
	v_and_or_b32 v0, 0x80000000, v0, v1
	v_cvt_i32_f32_e32 v0, v0
.LBB22_964:
	s_mov_b32 s27, 0
.LBB22_965:
	s_delay_alu instid0(SALU_CYCLE_1)
	s_and_not1_b32 vcc_lo, exec_lo, s27
	s_cbranch_vccnz .LBB22_967
; %bb.966:
	s_wait_loadcnt 0x0
	global_load_u8 v0, v[2:3], off
	s_wait_loadcnt 0x0
	v_lshlrev_b32_e32 v1, 25, v0
	v_lshlrev_b16 v0, 8, v0
	s_delay_alu instid0(VALU_DEP_1) | instskip(SKIP_1) | instid1(VALU_DEP_2)
	v_and_or_b32 v5, 0x7f00, v0, 0.5
	v_bfe_i32 v0, v0, 0, 16
	v_add_f32_e32 v5, -0.5, v5
	v_lshrrev_b32_e32 v4, 4, v1
	v_cmp_gt_u32_e32 vcc_lo, 0x8000000, v1
	s_delay_alu instid0(VALU_DEP_2) | instskip(NEXT) | instid1(VALU_DEP_1)
	v_or_b32_e32 v4, 0x70000000, v4
	v_mul_f32_e32 v4, 0x7800000, v4
	s_delay_alu instid0(VALU_DEP_1) | instskip(NEXT) | instid1(VALU_DEP_1)
	v_cndmask_b32_e32 v1, v4, v5, vcc_lo
	v_and_or_b32 v0, 0x80000000, v0, v1
	s_delay_alu instid0(VALU_DEP_1)
	v_cvt_i32_f32_e32 v0, v0
.LBB22_967:
	s_mov_b32 s36, 0
	s_mov_b32 s27, -1
.LBB22_968:
	s_and_not1_b32 vcc_lo, exec_lo, s36
	s_cbranch_vccnz .LBB22_981
; %bb.969:
	s_cmp_gt_i32 s1, 14
	s_cbranch_scc0 .LBB22_972
; %bb.970:
	s_cmp_eq_u32 s1, 15
	s_cbranch_scc0 .LBB22_975
; %bb.971:
	s_wait_loadcnt 0x0
	global_load_u16 v0, v[2:3], off
	s_mov_b32 s27, -1
	s_mov_b32 s68, 0
	s_wait_loadcnt 0x0
	v_lshlrev_b32_e32 v0, 16, v0
	s_delay_alu instid0(VALU_DEP_1)
	v_cvt_i32_f32_e32 v0, v0
	s_branch .LBB22_976
.LBB22_972:
	s_mov_b32 s36, -1
                                        ; implicit-def: $vgpr0
	s_branch .LBB22_977
.LBB22_973:
	s_and_not1_saveexec_b32 s27, s27
	s_cbranch_execz .LBB22_954
.LBB22_974:
	v_cmp_ne_u16_e32 vcc_lo, 0, v1
	s_and_not1_b32 s36, s36, exec_lo
	s_and_b32 s37, vcc_lo, exec_lo
	s_delay_alu instid0(SALU_CYCLE_1)
	s_or_b32 s36, s36, s37
	s_or_b32 exec_lo, exec_lo, s27
	v_mov_b32_e32 v0, 0
	s_and_saveexec_b32 s27, s36
	s_cbranch_execnz .LBB22_955
	s_branch .LBB22_956
.LBB22_975:
	s_mov_b32 s68, -1
                                        ; implicit-def: $vgpr0
.LBB22_976:
	s_mov_b32 s36, 0
.LBB22_977:
	s_delay_alu instid0(SALU_CYCLE_1)
	s_and_b32 vcc_lo, exec_lo, s36
	s_cbranch_vccz .LBB22_981
; %bb.978:
	s_cmp_eq_u32 s1, 11
	s_cbranch_scc0 .LBB22_980
; %bb.979:
	s_wait_loadcnt 0x0
	global_load_u8 v0, v[2:3], off
	s_mov_b32 s68, 0
	s_mov_b32 s27, -1
	s_wait_loadcnt 0x0
	v_cmp_ne_u16_e32 vcc_lo, 0, v0
	v_cndmask_b32_e64 v0, 0, 1, vcc_lo
	s_branch .LBB22_981
.LBB22_980:
	s_mov_b32 s68, -1
                                        ; implicit-def: $vgpr0
.LBB22_981:
	s_mov_b32 s1, 0
.LBB22_982:
	s_delay_alu instid0(SALU_CYCLE_1)
	s_and_b32 vcc_lo, exec_lo, s1
	s_cbranch_vccz .LBB22_1031
; %bb.983:
	s_and_b32 s0, 0xffff, s0
	s_delay_alu instid0(SALU_CYCLE_1)
	s_cmp_lt_i32 s0, 5
	s_cbranch_scc1 .LBB22_988
; %bb.984:
	s_cmp_lt_i32 s0, 8
	s_cbranch_scc1 .LBB22_989
; %bb.985:
	;; [unrolled: 3-line block ×3, first 2 shown]
	s_cmp_gt_i32 s0, 9
	s_cbranch_scc0 .LBB22_991
; %bb.987:
	s_wait_loadcnt 0x0
	global_load_b64 v[0:1], v[2:3], off
	s_mov_b32 s1, 0
	s_wait_loadcnt 0x0
	v_cvt_i32_f64_e32 v0, v[0:1]
	s_branch .LBB22_992
.LBB22_988:
	s_mov_b32 s1, -1
                                        ; implicit-def: $vgpr0
	s_branch .LBB22_1010
.LBB22_989:
	s_mov_b32 s1, -1
                                        ; implicit-def: $vgpr0
	s_branch .LBB22_998
.LBB22_990:
	s_mov_b32 s1, -1
                                        ; implicit-def: $vgpr0
	s_branch .LBB22_995
.LBB22_991:
	s_mov_b32 s1, -1
                                        ; implicit-def: $vgpr0
.LBB22_992:
	s_delay_alu instid0(SALU_CYCLE_1)
	s_and_not1_b32 vcc_lo, exec_lo, s1
	s_cbranch_vccnz .LBB22_994
; %bb.993:
	s_wait_loadcnt 0x0
	global_load_b32 v0, v[2:3], off
	s_wait_loadcnt 0x0
	v_cvt_i32_f32_e32 v0, v0
.LBB22_994:
	s_mov_b32 s1, 0
.LBB22_995:
	s_delay_alu instid0(SALU_CYCLE_1)
	s_and_not1_b32 vcc_lo, exec_lo, s1
	s_cbranch_vccnz .LBB22_997
; %bb.996:
	s_wait_loadcnt 0x0
	global_load_b32 v0, v[2:3], off
	s_wait_loadcnt 0x0
	v_cvt_f32_f16_e32 v0, v0
	s_delay_alu instid0(VALU_DEP_1)
	v_cvt_i32_f32_e32 v0, v0
.LBB22_997:
	s_mov_b32 s1, 0
.LBB22_998:
	s_delay_alu instid0(SALU_CYCLE_1)
	s_and_not1_b32 vcc_lo, exec_lo, s1
	s_cbranch_vccnz .LBB22_1009
; %bb.999:
	s_cmp_lt_i32 s0, 6
	s_cbranch_scc1 .LBB22_1002
; %bb.1000:
	s_cmp_gt_i32 s0, 6
	s_cbranch_scc0 .LBB22_1003
; %bb.1001:
	s_wait_loadcnt 0x0
	global_load_b64 v[0:1], v[2:3], off
	s_mov_b32 s1, 0
	s_wait_loadcnt 0x0
	v_cvt_i32_f64_e32 v0, v[0:1]
	s_branch .LBB22_1004
.LBB22_1002:
	s_mov_b32 s1, -1
                                        ; implicit-def: $vgpr0
	s_branch .LBB22_1007
.LBB22_1003:
	s_mov_b32 s1, -1
                                        ; implicit-def: $vgpr0
.LBB22_1004:
	s_delay_alu instid0(SALU_CYCLE_1)
	s_and_not1_b32 vcc_lo, exec_lo, s1
	s_cbranch_vccnz .LBB22_1006
; %bb.1005:
	s_wait_loadcnt 0x0
	global_load_b32 v0, v[2:3], off
	s_wait_loadcnt 0x0
	v_cvt_i32_f32_e32 v0, v0
.LBB22_1006:
	s_mov_b32 s1, 0
.LBB22_1007:
	s_delay_alu instid0(SALU_CYCLE_1)
	s_and_not1_b32 vcc_lo, exec_lo, s1
	s_cbranch_vccnz .LBB22_1009
; %bb.1008:
	s_wait_loadcnt 0x0
	global_load_u16 v0, v[2:3], off
	s_wait_loadcnt 0x0
	v_cvt_f32_f16_e32 v0, v0
	s_delay_alu instid0(VALU_DEP_1)
	v_cvt_i32_f32_e32 v0, v0
.LBB22_1009:
	s_mov_b32 s1, 0
.LBB22_1010:
	s_delay_alu instid0(SALU_CYCLE_1)
	s_and_not1_b32 vcc_lo, exec_lo, s1
	s_cbranch_vccnz .LBB22_1030
; %bb.1011:
	s_cmp_lt_i32 s0, 2
	s_cbranch_scc1 .LBB22_1015
; %bb.1012:
	s_cmp_lt_i32 s0, 3
	s_cbranch_scc1 .LBB22_1016
; %bb.1013:
	s_cmp_gt_i32 s0, 3
	s_cbranch_scc0 .LBB22_1017
; %bb.1014:
	s_wait_loadcnt 0x0
	global_load_b32 v0, v[2:3], off
	s_mov_b32 s1, 0
	s_branch .LBB22_1018
.LBB22_1015:
	s_mov_b32 s1, -1
                                        ; implicit-def: $vgpr0
	s_branch .LBB22_1024
.LBB22_1016:
	s_mov_b32 s1, -1
                                        ; implicit-def: $vgpr0
	s_branch .LBB22_1021
.LBB22_1017:
	s_mov_b32 s1, -1
                                        ; implicit-def: $vgpr0
.LBB22_1018:
	s_delay_alu instid0(SALU_CYCLE_1)
	s_and_not1_b32 vcc_lo, exec_lo, s1
	s_cbranch_vccnz .LBB22_1020
; %bb.1019:
	s_wait_loadcnt 0x0
	global_load_b32 v0, v[2:3], off
.LBB22_1020:
	s_mov_b32 s1, 0
.LBB22_1021:
	s_delay_alu instid0(SALU_CYCLE_1)
	s_and_not1_b32 vcc_lo, exec_lo, s1
	s_cbranch_vccnz .LBB22_1023
; %bb.1022:
	s_wait_loadcnt 0x0
	global_load_i16 v0, v[2:3], off
.LBB22_1023:
	s_mov_b32 s1, 0
.LBB22_1024:
	s_delay_alu instid0(SALU_CYCLE_1)
	s_and_not1_b32 vcc_lo, exec_lo, s1
	s_cbranch_vccnz .LBB22_1030
; %bb.1025:
	s_cmp_gt_i32 s0, 0
	s_mov_b32 s0, 0
	s_cbranch_scc0 .LBB22_1027
; %bb.1026:
	s_wait_loadcnt 0x0
	global_load_i8 v0, v[2:3], off
	s_branch .LBB22_1028
.LBB22_1027:
	s_mov_b32 s0, -1
                                        ; implicit-def: $vgpr0
.LBB22_1028:
	s_delay_alu instid0(SALU_CYCLE_1)
	s_and_not1_b32 vcc_lo, exec_lo, s0
	s_cbranch_vccnz .LBB22_1030
; %bb.1029:
	s_wait_loadcnt 0x0
	global_load_u8 v0, v[2:3], off
.LBB22_1030:
	s_mov_b32 s27, -1
.LBB22_1031:
	s_delay_alu instid0(SALU_CYCLE_1)
	s_and_not1_b32 vcc_lo, exec_lo, s27
	s_cbranch_vccnz .LBB22_1039
; %bb.1032:
	s_wait_xcnt 0x0
	v_mul_lo_u32 v2, s23, v22
	s_and_b32 s0, s15, 0xff
	s_delay_alu instid0(SALU_CYCLE_1) | instskip(NEXT) | instid1(VALU_DEP_1)
	s_cmp_lt_i32 s0, 11
	v_ashrrev_i32_e32 v3, 31, v2
	s_delay_alu instid0(VALU_DEP_1)
	v_add_nc_u64_e32 v[4:5], s[10:11], v[2:3]
	s_cbranch_scc1 .LBB22_1040
; %bb.1033:
	s_and_b32 s1, 0xffff, s0
	s_delay_alu instid0(SALU_CYCLE_1)
	s_cmp_gt_i32 s1, 25
	s_cbranch_scc0 .LBB22_1041
; %bb.1034:
	s_cmp_gt_i32 s1, 28
	s_cbranch_scc0 .LBB22_1042
; %bb.1035:
	;; [unrolled: 3-line block ×4, first 2 shown]
	s_cmp_eq_u32 s1, 46
	s_mov_b32 s36, 0
	s_cbranch_scc0 .LBB22_1046
; %bb.1038:
	global_load_b32 v1, v[4:5], off
	s_mov_b32 s27, -1
	s_mov_b32 s71, 0
	s_wait_loadcnt 0x0
	v_lshlrev_b32_e32 v1, 16, v1
	s_delay_alu instid0(VALU_DEP_1)
	v_cvt_i32_f32_e32 v2, v1
	s_branch .LBB22_1048
.LBB22_1039:
	s_mov_b32 s0, 0
	s_mov_b32 s1, s54
	;; [unrolled: 1-line block ×8, first 2 shown]
	s_branch .LBB22_1297
.LBB22_1040:
	s_mov_b32 s1, -1
	s_mov_b32 s27, 0
	s_mov_b32 s71, s62
                                        ; implicit-def: $vgpr2
	s_branch .LBB22_1109
.LBB22_1041:
	s_mov_b32 s36, -1
	s_mov_b32 s27, 0
	s_mov_b32 s71, s62
                                        ; implicit-def: $vgpr2
	s_branch .LBB22_1075
.LBB22_1042:
	s_mov_b32 s36, -1
	s_mov_b32 s27, 0
	s_mov_b32 s71, s62
                                        ; implicit-def: $vgpr2
	s_branch .LBB22_1058
.LBB22_1043:
	s_mov_b32 s36, -1
	s_mov_b32 s27, 0
	s_mov_b32 s71, s62
                                        ; implicit-def: $vgpr2
	s_branch .LBB22_1053
.LBB22_1044:
	s_mov_b32 s36, -1
	s_mov_b32 s27, 0
	s_mov_b32 s71, s62
	s_branch .LBB22_1047
.LBB22_1045:
	s_mov_b32 s39, -1
	s_mov_b32 s27, 0
	s_mov_b32 s38, 0
	s_branch .LBB22_1843
.LBB22_1046:
	s_mov_b32 s71, -1
	s_mov_b32 s27, 0
.LBB22_1047:
                                        ; implicit-def: $vgpr2
.LBB22_1048:
	s_and_b32 vcc_lo, exec_lo, s36
	s_cbranch_vccz .LBB22_1052
; %bb.1049:
	s_cmp_eq_u32 s1, 44
	s_cbranch_scc0 .LBB22_1051
; %bb.1050:
	global_load_u8 v1, v[4:5], off
	s_mov_b32 s71, 0
	s_mov_b32 s27, -1
	s_wait_loadcnt 0x0
	v_lshlrev_b32_e32 v2, 23, v1
	v_cmp_ne_u32_e32 vcc_lo, 0, v1
	s_delay_alu instid0(VALU_DEP_2) | instskip(NEXT) | instid1(VALU_DEP_1)
	v_cvt_i32_f32_e32 v2, v2
	v_cndmask_b32_e32 v2, 0, v2, vcc_lo
	s_branch .LBB22_1052
.LBB22_1051:
	s_mov_b32 s71, -1
                                        ; implicit-def: $vgpr2
.LBB22_1052:
	s_mov_b32 s36, 0
.LBB22_1053:
	s_delay_alu instid0(SALU_CYCLE_1)
	s_and_b32 vcc_lo, exec_lo, s36
	s_cbranch_vccz .LBB22_1057
; %bb.1054:
	s_cmp_eq_u32 s1, 29
	s_cbranch_scc0 .LBB22_1056
; %bb.1055:
	global_load_b32 v2, v[4:5], off
	s_mov_b32 s27, -1
	s_mov_b32 s71, 0
	s_branch .LBB22_1057
.LBB22_1056:
	s_mov_b32 s71, -1
                                        ; implicit-def: $vgpr2
.LBB22_1057:
	s_mov_b32 s36, 0
.LBB22_1058:
	s_delay_alu instid0(SALU_CYCLE_1)
	s_and_b32 vcc_lo, exec_lo, s36
	s_cbranch_vccz .LBB22_1074
; %bb.1059:
	s_cmp_lt_i32 s1, 27
	s_cbranch_scc1 .LBB22_1062
; %bb.1060:
	s_cmp_gt_i32 s1, 27
	s_cbranch_scc0 .LBB22_1063
; %bb.1061:
	s_wait_loadcnt 0x0
	global_load_b32 v2, v[4:5], off
	s_mov_b32 s27, 0
	s_branch .LBB22_1064
.LBB22_1062:
	s_mov_b32 s27, -1
                                        ; implicit-def: $vgpr2
	s_branch .LBB22_1067
.LBB22_1063:
	s_mov_b32 s27, -1
                                        ; implicit-def: $vgpr2
.LBB22_1064:
	s_delay_alu instid0(SALU_CYCLE_1)
	s_and_not1_b32 vcc_lo, exec_lo, s27
	s_cbranch_vccnz .LBB22_1066
; %bb.1065:
	s_wait_loadcnt 0x0
	global_load_u16 v2, v[4:5], off
.LBB22_1066:
	s_mov_b32 s27, 0
.LBB22_1067:
	s_delay_alu instid0(SALU_CYCLE_1)
	s_and_not1_b32 vcc_lo, exec_lo, s27
	s_cbranch_vccnz .LBB22_1073
; %bb.1068:
	global_load_u8 v1, v[4:5], off
	s_mov_b32 s36, 0
	s_mov_b32 s27, exec_lo
	s_wait_loadcnt 0x0
	v_cmpx_lt_i16_e32 0x7f, v1
	s_xor_b32 s27, exec_lo, s27
	s_cbranch_execz .LBB22_1085
; %bb.1069:
	v_cmp_ne_u16_e32 vcc_lo, 0x80, v1
	s_and_b32 s36, vcc_lo, exec_lo
	s_and_not1_saveexec_b32 s27, s27
	s_cbranch_execnz .LBB22_1086
.LBB22_1070:
	s_or_b32 exec_lo, exec_lo, s27
	v_mov_b32_e32 v2, 0
	s_and_saveexec_b32 s27, s36
	s_cbranch_execz .LBB22_1072
.LBB22_1071:
	v_and_b32_e32 v2, 0xffff, v1
	s_delay_alu instid0(VALU_DEP_1) | instskip(SKIP_1) | instid1(VALU_DEP_2)
	v_dual_lshlrev_b32 v1, 24, v1 :: v_dual_bitop2_b32 v3, 7, v2 bitop3:0x40
	v_bfe_u32 v10, v2, 3, 4
	v_and_b32_e32 v1, 0x80000000, v1
	s_delay_alu instid0(VALU_DEP_3) | instskip(NEXT) | instid1(VALU_DEP_3)
	v_clz_i32_u32_e32 v6, v3
	v_cmp_eq_u32_e32 vcc_lo, 0, v10
	s_delay_alu instid0(VALU_DEP_2) | instskip(NEXT) | instid1(VALU_DEP_1)
	v_min_u32_e32 v6, 32, v6
	v_subrev_nc_u32_e32 v9, 28, v6
	v_sub_nc_u32_e32 v6, 29, v6
	s_delay_alu instid0(VALU_DEP_2) | instskip(NEXT) | instid1(VALU_DEP_2)
	v_lshlrev_b32_e32 v2, v9, v2
	v_cndmask_b32_e32 v6, v10, v6, vcc_lo
	s_delay_alu instid0(VALU_DEP_2) | instskip(NEXT) | instid1(VALU_DEP_1)
	v_and_b32_e32 v2, 7, v2
	v_cndmask_b32_e32 v2, v3, v2, vcc_lo
	s_delay_alu instid0(VALU_DEP_3) | instskip(NEXT) | instid1(VALU_DEP_2)
	v_lshl_add_u32 v3, v6, 23, 0x3b800000
	v_lshlrev_b32_e32 v2, 20, v2
	s_delay_alu instid0(VALU_DEP_1) | instskip(NEXT) | instid1(VALU_DEP_1)
	v_or3_b32 v1, v1, v3, v2
	v_cvt_i32_f32_e32 v2, v1
.LBB22_1072:
	s_or_b32 exec_lo, exec_lo, s27
.LBB22_1073:
	s_mov_b32 s27, -1
.LBB22_1074:
	s_mov_b32 s36, 0
.LBB22_1075:
	s_delay_alu instid0(SALU_CYCLE_1)
	s_and_b32 vcc_lo, exec_lo, s36
	s_cbranch_vccz .LBB22_1108
; %bb.1076:
	s_cmp_gt_i32 s1, 22
	s_cbranch_scc0 .LBB22_1084
; %bb.1077:
	s_cmp_lt_i32 s1, 24
	s_cbranch_scc1 .LBB22_1087
; %bb.1078:
	s_cmp_gt_i32 s1, 24
	s_cbranch_scc0 .LBB22_1088
; %bb.1079:
	global_load_u8 v1, v[4:5], off
	s_mov_b32 s36, 0
	s_mov_b32 s27, exec_lo
	s_wait_loadcnt 0x0
	v_cmpx_lt_i16_e32 0x7f, v1
	s_xor_b32 s27, exec_lo, s27
	s_cbranch_execz .LBB22_1100
; %bb.1080:
	v_cmp_ne_u16_e32 vcc_lo, 0x80, v1
	s_and_b32 s36, vcc_lo, exec_lo
	s_and_not1_saveexec_b32 s27, s27
	s_cbranch_execnz .LBB22_1101
.LBB22_1081:
	s_or_b32 exec_lo, exec_lo, s27
	v_mov_b32_e32 v2, 0
	s_and_saveexec_b32 s27, s36
	s_cbranch_execz .LBB22_1083
.LBB22_1082:
	v_and_b32_e32 v2, 0xffff, v1
	s_delay_alu instid0(VALU_DEP_1) | instskip(SKIP_1) | instid1(VALU_DEP_2)
	v_dual_lshlrev_b32 v1, 24, v1 :: v_dual_bitop2_b32 v3, 3, v2 bitop3:0x40
	v_bfe_u32 v10, v2, 2, 5
	v_and_b32_e32 v1, 0x80000000, v1
	s_delay_alu instid0(VALU_DEP_3) | instskip(NEXT) | instid1(VALU_DEP_3)
	v_clz_i32_u32_e32 v6, v3
	v_cmp_eq_u32_e32 vcc_lo, 0, v10
	s_delay_alu instid0(VALU_DEP_2) | instskip(NEXT) | instid1(VALU_DEP_1)
	v_min_u32_e32 v6, 32, v6
	v_subrev_nc_u32_e32 v9, 29, v6
	v_sub_nc_u32_e32 v6, 30, v6
	s_delay_alu instid0(VALU_DEP_2) | instskip(NEXT) | instid1(VALU_DEP_2)
	v_lshlrev_b32_e32 v2, v9, v2
	v_cndmask_b32_e32 v6, v10, v6, vcc_lo
	s_delay_alu instid0(VALU_DEP_2) | instskip(NEXT) | instid1(VALU_DEP_1)
	v_and_b32_e32 v2, 3, v2
	v_cndmask_b32_e32 v2, v3, v2, vcc_lo
	s_delay_alu instid0(VALU_DEP_3) | instskip(NEXT) | instid1(VALU_DEP_2)
	v_lshl_add_u32 v3, v6, 23, 0x37800000
	v_lshlrev_b32_e32 v2, 21, v2
	s_delay_alu instid0(VALU_DEP_1) | instskip(NEXT) | instid1(VALU_DEP_1)
	v_or3_b32 v1, v1, v3, v2
	v_cvt_i32_f32_e32 v2, v1
.LBB22_1083:
	s_or_b32 exec_lo, exec_lo, s27
	s_mov_b32 s27, 0
	s_branch .LBB22_1089
.LBB22_1084:
	s_mov_b32 s36, -1
                                        ; implicit-def: $vgpr2
	s_branch .LBB22_1095
.LBB22_1085:
	s_and_not1_saveexec_b32 s27, s27
	s_cbranch_execz .LBB22_1070
.LBB22_1086:
	v_cmp_ne_u16_e32 vcc_lo, 0, v1
	s_and_not1_b32 s36, s36, exec_lo
	s_and_b32 s37, vcc_lo, exec_lo
	s_delay_alu instid0(SALU_CYCLE_1)
	s_or_b32 s36, s36, s37
	s_or_b32 exec_lo, exec_lo, s27
	v_mov_b32_e32 v2, 0
	s_and_saveexec_b32 s27, s36
	s_cbranch_execnz .LBB22_1071
	s_branch .LBB22_1072
.LBB22_1087:
	s_mov_b32 s27, -1
                                        ; implicit-def: $vgpr2
	s_branch .LBB22_1092
.LBB22_1088:
	s_mov_b32 s27, -1
                                        ; implicit-def: $vgpr2
.LBB22_1089:
	s_delay_alu instid0(SALU_CYCLE_1)
	s_and_b32 vcc_lo, exec_lo, s27
	s_cbranch_vccz .LBB22_1091
; %bb.1090:
	global_load_u8 v1, v[4:5], off
	s_wait_loadcnt 0x0
	v_lshlrev_b32_e32 v1, 24, v1
	s_delay_alu instid0(VALU_DEP_1) | instskip(NEXT) | instid1(VALU_DEP_1)
	v_and_b32_e32 v2, 0x7f000000, v1
	v_clz_i32_u32_e32 v3, v2
	v_cmp_ne_u32_e32 vcc_lo, 0, v2
	v_add_nc_u32_e32 v9, 0x1000000, v2
	s_delay_alu instid0(VALU_DEP_3) | instskip(NEXT) | instid1(VALU_DEP_1)
	v_min_u32_e32 v3, 32, v3
	v_sub_nc_u32_e64 v3, v3, 4 clamp
	s_delay_alu instid0(VALU_DEP_1) | instskip(NEXT) | instid1(VALU_DEP_1)
	v_dual_lshlrev_b32 v6, v3, v2 :: v_dual_lshlrev_b32 v3, 23, v3
	v_lshrrev_b32_e32 v6, 4, v6
	s_delay_alu instid0(VALU_DEP_1) | instskip(NEXT) | instid1(VALU_DEP_1)
	v_dual_sub_nc_u32 v3, v6, v3 :: v_dual_ashrrev_i32 v6, 8, v9
	v_add_nc_u32_e32 v3, 0x3c000000, v3
	s_delay_alu instid0(VALU_DEP_1) | instskip(NEXT) | instid1(VALU_DEP_1)
	v_and_or_b32 v3, 0x7f800000, v6, v3
	v_cndmask_b32_e32 v2, 0, v3, vcc_lo
	s_delay_alu instid0(VALU_DEP_1) | instskip(NEXT) | instid1(VALU_DEP_1)
	v_and_or_b32 v1, 0x80000000, v1, v2
	v_cvt_i32_f32_e32 v2, v1
.LBB22_1091:
	s_mov_b32 s27, 0
.LBB22_1092:
	s_delay_alu instid0(SALU_CYCLE_1)
	s_and_not1_b32 vcc_lo, exec_lo, s27
	s_cbranch_vccnz .LBB22_1094
; %bb.1093:
	global_load_u8 v1, v[4:5], off
	s_wait_loadcnt 0x0
	v_lshlrev_b32_e32 v2, 25, v1
	v_lshlrev_b16 v1, 8, v1
	s_delay_alu instid0(VALU_DEP_1) | instskip(SKIP_1) | instid1(VALU_DEP_2)
	v_and_or_b32 v6, 0x7f00, v1, 0.5
	v_bfe_i32 v1, v1, 0, 16
	v_add_f32_e32 v6, -0.5, v6
	v_lshrrev_b32_e32 v3, 4, v2
	v_cmp_gt_u32_e32 vcc_lo, 0x8000000, v2
	s_delay_alu instid0(VALU_DEP_2) | instskip(NEXT) | instid1(VALU_DEP_1)
	v_or_b32_e32 v3, 0x70000000, v3
	v_mul_f32_e32 v3, 0x7800000, v3
	s_delay_alu instid0(VALU_DEP_1) | instskip(NEXT) | instid1(VALU_DEP_1)
	v_cndmask_b32_e32 v2, v3, v6, vcc_lo
	v_and_or_b32 v1, 0x80000000, v1, v2
	s_delay_alu instid0(VALU_DEP_1)
	v_cvt_i32_f32_e32 v2, v1
.LBB22_1094:
	s_mov_b32 s36, 0
	s_mov_b32 s27, -1
.LBB22_1095:
	s_and_not1_b32 vcc_lo, exec_lo, s36
	s_cbranch_vccnz .LBB22_1108
; %bb.1096:
	s_cmp_gt_i32 s1, 14
	s_cbranch_scc0 .LBB22_1099
; %bb.1097:
	s_cmp_eq_u32 s1, 15
	s_cbranch_scc0 .LBB22_1102
; %bb.1098:
	global_load_u16 v1, v[4:5], off
	s_mov_b32 s27, -1
	s_mov_b32 s71, 0
	s_wait_loadcnt 0x0
	v_lshlrev_b32_e32 v1, 16, v1
	s_delay_alu instid0(VALU_DEP_1)
	v_cvt_i32_f32_e32 v2, v1
	s_branch .LBB22_1103
.LBB22_1099:
	s_mov_b32 s36, -1
                                        ; implicit-def: $vgpr2
	s_branch .LBB22_1104
.LBB22_1100:
	s_and_not1_saveexec_b32 s27, s27
	s_cbranch_execz .LBB22_1081
.LBB22_1101:
	v_cmp_ne_u16_e32 vcc_lo, 0, v1
	s_and_not1_b32 s36, s36, exec_lo
	s_and_b32 s37, vcc_lo, exec_lo
	s_delay_alu instid0(SALU_CYCLE_1)
	s_or_b32 s36, s36, s37
	s_or_b32 exec_lo, exec_lo, s27
	v_mov_b32_e32 v2, 0
	s_and_saveexec_b32 s27, s36
	s_cbranch_execnz .LBB22_1082
	s_branch .LBB22_1083
.LBB22_1102:
	s_mov_b32 s71, -1
                                        ; implicit-def: $vgpr2
.LBB22_1103:
	s_mov_b32 s36, 0
.LBB22_1104:
	s_delay_alu instid0(SALU_CYCLE_1)
	s_and_b32 vcc_lo, exec_lo, s36
	s_cbranch_vccz .LBB22_1108
; %bb.1105:
	s_cmp_eq_u32 s1, 11
	s_cbranch_scc0 .LBB22_1107
; %bb.1106:
	global_load_u8 v1, v[4:5], off
	s_mov_b32 s71, 0
	s_mov_b32 s27, -1
	s_wait_loadcnt 0x0
	v_cmp_ne_u16_e32 vcc_lo, 0, v1
	v_cndmask_b32_e64 v2, 0, 1, vcc_lo
	s_branch .LBB22_1108
.LBB22_1107:
	s_mov_b32 s71, -1
                                        ; implicit-def: $vgpr2
.LBB22_1108:
	s_mov_b32 s1, 0
.LBB22_1109:
	s_delay_alu instid0(SALU_CYCLE_1)
	s_and_b32 vcc_lo, exec_lo, s1
	s_cbranch_vccz .LBB22_1158
; %bb.1110:
	s_and_b32 s0, 0xffff, s0
	s_delay_alu instid0(SALU_CYCLE_1)
	s_cmp_lt_i32 s0, 5
	s_cbranch_scc1 .LBB22_1115
; %bb.1111:
	s_cmp_lt_i32 s0, 8
	s_cbranch_scc1 .LBB22_1116
; %bb.1112:
	;; [unrolled: 3-line block ×3, first 2 shown]
	s_cmp_gt_i32 s0, 9
	s_cbranch_scc0 .LBB22_1118
; %bb.1114:
	s_wait_loadcnt 0x0
	global_load_b64 v[2:3], v[4:5], off
	s_mov_b32 s1, 0
	s_wait_loadcnt 0x0
	v_cvt_i32_f64_e32 v2, v[2:3]
	s_branch .LBB22_1119
.LBB22_1115:
	s_mov_b32 s1, -1
                                        ; implicit-def: $vgpr2
	s_branch .LBB22_1137
.LBB22_1116:
	s_mov_b32 s1, -1
                                        ; implicit-def: $vgpr2
	s_branch .LBB22_1125
.LBB22_1117:
	s_mov_b32 s1, -1
                                        ; implicit-def: $vgpr2
	s_branch .LBB22_1122
.LBB22_1118:
	s_mov_b32 s1, -1
                                        ; implicit-def: $vgpr2
.LBB22_1119:
	s_delay_alu instid0(SALU_CYCLE_1)
	s_and_not1_b32 vcc_lo, exec_lo, s1
	s_cbranch_vccnz .LBB22_1121
; %bb.1120:
	global_load_b32 v1, v[4:5], off
	s_wait_loadcnt 0x0
	v_cvt_i32_f32_e32 v2, v1
.LBB22_1121:
	s_mov_b32 s1, 0
.LBB22_1122:
	s_delay_alu instid0(SALU_CYCLE_1)
	s_and_not1_b32 vcc_lo, exec_lo, s1
	s_cbranch_vccnz .LBB22_1124
; %bb.1123:
	global_load_b32 v1, v[4:5], off
	s_wait_loadcnt 0x0
	v_cvt_f32_f16_e32 v1, v1
	s_delay_alu instid0(VALU_DEP_1)
	v_cvt_i32_f32_e32 v2, v1
.LBB22_1124:
	s_mov_b32 s1, 0
.LBB22_1125:
	s_delay_alu instid0(SALU_CYCLE_1)
	s_and_not1_b32 vcc_lo, exec_lo, s1
	s_cbranch_vccnz .LBB22_1136
; %bb.1126:
	s_cmp_lt_i32 s0, 6
	s_cbranch_scc1 .LBB22_1129
; %bb.1127:
	s_cmp_gt_i32 s0, 6
	s_cbranch_scc0 .LBB22_1130
; %bb.1128:
	s_wait_loadcnt 0x0
	global_load_b64 v[2:3], v[4:5], off
	s_mov_b32 s1, 0
	s_wait_loadcnt 0x0
	v_cvt_i32_f64_e32 v2, v[2:3]
	s_branch .LBB22_1131
.LBB22_1129:
	s_mov_b32 s1, -1
                                        ; implicit-def: $vgpr2
	s_branch .LBB22_1134
.LBB22_1130:
	s_mov_b32 s1, -1
                                        ; implicit-def: $vgpr2
.LBB22_1131:
	s_delay_alu instid0(SALU_CYCLE_1)
	s_and_not1_b32 vcc_lo, exec_lo, s1
	s_cbranch_vccnz .LBB22_1133
; %bb.1132:
	global_load_b32 v1, v[4:5], off
	s_wait_loadcnt 0x0
	v_cvt_i32_f32_e32 v2, v1
.LBB22_1133:
	s_mov_b32 s1, 0
.LBB22_1134:
	s_delay_alu instid0(SALU_CYCLE_1)
	s_and_not1_b32 vcc_lo, exec_lo, s1
	s_cbranch_vccnz .LBB22_1136
; %bb.1135:
	global_load_u16 v1, v[4:5], off
	s_wait_loadcnt 0x0
	v_cvt_f32_f16_e32 v1, v1
	s_delay_alu instid0(VALU_DEP_1)
	v_cvt_i32_f32_e32 v2, v1
.LBB22_1136:
	s_mov_b32 s1, 0
.LBB22_1137:
	s_delay_alu instid0(SALU_CYCLE_1)
	s_and_not1_b32 vcc_lo, exec_lo, s1
	s_cbranch_vccnz .LBB22_1157
; %bb.1138:
	s_cmp_lt_i32 s0, 2
	s_cbranch_scc1 .LBB22_1142
; %bb.1139:
	s_cmp_lt_i32 s0, 3
	s_cbranch_scc1 .LBB22_1143
; %bb.1140:
	s_cmp_gt_i32 s0, 3
	s_cbranch_scc0 .LBB22_1144
; %bb.1141:
	s_wait_loadcnt 0x0
	global_load_b32 v2, v[4:5], off
	s_mov_b32 s1, 0
	s_branch .LBB22_1145
.LBB22_1142:
	s_mov_b32 s1, -1
                                        ; implicit-def: $vgpr2
	s_branch .LBB22_1151
.LBB22_1143:
	s_mov_b32 s1, -1
                                        ; implicit-def: $vgpr2
	s_branch .LBB22_1148
.LBB22_1144:
	s_mov_b32 s1, -1
                                        ; implicit-def: $vgpr2
.LBB22_1145:
	s_delay_alu instid0(SALU_CYCLE_1)
	s_and_not1_b32 vcc_lo, exec_lo, s1
	s_cbranch_vccnz .LBB22_1147
; %bb.1146:
	s_wait_loadcnt 0x0
	global_load_b32 v2, v[4:5], off
.LBB22_1147:
	s_mov_b32 s1, 0
.LBB22_1148:
	s_delay_alu instid0(SALU_CYCLE_1)
	s_and_not1_b32 vcc_lo, exec_lo, s1
	s_cbranch_vccnz .LBB22_1150
; %bb.1149:
	s_wait_loadcnt 0x0
	global_load_i16 v2, v[4:5], off
.LBB22_1150:
	s_mov_b32 s1, 0
.LBB22_1151:
	s_delay_alu instid0(SALU_CYCLE_1)
	s_and_not1_b32 vcc_lo, exec_lo, s1
	s_cbranch_vccnz .LBB22_1157
; %bb.1152:
	s_cmp_gt_i32 s0, 0
	s_mov_b32 s0, 0
	s_cbranch_scc0 .LBB22_1154
; %bb.1153:
	s_wait_loadcnt 0x0
	global_load_i8 v2, v[4:5], off
	s_branch .LBB22_1155
.LBB22_1154:
	s_mov_b32 s0, -1
                                        ; implicit-def: $vgpr2
.LBB22_1155:
	s_delay_alu instid0(SALU_CYCLE_1)
	s_and_not1_b32 vcc_lo, exec_lo, s0
	s_cbranch_vccnz .LBB22_1157
; %bb.1156:
	s_wait_loadcnt 0x0
	global_load_u8 v2, v[4:5], off
.LBB22_1157:
	s_mov_b32 s27, -1
.LBB22_1158:
	s_delay_alu instid0(SALU_CYCLE_1)
	s_and_not1_b32 vcc_lo, exec_lo, s27
	s_cbranch_vccnz .LBB22_1166
; %bb.1159:
	s_wait_xcnt 0x0
	v_mul_lo_u32 v4, s28, v22
	s_and_b32 s0, s52, 0xff
	s_delay_alu instid0(SALU_CYCLE_1) | instskip(NEXT) | instid1(VALU_DEP_1)
	s_cmp_lt_i32 s0, 11
	v_ashrrev_i32_e32 v5, 31, v4
	s_delay_alu instid0(VALU_DEP_1)
	v_add_nc_u64_e32 v[4:5], s[30:31], v[4:5]
	s_cbranch_scc1 .LBB22_1167
; %bb.1160:
	s_and_b32 s1, 0xffff, s0
	s_delay_alu instid0(SALU_CYCLE_1)
	s_cmp_gt_i32 s1, 25
	s_cbranch_scc0 .LBB22_1168
; %bb.1161:
	s_cmp_gt_i32 s1, 28
	s_cbranch_scc0 .LBB22_1169
; %bb.1162:
	;; [unrolled: 3-line block ×4, first 2 shown]
	s_cmp_eq_u32 s1, 46
	s_mov_b32 s36, 0
	s_cbranch_scc0 .LBB22_1173
; %bb.1165:
	global_load_b32 v1, v[4:5], off
	s_mov_b32 s27, -1
	s_mov_b32 s70, 0
	s_wait_loadcnt 0x0
	v_lshlrev_b32_e32 v1, 16, v1
	s_delay_alu instid0(VALU_DEP_1)
	v_cvt_i32_f32_e32 v6, v1
	s_branch .LBB22_1175
.LBB22_1166:
	s_mov_b32 s0, 0
	s_mov_b32 s1, s54
	;; [unrolled: 1-line block ×7, first 2 shown]
	s_branch .LBB22_1297
.LBB22_1167:
	s_mov_b32 s1, -1
	s_mov_b32 s27, 0
	s_mov_b32 s70, s61
                                        ; implicit-def: $vgpr6
	s_branch .LBB22_1236
.LBB22_1168:
	s_mov_b32 s36, -1
	s_mov_b32 s27, 0
	s_mov_b32 s70, s61
                                        ; implicit-def: $vgpr6
	s_branch .LBB22_1202
.LBB22_1169:
	s_mov_b32 s36, -1
	s_mov_b32 s27, 0
	s_mov_b32 s70, s61
                                        ; implicit-def: $vgpr6
	s_branch .LBB22_1185
.LBB22_1170:
	s_mov_b32 s36, -1
	s_mov_b32 s27, 0
	s_mov_b32 s70, s61
                                        ; implicit-def: $vgpr6
	s_branch .LBB22_1180
.LBB22_1171:
	s_mov_b32 s36, -1
	s_mov_b32 s27, 0
	s_mov_b32 s70, s61
	s_branch .LBB22_1174
.LBB22_1172:
	s_mov_b32 s39, -1
	s_mov_b32 s27, 0
	s_mov_b32 s38, 0
	s_branch .LBB22_1839
.LBB22_1173:
	s_mov_b32 s70, -1
	s_mov_b32 s27, 0
.LBB22_1174:
                                        ; implicit-def: $vgpr6
.LBB22_1175:
	s_and_b32 vcc_lo, exec_lo, s36
	s_cbranch_vccz .LBB22_1179
; %bb.1176:
	s_cmp_eq_u32 s1, 44
	s_cbranch_scc0 .LBB22_1178
; %bb.1177:
	global_load_u8 v1, v[4:5], off
	s_mov_b32 s70, 0
	s_mov_b32 s27, -1
	s_wait_loadcnt 0x0
	v_lshlrev_b32_e32 v3, 23, v1
	v_cmp_ne_u32_e32 vcc_lo, 0, v1
	s_delay_alu instid0(VALU_DEP_2) | instskip(NEXT) | instid1(VALU_DEP_1)
	v_cvt_i32_f32_e32 v3, v3
	v_cndmask_b32_e32 v6, 0, v3, vcc_lo
	s_branch .LBB22_1179
.LBB22_1178:
	s_mov_b32 s70, -1
                                        ; implicit-def: $vgpr6
.LBB22_1179:
	s_mov_b32 s36, 0
.LBB22_1180:
	s_delay_alu instid0(SALU_CYCLE_1)
	s_and_b32 vcc_lo, exec_lo, s36
	s_cbranch_vccz .LBB22_1184
; %bb.1181:
	s_cmp_eq_u32 s1, 29
	s_cbranch_scc0 .LBB22_1183
; %bb.1182:
	global_load_b32 v6, v[4:5], off
	s_mov_b32 s27, -1
	s_mov_b32 s70, 0
	s_branch .LBB22_1184
.LBB22_1183:
	s_mov_b32 s70, -1
                                        ; implicit-def: $vgpr6
.LBB22_1184:
	s_mov_b32 s36, 0
.LBB22_1185:
	s_delay_alu instid0(SALU_CYCLE_1)
	s_and_b32 vcc_lo, exec_lo, s36
	s_cbranch_vccz .LBB22_1201
; %bb.1186:
	s_cmp_lt_i32 s1, 27
	s_cbranch_scc1 .LBB22_1189
; %bb.1187:
	s_cmp_gt_i32 s1, 27
	s_cbranch_scc0 .LBB22_1190
; %bb.1188:
	s_wait_loadcnt 0x0
	global_load_b32 v6, v[4:5], off
	s_mov_b32 s27, 0
	s_branch .LBB22_1191
.LBB22_1189:
	s_mov_b32 s27, -1
                                        ; implicit-def: $vgpr6
	s_branch .LBB22_1194
.LBB22_1190:
	s_mov_b32 s27, -1
                                        ; implicit-def: $vgpr6
.LBB22_1191:
	s_delay_alu instid0(SALU_CYCLE_1)
	s_and_not1_b32 vcc_lo, exec_lo, s27
	s_cbranch_vccnz .LBB22_1193
; %bb.1192:
	s_wait_loadcnt 0x0
	global_load_u16 v6, v[4:5], off
.LBB22_1193:
	s_mov_b32 s27, 0
.LBB22_1194:
	s_delay_alu instid0(SALU_CYCLE_1)
	s_and_not1_b32 vcc_lo, exec_lo, s27
	s_cbranch_vccnz .LBB22_1200
; %bb.1195:
	global_load_u8 v1, v[4:5], off
	s_mov_b32 s36, 0
	s_mov_b32 s27, exec_lo
	s_wait_loadcnt 0x0
	v_cmpx_lt_i16_e32 0x7f, v1
	s_xor_b32 s27, exec_lo, s27
	s_cbranch_execz .LBB22_1212
; %bb.1196:
	v_cmp_ne_u16_e32 vcc_lo, 0x80, v1
	s_and_b32 s36, vcc_lo, exec_lo
	s_and_not1_saveexec_b32 s27, s27
	s_cbranch_execnz .LBB22_1213
.LBB22_1197:
	s_or_b32 exec_lo, exec_lo, s27
	v_mov_b32_e32 v6, 0
	s_and_saveexec_b32 s27, s36
	s_cbranch_execz .LBB22_1199
.LBB22_1198:
	v_and_b32_e32 v3, 0xffff, v1
	s_delay_alu instid0(VALU_DEP_1) | instskip(SKIP_1) | instid1(VALU_DEP_2)
	v_and_b32_e32 v6, 7, v3
	v_bfe_u32 v11, v3, 3, 4
	v_clz_i32_u32_e32 v9, v6
	s_delay_alu instid0(VALU_DEP_2) | instskip(NEXT) | instid1(VALU_DEP_2)
	v_cmp_eq_u32_e32 vcc_lo, 0, v11
	v_min_u32_e32 v9, 32, v9
	s_delay_alu instid0(VALU_DEP_1) | instskip(NEXT) | instid1(VALU_DEP_1)
	v_subrev_nc_u32_e32 v10, 28, v9
	v_dual_lshlrev_b32 v3, v10, v3 :: v_dual_sub_nc_u32 v9, 29, v9
	s_delay_alu instid0(VALU_DEP_1) | instskip(NEXT) | instid1(VALU_DEP_1)
	v_dual_lshlrev_b32 v1, 24, v1 :: v_dual_bitop2_b32 v3, 7, v3 bitop3:0x40
	v_dual_cndmask_b32 v3, v6, v3, vcc_lo :: v_dual_cndmask_b32 v9, v11, v9, vcc_lo
	s_delay_alu instid0(VALU_DEP_2) | instskip(NEXT) | instid1(VALU_DEP_2)
	v_and_b32_e32 v1, 0x80000000, v1
	v_lshlrev_b32_e32 v3, 20, v3
	s_delay_alu instid0(VALU_DEP_3) | instskip(NEXT) | instid1(VALU_DEP_1)
	v_lshl_add_u32 v6, v9, 23, 0x3b800000
	v_or3_b32 v1, v1, v6, v3
	s_delay_alu instid0(VALU_DEP_1)
	v_cvt_i32_f32_e32 v6, v1
.LBB22_1199:
	s_or_b32 exec_lo, exec_lo, s27
.LBB22_1200:
	s_mov_b32 s27, -1
.LBB22_1201:
	s_mov_b32 s36, 0
.LBB22_1202:
	s_delay_alu instid0(SALU_CYCLE_1)
	s_and_b32 vcc_lo, exec_lo, s36
	s_cbranch_vccz .LBB22_1235
; %bb.1203:
	s_cmp_gt_i32 s1, 22
	s_cbranch_scc0 .LBB22_1211
; %bb.1204:
	s_cmp_lt_i32 s1, 24
	s_cbranch_scc1 .LBB22_1214
; %bb.1205:
	s_cmp_gt_i32 s1, 24
	s_cbranch_scc0 .LBB22_1215
; %bb.1206:
	global_load_u8 v1, v[4:5], off
	s_mov_b32 s36, 0
	s_mov_b32 s27, exec_lo
	s_wait_loadcnt 0x0
	v_cmpx_lt_i16_e32 0x7f, v1
	s_xor_b32 s27, exec_lo, s27
	s_cbranch_execz .LBB22_1227
; %bb.1207:
	v_cmp_ne_u16_e32 vcc_lo, 0x80, v1
	s_and_b32 s36, vcc_lo, exec_lo
	s_and_not1_saveexec_b32 s27, s27
	s_cbranch_execnz .LBB22_1228
.LBB22_1208:
	s_or_b32 exec_lo, exec_lo, s27
	v_mov_b32_e32 v6, 0
	s_and_saveexec_b32 s27, s36
	s_cbranch_execz .LBB22_1210
.LBB22_1209:
	v_and_b32_e32 v3, 0xffff, v1
	s_delay_alu instid0(VALU_DEP_1) | instskip(SKIP_1) | instid1(VALU_DEP_2)
	v_and_b32_e32 v6, 3, v3
	v_bfe_u32 v11, v3, 2, 5
	v_clz_i32_u32_e32 v9, v6
	s_delay_alu instid0(VALU_DEP_2) | instskip(NEXT) | instid1(VALU_DEP_2)
	v_cmp_eq_u32_e32 vcc_lo, 0, v11
	v_min_u32_e32 v9, 32, v9
	s_delay_alu instid0(VALU_DEP_1) | instskip(NEXT) | instid1(VALU_DEP_1)
	v_subrev_nc_u32_e32 v10, 29, v9
	v_dual_lshlrev_b32 v3, v10, v3 :: v_dual_sub_nc_u32 v9, 30, v9
	s_delay_alu instid0(VALU_DEP_1) | instskip(NEXT) | instid1(VALU_DEP_1)
	v_dual_lshlrev_b32 v1, 24, v1 :: v_dual_bitop2_b32 v3, 3, v3 bitop3:0x40
	v_dual_cndmask_b32 v3, v6, v3, vcc_lo :: v_dual_cndmask_b32 v9, v11, v9, vcc_lo
	s_delay_alu instid0(VALU_DEP_2) | instskip(NEXT) | instid1(VALU_DEP_2)
	v_and_b32_e32 v1, 0x80000000, v1
	v_lshlrev_b32_e32 v3, 21, v3
	s_delay_alu instid0(VALU_DEP_3) | instskip(NEXT) | instid1(VALU_DEP_1)
	v_lshl_add_u32 v6, v9, 23, 0x37800000
	v_or3_b32 v1, v1, v6, v3
	s_delay_alu instid0(VALU_DEP_1)
	v_cvt_i32_f32_e32 v6, v1
.LBB22_1210:
	s_or_b32 exec_lo, exec_lo, s27
	s_mov_b32 s27, 0
	s_branch .LBB22_1216
.LBB22_1211:
	s_mov_b32 s36, -1
                                        ; implicit-def: $vgpr6
	s_branch .LBB22_1222
.LBB22_1212:
	s_and_not1_saveexec_b32 s27, s27
	s_cbranch_execz .LBB22_1197
.LBB22_1213:
	v_cmp_ne_u16_e32 vcc_lo, 0, v1
	s_and_not1_b32 s36, s36, exec_lo
	s_and_b32 s37, vcc_lo, exec_lo
	s_delay_alu instid0(SALU_CYCLE_1)
	s_or_b32 s36, s36, s37
	s_or_b32 exec_lo, exec_lo, s27
	v_mov_b32_e32 v6, 0
	s_and_saveexec_b32 s27, s36
	s_cbranch_execnz .LBB22_1198
	s_branch .LBB22_1199
.LBB22_1214:
	s_mov_b32 s27, -1
                                        ; implicit-def: $vgpr6
	s_branch .LBB22_1219
.LBB22_1215:
	s_mov_b32 s27, -1
                                        ; implicit-def: $vgpr6
.LBB22_1216:
	s_delay_alu instid0(SALU_CYCLE_1)
	s_and_b32 vcc_lo, exec_lo, s27
	s_cbranch_vccz .LBB22_1218
; %bb.1217:
	global_load_u8 v1, v[4:5], off
	s_wait_loadcnt 0x0
	v_lshlrev_b32_e32 v1, 24, v1
	s_delay_alu instid0(VALU_DEP_1) | instskip(NEXT) | instid1(VALU_DEP_1)
	v_and_b32_e32 v3, 0x7f000000, v1
	v_clz_i32_u32_e32 v6, v3
	v_cmp_ne_u32_e32 vcc_lo, 0, v3
	v_add_nc_u32_e32 v10, 0x1000000, v3
	s_delay_alu instid0(VALU_DEP_3) | instskip(NEXT) | instid1(VALU_DEP_1)
	v_min_u32_e32 v6, 32, v6
	v_sub_nc_u32_e64 v6, v6, 4 clamp
	s_delay_alu instid0(VALU_DEP_1) | instskip(NEXT) | instid1(VALU_DEP_1)
	v_dual_lshlrev_b32 v9, v6, v3 :: v_dual_lshlrev_b32 v6, 23, v6
	v_lshrrev_b32_e32 v9, 4, v9
	s_delay_alu instid0(VALU_DEP_1) | instskip(SKIP_1) | instid1(VALU_DEP_2)
	v_sub_nc_u32_e32 v6, v9, v6
	v_ashrrev_i32_e32 v9, 8, v10
	v_add_nc_u32_e32 v6, 0x3c000000, v6
	s_delay_alu instid0(VALU_DEP_1) | instskip(NEXT) | instid1(VALU_DEP_1)
	v_and_or_b32 v6, 0x7f800000, v9, v6
	v_cndmask_b32_e32 v3, 0, v6, vcc_lo
	s_delay_alu instid0(VALU_DEP_1) | instskip(NEXT) | instid1(VALU_DEP_1)
	v_and_or_b32 v1, 0x80000000, v1, v3
	v_cvt_i32_f32_e32 v6, v1
.LBB22_1218:
	s_mov_b32 s27, 0
.LBB22_1219:
	s_delay_alu instid0(SALU_CYCLE_1)
	s_and_not1_b32 vcc_lo, exec_lo, s27
	s_cbranch_vccnz .LBB22_1221
; %bb.1220:
	global_load_u8 v1, v[4:5], off
	s_wait_loadcnt 0x0
	v_lshlrev_b32_e32 v3, 25, v1
	v_lshlrev_b16 v1, 8, v1
	s_delay_alu instid0(VALU_DEP_1) | instskip(NEXT) | instid1(VALU_DEP_3)
	v_and_or_b32 v9, 0x7f00, v1, 0.5
	v_lshrrev_b32_e32 v6, 4, v3
	v_bfe_i32 v1, v1, 0, 16
	s_delay_alu instid0(VALU_DEP_3) | instskip(NEXT) | instid1(VALU_DEP_3)
	v_add_f32_e32 v9, -0.5, v9
	v_or_b32_e32 v6, 0x70000000, v6
	s_delay_alu instid0(VALU_DEP_1) | instskip(SKIP_1) | instid1(VALU_DEP_2)
	v_mul_f32_e32 v6, 0x7800000, v6
	v_cmp_gt_u32_e32 vcc_lo, 0x8000000, v3
	v_cndmask_b32_e32 v3, v6, v9, vcc_lo
	s_delay_alu instid0(VALU_DEP_1) | instskip(NEXT) | instid1(VALU_DEP_1)
	v_and_or_b32 v1, 0x80000000, v1, v3
	v_cvt_i32_f32_e32 v6, v1
.LBB22_1221:
	s_mov_b32 s36, 0
	s_mov_b32 s27, -1
.LBB22_1222:
	s_and_not1_b32 vcc_lo, exec_lo, s36
	s_cbranch_vccnz .LBB22_1235
; %bb.1223:
	s_cmp_gt_i32 s1, 14
	s_cbranch_scc0 .LBB22_1226
; %bb.1224:
	s_cmp_eq_u32 s1, 15
	s_cbranch_scc0 .LBB22_1229
; %bb.1225:
	global_load_u16 v1, v[4:5], off
	s_mov_b32 s27, -1
	s_mov_b32 s70, 0
	s_wait_loadcnt 0x0
	v_lshlrev_b32_e32 v1, 16, v1
	s_delay_alu instid0(VALU_DEP_1)
	v_cvt_i32_f32_e32 v6, v1
	s_branch .LBB22_1230
.LBB22_1226:
	s_mov_b32 s36, -1
                                        ; implicit-def: $vgpr6
	s_branch .LBB22_1231
.LBB22_1227:
	s_and_not1_saveexec_b32 s27, s27
	s_cbranch_execz .LBB22_1208
.LBB22_1228:
	v_cmp_ne_u16_e32 vcc_lo, 0, v1
	s_and_not1_b32 s36, s36, exec_lo
	s_and_b32 s37, vcc_lo, exec_lo
	s_delay_alu instid0(SALU_CYCLE_1)
	s_or_b32 s36, s36, s37
	s_or_b32 exec_lo, exec_lo, s27
	v_mov_b32_e32 v6, 0
	s_and_saveexec_b32 s27, s36
	s_cbranch_execnz .LBB22_1209
	s_branch .LBB22_1210
.LBB22_1229:
	s_mov_b32 s70, -1
                                        ; implicit-def: $vgpr6
.LBB22_1230:
	s_mov_b32 s36, 0
.LBB22_1231:
	s_delay_alu instid0(SALU_CYCLE_1)
	s_and_b32 vcc_lo, exec_lo, s36
	s_cbranch_vccz .LBB22_1235
; %bb.1232:
	s_cmp_eq_u32 s1, 11
	s_cbranch_scc0 .LBB22_1234
; %bb.1233:
	global_load_u8 v1, v[4:5], off
	s_mov_b32 s70, 0
	s_mov_b32 s27, -1
	s_wait_loadcnt 0x0
	v_cmp_ne_u16_e32 vcc_lo, 0, v1
	v_cndmask_b32_e64 v6, 0, 1, vcc_lo
	s_branch .LBB22_1235
.LBB22_1234:
	s_mov_b32 s70, -1
                                        ; implicit-def: $vgpr6
.LBB22_1235:
	s_mov_b32 s1, 0
.LBB22_1236:
	s_delay_alu instid0(SALU_CYCLE_1)
	s_and_b32 vcc_lo, exec_lo, s1
	s_cbranch_vccz .LBB22_1285
; %bb.1237:
	s_and_b32 s0, 0xffff, s0
	s_delay_alu instid0(SALU_CYCLE_1)
	s_cmp_lt_i32 s0, 5
	s_cbranch_scc1 .LBB22_1242
; %bb.1238:
	s_cmp_lt_i32 s0, 8
	s_cbranch_scc1 .LBB22_1243
; %bb.1239:
	;; [unrolled: 3-line block ×3, first 2 shown]
	s_cmp_gt_i32 s0, 9
	s_cbranch_scc0 .LBB22_1245
; %bb.1241:
	global_load_b64 v[10:11], v[4:5], off
	s_mov_b32 s1, 0
	s_wait_loadcnt 0x0
	v_cvt_i32_f64_e32 v6, v[10:11]
	s_branch .LBB22_1246
.LBB22_1242:
	s_mov_b32 s1, -1
                                        ; implicit-def: $vgpr6
	s_branch .LBB22_1264
.LBB22_1243:
	s_mov_b32 s1, -1
                                        ; implicit-def: $vgpr6
	s_branch .LBB22_1252
.LBB22_1244:
	s_mov_b32 s1, -1
                                        ; implicit-def: $vgpr6
	s_branch .LBB22_1249
.LBB22_1245:
	s_mov_b32 s1, -1
                                        ; implicit-def: $vgpr6
.LBB22_1246:
	s_delay_alu instid0(SALU_CYCLE_1)
	s_and_not1_b32 vcc_lo, exec_lo, s1
	s_cbranch_vccnz .LBB22_1248
; %bb.1247:
	global_load_b32 v1, v[4:5], off
	s_wait_loadcnt 0x0
	v_cvt_i32_f32_e32 v6, v1
.LBB22_1248:
	s_mov_b32 s1, 0
.LBB22_1249:
	s_delay_alu instid0(SALU_CYCLE_1)
	s_and_not1_b32 vcc_lo, exec_lo, s1
	s_cbranch_vccnz .LBB22_1251
; %bb.1250:
	global_load_b32 v1, v[4:5], off
	s_wait_loadcnt 0x0
	v_cvt_f32_f16_e32 v1, v1
	s_delay_alu instid0(VALU_DEP_1)
	v_cvt_i32_f32_e32 v6, v1
.LBB22_1251:
	s_mov_b32 s1, 0
.LBB22_1252:
	s_delay_alu instid0(SALU_CYCLE_1)
	s_and_not1_b32 vcc_lo, exec_lo, s1
	s_cbranch_vccnz .LBB22_1263
; %bb.1253:
	s_cmp_lt_i32 s0, 6
	s_cbranch_scc1 .LBB22_1256
; %bb.1254:
	s_cmp_gt_i32 s0, 6
	s_cbranch_scc0 .LBB22_1257
; %bb.1255:
	global_load_b64 v[10:11], v[4:5], off
	s_mov_b32 s1, 0
	s_wait_loadcnt 0x0
	v_cvt_i32_f64_e32 v6, v[10:11]
	s_branch .LBB22_1258
.LBB22_1256:
	s_mov_b32 s1, -1
                                        ; implicit-def: $vgpr6
	s_branch .LBB22_1261
.LBB22_1257:
	s_mov_b32 s1, -1
                                        ; implicit-def: $vgpr6
.LBB22_1258:
	s_delay_alu instid0(SALU_CYCLE_1)
	s_and_not1_b32 vcc_lo, exec_lo, s1
	s_cbranch_vccnz .LBB22_1260
; %bb.1259:
	global_load_b32 v1, v[4:5], off
	s_wait_loadcnt 0x0
	v_cvt_i32_f32_e32 v6, v1
.LBB22_1260:
	s_mov_b32 s1, 0
.LBB22_1261:
	s_delay_alu instid0(SALU_CYCLE_1)
	s_and_not1_b32 vcc_lo, exec_lo, s1
	s_cbranch_vccnz .LBB22_1263
; %bb.1262:
	global_load_u16 v1, v[4:5], off
	s_wait_loadcnt 0x0
	v_cvt_f32_f16_e32 v1, v1
	s_delay_alu instid0(VALU_DEP_1)
	v_cvt_i32_f32_e32 v6, v1
.LBB22_1263:
	s_mov_b32 s1, 0
.LBB22_1264:
	s_delay_alu instid0(SALU_CYCLE_1)
	s_and_not1_b32 vcc_lo, exec_lo, s1
	s_cbranch_vccnz .LBB22_1284
; %bb.1265:
	s_cmp_lt_i32 s0, 2
	s_cbranch_scc1 .LBB22_1269
; %bb.1266:
	s_cmp_lt_i32 s0, 3
	s_cbranch_scc1 .LBB22_1270
; %bb.1267:
	s_cmp_gt_i32 s0, 3
	s_cbranch_scc0 .LBB22_1271
; %bb.1268:
	s_wait_loadcnt 0x0
	global_load_b32 v6, v[4:5], off
	s_mov_b32 s1, 0
	s_branch .LBB22_1272
.LBB22_1269:
	s_mov_b32 s1, -1
                                        ; implicit-def: $vgpr6
	s_branch .LBB22_1278
.LBB22_1270:
	s_mov_b32 s1, -1
                                        ; implicit-def: $vgpr6
	s_branch .LBB22_1275
.LBB22_1271:
	s_mov_b32 s1, -1
                                        ; implicit-def: $vgpr6
.LBB22_1272:
	s_delay_alu instid0(SALU_CYCLE_1)
	s_and_not1_b32 vcc_lo, exec_lo, s1
	s_cbranch_vccnz .LBB22_1274
; %bb.1273:
	s_wait_loadcnt 0x0
	global_load_b32 v6, v[4:5], off
.LBB22_1274:
	s_mov_b32 s1, 0
.LBB22_1275:
	s_delay_alu instid0(SALU_CYCLE_1)
	s_and_not1_b32 vcc_lo, exec_lo, s1
	s_cbranch_vccnz .LBB22_1277
; %bb.1276:
	s_wait_loadcnt 0x0
	global_load_i16 v6, v[4:5], off
.LBB22_1277:
	s_mov_b32 s1, 0
.LBB22_1278:
	s_delay_alu instid0(SALU_CYCLE_1)
	s_and_not1_b32 vcc_lo, exec_lo, s1
	s_cbranch_vccnz .LBB22_1284
; %bb.1279:
	s_cmp_gt_i32 s0, 0
	s_mov_b32 s0, 0
	s_cbranch_scc0 .LBB22_1281
; %bb.1280:
	s_wait_loadcnt 0x0
	global_load_i8 v6, v[4:5], off
	s_branch .LBB22_1282
.LBB22_1281:
	s_mov_b32 s0, -1
                                        ; implicit-def: $vgpr6
.LBB22_1282:
	s_delay_alu instid0(SALU_CYCLE_1)
	s_and_not1_b32 vcc_lo, exec_lo, s0
	s_cbranch_vccnz .LBB22_1284
; %bb.1283:
	s_wait_loadcnt 0x0
	global_load_u8 v6, v[4:5], off
.LBB22_1284:
	s_mov_b32 s27, -1
.LBB22_1285:
	s_delay_alu instid0(SALU_CYCLE_1)
	s_and_not1_b32 vcc_lo, exec_lo, s27
	s_cbranch_vccnz .LBB22_1296
; %bb.1286:
	s_wait_loadcnt 0x0
	v_cmp_eq_u32_e32 vcc_lo, s29, v7
	s_mov_b32 s0, 0
	s_mov_b32 s37, -1
	s_mov_b32 s38, s59
	s_mov_b32 s36, s58
	s_and_b32 s39, s51, vcc_lo
	s_mov_b32 s27, s57
	s_mov_b32 s1, s54
	s_wait_xcnt 0x0
	s_and_saveexec_b32 s72, s39
	s_cbranch_execz .LBB22_4066
; %bb.1287:
	v_cmp_eq_u32_e32 vcc_lo, s18, v8
	s_mov_b32 s36, -1
	s_mov_b32 s37, s58
	s_mov_b32 s27, s57
	;; [unrolled: 1-line block ×3, first 2 shown]
	s_and_b32 s1, s50, vcc_lo
	s_delay_alu instid0(SALU_CYCLE_1)
	s_and_saveexec_b32 s73, s1
	s_cbranch_execz .LBB22_3592
; %bb.1288:
	v_sub_nc_u32_e32 v1, v2, v0
	s_mov_b32 s1, 0
	s_mov_b32 s27, -1
	s_mov_b32 s37, s54
	s_delay_alu instid0(VALU_DEP_1) | instskip(SKIP_4) | instid1(SALU_CYCLE_1)
	v_cmp_le_i32_e32 vcc_lo, s29, v1
	v_cmp_ge_i32_e64 s0, s16, v1
	s_and_b32 s36, vcc_lo, s0
	s_mov_b32 s0, s57
	s_and_b32 s36, s49, s36
	s_and_saveexec_b32 s74, s36
	s_cbranch_execz .LBB22_3591
; %bb.1289:
	v_mov_b64_e32 v[4:5], 0
	s_and_not1_b32 vcc_lo, exec_lo, s17
	s_cbranch_vccnz .LBB22_1312
; %bb.1290:
	v_ashrrev_i32_e32 v7, 31, v6
	s_mov_b32 s27, s1
	v_mov_b64_e32 v[4:5], 0
	s_lshl_b64 s[38:39], s[26:27], 3
	s_mov_b64 s[36:37], 0xffffffff
	v_mul_u64_e32 v[8:9], s[18:19], v[6:7]
	v_mov_b32_e32 v6, 0
	s_add_nc_u64 s[38:39], s[24:25], s[38:39]
	s_mov_b32 s27, s48
	s_add_nc_u64 s[38:39], s[38:39], 0x68
	s_branch .LBB22_1292
.LBB22_1291:                            ;   in Loop: Header=BB22_1292 Depth=1
	s_or_b32 exec_lo, exec_lo, s0
	s_delay_alu instid0(VALU_DEP_1)
	v_mul_u64_e32 v[12:13], s[40:41], v[10:11]
	s_load_b64 s[40:41], s[38:39], 0x40
	s_add_co_i32 s27, s27, -1
	s_wait_xcnt 0x0
	s_add_nc_u64 s[38:39], s[38:39], -8
	s_cmp_lg_u32 s27, 0
	s_delay_alu instid0(VALU_DEP_1) | instskip(SKIP_1) | instid1(VALU_DEP_1)
	v_sub_nc_u64_e32 v[8:9], v[8:9], v[12:13]
	s_wait_kmcnt 0x0
	v_mad_nc_u64_u32 v[4:5], v8, s40, v[4:5]
	s_delay_alu instid0(VALU_DEP_1) | instskip(NEXT) | instid1(VALU_DEP_1)
	v_mad_u32 v1, v9, s40, v5
	v_mad_u32 v5, v8, s41, v1
	v_mov_b64_e32 v[8:9], v[10:11]
	s_cbranch_scc0 .LBB22_1312
.LBB22_1292:                            ; =>This Inner Loop Header: Depth=1
	s_load_b64 s[40:41], s[38:39], 0x0
                                        ; implicit-def: $vgpr10_vgpr11
	s_mov_b32 s0, exec_lo
	s_wait_kmcnt 0x0
	s_delay_alu instid0(VALU_DEP_1) | instskip(NEXT) | instid1(VALU_DEP_1)
	v_or_b32_e32 v7, s41, v9
	v_cmpx_ne_u64_e32 0, v[6:7]
	s_xor_b32 s75, exec_lo, s0
	s_cbranch_execz .LBB22_1294
; %bb.1293:                             ;   in Loop: Header=BB22_1292 Depth=1
	s_ashr_i32 s42, s41, 31
	v_dual_mov_b32 v15, v6 :: v_dual_ashrrev_i32 v10, 31, v9
	s_mov_b32 s43, s42
	v_mov_b32_e32 v25, v6
	s_add_nc_u64 s[44:45], s[40:41], s[42:43]
	s_delay_alu instid0(VALU_DEP_2) | instskip(SKIP_1) | instid1(SALU_CYCLE_1)
	v_mov_b32_e32 v11, v10
	s_xor_b64 s[44:45], s[44:45], s[42:43]
	s_cvt_f32_u32 s0, s44
	s_cvt_f32_u32 s43, s45
	s_sub_nc_u64 s[80:81], 0, s[44:45]
	v_add_nc_u64_e32 v[12:13], v[8:9], v[10:11]
	v_mov_b32_e32 v19, v6
	s_fmamk_f32 s0, s43, 0x4f800000, s0
	s_delay_alu instid0(SALU_CYCLE_3) | instskip(NEXT) | instid1(VALU_DEP_2)
	v_s_rcp_f32 s0, s0
	v_xor_b32_e32 v14, v12, v10
	s_delay_alu instid0(VALU_DEP_3) | instskip(NEXT) | instid1(TRANS32_DEP_1)
	v_xor_b32_e32 v18, v13, v10
	s_mul_f32 s0, s0, 0x5f7ffffc
	s_delay_alu instid0(SALU_CYCLE_3) | instskip(NEXT) | instid1(SALU_CYCLE_3)
	s_mul_f32 s43, s0, 0x2f800000
	s_trunc_f32 s43, s43
	s_delay_alu instid0(SALU_CYCLE_3) | instskip(SKIP_1) | instid1(SALU_CYCLE_2)
	s_fmamk_f32 s0, s43, 0xcf800000, s0
	s_cvt_u32_f32 s79, s43
	s_cvt_u32_f32 s78, s0
	s_delay_alu instid0(SALU_CYCLE_3) | instskip(NEXT) | instid1(SALU_CYCLE_1)
	s_mul_u64 s[82:83], s[80:81], s[78:79]
	s_mul_hi_u32 s85, s78, s83
	s_mul_i32 s84, s78, s83
	s_mul_hi_u32 s0, s78, s82
	s_mul_i32 s76, s79, s82
	s_add_nc_u64 s[84:85], s[0:1], s[84:85]
	s_mul_hi_u32 s43, s79, s82
	s_mul_hi_u32 s86, s79, s83
	s_add_co_u32 s0, s84, s76
	s_add_co_ci_u32 s0, s85, s43
	s_mul_i32 s82, s79, s83
	s_add_co_ci_u32 s83, s86, 0
	s_delay_alu instid0(SALU_CYCLE_1) | instskip(NEXT) | instid1(SALU_CYCLE_1)
	s_add_nc_u64 s[82:83], s[0:1], s[82:83]
	s_add_co_u32 s78, s78, s82
	s_cselect_b32 s0, -1, 0
	s_delay_alu instid0(SALU_CYCLE_1) | instskip(SKIP_1) | instid1(SALU_CYCLE_1)
	s_cmp_lg_u32 s0, 0
	s_add_co_ci_u32 s79, s79, s83
	s_mul_u64 s[80:81], s[80:81], s[78:79]
	s_delay_alu instid0(SALU_CYCLE_1)
	s_mul_hi_u32 s83, s78, s81
	s_mul_i32 s82, s78, s81
	s_mul_hi_u32 s0, s78, s80
	s_mul_i32 s76, s79, s80
	s_add_nc_u64 s[82:83], s[0:1], s[82:83]
	s_mul_hi_u32 s43, s79, s80
	s_mul_hi_u32 s84, s79, s81
	s_add_co_u32 s0, s82, s76
	s_add_co_ci_u32 s0, s83, s43
	s_mul_i32 s80, s79, s81
	s_add_co_ci_u32 s81, s84, 0
	s_delay_alu instid0(SALU_CYCLE_1) | instskip(NEXT) | instid1(SALU_CYCLE_1)
	s_add_nc_u64 s[80:81], s[0:1], s[80:81]
	s_add_co_u32 s76, s78, s80
	s_cselect_b32 s0, -1, 0
	v_mul_hi_u32 v24, v14, s76
	s_cmp_lg_u32 s0, 0
	s_add_co_ci_u32 s0, s79, s81
	s_and_b64 s[78:79], s[76:77], s[36:37]
	v_mul_u64_e32 v[16:17], s[0:1], v[14:15]
	v_mul_u64_e32 v[12:13], s[78:79], v[18:19]
	;; [unrolled: 1-line block ×3, first 2 shown]
	s_delay_alu instid0(VALU_DEP_3) | instskip(NEXT) | instid1(VALU_DEP_1)
	v_add_nc_u64_e32 v[16:17], v[24:25], v[16:17]
	v_add_co_u32 v1, vcc_lo, v16, v12
	s_delay_alu instid0(VALU_DEP_2) | instskip(NEXT) | instid1(VALU_DEP_4)
	v_add_co_ci_u32_e32 v24, vcc_lo, v17, v13, vcc_lo
	v_add_co_ci_u32_e32 v21, vcc_lo, 0, v21, vcc_lo
	s_delay_alu instid0(VALU_DEP_1) | instskip(NEXT) | instid1(VALU_DEP_1)
	v_add_nc_u64_e32 v[12:13], v[24:25], v[20:21]
	v_mul_u64_e32 v[16:17], s[44:45], v[12:13]
	s_delay_alu instid0(VALU_DEP_1) | instskip(NEXT) | instid1(VALU_DEP_2)
	v_sub_nc_u32_e32 v1, v18, v17
	v_sub_co_u32 v3, vcc_lo, v14, v16
	s_delay_alu instid0(VALU_DEP_1) | instskip(NEXT) | instid1(VALU_DEP_3)
	v_sub_co_ci_u32_e64 v11, null, v18, v17, vcc_lo
	v_subrev_co_ci_u32_e64 v1, null, s45, v1, vcc_lo
	s_delay_alu instid0(VALU_DEP_3) | instskip(SKIP_1) | instid1(VALU_DEP_3)
	v_sub_co_u32 v7, s0, v3, s44
	v_add_nc_u64_e32 v[16:17], 1, v[12:13]
	v_subrev_co_ci_u32_e64 v1, null, 0, v1, s0
	s_delay_alu instid0(VALU_DEP_3) | instskip(SKIP_1) | instid1(VALU_DEP_3)
	v_cmp_le_u32_e32 vcc_lo, s44, v7
	v_cndmask_b32_e64 v7, 0, -1, vcc_lo
	v_cmp_le_u32_e32 vcc_lo, s45, v1
	v_cndmask_b32_e64 v14, 0, -1, vcc_lo
	;; [unrolled: 2-line block ×4, first 2 shown]
	v_cmp_eq_u32_e32 vcc_lo, s45, v1
	v_cndmask_b32_e32 v1, v14, v7, vcc_lo
	v_cmp_eq_u32_e32 vcc_lo, s45, v11
	v_add_nc_u64_e32 v[14:15], 2, v[12:13]
	v_cndmask_b32_e32 v3, v18, v3, vcc_lo
	s_delay_alu instid0(VALU_DEP_4) | instskip(NEXT) | instid1(VALU_DEP_2)
	v_cmp_ne_u32_e32 vcc_lo, 0, v1
	v_cmp_ne_u32_e64 s0, 0, v3
	s_delay_alu instid0(VALU_DEP_4) | instskip(NEXT) | instid1(VALU_DEP_1)
	v_dual_cndmask_b32 v1, v17, v15, vcc_lo :: v_dual_cndmask_b32 v3, v16, v14, vcc_lo
	v_dual_cndmask_b32 v1, v13, v1, s0 :: v_dual_bitop2_b32 v10, s42, v10 bitop3:0x14
	s_delay_alu instid0(VALU_DEP_1) | instskip(NEXT) | instid1(VALU_DEP_2)
	v_dual_cndmask_b32 v3, v12, v3, s0 :: v_dual_mov_b32 v11, v10
	v_xor_b32_e32 v13, v1, v10
	s_delay_alu instid0(VALU_DEP_2) | instskip(NEXT) | instid1(VALU_DEP_1)
	v_xor_b32_e32 v12, v3, v10
	v_sub_nc_u64_e32 v[10:11], v[12:13], v[10:11]
.LBB22_1294:                            ;   in Loop: Header=BB22_1292 Depth=1
	s_and_not1_saveexec_b32 s0, s75
	s_cbranch_execz .LBB22_1291
; %bb.1295:                             ;   in Loop: Header=BB22_1292 Depth=1
	v_cvt_f32_u32_e32 v1, s40
	s_sub_co_i32 s42, 0, s40
	v_mov_b32_e32 v11, v6
	s_delay_alu instid0(VALU_DEP_2) | instskip(SKIP_1) | instid1(TRANS32_DEP_1)
	v_rcp_iflag_f32_e32 v1, v1
	v_nop
	v_mul_f32_e32 v1, 0x4f7ffffe, v1
	s_delay_alu instid0(VALU_DEP_1) | instskip(NEXT) | instid1(VALU_DEP_1)
	v_cvt_u32_f32_e32 v1, v1
	v_mul_lo_u32 v3, s42, v1
	s_delay_alu instid0(VALU_DEP_1) | instskip(NEXT) | instid1(VALU_DEP_1)
	v_mul_hi_u32 v3, v1, v3
	v_add_nc_u32_e32 v1, v1, v3
	s_delay_alu instid0(VALU_DEP_1) | instskip(NEXT) | instid1(VALU_DEP_1)
	v_mul_hi_u32 v1, v8, v1
	v_mul_lo_u32 v3, v1, s40
	s_delay_alu instid0(VALU_DEP_1) | instskip(NEXT) | instid1(VALU_DEP_1)
	v_sub_nc_u32_e32 v3, v8, v3
	v_subrev_nc_u32_e32 v10, s40, v3
	v_cmp_le_u32_e32 vcc_lo, s40, v3
	s_delay_alu instid0(VALU_DEP_2) | instskip(NEXT) | instid1(VALU_DEP_1)
	v_dual_add_nc_u32 v7, 1, v1 :: v_dual_cndmask_b32 v3, v3, v10, vcc_lo
	v_cndmask_b32_e32 v1, v1, v7, vcc_lo
	s_delay_alu instid0(VALU_DEP_2) | instskip(NEXT) | instid1(VALU_DEP_2)
	v_cmp_le_u32_e32 vcc_lo, s40, v3
	v_add_nc_u32_e32 v7, 1, v1
	s_delay_alu instid0(VALU_DEP_1)
	v_cndmask_b32_e32 v10, v1, v7, vcc_lo
	s_branch .LBB22_1291
.LBB22_1296:
	s_mov_b32 s0, 0
	s_mov_b32 s1, s54
	;; [unrolled: 1-line block ×6, first 2 shown]
.LBB22_1297:
                                        ; implicit-def: $vgpr22
.LBB22_1298:
	s_and_not1_b32 s39, s54, exec_lo
	s_and_b32 s1, s1, exec_lo
	s_and_not1_b32 s40, s57, exec_lo
	s_and_b32 s27, s27, exec_lo
	s_or_b32 s74, s39, s1
	s_or_b32 s75, s40, s27
	s_and_not1_b32 s1, s58, exec_lo
	s_and_b32 s27, s36, exec_lo
	s_and_not1_b32 s36, s59, exec_lo
	s_and_b32 s38, s38, exec_lo
	s_or_b32 s76, s1, s27
	s_or_b32 s72, s36, s38
	;; [unrolled: 6-line block ×5, first 2 shown]
	s_or_not1_b32 s37, s0, exec_lo
.LBB22_1299:
	s_wait_xcnt 0x0
	s_or_b32 exec_lo, exec_lo, s77
	s_mov_b32 s1, 0
	s_mov_b32 s36, 0
	s_mov_b32 s27, 0
                                        ; implicit-def: $sgpr0
                                        ; implicit-def: $vgpr0_vgpr1
                                        ; implicit-def: $vgpr7
	s_and_saveexec_b32 s77, s37
	s_cbranch_execz .LBB22_2139
; %bb.1300:
	s_mov_b32 s80, -1
	s_mov_b32 s1, s67
	s_mov_b32 s37, s69
	;; [unrolled: 1-line block ×10, first 2 shown]
	s_mov_b32 s78, exec_lo
	v_cmpx_gt_i32_e64 s55, v22
	s_cbranch_execz .LBB22_2047
; %bb.1301:
	s_wait_loadcnt 0x0
	v_mul_lo_u32 v0, s20, v22
	s_and_b32 s0, s56, 0xff
	s_delay_alu instid0(SALU_CYCLE_1) | instskip(NEXT) | instid1(VALU_DEP_1)
	s_cmp_lt_i32 s0, 11
	v_ashrrev_i32_e32 v1, 31, v0
	s_delay_alu instid0(VALU_DEP_1)
	v_add_nc_u64_e32 v[0:1], s[4:5], v[0:1]
	s_cbranch_scc1 .LBB22_1308
; %bb.1302:
	s_and_b32 s1, 0xffff, s0
	s_delay_alu instid0(SALU_CYCLE_1)
	s_cmp_gt_i32 s1, 25
	s_cbranch_scc0 .LBB22_1309
; %bb.1303:
	s_cmp_gt_i32 s1, 28
	s_cbranch_scc0 .LBB22_1310
; %bb.1304:
	;; [unrolled: 3-line block ×4, first 2 shown]
	s_cmp_eq_u32 s1, 46
	s_mov_b32 s36, 0
	s_cbranch_scc0 .LBB22_1327
; %bb.1307:
	global_load_b32 v2, v[0:1], off
	s_mov_b32 s27, -1
	s_mov_b32 s79, 0
	s_wait_loadcnt 0x0
	v_lshlrev_b32_e32 v2, 16, v2
	s_delay_alu instid0(VALU_DEP_1)
	v_cvt_i32_f32_e32 v7, v2
	s_branch .LBB22_1329
.LBB22_1308:
	s_mov_b32 s1, -1
	s_mov_b32 s27, 0
	s_mov_b32 s79, s67
                                        ; implicit-def: $vgpr7
	s_branch .LBB22_1390
.LBB22_1309:
	s_mov_b32 s36, -1
	s_mov_b32 s27, 0
	s_mov_b32 s79, s67
                                        ; implicit-def: $vgpr7
	s_branch .LBB22_1356
.LBB22_1310:
	s_mov_b32 s36, -1
	s_mov_b32 s27, 0
	s_mov_b32 s79, s67
                                        ; implicit-def: $vgpr7
	s_branch .LBB22_1339
.LBB22_1311:
	s_mov_b32 s36, -1
	s_mov_b32 s27, 0
	s_mov_b32 s79, s67
                                        ; implicit-def: $vgpr7
	s_branch .LBB22_1334
.LBB22_1312:
	s_mov_b32 s37, -1
	s_mov_b32 s0, s57
	s_mov_b32 s1, exec_lo
	v_cmpx_gt_i32_e64 v2, v0
	s_cbranch_execz .LBB22_1319
; %bb.1313:
	s_delay_alu instid0(VALU_DEP_2) | instskip(SKIP_3) | instid1(VALU_DEP_1)
	v_lshlrev_b64_e32 v[4:5], 2, v[4:5]
	v_dual_ashrrev_i32 v1, 31, v0 :: v_dual_ashrrev_i32 v3, 31, v2
	s_mov_b32 s0, 0
	s_xor_b32 s36, s35, -1
                                        ; implicit-def: $sgpr27
                                        ; implicit-def: $sgpr38
                                        ; implicit-def: $sgpr37
	v_lshl_add_u64 v[0:1], v[0:1], 2, v[4:5]
	v_add_nc_u64_e32 v[4:5], s[12:13], v[4:5]
	s_delay_alu instid0(VALU_DEP_2) | instskip(NEXT) | instid1(VALU_DEP_2)
	v_add_nc_u64_e32 v[0:1], s[12:13], v[0:1]
	v_lshl_add_u64 v[2:3], v[2:3], 2, v[4:5]
	s_delay_alu instid0(VALU_DEP_2)
	v_add_nc_u64_e32 v[0:1], 4, v[0:1]
	s_branch .LBB22_1315
.LBB22_1314:                            ;   in Loop: Header=BB22_1315 Depth=1
	s_or_b32 exec_lo, exec_lo, s39
	s_delay_alu instid0(SALU_CYCLE_1) | instskip(NEXT) | instid1(SALU_CYCLE_1)
	s_and_b32 s39, exec_lo, s38
	s_or_b32 s0, s39, s0
	s_and_not1_b32 s27, s27, exec_lo
	s_and_b32 s39, s37, exec_lo
	s_delay_alu instid0(SALU_CYCLE_1)
	s_or_b32 s27, s27, s39
	s_and_not1_b32 exec_lo, exec_lo, s0
	s_cbranch_execz .LBB22_1318
.LBB22_1315:                            ; =>This Inner Loop Header: Depth=1
	s_or_b32 s37, s37, exec_lo
	s_or_b32 s38, s38, exec_lo
	s_mov_b32 s39, exec_lo
	s_delay_alu instid0(VALU_DEP_1)
	v_cmpx_lt_u64_e64 v[0:1], v[2:3]
	s_cbranch_execz .LBB22_1314
; %bb.1316:                             ;   in Loop: Header=BB22_1315 Depth=1
	global_load_b64 v[4:5], v[0:1], off offset:-4
	s_wait_xcnt 0x0
	v_add_nc_u64_e32 v[0:1], 4, v[0:1]
	s_and_not1_b32 s38, s38, exec_lo
	s_and_not1_b32 s37, s37, exec_lo
	s_wait_loadcnt 0x0
	v_cmp_ge_i32_e32 vcc_lo, v4, v5
	s_or_b32 s40, s36, vcc_lo
	s_delay_alu instid0(SALU_CYCLE_1) | instskip(NEXT) | instid1(SALU_CYCLE_1)
	s_and_b32 s40, s40, exec_lo
	s_or_b32 s38, s38, s40
	s_branch .LBB22_1314
.LBB22_1317:
	s_mov_b32 s36, -1
	s_mov_b32 s27, 0
	s_mov_b32 s79, s67
	s_branch .LBB22_1328
.LBB22_1318:
	s_or_b32 exec_lo, exec_lo, s0
	s_delay_alu instid0(SALU_CYCLE_1)
	s_or_b32 s0, s57, exec_lo
	s_or_not1_b32 s37, s27, exec_lo
.LBB22_1319:
	s_or_b32 exec_lo, exec_lo, s1
	s_mov_b32 s36, 0
	s_mov_b32 s27, s54
	s_and_saveexec_b32 s1, s37
	s_cbranch_execz .LBB22_3590
; %bb.1320:
	v_mul_lo_u32 v0, s33, v22
	s_and_b32 s36, s14, 0xff
	s_delay_alu instid0(SALU_CYCLE_1) | instskip(NEXT) | instid1(VALU_DEP_1)
	s_cmp_lt_i32 s36, 11
	v_ashrrev_i32_e32 v1, 31, v0
	s_delay_alu instid0(VALU_DEP_1)
	v_add_nc_u64_e32 v[0:1], s[2:3], v[0:1]
	s_cbranch_scc1 .LBB22_1453
; %bb.1321:
	s_and_b32 s37, 0xffff, s36
	s_delay_alu instid0(SALU_CYCLE_1)
	s_cmp_gt_i32 s37, 25
	s_cbranch_scc0 .LBB22_1580
; %bb.1322:
	s_cmp_gt_i32 s37, 28
	s_cbranch_scc0 .LBB22_1707
; %bb.1323:
	;; [unrolled: 3-line block ×4, first 2 shown]
	s_mov_b32 s39, 0
	s_mov_b32 s27, -1
	s_cmp_eq_u32 s37, 46
	s_mov_b32 s38, 0
	s_cbranch_scc0 .LBB22_3508
; %bb.1326:
	v_mov_b32_e32 v2, 0
	s_mov_b32 s38, -1
	s_mov_b32 s27, 0
	global_store_b32 v[0:1], v2, off
	s_branch .LBB22_3508
.LBB22_1327:
	s_mov_b32 s79, -1
	s_mov_b32 s27, 0
.LBB22_1328:
                                        ; implicit-def: $vgpr7
.LBB22_1329:
	s_and_b32 vcc_lo, exec_lo, s36
	s_cbranch_vccz .LBB22_1333
; %bb.1330:
	s_cmp_eq_u32 s1, 44
	s_cbranch_scc0 .LBB22_1332
; %bb.1331:
	global_load_u8 v2, v[0:1], off
	s_mov_b32 s79, 0
	s_mov_b32 s27, -1
	s_wait_loadcnt 0x0
	v_lshlrev_b32_e32 v3, 23, v2
	v_cmp_ne_u32_e32 vcc_lo, 0, v2
	s_delay_alu instid0(VALU_DEP_2) | instskip(NEXT) | instid1(VALU_DEP_1)
	v_cvt_i32_f32_e32 v3, v3
	v_cndmask_b32_e32 v7, 0, v3, vcc_lo
	s_branch .LBB22_1333
.LBB22_1332:
	s_mov_b32 s79, -1
                                        ; implicit-def: $vgpr7
.LBB22_1333:
	s_mov_b32 s36, 0
.LBB22_1334:
	s_delay_alu instid0(SALU_CYCLE_1)
	s_and_b32 vcc_lo, exec_lo, s36
	s_cbranch_vccz .LBB22_1338
; %bb.1335:
	s_cmp_eq_u32 s1, 29
	s_cbranch_scc0 .LBB22_1337
; %bb.1336:
	global_load_b32 v7, v[0:1], off
	s_mov_b32 s27, -1
	s_mov_b32 s79, 0
	s_branch .LBB22_1338
.LBB22_1337:
	s_mov_b32 s79, -1
                                        ; implicit-def: $vgpr7
.LBB22_1338:
	s_mov_b32 s36, 0
.LBB22_1339:
	s_delay_alu instid0(SALU_CYCLE_1)
	s_and_b32 vcc_lo, exec_lo, s36
	s_cbranch_vccz .LBB22_1355
; %bb.1340:
	s_cmp_lt_i32 s1, 27
	s_cbranch_scc1 .LBB22_1343
; %bb.1341:
	s_cmp_gt_i32 s1, 27
	s_cbranch_scc0 .LBB22_1344
; %bb.1342:
	s_wait_loadcnt 0x0
	global_load_b32 v7, v[0:1], off
	s_mov_b32 s27, 0
	s_branch .LBB22_1345
.LBB22_1343:
	s_mov_b32 s27, -1
                                        ; implicit-def: $vgpr7
	s_branch .LBB22_1348
.LBB22_1344:
	s_mov_b32 s27, -1
                                        ; implicit-def: $vgpr7
.LBB22_1345:
	s_delay_alu instid0(SALU_CYCLE_1)
	s_and_not1_b32 vcc_lo, exec_lo, s27
	s_cbranch_vccnz .LBB22_1347
; %bb.1346:
	s_wait_loadcnt 0x0
	global_load_u16 v7, v[0:1], off
.LBB22_1347:
	s_mov_b32 s27, 0
.LBB22_1348:
	s_delay_alu instid0(SALU_CYCLE_1)
	s_and_not1_b32 vcc_lo, exec_lo, s27
	s_cbranch_vccnz .LBB22_1354
; %bb.1349:
	global_load_u8 v2, v[0:1], off
	s_mov_b32 s36, 0
	s_mov_b32 s27, exec_lo
	s_wait_loadcnt 0x0
	v_cmpx_lt_i16_e32 0x7f, v2
	s_xor_b32 s27, exec_lo, s27
	s_cbranch_execz .LBB22_1366
; %bb.1350:
	v_cmp_ne_u16_e32 vcc_lo, 0x80, v2
	s_and_b32 s36, vcc_lo, exec_lo
	s_and_not1_saveexec_b32 s27, s27
	s_cbranch_execnz .LBB22_1367
.LBB22_1351:
	s_or_b32 exec_lo, exec_lo, s27
	v_mov_b32_e32 v7, 0
	s_and_saveexec_b32 s27, s36
	s_cbranch_execz .LBB22_1353
.LBB22_1352:
	v_and_b32_e32 v3, 0xffff, v2
	s_delay_alu instid0(VALU_DEP_1) | instskip(SKIP_1) | instid1(VALU_DEP_2)
	v_and_b32_e32 v4, 7, v3
	v_bfe_u32 v7, v3, 3, 4
	v_clz_i32_u32_e32 v5, v4
	s_delay_alu instid0(VALU_DEP_2) | instskip(NEXT) | instid1(VALU_DEP_2)
	v_cmp_eq_u32_e32 vcc_lo, 0, v7
	v_min_u32_e32 v5, 32, v5
	s_delay_alu instid0(VALU_DEP_1) | instskip(NEXT) | instid1(VALU_DEP_1)
	v_subrev_nc_u32_e32 v6, 28, v5
	v_dual_lshlrev_b32 v3, v6, v3 :: v_dual_sub_nc_u32 v5, 29, v5
	s_delay_alu instid0(VALU_DEP_1) | instskip(NEXT) | instid1(VALU_DEP_1)
	v_dual_lshlrev_b32 v2, 24, v2 :: v_dual_bitop2_b32 v3, 7, v3 bitop3:0x40
	v_dual_cndmask_b32 v5, v7, v5, vcc_lo :: v_dual_cndmask_b32 v3, v4, v3, vcc_lo
	s_delay_alu instid0(VALU_DEP_2) | instskip(NEXT) | instid1(VALU_DEP_2)
	v_and_b32_e32 v2, 0x80000000, v2
	v_lshl_add_u32 v4, v5, 23, 0x3b800000
	s_delay_alu instid0(VALU_DEP_3) | instskip(NEXT) | instid1(VALU_DEP_1)
	v_lshlrev_b32_e32 v3, 20, v3
	v_or3_b32 v2, v2, v4, v3
	s_delay_alu instid0(VALU_DEP_1)
	v_cvt_i32_f32_e32 v7, v2
.LBB22_1353:
	s_or_b32 exec_lo, exec_lo, s27
.LBB22_1354:
	s_mov_b32 s27, -1
.LBB22_1355:
	s_mov_b32 s36, 0
.LBB22_1356:
	s_delay_alu instid0(SALU_CYCLE_1)
	s_and_b32 vcc_lo, exec_lo, s36
	s_cbranch_vccz .LBB22_1389
; %bb.1357:
	s_cmp_gt_i32 s1, 22
	s_cbranch_scc0 .LBB22_1365
; %bb.1358:
	s_cmp_lt_i32 s1, 24
	s_cbranch_scc1 .LBB22_1368
; %bb.1359:
	s_cmp_gt_i32 s1, 24
	s_cbranch_scc0 .LBB22_1369
; %bb.1360:
	global_load_u8 v2, v[0:1], off
	s_mov_b32 s36, 0
	s_mov_b32 s27, exec_lo
	s_wait_loadcnt 0x0
	v_cmpx_lt_i16_e32 0x7f, v2
	s_xor_b32 s27, exec_lo, s27
	s_cbranch_execz .LBB22_1381
; %bb.1361:
	v_cmp_ne_u16_e32 vcc_lo, 0x80, v2
	s_and_b32 s36, vcc_lo, exec_lo
	s_and_not1_saveexec_b32 s27, s27
	s_cbranch_execnz .LBB22_1382
.LBB22_1362:
	s_or_b32 exec_lo, exec_lo, s27
	v_mov_b32_e32 v7, 0
	s_and_saveexec_b32 s27, s36
	s_cbranch_execz .LBB22_1364
.LBB22_1363:
	v_and_b32_e32 v3, 0xffff, v2
	s_delay_alu instid0(VALU_DEP_1) | instskip(SKIP_1) | instid1(VALU_DEP_2)
	v_and_b32_e32 v4, 3, v3
	v_bfe_u32 v7, v3, 2, 5
	v_clz_i32_u32_e32 v5, v4
	s_delay_alu instid0(VALU_DEP_2) | instskip(NEXT) | instid1(VALU_DEP_2)
	v_cmp_eq_u32_e32 vcc_lo, 0, v7
	v_min_u32_e32 v5, 32, v5
	s_delay_alu instid0(VALU_DEP_1) | instskip(NEXT) | instid1(VALU_DEP_1)
	v_subrev_nc_u32_e32 v6, 29, v5
	v_dual_lshlrev_b32 v3, v6, v3 :: v_dual_sub_nc_u32 v5, 30, v5
	s_delay_alu instid0(VALU_DEP_1) | instskip(NEXT) | instid1(VALU_DEP_1)
	v_dual_lshlrev_b32 v2, 24, v2 :: v_dual_bitop2_b32 v3, 3, v3 bitop3:0x40
	v_dual_cndmask_b32 v5, v7, v5, vcc_lo :: v_dual_cndmask_b32 v3, v4, v3, vcc_lo
	s_delay_alu instid0(VALU_DEP_2) | instskip(NEXT) | instid1(VALU_DEP_2)
	v_and_b32_e32 v2, 0x80000000, v2
	v_lshl_add_u32 v4, v5, 23, 0x37800000
	s_delay_alu instid0(VALU_DEP_3) | instskip(NEXT) | instid1(VALU_DEP_1)
	v_lshlrev_b32_e32 v3, 21, v3
	v_or3_b32 v2, v2, v4, v3
	s_delay_alu instid0(VALU_DEP_1)
	v_cvt_i32_f32_e32 v7, v2
.LBB22_1364:
	s_or_b32 exec_lo, exec_lo, s27
	s_mov_b32 s27, 0
	s_branch .LBB22_1370
.LBB22_1365:
	s_mov_b32 s36, -1
                                        ; implicit-def: $vgpr7
	s_branch .LBB22_1376
.LBB22_1366:
	s_and_not1_saveexec_b32 s27, s27
	s_cbranch_execz .LBB22_1351
.LBB22_1367:
	v_cmp_ne_u16_e32 vcc_lo, 0, v2
	s_and_not1_b32 s36, s36, exec_lo
	s_and_b32 s37, vcc_lo, exec_lo
	s_delay_alu instid0(SALU_CYCLE_1)
	s_or_b32 s36, s36, s37
	s_or_b32 exec_lo, exec_lo, s27
	v_mov_b32_e32 v7, 0
	s_and_saveexec_b32 s27, s36
	s_cbranch_execnz .LBB22_1352
	s_branch .LBB22_1353
.LBB22_1368:
	s_mov_b32 s27, -1
                                        ; implicit-def: $vgpr7
	s_branch .LBB22_1373
.LBB22_1369:
	s_mov_b32 s27, -1
                                        ; implicit-def: $vgpr7
.LBB22_1370:
	s_delay_alu instid0(SALU_CYCLE_1)
	s_and_b32 vcc_lo, exec_lo, s27
	s_cbranch_vccz .LBB22_1372
; %bb.1371:
	global_load_u8 v2, v[0:1], off
	s_wait_loadcnt 0x0
	v_lshlrev_b32_e32 v2, 24, v2
	s_delay_alu instid0(VALU_DEP_1) | instskip(NEXT) | instid1(VALU_DEP_1)
	v_and_b32_e32 v3, 0x7f000000, v2
	v_clz_i32_u32_e32 v4, v3
	v_cmp_ne_u32_e32 vcc_lo, 0, v3
	v_add_nc_u32_e32 v6, 0x1000000, v3
	s_delay_alu instid0(VALU_DEP_3) | instskip(NEXT) | instid1(VALU_DEP_1)
	v_min_u32_e32 v4, 32, v4
	v_sub_nc_u32_e64 v4, v4, 4 clamp
	s_delay_alu instid0(VALU_DEP_1) | instskip(NEXT) | instid1(VALU_DEP_1)
	v_dual_lshlrev_b32 v5, v4, v3 :: v_dual_lshlrev_b32 v4, 23, v4
	v_lshrrev_b32_e32 v5, 4, v5
	s_delay_alu instid0(VALU_DEP_1) | instskip(NEXT) | instid1(VALU_DEP_1)
	v_dual_sub_nc_u32 v4, v5, v4 :: v_dual_ashrrev_i32 v5, 8, v6
	v_add_nc_u32_e32 v4, 0x3c000000, v4
	s_delay_alu instid0(VALU_DEP_1) | instskip(NEXT) | instid1(VALU_DEP_1)
	v_and_or_b32 v4, 0x7f800000, v5, v4
	v_cndmask_b32_e32 v3, 0, v4, vcc_lo
	s_delay_alu instid0(VALU_DEP_1) | instskip(NEXT) | instid1(VALU_DEP_1)
	v_and_or_b32 v2, 0x80000000, v2, v3
	v_cvt_i32_f32_e32 v7, v2
.LBB22_1372:
	s_mov_b32 s27, 0
.LBB22_1373:
	s_delay_alu instid0(SALU_CYCLE_1)
	s_and_not1_b32 vcc_lo, exec_lo, s27
	s_cbranch_vccnz .LBB22_1375
; %bb.1374:
	global_load_u8 v2, v[0:1], off
	s_wait_loadcnt 0x0
	v_lshlrev_b32_e32 v3, 25, v2
	v_lshlrev_b16 v2, 8, v2
	s_delay_alu instid0(VALU_DEP_1) | instskip(SKIP_1) | instid1(VALU_DEP_2)
	v_and_or_b32 v5, 0x7f00, v2, 0.5
	v_bfe_i32 v2, v2, 0, 16
	v_dual_add_f32 v5, -0.5, v5 :: v_dual_lshrrev_b32 v4, 4, v3
	v_cmp_gt_u32_e32 vcc_lo, 0x8000000, v3
	s_delay_alu instid0(VALU_DEP_2) | instskip(NEXT) | instid1(VALU_DEP_1)
	v_or_b32_e32 v4, 0x70000000, v4
	v_mul_f32_e32 v4, 0x7800000, v4
	s_delay_alu instid0(VALU_DEP_1) | instskip(NEXT) | instid1(VALU_DEP_1)
	v_cndmask_b32_e32 v3, v4, v5, vcc_lo
	v_and_or_b32 v2, 0x80000000, v2, v3
	s_delay_alu instid0(VALU_DEP_1)
	v_cvt_i32_f32_e32 v7, v2
.LBB22_1375:
	s_mov_b32 s36, 0
	s_mov_b32 s27, -1
.LBB22_1376:
	s_and_not1_b32 vcc_lo, exec_lo, s36
	s_cbranch_vccnz .LBB22_1389
; %bb.1377:
	s_cmp_gt_i32 s1, 14
	s_cbranch_scc0 .LBB22_1380
; %bb.1378:
	s_cmp_eq_u32 s1, 15
	s_cbranch_scc0 .LBB22_1383
; %bb.1379:
	global_load_u16 v2, v[0:1], off
	s_mov_b32 s27, -1
	s_mov_b32 s79, 0
	s_wait_loadcnt 0x0
	v_lshlrev_b32_e32 v2, 16, v2
	s_delay_alu instid0(VALU_DEP_1)
	v_cvt_i32_f32_e32 v7, v2
	s_branch .LBB22_1384
.LBB22_1380:
	s_mov_b32 s36, -1
                                        ; implicit-def: $vgpr7
	s_branch .LBB22_1385
.LBB22_1381:
	s_and_not1_saveexec_b32 s27, s27
	s_cbranch_execz .LBB22_1362
.LBB22_1382:
	v_cmp_ne_u16_e32 vcc_lo, 0, v2
	s_and_not1_b32 s36, s36, exec_lo
	s_and_b32 s37, vcc_lo, exec_lo
	s_delay_alu instid0(SALU_CYCLE_1)
	s_or_b32 s36, s36, s37
	s_or_b32 exec_lo, exec_lo, s27
	v_mov_b32_e32 v7, 0
	s_and_saveexec_b32 s27, s36
	s_cbranch_execnz .LBB22_1363
	s_branch .LBB22_1364
.LBB22_1383:
	s_mov_b32 s79, -1
                                        ; implicit-def: $vgpr7
.LBB22_1384:
	s_mov_b32 s36, 0
.LBB22_1385:
	s_delay_alu instid0(SALU_CYCLE_1)
	s_and_b32 vcc_lo, exec_lo, s36
	s_cbranch_vccz .LBB22_1389
; %bb.1386:
	s_cmp_eq_u32 s1, 11
	s_cbranch_scc0 .LBB22_1388
; %bb.1387:
	global_load_u8 v2, v[0:1], off
	s_mov_b32 s79, 0
	s_mov_b32 s27, -1
	s_wait_loadcnt 0x0
	v_cmp_ne_u16_e32 vcc_lo, 0, v2
	v_cndmask_b32_e64 v7, 0, 1, vcc_lo
	s_branch .LBB22_1389
.LBB22_1388:
	s_mov_b32 s79, -1
                                        ; implicit-def: $vgpr7
.LBB22_1389:
	s_mov_b32 s1, 0
.LBB22_1390:
	s_delay_alu instid0(SALU_CYCLE_1)
	s_and_b32 vcc_lo, exec_lo, s1
	s_cbranch_vccz .LBB22_1439
; %bb.1391:
	s_and_b32 s0, 0xffff, s0
	s_delay_alu instid0(SALU_CYCLE_1)
	s_cmp_lt_i32 s0, 5
	s_cbranch_scc1 .LBB22_1396
; %bb.1392:
	s_cmp_lt_i32 s0, 8
	s_cbranch_scc1 .LBB22_1397
; %bb.1393:
	;; [unrolled: 3-line block ×3, first 2 shown]
	s_cmp_gt_i32 s0, 9
	s_cbranch_scc0 .LBB22_1399
; %bb.1395:
	global_load_b64 v[2:3], v[0:1], off
	s_mov_b32 s1, 0
	s_wait_loadcnt 0x0
	v_cvt_i32_f64_e32 v7, v[2:3]
	s_branch .LBB22_1400
.LBB22_1396:
	s_mov_b32 s1, -1
                                        ; implicit-def: $vgpr7
	s_branch .LBB22_1418
.LBB22_1397:
	s_mov_b32 s1, -1
                                        ; implicit-def: $vgpr7
	s_branch .LBB22_1406
.LBB22_1398:
	s_mov_b32 s1, -1
                                        ; implicit-def: $vgpr7
	s_branch .LBB22_1403
.LBB22_1399:
	s_mov_b32 s1, -1
                                        ; implicit-def: $vgpr7
.LBB22_1400:
	s_delay_alu instid0(SALU_CYCLE_1)
	s_and_not1_b32 vcc_lo, exec_lo, s1
	s_cbranch_vccnz .LBB22_1402
; %bb.1401:
	global_load_b32 v2, v[0:1], off
	s_wait_loadcnt 0x0
	v_cvt_i32_f32_e32 v7, v2
.LBB22_1402:
	s_mov_b32 s1, 0
.LBB22_1403:
	s_delay_alu instid0(SALU_CYCLE_1)
	s_and_not1_b32 vcc_lo, exec_lo, s1
	s_cbranch_vccnz .LBB22_1405
; %bb.1404:
	global_load_b32 v2, v[0:1], off
	s_wait_loadcnt 0x0
	v_cvt_f32_f16_e32 v2, v2
	s_delay_alu instid0(VALU_DEP_1)
	v_cvt_i32_f32_e32 v7, v2
.LBB22_1405:
	s_mov_b32 s1, 0
.LBB22_1406:
	s_delay_alu instid0(SALU_CYCLE_1)
	s_and_not1_b32 vcc_lo, exec_lo, s1
	s_cbranch_vccnz .LBB22_1417
; %bb.1407:
	s_cmp_lt_i32 s0, 6
	s_cbranch_scc1 .LBB22_1410
; %bb.1408:
	s_cmp_gt_i32 s0, 6
	s_cbranch_scc0 .LBB22_1411
; %bb.1409:
	global_load_b64 v[2:3], v[0:1], off
	s_mov_b32 s1, 0
	s_wait_loadcnt 0x0
	v_cvt_i32_f64_e32 v7, v[2:3]
	s_branch .LBB22_1412
.LBB22_1410:
	s_mov_b32 s1, -1
                                        ; implicit-def: $vgpr7
	s_branch .LBB22_1415
.LBB22_1411:
	s_mov_b32 s1, -1
                                        ; implicit-def: $vgpr7
.LBB22_1412:
	s_delay_alu instid0(SALU_CYCLE_1)
	s_and_not1_b32 vcc_lo, exec_lo, s1
	s_cbranch_vccnz .LBB22_1414
; %bb.1413:
	global_load_b32 v2, v[0:1], off
	s_wait_loadcnt 0x0
	v_cvt_i32_f32_e32 v7, v2
.LBB22_1414:
	s_mov_b32 s1, 0
.LBB22_1415:
	s_delay_alu instid0(SALU_CYCLE_1)
	s_and_not1_b32 vcc_lo, exec_lo, s1
	s_cbranch_vccnz .LBB22_1417
; %bb.1416:
	global_load_u16 v2, v[0:1], off
	s_wait_loadcnt 0x0
	v_cvt_f32_f16_e32 v2, v2
	s_delay_alu instid0(VALU_DEP_1)
	v_cvt_i32_f32_e32 v7, v2
.LBB22_1417:
	s_mov_b32 s1, 0
.LBB22_1418:
	s_delay_alu instid0(SALU_CYCLE_1)
	s_and_not1_b32 vcc_lo, exec_lo, s1
	s_cbranch_vccnz .LBB22_1438
; %bb.1419:
	s_cmp_lt_i32 s0, 2
	s_cbranch_scc1 .LBB22_1423
; %bb.1420:
	s_cmp_lt_i32 s0, 3
	s_cbranch_scc1 .LBB22_1424
; %bb.1421:
	s_cmp_gt_i32 s0, 3
	s_cbranch_scc0 .LBB22_1425
; %bb.1422:
	s_wait_loadcnt 0x0
	global_load_b32 v7, v[0:1], off
	s_mov_b32 s1, 0
	s_branch .LBB22_1426
.LBB22_1423:
	s_mov_b32 s1, -1
                                        ; implicit-def: $vgpr7
	s_branch .LBB22_1432
.LBB22_1424:
	s_mov_b32 s1, -1
                                        ; implicit-def: $vgpr7
	s_branch .LBB22_1429
.LBB22_1425:
	s_mov_b32 s1, -1
                                        ; implicit-def: $vgpr7
.LBB22_1426:
	s_delay_alu instid0(SALU_CYCLE_1)
	s_and_not1_b32 vcc_lo, exec_lo, s1
	s_cbranch_vccnz .LBB22_1428
; %bb.1427:
	s_wait_loadcnt 0x0
	global_load_b32 v7, v[0:1], off
.LBB22_1428:
	s_mov_b32 s1, 0
.LBB22_1429:
	s_delay_alu instid0(SALU_CYCLE_1)
	s_and_not1_b32 vcc_lo, exec_lo, s1
	s_cbranch_vccnz .LBB22_1431
; %bb.1430:
	s_wait_loadcnt 0x0
	global_load_i16 v7, v[0:1], off
.LBB22_1431:
	s_mov_b32 s1, 0
.LBB22_1432:
	s_delay_alu instid0(SALU_CYCLE_1)
	s_and_not1_b32 vcc_lo, exec_lo, s1
	s_cbranch_vccnz .LBB22_1438
; %bb.1433:
	s_cmp_gt_i32 s0, 0
	s_mov_b32 s0, 0
	s_cbranch_scc0 .LBB22_1435
; %bb.1434:
	s_wait_loadcnt 0x0
	global_load_i8 v7, v[0:1], off
	s_branch .LBB22_1436
.LBB22_1435:
	s_mov_b32 s0, -1
                                        ; implicit-def: $vgpr7
.LBB22_1436:
	s_delay_alu instid0(SALU_CYCLE_1)
	s_and_not1_b32 vcc_lo, exec_lo, s0
	s_cbranch_vccnz .LBB22_1438
; %bb.1437:
	s_wait_loadcnt 0x0
	global_load_u8 v7, v[0:1], off
.LBB22_1438:
	s_mov_b32 s27, -1
.LBB22_1439:
	s_delay_alu instid0(SALU_CYCLE_1)
	s_and_not1_b32 vcc_lo, exec_lo, s27
	s_cbranch_vccnz .LBB22_1447
; %bb.1440:
	s_wait_xcnt 0x0
	v_mul_lo_u32 v0, s21, v22
	s_and_b32 s0, s53, 0xff
	s_delay_alu instid0(SALU_CYCLE_1) | instskip(NEXT) | instid1(VALU_DEP_1)
	s_cmp_lt_i32 s0, 11
	v_ashrrev_i32_e32 v1, 31, v0
	s_delay_alu instid0(VALU_DEP_1)
	v_add_nc_u64_e32 v[0:1], s[6:7], v[0:1]
	s_cbranch_scc1 .LBB22_1448
; %bb.1441:
	s_and_b32 s1, 0xffff, s0
	s_delay_alu instid0(SALU_CYCLE_1)
	s_cmp_gt_i32 s1, 25
	s_cbranch_scc0 .LBB22_1449
; %bb.1442:
	s_cmp_gt_i32 s1, 28
	s_cbranch_scc0 .LBB22_1450
; %bb.1443:
	;; [unrolled: 3-line block ×4, first 2 shown]
	s_cmp_eq_u32 s1, 46
	s_mov_b32 s36, 0
	s_cbranch_scc0 .LBB22_1454
; %bb.1446:
	global_load_b32 v2, v[0:1], off
	s_mov_b32 s27, -1
	s_mov_b32 s80, 0
	s_wait_loadcnt 0x0
	v_lshlrev_b32_e32 v2, 16, v2
	s_delay_alu instid0(VALU_DEP_1)
	v_cvt_i32_f32_e32 v8, v2
	s_branch .LBB22_1456
.LBB22_1447:
	s_mov_b32 s0, 0
	s_mov_b32 s1, s74
	;; [unrolled: 1-line block ×10, first 2 shown]
	s_branch .LBB22_2045
.LBB22_1448:
	s_mov_b32 s1, -1
	s_mov_b32 s27, 0
	s_mov_b32 s80, s69
                                        ; implicit-def: $vgpr8
	s_branch .LBB22_1517
.LBB22_1449:
	s_mov_b32 s36, -1
	s_mov_b32 s27, 0
	s_mov_b32 s80, s69
                                        ; implicit-def: $vgpr8
	s_branch .LBB22_1483
.LBB22_1450:
	s_mov_b32 s36, -1
	s_mov_b32 s27, 0
	s_mov_b32 s80, s69
                                        ; implicit-def: $vgpr8
	s_branch .LBB22_1466
.LBB22_1451:
	s_mov_b32 s36, -1
	s_mov_b32 s27, 0
	s_mov_b32 s80, s69
                                        ; implicit-def: $vgpr8
	s_branch .LBB22_1461
.LBB22_1452:
	s_mov_b32 s36, -1
	s_mov_b32 s27, 0
	s_mov_b32 s80, s69
	s_branch .LBB22_1455
.LBB22_1453:
	s_mov_b32 s37, -1
	s_mov_b32 s38, 0
	s_mov_b32 s27, s54
	s_branch .LBB22_3547
.LBB22_1454:
	s_mov_b32 s27, 0
.LBB22_1455:
                                        ; implicit-def: $vgpr8
.LBB22_1456:
	s_and_b32 vcc_lo, exec_lo, s36
	s_cbranch_vccz .LBB22_1460
; %bb.1457:
	s_cmp_eq_u32 s1, 44
	s_cbranch_scc0 .LBB22_1459
; %bb.1458:
	global_load_u8 v2, v[0:1], off
	s_mov_b32 s80, 0
	s_mov_b32 s27, -1
	s_wait_loadcnt 0x0
	v_lshlrev_b32_e32 v3, 23, v2
	v_cmp_ne_u32_e32 vcc_lo, 0, v2
	s_delay_alu instid0(VALU_DEP_2) | instskip(NEXT) | instid1(VALU_DEP_1)
	v_cvt_i32_f32_e32 v3, v3
	v_cndmask_b32_e32 v8, 0, v3, vcc_lo
	s_branch .LBB22_1460
.LBB22_1459:
	s_mov_b32 s80, -1
                                        ; implicit-def: $vgpr8
.LBB22_1460:
	s_mov_b32 s36, 0
.LBB22_1461:
	s_delay_alu instid0(SALU_CYCLE_1)
	s_and_b32 vcc_lo, exec_lo, s36
	s_cbranch_vccz .LBB22_1465
; %bb.1462:
	s_cmp_eq_u32 s1, 29
	s_cbranch_scc0 .LBB22_1464
; %bb.1463:
	global_load_b32 v8, v[0:1], off
	s_mov_b32 s27, -1
	s_mov_b32 s80, 0
	s_branch .LBB22_1465
.LBB22_1464:
	s_mov_b32 s80, -1
                                        ; implicit-def: $vgpr8
.LBB22_1465:
	s_mov_b32 s36, 0
.LBB22_1466:
	s_delay_alu instid0(SALU_CYCLE_1)
	s_and_b32 vcc_lo, exec_lo, s36
	s_cbranch_vccz .LBB22_1482
; %bb.1467:
	s_cmp_lt_i32 s1, 27
	s_cbranch_scc1 .LBB22_1470
; %bb.1468:
	s_cmp_gt_i32 s1, 27
	s_cbranch_scc0 .LBB22_1471
; %bb.1469:
	s_wait_loadcnt 0x0
	global_load_b32 v8, v[0:1], off
	s_mov_b32 s27, 0
	s_branch .LBB22_1472
.LBB22_1470:
	s_mov_b32 s27, -1
                                        ; implicit-def: $vgpr8
	s_branch .LBB22_1475
.LBB22_1471:
	s_mov_b32 s27, -1
                                        ; implicit-def: $vgpr8
.LBB22_1472:
	s_delay_alu instid0(SALU_CYCLE_1)
	s_and_not1_b32 vcc_lo, exec_lo, s27
	s_cbranch_vccnz .LBB22_1474
; %bb.1473:
	s_wait_loadcnt 0x0
	global_load_u16 v8, v[0:1], off
.LBB22_1474:
	s_mov_b32 s27, 0
.LBB22_1475:
	s_delay_alu instid0(SALU_CYCLE_1)
	s_and_not1_b32 vcc_lo, exec_lo, s27
	s_cbranch_vccnz .LBB22_1481
; %bb.1476:
	global_load_u8 v2, v[0:1], off
	s_mov_b32 s36, 0
	s_mov_b32 s27, exec_lo
	s_wait_loadcnt 0x0
	v_cmpx_lt_i16_e32 0x7f, v2
	s_xor_b32 s27, exec_lo, s27
	s_cbranch_execz .LBB22_1493
; %bb.1477:
	v_cmp_ne_u16_e32 vcc_lo, 0x80, v2
	s_and_b32 s36, vcc_lo, exec_lo
	s_and_not1_saveexec_b32 s27, s27
	s_cbranch_execnz .LBB22_1494
.LBB22_1478:
	s_or_b32 exec_lo, exec_lo, s27
	v_mov_b32_e32 v8, 0
	s_and_saveexec_b32 s27, s36
	s_cbranch_execz .LBB22_1480
.LBB22_1479:
	v_and_b32_e32 v3, 0xffff, v2
	s_delay_alu instid0(VALU_DEP_1) | instskip(SKIP_1) | instid1(VALU_DEP_2)
	v_and_b32_e32 v4, 7, v3
	v_bfe_u32 v8, v3, 3, 4
	v_clz_i32_u32_e32 v5, v4
	s_delay_alu instid0(VALU_DEP_2) | instskip(NEXT) | instid1(VALU_DEP_2)
	v_cmp_eq_u32_e32 vcc_lo, 0, v8
	v_min_u32_e32 v5, 32, v5
	s_delay_alu instid0(VALU_DEP_1) | instskip(NEXT) | instid1(VALU_DEP_1)
	v_subrev_nc_u32_e32 v6, 28, v5
	v_dual_lshlrev_b32 v3, v6, v3 :: v_dual_sub_nc_u32 v5, 29, v5
	s_delay_alu instid0(VALU_DEP_1) | instskip(NEXT) | instid1(VALU_DEP_2)
	v_dual_lshlrev_b32 v2, 24, v2 :: v_dual_bitop2_b32 v3, 7, v3 bitop3:0x40
	v_cndmask_b32_e32 v5, v8, v5, vcc_lo
	s_delay_alu instid0(VALU_DEP_2) | instskip(NEXT) | instid1(VALU_DEP_3)
	v_cndmask_b32_e32 v3, v4, v3, vcc_lo
	v_and_b32_e32 v2, 0x80000000, v2
	s_delay_alu instid0(VALU_DEP_3) | instskip(NEXT) | instid1(VALU_DEP_3)
	v_lshl_add_u32 v4, v5, 23, 0x3b800000
	v_lshlrev_b32_e32 v3, 20, v3
	s_delay_alu instid0(VALU_DEP_1) | instskip(NEXT) | instid1(VALU_DEP_1)
	v_or3_b32 v2, v2, v4, v3
	v_cvt_i32_f32_e32 v8, v2
.LBB22_1480:
	s_or_b32 exec_lo, exec_lo, s27
.LBB22_1481:
	s_mov_b32 s27, -1
.LBB22_1482:
	s_mov_b32 s36, 0
.LBB22_1483:
	s_delay_alu instid0(SALU_CYCLE_1)
	s_and_b32 vcc_lo, exec_lo, s36
	s_cbranch_vccz .LBB22_1516
; %bb.1484:
	s_cmp_gt_i32 s1, 22
	s_cbranch_scc0 .LBB22_1492
; %bb.1485:
	s_cmp_lt_i32 s1, 24
	s_cbranch_scc1 .LBB22_1495
; %bb.1486:
	s_cmp_gt_i32 s1, 24
	s_cbranch_scc0 .LBB22_1496
; %bb.1487:
	global_load_u8 v2, v[0:1], off
	s_mov_b32 s36, 0
	s_mov_b32 s27, exec_lo
	s_wait_loadcnt 0x0
	v_cmpx_lt_i16_e32 0x7f, v2
	s_xor_b32 s27, exec_lo, s27
	s_cbranch_execz .LBB22_1508
; %bb.1488:
	v_cmp_ne_u16_e32 vcc_lo, 0x80, v2
	s_and_b32 s36, vcc_lo, exec_lo
	s_and_not1_saveexec_b32 s27, s27
	s_cbranch_execnz .LBB22_1509
.LBB22_1489:
	s_or_b32 exec_lo, exec_lo, s27
	v_mov_b32_e32 v8, 0
	s_and_saveexec_b32 s27, s36
	s_cbranch_execz .LBB22_1491
.LBB22_1490:
	v_and_b32_e32 v3, 0xffff, v2
	s_delay_alu instid0(VALU_DEP_1) | instskip(SKIP_1) | instid1(VALU_DEP_2)
	v_and_b32_e32 v4, 3, v3
	v_bfe_u32 v8, v3, 2, 5
	v_clz_i32_u32_e32 v5, v4
	s_delay_alu instid0(VALU_DEP_2) | instskip(NEXT) | instid1(VALU_DEP_2)
	v_cmp_eq_u32_e32 vcc_lo, 0, v8
	v_min_u32_e32 v5, 32, v5
	s_delay_alu instid0(VALU_DEP_1) | instskip(NEXT) | instid1(VALU_DEP_1)
	v_subrev_nc_u32_e32 v6, 29, v5
	v_dual_lshlrev_b32 v3, v6, v3 :: v_dual_sub_nc_u32 v5, 30, v5
	s_delay_alu instid0(VALU_DEP_1) | instskip(NEXT) | instid1(VALU_DEP_2)
	v_dual_lshlrev_b32 v2, 24, v2 :: v_dual_bitop2_b32 v3, 3, v3 bitop3:0x40
	v_cndmask_b32_e32 v5, v8, v5, vcc_lo
	s_delay_alu instid0(VALU_DEP_2) | instskip(NEXT) | instid1(VALU_DEP_3)
	v_cndmask_b32_e32 v3, v4, v3, vcc_lo
	v_and_b32_e32 v2, 0x80000000, v2
	s_delay_alu instid0(VALU_DEP_3) | instskip(NEXT) | instid1(VALU_DEP_3)
	v_lshl_add_u32 v4, v5, 23, 0x37800000
	v_lshlrev_b32_e32 v3, 21, v3
	s_delay_alu instid0(VALU_DEP_1) | instskip(NEXT) | instid1(VALU_DEP_1)
	v_or3_b32 v2, v2, v4, v3
	v_cvt_i32_f32_e32 v8, v2
.LBB22_1491:
	s_or_b32 exec_lo, exec_lo, s27
	s_mov_b32 s27, 0
	s_branch .LBB22_1497
.LBB22_1492:
	s_mov_b32 s36, -1
                                        ; implicit-def: $vgpr8
	s_branch .LBB22_1503
.LBB22_1493:
	s_and_not1_saveexec_b32 s27, s27
	s_cbranch_execz .LBB22_1478
.LBB22_1494:
	v_cmp_ne_u16_e32 vcc_lo, 0, v2
	s_and_not1_b32 s36, s36, exec_lo
	s_and_b32 s37, vcc_lo, exec_lo
	s_delay_alu instid0(SALU_CYCLE_1)
	s_or_b32 s36, s36, s37
	s_or_b32 exec_lo, exec_lo, s27
	v_mov_b32_e32 v8, 0
	s_and_saveexec_b32 s27, s36
	s_cbranch_execnz .LBB22_1479
	s_branch .LBB22_1480
.LBB22_1495:
	s_mov_b32 s27, -1
                                        ; implicit-def: $vgpr8
	s_branch .LBB22_1500
.LBB22_1496:
	s_mov_b32 s27, -1
                                        ; implicit-def: $vgpr8
.LBB22_1497:
	s_delay_alu instid0(SALU_CYCLE_1)
	s_and_b32 vcc_lo, exec_lo, s27
	s_cbranch_vccz .LBB22_1499
; %bb.1498:
	global_load_u8 v2, v[0:1], off
	s_wait_loadcnt 0x0
	v_lshlrev_b32_e32 v2, 24, v2
	s_delay_alu instid0(VALU_DEP_1) | instskip(NEXT) | instid1(VALU_DEP_1)
	v_and_b32_e32 v3, 0x7f000000, v2
	v_clz_i32_u32_e32 v4, v3
	v_cmp_ne_u32_e32 vcc_lo, 0, v3
	v_add_nc_u32_e32 v6, 0x1000000, v3
	s_delay_alu instid0(VALU_DEP_3) | instskip(NEXT) | instid1(VALU_DEP_1)
	v_min_u32_e32 v4, 32, v4
	v_sub_nc_u32_e64 v4, v4, 4 clamp
	s_delay_alu instid0(VALU_DEP_1) | instskip(NEXT) | instid1(VALU_DEP_1)
	v_dual_lshlrev_b32 v5, v4, v3 :: v_dual_lshlrev_b32 v4, 23, v4
	v_lshrrev_b32_e32 v5, 4, v5
	s_delay_alu instid0(VALU_DEP_1) | instskip(NEXT) | instid1(VALU_DEP_1)
	v_dual_sub_nc_u32 v4, v5, v4 :: v_dual_ashrrev_i32 v5, 8, v6
	v_add_nc_u32_e32 v4, 0x3c000000, v4
	s_delay_alu instid0(VALU_DEP_1) | instskip(NEXT) | instid1(VALU_DEP_1)
	v_and_or_b32 v4, 0x7f800000, v5, v4
	v_cndmask_b32_e32 v3, 0, v4, vcc_lo
	s_delay_alu instid0(VALU_DEP_1) | instskip(NEXT) | instid1(VALU_DEP_1)
	v_and_or_b32 v2, 0x80000000, v2, v3
	v_cvt_i32_f32_e32 v8, v2
.LBB22_1499:
	s_mov_b32 s27, 0
.LBB22_1500:
	s_delay_alu instid0(SALU_CYCLE_1)
	s_and_not1_b32 vcc_lo, exec_lo, s27
	s_cbranch_vccnz .LBB22_1502
; %bb.1501:
	global_load_u8 v2, v[0:1], off
	s_wait_loadcnt 0x0
	v_lshlrev_b32_e32 v3, 25, v2
	v_lshlrev_b16 v2, 8, v2
	s_delay_alu instid0(VALU_DEP_1) | instskip(SKIP_1) | instid1(VALU_DEP_2)
	v_and_or_b32 v5, 0x7f00, v2, 0.5
	v_bfe_i32 v2, v2, 0, 16
	v_dual_add_f32 v5, -0.5, v5 :: v_dual_lshrrev_b32 v4, 4, v3
	v_cmp_gt_u32_e32 vcc_lo, 0x8000000, v3
	s_delay_alu instid0(VALU_DEP_2) | instskip(NEXT) | instid1(VALU_DEP_1)
	v_or_b32_e32 v4, 0x70000000, v4
	v_mul_f32_e32 v4, 0x7800000, v4
	s_delay_alu instid0(VALU_DEP_1) | instskip(NEXT) | instid1(VALU_DEP_1)
	v_cndmask_b32_e32 v3, v4, v5, vcc_lo
	v_and_or_b32 v2, 0x80000000, v2, v3
	s_delay_alu instid0(VALU_DEP_1)
	v_cvt_i32_f32_e32 v8, v2
.LBB22_1502:
	s_mov_b32 s36, 0
	s_mov_b32 s27, -1
.LBB22_1503:
	s_and_not1_b32 vcc_lo, exec_lo, s36
	s_cbranch_vccnz .LBB22_1516
; %bb.1504:
	s_cmp_gt_i32 s1, 14
	s_cbranch_scc0 .LBB22_1507
; %bb.1505:
	s_cmp_eq_u32 s1, 15
	s_cbranch_scc0 .LBB22_1510
; %bb.1506:
	global_load_u16 v2, v[0:1], off
	s_mov_b32 s27, -1
	s_mov_b32 s80, 0
	s_wait_loadcnt 0x0
	v_lshlrev_b32_e32 v2, 16, v2
	s_delay_alu instid0(VALU_DEP_1)
	v_cvt_i32_f32_e32 v8, v2
	s_branch .LBB22_1511
.LBB22_1507:
	s_mov_b32 s36, -1
                                        ; implicit-def: $vgpr8
	s_branch .LBB22_1512
.LBB22_1508:
	s_and_not1_saveexec_b32 s27, s27
	s_cbranch_execz .LBB22_1489
.LBB22_1509:
	v_cmp_ne_u16_e32 vcc_lo, 0, v2
	s_and_not1_b32 s36, s36, exec_lo
	s_and_b32 s37, vcc_lo, exec_lo
	s_delay_alu instid0(SALU_CYCLE_1)
	s_or_b32 s36, s36, s37
	s_or_b32 exec_lo, exec_lo, s27
	v_mov_b32_e32 v8, 0
	s_and_saveexec_b32 s27, s36
	s_cbranch_execnz .LBB22_1490
	s_branch .LBB22_1491
.LBB22_1510:
	s_mov_b32 s80, -1
                                        ; implicit-def: $vgpr8
.LBB22_1511:
	s_mov_b32 s36, 0
.LBB22_1512:
	s_delay_alu instid0(SALU_CYCLE_1)
	s_and_b32 vcc_lo, exec_lo, s36
	s_cbranch_vccz .LBB22_1516
; %bb.1513:
	s_cmp_eq_u32 s1, 11
	s_cbranch_scc0 .LBB22_1515
; %bb.1514:
	global_load_u8 v2, v[0:1], off
	s_mov_b32 s80, 0
	s_mov_b32 s27, -1
	s_wait_loadcnt 0x0
	v_cmp_ne_u16_e32 vcc_lo, 0, v2
	v_cndmask_b32_e64 v8, 0, 1, vcc_lo
	s_branch .LBB22_1516
.LBB22_1515:
	s_mov_b32 s80, -1
                                        ; implicit-def: $vgpr8
.LBB22_1516:
	s_mov_b32 s1, 0
.LBB22_1517:
	s_delay_alu instid0(SALU_CYCLE_1)
	s_and_b32 vcc_lo, exec_lo, s1
	s_cbranch_vccz .LBB22_1566
; %bb.1518:
	s_and_b32 s0, 0xffff, s0
	s_delay_alu instid0(SALU_CYCLE_1)
	s_cmp_lt_i32 s0, 5
	s_cbranch_scc1 .LBB22_1523
; %bb.1519:
	s_cmp_lt_i32 s0, 8
	s_cbranch_scc1 .LBB22_1524
; %bb.1520:
	;; [unrolled: 3-line block ×3, first 2 shown]
	s_cmp_gt_i32 s0, 9
	s_cbranch_scc0 .LBB22_1526
; %bb.1522:
	global_load_b64 v[2:3], v[0:1], off
	s_mov_b32 s1, 0
	s_wait_loadcnt 0x0
	v_cvt_i32_f64_e32 v8, v[2:3]
	s_branch .LBB22_1527
.LBB22_1523:
	s_mov_b32 s1, -1
                                        ; implicit-def: $vgpr8
	s_branch .LBB22_1545
.LBB22_1524:
	s_mov_b32 s1, -1
                                        ; implicit-def: $vgpr8
	s_branch .LBB22_1533
.LBB22_1525:
	s_mov_b32 s1, -1
                                        ; implicit-def: $vgpr8
	s_branch .LBB22_1530
.LBB22_1526:
	s_mov_b32 s1, -1
                                        ; implicit-def: $vgpr8
.LBB22_1527:
	s_delay_alu instid0(SALU_CYCLE_1)
	s_and_not1_b32 vcc_lo, exec_lo, s1
	s_cbranch_vccnz .LBB22_1529
; %bb.1528:
	global_load_b32 v2, v[0:1], off
	s_wait_loadcnt 0x0
	v_cvt_i32_f32_e32 v8, v2
.LBB22_1529:
	s_mov_b32 s1, 0
.LBB22_1530:
	s_delay_alu instid0(SALU_CYCLE_1)
	s_and_not1_b32 vcc_lo, exec_lo, s1
	s_cbranch_vccnz .LBB22_1532
; %bb.1531:
	global_load_b32 v2, v[0:1], off
	s_wait_loadcnt 0x0
	v_cvt_f32_f16_e32 v2, v2
	s_delay_alu instid0(VALU_DEP_1)
	v_cvt_i32_f32_e32 v8, v2
.LBB22_1532:
	s_mov_b32 s1, 0
.LBB22_1533:
	s_delay_alu instid0(SALU_CYCLE_1)
	s_and_not1_b32 vcc_lo, exec_lo, s1
	s_cbranch_vccnz .LBB22_1544
; %bb.1534:
	s_cmp_lt_i32 s0, 6
	s_cbranch_scc1 .LBB22_1537
; %bb.1535:
	s_cmp_gt_i32 s0, 6
	s_cbranch_scc0 .LBB22_1538
; %bb.1536:
	global_load_b64 v[2:3], v[0:1], off
	s_mov_b32 s1, 0
	s_wait_loadcnt 0x0
	v_cvt_i32_f64_e32 v8, v[2:3]
	s_branch .LBB22_1539
.LBB22_1537:
	s_mov_b32 s1, -1
                                        ; implicit-def: $vgpr8
	s_branch .LBB22_1542
.LBB22_1538:
	s_mov_b32 s1, -1
                                        ; implicit-def: $vgpr8
.LBB22_1539:
	s_delay_alu instid0(SALU_CYCLE_1)
	s_and_not1_b32 vcc_lo, exec_lo, s1
	s_cbranch_vccnz .LBB22_1541
; %bb.1540:
	global_load_b32 v2, v[0:1], off
	s_wait_loadcnt 0x0
	v_cvt_i32_f32_e32 v8, v2
.LBB22_1541:
	s_mov_b32 s1, 0
.LBB22_1542:
	s_delay_alu instid0(SALU_CYCLE_1)
	s_and_not1_b32 vcc_lo, exec_lo, s1
	s_cbranch_vccnz .LBB22_1544
; %bb.1543:
	global_load_u16 v2, v[0:1], off
	s_wait_loadcnt 0x0
	v_cvt_f32_f16_e32 v2, v2
	s_delay_alu instid0(VALU_DEP_1)
	v_cvt_i32_f32_e32 v8, v2
.LBB22_1544:
	s_mov_b32 s1, 0
.LBB22_1545:
	s_delay_alu instid0(SALU_CYCLE_1)
	s_and_not1_b32 vcc_lo, exec_lo, s1
	s_cbranch_vccnz .LBB22_1565
; %bb.1546:
	s_cmp_lt_i32 s0, 2
	s_cbranch_scc1 .LBB22_1550
; %bb.1547:
	s_cmp_lt_i32 s0, 3
	s_cbranch_scc1 .LBB22_1551
; %bb.1548:
	s_cmp_gt_i32 s0, 3
	s_cbranch_scc0 .LBB22_1552
; %bb.1549:
	s_wait_loadcnt 0x0
	global_load_b32 v8, v[0:1], off
	s_mov_b32 s1, 0
	s_branch .LBB22_1553
.LBB22_1550:
	s_mov_b32 s1, -1
                                        ; implicit-def: $vgpr8
	s_branch .LBB22_1559
.LBB22_1551:
	s_mov_b32 s1, -1
                                        ; implicit-def: $vgpr8
	s_branch .LBB22_1556
.LBB22_1552:
	s_mov_b32 s1, -1
                                        ; implicit-def: $vgpr8
.LBB22_1553:
	s_delay_alu instid0(SALU_CYCLE_1)
	s_and_not1_b32 vcc_lo, exec_lo, s1
	s_cbranch_vccnz .LBB22_1555
; %bb.1554:
	s_wait_loadcnt 0x0
	global_load_b32 v8, v[0:1], off
.LBB22_1555:
	s_mov_b32 s1, 0
.LBB22_1556:
	s_delay_alu instid0(SALU_CYCLE_1)
	s_and_not1_b32 vcc_lo, exec_lo, s1
	s_cbranch_vccnz .LBB22_1558
; %bb.1557:
	s_wait_loadcnt 0x0
	global_load_i16 v8, v[0:1], off
.LBB22_1558:
	s_mov_b32 s1, 0
.LBB22_1559:
	s_delay_alu instid0(SALU_CYCLE_1)
	s_and_not1_b32 vcc_lo, exec_lo, s1
	s_cbranch_vccnz .LBB22_1565
; %bb.1560:
	s_cmp_gt_i32 s0, 0
	s_mov_b32 s0, 0
	s_cbranch_scc0 .LBB22_1562
; %bb.1561:
	s_wait_loadcnt 0x0
	global_load_i8 v8, v[0:1], off
	s_branch .LBB22_1563
.LBB22_1562:
	s_mov_b32 s0, -1
                                        ; implicit-def: $vgpr8
.LBB22_1563:
	s_delay_alu instid0(SALU_CYCLE_1)
	s_and_not1_b32 vcc_lo, exec_lo, s0
	s_cbranch_vccnz .LBB22_1565
; %bb.1564:
	s_wait_loadcnt 0x0
	global_load_u8 v8, v[0:1], off
.LBB22_1565:
	s_mov_b32 s27, -1
.LBB22_1566:
	s_delay_alu instid0(SALU_CYCLE_1)
	s_and_not1_b32 vcc_lo, exec_lo, s27
	s_cbranch_vccnz .LBB22_1574
; %bb.1567:
	s_wait_xcnt 0x0
	v_mul_lo_u32 v0, s22, v22
	s_and_b32 s0, s34, 0xff
	s_delay_alu instid0(SALU_CYCLE_1) | instskip(NEXT) | instid1(VALU_DEP_1)
	s_cmp_lt_i32 s0, 11
	v_ashrrev_i32_e32 v1, 31, v0
	s_delay_alu instid0(VALU_DEP_1)
	v_add_nc_u64_e32 v[2:3], s[8:9], v[0:1]
	s_cbranch_scc1 .LBB22_1575
; %bb.1568:
	s_and_b32 s1, 0xffff, s0
	s_delay_alu instid0(SALU_CYCLE_1)
	s_cmp_gt_i32 s1, 25
	s_cbranch_scc0 .LBB22_1576
; %bb.1569:
	s_cmp_gt_i32 s1, 28
	s_cbranch_scc0 .LBB22_1577
; %bb.1570:
	;; [unrolled: 3-line block ×4, first 2 shown]
	s_cmp_eq_u32 s1, 46
	s_mov_b32 s36, 0
	s_cbranch_scc0 .LBB22_1581
; %bb.1573:
	global_load_b32 v0, v[2:3], off
	s_mov_b32 s27, -1
	s_mov_b32 s81, 0
	s_wait_loadcnt 0x0
	v_lshlrev_b32_e32 v0, 16, v0
	s_delay_alu instid0(VALU_DEP_1)
	v_cvt_i32_f32_e32 v0, v0
	s_branch .LBB22_1583
.LBB22_1574:
	s_mov_b32 s0, 0
	s_mov_b32 s1, s74
	;; [unrolled: 1-line block ×9, first 2 shown]
	s_branch .LBB22_2045
.LBB22_1575:
	s_mov_b32 s1, -1
	s_mov_b32 s27, 0
	s_mov_b32 s81, s68
                                        ; implicit-def: $vgpr0
	s_branch .LBB22_1644
.LBB22_1576:
	s_mov_b32 s36, -1
	s_mov_b32 s27, 0
	s_mov_b32 s81, s68
                                        ; implicit-def: $vgpr0
	s_branch .LBB22_1610
.LBB22_1577:
	s_mov_b32 s36, -1
	s_mov_b32 s27, 0
	s_mov_b32 s81, s68
                                        ; implicit-def: $vgpr0
	s_branch .LBB22_1593
.LBB22_1578:
	s_mov_b32 s36, -1
	s_mov_b32 s27, 0
	s_mov_b32 s81, s68
                                        ; implicit-def: $vgpr0
	s_branch .LBB22_1588
.LBB22_1579:
	s_mov_b32 s36, -1
	s_mov_b32 s27, 0
	s_mov_b32 s81, s68
	s_branch .LBB22_1582
.LBB22_1580:
	s_mov_b32 s39, -1
	s_mov_b32 s38, 0
	s_mov_b32 s27, s54
	s_branch .LBB22_3527
.LBB22_1581:
	s_mov_b32 s81, -1
	s_mov_b32 s27, 0
.LBB22_1582:
                                        ; implicit-def: $vgpr0
.LBB22_1583:
	s_and_b32 vcc_lo, exec_lo, s36
	s_cbranch_vccz .LBB22_1587
; %bb.1584:
	s_cmp_eq_u32 s1, 44
	s_cbranch_scc0 .LBB22_1586
; %bb.1585:
	global_load_u8 v0, v[2:3], off
	s_mov_b32 s81, 0
	s_mov_b32 s27, -1
	s_wait_loadcnt 0x0
	v_lshlrev_b32_e32 v1, 23, v0
	v_cmp_ne_u32_e32 vcc_lo, 0, v0
	s_delay_alu instid0(VALU_DEP_2) | instskip(NEXT) | instid1(VALU_DEP_1)
	v_cvt_i32_f32_e32 v1, v1
	v_cndmask_b32_e32 v0, 0, v1, vcc_lo
	s_branch .LBB22_1587
.LBB22_1586:
	s_mov_b32 s81, -1
                                        ; implicit-def: $vgpr0
.LBB22_1587:
	s_mov_b32 s36, 0
.LBB22_1588:
	s_delay_alu instid0(SALU_CYCLE_1)
	s_and_b32 vcc_lo, exec_lo, s36
	s_cbranch_vccz .LBB22_1592
; %bb.1589:
	s_cmp_eq_u32 s1, 29
	s_cbranch_scc0 .LBB22_1591
; %bb.1590:
	global_load_b32 v0, v[2:3], off
	s_mov_b32 s27, -1
	s_mov_b32 s81, 0
	s_branch .LBB22_1592
.LBB22_1591:
	s_mov_b32 s81, -1
                                        ; implicit-def: $vgpr0
.LBB22_1592:
	s_mov_b32 s36, 0
.LBB22_1593:
	s_delay_alu instid0(SALU_CYCLE_1)
	s_and_b32 vcc_lo, exec_lo, s36
	s_cbranch_vccz .LBB22_1609
; %bb.1594:
	s_cmp_lt_i32 s1, 27
	s_cbranch_scc1 .LBB22_1597
; %bb.1595:
	s_cmp_gt_i32 s1, 27
	s_cbranch_scc0 .LBB22_1598
; %bb.1596:
	s_wait_loadcnt 0x0
	global_load_b32 v0, v[2:3], off
	s_mov_b32 s27, 0
	s_branch .LBB22_1599
.LBB22_1597:
	s_mov_b32 s27, -1
                                        ; implicit-def: $vgpr0
	s_branch .LBB22_1602
.LBB22_1598:
	s_mov_b32 s27, -1
                                        ; implicit-def: $vgpr0
.LBB22_1599:
	s_delay_alu instid0(SALU_CYCLE_1)
	s_and_not1_b32 vcc_lo, exec_lo, s27
	s_cbranch_vccnz .LBB22_1601
; %bb.1600:
	s_wait_loadcnt 0x0
	global_load_u16 v0, v[2:3], off
.LBB22_1601:
	s_mov_b32 s27, 0
.LBB22_1602:
	s_delay_alu instid0(SALU_CYCLE_1)
	s_and_not1_b32 vcc_lo, exec_lo, s27
	s_cbranch_vccnz .LBB22_1608
; %bb.1603:
	global_load_u8 v1, v[2:3], off
	s_mov_b32 s36, 0
	s_mov_b32 s27, exec_lo
	s_wait_loadcnt 0x0
	v_cmpx_lt_i16_e32 0x7f, v1
	s_xor_b32 s27, exec_lo, s27
	s_cbranch_execz .LBB22_1620
; %bb.1604:
	v_cmp_ne_u16_e32 vcc_lo, 0x80, v1
	s_and_b32 s36, vcc_lo, exec_lo
	s_and_not1_saveexec_b32 s27, s27
	s_cbranch_execnz .LBB22_1621
.LBB22_1605:
	s_or_b32 exec_lo, exec_lo, s27
	v_mov_b32_e32 v0, 0
	s_and_saveexec_b32 s27, s36
	s_cbranch_execz .LBB22_1607
.LBB22_1606:
	v_and_b32_e32 v0, 0xffff, v1
	s_delay_alu instid0(VALU_DEP_1) | instskip(SKIP_1) | instid1(VALU_DEP_2)
	v_and_b32_e32 v4, 7, v0
	v_bfe_u32 v9, v0, 3, 4
	v_clz_i32_u32_e32 v5, v4
	s_delay_alu instid0(VALU_DEP_2) | instskip(NEXT) | instid1(VALU_DEP_2)
	v_cmp_eq_u32_e32 vcc_lo, 0, v9
	v_min_u32_e32 v5, 32, v5
	s_delay_alu instid0(VALU_DEP_1) | instskip(NEXT) | instid1(VALU_DEP_1)
	v_subrev_nc_u32_e32 v6, 28, v5
	v_dual_lshlrev_b32 v0, v6, v0 :: v_dual_sub_nc_u32 v5, 29, v5
	s_delay_alu instid0(VALU_DEP_1) | instskip(NEXT) | instid1(VALU_DEP_1)
	v_dual_lshlrev_b32 v1, 24, v1 :: v_dual_bitop2_b32 v0, 7, v0 bitop3:0x40
	v_dual_cndmask_b32 v0, v4, v0 :: v_dual_cndmask_b32 v5, v9, v5
	s_delay_alu instid0(VALU_DEP_2) | instskip(NEXT) | instid1(VALU_DEP_2)
	v_and_b32_e32 v1, 0x80000000, v1
	v_lshlrev_b32_e32 v0, 20, v0
	s_delay_alu instid0(VALU_DEP_3) | instskip(NEXT) | instid1(VALU_DEP_1)
	v_lshl_add_u32 v4, v5, 23, 0x3b800000
	v_or3_b32 v0, v1, v4, v0
	s_delay_alu instid0(VALU_DEP_1)
	v_cvt_i32_f32_e32 v0, v0
.LBB22_1607:
	s_or_b32 exec_lo, exec_lo, s27
.LBB22_1608:
	s_mov_b32 s27, -1
.LBB22_1609:
	s_mov_b32 s36, 0
.LBB22_1610:
	s_delay_alu instid0(SALU_CYCLE_1)
	s_and_b32 vcc_lo, exec_lo, s36
	s_cbranch_vccz .LBB22_1643
; %bb.1611:
	s_cmp_gt_i32 s1, 22
	s_cbranch_scc0 .LBB22_1619
; %bb.1612:
	s_cmp_lt_i32 s1, 24
	s_cbranch_scc1 .LBB22_1622
; %bb.1613:
	s_cmp_gt_i32 s1, 24
	s_cbranch_scc0 .LBB22_1623
; %bb.1614:
	global_load_u8 v1, v[2:3], off
	s_mov_b32 s36, 0
	s_mov_b32 s27, exec_lo
	s_wait_loadcnt 0x0
	v_cmpx_lt_i16_e32 0x7f, v1
	s_xor_b32 s27, exec_lo, s27
	s_cbranch_execz .LBB22_1635
; %bb.1615:
	v_cmp_ne_u16_e32 vcc_lo, 0x80, v1
	s_and_b32 s36, vcc_lo, exec_lo
	s_and_not1_saveexec_b32 s27, s27
	s_cbranch_execnz .LBB22_1636
.LBB22_1616:
	s_or_b32 exec_lo, exec_lo, s27
	v_mov_b32_e32 v0, 0
	s_and_saveexec_b32 s27, s36
	s_cbranch_execz .LBB22_1618
.LBB22_1617:
	v_and_b32_e32 v0, 0xffff, v1
	s_delay_alu instid0(VALU_DEP_1) | instskip(SKIP_1) | instid1(VALU_DEP_2)
	v_and_b32_e32 v4, 3, v0
	v_bfe_u32 v9, v0, 2, 5
	v_clz_i32_u32_e32 v5, v4
	s_delay_alu instid0(VALU_DEP_2) | instskip(NEXT) | instid1(VALU_DEP_2)
	v_cmp_eq_u32_e32 vcc_lo, 0, v9
	v_min_u32_e32 v5, 32, v5
	s_delay_alu instid0(VALU_DEP_1) | instskip(NEXT) | instid1(VALU_DEP_1)
	v_subrev_nc_u32_e32 v6, 29, v5
	v_dual_lshlrev_b32 v0, v6, v0 :: v_dual_sub_nc_u32 v5, 30, v5
	s_delay_alu instid0(VALU_DEP_1) | instskip(NEXT) | instid1(VALU_DEP_1)
	v_dual_lshlrev_b32 v1, 24, v1 :: v_dual_bitop2_b32 v0, 3, v0 bitop3:0x40
	v_dual_cndmask_b32 v0, v4, v0 :: v_dual_cndmask_b32 v5, v9, v5
	s_delay_alu instid0(VALU_DEP_2) | instskip(NEXT) | instid1(VALU_DEP_2)
	v_and_b32_e32 v1, 0x80000000, v1
	v_lshlrev_b32_e32 v0, 21, v0
	s_delay_alu instid0(VALU_DEP_3) | instskip(NEXT) | instid1(VALU_DEP_1)
	v_lshl_add_u32 v4, v5, 23, 0x37800000
	v_or3_b32 v0, v1, v4, v0
	s_delay_alu instid0(VALU_DEP_1)
	v_cvt_i32_f32_e32 v0, v0
.LBB22_1618:
	s_or_b32 exec_lo, exec_lo, s27
	s_mov_b32 s27, 0
	s_branch .LBB22_1624
.LBB22_1619:
	s_mov_b32 s36, -1
                                        ; implicit-def: $vgpr0
	s_branch .LBB22_1630
.LBB22_1620:
	s_and_not1_saveexec_b32 s27, s27
	s_cbranch_execz .LBB22_1605
.LBB22_1621:
	v_cmp_ne_u16_e32 vcc_lo, 0, v1
	s_and_not1_b32 s36, s36, exec_lo
	s_and_b32 s37, vcc_lo, exec_lo
	s_delay_alu instid0(SALU_CYCLE_1)
	s_or_b32 s36, s36, s37
	s_or_b32 exec_lo, exec_lo, s27
	v_mov_b32_e32 v0, 0
	s_and_saveexec_b32 s27, s36
	s_cbranch_execnz .LBB22_1606
	s_branch .LBB22_1607
.LBB22_1622:
	s_mov_b32 s27, -1
                                        ; implicit-def: $vgpr0
	s_branch .LBB22_1627
.LBB22_1623:
	s_mov_b32 s27, -1
                                        ; implicit-def: $vgpr0
.LBB22_1624:
	s_delay_alu instid0(SALU_CYCLE_1)
	s_and_b32 vcc_lo, exec_lo, s27
	s_cbranch_vccz .LBB22_1626
; %bb.1625:
	s_wait_loadcnt 0x0
	global_load_u8 v0, v[2:3], off
	s_wait_loadcnt 0x0
	v_lshlrev_b32_e32 v0, 24, v0
	s_delay_alu instid0(VALU_DEP_1) | instskip(NEXT) | instid1(VALU_DEP_1)
	v_and_b32_e32 v1, 0x7f000000, v0
	v_clz_i32_u32_e32 v4, v1
	v_cmp_ne_u32_e32 vcc_lo, 0, v1
	v_add_nc_u32_e32 v6, 0x1000000, v1
	s_delay_alu instid0(VALU_DEP_3) | instskip(NEXT) | instid1(VALU_DEP_1)
	v_min_u32_e32 v4, 32, v4
	v_sub_nc_u32_e64 v4, v4, 4 clamp
	s_delay_alu instid0(VALU_DEP_1) | instskip(NEXT) | instid1(VALU_DEP_1)
	v_dual_lshlrev_b32 v5, v4, v1 :: v_dual_lshlrev_b32 v4, 23, v4
	v_lshrrev_b32_e32 v5, 4, v5
	s_delay_alu instid0(VALU_DEP_1) | instskip(NEXT) | instid1(VALU_DEP_1)
	v_dual_sub_nc_u32 v4, v5, v4 :: v_dual_ashrrev_i32 v5, 8, v6
	v_add_nc_u32_e32 v4, 0x3c000000, v4
	s_delay_alu instid0(VALU_DEP_1) | instskip(NEXT) | instid1(VALU_DEP_1)
	v_and_or_b32 v4, 0x7f800000, v5, v4
	v_cndmask_b32_e32 v1, 0, v4, vcc_lo
	s_delay_alu instid0(VALU_DEP_1) | instskip(NEXT) | instid1(VALU_DEP_1)
	v_and_or_b32 v0, 0x80000000, v0, v1
	v_cvt_i32_f32_e32 v0, v0
.LBB22_1626:
	s_mov_b32 s27, 0
.LBB22_1627:
	s_delay_alu instid0(SALU_CYCLE_1)
	s_and_not1_b32 vcc_lo, exec_lo, s27
	s_cbranch_vccnz .LBB22_1629
; %bb.1628:
	s_wait_loadcnt 0x0
	global_load_u8 v0, v[2:3], off
	s_wait_loadcnt 0x0
	v_lshlrev_b32_e32 v1, 25, v0
	v_lshlrev_b16 v0, 8, v0
	s_delay_alu instid0(VALU_DEP_1) | instskip(SKIP_1) | instid1(VALU_DEP_2)
	v_and_or_b32 v5, 0x7f00, v0, 0.5
	v_bfe_i32 v0, v0, 0, 16
	v_add_f32_e32 v5, -0.5, v5
	v_lshrrev_b32_e32 v4, 4, v1
	v_cmp_gt_u32_e32 vcc_lo, 0x8000000, v1
	s_delay_alu instid0(VALU_DEP_2) | instskip(NEXT) | instid1(VALU_DEP_1)
	v_or_b32_e32 v4, 0x70000000, v4
	v_mul_f32_e32 v4, 0x7800000, v4
	s_delay_alu instid0(VALU_DEP_1) | instskip(NEXT) | instid1(VALU_DEP_1)
	v_cndmask_b32_e32 v1, v4, v5, vcc_lo
	v_and_or_b32 v0, 0x80000000, v0, v1
	s_delay_alu instid0(VALU_DEP_1)
	v_cvt_i32_f32_e32 v0, v0
.LBB22_1629:
	s_mov_b32 s36, 0
	s_mov_b32 s27, -1
.LBB22_1630:
	s_and_not1_b32 vcc_lo, exec_lo, s36
	s_cbranch_vccnz .LBB22_1643
; %bb.1631:
	s_cmp_gt_i32 s1, 14
	s_cbranch_scc0 .LBB22_1634
; %bb.1632:
	s_cmp_eq_u32 s1, 15
	s_cbranch_scc0 .LBB22_1637
; %bb.1633:
	s_wait_loadcnt 0x0
	global_load_u16 v0, v[2:3], off
	s_mov_b32 s27, -1
	s_mov_b32 s81, 0
	s_wait_loadcnt 0x0
	v_lshlrev_b32_e32 v0, 16, v0
	s_delay_alu instid0(VALU_DEP_1)
	v_cvt_i32_f32_e32 v0, v0
	s_branch .LBB22_1638
.LBB22_1634:
	s_mov_b32 s36, -1
                                        ; implicit-def: $vgpr0
	s_branch .LBB22_1639
.LBB22_1635:
	s_and_not1_saveexec_b32 s27, s27
	s_cbranch_execz .LBB22_1616
.LBB22_1636:
	v_cmp_ne_u16_e32 vcc_lo, 0, v1
	s_and_not1_b32 s36, s36, exec_lo
	s_and_b32 s37, vcc_lo, exec_lo
	s_delay_alu instid0(SALU_CYCLE_1)
	s_or_b32 s36, s36, s37
	s_or_b32 exec_lo, exec_lo, s27
	v_mov_b32_e32 v0, 0
	s_and_saveexec_b32 s27, s36
	s_cbranch_execnz .LBB22_1617
	s_branch .LBB22_1618
.LBB22_1637:
	s_mov_b32 s81, -1
                                        ; implicit-def: $vgpr0
.LBB22_1638:
	s_mov_b32 s36, 0
.LBB22_1639:
	s_delay_alu instid0(SALU_CYCLE_1)
	s_and_b32 vcc_lo, exec_lo, s36
	s_cbranch_vccz .LBB22_1643
; %bb.1640:
	s_cmp_eq_u32 s1, 11
	s_cbranch_scc0 .LBB22_1642
; %bb.1641:
	s_wait_loadcnt 0x0
	global_load_u8 v0, v[2:3], off
	s_mov_b32 s81, 0
	s_mov_b32 s27, -1
	s_wait_loadcnt 0x0
	v_cmp_ne_u16_e32 vcc_lo, 0, v0
	v_cndmask_b32_e64 v0, 0, 1, vcc_lo
	s_branch .LBB22_1643
.LBB22_1642:
	s_mov_b32 s81, -1
                                        ; implicit-def: $vgpr0
.LBB22_1643:
	s_mov_b32 s1, 0
.LBB22_1644:
	s_delay_alu instid0(SALU_CYCLE_1)
	s_and_b32 vcc_lo, exec_lo, s1
	s_cbranch_vccz .LBB22_1693
; %bb.1645:
	s_and_b32 s0, 0xffff, s0
	s_delay_alu instid0(SALU_CYCLE_1)
	s_cmp_lt_i32 s0, 5
	s_cbranch_scc1 .LBB22_1650
; %bb.1646:
	s_cmp_lt_i32 s0, 8
	s_cbranch_scc1 .LBB22_1651
; %bb.1647:
	;; [unrolled: 3-line block ×3, first 2 shown]
	s_cmp_gt_i32 s0, 9
	s_cbranch_scc0 .LBB22_1653
; %bb.1649:
	s_wait_loadcnt 0x0
	global_load_b64 v[0:1], v[2:3], off
	s_mov_b32 s1, 0
	s_wait_loadcnt 0x0
	v_cvt_i32_f64_e32 v0, v[0:1]
	s_branch .LBB22_1654
.LBB22_1650:
	s_mov_b32 s1, -1
                                        ; implicit-def: $vgpr0
	s_branch .LBB22_1672
.LBB22_1651:
	s_mov_b32 s1, -1
                                        ; implicit-def: $vgpr0
	s_branch .LBB22_1660
.LBB22_1652:
	s_mov_b32 s1, -1
                                        ; implicit-def: $vgpr0
	s_branch .LBB22_1657
.LBB22_1653:
	s_mov_b32 s1, -1
                                        ; implicit-def: $vgpr0
.LBB22_1654:
	s_delay_alu instid0(SALU_CYCLE_1)
	s_and_not1_b32 vcc_lo, exec_lo, s1
	s_cbranch_vccnz .LBB22_1656
; %bb.1655:
	s_wait_loadcnt 0x0
	global_load_b32 v0, v[2:3], off
	s_wait_loadcnt 0x0
	v_cvt_i32_f32_e32 v0, v0
.LBB22_1656:
	s_mov_b32 s1, 0
.LBB22_1657:
	s_delay_alu instid0(SALU_CYCLE_1)
	s_and_not1_b32 vcc_lo, exec_lo, s1
	s_cbranch_vccnz .LBB22_1659
; %bb.1658:
	s_wait_loadcnt 0x0
	global_load_b32 v0, v[2:3], off
	s_wait_loadcnt 0x0
	v_cvt_f32_f16_e32 v0, v0
	s_delay_alu instid0(VALU_DEP_1)
	v_cvt_i32_f32_e32 v0, v0
.LBB22_1659:
	s_mov_b32 s1, 0
.LBB22_1660:
	s_delay_alu instid0(SALU_CYCLE_1)
	s_and_not1_b32 vcc_lo, exec_lo, s1
	s_cbranch_vccnz .LBB22_1671
; %bb.1661:
	s_cmp_lt_i32 s0, 6
	s_cbranch_scc1 .LBB22_1664
; %bb.1662:
	s_cmp_gt_i32 s0, 6
	s_cbranch_scc0 .LBB22_1665
; %bb.1663:
	s_wait_loadcnt 0x0
	global_load_b64 v[0:1], v[2:3], off
	s_mov_b32 s1, 0
	s_wait_loadcnt 0x0
	v_cvt_i32_f64_e32 v0, v[0:1]
	s_branch .LBB22_1666
.LBB22_1664:
	s_mov_b32 s1, -1
                                        ; implicit-def: $vgpr0
	s_branch .LBB22_1669
.LBB22_1665:
	s_mov_b32 s1, -1
                                        ; implicit-def: $vgpr0
.LBB22_1666:
	s_delay_alu instid0(SALU_CYCLE_1)
	s_and_not1_b32 vcc_lo, exec_lo, s1
	s_cbranch_vccnz .LBB22_1668
; %bb.1667:
	s_wait_loadcnt 0x0
	global_load_b32 v0, v[2:3], off
	s_wait_loadcnt 0x0
	v_cvt_i32_f32_e32 v0, v0
.LBB22_1668:
	s_mov_b32 s1, 0
.LBB22_1669:
	s_delay_alu instid0(SALU_CYCLE_1)
	s_and_not1_b32 vcc_lo, exec_lo, s1
	s_cbranch_vccnz .LBB22_1671
; %bb.1670:
	s_wait_loadcnt 0x0
	global_load_u16 v0, v[2:3], off
	s_wait_loadcnt 0x0
	v_cvt_f32_f16_e32 v0, v0
	s_delay_alu instid0(VALU_DEP_1)
	v_cvt_i32_f32_e32 v0, v0
.LBB22_1671:
	s_mov_b32 s1, 0
.LBB22_1672:
	s_delay_alu instid0(SALU_CYCLE_1)
	s_and_not1_b32 vcc_lo, exec_lo, s1
	s_cbranch_vccnz .LBB22_1692
; %bb.1673:
	s_cmp_lt_i32 s0, 2
	s_cbranch_scc1 .LBB22_1677
; %bb.1674:
	s_cmp_lt_i32 s0, 3
	s_cbranch_scc1 .LBB22_1678
; %bb.1675:
	s_cmp_gt_i32 s0, 3
	s_cbranch_scc0 .LBB22_1679
; %bb.1676:
	s_wait_loadcnt 0x0
	global_load_b32 v0, v[2:3], off
	s_mov_b32 s1, 0
	s_branch .LBB22_1680
.LBB22_1677:
	s_mov_b32 s1, -1
                                        ; implicit-def: $vgpr0
	s_branch .LBB22_1686
.LBB22_1678:
	s_mov_b32 s1, -1
                                        ; implicit-def: $vgpr0
	s_branch .LBB22_1683
.LBB22_1679:
	s_mov_b32 s1, -1
                                        ; implicit-def: $vgpr0
.LBB22_1680:
	s_delay_alu instid0(SALU_CYCLE_1)
	s_and_not1_b32 vcc_lo, exec_lo, s1
	s_cbranch_vccnz .LBB22_1682
; %bb.1681:
	s_wait_loadcnt 0x0
	global_load_b32 v0, v[2:3], off
.LBB22_1682:
	s_mov_b32 s1, 0
.LBB22_1683:
	s_delay_alu instid0(SALU_CYCLE_1)
	s_and_not1_b32 vcc_lo, exec_lo, s1
	s_cbranch_vccnz .LBB22_1685
; %bb.1684:
	s_wait_loadcnt 0x0
	global_load_i16 v0, v[2:3], off
.LBB22_1685:
	s_mov_b32 s1, 0
.LBB22_1686:
	s_delay_alu instid0(SALU_CYCLE_1)
	s_and_not1_b32 vcc_lo, exec_lo, s1
	s_cbranch_vccnz .LBB22_1692
; %bb.1687:
	s_cmp_gt_i32 s0, 0
	s_mov_b32 s0, 0
	s_cbranch_scc0 .LBB22_1689
; %bb.1688:
	s_wait_loadcnt 0x0
	global_load_i8 v0, v[2:3], off
	s_branch .LBB22_1690
.LBB22_1689:
	s_mov_b32 s0, -1
                                        ; implicit-def: $vgpr0
.LBB22_1690:
	s_delay_alu instid0(SALU_CYCLE_1)
	s_and_not1_b32 vcc_lo, exec_lo, s0
	s_cbranch_vccnz .LBB22_1692
; %bb.1691:
	s_wait_loadcnt 0x0
	global_load_u8 v0, v[2:3], off
.LBB22_1692:
	s_mov_b32 s27, -1
.LBB22_1693:
	s_delay_alu instid0(SALU_CYCLE_1)
	s_and_not1_b32 vcc_lo, exec_lo, s27
	s_cbranch_vccnz .LBB22_1701
; %bb.1694:
	s_wait_xcnt 0x0
	v_mul_lo_u32 v2, s23, v22
	s_and_b32 s0, s15, 0xff
	s_delay_alu instid0(SALU_CYCLE_1) | instskip(NEXT) | instid1(VALU_DEP_1)
	s_cmp_lt_i32 s0, 11
	v_ashrrev_i32_e32 v3, 31, v2
	s_delay_alu instid0(VALU_DEP_1)
	v_add_nc_u64_e32 v[4:5], s[10:11], v[2:3]
	s_cbranch_scc1 .LBB22_1702
; %bb.1695:
	s_and_b32 s1, 0xffff, s0
	s_delay_alu instid0(SALU_CYCLE_1)
	s_cmp_gt_i32 s1, 25
	s_cbranch_scc0 .LBB22_1703
; %bb.1696:
	s_cmp_gt_i32 s1, 28
	s_cbranch_scc0 .LBB22_1704
; %bb.1697:
	;; [unrolled: 3-line block ×4, first 2 shown]
	s_cmp_eq_u32 s1, 46
	s_mov_b32 s36, 0
	s_cbranch_scc0 .LBB22_1708
; %bb.1700:
	global_load_b32 v1, v[4:5], off
	s_mov_b32 s27, -1
	s_mov_b32 s82, 0
	s_wait_loadcnt 0x0
	v_lshlrev_b32_e32 v1, 16, v1
	s_delay_alu instid0(VALU_DEP_1)
	v_cvt_i32_f32_e32 v2, v1
	s_branch .LBB22_1710
.LBB22_1701:
	s_mov_b32 s0, 0
	s_mov_b32 s1, s74
	;; [unrolled: 1-line block ×8, first 2 shown]
	s_branch .LBB22_2045
.LBB22_1702:
	s_mov_b32 s1, -1
	s_mov_b32 s27, 0
	s_mov_b32 s82, s71
                                        ; implicit-def: $vgpr2
	s_branch .LBB22_1771
.LBB22_1703:
	s_mov_b32 s36, -1
	s_mov_b32 s27, 0
	s_mov_b32 s82, s71
                                        ; implicit-def: $vgpr2
	s_branch .LBB22_1737
.LBB22_1704:
	s_mov_b32 s36, -1
	s_mov_b32 s27, 0
	s_mov_b32 s82, s71
                                        ; implicit-def: $vgpr2
	s_branch .LBB22_1720
.LBB22_1705:
	s_mov_b32 s36, -1
	s_mov_b32 s27, 0
	s_mov_b32 s82, s71
                                        ; implicit-def: $vgpr2
	s_branch .LBB22_1715
.LBB22_1706:
	s_mov_b32 s36, -1
	s_mov_b32 s27, 0
	s_mov_b32 s82, s71
	s_branch .LBB22_1709
.LBB22_1707:
	s_mov_b32 s39, -1
	s_mov_b32 s38, 0
	s_mov_b32 s27, s54
	s_branch .LBB22_3516
.LBB22_1708:
	s_mov_b32 s82, -1
	s_mov_b32 s27, 0
.LBB22_1709:
                                        ; implicit-def: $vgpr2
.LBB22_1710:
	s_and_b32 vcc_lo, exec_lo, s36
	s_cbranch_vccz .LBB22_1714
; %bb.1711:
	s_cmp_eq_u32 s1, 44
	s_cbranch_scc0 .LBB22_1713
; %bb.1712:
	global_load_u8 v1, v[4:5], off
	s_mov_b32 s82, 0
	s_mov_b32 s27, -1
	s_wait_loadcnt 0x0
	v_lshlrev_b32_e32 v2, 23, v1
	v_cmp_ne_u32_e32 vcc_lo, 0, v1
	s_delay_alu instid0(VALU_DEP_2) | instskip(NEXT) | instid1(VALU_DEP_1)
	v_cvt_i32_f32_e32 v2, v2
	v_cndmask_b32_e32 v2, 0, v2, vcc_lo
	s_branch .LBB22_1714
.LBB22_1713:
	s_mov_b32 s82, -1
                                        ; implicit-def: $vgpr2
.LBB22_1714:
	s_mov_b32 s36, 0
.LBB22_1715:
	s_delay_alu instid0(SALU_CYCLE_1)
	s_and_b32 vcc_lo, exec_lo, s36
	s_cbranch_vccz .LBB22_1719
; %bb.1716:
	s_cmp_eq_u32 s1, 29
	s_cbranch_scc0 .LBB22_1718
; %bb.1717:
	global_load_b32 v2, v[4:5], off
	s_mov_b32 s27, -1
	s_mov_b32 s82, 0
	s_branch .LBB22_1719
.LBB22_1718:
	s_mov_b32 s82, -1
                                        ; implicit-def: $vgpr2
.LBB22_1719:
	s_mov_b32 s36, 0
.LBB22_1720:
	s_delay_alu instid0(SALU_CYCLE_1)
	s_and_b32 vcc_lo, exec_lo, s36
	s_cbranch_vccz .LBB22_1736
; %bb.1721:
	s_cmp_lt_i32 s1, 27
	s_cbranch_scc1 .LBB22_1724
; %bb.1722:
	s_cmp_gt_i32 s1, 27
	s_cbranch_scc0 .LBB22_1725
; %bb.1723:
	s_wait_loadcnt 0x0
	global_load_b32 v2, v[4:5], off
	s_mov_b32 s27, 0
	s_branch .LBB22_1726
.LBB22_1724:
	s_mov_b32 s27, -1
                                        ; implicit-def: $vgpr2
	s_branch .LBB22_1729
.LBB22_1725:
	s_mov_b32 s27, -1
                                        ; implicit-def: $vgpr2
.LBB22_1726:
	s_delay_alu instid0(SALU_CYCLE_1)
	s_and_not1_b32 vcc_lo, exec_lo, s27
	s_cbranch_vccnz .LBB22_1728
; %bb.1727:
	s_wait_loadcnt 0x0
	global_load_u16 v2, v[4:5], off
.LBB22_1728:
	s_mov_b32 s27, 0
.LBB22_1729:
	s_delay_alu instid0(SALU_CYCLE_1)
	s_and_not1_b32 vcc_lo, exec_lo, s27
	s_cbranch_vccnz .LBB22_1735
; %bb.1730:
	global_load_u8 v1, v[4:5], off
	s_mov_b32 s36, 0
	s_mov_b32 s27, exec_lo
	s_wait_loadcnt 0x0
	v_cmpx_lt_i16_e32 0x7f, v1
	s_xor_b32 s27, exec_lo, s27
	s_cbranch_execz .LBB22_1747
; %bb.1731:
	v_cmp_ne_u16_e32 vcc_lo, 0x80, v1
	s_and_b32 s36, vcc_lo, exec_lo
	s_and_not1_saveexec_b32 s27, s27
	s_cbranch_execnz .LBB22_1748
.LBB22_1732:
	s_or_b32 exec_lo, exec_lo, s27
	v_mov_b32_e32 v2, 0
	s_and_saveexec_b32 s27, s36
	s_cbranch_execz .LBB22_1734
.LBB22_1733:
	v_and_b32_e32 v2, 0xffff, v1
	s_delay_alu instid0(VALU_DEP_1) | instskip(SKIP_1) | instid1(VALU_DEP_2)
	v_dual_lshlrev_b32 v1, 24, v1 :: v_dual_bitop2_b32 v3, 7, v2 bitop3:0x40
	v_bfe_u32 v10, v2, 3, 4
	v_and_b32_e32 v1, 0x80000000, v1
	s_delay_alu instid0(VALU_DEP_3) | instskip(NEXT) | instid1(VALU_DEP_3)
	v_clz_i32_u32_e32 v6, v3
	v_cmp_eq_u32_e32 vcc_lo, 0, v10
	s_delay_alu instid0(VALU_DEP_2) | instskip(NEXT) | instid1(VALU_DEP_1)
	v_min_u32_e32 v6, 32, v6
	v_subrev_nc_u32_e32 v9, 28, v6
	v_sub_nc_u32_e32 v6, 29, v6
	s_delay_alu instid0(VALU_DEP_2) | instskip(NEXT) | instid1(VALU_DEP_2)
	v_lshlrev_b32_e32 v2, v9, v2
	v_cndmask_b32_e32 v6, v10, v6, vcc_lo
	s_delay_alu instid0(VALU_DEP_2) | instskip(NEXT) | instid1(VALU_DEP_1)
	v_and_b32_e32 v2, 7, v2
	v_cndmask_b32_e32 v2, v3, v2, vcc_lo
	s_delay_alu instid0(VALU_DEP_3) | instskip(NEXT) | instid1(VALU_DEP_2)
	v_lshl_add_u32 v3, v6, 23, 0x3b800000
	v_lshlrev_b32_e32 v2, 20, v2
	s_delay_alu instid0(VALU_DEP_1) | instskip(NEXT) | instid1(VALU_DEP_1)
	v_or3_b32 v1, v1, v3, v2
	v_cvt_i32_f32_e32 v2, v1
.LBB22_1734:
	s_or_b32 exec_lo, exec_lo, s27
.LBB22_1735:
	s_mov_b32 s27, -1
.LBB22_1736:
	s_mov_b32 s36, 0
.LBB22_1737:
	s_delay_alu instid0(SALU_CYCLE_1)
	s_and_b32 vcc_lo, exec_lo, s36
	s_cbranch_vccz .LBB22_1770
; %bb.1738:
	s_cmp_gt_i32 s1, 22
	s_cbranch_scc0 .LBB22_1746
; %bb.1739:
	s_cmp_lt_i32 s1, 24
	s_cbranch_scc1 .LBB22_1749
; %bb.1740:
	s_cmp_gt_i32 s1, 24
	s_cbranch_scc0 .LBB22_1750
; %bb.1741:
	global_load_u8 v1, v[4:5], off
	s_mov_b32 s36, 0
	s_mov_b32 s27, exec_lo
	s_wait_loadcnt 0x0
	v_cmpx_lt_i16_e32 0x7f, v1
	s_xor_b32 s27, exec_lo, s27
	s_cbranch_execz .LBB22_1762
; %bb.1742:
	v_cmp_ne_u16_e32 vcc_lo, 0x80, v1
	s_and_b32 s36, vcc_lo, exec_lo
	s_and_not1_saveexec_b32 s27, s27
	s_cbranch_execnz .LBB22_1763
.LBB22_1743:
	s_or_b32 exec_lo, exec_lo, s27
	v_mov_b32_e32 v2, 0
	s_and_saveexec_b32 s27, s36
	s_cbranch_execz .LBB22_1745
.LBB22_1744:
	v_and_b32_e32 v2, 0xffff, v1
	s_delay_alu instid0(VALU_DEP_1) | instskip(SKIP_1) | instid1(VALU_DEP_2)
	v_dual_lshlrev_b32 v1, 24, v1 :: v_dual_bitop2_b32 v3, 3, v2 bitop3:0x40
	v_bfe_u32 v10, v2, 2, 5
	v_and_b32_e32 v1, 0x80000000, v1
	s_delay_alu instid0(VALU_DEP_3) | instskip(NEXT) | instid1(VALU_DEP_3)
	v_clz_i32_u32_e32 v6, v3
	v_cmp_eq_u32_e32 vcc_lo, 0, v10
	s_delay_alu instid0(VALU_DEP_2) | instskip(NEXT) | instid1(VALU_DEP_1)
	v_min_u32_e32 v6, 32, v6
	v_subrev_nc_u32_e32 v9, 29, v6
	v_sub_nc_u32_e32 v6, 30, v6
	s_delay_alu instid0(VALU_DEP_2) | instskip(NEXT) | instid1(VALU_DEP_2)
	v_lshlrev_b32_e32 v2, v9, v2
	v_cndmask_b32_e32 v6, v10, v6, vcc_lo
	s_delay_alu instid0(VALU_DEP_2) | instskip(NEXT) | instid1(VALU_DEP_1)
	v_and_b32_e32 v2, 3, v2
	v_cndmask_b32_e32 v2, v3, v2, vcc_lo
	s_delay_alu instid0(VALU_DEP_3) | instskip(NEXT) | instid1(VALU_DEP_2)
	v_lshl_add_u32 v3, v6, 23, 0x37800000
	v_lshlrev_b32_e32 v2, 21, v2
	s_delay_alu instid0(VALU_DEP_1) | instskip(NEXT) | instid1(VALU_DEP_1)
	v_or3_b32 v1, v1, v3, v2
	v_cvt_i32_f32_e32 v2, v1
.LBB22_1745:
	s_or_b32 exec_lo, exec_lo, s27
	s_mov_b32 s27, 0
	s_branch .LBB22_1751
.LBB22_1746:
	s_mov_b32 s36, -1
                                        ; implicit-def: $vgpr2
	s_branch .LBB22_1757
.LBB22_1747:
	s_and_not1_saveexec_b32 s27, s27
	s_cbranch_execz .LBB22_1732
.LBB22_1748:
	v_cmp_ne_u16_e32 vcc_lo, 0, v1
	s_and_not1_b32 s36, s36, exec_lo
	s_and_b32 s37, vcc_lo, exec_lo
	s_delay_alu instid0(SALU_CYCLE_1)
	s_or_b32 s36, s36, s37
	s_or_b32 exec_lo, exec_lo, s27
	v_mov_b32_e32 v2, 0
	s_and_saveexec_b32 s27, s36
	s_cbranch_execnz .LBB22_1733
	s_branch .LBB22_1734
.LBB22_1749:
	s_mov_b32 s27, -1
                                        ; implicit-def: $vgpr2
	s_branch .LBB22_1754
.LBB22_1750:
	s_mov_b32 s27, -1
                                        ; implicit-def: $vgpr2
.LBB22_1751:
	s_delay_alu instid0(SALU_CYCLE_1)
	s_and_b32 vcc_lo, exec_lo, s27
	s_cbranch_vccz .LBB22_1753
; %bb.1752:
	global_load_u8 v1, v[4:5], off
	s_wait_loadcnt 0x0
	v_lshlrev_b32_e32 v1, 24, v1
	s_delay_alu instid0(VALU_DEP_1) | instskip(NEXT) | instid1(VALU_DEP_1)
	v_and_b32_e32 v2, 0x7f000000, v1
	v_clz_i32_u32_e32 v3, v2
	v_cmp_ne_u32_e32 vcc_lo, 0, v2
	v_add_nc_u32_e32 v9, 0x1000000, v2
	s_delay_alu instid0(VALU_DEP_3) | instskip(NEXT) | instid1(VALU_DEP_1)
	v_min_u32_e32 v3, 32, v3
	v_sub_nc_u32_e64 v3, v3, 4 clamp
	s_delay_alu instid0(VALU_DEP_1) | instskip(NEXT) | instid1(VALU_DEP_1)
	v_dual_lshlrev_b32 v6, v3, v2 :: v_dual_lshlrev_b32 v3, 23, v3
	v_lshrrev_b32_e32 v6, 4, v6
	s_delay_alu instid0(VALU_DEP_1) | instskip(NEXT) | instid1(VALU_DEP_1)
	v_dual_sub_nc_u32 v3, v6, v3 :: v_dual_ashrrev_i32 v6, 8, v9
	v_add_nc_u32_e32 v3, 0x3c000000, v3
	s_delay_alu instid0(VALU_DEP_1) | instskip(NEXT) | instid1(VALU_DEP_1)
	v_and_or_b32 v3, 0x7f800000, v6, v3
	v_cndmask_b32_e32 v2, 0, v3, vcc_lo
	s_delay_alu instid0(VALU_DEP_1) | instskip(NEXT) | instid1(VALU_DEP_1)
	v_and_or_b32 v1, 0x80000000, v1, v2
	v_cvt_i32_f32_e32 v2, v1
.LBB22_1753:
	s_mov_b32 s27, 0
.LBB22_1754:
	s_delay_alu instid0(SALU_CYCLE_1)
	s_and_not1_b32 vcc_lo, exec_lo, s27
	s_cbranch_vccnz .LBB22_1756
; %bb.1755:
	global_load_u8 v1, v[4:5], off
	s_wait_loadcnt 0x0
	v_lshlrev_b32_e32 v2, 25, v1
	v_lshlrev_b16 v1, 8, v1
	s_delay_alu instid0(VALU_DEP_1) | instskip(SKIP_1) | instid1(VALU_DEP_2)
	v_and_or_b32 v6, 0x7f00, v1, 0.5
	v_bfe_i32 v1, v1, 0, 16
	v_add_f32_e32 v6, -0.5, v6
	v_lshrrev_b32_e32 v3, 4, v2
	v_cmp_gt_u32_e32 vcc_lo, 0x8000000, v2
	s_delay_alu instid0(VALU_DEP_2) | instskip(NEXT) | instid1(VALU_DEP_1)
	v_or_b32_e32 v3, 0x70000000, v3
	v_mul_f32_e32 v3, 0x7800000, v3
	s_delay_alu instid0(VALU_DEP_1) | instskip(NEXT) | instid1(VALU_DEP_1)
	v_cndmask_b32_e32 v2, v3, v6, vcc_lo
	v_and_or_b32 v1, 0x80000000, v1, v2
	s_delay_alu instid0(VALU_DEP_1)
	v_cvt_i32_f32_e32 v2, v1
.LBB22_1756:
	s_mov_b32 s36, 0
	s_mov_b32 s27, -1
.LBB22_1757:
	s_and_not1_b32 vcc_lo, exec_lo, s36
	s_cbranch_vccnz .LBB22_1770
; %bb.1758:
	s_cmp_gt_i32 s1, 14
	s_cbranch_scc0 .LBB22_1761
; %bb.1759:
	s_cmp_eq_u32 s1, 15
	s_cbranch_scc0 .LBB22_1764
; %bb.1760:
	global_load_u16 v1, v[4:5], off
	s_mov_b32 s27, -1
	s_mov_b32 s82, 0
	s_wait_loadcnt 0x0
	v_lshlrev_b32_e32 v1, 16, v1
	s_delay_alu instid0(VALU_DEP_1)
	v_cvt_i32_f32_e32 v2, v1
	s_branch .LBB22_1765
.LBB22_1761:
	s_mov_b32 s36, -1
                                        ; implicit-def: $vgpr2
	s_branch .LBB22_1766
.LBB22_1762:
	s_and_not1_saveexec_b32 s27, s27
	s_cbranch_execz .LBB22_1743
.LBB22_1763:
	v_cmp_ne_u16_e32 vcc_lo, 0, v1
	s_and_not1_b32 s36, s36, exec_lo
	s_and_b32 s37, vcc_lo, exec_lo
	s_delay_alu instid0(SALU_CYCLE_1)
	s_or_b32 s36, s36, s37
	s_or_b32 exec_lo, exec_lo, s27
	v_mov_b32_e32 v2, 0
	s_and_saveexec_b32 s27, s36
	s_cbranch_execnz .LBB22_1744
	s_branch .LBB22_1745
.LBB22_1764:
	s_mov_b32 s82, -1
                                        ; implicit-def: $vgpr2
.LBB22_1765:
	s_mov_b32 s36, 0
.LBB22_1766:
	s_delay_alu instid0(SALU_CYCLE_1)
	s_and_b32 vcc_lo, exec_lo, s36
	s_cbranch_vccz .LBB22_1770
; %bb.1767:
	s_cmp_eq_u32 s1, 11
	s_cbranch_scc0 .LBB22_1769
; %bb.1768:
	global_load_u8 v1, v[4:5], off
	s_mov_b32 s82, 0
	s_mov_b32 s27, -1
	s_wait_loadcnt 0x0
	v_cmp_ne_u16_e32 vcc_lo, 0, v1
	v_cndmask_b32_e64 v2, 0, 1, vcc_lo
	s_branch .LBB22_1770
.LBB22_1769:
	s_mov_b32 s82, -1
                                        ; implicit-def: $vgpr2
.LBB22_1770:
	s_mov_b32 s1, 0
.LBB22_1771:
	s_delay_alu instid0(SALU_CYCLE_1)
	s_and_b32 vcc_lo, exec_lo, s1
	s_cbranch_vccz .LBB22_1820
; %bb.1772:
	s_and_b32 s0, 0xffff, s0
	s_delay_alu instid0(SALU_CYCLE_1)
	s_cmp_lt_i32 s0, 5
	s_cbranch_scc1 .LBB22_1777
; %bb.1773:
	s_cmp_lt_i32 s0, 8
	s_cbranch_scc1 .LBB22_1778
; %bb.1774:
	;; [unrolled: 3-line block ×3, first 2 shown]
	s_cmp_gt_i32 s0, 9
	s_cbranch_scc0 .LBB22_1780
; %bb.1776:
	s_wait_loadcnt 0x0
	global_load_b64 v[2:3], v[4:5], off
	s_mov_b32 s1, 0
	s_wait_loadcnt 0x0
	v_cvt_i32_f64_e32 v2, v[2:3]
	s_branch .LBB22_1781
.LBB22_1777:
	s_mov_b32 s1, -1
                                        ; implicit-def: $vgpr2
	s_branch .LBB22_1799
.LBB22_1778:
	s_mov_b32 s1, -1
                                        ; implicit-def: $vgpr2
	s_branch .LBB22_1787
.LBB22_1779:
	s_mov_b32 s1, -1
                                        ; implicit-def: $vgpr2
	s_branch .LBB22_1784
.LBB22_1780:
	s_mov_b32 s1, -1
                                        ; implicit-def: $vgpr2
.LBB22_1781:
	s_delay_alu instid0(SALU_CYCLE_1)
	s_and_not1_b32 vcc_lo, exec_lo, s1
	s_cbranch_vccnz .LBB22_1783
; %bb.1782:
	global_load_b32 v1, v[4:5], off
	s_wait_loadcnt 0x0
	v_cvt_i32_f32_e32 v2, v1
.LBB22_1783:
	s_mov_b32 s1, 0
.LBB22_1784:
	s_delay_alu instid0(SALU_CYCLE_1)
	s_and_not1_b32 vcc_lo, exec_lo, s1
	s_cbranch_vccnz .LBB22_1786
; %bb.1785:
	global_load_b32 v1, v[4:5], off
	s_wait_loadcnt 0x0
	v_cvt_f32_f16_e32 v1, v1
	s_delay_alu instid0(VALU_DEP_1)
	v_cvt_i32_f32_e32 v2, v1
.LBB22_1786:
	s_mov_b32 s1, 0
.LBB22_1787:
	s_delay_alu instid0(SALU_CYCLE_1)
	s_and_not1_b32 vcc_lo, exec_lo, s1
	s_cbranch_vccnz .LBB22_1798
; %bb.1788:
	s_cmp_lt_i32 s0, 6
	s_cbranch_scc1 .LBB22_1791
; %bb.1789:
	s_cmp_gt_i32 s0, 6
	s_cbranch_scc0 .LBB22_1792
; %bb.1790:
	s_wait_loadcnt 0x0
	global_load_b64 v[2:3], v[4:5], off
	s_mov_b32 s1, 0
	s_wait_loadcnt 0x0
	v_cvt_i32_f64_e32 v2, v[2:3]
	s_branch .LBB22_1793
.LBB22_1791:
	s_mov_b32 s1, -1
                                        ; implicit-def: $vgpr2
	s_branch .LBB22_1796
.LBB22_1792:
	s_mov_b32 s1, -1
                                        ; implicit-def: $vgpr2
.LBB22_1793:
	s_delay_alu instid0(SALU_CYCLE_1)
	s_and_not1_b32 vcc_lo, exec_lo, s1
	s_cbranch_vccnz .LBB22_1795
; %bb.1794:
	global_load_b32 v1, v[4:5], off
	s_wait_loadcnt 0x0
	v_cvt_i32_f32_e32 v2, v1
.LBB22_1795:
	s_mov_b32 s1, 0
.LBB22_1796:
	s_delay_alu instid0(SALU_CYCLE_1)
	s_and_not1_b32 vcc_lo, exec_lo, s1
	s_cbranch_vccnz .LBB22_1798
; %bb.1797:
	global_load_u16 v1, v[4:5], off
	s_wait_loadcnt 0x0
	v_cvt_f32_f16_e32 v1, v1
	s_delay_alu instid0(VALU_DEP_1)
	v_cvt_i32_f32_e32 v2, v1
.LBB22_1798:
	s_mov_b32 s1, 0
.LBB22_1799:
	s_delay_alu instid0(SALU_CYCLE_1)
	s_and_not1_b32 vcc_lo, exec_lo, s1
	s_cbranch_vccnz .LBB22_1819
; %bb.1800:
	s_cmp_lt_i32 s0, 2
	s_cbranch_scc1 .LBB22_1804
; %bb.1801:
	s_cmp_lt_i32 s0, 3
	s_cbranch_scc1 .LBB22_1805
; %bb.1802:
	s_cmp_gt_i32 s0, 3
	s_cbranch_scc0 .LBB22_1806
; %bb.1803:
	s_wait_loadcnt 0x0
	global_load_b32 v2, v[4:5], off
	s_mov_b32 s1, 0
	s_branch .LBB22_1807
.LBB22_1804:
	s_mov_b32 s1, -1
                                        ; implicit-def: $vgpr2
	s_branch .LBB22_1813
.LBB22_1805:
	s_mov_b32 s1, -1
                                        ; implicit-def: $vgpr2
	s_branch .LBB22_1810
.LBB22_1806:
	s_mov_b32 s1, -1
                                        ; implicit-def: $vgpr2
.LBB22_1807:
	s_delay_alu instid0(SALU_CYCLE_1)
	s_and_not1_b32 vcc_lo, exec_lo, s1
	s_cbranch_vccnz .LBB22_1809
; %bb.1808:
	s_wait_loadcnt 0x0
	global_load_b32 v2, v[4:5], off
.LBB22_1809:
	s_mov_b32 s1, 0
.LBB22_1810:
	s_delay_alu instid0(SALU_CYCLE_1)
	s_and_not1_b32 vcc_lo, exec_lo, s1
	s_cbranch_vccnz .LBB22_1812
; %bb.1811:
	s_wait_loadcnt 0x0
	global_load_i16 v2, v[4:5], off
.LBB22_1812:
	s_mov_b32 s1, 0
.LBB22_1813:
	s_delay_alu instid0(SALU_CYCLE_1)
	s_and_not1_b32 vcc_lo, exec_lo, s1
	s_cbranch_vccnz .LBB22_1819
; %bb.1814:
	s_cmp_gt_i32 s0, 0
	s_mov_b32 s0, 0
	s_cbranch_scc0 .LBB22_1816
; %bb.1815:
	s_wait_loadcnt 0x0
	global_load_i8 v2, v[4:5], off
	s_branch .LBB22_1817
.LBB22_1816:
	s_mov_b32 s0, -1
                                        ; implicit-def: $vgpr2
.LBB22_1817:
	s_delay_alu instid0(SALU_CYCLE_1)
	s_and_not1_b32 vcc_lo, exec_lo, s0
	s_cbranch_vccnz .LBB22_1819
; %bb.1818:
	s_wait_loadcnt 0x0
	global_load_u8 v2, v[4:5], off
.LBB22_1819:
	s_mov_b32 s27, -1
.LBB22_1820:
	s_delay_alu instid0(SALU_CYCLE_1)
	s_and_not1_b32 vcc_lo, exec_lo, s27
	s_cbranch_vccnz .LBB22_1828
; %bb.1821:
	s_wait_xcnt 0x0
	v_mul_lo_u32 v4, s28, v22
	s_and_b32 s0, s52, 0xff
	s_delay_alu instid0(SALU_CYCLE_1) | instskip(NEXT) | instid1(VALU_DEP_1)
	s_cmp_lt_i32 s0, 11
	v_ashrrev_i32_e32 v5, 31, v4
	s_delay_alu instid0(VALU_DEP_1)
	v_add_nc_u64_e32 v[4:5], s[30:31], v[4:5]
	s_cbranch_scc1 .LBB22_1829
; %bb.1822:
	s_and_b32 s1, 0xffff, s0
	s_delay_alu instid0(SALU_CYCLE_1)
	s_cmp_gt_i32 s1, 25
	s_cbranch_scc0 .LBB22_1830
; %bb.1823:
	s_cmp_gt_i32 s1, 28
	s_cbranch_scc0 .LBB22_1831
; %bb.1824:
	;; [unrolled: 3-line block ×4, first 2 shown]
	s_cmp_eq_u32 s1, 46
	s_mov_b32 s36, 0
	s_cbranch_scc0 .LBB22_1921
; %bb.1827:
	global_load_b32 v1, v[4:5], off
	s_mov_b32 s27, -1
	s_mov_b32 s83, 0
	s_wait_loadcnt 0x0
	v_lshlrev_b32_e32 v1, 16, v1
	s_delay_alu instid0(VALU_DEP_1)
	v_cvt_i32_f32_e32 v6, v1
	s_branch .LBB22_1923
.LBB22_1828:
	s_mov_b32 s0, 0
	s_mov_b32 s1, s74
	;; [unrolled: 1-line block ×7, first 2 shown]
	s_branch .LBB22_2045
.LBB22_1829:
	s_mov_b32 s1, -1
	s_mov_b32 s27, 0
	s_mov_b32 s83, s70
                                        ; implicit-def: $vgpr6
	s_branch .LBB22_1984
.LBB22_1830:
	s_mov_b32 s36, -1
	s_mov_b32 s27, 0
	s_mov_b32 s83, s70
                                        ; implicit-def: $vgpr6
	s_branch .LBB22_1950
.LBB22_1831:
	s_mov_b32 s36, -1
	s_mov_b32 s27, 0
	s_mov_b32 s83, s70
                                        ; implicit-def: $vgpr6
	s_branch .LBB22_1933
.LBB22_1832:
	s_mov_b32 s36, -1
	s_mov_b32 s27, 0
	s_mov_b32 s83, s70
                                        ; implicit-def: $vgpr6
	s_branch .LBB22_1928
.LBB22_1833:
	s_mov_b32 s36, -1
	s_mov_b32 s27, 0
	s_mov_b32 s83, s70
	s_branch .LBB22_1922
.LBB22_1834:
	s_mov_b32 s39, -1
	s_mov_b32 s27, 0
	s_mov_b32 s38, 0
.LBB22_1835:
	s_and_b32 vcc_lo, exec_lo, s39
	s_cbranch_vccz .LBB22_1838
; %bb.1836:
	s_cmp_eq_u32 s37, 44
	s_mov_b32 s27, -1
	s_cbranch_scc0 .LBB22_1838
; %bb.1837:
	s_wait_xcnt 0x0
	v_mov_b32_e32 v2, 0
	s_mov_b32 s38, -1
	s_mov_b32 s27, 0
	s_mov_b32 s39, 0
	global_store_b8 v[0:1], v2, off
	s_branch .LBB22_1839
.LBB22_1838:
	s_mov_b32 s39, 0
.LBB22_1839:
	s_delay_alu instid0(SALU_CYCLE_1)
	s_and_b32 vcc_lo, exec_lo, s39
	s_cbranch_vccz .LBB22_1842
; %bb.1840:
	s_cmp_eq_u32 s37, 29
	s_mov_b32 s27, -1
	s_cbranch_scc0 .LBB22_1842
; %bb.1841:
	s_wait_xcnt 0x0
	v_mov_b64_e32 v[2:3], 0
	s_mov_b32 s38, -1
	s_mov_b32 s27, 0
	s_mov_b32 s39, 0
	global_store_b64 v[0:1], v[2:3], off
	s_branch .LBB22_1843
.LBB22_1842:
	s_mov_b32 s39, 0
.LBB22_1843:
	s_delay_alu instid0(SALU_CYCLE_1)
	s_and_b32 vcc_lo, exec_lo, s39
	s_cbranch_vccz .LBB22_1853
; %bb.1844:
	s_cmp_lt_i32 s37, 27
	s_mov_b32 s38, -1
	s_cbranch_scc1 .LBB22_1850
; %bb.1845:
	s_cmp_gt_i32 s37, 27
	s_cbranch_scc0 .LBB22_1847
; %bb.1846:
	s_wait_xcnt 0x0
	v_mov_b32_e32 v2, 0
	s_mov_b32 s38, 0
	global_store_b32 v[0:1], v2, off
.LBB22_1847:
	s_and_not1_b32 vcc_lo, exec_lo, s38
	s_cbranch_vccnz .LBB22_1849
; %bb.1848:
	s_wait_xcnt 0x0
	v_mov_b32_e32 v2, 0
	global_store_b16 v[0:1], v2, off
.LBB22_1849:
	s_mov_b32 s38, 0
.LBB22_1850:
	s_delay_alu instid0(SALU_CYCLE_1)
	s_and_not1_b32 vcc_lo, exec_lo, s38
	s_cbranch_vccnz .LBB22_1852
; %bb.1851:
	s_wait_xcnt 0x0
	v_mov_b32_e32 v2, 0
	global_store_b8 v[0:1], v2, off
.LBB22_1852:
	s_mov_b32 s38, -1
.LBB22_1853:
	s_mov_b32 s39, 0
.LBB22_1854:
	s_delay_alu instid0(SALU_CYCLE_1)
	s_and_b32 vcc_lo, exec_lo, s39
	s_cbranch_vccz .LBB22_1873
; %bb.1855:
	s_cmp_gt_i32 s37, 22
	s_mov_b32 s39, -1
	s_cbranch_scc0 .LBB22_1865
; %bb.1856:
	s_cmp_lt_i32 s37, 24
	s_mov_b32 s38, -1
	s_cbranch_scc1 .LBB22_1862
; %bb.1857:
	s_cmp_gt_i32 s37, 24
	s_cbranch_scc0 .LBB22_1859
; %bb.1858:
	s_wait_xcnt 0x0
	v_mov_b32_e32 v2, 0
	s_mov_b32 s38, 0
	global_store_b8 v[0:1], v2, off
.LBB22_1859:
	s_and_not1_b32 vcc_lo, exec_lo, s38
	s_cbranch_vccnz .LBB22_1861
; %bb.1860:
	s_wait_xcnt 0x0
	v_mov_b32_e32 v2, 0
	global_store_b8 v[0:1], v2, off
.LBB22_1861:
	s_mov_b32 s38, 0
.LBB22_1862:
	s_delay_alu instid0(SALU_CYCLE_1)
	s_and_not1_b32 vcc_lo, exec_lo, s38
	s_cbranch_vccnz .LBB22_1864
; %bb.1863:
	s_wait_xcnt 0x0
	v_mov_b32_e32 v2, 0
	global_store_b8 v[0:1], v2, off
.LBB22_1864:
	s_mov_b32 s39, 0
	s_mov_b32 s38, -1
.LBB22_1865:
	s_and_not1_b32 vcc_lo, exec_lo, s39
	s_cbranch_vccnz .LBB22_1873
; %bb.1866:
	s_cmp_gt_i32 s37, 14
	s_mov_b32 s39, -1
	s_cbranch_scc0 .LBB22_1870
; %bb.1867:
	s_cmp_eq_u32 s37, 15
	s_mov_b32 s27, -1
	s_cbranch_scc0 .LBB22_1869
; %bb.1868:
	s_wait_xcnt 0x0
	v_mov_b32_e32 v2, 0
	s_mov_b32 s38, -1
	s_mov_b32 s27, 0
	global_store_b16 v[0:1], v2, off
.LBB22_1869:
	s_mov_b32 s39, 0
.LBB22_1870:
	s_delay_alu instid0(SALU_CYCLE_1)
	s_and_b32 vcc_lo, exec_lo, s39
	s_cbranch_vccz .LBB22_1873
; %bb.1871:
	s_cmp_eq_u32 s37, 11
	s_mov_b32 s27, -1
	s_cbranch_scc0 .LBB22_1873
; %bb.1872:
	s_wait_xcnt 0x0
	v_mov_b32_e32 v2, 0
	s_mov_b32 s38, -1
	s_mov_b32 s27, 0
	global_store_b8 v[0:1], v2, off
.LBB22_1873:
	s_mov_b32 s37, 0
.LBB22_1874:
	s_delay_alu instid0(SALU_CYCLE_1)
	s_and_b32 vcc_lo, exec_lo, s37
	s_cbranch_vccz .LBB22_1913
; %bb.1875:
	s_and_b32 s36, 0xffff, s36
	s_mov_b32 s37, -1
	s_cmp_lt_i32 s36, 5
	s_cbranch_scc1 .LBB22_1896
; %bb.1876:
	s_cmp_lt_i32 s36, 8
	s_cbranch_scc1 .LBB22_1886
; %bb.1877:
	;; [unrolled: 3-line block ×3, first 2 shown]
	s_cmp_gt_i32 s36, 9
	s_cbranch_scc0 .LBB22_1880
; %bb.1879:
	s_wait_xcnt 0x0
	v_mov_b32_e32 v2, 0
	s_mov_b32 s37, 0
	s_delay_alu instid0(VALU_DEP_1)
	v_dual_mov_b32 v3, v2 :: v_dual_mov_b32 v4, v2
	v_mov_b32_e32 v5, v2
	global_store_b128 v[0:1], v[2:5], off
.LBB22_1880:
	s_and_not1_b32 vcc_lo, exec_lo, s37
	s_cbranch_vccnz .LBB22_1882
; %bb.1881:
	s_wait_xcnt 0x0
	v_mov_b64_e32 v[2:3], 0
	global_store_b64 v[0:1], v[2:3], off
.LBB22_1882:
	s_mov_b32 s37, 0
.LBB22_1883:
	s_delay_alu instid0(SALU_CYCLE_1)
	s_and_not1_b32 vcc_lo, exec_lo, s37
	s_cbranch_vccnz .LBB22_1885
; %bb.1884:
	s_wait_xcnt 0x0
	v_mov_b32_e32 v2, 0
	global_store_b32 v[0:1], v2, off
.LBB22_1885:
	s_mov_b32 s37, 0
.LBB22_1886:
	s_delay_alu instid0(SALU_CYCLE_1)
	s_and_not1_b32 vcc_lo, exec_lo, s37
	s_cbranch_vccnz .LBB22_1895
; %bb.1887:
	s_cmp_lt_i32 s36, 6
	s_mov_b32 s37, -1
	s_cbranch_scc1 .LBB22_1893
; %bb.1888:
	s_cmp_gt_i32 s36, 6
	s_cbranch_scc0 .LBB22_1890
; %bb.1889:
	s_wait_xcnt 0x0
	v_mov_b64_e32 v[2:3], 0
	s_mov_b32 s37, 0
	global_store_b64 v[0:1], v[2:3], off
.LBB22_1890:
	s_and_not1_b32 vcc_lo, exec_lo, s37
	s_cbranch_vccnz .LBB22_1892
; %bb.1891:
	s_wait_xcnt 0x0
	v_mov_b32_e32 v2, 0
	global_store_b32 v[0:1], v2, off
.LBB22_1892:
	s_mov_b32 s37, 0
.LBB22_1893:
	s_delay_alu instid0(SALU_CYCLE_1)
	s_and_not1_b32 vcc_lo, exec_lo, s37
	s_cbranch_vccnz .LBB22_1895
; %bb.1894:
	s_wait_xcnt 0x0
	v_mov_b32_e32 v2, 0
	global_store_b16 v[0:1], v2, off
.LBB22_1895:
	s_mov_b32 s37, 0
.LBB22_1896:
	s_delay_alu instid0(SALU_CYCLE_1)
	s_and_not1_b32 vcc_lo, exec_lo, s37
	s_cbranch_vccnz .LBB22_1912
; %bb.1897:
	s_cmp_lt_i32 s36, 2
	s_mov_b32 s37, -1
	s_cbranch_scc1 .LBB22_1907
; %bb.1898:
	s_cmp_lt_i32 s36, 3
	s_cbranch_scc1 .LBB22_1904
; %bb.1899:
	s_cmp_gt_i32 s36, 3
	s_cbranch_scc0 .LBB22_1901
; %bb.1900:
	s_wait_xcnt 0x0
	v_mov_b64_e32 v[2:3], 0
	s_mov_b32 s37, 0
	global_store_b64 v[0:1], v[2:3], off
.LBB22_1901:
	s_and_not1_b32 vcc_lo, exec_lo, s37
	s_cbranch_vccnz .LBB22_1903
; %bb.1902:
	s_wait_xcnt 0x0
	v_mov_b32_e32 v2, 0
	global_store_b32 v[0:1], v2, off
.LBB22_1903:
	s_mov_b32 s37, 0
.LBB22_1904:
	s_delay_alu instid0(SALU_CYCLE_1)
	s_and_not1_b32 vcc_lo, exec_lo, s37
	s_cbranch_vccnz .LBB22_1906
; %bb.1905:
	s_wait_xcnt 0x0
	v_mov_b32_e32 v2, 0
	global_store_b16 v[0:1], v2, off
.LBB22_1906:
	s_mov_b32 s37, 0
.LBB22_1907:
	s_delay_alu instid0(SALU_CYCLE_1)
	s_and_not1_b32 vcc_lo, exec_lo, s37
	s_cbranch_vccnz .LBB22_1912
; %bb.1908:
	s_cmp_gt_i32 s36, 0
	s_mov_b32 s36, -1
	s_cbranch_scc0 .LBB22_1910
; %bb.1909:
	s_wait_xcnt 0x0
	v_mov_b32_e32 v2, 0
	s_mov_b32 s36, 0
	global_store_b8 v[0:1], v2, off
.LBB22_1910:
	s_and_not1_b32 vcc_lo, exec_lo, s36
	s_cbranch_vccnz .LBB22_1912
; %bb.1911:
	s_wait_xcnt 0x0
	v_mov_b32_e32 v2, 0
	global_store_b8 v[0:1], v2, off
.LBB22_1912:
	s_mov_b32 s38, -1
.LBB22_1913:
	s_delay_alu instid0(SALU_CYCLE_1)
	s_and_not1_b32 vcc_lo, exec_lo, s38
	s_cbranch_vccnz .LBB22_1915
; %bb.1914:
	v_add_nc_u32_e32 v22, 0x80, v22
	s_mov_b32 s37, -1
	s_branch .LBB22_1916
.LBB22_1915:
	s_mov_b32 s37, 0
                                        ; implicit-def: $vgpr22
.LBB22_1916:
	s_and_b32 s36, s27, exec_lo
	s_and_not1_b32 s0, s0, exec_lo
	s_and_b32 s27, s37, exec_lo
.LBB22_1917:
	s_wait_xcnt 0x0
	s_or_b32 exec_lo, exec_lo, s1
	s_delay_alu instid0(SALU_CYCLE_1)
	s_and_b32 s36, s36, exec_lo
	s_and_b32 s0, s0, exec_lo
	s_xor_b32 s1, exec_lo, -1
	s_and_b32 s27, s27, exec_lo
.LBB22_1918:
	s_or_b32 exec_lo, exec_lo, s58
	s_delay_alu instid0(SALU_CYCLE_1)
	s_and_b32 s38, s36, exec_lo
	s_and_b32 s37, s0, exec_lo
	;; [unrolled: 1-line block ×3, first 2 shown]
	s_xor_b32 s1, exec_lo, -1
	s_and_b32 s0, s27, exec_lo
.LBB22_1919:
	s_or_b32 exec_lo, exec_lo, s57
	s_delay_alu instid0(SALU_CYCLE_1)
	s_and_b32 s38, s38, exec_lo
	s_and_b32 s37, s37, exec_lo
	;; [unrolled: 1-line block ×4, first 2 shown]
	s_xor_b32 s1, exec_lo, -1
	s_and_b32 s0, s0, exec_lo
	s_or_b32 exec_lo, exec_lo, s54
	s_branch .LBB22_629
.LBB22_1920:
	s_mov_b32 s39, -1
	s_mov_b32 s38, 0
	s_mov_b32 s27, s54
	s_branch .LBB22_3512
.LBB22_1921:
	s_mov_b32 s83, -1
	s_mov_b32 s27, 0
.LBB22_1922:
                                        ; implicit-def: $vgpr6
.LBB22_1923:
	s_and_b32 vcc_lo, exec_lo, s36
	s_cbranch_vccz .LBB22_1927
; %bb.1924:
	s_cmp_eq_u32 s1, 44
	s_cbranch_scc0 .LBB22_1926
; %bb.1925:
	global_load_u8 v1, v[4:5], off
	s_mov_b32 s83, 0
	s_mov_b32 s27, -1
	s_wait_loadcnt 0x0
	v_lshlrev_b32_e32 v3, 23, v1
	v_cmp_ne_u32_e32 vcc_lo, 0, v1
	s_delay_alu instid0(VALU_DEP_2) | instskip(NEXT) | instid1(VALU_DEP_1)
	v_cvt_i32_f32_e32 v3, v3
	v_cndmask_b32_e32 v6, 0, v3, vcc_lo
	s_branch .LBB22_1927
.LBB22_1926:
	s_mov_b32 s83, -1
                                        ; implicit-def: $vgpr6
.LBB22_1927:
	s_mov_b32 s36, 0
.LBB22_1928:
	s_delay_alu instid0(SALU_CYCLE_1)
	s_and_b32 vcc_lo, exec_lo, s36
	s_cbranch_vccz .LBB22_1932
; %bb.1929:
	s_cmp_eq_u32 s1, 29
	s_cbranch_scc0 .LBB22_1931
; %bb.1930:
	global_load_b32 v6, v[4:5], off
	s_mov_b32 s27, -1
	s_mov_b32 s83, 0
	s_branch .LBB22_1932
.LBB22_1931:
	s_mov_b32 s83, -1
                                        ; implicit-def: $vgpr6
.LBB22_1932:
	s_mov_b32 s36, 0
.LBB22_1933:
	s_delay_alu instid0(SALU_CYCLE_1)
	s_and_b32 vcc_lo, exec_lo, s36
	s_cbranch_vccz .LBB22_1949
; %bb.1934:
	s_cmp_lt_i32 s1, 27
	s_cbranch_scc1 .LBB22_1937
; %bb.1935:
	s_cmp_gt_i32 s1, 27
	s_cbranch_scc0 .LBB22_1938
; %bb.1936:
	s_wait_loadcnt 0x0
	global_load_b32 v6, v[4:5], off
	s_mov_b32 s27, 0
	s_branch .LBB22_1939
.LBB22_1937:
	s_mov_b32 s27, -1
                                        ; implicit-def: $vgpr6
	s_branch .LBB22_1942
.LBB22_1938:
	s_mov_b32 s27, -1
                                        ; implicit-def: $vgpr6
.LBB22_1939:
	s_delay_alu instid0(SALU_CYCLE_1)
	s_and_not1_b32 vcc_lo, exec_lo, s27
	s_cbranch_vccnz .LBB22_1941
; %bb.1940:
	s_wait_loadcnt 0x0
	global_load_u16 v6, v[4:5], off
.LBB22_1941:
	s_mov_b32 s27, 0
.LBB22_1942:
	s_delay_alu instid0(SALU_CYCLE_1)
	s_and_not1_b32 vcc_lo, exec_lo, s27
	s_cbranch_vccnz .LBB22_1948
; %bb.1943:
	global_load_u8 v1, v[4:5], off
	s_mov_b32 s36, 0
	s_mov_b32 s27, exec_lo
	s_wait_loadcnt 0x0
	v_cmpx_lt_i16_e32 0x7f, v1
	s_xor_b32 s27, exec_lo, s27
	s_cbranch_execz .LBB22_1960
; %bb.1944:
	v_cmp_ne_u16_e32 vcc_lo, 0x80, v1
	s_and_b32 s36, vcc_lo, exec_lo
	s_and_not1_saveexec_b32 s27, s27
	s_cbranch_execnz .LBB22_1961
.LBB22_1945:
	s_or_b32 exec_lo, exec_lo, s27
	v_mov_b32_e32 v6, 0
	s_and_saveexec_b32 s27, s36
	s_cbranch_execz .LBB22_1947
.LBB22_1946:
	v_and_b32_e32 v3, 0xffff, v1
	s_delay_alu instid0(VALU_DEP_1) | instskip(SKIP_1) | instid1(VALU_DEP_2)
	v_and_b32_e32 v6, 7, v3
	v_bfe_u32 v11, v3, 3, 4
	v_clz_i32_u32_e32 v9, v6
	s_delay_alu instid0(VALU_DEP_2) | instskip(NEXT) | instid1(VALU_DEP_2)
	v_cmp_eq_u32_e32 vcc_lo, 0, v11
	v_min_u32_e32 v9, 32, v9
	s_delay_alu instid0(VALU_DEP_1) | instskip(NEXT) | instid1(VALU_DEP_1)
	v_subrev_nc_u32_e32 v10, 28, v9
	v_dual_lshlrev_b32 v3, v10, v3 :: v_dual_sub_nc_u32 v9, 29, v9
	s_delay_alu instid0(VALU_DEP_1) | instskip(NEXT) | instid1(VALU_DEP_1)
	v_dual_lshlrev_b32 v1, 24, v1 :: v_dual_bitop2_b32 v3, 7, v3 bitop3:0x40
	v_dual_cndmask_b32 v3, v6, v3, vcc_lo :: v_dual_cndmask_b32 v9, v11, v9, vcc_lo
	s_delay_alu instid0(VALU_DEP_2) | instskip(NEXT) | instid1(VALU_DEP_2)
	v_and_b32_e32 v1, 0x80000000, v1
	v_lshlrev_b32_e32 v3, 20, v3
	s_delay_alu instid0(VALU_DEP_3) | instskip(NEXT) | instid1(VALU_DEP_1)
	v_lshl_add_u32 v6, v9, 23, 0x3b800000
	v_or3_b32 v1, v1, v6, v3
	s_delay_alu instid0(VALU_DEP_1)
	v_cvt_i32_f32_e32 v6, v1
.LBB22_1947:
	s_or_b32 exec_lo, exec_lo, s27
.LBB22_1948:
	s_mov_b32 s27, -1
.LBB22_1949:
	s_mov_b32 s36, 0
.LBB22_1950:
	s_delay_alu instid0(SALU_CYCLE_1)
	s_and_b32 vcc_lo, exec_lo, s36
	s_cbranch_vccz .LBB22_1983
; %bb.1951:
	s_cmp_gt_i32 s1, 22
	s_cbranch_scc0 .LBB22_1959
; %bb.1952:
	s_cmp_lt_i32 s1, 24
	s_cbranch_scc1 .LBB22_1962
; %bb.1953:
	s_cmp_gt_i32 s1, 24
	s_cbranch_scc0 .LBB22_1963
; %bb.1954:
	global_load_u8 v1, v[4:5], off
	s_mov_b32 s36, 0
	s_mov_b32 s27, exec_lo
	s_wait_loadcnt 0x0
	v_cmpx_lt_i16_e32 0x7f, v1
	s_xor_b32 s27, exec_lo, s27
	s_cbranch_execz .LBB22_1975
; %bb.1955:
	v_cmp_ne_u16_e32 vcc_lo, 0x80, v1
	s_and_b32 s36, vcc_lo, exec_lo
	s_and_not1_saveexec_b32 s27, s27
	s_cbranch_execnz .LBB22_1976
.LBB22_1956:
	s_or_b32 exec_lo, exec_lo, s27
	v_mov_b32_e32 v6, 0
	s_and_saveexec_b32 s27, s36
	s_cbranch_execz .LBB22_1958
.LBB22_1957:
	v_and_b32_e32 v3, 0xffff, v1
	s_delay_alu instid0(VALU_DEP_1) | instskip(SKIP_1) | instid1(VALU_DEP_2)
	v_and_b32_e32 v6, 3, v3
	v_bfe_u32 v11, v3, 2, 5
	v_clz_i32_u32_e32 v9, v6
	s_delay_alu instid0(VALU_DEP_2) | instskip(NEXT) | instid1(VALU_DEP_2)
	v_cmp_eq_u32_e32 vcc_lo, 0, v11
	v_min_u32_e32 v9, 32, v9
	s_delay_alu instid0(VALU_DEP_1) | instskip(NEXT) | instid1(VALU_DEP_1)
	v_subrev_nc_u32_e32 v10, 29, v9
	v_dual_lshlrev_b32 v3, v10, v3 :: v_dual_sub_nc_u32 v9, 30, v9
	s_delay_alu instid0(VALU_DEP_1) | instskip(NEXT) | instid1(VALU_DEP_1)
	v_dual_lshlrev_b32 v1, 24, v1 :: v_dual_bitop2_b32 v3, 3, v3 bitop3:0x40
	v_dual_cndmask_b32 v3, v6, v3, vcc_lo :: v_dual_cndmask_b32 v9, v11, v9, vcc_lo
	s_delay_alu instid0(VALU_DEP_2) | instskip(NEXT) | instid1(VALU_DEP_2)
	v_and_b32_e32 v1, 0x80000000, v1
	v_lshlrev_b32_e32 v3, 21, v3
	s_delay_alu instid0(VALU_DEP_3) | instskip(NEXT) | instid1(VALU_DEP_1)
	v_lshl_add_u32 v6, v9, 23, 0x37800000
	v_or3_b32 v1, v1, v6, v3
	s_delay_alu instid0(VALU_DEP_1)
	v_cvt_i32_f32_e32 v6, v1
.LBB22_1958:
	s_or_b32 exec_lo, exec_lo, s27
	s_mov_b32 s27, 0
	s_branch .LBB22_1964
.LBB22_1959:
	s_mov_b32 s36, -1
                                        ; implicit-def: $vgpr6
	s_branch .LBB22_1970
.LBB22_1960:
	s_and_not1_saveexec_b32 s27, s27
	s_cbranch_execz .LBB22_1945
.LBB22_1961:
	v_cmp_ne_u16_e32 vcc_lo, 0, v1
	s_and_not1_b32 s36, s36, exec_lo
	s_and_b32 s37, vcc_lo, exec_lo
	s_delay_alu instid0(SALU_CYCLE_1)
	s_or_b32 s36, s36, s37
	s_or_b32 exec_lo, exec_lo, s27
	v_mov_b32_e32 v6, 0
	s_and_saveexec_b32 s27, s36
	s_cbranch_execnz .LBB22_1946
	s_branch .LBB22_1947
.LBB22_1962:
	s_mov_b32 s27, -1
                                        ; implicit-def: $vgpr6
	s_branch .LBB22_1967
.LBB22_1963:
	s_mov_b32 s27, -1
                                        ; implicit-def: $vgpr6
.LBB22_1964:
	s_delay_alu instid0(SALU_CYCLE_1)
	s_and_b32 vcc_lo, exec_lo, s27
	s_cbranch_vccz .LBB22_1966
; %bb.1965:
	global_load_u8 v1, v[4:5], off
	s_wait_loadcnt 0x0
	v_lshlrev_b32_e32 v1, 24, v1
	s_delay_alu instid0(VALU_DEP_1) | instskip(NEXT) | instid1(VALU_DEP_1)
	v_and_b32_e32 v3, 0x7f000000, v1
	v_clz_i32_u32_e32 v6, v3
	v_cmp_ne_u32_e32 vcc_lo, 0, v3
	v_add_nc_u32_e32 v10, 0x1000000, v3
	s_delay_alu instid0(VALU_DEP_3) | instskip(NEXT) | instid1(VALU_DEP_1)
	v_min_u32_e32 v6, 32, v6
	v_sub_nc_u32_e64 v6, v6, 4 clamp
	s_delay_alu instid0(VALU_DEP_1) | instskip(NEXT) | instid1(VALU_DEP_1)
	v_dual_lshlrev_b32 v9, v6, v3 :: v_dual_lshlrev_b32 v6, 23, v6
	v_lshrrev_b32_e32 v9, 4, v9
	s_delay_alu instid0(VALU_DEP_1) | instskip(SKIP_1) | instid1(VALU_DEP_2)
	v_sub_nc_u32_e32 v6, v9, v6
	v_ashrrev_i32_e32 v9, 8, v10
	v_add_nc_u32_e32 v6, 0x3c000000, v6
	s_delay_alu instid0(VALU_DEP_1) | instskip(NEXT) | instid1(VALU_DEP_1)
	v_and_or_b32 v6, 0x7f800000, v9, v6
	v_cndmask_b32_e32 v3, 0, v6, vcc_lo
	s_delay_alu instid0(VALU_DEP_1) | instskip(NEXT) | instid1(VALU_DEP_1)
	v_and_or_b32 v1, 0x80000000, v1, v3
	v_cvt_i32_f32_e32 v6, v1
.LBB22_1966:
	s_mov_b32 s27, 0
.LBB22_1967:
	s_delay_alu instid0(SALU_CYCLE_1)
	s_and_not1_b32 vcc_lo, exec_lo, s27
	s_cbranch_vccnz .LBB22_1969
; %bb.1968:
	global_load_u8 v1, v[4:5], off
	s_wait_loadcnt 0x0
	v_lshlrev_b32_e32 v3, 25, v1
	v_lshlrev_b16 v1, 8, v1
	s_delay_alu instid0(VALU_DEP_1) | instskip(NEXT) | instid1(VALU_DEP_3)
	v_and_or_b32 v9, 0x7f00, v1, 0.5
	v_lshrrev_b32_e32 v6, 4, v3
	v_bfe_i32 v1, v1, 0, 16
	s_delay_alu instid0(VALU_DEP_3) | instskip(NEXT) | instid1(VALU_DEP_3)
	v_add_f32_e32 v9, -0.5, v9
	v_or_b32_e32 v6, 0x70000000, v6
	s_delay_alu instid0(VALU_DEP_1) | instskip(SKIP_1) | instid1(VALU_DEP_2)
	v_mul_f32_e32 v6, 0x7800000, v6
	v_cmp_gt_u32_e32 vcc_lo, 0x8000000, v3
	v_cndmask_b32_e32 v3, v6, v9, vcc_lo
	s_delay_alu instid0(VALU_DEP_1) | instskip(NEXT) | instid1(VALU_DEP_1)
	v_and_or_b32 v1, 0x80000000, v1, v3
	v_cvt_i32_f32_e32 v6, v1
.LBB22_1969:
	s_mov_b32 s36, 0
	s_mov_b32 s27, -1
.LBB22_1970:
	s_and_not1_b32 vcc_lo, exec_lo, s36
	s_cbranch_vccnz .LBB22_1983
; %bb.1971:
	s_cmp_gt_i32 s1, 14
	s_cbranch_scc0 .LBB22_1974
; %bb.1972:
	s_cmp_eq_u32 s1, 15
	s_cbranch_scc0 .LBB22_1977
; %bb.1973:
	global_load_u16 v1, v[4:5], off
	s_mov_b32 s27, -1
	s_mov_b32 s83, 0
	s_wait_loadcnt 0x0
	v_lshlrev_b32_e32 v1, 16, v1
	s_delay_alu instid0(VALU_DEP_1)
	v_cvt_i32_f32_e32 v6, v1
	s_branch .LBB22_1978
.LBB22_1974:
	s_mov_b32 s36, -1
                                        ; implicit-def: $vgpr6
	s_branch .LBB22_1979
.LBB22_1975:
	s_and_not1_saveexec_b32 s27, s27
	s_cbranch_execz .LBB22_1956
.LBB22_1976:
	v_cmp_ne_u16_e32 vcc_lo, 0, v1
	s_and_not1_b32 s36, s36, exec_lo
	s_and_b32 s37, vcc_lo, exec_lo
	s_delay_alu instid0(SALU_CYCLE_1)
	s_or_b32 s36, s36, s37
	s_or_b32 exec_lo, exec_lo, s27
	v_mov_b32_e32 v6, 0
	s_and_saveexec_b32 s27, s36
	s_cbranch_execnz .LBB22_1957
	s_branch .LBB22_1958
.LBB22_1977:
	s_mov_b32 s83, -1
                                        ; implicit-def: $vgpr6
.LBB22_1978:
	s_mov_b32 s36, 0
.LBB22_1979:
	s_delay_alu instid0(SALU_CYCLE_1)
	s_and_b32 vcc_lo, exec_lo, s36
	s_cbranch_vccz .LBB22_1983
; %bb.1980:
	s_cmp_eq_u32 s1, 11
	s_cbranch_scc0 .LBB22_1982
; %bb.1981:
	global_load_u8 v1, v[4:5], off
	s_mov_b32 s83, 0
	s_mov_b32 s27, -1
	s_wait_loadcnt 0x0
	v_cmp_ne_u16_e32 vcc_lo, 0, v1
	v_cndmask_b32_e64 v6, 0, 1, vcc_lo
	s_branch .LBB22_1983
.LBB22_1982:
	s_mov_b32 s83, -1
                                        ; implicit-def: $vgpr6
.LBB22_1983:
	s_mov_b32 s1, 0
.LBB22_1984:
	s_delay_alu instid0(SALU_CYCLE_1)
	s_and_b32 vcc_lo, exec_lo, s1
	s_cbranch_vccz .LBB22_2033
; %bb.1985:
	s_and_b32 s0, 0xffff, s0
	s_delay_alu instid0(SALU_CYCLE_1)
	s_cmp_lt_i32 s0, 5
	s_cbranch_scc1 .LBB22_1990
; %bb.1986:
	s_cmp_lt_i32 s0, 8
	s_cbranch_scc1 .LBB22_1991
; %bb.1987:
	;; [unrolled: 3-line block ×3, first 2 shown]
	s_cmp_gt_i32 s0, 9
	s_cbranch_scc0 .LBB22_1993
; %bb.1989:
	global_load_b64 v[10:11], v[4:5], off
	s_mov_b32 s1, 0
	s_wait_loadcnt 0x0
	v_cvt_i32_f64_e32 v6, v[10:11]
	s_branch .LBB22_1994
.LBB22_1990:
	s_mov_b32 s1, -1
                                        ; implicit-def: $vgpr6
	s_branch .LBB22_2012
.LBB22_1991:
	s_mov_b32 s1, -1
                                        ; implicit-def: $vgpr6
	s_branch .LBB22_2000
.LBB22_1992:
	s_mov_b32 s1, -1
                                        ; implicit-def: $vgpr6
	s_branch .LBB22_1997
.LBB22_1993:
	s_mov_b32 s1, -1
                                        ; implicit-def: $vgpr6
.LBB22_1994:
	s_delay_alu instid0(SALU_CYCLE_1)
	s_and_not1_b32 vcc_lo, exec_lo, s1
	s_cbranch_vccnz .LBB22_1996
; %bb.1995:
	global_load_b32 v1, v[4:5], off
	s_wait_loadcnt 0x0
	v_cvt_i32_f32_e32 v6, v1
.LBB22_1996:
	s_mov_b32 s1, 0
.LBB22_1997:
	s_delay_alu instid0(SALU_CYCLE_1)
	s_and_not1_b32 vcc_lo, exec_lo, s1
	s_cbranch_vccnz .LBB22_1999
; %bb.1998:
	global_load_b32 v1, v[4:5], off
	s_wait_loadcnt 0x0
	v_cvt_f32_f16_e32 v1, v1
	s_delay_alu instid0(VALU_DEP_1)
	v_cvt_i32_f32_e32 v6, v1
.LBB22_1999:
	s_mov_b32 s1, 0
.LBB22_2000:
	s_delay_alu instid0(SALU_CYCLE_1)
	s_and_not1_b32 vcc_lo, exec_lo, s1
	s_cbranch_vccnz .LBB22_2011
; %bb.2001:
	s_cmp_lt_i32 s0, 6
	s_cbranch_scc1 .LBB22_2004
; %bb.2002:
	s_cmp_gt_i32 s0, 6
	s_cbranch_scc0 .LBB22_2005
; %bb.2003:
	global_load_b64 v[10:11], v[4:5], off
	s_mov_b32 s1, 0
	s_wait_loadcnt 0x0
	v_cvt_i32_f64_e32 v6, v[10:11]
	s_branch .LBB22_2006
.LBB22_2004:
	s_mov_b32 s1, -1
                                        ; implicit-def: $vgpr6
	s_branch .LBB22_2009
.LBB22_2005:
	s_mov_b32 s1, -1
                                        ; implicit-def: $vgpr6
.LBB22_2006:
	s_delay_alu instid0(SALU_CYCLE_1)
	s_and_not1_b32 vcc_lo, exec_lo, s1
	s_cbranch_vccnz .LBB22_2008
; %bb.2007:
	global_load_b32 v1, v[4:5], off
	s_wait_loadcnt 0x0
	v_cvt_i32_f32_e32 v6, v1
.LBB22_2008:
	s_mov_b32 s1, 0
.LBB22_2009:
	s_delay_alu instid0(SALU_CYCLE_1)
	s_and_not1_b32 vcc_lo, exec_lo, s1
	s_cbranch_vccnz .LBB22_2011
; %bb.2010:
	global_load_u16 v1, v[4:5], off
	s_wait_loadcnt 0x0
	v_cvt_f32_f16_e32 v1, v1
	s_delay_alu instid0(VALU_DEP_1)
	v_cvt_i32_f32_e32 v6, v1
.LBB22_2011:
	s_mov_b32 s1, 0
.LBB22_2012:
	s_delay_alu instid0(SALU_CYCLE_1)
	s_and_not1_b32 vcc_lo, exec_lo, s1
	s_cbranch_vccnz .LBB22_2032
; %bb.2013:
	s_cmp_lt_i32 s0, 2
	s_cbranch_scc1 .LBB22_2017
; %bb.2014:
	s_cmp_lt_i32 s0, 3
	s_cbranch_scc1 .LBB22_2018
; %bb.2015:
	s_cmp_gt_i32 s0, 3
	s_cbranch_scc0 .LBB22_2019
; %bb.2016:
	s_wait_loadcnt 0x0
	global_load_b32 v6, v[4:5], off
	s_mov_b32 s1, 0
	s_branch .LBB22_2020
.LBB22_2017:
	s_mov_b32 s1, -1
                                        ; implicit-def: $vgpr6
	s_branch .LBB22_2026
.LBB22_2018:
	s_mov_b32 s1, -1
                                        ; implicit-def: $vgpr6
	s_branch .LBB22_2023
.LBB22_2019:
	s_mov_b32 s1, -1
                                        ; implicit-def: $vgpr6
.LBB22_2020:
	s_delay_alu instid0(SALU_CYCLE_1)
	s_and_not1_b32 vcc_lo, exec_lo, s1
	s_cbranch_vccnz .LBB22_2022
; %bb.2021:
	s_wait_loadcnt 0x0
	global_load_b32 v6, v[4:5], off
.LBB22_2022:
	s_mov_b32 s1, 0
.LBB22_2023:
	s_delay_alu instid0(SALU_CYCLE_1)
	s_and_not1_b32 vcc_lo, exec_lo, s1
	s_cbranch_vccnz .LBB22_2025
; %bb.2024:
	s_wait_loadcnt 0x0
	global_load_i16 v6, v[4:5], off
.LBB22_2025:
	s_mov_b32 s1, 0
.LBB22_2026:
	s_delay_alu instid0(SALU_CYCLE_1)
	s_and_not1_b32 vcc_lo, exec_lo, s1
	s_cbranch_vccnz .LBB22_2032
; %bb.2027:
	s_cmp_gt_i32 s0, 0
	s_mov_b32 s0, 0
	s_cbranch_scc0 .LBB22_2029
; %bb.2028:
	s_wait_loadcnt 0x0
	global_load_i8 v6, v[4:5], off
	s_branch .LBB22_2030
.LBB22_2029:
	s_mov_b32 s0, -1
                                        ; implicit-def: $vgpr6
.LBB22_2030:
	s_delay_alu instid0(SALU_CYCLE_1)
	s_and_not1_b32 vcc_lo, exec_lo, s0
	s_cbranch_vccnz .LBB22_2032
; %bb.2031:
	s_wait_loadcnt 0x0
	global_load_u8 v6, v[4:5], off
.LBB22_2032:
	s_mov_b32 s27, -1
.LBB22_2033:
	s_delay_alu instid0(SALU_CYCLE_1)
	s_and_not1_b32 vcc_lo, exec_lo, s27
	s_cbranch_vccnz .LBB22_2044
; %bb.2034:
	s_wait_loadcnt 0x0
	v_cmp_eq_u32_e32 vcc_lo, s29, v7
	s_mov_b32 s0, 0
	s_mov_b32 s37, -1
	s_mov_b32 s38, s72
	s_mov_b32 s36, s76
	s_and_b32 s39, s51, vcc_lo
	s_mov_b32 s27, s75
	s_mov_b32 s1, s74
	s_wait_xcnt 0x0
	s_and_saveexec_b32 s84, s39
	s_cbranch_execz .LBB22_4195
; %bb.2035:
	v_cmp_eq_u32_e32 vcc_lo, s18, v8
	s_mov_b32 s36, -1
	s_mov_b32 s37, s76
	s_mov_b32 s27, s75
	s_mov_b32 s38, s74
	s_and_b32 s1, s50, vcc_lo
	s_delay_alu instid0(SALU_CYCLE_1)
	s_and_saveexec_b32 s85, s1
	s_cbranch_execz .LBB22_3681
; %bb.2036:
	v_sub_nc_u32_e32 v1, v2, v0
	s_mov_b32 s1, 0
	s_mov_b32 s27, -1
	s_mov_b32 s37, s74
	s_delay_alu instid0(VALU_DEP_1) | instskip(SKIP_4) | instid1(SALU_CYCLE_1)
	v_cmp_le_i32_e32 vcc_lo, s29, v1
	v_cmp_ge_i32_e64 s0, s16, v1
	s_and_b32 s36, vcc_lo, s0
	s_mov_b32 s0, s75
	s_and_b32 s36, s49, s36
	s_and_saveexec_b32 s86, s36
	s_cbranch_execz .LBB22_3680
; %bb.2037:
	v_mov_b64_e32 v[4:5], 0
	s_and_not1_b32 vcc_lo, exec_lo, s17
	s_cbranch_vccnz .LBB22_2060
; %bb.2038:
	v_ashrrev_i32_e32 v7, 31, v6
	s_mov_b32 s27, s1
	v_mov_b64_e32 v[4:5], 0
	s_lshl_b64 s[38:39], s[26:27], 3
	s_mov_b64 s[36:37], 0xffffffff
	v_mul_u64_e32 v[8:9], s[18:19], v[6:7]
	v_mov_b32_e32 v6, 0
	s_add_nc_u64 s[38:39], s[24:25], s[38:39]
	s_mov_b32 s27, s48
	s_add_nc_u64 s[38:39], s[38:39], 0x68
	s_branch .LBB22_2040
.LBB22_2039:                            ;   in Loop: Header=BB22_2040 Depth=1
	s_or_b32 exec_lo, exec_lo, s0
	s_delay_alu instid0(VALU_DEP_1)
	v_mul_u64_e32 v[12:13], s[40:41], v[10:11]
	s_load_b64 s[40:41], s[38:39], 0x40
	s_add_co_i32 s27, s27, -1
	s_wait_xcnt 0x0
	s_add_nc_u64 s[38:39], s[38:39], -8
	s_cmp_lg_u32 s27, 0
	s_delay_alu instid0(VALU_DEP_1) | instskip(SKIP_1) | instid1(VALU_DEP_1)
	v_sub_nc_u64_e32 v[8:9], v[8:9], v[12:13]
	s_wait_kmcnt 0x0
	v_mad_nc_u64_u32 v[4:5], v8, s40, v[4:5]
	s_delay_alu instid0(VALU_DEP_1) | instskip(NEXT) | instid1(VALU_DEP_1)
	v_mad_u32 v1, v9, s40, v5
	v_mad_u32 v5, v8, s41, v1
	v_mov_b64_e32 v[8:9], v[10:11]
	s_cbranch_scc0 .LBB22_2060
.LBB22_2040:                            ; =>This Inner Loop Header: Depth=1
	s_load_b64 s[40:41], s[38:39], 0x0
                                        ; implicit-def: $vgpr10_vgpr11
	s_mov_b32 s0, exec_lo
	s_wait_kmcnt 0x0
	s_delay_alu instid0(VALU_DEP_1) | instskip(NEXT) | instid1(VALU_DEP_1)
	v_or_b32_e32 v7, s41, v9
	v_cmpx_ne_u64_e32 0, v[6:7]
	s_xor_b32 s87, exec_lo, s0
	s_cbranch_execz .LBB22_2042
; %bb.2041:                             ;   in Loop: Header=BB22_2040 Depth=1
	s_ashr_i32 s42, s41, 31
	v_dual_mov_b32 v15, v6 :: v_dual_ashrrev_i32 v10, 31, v9
	s_mov_b32 s43, s42
	v_mov_b32_e32 v25, v6
	s_add_nc_u64 s[44:45], s[40:41], s[42:43]
	s_delay_alu instid0(VALU_DEP_2) | instskip(SKIP_1) | instid1(SALU_CYCLE_1)
	v_mov_b32_e32 v11, v10
	s_xor_b64 s[44:45], s[44:45], s[42:43]
	s_cvt_f32_u32 s0, s44
	s_cvt_f32_u32 s43, s45
	s_sub_nc_u64 s[90:91], 0, s[44:45]
	v_add_nc_u64_e32 v[12:13], v[8:9], v[10:11]
	v_mov_b32_e32 v19, v6
	s_fmamk_f32 s0, s43, 0x4f800000, s0
	s_delay_alu instid0(SALU_CYCLE_3) | instskip(NEXT) | instid1(VALU_DEP_2)
	v_s_rcp_f32 s0, s0
	v_xor_b32_e32 v14, v12, v10
	s_delay_alu instid0(VALU_DEP_3) | instskip(NEXT) | instid1(TRANS32_DEP_1)
	v_xor_b32_e32 v18, v13, v10
	s_mul_f32 s0, s0, 0x5f7ffffc
	s_delay_alu instid0(SALU_CYCLE_3) | instskip(NEXT) | instid1(SALU_CYCLE_3)
	s_mul_f32 s43, s0, 0x2f800000
	s_trunc_f32 s43, s43
	s_delay_alu instid0(SALU_CYCLE_3) | instskip(SKIP_1) | instid1(SALU_CYCLE_2)
	s_fmamk_f32 s0, s43, 0xcf800000, s0
	s_cvt_u32_f32 s89, s43
	s_cvt_u32_f32 s88, s0
	s_delay_alu instid0(SALU_CYCLE_3) | instskip(NEXT) | instid1(SALU_CYCLE_1)
	s_mul_u64 s[92:93], s[90:91], s[88:89]
	s_mul_hi_u32 s95, s88, s93
	s_mul_i32 s94, s88, s93
	s_mul_hi_u32 s0, s88, s92
	s_mul_i32 s96, s89, s92
	s_add_nc_u64 s[94:95], s[0:1], s[94:95]
	s_mul_hi_u32 s43, s89, s92
	s_mul_hi_u32 s97, s89, s93
	s_add_co_u32 s0, s94, s96
	s_add_co_ci_u32 s0, s95, s43
	s_mul_i32 s92, s89, s93
	s_add_co_ci_u32 s93, s97, 0
	s_delay_alu instid0(SALU_CYCLE_1) | instskip(NEXT) | instid1(SALU_CYCLE_1)
	s_add_nc_u64 s[92:93], s[0:1], s[92:93]
	s_add_co_u32 s88, s88, s92
	s_cselect_b32 s0, -1, 0
	s_delay_alu instid0(SALU_CYCLE_1) | instskip(SKIP_1) | instid1(SALU_CYCLE_1)
	s_cmp_lg_u32 s0, 0
	s_add_co_ci_u32 s89, s89, s93
	s_mul_u64 s[90:91], s[90:91], s[88:89]
	s_delay_alu instid0(SALU_CYCLE_1)
	s_mul_hi_u32 s93, s88, s91
	s_mul_i32 s92, s88, s91
	s_mul_hi_u32 s0, s88, s90
	s_mul_i32 s94, s89, s90
	s_add_nc_u64 s[92:93], s[0:1], s[92:93]
	s_mul_hi_u32 s43, s89, s90
	s_mul_hi_u32 s95, s89, s91
	s_add_co_u32 s0, s92, s94
	s_add_co_ci_u32 s0, s93, s43
	s_mul_i32 s90, s89, s91
	s_add_co_ci_u32 s91, s95, 0
	s_delay_alu instid0(SALU_CYCLE_1) | instskip(NEXT) | instid1(SALU_CYCLE_1)
	s_add_nc_u64 s[90:91], s[0:1], s[90:91]
	s_add_co_u32 s88, s88, s90
	s_cselect_b32 s0, -1, 0
	v_mul_hi_u32 v24, v14, s88
	s_cmp_lg_u32 s0, 0
	s_add_co_ci_u32 s0, s89, s91
	s_and_b64 s[90:91], s[88:89], s[36:37]
	v_mul_u64_e32 v[16:17], s[0:1], v[14:15]
	v_mul_u64_e32 v[12:13], s[90:91], v[18:19]
	;; [unrolled: 1-line block ×3, first 2 shown]
	s_delay_alu instid0(VALU_DEP_3) | instskip(NEXT) | instid1(VALU_DEP_1)
	v_add_nc_u64_e32 v[16:17], v[24:25], v[16:17]
	v_add_co_u32 v1, vcc_lo, v16, v12
	s_delay_alu instid0(VALU_DEP_2) | instskip(NEXT) | instid1(VALU_DEP_4)
	v_add_co_ci_u32_e32 v24, vcc_lo, v17, v13, vcc_lo
	v_add_co_ci_u32_e32 v21, vcc_lo, 0, v21, vcc_lo
	s_delay_alu instid0(VALU_DEP_1) | instskip(NEXT) | instid1(VALU_DEP_1)
	v_add_nc_u64_e32 v[12:13], v[24:25], v[20:21]
	v_mul_u64_e32 v[16:17], s[44:45], v[12:13]
	s_delay_alu instid0(VALU_DEP_1) | instskip(NEXT) | instid1(VALU_DEP_2)
	v_sub_nc_u32_e32 v1, v18, v17
	v_sub_co_u32 v3, vcc_lo, v14, v16
	s_delay_alu instid0(VALU_DEP_1) | instskip(NEXT) | instid1(VALU_DEP_3)
	v_sub_co_ci_u32_e64 v11, null, v18, v17, vcc_lo
	v_subrev_co_ci_u32_e64 v1, null, s45, v1, vcc_lo
	s_delay_alu instid0(VALU_DEP_3) | instskip(SKIP_1) | instid1(VALU_DEP_3)
	v_sub_co_u32 v7, s0, v3, s44
	v_add_nc_u64_e32 v[16:17], 1, v[12:13]
	v_subrev_co_ci_u32_e64 v1, null, 0, v1, s0
	s_delay_alu instid0(VALU_DEP_3) | instskip(SKIP_1) | instid1(VALU_DEP_3)
	v_cmp_le_u32_e32 vcc_lo, s44, v7
	v_cndmask_b32_e64 v7, 0, -1, vcc_lo
	v_cmp_le_u32_e32 vcc_lo, s45, v1
	v_cndmask_b32_e64 v14, 0, -1, vcc_lo
	;; [unrolled: 2-line block ×4, first 2 shown]
	v_cmp_eq_u32_e32 vcc_lo, s45, v1
	v_cndmask_b32_e32 v1, v14, v7, vcc_lo
	v_cmp_eq_u32_e32 vcc_lo, s45, v11
	v_add_nc_u64_e32 v[14:15], 2, v[12:13]
	v_cndmask_b32_e32 v3, v18, v3, vcc_lo
	s_delay_alu instid0(VALU_DEP_4) | instskip(NEXT) | instid1(VALU_DEP_2)
	v_cmp_ne_u32_e32 vcc_lo, 0, v1
	v_cmp_ne_u32_e64 s0, 0, v3
	s_delay_alu instid0(VALU_DEP_4) | instskip(NEXT) | instid1(VALU_DEP_1)
	v_dual_cndmask_b32 v1, v17, v15, vcc_lo :: v_dual_cndmask_b32 v3, v16, v14, vcc_lo
	v_dual_cndmask_b32 v1, v13, v1, s0 :: v_dual_bitop2_b32 v10, s42, v10 bitop3:0x14
	s_delay_alu instid0(VALU_DEP_1) | instskip(NEXT) | instid1(VALU_DEP_2)
	v_dual_cndmask_b32 v3, v12, v3, s0 :: v_dual_mov_b32 v11, v10
	v_xor_b32_e32 v13, v1, v10
	s_delay_alu instid0(VALU_DEP_2) | instskip(NEXT) | instid1(VALU_DEP_1)
	v_xor_b32_e32 v12, v3, v10
	v_sub_nc_u64_e32 v[10:11], v[12:13], v[10:11]
.LBB22_2042:                            ;   in Loop: Header=BB22_2040 Depth=1
	s_and_not1_saveexec_b32 s0, s87
	s_cbranch_execz .LBB22_2039
; %bb.2043:                             ;   in Loop: Header=BB22_2040 Depth=1
	v_cvt_f32_u32_e32 v1, s40
	s_sub_co_i32 s42, 0, s40
	v_mov_b32_e32 v11, v6
	s_delay_alu instid0(VALU_DEP_2) | instskip(SKIP_1) | instid1(TRANS32_DEP_1)
	v_rcp_iflag_f32_e32 v1, v1
	v_nop
	v_mul_f32_e32 v1, 0x4f7ffffe, v1
	s_delay_alu instid0(VALU_DEP_1) | instskip(NEXT) | instid1(VALU_DEP_1)
	v_cvt_u32_f32_e32 v1, v1
	v_mul_lo_u32 v3, s42, v1
	s_delay_alu instid0(VALU_DEP_1) | instskip(NEXT) | instid1(VALU_DEP_1)
	v_mul_hi_u32 v3, v1, v3
	v_add_nc_u32_e32 v1, v1, v3
	s_delay_alu instid0(VALU_DEP_1) | instskip(NEXT) | instid1(VALU_DEP_1)
	v_mul_hi_u32 v1, v8, v1
	v_mul_lo_u32 v3, v1, s40
	s_delay_alu instid0(VALU_DEP_1) | instskip(NEXT) | instid1(VALU_DEP_1)
	v_sub_nc_u32_e32 v3, v8, v3
	v_subrev_nc_u32_e32 v10, s40, v3
	v_cmp_le_u32_e32 vcc_lo, s40, v3
	s_delay_alu instid0(VALU_DEP_2) | instskip(NEXT) | instid1(VALU_DEP_1)
	v_dual_add_nc_u32 v7, 1, v1 :: v_dual_cndmask_b32 v3, v3, v10, vcc_lo
	v_cndmask_b32_e32 v1, v1, v7, vcc_lo
	s_delay_alu instid0(VALU_DEP_2) | instskip(NEXT) | instid1(VALU_DEP_2)
	v_cmp_le_u32_e32 vcc_lo, s40, v3
	v_add_nc_u32_e32 v7, 1, v1
	s_delay_alu instid0(VALU_DEP_1)
	v_cndmask_b32_e32 v10, v1, v7, vcc_lo
	s_branch .LBB22_2039
.LBB22_2044:
	s_mov_b32 s0, 0
	s_mov_b32 s1, s74
	;; [unrolled: 1-line block ×6, first 2 shown]
.LBB22_2045:
                                        ; implicit-def: $vgpr22
.LBB22_2046:
	s_and_not1_b32 s39, s74, exec_lo
	s_and_b32 s1, s1, exec_lo
	s_and_not1_b32 s40, s75, exec_lo
	s_and_b32 s27, s27, exec_lo
	s_or_b32 s43, s39, s1
	s_or_b32 s40, s40, s27
	s_and_not1_b32 s1, s76, exec_lo
	s_and_b32 s27, s36, exec_lo
	s_and_not1_b32 s36, s72, exec_lo
	s_and_b32 s38, s38, exec_lo
	s_or_b32 s42, s1, s27
	s_or_b32 s38, s36, s38
	;; [unrolled: 6-line block ×5, first 2 shown]
	s_or_not1_b32 s80, s0, exec_lo
.LBB22_2047:
	s_wait_xcnt 0x0
	s_or_b32 exec_lo, exec_lo, s78
	s_mov_b32 s45, 0
	s_mov_b32 s78, 0
	;; [unrolled: 1-line block ×3, first 2 shown]
                                        ; implicit-def: $sgpr0
                                        ; implicit-def: $vgpr0_vgpr1
                                        ; implicit-def: $vgpr7
	s_and_saveexec_b32 s44, s80
	s_cbranch_execz .LBB22_2138
; %bb.2048:
	v_cmp_gt_i32_e32 vcc_lo, s55, v22
	s_mov_b32 s55, 0
	s_mov_b32 s80, s1
                                        ; implicit-def: $sgpr0
                                        ; implicit-def: $vgpr0_vgpr1
                                        ; implicit-def: $vgpr7
	s_and_saveexec_b32 s45, vcc_lo
	s_cbranch_execz .LBB22_2137
; %bb.2049:
	s_wait_loadcnt 0x0
	v_mul_lo_u32 v0, s20, v22
	s_and_b32 s0, s56, 0xff
	s_delay_alu instid0(SALU_CYCLE_1) | instskip(NEXT) | instid1(VALU_DEP_1)
	s_cmp_lt_i32 s0, 11
	v_ashrrev_i32_e32 v1, 31, v0
	s_delay_alu instid0(VALU_DEP_1)
	v_add_nc_u64_e32 v[0:1], s[4:5], v[0:1]
	s_cbranch_scc1 .LBB22_2056
; %bb.2050:
	s_and_b32 s5, 0xffff, s0
	s_mov_b32 s20, 0
	s_cmp_gt_i32 s5, 25
	s_cbranch_scc0 .LBB22_2057
; %bb.2051:
	s_cmp_gt_i32 s5, 28
	s_cbranch_scc0 .LBB22_2058
; %bb.2052:
	;; [unrolled: 3-line block ×4, first 2 shown]
	s_cmp_eq_u32 s5, 46
	s_mov_b32 s56, 0
	s_cbranch_scc0 .LBB22_2075
; %bb.2055:
	global_load_b32 v2, v[0:1], off
	s_mov_b32 s4, 0
	s_mov_b32 s55, -1
	s_wait_loadcnt 0x0
	v_lshlrev_b32_e32 v2, 16, v2
	s_delay_alu instid0(VALU_DEP_1)
	v_cvt_i32_f32_e32 v7, v2
	s_branch .LBB22_2077
.LBB22_2056:
	s_mov_b32 s5, -1
	s_mov_b32 s20, 0
	s_mov_b32 s4, s1
                                        ; implicit-def: $vgpr7
	s_branch .LBB22_2136
.LBB22_2057:
	s_mov_b32 s56, -1
	s_mov_b32 s4, s1
                                        ; implicit-def: $vgpr7
	s_branch .LBB22_2104
.LBB22_2058:
	s_mov_b32 s56, -1
	s_mov_b32 s4, s1
                                        ; implicit-def: $vgpr7
	s_branch .LBB22_2087
.LBB22_2059:
	s_mov_b32 s56, -1
	s_mov_b32 s4, s1
                                        ; implicit-def: $vgpr7
	s_branch .LBB22_2082
.LBB22_2060:
	s_mov_b32 s37, -1
	s_mov_b32 s0, s75
	s_mov_b32 s1, exec_lo
	v_cmpx_gt_i32_e64 v2, v0
	s_cbranch_execz .LBB22_2067
; %bb.2061:
	s_delay_alu instid0(VALU_DEP_2) | instskip(SKIP_3) | instid1(VALU_DEP_1)
	v_lshlrev_b64_e32 v[4:5], 2, v[4:5]
	v_dual_ashrrev_i32 v1, 31, v0 :: v_dual_ashrrev_i32 v3, 31, v2
	s_mov_b32 s0, 0
	s_xor_b32 s36, s35, -1
                                        ; implicit-def: $sgpr27
                                        ; implicit-def: $sgpr38
                                        ; implicit-def: $sgpr37
	v_lshl_add_u64 v[0:1], v[0:1], 2, v[4:5]
	v_add_nc_u64_e32 v[4:5], s[12:13], v[4:5]
	s_delay_alu instid0(VALU_DEP_2) | instskip(NEXT) | instid1(VALU_DEP_2)
	v_add_nc_u64_e32 v[0:1], s[12:13], v[0:1]
	v_lshl_add_u64 v[2:3], v[2:3], 2, v[4:5]
	s_delay_alu instid0(VALU_DEP_2)
	v_add_nc_u64_e32 v[0:1], 4, v[0:1]
	s_branch .LBB22_2063
.LBB22_2062:                            ;   in Loop: Header=BB22_2063 Depth=1
	s_or_b32 exec_lo, exec_lo, s39
	s_delay_alu instid0(SALU_CYCLE_1) | instskip(NEXT) | instid1(SALU_CYCLE_1)
	s_and_b32 s39, exec_lo, s38
	s_or_b32 s0, s39, s0
	s_and_not1_b32 s27, s27, exec_lo
	s_and_b32 s39, s37, exec_lo
	s_delay_alu instid0(SALU_CYCLE_1)
	s_or_b32 s27, s27, s39
	s_and_not1_b32 exec_lo, exec_lo, s0
	s_cbranch_execz .LBB22_2066
.LBB22_2063:                            ; =>This Inner Loop Header: Depth=1
	s_or_b32 s37, s37, exec_lo
	s_or_b32 s38, s38, exec_lo
	s_mov_b32 s39, exec_lo
	s_delay_alu instid0(VALU_DEP_1)
	v_cmpx_lt_u64_e64 v[0:1], v[2:3]
	s_cbranch_execz .LBB22_2062
; %bb.2064:                             ;   in Loop: Header=BB22_2063 Depth=1
	global_load_b64 v[4:5], v[0:1], off offset:-4
	s_wait_xcnt 0x0
	v_add_nc_u64_e32 v[0:1], 4, v[0:1]
	s_and_not1_b32 s38, s38, exec_lo
	s_and_not1_b32 s37, s37, exec_lo
	s_wait_loadcnt 0x0
	v_cmp_ge_i32_e32 vcc_lo, v4, v5
	s_or_b32 s40, s36, vcc_lo
	s_delay_alu instid0(SALU_CYCLE_1) | instskip(NEXT) | instid1(SALU_CYCLE_1)
	s_and_b32 s40, s40, exec_lo
	s_or_b32 s38, s38, s40
	s_branch .LBB22_2062
.LBB22_2065:
	s_mov_b32 s56, -1
	s_mov_b32 s4, s1
	s_branch .LBB22_2076
.LBB22_2066:
	s_or_b32 exec_lo, exec_lo, s0
	s_delay_alu instid0(SALU_CYCLE_1)
	s_or_b32 s0, s75, exec_lo
	s_or_not1_b32 s37, s27, exec_lo
.LBB22_2067:
	s_or_b32 exec_lo, exec_lo, s1
	s_mov_b32 s36, 0
	s_mov_b32 s27, s74
	s_and_saveexec_b32 s1, s37
	s_cbranch_execz .LBB22_3679
; %bb.2068:
	v_mul_lo_u32 v0, s33, v22
	s_and_b32 s36, s14, 0xff
	s_delay_alu instid0(SALU_CYCLE_1) | instskip(NEXT) | instid1(VALU_DEP_1)
	s_cmp_lt_i32 s36, 11
	v_ashrrev_i32_e32 v1, 31, v0
	s_delay_alu instid0(VALU_DEP_1)
	v_add_nc_u64_e32 v[0:1], s[2:3], v[0:1]
	s_cbranch_scc1 .LBB22_3501
; %bb.2069:
	s_and_b32 s37, 0xffff, s36
	s_delay_alu instid0(SALU_CYCLE_1)
	s_cmp_gt_i32 s37, 25
	s_cbranch_scc0 .LBB22_3503
; %bb.2070:
	s_cmp_gt_i32 s37, 28
	s_cbranch_scc0 .LBB22_3505
; %bb.2071:
	;; [unrolled: 3-line block ×4, first 2 shown]
	s_mov_b32 s39, 0
	s_mov_b32 s27, -1
	s_cmp_eq_u32 s37, 46
	s_mov_b32 s38, 0
	s_cbranch_scc0 .LBB22_3597
; %bb.2074:
	v_mov_b32_e32 v2, 0
	s_mov_b32 s38, -1
	s_mov_b32 s27, 0
	global_store_b32 v[0:1], v2, off
	s_branch .LBB22_3597
.LBB22_2075:
	s_mov_b32 s4, -1
.LBB22_2076:
                                        ; implicit-def: $vgpr7
.LBB22_2077:
	s_and_b32 vcc_lo, exec_lo, s56
	s_cbranch_vccz .LBB22_2081
; %bb.2078:
	s_cmp_eq_u32 s5, 44
	s_cbranch_scc0 .LBB22_2080
; %bb.2079:
	global_load_u8 v2, v[0:1], off
	s_mov_b32 s4, 0
	s_mov_b32 s55, -1
	s_wait_loadcnt 0x0
	v_lshlrev_b32_e32 v3, 23, v2
	v_cmp_ne_u32_e32 vcc_lo, 0, v2
	s_delay_alu instid0(VALU_DEP_2) | instskip(NEXT) | instid1(VALU_DEP_1)
	v_cvt_i32_f32_e32 v3, v3
	v_cndmask_b32_e32 v7, 0, v3, vcc_lo
	s_branch .LBB22_2081
.LBB22_2080:
	s_mov_b32 s4, -1
                                        ; implicit-def: $vgpr7
.LBB22_2081:
	s_mov_b32 s56, 0
.LBB22_2082:
	s_delay_alu instid0(SALU_CYCLE_1)
	s_and_b32 vcc_lo, exec_lo, s56
	s_cbranch_vccz .LBB22_2086
; %bb.2083:
	s_cmp_eq_u32 s5, 29
	s_cbranch_scc0 .LBB22_2085
; %bb.2084:
	global_load_b32 v7, v[0:1], off
	s_mov_b32 s4, 0
	s_mov_b32 s55, -1
	s_branch .LBB22_2086
.LBB22_2085:
	s_mov_b32 s4, -1
                                        ; implicit-def: $vgpr7
.LBB22_2086:
	s_mov_b32 s56, 0
.LBB22_2087:
	s_delay_alu instid0(SALU_CYCLE_1)
	s_and_b32 vcc_lo, exec_lo, s56
	s_cbranch_vccz .LBB22_2103
; %bb.2088:
	s_cmp_lt_i32 s5, 27
	s_cbranch_scc1 .LBB22_2091
; %bb.2089:
	s_cmp_gt_i32 s5, 27
	s_cbranch_scc0 .LBB22_2092
; %bb.2090:
	s_wait_loadcnt 0x0
	global_load_b32 v7, v[0:1], off
	s_mov_b32 s55, 0
	s_branch .LBB22_2093
.LBB22_2091:
	s_mov_b32 s55, -1
                                        ; implicit-def: $vgpr7
	s_branch .LBB22_2096
.LBB22_2092:
	s_mov_b32 s55, -1
                                        ; implicit-def: $vgpr7
.LBB22_2093:
	s_delay_alu instid0(SALU_CYCLE_1)
	s_and_not1_b32 vcc_lo, exec_lo, s55
	s_cbranch_vccnz .LBB22_2095
; %bb.2094:
	s_wait_loadcnt 0x0
	global_load_u16 v7, v[0:1], off
.LBB22_2095:
	s_mov_b32 s55, 0
.LBB22_2096:
	s_delay_alu instid0(SALU_CYCLE_1)
	s_and_not1_b32 vcc_lo, exec_lo, s55
	s_cbranch_vccnz .LBB22_2102
; %bb.2097:
	global_load_u8 v2, v[0:1], off
	s_mov_b32 s56, 0
	s_mov_b32 s55, exec_lo
	s_wait_loadcnt 0x0
	v_cmpx_lt_i16_e32 0x7f, v2
	s_xor_b32 s55, exec_lo, s55
	s_cbranch_execz .LBB22_2114
; %bb.2098:
	v_cmp_ne_u16_e32 vcc_lo, 0x80, v2
	s_and_b32 s56, vcc_lo, exec_lo
	s_and_not1_saveexec_b32 s55, s55
	s_cbranch_execnz .LBB22_2115
.LBB22_2099:
	s_or_b32 exec_lo, exec_lo, s55
	v_mov_b32_e32 v7, 0
	s_and_saveexec_b32 s55, s56
	s_cbranch_execz .LBB22_2101
.LBB22_2100:
	v_and_b32_e32 v3, 0xffff, v2
	s_delay_alu instid0(VALU_DEP_1) | instskip(SKIP_1) | instid1(VALU_DEP_2)
	v_and_b32_e32 v4, 7, v3
	v_bfe_u32 v7, v3, 3, 4
	v_clz_i32_u32_e32 v5, v4
	s_delay_alu instid0(VALU_DEP_2) | instskip(NEXT) | instid1(VALU_DEP_2)
	v_cmp_eq_u32_e32 vcc_lo, 0, v7
	v_min_u32_e32 v5, 32, v5
	s_delay_alu instid0(VALU_DEP_1) | instskip(NEXT) | instid1(VALU_DEP_1)
	v_subrev_nc_u32_e32 v6, 28, v5
	v_dual_lshlrev_b32 v3, v6, v3 :: v_dual_sub_nc_u32 v5, 29, v5
	s_delay_alu instid0(VALU_DEP_1) | instskip(NEXT) | instid1(VALU_DEP_1)
	v_dual_lshlrev_b32 v2, 24, v2 :: v_dual_bitop2_b32 v3, 7, v3 bitop3:0x40
	v_dual_cndmask_b32 v5, v7, v5, vcc_lo :: v_dual_cndmask_b32 v3, v4, v3, vcc_lo
	s_delay_alu instid0(VALU_DEP_2) | instskip(NEXT) | instid1(VALU_DEP_2)
	v_and_b32_e32 v2, 0x80000000, v2
	v_lshl_add_u32 v4, v5, 23, 0x3b800000
	s_delay_alu instid0(VALU_DEP_3) | instskip(NEXT) | instid1(VALU_DEP_1)
	v_lshlrev_b32_e32 v3, 20, v3
	v_or3_b32 v2, v2, v4, v3
	s_delay_alu instid0(VALU_DEP_1)
	v_cvt_i32_f32_e32 v7, v2
.LBB22_2101:
	s_or_b32 exec_lo, exec_lo, s55
.LBB22_2102:
	s_mov_b32 s55, -1
.LBB22_2103:
	s_mov_b32 s56, 0
.LBB22_2104:
	s_delay_alu instid0(SALU_CYCLE_1)
	s_and_b32 vcc_lo, exec_lo, s56
	s_cbranch_vccz .LBB22_2135
; %bb.2105:
	s_cmp_gt_i32 s5, 22
	s_cbranch_scc0 .LBB22_2113
; %bb.2106:
	s_cmp_lt_i32 s5, 24
	s_cbranch_scc1 .LBB22_2116
; %bb.2107:
	s_cmp_gt_i32 s5, 24
	s_cbranch_scc0 .LBB22_2117
; %bb.2108:
	global_load_u8 v2, v[0:1], off
	s_mov_b32 s55, 0
	s_mov_b32 s20, exec_lo
	s_wait_loadcnt 0x0
	v_cmpx_lt_i16_e32 0x7f, v2
	s_xor_b32 s20, exec_lo, s20
	s_cbranch_execz .LBB22_2129
; %bb.2109:
	v_cmp_ne_u16_e32 vcc_lo, 0x80, v2
	s_and_b32 s55, vcc_lo, exec_lo
	s_and_not1_saveexec_b32 s20, s20
	s_cbranch_execnz .LBB22_2130
.LBB22_2110:
	s_or_b32 exec_lo, exec_lo, s20
	v_mov_b32_e32 v7, 0
	s_and_saveexec_b32 s20, s55
	s_cbranch_execz .LBB22_2112
.LBB22_2111:
	v_and_b32_e32 v3, 0xffff, v2
	s_delay_alu instid0(VALU_DEP_1) | instskip(SKIP_1) | instid1(VALU_DEP_2)
	v_and_b32_e32 v4, 3, v3
	v_bfe_u32 v7, v3, 2, 5
	v_clz_i32_u32_e32 v5, v4
	s_delay_alu instid0(VALU_DEP_2) | instskip(NEXT) | instid1(VALU_DEP_2)
	v_cmp_eq_u32_e32 vcc_lo, 0, v7
	v_min_u32_e32 v5, 32, v5
	s_delay_alu instid0(VALU_DEP_1) | instskip(NEXT) | instid1(VALU_DEP_1)
	v_subrev_nc_u32_e32 v6, 29, v5
	v_dual_lshlrev_b32 v3, v6, v3 :: v_dual_sub_nc_u32 v5, 30, v5
	s_delay_alu instid0(VALU_DEP_1) | instskip(NEXT) | instid1(VALU_DEP_1)
	v_dual_lshlrev_b32 v2, 24, v2 :: v_dual_bitop2_b32 v3, 3, v3 bitop3:0x40
	v_dual_cndmask_b32 v5, v7, v5, vcc_lo :: v_dual_cndmask_b32 v3, v4, v3, vcc_lo
	s_delay_alu instid0(VALU_DEP_2) | instskip(NEXT) | instid1(VALU_DEP_2)
	v_and_b32_e32 v2, 0x80000000, v2
	v_lshl_add_u32 v4, v5, 23, 0x37800000
	s_delay_alu instid0(VALU_DEP_3) | instskip(NEXT) | instid1(VALU_DEP_1)
	v_lshlrev_b32_e32 v3, 21, v3
	v_or3_b32 v2, v2, v4, v3
	s_delay_alu instid0(VALU_DEP_1)
	v_cvt_i32_f32_e32 v7, v2
.LBB22_2112:
	s_or_b32 exec_lo, exec_lo, s20
	s_mov_b32 s20, 0
	s_branch .LBB22_2118
.LBB22_2113:
	s_mov_b32 s20, -1
                                        ; implicit-def: $vgpr7
	s_branch .LBB22_2124
.LBB22_2114:
	s_and_not1_saveexec_b32 s55, s55
	s_cbranch_execz .LBB22_2099
.LBB22_2115:
	v_cmp_ne_u16_e32 vcc_lo, 0, v2
	s_and_not1_b32 s56, s56, exec_lo
	s_and_b32 s78, vcc_lo, exec_lo
	s_delay_alu instid0(SALU_CYCLE_1)
	s_or_b32 s56, s56, s78
	s_or_b32 exec_lo, exec_lo, s55
	v_mov_b32_e32 v7, 0
	s_and_saveexec_b32 s55, s56
	s_cbranch_execnz .LBB22_2100
	s_branch .LBB22_2101
.LBB22_2116:
	s_mov_b32 s20, -1
                                        ; implicit-def: $vgpr7
	s_branch .LBB22_2121
.LBB22_2117:
	s_mov_b32 s20, -1
                                        ; implicit-def: $vgpr7
.LBB22_2118:
	s_delay_alu instid0(SALU_CYCLE_1)
	s_and_b32 vcc_lo, exec_lo, s20
	s_cbranch_vccz .LBB22_2120
; %bb.2119:
	global_load_u8 v2, v[0:1], off
	s_wait_loadcnt 0x0
	v_lshlrev_b32_e32 v2, 24, v2
	s_delay_alu instid0(VALU_DEP_1) | instskip(NEXT) | instid1(VALU_DEP_1)
	v_and_b32_e32 v3, 0x7f000000, v2
	v_clz_i32_u32_e32 v4, v3
	v_cmp_ne_u32_e32 vcc_lo, 0, v3
	v_add_nc_u32_e32 v6, 0x1000000, v3
	s_delay_alu instid0(VALU_DEP_3) | instskip(NEXT) | instid1(VALU_DEP_1)
	v_min_u32_e32 v4, 32, v4
	v_sub_nc_u32_e64 v4, v4, 4 clamp
	s_delay_alu instid0(VALU_DEP_1) | instskip(NEXT) | instid1(VALU_DEP_1)
	v_dual_lshlrev_b32 v5, v4, v3 :: v_dual_lshlrev_b32 v4, 23, v4
	v_lshrrev_b32_e32 v5, 4, v5
	s_delay_alu instid0(VALU_DEP_1) | instskip(NEXT) | instid1(VALU_DEP_1)
	v_dual_sub_nc_u32 v4, v5, v4 :: v_dual_ashrrev_i32 v5, 8, v6
	v_add_nc_u32_e32 v4, 0x3c000000, v4
	s_delay_alu instid0(VALU_DEP_1) | instskip(NEXT) | instid1(VALU_DEP_1)
	v_and_or_b32 v4, 0x7f800000, v5, v4
	v_cndmask_b32_e32 v3, 0, v4, vcc_lo
	s_delay_alu instid0(VALU_DEP_1) | instskip(NEXT) | instid1(VALU_DEP_1)
	v_and_or_b32 v2, 0x80000000, v2, v3
	v_cvt_i32_f32_e32 v7, v2
.LBB22_2120:
	s_mov_b32 s20, 0
.LBB22_2121:
	s_delay_alu instid0(SALU_CYCLE_1)
	s_and_not1_b32 vcc_lo, exec_lo, s20
	s_cbranch_vccnz .LBB22_2123
; %bb.2122:
	global_load_u8 v2, v[0:1], off
	s_wait_loadcnt 0x0
	v_lshlrev_b32_e32 v3, 25, v2
	v_lshlrev_b16 v2, 8, v2
	s_delay_alu instid0(VALU_DEP_1) | instskip(SKIP_1) | instid1(VALU_DEP_2)
	v_and_or_b32 v5, 0x7f00, v2, 0.5
	v_bfe_i32 v2, v2, 0, 16
	v_dual_add_f32 v5, -0.5, v5 :: v_dual_lshrrev_b32 v4, 4, v3
	v_cmp_gt_u32_e32 vcc_lo, 0x8000000, v3
	s_delay_alu instid0(VALU_DEP_2) | instskip(NEXT) | instid1(VALU_DEP_1)
	v_or_b32_e32 v4, 0x70000000, v4
	v_mul_f32_e32 v4, 0x7800000, v4
	s_delay_alu instid0(VALU_DEP_1) | instskip(NEXT) | instid1(VALU_DEP_1)
	v_cndmask_b32_e32 v3, v4, v5, vcc_lo
	v_and_or_b32 v2, 0x80000000, v2, v3
	s_delay_alu instid0(VALU_DEP_1)
	v_cvt_i32_f32_e32 v7, v2
.LBB22_2123:
	s_mov_b32 s20, 0
	s_mov_b32 s55, -1
.LBB22_2124:
	s_and_not1_b32 vcc_lo, exec_lo, s20
	s_mov_b32 s20, 0
	s_cbranch_vccnz .LBB22_2135
; %bb.2125:
	s_cmp_gt_i32 s5, 14
	s_cbranch_scc0 .LBB22_2128
; %bb.2126:
	s_cmp_eq_u32 s5, 15
	s_cbranch_scc0 .LBB22_2131
; %bb.2127:
	global_load_u16 v2, v[0:1], off
	s_mov_b32 s4, 0
	s_mov_b32 s55, -1
	s_wait_loadcnt 0x0
	v_lshlrev_b32_e32 v2, 16, v2
	s_delay_alu instid0(VALU_DEP_1)
	v_cvt_i32_f32_e32 v7, v2
	s_branch .LBB22_2133
.LBB22_2128:
	s_mov_b32 s20, -1
	s_branch .LBB22_2132
.LBB22_2129:
	s_and_not1_saveexec_b32 s20, s20
	s_cbranch_execz .LBB22_2110
.LBB22_2130:
	v_cmp_ne_u16_e32 vcc_lo, 0, v2
	s_and_not1_b32 s55, s55, exec_lo
	s_and_b32 s56, vcc_lo, exec_lo
	s_delay_alu instid0(SALU_CYCLE_1)
	s_or_b32 s55, s55, s56
	s_or_b32 exec_lo, exec_lo, s20
	v_mov_b32_e32 v7, 0
	s_and_saveexec_b32 s20, s55
	s_cbranch_execnz .LBB22_2111
	s_branch .LBB22_2112
.LBB22_2131:
	s_mov_b32 s4, -1
.LBB22_2132:
                                        ; implicit-def: $vgpr7
.LBB22_2133:
	s_and_b32 vcc_lo, exec_lo, s20
	s_mov_b32 s20, 0
	s_cbranch_vccz .LBB22_2135
; %bb.2134:
	s_cmp_lg_u32 s5, 11
	s_mov_b32 s20, -1
	s_cselect_b32 s5, -1, 0
	s_and_not1_b32 s4, s4, exec_lo
	s_and_b32 s5, s5, exec_lo
	s_delay_alu instid0(SALU_CYCLE_1)
	s_or_b32 s4, s4, s5
.LBB22_2135:
	s_mov_b32 s5, 0
.LBB22_2136:
	s_delay_alu instid0(SALU_CYCLE_1)
	s_and_b32 s78, s5, exec_lo
	s_and_not1_b32 s5, s1, exec_lo
	s_and_b32 s4, s4, exec_lo
	s_and_b32 s79, s55, exec_lo
	;; [unrolled: 1-line block ×3, first 2 shown]
	s_or_b32 s80, s5, s4
.LBB22_2137:
	s_wait_xcnt 0x0
	s_or_b32 exec_lo, exec_lo, s45
	s_delay_alu instid0(SALU_CYCLE_1)
	s_and_not1_b32 s1, s1, exec_lo
	s_and_b32 s4, s80, exec_lo
	s_and_b32 s79, s79, exec_lo
	;; [unrolled: 1-line block ×4, first 2 shown]
	s_or_b32 s1, s1, s4
.LBB22_2138:
	s_or_b32 exec_lo, exec_lo, s44
	s_delay_alu instid0(SALU_CYCLE_1)
	s_and_not1_b32 s4, s74, exec_lo
	s_and_b32 s5, s43, exec_lo
	s_and_not1_b32 s20, s76, exec_lo
	s_or_b32 s74, s4, s5
	s_and_not1_b32 s4, s75, exec_lo
	s_and_b32 s5, s40, exec_lo
	s_and_b32 s40, s42, exec_lo
	s_or_b32 s75, s4, s5
	s_and_not1_b32 s4, s72, exec_lo
	s_and_b32 s5, s38, exec_lo
	s_or_b32 s76, s20, s40
	s_and_not1_b32 s20, s73, exec_lo
	;; [unrolled: 3-line block ×7, first 2 shown]
	s_and_b32 s5, s1, exec_lo
	s_or_b32 s69, s20, s27
	s_and_b32 s27, s79, exec_lo
	s_and_b32 s36, s78, exec_lo
	;; [unrolled: 1-line block ×3, first 2 shown]
	s_or_b32 s67, s4, s5
.LBB22_2139:
	s_or_b32 exec_lo, exec_lo, s77
	s_delay_alu instid0(SALU_CYCLE_1)
	s_and_not1_b32 s4, s54, exec_lo
	s_and_b32 s5, s74, exec_lo
	s_and_not1_b32 s20, s58, exec_lo
	s_or_b32 s54, s4, s5
	s_and_not1_b32 s4, s57, exec_lo
	s_and_b32 s5, s75, exec_lo
	s_and_b32 s37, s76, exec_lo
	s_or_b32 s57, s4, s5
	s_and_not1_b32 s4, s59, exec_lo
	s_and_b32 s5, s72, exec_lo
	s_or_b32 s58, s20, s37
	s_and_not1_b32 s20, s60, exec_lo
	;; [unrolled: 3-line block ×7, first 2 shown]
	s_and_b32 s5, s67, exec_lo
	s_or_b32 s64, s20, s37
	s_and_b32 s27, s27, exec_lo
	s_and_b32 s36, s36, exec_lo
	;; [unrolled: 1-line block ×3, first 2 shown]
	s_or_b32 s65, s4, s5
	s_or_b32 exec_lo, exec_lo, s66
	s_mov_b32 s1, 0
	s_and_saveexec_b32 s4, s65
	s_cbranch_execz .LBB22_640
.LBB22_2140:
	s_mov_b32 s1, exec_lo
	s_and_not1_b32 s67, s67, exec_lo
	s_trap 2
	s_or_b32 exec_lo, exec_lo, s4
	s_and_saveexec_b32 s4, s67
	s_delay_alu instid0(SALU_CYCLE_1)
	s_xor_b32 s4, exec_lo, s4
	s_cbranch_execnz .LBB22_641
.LBB22_2141:
	s_or_b32 exec_lo, exec_lo, s4
	s_and_saveexec_b32 s4, s36
	s_cbranch_execz .LBB22_2187
.LBB22_2142:
	s_sext_i32_i16 s5, s0
	s_delay_alu instid0(SALU_CYCLE_1)
	s_cmp_lt_i32 s5, 5
	s_cbranch_scc1 .LBB22_2147
; %bb.2143:
	s_cmp_lt_i32 s5, 8
	s_cbranch_scc1 .LBB22_2148
; %bb.2144:
	;; [unrolled: 3-line block ×3, first 2 shown]
	s_cmp_gt_i32 s5, 9
	s_cbranch_scc0 .LBB22_2150
; %bb.2146:
	s_wait_loadcnt 0x0
	global_load_b64 v[2:3], v[0:1], off
	s_mov_b32 s5, 0
	s_wait_loadcnt 0x0
	v_cvt_i32_f64_e32 v7, v[2:3]
	s_branch .LBB22_2151
.LBB22_2147:
                                        ; implicit-def: $vgpr7
	s_branch .LBB22_2168
.LBB22_2148:
                                        ; implicit-def: $vgpr7
	s_branch .LBB22_2157
.LBB22_2149:
	s_mov_b32 s5, -1
                                        ; implicit-def: $vgpr7
	s_branch .LBB22_2154
.LBB22_2150:
	s_mov_b32 s5, -1
                                        ; implicit-def: $vgpr7
.LBB22_2151:
	s_delay_alu instid0(SALU_CYCLE_1)
	s_and_not1_b32 vcc_lo, exec_lo, s5
	s_cbranch_vccnz .LBB22_2153
; %bb.2152:
	s_wait_loadcnt 0x0
	global_load_b32 v2, v[0:1], off
	s_wait_loadcnt 0x0
	v_cvt_i32_f32_e32 v7, v2
.LBB22_2153:
	s_mov_b32 s5, 0
.LBB22_2154:
	s_delay_alu instid0(SALU_CYCLE_1)
	s_and_not1_b32 vcc_lo, exec_lo, s5
	s_cbranch_vccnz .LBB22_2156
; %bb.2155:
	s_wait_loadcnt 0x0
	global_load_b32 v2, v[0:1], off
	s_wait_loadcnt 0x0
	v_cvt_f32_f16_e32 v2, v2
	s_delay_alu instid0(VALU_DEP_1)
	v_cvt_i32_f32_e32 v7, v2
.LBB22_2156:
	s_cbranch_execnz .LBB22_2167
.LBB22_2157:
	s_sext_i32_i16 s5, s0
	s_delay_alu instid0(SALU_CYCLE_1)
	s_cmp_lt_i32 s5, 6
	s_cbranch_scc1 .LBB22_2160
; %bb.2158:
	s_cmp_gt_i32 s5, 6
	s_cbranch_scc0 .LBB22_2161
; %bb.2159:
	s_wait_loadcnt 0x0
	global_load_b64 v[2:3], v[0:1], off
	s_mov_b32 s5, 0
	s_wait_loadcnt 0x0
	v_cvt_i32_f64_e32 v7, v[2:3]
	s_branch .LBB22_2162
.LBB22_2160:
	s_mov_b32 s5, -1
                                        ; implicit-def: $vgpr7
	s_branch .LBB22_2165
.LBB22_2161:
	s_mov_b32 s5, -1
                                        ; implicit-def: $vgpr7
.LBB22_2162:
	s_delay_alu instid0(SALU_CYCLE_1)
	s_and_not1_b32 vcc_lo, exec_lo, s5
	s_cbranch_vccnz .LBB22_2164
; %bb.2163:
	s_wait_loadcnt 0x0
	global_load_b32 v2, v[0:1], off
	s_wait_loadcnt 0x0
	v_cvt_i32_f32_e32 v7, v2
.LBB22_2164:
	s_mov_b32 s5, 0
.LBB22_2165:
	s_delay_alu instid0(SALU_CYCLE_1)
	s_and_not1_b32 vcc_lo, exec_lo, s5
	s_cbranch_vccnz .LBB22_2167
; %bb.2166:
	s_wait_loadcnt 0x0
	global_load_u16 v2, v[0:1], off
	s_wait_loadcnt 0x0
	v_cvt_f32_f16_e32 v2, v2
	s_delay_alu instid0(VALU_DEP_1)
	v_cvt_i32_f32_e32 v7, v2
.LBB22_2167:
	s_cbranch_execnz .LBB22_2186
.LBB22_2168:
	s_sext_i32_i16 s5, s0
	s_delay_alu instid0(SALU_CYCLE_1)
	s_cmp_lt_i32 s5, 2
	s_cbranch_scc1 .LBB22_2172
; %bb.2169:
	s_cmp_lt_i32 s5, 3
	s_cbranch_scc1 .LBB22_2173
; %bb.2170:
	s_cmp_gt_i32 s5, 3
	s_cbranch_scc0 .LBB22_2174
; %bb.2171:
	s_wait_loadcnt 0x0
	global_load_b32 v7, v[0:1], off
	s_mov_b32 s5, 0
	s_branch .LBB22_2175
.LBB22_2172:
                                        ; implicit-def: $vgpr7
	s_branch .LBB22_2181
.LBB22_2173:
	s_mov_b32 s5, -1
                                        ; implicit-def: $vgpr7
	s_branch .LBB22_2178
.LBB22_2174:
	s_mov_b32 s5, -1
                                        ; implicit-def: $vgpr7
.LBB22_2175:
	s_delay_alu instid0(SALU_CYCLE_1)
	s_and_not1_b32 vcc_lo, exec_lo, s5
	s_cbranch_vccnz .LBB22_2177
; %bb.2176:
	s_wait_loadcnt 0x0
	global_load_b32 v7, v[0:1], off
.LBB22_2177:
	s_mov_b32 s5, 0
.LBB22_2178:
	s_delay_alu instid0(SALU_CYCLE_1)
	s_and_not1_b32 vcc_lo, exec_lo, s5
	s_cbranch_vccnz .LBB22_2180
; %bb.2179:
	s_wait_loadcnt 0x0
	global_load_i16 v7, v[0:1], off
.LBB22_2180:
	s_cbranch_execnz .LBB22_2186
.LBB22_2181:
	s_sext_i32_i16 s0, s0
	s_delay_alu instid0(SALU_CYCLE_1)
	s_cmp_gt_i32 s0, 0
	s_mov_b32 s0, 0
	s_cbranch_scc0 .LBB22_2183
; %bb.2182:
	s_wait_loadcnt 0x0
	global_load_i8 v7, v[0:1], off
	s_branch .LBB22_2184
.LBB22_2183:
	s_mov_b32 s0, -1
                                        ; implicit-def: $vgpr7
.LBB22_2184:
	s_delay_alu instid0(SALU_CYCLE_1)
	s_and_not1_b32 vcc_lo, exec_lo, s0
	s_cbranch_vccnz .LBB22_2186
; %bb.2185:
	s_wait_loadcnt 0x0
	global_load_u8 v7, v[0:1], off
.LBB22_2186:
	s_or_b32 s27, s27, exec_lo
.LBB22_2187:
	s_wait_xcnt 0x0
	s_or_b32 exec_lo, exec_lo, s4
	s_mov_b32 s5, 0
	s_mov_b32 s36, 0
	;; [unrolled: 1-line block ×3, first 2 shown]
                                        ; implicit-def: $sgpr0
                                        ; implicit-def: $vgpr0_vgpr1
                                        ; implicit-def: $vgpr8
	s_and_saveexec_b32 s4, s27
	s_cbranch_execz .LBB22_2195
; %bb.2188:
	s_wait_loadcnt 0x0
	v_mul_lo_u32 v0, s21, v22
	s_and_b32 s0, s53, 0xff
	s_delay_alu instid0(SALU_CYCLE_1) | instskip(NEXT) | instid1(VALU_DEP_1)
	s_cmp_lt_i32 s0, 11
	v_ashrrev_i32_e32 v1, 31, v0
	s_delay_alu instid0(VALU_DEP_1)
	v_add_nc_u64_e32 v[0:1], s[6:7], v[0:1]
	s_cbranch_scc1 .LBB22_2198
; %bb.2189:
	s_and_b32 s6, 0xffff, s0
	s_mov_b32 s7, 0
	s_cmp_gt_i32 s6, 25
	s_cbranch_scc0 .LBB22_2199
; %bb.2190:
	s_cmp_gt_i32 s6, 28
	s_cbranch_scc0 .LBB22_2200
; %bb.2191:
	;; [unrolled: 3-line block ×4, first 2 shown]
	s_cmp_eq_u32 s6, 46
	s_mov_b32 s21, 0
	s_cbranch_scc0 .LBB22_2203
; %bb.2194:
	global_load_b32 v2, v[0:1], off
	s_mov_b32 s20, -1
	s_wait_loadcnt 0x0
	v_lshlrev_b32_e32 v2, 16, v2
	s_delay_alu instid0(VALU_DEP_1)
	v_cvt_i32_f32_e32 v8, v2
	s_branch .LBB22_2205
.LBB22_2195:
	s_or_b32 exec_lo, exec_lo, s4
	s_and_saveexec_b32 s4, s64
	s_cbranch_execnz .LBB22_2264
.LBB22_2196:
	s_or_b32 exec_lo, exec_lo, s4
	s_and_saveexec_b32 s4, s5
	s_delay_alu instid0(SALU_CYCLE_1)
	s_xor_b32 s4, exec_lo, s4
	s_cbranch_execz .LBB22_2265
.LBB22_2197:
	s_wait_loadcnt 0x0
	global_load_u8 v2, v[0:1], off
	s_or_b32 s20, s20, exec_lo
	s_wait_loadcnt 0x0
	v_cmp_ne_u16_e32 vcc_lo, 0, v2
	v_cndmask_b32_e64 v8, 0, 1, vcc_lo
	s_wait_xcnt 0x0
	s_or_b32 exec_lo, exec_lo, s4
	s_and_saveexec_b32 s4, s36
	s_cbranch_execz .LBB22_2311
	s_branch .LBB22_2266
.LBB22_2198:
	s_mov_b32 s6, -1
	s_mov_b32 s7, 0
	s_mov_b32 s5, s64
                                        ; implicit-def: $vgpr8
	s_branch .LBB22_2263
.LBB22_2199:
	s_mov_b32 s5, s64
                                        ; implicit-def: $vgpr8
	s_cbranch_execnz .LBB22_2232
	s_branch .LBB22_2262
.LBB22_2200:
	s_mov_b32 s21, -1
	s_mov_b32 s5, s64
                                        ; implicit-def: $vgpr8
	s_branch .LBB22_2215
.LBB22_2201:
	s_mov_b32 s21, -1
	s_mov_b32 s5, s64
                                        ; implicit-def: $vgpr8
	s_branch .LBB22_2210
.LBB22_2202:
	s_mov_b32 s21, -1
	s_mov_b32 s5, s64
	s_branch .LBB22_2204
.LBB22_2203:
	s_mov_b32 s5, -1
.LBB22_2204:
                                        ; implicit-def: $vgpr8
.LBB22_2205:
	s_and_b32 vcc_lo, exec_lo, s21
	s_cbranch_vccz .LBB22_2209
; %bb.2206:
	s_cmp_eq_u32 s6, 44
	s_cbranch_scc0 .LBB22_2208
; %bb.2207:
	global_load_u8 v2, v[0:1], off
	s_mov_b32 s5, 0
	s_mov_b32 s20, -1
	s_wait_loadcnt 0x0
	v_lshlrev_b32_e32 v3, 23, v2
	v_cmp_ne_u32_e32 vcc_lo, 0, v2
	s_delay_alu instid0(VALU_DEP_2) | instskip(NEXT) | instid1(VALU_DEP_1)
	v_cvt_i32_f32_e32 v3, v3
	v_cndmask_b32_e32 v8, 0, v3, vcc_lo
	s_branch .LBB22_2209
.LBB22_2208:
	s_mov_b32 s5, -1
                                        ; implicit-def: $vgpr8
.LBB22_2209:
	s_mov_b32 s21, 0
.LBB22_2210:
	s_delay_alu instid0(SALU_CYCLE_1)
	s_and_b32 vcc_lo, exec_lo, s21
	s_cbranch_vccz .LBB22_2214
; %bb.2211:
	s_cmp_eq_u32 s6, 29
	s_cbranch_scc0 .LBB22_2213
; %bb.2212:
	global_load_b32 v8, v[0:1], off
	s_mov_b32 s5, 0
	s_mov_b32 s20, -1
	s_branch .LBB22_2214
.LBB22_2213:
	s_mov_b32 s5, -1
                                        ; implicit-def: $vgpr8
.LBB22_2214:
	s_mov_b32 s21, 0
.LBB22_2215:
	s_delay_alu instid0(SALU_CYCLE_1)
	s_and_b32 vcc_lo, exec_lo, s21
	s_cbranch_vccz .LBB22_2231
; %bb.2216:
	s_cmp_lt_i32 s6, 27
	s_cbranch_scc1 .LBB22_2219
; %bb.2217:
	s_cmp_gt_i32 s6, 27
	s_cbranch_scc0 .LBB22_2220
; %bb.2218:
	s_wait_loadcnt 0x0
	global_load_b32 v8, v[0:1], off
	s_mov_b32 s20, 0
	s_branch .LBB22_2221
.LBB22_2219:
	s_mov_b32 s20, -1
                                        ; implicit-def: $vgpr8
	s_branch .LBB22_2224
.LBB22_2220:
	s_mov_b32 s20, -1
                                        ; implicit-def: $vgpr8
.LBB22_2221:
	s_delay_alu instid0(SALU_CYCLE_1)
	s_and_not1_b32 vcc_lo, exec_lo, s20
	s_cbranch_vccnz .LBB22_2223
; %bb.2222:
	s_wait_loadcnt 0x0
	global_load_u16 v8, v[0:1], off
.LBB22_2223:
	s_mov_b32 s20, 0
.LBB22_2224:
	s_delay_alu instid0(SALU_CYCLE_1)
	s_and_not1_b32 vcc_lo, exec_lo, s20
	s_cbranch_vccnz .LBB22_2230
; %bb.2225:
	global_load_u8 v2, v[0:1], off
	s_mov_b32 s21, 0
	s_mov_b32 s20, exec_lo
	s_wait_loadcnt 0x0
	v_cmpx_lt_i16_e32 0x7f, v2
	s_xor_b32 s20, exec_lo, s20
	s_cbranch_execz .LBB22_2241
; %bb.2226:
	v_cmp_ne_u16_e32 vcc_lo, 0x80, v2
	s_and_b32 s21, vcc_lo, exec_lo
	s_and_not1_saveexec_b32 s20, s20
	s_cbranch_execnz .LBB22_2242
.LBB22_2227:
	s_or_b32 exec_lo, exec_lo, s20
	v_mov_b32_e32 v8, 0
	s_and_saveexec_b32 s20, s21
	s_cbranch_execz .LBB22_2229
.LBB22_2228:
	v_and_b32_e32 v3, 0xffff, v2
	s_delay_alu instid0(VALU_DEP_1) | instskip(SKIP_1) | instid1(VALU_DEP_2)
	v_and_b32_e32 v4, 7, v3
	v_bfe_u32 v8, v3, 3, 4
	v_clz_i32_u32_e32 v5, v4
	s_delay_alu instid0(VALU_DEP_2) | instskip(NEXT) | instid1(VALU_DEP_2)
	v_cmp_eq_u32_e32 vcc_lo, 0, v8
	v_min_u32_e32 v5, 32, v5
	s_delay_alu instid0(VALU_DEP_1) | instskip(NEXT) | instid1(VALU_DEP_1)
	v_subrev_nc_u32_e32 v6, 28, v5
	v_dual_lshlrev_b32 v3, v6, v3 :: v_dual_sub_nc_u32 v5, 29, v5
	s_delay_alu instid0(VALU_DEP_1) | instskip(NEXT) | instid1(VALU_DEP_2)
	v_dual_lshlrev_b32 v2, 24, v2 :: v_dual_bitop2_b32 v3, 7, v3 bitop3:0x40
	v_cndmask_b32_e32 v5, v8, v5, vcc_lo
	s_delay_alu instid0(VALU_DEP_2) | instskip(NEXT) | instid1(VALU_DEP_3)
	v_cndmask_b32_e32 v3, v4, v3, vcc_lo
	v_and_b32_e32 v2, 0x80000000, v2
	s_delay_alu instid0(VALU_DEP_3) | instskip(NEXT) | instid1(VALU_DEP_3)
	v_lshl_add_u32 v4, v5, 23, 0x3b800000
	v_lshlrev_b32_e32 v3, 20, v3
	s_delay_alu instid0(VALU_DEP_1) | instskip(NEXT) | instid1(VALU_DEP_1)
	v_or3_b32 v2, v2, v4, v3
	v_cvt_i32_f32_e32 v8, v2
.LBB22_2229:
	s_or_b32 exec_lo, exec_lo, s20
.LBB22_2230:
	s_mov_b32 s20, -1
.LBB22_2231:
	s_branch .LBB22_2262
.LBB22_2232:
	s_cmp_gt_i32 s6, 22
	s_cbranch_scc0 .LBB22_2240
; %bb.2233:
	s_cmp_lt_i32 s6, 24
	s_cbranch_scc1 .LBB22_2243
; %bb.2234:
	s_cmp_gt_i32 s6, 24
	s_cbranch_scc0 .LBB22_2244
; %bb.2235:
	global_load_u8 v2, v[0:1], off
	s_mov_b32 s20, 0
	s_mov_b32 s7, exec_lo
	s_wait_loadcnt 0x0
	v_cmpx_lt_i16_e32 0x7f, v2
	s_xor_b32 s7, exec_lo, s7
	s_cbranch_execz .LBB22_2256
; %bb.2236:
	v_cmp_ne_u16_e32 vcc_lo, 0x80, v2
	s_and_b32 s20, vcc_lo, exec_lo
	s_and_not1_saveexec_b32 s7, s7
	s_cbranch_execnz .LBB22_2257
.LBB22_2237:
	s_or_b32 exec_lo, exec_lo, s7
	v_mov_b32_e32 v8, 0
	s_and_saveexec_b32 s7, s20
	s_cbranch_execz .LBB22_2239
.LBB22_2238:
	v_and_b32_e32 v3, 0xffff, v2
	s_delay_alu instid0(VALU_DEP_1) | instskip(SKIP_1) | instid1(VALU_DEP_2)
	v_and_b32_e32 v4, 3, v3
	v_bfe_u32 v8, v3, 2, 5
	v_clz_i32_u32_e32 v5, v4
	s_delay_alu instid0(VALU_DEP_2) | instskip(NEXT) | instid1(VALU_DEP_2)
	v_cmp_eq_u32_e32 vcc_lo, 0, v8
	v_min_u32_e32 v5, 32, v5
	s_delay_alu instid0(VALU_DEP_1) | instskip(NEXT) | instid1(VALU_DEP_1)
	v_subrev_nc_u32_e32 v6, 29, v5
	v_dual_lshlrev_b32 v3, v6, v3 :: v_dual_sub_nc_u32 v5, 30, v5
	s_delay_alu instid0(VALU_DEP_1) | instskip(NEXT) | instid1(VALU_DEP_2)
	v_dual_lshlrev_b32 v2, 24, v2 :: v_dual_bitop2_b32 v3, 3, v3 bitop3:0x40
	v_cndmask_b32_e32 v5, v8, v5, vcc_lo
	s_delay_alu instid0(VALU_DEP_2) | instskip(NEXT) | instid1(VALU_DEP_3)
	v_cndmask_b32_e32 v3, v4, v3, vcc_lo
	v_and_b32_e32 v2, 0x80000000, v2
	s_delay_alu instid0(VALU_DEP_3) | instskip(NEXT) | instid1(VALU_DEP_3)
	v_lshl_add_u32 v4, v5, 23, 0x37800000
	v_lshlrev_b32_e32 v3, 21, v3
	s_delay_alu instid0(VALU_DEP_1) | instskip(NEXT) | instid1(VALU_DEP_1)
	v_or3_b32 v2, v2, v4, v3
	v_cvt_i32_f32_e32 v8, v2
.LBB22_2239:
	s_or_b32 exec_lo, exec_lo, s7
	s_mov_b32 s7, 0
	s_branch .LBB22_2245
.LBB22_2240:
	s_mov_b32 s7, -1
                                        ; implicit-def: $vgpr8
	s_branch .LBB22_2251
.LBB22_2241:
	s_and_not1_saveexec_b32 s20, s20
	s_cbranch_execz .LBB22_2227
.LBB22_2242:
	v_cmp_ne_u16_e32 vcc_lo, 0, v2
	s_and_not1_b32 s21, s21, exec_lo
	s_and_b32 s27, vcc_lo, exec_lo
	s_delay_alu instid0(SALU_CYCLE_1)
	s_or_b32 s21, s21, s27
	s_or_b32 exec_lo, exec_lo, s20
	v_mov_b32_e32 v8, 0
	s_and_saveexec_b32 s20, s21
	s_cbranch_execnz .LBB22_2228
	s_branch .LBB22_2229
.LBB22_2243:
	s_mov_b32 s7, -1
                                        ; implicit-def: $vgpr8
	s_branch .LBB22_2248
.LBB22_2244:
	s_mov_b32 s7, -1
                                        ; implicit-def: $vgpr8
.LBB22_2245:
	s_delay_alu instid0(SALU_CYCLE_1)
	s_and_b32 vcc_lo, exec_lo, s7
	s_cbranch_vccz .LBB22_2247
; %bb.2246:
	global_load_u8 v2, v[0:1], off
	s_wait_loadcnt 0x0
	v_lshlrev_b32_e32 v2, 24, v2
	s_delay_alu instid0(VALU_DEP_1) | instskip(NEXT) | instid1(VALU_DEP_1)
	v_and_b32_e32 v3, 0x7f000000, v2
	v_clz_i32_u32_e32 v4, v3
	v_cmp_ne_u32_e32 vcc_lo, 0, v3
	v_add_nc_u32_e32 v6, 0x1000000, v3
	s_delay_alu instid0(VALU_DEP_3) | instskip(NEXT) | instid1(VALU_DEP_1)
	v_min_u32_e32 v4, 32, v4
	v_sub_nc_u32_e64 v4, v4, 4 clamp
	s_delay_alu instid0(VALU_DEP_1) | instskip(NEXT) | instid1(VALU_DEP_1)
	v_dual_lshlrev_b32 v5, v4, v3 :: v_dual_lshlrev_b32 v4, 23, v4
	v_lshrrev_b32_e32 v5, 4, v5
	s_delay_alu instid0(VALU_DEP_1) | instskip(NEXT) | instid1(VALU_DEP_1)
	v_dual_sub_nc_u32 v4, v5, v4 :: v_dual_ashrrev_i32 v5, 8, v6
	v_add_nc_u32_e32 v4, 0x3c000000, v4
	s_delay_alu instid0(VALU_DEP_1) | instskip(NEXT) | instid1(VALU_DEP_1)
	v_and_or_b32 v4, 0x7f800000, v5, v4
	v_cndmask_b32_e32 v3, 0, v4, vcc_lo
	s_delay_alu instid0(VALU_DEP_1) | instskip(NEXT) | instid1(VALU_DEP_1)
	v_and_or_b32 v2, 0x80000000, v2, v3
	v_cvt_i32_f32_e32 v8, v2
.LBB22_2247:
	s_mov_b32 s7, 0
.LBB22_2248:
	s_delay_alu instid0(SALU_CYCLE_1)
	s_and_not1_b32 vcc_lo, exec_lo, s7
	s_cbranch_vccnz .LBB22_2250
; %bb.2249:
	global_load_u8 v2, v[0:1], off
	s_wait_loadcnt 0x0
	v_lshlrev_b32_e32 v3, 25, v2
	v_lshlrev_b16 v2, 8, v2
	s_delay_alu instid0(VALU_DEP_1) | instskip(SKIP_1) | instid1(VALU_DEP_2)
	v_and_or_b32 v5, 0x7f00, v2, 0.5
	v_bfe_i32 v2, v2, 0, 16
	v_dual_add_f32 v5, -0.5, v5 :: v_dual_lshrrev_b32 v4, 4, v3
	v_cmp_gt_u32_e32 vcc_lo, 0x8000000, v3
	s_delay_alu instid0(VALU_DEP_2) | instskip(NEXT) | instid1(VALU_DEP_1)
	v_or_b32_e32 v4, 0x70000000, v4
	v_mul_f32_e32 v4, 0x7800000, v4
	s_delay_alu instid0(VALU_DEP_1) | instskip(NEXT) | instid1(VALU_DEP_1)
	v_cndmask_b32_e32 v3, v4, v5, vcc_lo
	v_and_or_b32 v2, 0x80000000, v2, v3
	s_delay_alu instid0(VALU_DEP_1)
	v_cvt_i32_f32_e32 v8, v2
.LBB22_2250:
	s_mov_b32 s7, 0
	s_mov_b32 s20, -1
.LBB22_2251:
	s_and_not1_b32 vcc_lo, exec_lo, s7
	s_mov_b32 s7, 0
	s_cbranch_vccnz .LBB22_2262
; %bb.2252:
	s_cmp_gt_i32 s6, 14
	s_cbranch_scc0 .LBB22_2255
; %bb.2253:
	s_cmp_eq_u32 s6, 15
	s_cbranch_scc0 .LBB22_2258
; %bb.2254:
	global_load_u16 v2, v[0:1], off
	s_mov_b32 s5, 0
	s_mov_b32 s20, -1
	s_wait_loadcnt 0x0
	v_lshlrev_b32_e32 v2, 16, v2
	s_delay_alu instid0(VALU_DEP_1)
	v_cvt_i32_f32_e32 v8, v2
	s_branch .LBB22_2260
.LBB22_2255:
	s_mov_b32 s7, -1
	s_branch .LBB22_2259
.LBB22_2256:
	s_and_not1_saveexec_b32 s7, s7
	s_cbranch_execz .LBB22_2237
.LBB22_2257:
	v_cmp_ne_u16_e32 vcc_lo, 0, v2
	s_and_not1_b32 s20, s20, exec_lo
	s_and_b32 s21, vcc_lo, exec_lo
	s_delay_alu instid0(SALU_CYCLE_1)
	s_or_b32 s20, s20, s21
	s_or_b32 exec_lo, exec_lo, s7
	v_mov_b32_e32 v8, 0
	s_and_saveexec_b32 s7, s20
	s_cbranch_execnz .LBB22_2238
	s_branch .LBB22_2239
.LBB22_2258:
	s_mov_b32 s5, -1
.LBB22_2259:
                                        ; implicit-def: $vgpr8
.LBB22_2260:
	s_and_b32 vcc_lo, exec_lo, s7
	s_mov_b32 s7, 0
	s_cbranch_vccz .LBB22_2262
; %bb.2261:
	s_cmp_lg_u32 s6, 11
	s_mov_b32 s7, -1
	s_cselect_b32 s6, -1, 0
	s_and_not1_b32 s5, s5, exec_lo
	s_and_b32 s6, s6, exec_lo
	s_delay_alu instid0(SALU_CYCLE_1)
	s_or_b32 s5, s5, s6
.LBB22_2262:
	s_mov_b32 s6, 0
.LBB22_2263:
	s_delay_alu instid0(SALU_CYCLE_1)
	s_and_b32 s36, s6, exec_lo
	s_and_not1_b32 s6, s64, exec_lo
	s_and_b32 s21, s5, exec_lo
	s_and_b32 s20, s20, exec_lo
	;; [unrolled: 1-line block ×3, first 2 shown]
	s_or_b32 s64, s6, s21
	s_wait_xcnt 0x0
	s_or_b32 exec_lo, exec_lo, s4
	s_and_saveexec_b32 s4, s64
	s_cbranch_execz .LBB22_2196
.LBB22_2264:
	s_or_b32 s1, s1, exec_lo
	s_and_not1_b32 s5, s5, exec_lo
	s_trap 2
	s_or_b32 exec_lo, exec_lo, s4
	s_and_saveexec_b32 s4, s5
	s_delay_alu instid0(SALU_CYCLE_1)
	s_xor_b32 s4, exec_lo, s4
	s_cbranch_execnz .LBB22_2197
.LBB22_2265:
	s_or_b32 exec_lo, exec_lo, s4
	s_and_saveexec_b32 s4, s36
	s_cbranch_execz .LBB22_2311
.LBB22_2266:
	s_sext_i32_i16 s5, s0
	s_delay_alu instid0(SALU_CYCLE_1)
	s_cmp_lt_i32 s5, 5
	s_cbranch_scc1 .LBB22_2271
; %bb.2267:
	s_cmp_lt_i32 s5, 8
	s_cbranch_scc1 .LBB22_2272
; %bb.2268:
	;; [unrolled: 3-line block ×3, first 2 shown]
	s_cmp_gt_i32 s5, 9
	s_cbranch_scc0 .LBB22_2274
; %bb.2270:
	s_wait_loadcnt 0x0
	global_load_b64 v[2:3], v[0:1], off
	s_mov_b32 s5, 0
	s_wait_loadcnt 0x0
	v_cvt_i32_f64_e32 v8, v[2:3]
	s_branch .LBB22_2275
.LBB22_2271:
                                        ; implicit-def: $vgpr8
	s_branch .LBB22_2292
.LBB22_2272:
                                        ; implicit-def: $vgpr8
	s_branch .LBB22_2281
.LBB22_2273:
	s_mov_b32 s5, -1
                                        ; implicit-def: $vgpr8
	s_branch .LBB22_2278
.LBB22_2274:
	s_mov_b32 s5, -1
                                        ; implicit-def: $vgpr8
.LBB22_2275:
	s_delay_alu instid0(SALU_CYCLE_1)
	s_and_not1_b32 vcc_lo, exec_lo, s5
	s_cbranch_vccnz .LBB22_2277
; %bb.2276:
	s_wait_loadcnt 0x0
	global_load_b32 v2, v[0:1], off
	s_wait_loadcnt 0x0
	v_cvt_i32_f32_e32 v8, v2
.LBB22_2277:
	s_mov_b32 s5, 0
.LBB22_2278:
	s_delay_alu instid0(SALU_CYCLE_1)
	s_and_not1_b32 vcc_lo, exec_lo, s5
	s_cbranch_vccnz .LBB22_2280
; %bb.2279:
	s_wait_loadcnt 0x0
	global_load_b32 v2, v[0:1], off
	s_wait_loadcnt 0x0
	v_cvt_f32_f16_e32 v2, v2
	s_delay_alu instid0(VALU_DEP_1)
	v_cvt_i32_f32_e32 v8, v2
.LBB22_2280:
	s_cbranch_execnz .LBB22_2291
.LBB22_2281:
	s_sext_i32_i16 s5, s0
	s_delay_alu instid0(SALU_CYCLE_1)
	s_cmp_lt_i32 s5, 6
	s_cbranch_scc1 .LBB22_2284
; %bb.2282:
	s_cmp_gt_i32 s5, 6
	s_cbranch_scc0 .LBB22_2285
; %bb.2283:
	s_wait_loadcnt 0x0
	global_load_b64 v[2:3], v[0:1], off
	s_mov_b32 s5, 0
	s_wait_loadcnt 0x0
	v_cvt_i32_f64_e32 v8, v[2:3]
	s_branch .LBB22_2286
.LBB22_2284:
	s_mov_b32 s5, -1
                                        ; implicit-def: $vgpr8
	s_branch .LBB22_2289
.LBB22_2285:
	s_mov_b32 s5, -1
                                        ; implicit-def: $vgpr8
.LBB22_2286:
	s_delay_alu instid0(SALU_CYCLE_1)
	s_and_not1_b32 vcc_lo, exec_lo, s5
	s_cbranch_vccnz .LBB22_2288
; %bb.2287:
	s_wait_loadcnt 0x0
	global_load_b32 v2, v[0:1], off
	s_wait_loadcnt 0x0
	v_cvt_i32_f32_e32 v8, v2
.LBB22_2288:
	s_mov_b32 s5, 0
.LBB22_2289:
	s_delay_alu instid0(SALU_CYCLE_1)
	s_and_not1_b32 vcc_lo, exec_lo, s5
	s_cbranch_vccnz .LBB22_2291
; %bb.2290:
	s_wait_loadcnt 0x0
	global_load_u16 v2, v[0:1], off
	s_wait_loadcnt 0x0
	v_cvt_f32_f16_e32 v2, v2
	s_delay_alu instid0(VALU_DEP_1)
	v_cvt_i32_f32_e32 v8, v2
.LBB22_2291:
	s_cbranch_execnz .LBB22_2310
.LBB22_2292:
	s_sext_i32_i16 s5, s0
	s_delay_alu instid0(SALU_CYCLE_1)
	s_cmp_lt_i32 s5, 2
	s_cbranch_scc1 .LBB22_2296
; %bb.2293:
	s_cmp_lt_i32 s5, 3
	s_cbranch_scc1 .LBB22_2297
; %bb.2294:
	s_cmp_gt_i32 s5, 3
	s_cbranch_scc0 .LBB22_2298
; %bb.2295:
	s_wait_loadcnt 0x0
	global_load_b32 v8, v[0:1], off
	s_mov_b32 s5, 0
	s_branch .LBB22_2299
.LBB22_2296:
                                        ; implicit-def: $vgpr8
	s_branch .LBB22_2305
.LBB22_2297:
	s_mov_b32 s5, -1
                                        ; implicit-def: $vgpr8
	s_branch .LBB22_2302
.LBB22_2298:
	s_mov_b32 s5, -1
                                        ; implicit-def: $vgpr8
.LBB22_2299:
	s_delay_alu instid0(SALU_CYCLE_1)
	s_and_not1_b32 vcc_lo, exec_lo, s5
	s_cbranch_vccnz .LBB22_2301
; %bb.2300:
	s_wait_loadcnt 0x0
	global_load_b32 v8, v[0:1], off
.LBB22_2301:
	s_mov_b32 s5, 0
.LBB22_2302:
	s_delay_alu instid0(SALU_CYCLE_1)
	s_and_not1_b32 vcc_lo, exec_lo, s5
	s_cbranch_vccnz .LBB22_2304
; %bb.2303:
	s_wait_loadcnt 0x0
	global_load_i16 v8, v[0:1], off
.LBB22_2304:
	s_cbranch_execnz .LBB22_2310
.LBB22_2305:
	s_sext_i32_i16 s0, s0
	s_delay_alu instid0(SALU_CYCLE_1)
	s_cmp_gt_i32 s0, 0
	s_mov_b32 s0, 0
	s_cbranch_scc0 .LBB22_2307
; %bb.2306:
	s_wait_loadcnt 0x0
	global_load_i8 v8, v[0:1], off
	s_branch .LBB22_2308
.LBB22_2307:
	s_mov_b32 s0, -1
                                        ; implicit-def: $vgpr8
.LBB22_2308:
	s_delay_alu instid0(SALU_CYCLE_1)
	s_and_not1_b32 vcc_lo, exec_lo, s0
	s_cbranch_vccnz .LBB22_2310
; %bb.2309:
	s_wait_loadcnt 0x0
	global_load_u8 v8, v[0:1], off
.LBB22_2310:
	s_or_b32 s20, s20, exec_lo
.LBB22_2311:
	s_wait_xcnt 0x0
	s_or_b32 exec_lo, exec_lo, s4
	s_mov_b32 s5, 0
	s_mov_b32 s21, 0
	;; [unrolled: 1-line block ×3, first 2 shown]
                                        ; implicit-def: $sgpr0
                                        ; implicit-def: $vgpr2_vgpr3
                                        ; implicit-def: $vgpr0
	s_and_saveexec_b32 s4, s20
	s_cbranch_execz .LBB22_2319
; %bb.2312:
	s_wait_loadcnt 0x0
	v_mul_lo_u32 v0, s22, v22
	s_and_b32 s0, s34, 0xff
	s_delay_alu instid0(SALU_CYCLE_1) | instskip(NEXT) | instid1(VALU_DEP_1)
	s_cmp_lt_i32 s0, 11
	v_ashrrev_i32_e32 v1, 31, v0
	s_delay_alu instid0(VALU_DEP_1)
	v_add_nc_u64_e32 v[2:3], s[8:9], v[0:1]
	s_cbranch_scc1 .LBB22_2322
; %bb.2313:
	s_and_b32 s6, 0xffff, s0
	s_mov_b32 s7, 0
	s_cmp_gt_i32 s6, 25
	s_cbranch_scc0 .LBB22_2323
; %bb.2314:
	s_cmp_gt_i32 s6, 28
	s_cbranch_scc0 .LBB22_2324
; %bb.2315:
	;; [unrolled: 3-line block ×4, first 2 shown]
	s_cmp_eq_u32 s6, 46
	s_mov_b32 s9, 0
	s_cbranch_scc0 .LBB22_2327
; %bb.2318:
	global_load_b32 v0, v[2:3], off
	s_mov_b32 s8, -1
	s_wait_loadcnt 0x0
	v_lshlrev_b32_e32 v0, 16, v0
	s_delay_alu instid0(VALU_DEP_1)
	v_cvt_i32_f32_e32 v0, v0
	s_branch .LBB22_2329
.LBB22_2319:
	s_or_b32 exec_lo, exec_lo, s4
	s_and_saveexec_b32 s4, s63
	s_cbranch_execnz .LBB22_2388
.LBB22_2320:
	s_or_b32 exec_lo, exec_lo, s4
	s_and_saveexec_b32 s4, s5
	s_delay_alu instid0(SALU_CYCLE_1)
	s_xor_b32 s4, exec_lo, s4
	s_cbranch_execz .LBB22_2389
.LBB22_2321:
	s_wait_loadcnt 0x0
	global_load_u8 v0, v[2:3], off
	s_or_b32 s6, s6, exec_lo
	s_wait_loadcnt 0x0
	v_cmp_ne_u16_e32 vcc_lo, 0, v0
	v_cndmask_b32_e64 v0, 0, 1, vcc_lo
	s_wait_xcnt 0x0
	s_or_b32 exec_lo, exec_lo, s4
	s_and_saveexec_b32 s4, s21
	s_cbranch_execz .LBB22_2435
	s_branch .LBB22_2390
.LBB22_2322:
	s_mov_b32 s9, -1
	s_mov_b32 s8, 0
	s_mov_b32 s7, 0
	;; [unrolled: 1-line block ×3, first 2 shown]
                                        ; implicit-def: $vgpr0
	s_branch .LBB22_2387
.LBB22_2323:
	s_mov_b32 s8, 0
	s_mov_b32 s5, s63
                                        ; implicit-def: $vgpr0
	s_cbranch_execnz .LBB22_2356
	s_branch .LBB22_2386
.LBB22_2324:
	s_mov_b32 s9, -1
	s_mov_b32 s8, 0
	s_mov_b32 s5, s63
                                        ; implicit-def: $vgpr0
	s_branch .LBB22_2339
.LBB22_2325:
	s_mov_b32 s9, -1
	s_mov_b32 s8, 0
	s_mov_b32 s5, s63
                                        ; implicit-def: $vgpr0
	s_branch .LBB22_2334
.LBB22_2326:
	s_mov_b32 s9, -1
	s_mov_b32 s8, 0
	s_mov_b32 s5, s63
	s_branch .LBB22_2328
.LBB22_2327:
	s_mov_b32 s5, -1
	s_mov_b32 s8, 0
.LBB22_2328:
                                        ; implicit-def: $vgpr0
.LBB22_2329:
	s_and_b32 vcc_lo, exec_lo, s9
	s_cbranch_vccz .LBB22_2333
; %bb.2330:
	s_cmp_eq_u32 s6, 44
	s_cbranch_scc0 .LBB22_2332
; %bb.2331:
	global_load_u8 v0, v[2:3], off
	s_mov_b32 s5, 0
	s_mov_b32 s8, -1
	s_wait_loadcnt 0x0
	v_lshlrev_b32_e32 v1, 23, v0
	v_cmp_ne_u32_e32 vcc_lo, 0, v0
	s_delay_alu instid0(VALU_DEP_2) | instskip(NEXT) | instid1(VALU_DEP_1)
	v_cvt_i32_f32_e32 v1, v1
	v_cndmask_b32_e32 v0, 0, v1, vcc_lo
	s_branch .LBB22_2333
.LBB22_2332:
	s_mov_b32 s5, -1
                                        ; implicit-def: $vgpr0
.LBB22_2333:
	s_mov_b32 s9, 0
.LBB22_2334:
	s_delay_alu instid0(SALU_CYCLE_1)
	s_and_b32 vcc_lo, exec_lo, s9
	s_cbranch_vccz .LBB22_2338
; %bb.2335:
	s_cmp_eq_u32 s6, 29
	s_cbranch_scc0 .LBB22_2337
; %bb.2336:
	global_load_b32 v0, v[2:3], off
	s_mov_b32 s5, 0
	s_mov_b32 s8, -1
	s_branch .LBB22_2338
.LBB22_2337:
	s_mov_b32 s5, -1
                                        ; implicit-def: $vgpr0
.LBB22_2338:
	s_mov_b32 s9, 0
.LBB22_2339:
	s_delay_alu instid0(SALU_CYCLE_1)
	s_and_b32 vcc_lo, exec_lo, s9
	s_cbranch_vccz .LBB22_2355
; %bb.2340:
	s_cmp_lt_i32 s6, 27
	s_cbranch_scc1 .LBB22_2343
; %bb.2341:
	s_cmp_gt_i32 s6, 27
	s_cbranch_scc0 .LBB22_2344
; %bb.2342:
	s_wait_loadcnt 0x0
	global_load_b32 v0, v[2:3], off
	s_mov_b32 s8, 0
	s_branch .LBB22_2345
.LBB22_2343:
	s_mov_b32 s8, -1
                                        ; implicit-def: $vgpr0
	s_branch .LBB22_2348
.LBB22_2344:
	s_mov_b32 s8, -1
                                        ; implicit-def: $vgpr0
.LBB22_2345:
	s_delay_alu instid0(SALU_CYCLE_1)
	s_and_not1_b32 vcc_lo, exec_lo, s8
	s_cbranch_vccnz .LBB22_2347
; %bb.2346:
	s_wait_loadcnt 0x0
	global_load_u16 v0, v[2:3], off
.LBB22_2347:
	s_mov_b32 s8, 0
.LBB22_2348:
	s_delay_alu instid0(SALU_CYCLE_1)
	s_and_not1_b32 vcc_lo, exec_lo, s8
	s_cbranch_vccnz .LBB22_2354
; %bb.2349:
	global_load_u8 v1, v[2:3], off
	s_mov_b32 s9, 0
	s_mov_b32 s8, exec_lo
	s_wait_loadcnt 0x0
	v_cmpx_lt_i16_e32 0x7f, v1
	s_xor_b32 s8, exec_lo, s8
	s_cbranch_execz .LBB22_2365
; %bb.2350:
	v_cmp_ne_u16_e32 vcc_lo, 0x80, v1
	s_and_b32 s9, vcc_lo, exec_lo
	s_and_not1_saveexec_b32 s8, s8
	s_cbranch_execnz .LBB22_2366
.LBB22_2351:
	s_or_b32 exec_lo, exec_lo, s8
	v_mov_b32_e32 v0, 0
	s_and_saveexec_b32 s8, s9
	s_cbranch_execz .LBB22_2353
.LBB22_2352:
	v_and_b32_e32 v0, 0xffff, v1
	s_delay_alu instid0(VALU_DEP_1) | instskip(SKIP_1) | instid1(VALU_DEP_2)
	v_and_b32_e32 v4, 7, v0
	v_bfe_u32 v9, v0, 3, 4
	v_clz_i32_u32_e32 v5, v4
	s_delay_alu instid0(VALU_DEP_2) | instskip(NEXT) | instid1(VALU_DEP_2)
	v_cmp_eq_u32_e32 vcc_lo, 0, v9
	v_min_u32_e32 v5, 32, v5
	s_delay_alu instid0(VALU_DEP_1) | instskip(NEXT) | instid1(VALU_DEP_1)
	v_subrev_nc_u32_e32 v6, 28, v5
	v_dual_lshlrev_b32 v0, v6, v0 :: v_dual_sub_nc_u32 v5, 29, v5
	s_delay_alu instid0(VALU_DEP_1) | instskip(NEXT) | instid1(VALU_DEP_1)
	v_dual_lshlrev_b32 v1, 24, v1 :: v_dual_bitop2_b32 v0, 7, v0 bitop3:0x40
	v_dual_cndmask_b32 v0, v4, v0 :: v_dual_cndmask_b32 v5, v9, v5
	s_delay_alu instid0(VALU_DEP_2) | instskip(NEXT) | instid1(VALU_DEP_2)
	v_and_b32_e32 v1, 0x80000000, v1
	v_lshlrev_b32_e32 v0, 20, v0
	s_delay_alu instid0(VALU_DEP_3) | instskip(NEXT) | instid1(VALU_DEP_1)
	v_lshl_add_u32 v4, v5, 23, 0x3b800000
	v_or3_b32 v0, v1, v4, v0
	s_delay_alu instid0(VALU_DEP_1)
	v_cvt_i32_f32_e32 v0, v0
.LBB22_2353:
	s_or_b32 exec_lo, exec_lo, s8
.LBB22_2354:
	s_mov_b32 s8, -1
.LBB22_2355:
	s_branch .LBB22_2386
.LBB22_2356:
	s_cmp_gt_i32 s6, 22
	s_cbranch_scc0 .LBB22_2364
; %bb.2357:
	s_cmp_lt_i32 s6, 24
	s_cbranch_scc1 .LBB22_2367
; %bb.2358:
	s_cmp_gt_i32 s6, 24
	s_cbranch_scc0 .LBB22_2368
; %bb.2359:
	global_load_u8 v1, v[2:3], off
	s_mov_b32 s8, 0
	s_mov_b32 s7, exec_lo
	s_wait_loadcnt 0x0
	v_cmpx_lt_i16_e32 0x7f, v1
	s_xor_b32 s7, exec_lo, s7
	s_cbranch_execz .LBB22_2380
; %bb.2360:
	v_cmp_ne_u16_e32 vcc_lo, 0x80, v1
	s_and_b32 s8, vcc_lo, exec_lo
	s_and_not1_saveexec_b32 s7, s7
	s_cbranch_execnz .LBB22_2381
.LBB22_2361:
	s_or_b32 exec_lo, exec_lo, s7
	v_mov_b32_e32 v0, 0
	s_and_saveexec_b32 s7, s8
	s_cbranch_execz .LBB22_2363
.LBB22_2362:
	v_and_b32_e32 v0, 0xffff, v1
	s_delay_alu instid0(VALU_DEP_1) | instskip(SKIP_1) | instid1(VALU_DEP_2)
	v_and_b32_e32 v4, 3, v0
	v_bfe_u32 v9, v0, 2, 5
	v_clz_i32_u32_e32 v5, v4
	s_delay_alu instid0(VALU_DEP_2) | instskip(NEXT) | instid1(VALU_DEP_2)
	v_cmp_eq_u32_e32 vcc_lo, 0, v9
	v_min_u32_e32 v5, 32, v5
	s_delay_alu instid0(VALU_DEP_1) | instskip(NEXT) | instid1(VALU_DEP_1)
	v_subrev_nc_u32_e32 v6, 29, v5
	v_dual_lshlrev_b32 v0, v6, v0 :: v_dual_sub_nc_u32 v5, 30, v5
	s_delay_alu instid0(VALU_DEP_1) | instskip(NEXT) | instid1(VALU_DEP_1)
	v_dual_lshlrev_b32 v1, 24, v1 :: v_dual_bitop2_b32 v0, 3, v0 bitop3:0x40
	v_dual_cndmask_b32 v0, v4, v0 :: v_dual_cndmask_b32 v5, v9, v5
	s_delay_alu instid0(VALU_DEP_2) | instskip(NEXT) | instid1(VALU_DEP_2)
	v_and_b32_e32 v1, 0x80000000, v1
	v_lshlrev_b32_e32 v0, 21, v0
	s_delay_alu instid0(VALU_DEP_3) | instskip(NEXT) | instid1(VALU_DEP_1)
	v_lshl_add_u32 v4, v5, 23, 0x37800000
	v_or3_b32 v0, v1, v4, v0
	s_delay_alu instid0(VALU_DEP_1)
	v_cvt_i32_f32_e32 v0, v0
.LBB22_2363:
	s_or_b32 exec_lo, exec_lo, s7
	s_mov_b32 s7, 0
	s_branch .LBB22_2369
.LBB22_2364:
	s_mov_b32 s7, -1
                                        ; implicit-def: $vgpr0
	s_branch .LBB22_2375
.LBB22_2365:
	s_and_not1_saveexec_b32 s8, s8
	s_cbranch_execz .LBB22_2351
.LBB22_2366:
	v_cmp_ne_u16_e32 vcc_lo, 0, v1
	s_and_not1_b32 s9, s9, exec_lo
	s_and_b32 s20, vcc_lo, exec_lo
	s_delay_alu instid0(SALU_CYCLE_1)
	s_or_b32 s9, s9, s20
	s_or_b32 exec_lo, exec_lo, s8
	v_mov_b32_e32 v0, 0
	s_and_saveexec_b32 s8, s9
	s_cbranch_execnz .LBB22_2352
	s_branch .LBB22_2353
.LBB22_2367:
	s_mov_b32 s7, -1
                                        ; implicit-def: $vgpr0
	s_branch .LBB22_2372
.LBB22_2368:
	s_mov_b32 s7, -1
                                        ; implicit-def: $vgpr0
.LBB22_2369:
	s_delay_alu instid0(SALU_CYCLE_1)
	s_and_b32 vcc_lo, exec_lo, s7
	s_cbranch_vccz .LBB22_2371
; %bb.2370:
	s_wait_loadcnt 0x0
	global_load_u8 v0, v[2:3], off
	s_wait_loadcnt 0x0
	v_lshlrev_b32_e32 v0, 24, v0
	s_delay_alu instid0(VALU_DEP_1) | instskip(NEXT) | instid1(VALU_DEP_1)
	v_and_b32_e32 v1, 0x7f000000, v0
	v_clz_i32_u32_e32 v4, v1
	v_cmp_ne_u32_e32 vcc_lo, 0, v1
	v_add_nc_u32_e32 v6, 0x1000000, v1
	s_delay_alu instid0(VALU_DEP_3) | instskip(NEXT) | instid1(VALU_DEP_1)
	v_min_u32_e32 v4, 32, v4
	v_sub_nc_u32_e64 v4, v4, 4 clamp
	s_delay_alu instid0(VALU_DEP_1) | instskip(NEXT) | instid1(VALU_DEP_1)
	v_dual_lshlrev_b32 v5, v4, v1 :: v_dual_lshlrev_b32 v4, 23, v4
	v_lshrrev_b32_e32 v5, 4, v5
	s_delay_alu instid0(VALU_DEP_1) | instskip(NEXT) | instid1(VALU_DEP_1)
	v_dual_sub_nc_u32 v4, v5, v4 :: v_dual_ashrrev_i32 v5, 8, v6
	v_add_nc_u32_e32 v4, 0x3c000000, v4
	s_delay_alu instid0(VALU_DEP_1) | instskip(NEXT) | instid1(VALU_DEP_1)
	v_and_or_b32 v4, 0x7f800000, v5, v4
	v_cndmask_b32_e32 v1, 0, v4, vcc_lo
	s_delay_alu instid0(VALU_DEP_1) | instskip(NEXT) | instid1(VALU_DEP_1)
	v_and_or_b32 v0, 0x80000000, v0, v1
	v_cvt_i32_f32_e32 v0, v0
.LBB22_2371:
	s_mov_b32 s7, 0
.LBB22_2372:
	s_delay_alu instid0(SALU_CYCLE_1)
	s_and_not1_b32 vcc_lo, exec_lo, s7
	s_cbranch_vccnz .LBB22_2374
; %bb.2373:
	s_wait_loadcnt 0x0
	global_load_u8 v0, v[2:3], off
	s_wait_loadcnt 0x0
	v_lshlrev_b32_e32 v1, 25, v0
	v_lshlrev_b16 v0, 8, v0
	s_delay_alu instid0(VALU_DEP_1) | instskip(SKIP_1) | instid1(VALU_DEP_2)
	v_and_or_b32 v5, 0x7f00, v0, 0.5
	v_bfe_i32 v0, v0, 0, 16
	v_add_f32_e32 v5, -0.5, v5
	v_lshrrev_b32_e32 v4, 4, v1
	v_cmp_gt_u32_e32 vcc_lo, 0x8000000, v1
	s_delay_alu instid0(VALU_DEP_2) | instskip(NEXT) | instid1(VALU_DEP_1)
	v_or_b32_e32 v4, 0x70000000, v4
	v_mul_f32_e32 v4, 0x7800000, v4
	s_delay_alu instid0(VALU_DEP_1) | instskip(NEXT) | instid1(VALU_DEP_1)
	v_cndmask_b32_e32 v1, v4, v5, vcc_lo
	v_and_or_b32 v0, 0x80000000, v0, v1
	s_delay_alu instid0(VALU_DEP_1)
	v_cvt_i32_f32_e32 v0, v0
.LBB22_2374:
	s_mov_b32 s7, 0
	s_mov_b32 s8, -1
.LBB22_2375:
	s_and_not1_b32 vcc_lo, exec_lo, s7
	s_mov_b32 s7, 0
	s_cbranch_vccnz .LBB22_2386
; %bb.2376:
	s_cmp_gt_i32 s6, 14
	s_cbranch_scc0 .LBB22_2379
; %bb.2377:
	s_cmp_eq_u32 s6, 15
	s_cbranch_scc0 .LBB22_2382
; %bb.2378:
	s_wait_loadcnt 0x0
	global_load_u16 v0, v[2:3], off
	s_mov_b32 s5, 0
	s_mov_b32 s8, -1
	s_wait_loadcnt 0x0
	v_lshlrev_b32_e32 v0, 16, v0
	s_delay_alu instid0(VALU_DEP_1)
	v_cvt_i32_f32_e32 v0, v0
	s_branch .LBB22_2384
.LBB22_2379:
	s_mov_b32 s7, -1
	s_branch .LBB22_2383
.LBB22_2380:
	s_and_not1_saveexec_b32 s7, s7
	s_cbranch_execz .LBB22_2361
.LBB22_2381:
	v_cmp_ne_u16_e32 vcc_lo, 0, v1
	s_and_not1_b32 s8, s8, exec_lo
	s_and_b32 s9, vcc_lo, exec_lo
	s_delay_alu instid0(SALU_CYCLE_1)
	s_or_b32 s8, s8, s9
	s_or_b32 exec_lo, exec_lo, s7
	v_mov_b32_e32 v0, 0
	s_and_saveexec_b32 s7, s8
	s_cbranch_execnz .LBB22_2362
	s_branch .LBB22_2363
.LBB22_2382:
	s_mov_b32 s5, -1
.LBB22_2383:
                                        ; implicit-def: $vgpr0
.LBB22_2384:
	s_and_b32 vcc_lo, exec_lo, s7
	s_mov_b32 s7, 0
	s_cbranch_vccz .LBB22_2386
; %bb.2385:
	s_cmp_lg_u32 s6, 11
	s_mov_b32 s7, -1
	s_cselect_b32 s6, -1, 0
	s_and_not1_b32 s5, s5, exec_lo
	s_and_b32 s6, s6, exec_lo
	s_delay_alu instid0(SALU_CYCLE_1)
	s_or_b32 s5, s5, s6
.LBB22_2386:
	s_mov_b32 s9, 0
.LBB22_2387:
	s_and_b32 s6, s8, exec_lo
	s_and_b32 s21, s9, exec_lo
	s_and_not1_b32 s8, s63, exec_lo
	s_and_b32 s9, s5, exec_lo
	s_and_b32 s5, s7, exec_lo
	s_or_b32 s63, s8, s9
	s_wait_xcnt 0x0
	s_or_b32 exec_lo, exec_lo, s4
	s_and_saveexec_b32 s4, s63
	s_cbranch_execz .LBB22_2320
.LBB22_2388:
	s_or_b32 s1, s1, exec_lo
	s_and_not1_b32 s5, s5, exec_lo
	s_trap 2
	s_or_b32 exec_lo, exec_lo, s4
	s_and_saveexec_b32 s4, s5
	s_delay_alu instid0(SALU_CYCLE_1)
	s_xor_b32 s4, exec_lo, s4
	s_cbranch_execnz .LBB22_2321
.LBB22_2389:
	s_or_b32 exec_lo, exec_lo, s4
	s_and_saveexec_b32 s4, s21
	s_cbranch_execz .LBB22_2435
.LBB22_2390:
	s_sext_i32_i16 s5, s0
	s_delay_alu instid0(SALU_CYCLE_1)
	s_cmp_lt_i32 s5, 5
	s_cbranch_scc1 .LBB22_2395
; %bb.2391:
	s_cmp_lt_i32 s5, 8
	s_cbranch_scc1 .LBB22_2396
; %bb.2392:
	s_cmp_lt_i32 s5, 9
	s_cbranch_scc1 .LBB22_2397
; %bb.2393:
	s_cmp_gt_i32 s5, 9
	s_cbranch_scc0 .LBB22_2398
; %bb.2394:
	s_wait_loadcnt 0x0
	global_load_b64 v[0:1], v[2:3], off
	s_mov_b32 s5, 0
	s_wait_loadcnt 0x0
	v_cvt_i32_f64_e32 v0, v[0:1]
	s_branch .LBB22_2399
.LBB22_2395:
                                        ; implicit-def: $vgpr0
	s_branch .LBB22_2416
.LBB22_2396:
                                        ; implicit-def: $vgpr0
	s_branch .LBB22_2405
.LBB22_2397:
	s_mov_b32 s5, -1
                                        ; implicit-def: $vgpr0
	s_branch .LBB22_2402
.LBB22_2398:
	s_mov_b32 s5, -1
                                        ; implicit-def: $vgpr0
.LBB22_2399:
	s_delay_alu instid0(SALU_CYCLE_1)
	s_and_not1_b32 vcc_lo, exec_lo, s5
	s_cbranch_vccnz .LBB22_2401
; %bb.2400:
	s_wait_loadcnt 0x0
	global_load_b32 v0, v[2:3], off
	s_wait_loadcnt 0x0
	v_cvt_i32_f32_e32 v0, v0
.LBB22_2401:
	s_mov_b32 s5, 0
.LBB22_2402:
	s_delay_alu instid0(SALU_CYCLE_1)
	s_and_not1_b32 vcc_lo, exec_lo, s5
	s_cbranch_vccnz .LBB22_2404
; %bb.2403:
	s_wait_loadcnt 0x0
	global_load_b32 v0, v[2:3], off
	s_wait_loadcnt 0x0
	v_cvt_f32_f16_e32 v0, v0
	s_delay_alu instid0(VALU_DEP_1)
	v_cvt_i32_f32_e32 v0, v0
.LBB22_2404:
	s_cbranch_execnz .LBB22_2415
.LBB22_2405:
	s_sext_i32_i16 s5, s0
	s_delay_alu instid0(SALU_CYCLE_1)
	s_cmp_lt_i32 s5, 6
	s_cbranch_scc1 .LBB22_2408
; %bb.2406:
	s_cmp_gt_i32 s5, 6
	s_cbranch_scc0 .LBB22_2409
; %bb.2407:
	s_wait_loadcnt 0x0
	global_load_b64 v[0:1], v[2:3], off
	s_mov_b32 s5, 0
	s_wait_loadcnt 0x0
	v_cvt_i32_f64_e32 v0, v[0:1]
	s_branch .LBB22_2410
.LBB22_2408:
	s_mov_b32 s5, -1
                                        ; implicit-def: $vgpr0
	s_branch .LBB22_2413
.LBB22_2409:
	s_mov_b32 s5, -1
                                        ; implicit-def: $vgpr0
.LBB22_2410:
	s_delay_alu instid0(SALU_CYCLE_1)
	s_and_not1_b32 vcc_lo, exec_lo, s5
	s_cbranch_vccnz .LBB22_2412
; %bb.2411:
	s_wait_loadcnt 0x0
	global_load_b32 v0, v[2:3], off
	s_wait_loadcnt 0x0
	v_cvt_i32_f32_e32 v0, v0
.LBB22_2412:
	s_mov_b32 s5, 0
.LBB22_2413:
	s_delay_alu instid0(SALU_CYCLE_1)
	s_and_not1_b32 vcc_lo, exec_lo, s5
	s_cbranch_vccnz .LBB22_2415
; %bb.2414:
	s_wait_loadcnt 0x0
	global_load_u16 v0, v[2:3], off
	s_wait_loadcnt 0x0
	v_cvt_f32_f16_e32 v0, v0
	s_delay_alu instid0(VALU_DEP_1)
	v_cvt_i32_f32_e32 v0, v0
.LBB22_2415:
	s_cbranch_execnz .LBB22_2434
.LBB22_2416:
	s_sext_i32_i16 s5, s0
	s_delay_alu instid0(SALU_CYCLE_1)
	s_cmp_lt_i32 s5, 2
	s_cbranch_scc1 .LBB22_2420
; %bb.2417:
	s_cmp_lt_i32 s5, 3
	s_cbranch_scc1 .LBB22_2421
; %bb.2418:
	s_cmp_gt_i32 s5, 3
	s_cbranch_scc0 .LBB22_2422
; %bb.2419:
	s_wait_loadcnt 0x0
	global_load_b32 v0, v[2:3], off
	s_mov_b32 s5, 0
	s_branch .LBB22_2423
.LBB22_2420:
                                        ; implicit-def: $vgpr0
	s_branch .LBB22_2429
.LBB22_2421:
	s_mov_b32 s5, -1
                                        ; implicit-def: $vgpr0
	s_branch .LBB22_2426
.LBB22_2422:
	s_mov_b32 s5, -1
                                        ; implicit-def: $vgpr0
.LBB22_2423:
	s_delay_alu instid0(SALU_CYCLE_1)
	s_and_not1_b32 vcc_lo, exec_lo, s5
	s_cbranch_vccnz .LBB22_2425
; %bb.2424:
	s_wait_loadcnt 0x0
	global_load_b32 v0, v[2:3], off
.LBB22_2425:
	s_mov_b32 s5, 0
.LBB22_2426:
	s_delay_alu instid0(SALU_CYCLE_1)
	s_and_not1_b32 vcc_lo, exec_lo, s5
	s_cbranch_vccnz .LBB22_2428
; %bb.2427:
	s_wait_loadcnt 0x0
	global_load_i16 v0, v[2:3], off
.LBB22_2428:
	s_cbranch_execnz .LBB22_2434
.LBB22_2429:
	s_sext_i32_i16 s0, s0
	s_delay_alu instid0(SALU_CYCLE_1)
	s_cmp_gt_i32 s0, 0
	s_mov_b32 s0, 0
	s_cbranch_scc0 .LBB22_2431
; %bb.2430:
	s_wait_loadcnt 0x0
	global_load_i8 v0, v[2:3], off
	s_branch .LBB22_2432
.LBB22_2431:
	s_mov_b32 s0, -1
                                        ; implicit-def: $vgpr0
.LBB22_2432:
	s_delay_alu instid0(SALU_CYCLE_1)
	s_and_not1_b32 vcc_lo, exec_lo, s0
	s_cbranch_vccnz .LBB22_2434
; %bb.2433:
	s_wait_loadcnt 0x0
	global_load_u8 v0, v[2:3], off
.LBB22_2434:
	s_or_b32 s6, s6, exec_lo
.LBB22_2435:
	s_wait_xcnt 0x0
	s_or_b32 exec_lo, exec_lo, s4
	s_mov_b32 s5, 0
	s_mov_b32 s9, 0
	;; [unrolled: 1-line block ×3, first 2 shown]
                                        ; implicit-def: $sgpr0
                                        ; implicit-def: $vgpr4_vgpr5
                                        ; implicit-def: $vgpr2
	s_and_saveexec_b32 s4, s6
	s_cbranch_execz .LBB22_2443
; %bb.2436:
	s_wait_loadcnt 0x0
	v_mul_lo_u32 v2, s23, v22
	s_and_b32 s0, s15, 0xff
	s_delay_alu instid0(SALU_CYCLE_1) | instskip(NEXT) | instid1(VALU_DEP_1)
	s_cmp_lt_i32 s0, 11
	v_ashrrev_i32_e32 v3, 31, v2
	s_delay_alu instid0(VALU_DEP_1)
	v_add_nc_u64_e32 v[4:5], s[10:11], v[2:3]
	s_cbranch_scc1 .LBB22_2446
; %bb.2437:
	s_and_b32 s6, 0xffff, s0
	s_mov_b32 s8, 0
	s_cmp_gt_i32 s6, 25
	s_cbranch_scc0 .LBB22_2447
; %bb.2438:
	s_cmp_gt_i32 s6, 28
	s_cbranch_scc0 .LBB22_2448
; %bb.2439:
	;; [unrolled: 3-line block ×4, first 2 shown]
	s_cmp_eq_u32 s6, 46
	s_cbranch_scc0 .LBB22_2451
; %bb.2442:
	global_load_b32 v1, v[4:5], off
	s_mov_b32 s7, -1
	s_wait_loadcnt 0x0
	v_lshlrev_b32_e32 v1, 16, v1
	s_delay_alu instid0(VALU_DEP_1)
	v_cvt_i32_f32_e32 v2, v1
	s_branch .LBB22_2453
.LBB22_2443:
	s_or_b32 exec_lo, exec_lo, s4
	s_and_saveexec_b32 s4, s62
	s_cbranch_execnz .LBB22_2512
.LBB22_2444:
	s_or_b32 exec_lo, exec_lo, s4
	s_and_saveexec_b32 s4, s5
	s_delay_alu instid0(SALU_CYCLE_1)
	s_xor_b32 s4, exec_lo, s4
	s_cbranch_execz .LBB22_2513
.LBB22_2445:
	global_load_u8 v1, v[4:5], off
	s_or_b32 s7, s7, exec_lo
	s_wait_loadcnt 0x0
	v_cmp_ne_u16_e32 vcc_lo, 0, v1
	v_cndmask_b32_e64 v2, 0, 1, vcc_lo
	s_wait_xcnt 0x0
	s_or_b32 exec_lo, exec_lo, s4
	s_and_saveexec_b32 s4, s9
	s_cbranch_execz .LBB22_2559
	s_branch .LBB22_2514
.LBB22_2446:
	s_mov_b32 s6, -1
	s_mov_b32 s8, 0
	s_mov_b32 s5, s62
                                        ; implicit-def: $vgpr2
	s_branch .LBB22_2511
.LBB22_2447:
	s_mov_b32 s5, s62
                                        ; implicit-def: $vgpr2
	s_cbranch_execnz .LBB22_2480
	s_branch .LBB22_2510
.LBB22_2448:
	s_mov_b32 s9, -1
	s_mov_b32 s5, s62
                                        ; implicit-def: $vgpr2
	s_branch .LBB22_2463
.LBB22_2449:
	s_mov_b32 s9, -1
	s_mov_b32 s5, s62
                                        ; implicit-def: $vgpr2
	s_branch .LBB22_2458
.LBB22_2450:
	s_mov_b32 s9, -1
	s_mov_b32 s5, s62
	s_branch .LBB22_2452
.LBB22_2451:
	s_mov_b32 s5, -1
.LBB22_2452:
                                        ; implicit-def: $vgpr2
.LBB22_2453:
	s_and_b32 vcc_lo, exec_lo, s9
	s_cbranch_vccz .LBB22_2457
; %bb.2454:
	s_cmp_eq_u32 s6, 44
	s_cbranch_scc0 .LBB22_2456
; %bb.2455:
	global_load_u8 v1, v[4:5], off
	s_mov_b32 s5, 0
	s_mov_b32 s7, -1
	s_wait_loadcnt 0x0
	v_lshlrev_b32_e32 v2, 23, v1
	v_cmp_ne_u32_e32 vcc_lo, 0, v1
	s_delay_alu instid0(VALU_DEP_2) | instskip(NEXT) | instid1(VALU_DEP_1)
	v_cvt_i32_f32_e32 v2, v2
	v_cndmask_b32_e32 v2, 0, v2, vcc_lo
	s_branch .LBB22_2457
.LBB22_2456:
	s_mov_b32 s5, -1
                                        ; implicit-def: $vgpr2
.LBB22_2457:
	s_mov_b32 s9, 0
.LBB22_2458:
	s_delay_alu instid0(SALU_CYCLE_1)
	s_and_b32 vcc_lo, exec_lo, s9
	s_cbranch_vccz .LBB22_2462
; %bb.2459:
	s_cmp_eq_u32 s6, 29
	s_cbranch_scc0 .LBB22_2461
; %bb.2460:
	global_load_b32 v2, v[4:5], off
	s_mov_b32 s5, 0
	s_mov_b32 s7, -1
	s_branch .LBB22_2462
.LBB22_2461:
	s_mov_b32 s5, -1
                                        ; implicit-def: $vgpr2
.LBB22_2462:
	s_mov_b32 s9, 0
.LBB22_2463:
	s_delay_alu instid0(SALU_CYCLE_1)
	s_and_b32 vcc_lo, exec_lo, s9
	s_cbranch_vccz .LBB22_2479
; %bb.2464:
	s_cmp_lt_i32 s6, 27
	s_cbranch_scc1 .LBB22_2467
; %bb.2465:
	s_cmp_gt_i32 s6, 27
	s_cbranch_scc0 .LBB22_2468
; %bb.2466:
	s_wait_loadcnt 0x0
	global_load_b32 v2, v[4:5], off
	s_mov_b32 s7, 0
	s_branch .LBB22_2469
.LBB22_2467:
	s_mov_b32 s7, -1
                                        ; implicit-def: $vgpr2
	s_branch .LBB22_2472
.LBB22_2468:
	s_mov_b32 s7, -1
                                        ; implicit-def: $vgpr2
.LBB22_2469:
	s_delay_alu instid0(SALU_CYCLE_1)
	s_and_not1_b32 vcc_lo, exec_lo, s7
	s_cbranch_vccnz .LBB22_2471
; %bb.2470:
	s_wait_loadcnt 0x0
	global_load_u16 v2, v[4:5], off
.LBB22_2471:
	s_mov_b32 s7, 0
.LBB22_2472:
	s_delay_alu instid0(SALU_CYCLE_1)
	s_and_not1_b32 vcc_lo, exec_lo, s7
	s_cbranch_vccnz .LBB22_2478
; %bb.2473:
	global_load_u8 v1, v[4:5], off
	s_mov_b32 s9, 0
	s_mov_b32 s7, exec_lo
	s_wait_loadcnt 0x0
	v_cmpx_lt_i16_e32 0x7f, v1
	s_xor_b32 s7, exec_lo, s7
	s_cbranch_execz .LBB22_2489
; %bb.2474:
	v_cmp_ne_u16_e32 vcc_lo, 0x80, v1
	s_and_b32 s9, vcc_lo, exec_lo
	s_and_not1_saveexec_b32 s7, s7
	s_cbranch_execnz .LBB22_2490
.LBB22_2475:
	s_or_b32 exec_lo, exec_lo, s7
	v_mov_b32_e32 v2, 0
	s_and_saveexec_b32 s7, s9
	s_cbranch_execz .LBB22_2477
.LBB22_2476:
	v_and_b32_e32 v2, 0xffff, v1
	s_delay_alu instid0(VALU_DEP_1) | instskip(SKIP_1) | instid1(VALU_DEP_2)
	v_dual_lshlrev_b32 v1, 24, v1 :: v_dual_bitop2_b32 v3, 7, v2 bitop3:0x40
	v_bfe_u32 v10, v2, 3, 4
	v_and_b32_e32 v1, 0x80000000, v1
	s_delay_alu instid0(VALU_DEP_3) | instskip(NEXT) | instid1(VALU_DEP_3)
	v_clz_i32_u32_e32 v6, v3
	v_cmp_eq_u32_e32 vcc_lo, 0, v10
	s_delay_alu instid0(VALU_DEP_2) | instskip(NEXT) | instid1(VALU_DEP_1)
	v_min_u32_e32 v6, 32, v6
	v_subrev_nc_u32_e32 v9, 28, v6
	v_sub_nc_u32_e32 v6, 29, v6
	s_delay_alu instid0(VALU_DEP_2) | instskip(NEXT) | instid1(VALU_DEP_2)
	v_lshlrev_b32_e32 v2, v9, v2
	v_cndmask_b32_e32 v6, v10, v6, vcc_lo
	s_delay_alu instid0(VALU_DEP_2) | instskip(NEXT) | instid1(VALU_DEP_1)
	v_and_b32_e32 v2, 7, v2
	v_cndmask_b32_e32 v2, v3, v2, vcc_lo
	s_delay_alu instid0(VALU_DEP_3) | instskip(NEXT) | instid1(VALU_DEP_2)
	v_lshl_add_u32 v3, v6, 23, 0x3b800000
	v_lshlrev_b32_e32 v2, 20, v2
	s_delay_alu instid0(VALU_DEP_1) | instskip(NEXT) | instid1(VALU_DEP_1)
	v_or3_b32 v1, v1, v3, v2
	v_cvt_i32_f32_e32 v2, v1
.LBB22_2477:
	s_or_b32 exec_lo, exec_lo, s7
.LBB22_2478:
	s_mov_b32 s7, -1
.LBB22_2479:
	s_branch .LBB22_2510
.LBB22_2480:
	s_cmp_gt_i32 s6, 22
	s_cbranch_scc0 .LBB22_2488
; %bb.2481:
	s_cmp_lt_i32 s6, 24
	s_cbranch_scc1 .LBB22_2491
; %bb.2482:
	s_cmp_gt_i32 s6, 24
	s_cbranch_scc0 .LBB22_2492
; %bb.2483:
	global_load_u8 v1, v[4:5], off
	s_mov_b32 s7, exec_lo
	s_wait_loadcnt 0x0
	v_cmpx_lt_i16_e32 0x7f, v1
	s_xor_b32 s7, exec_lo, s7
	s_cbranch_execz .LBB22_2504
; %bb.2484:
	v_cmp_ne_u16_e32 vcc_lo, 0x80, v1
	s_and_b32 s8, vcc_lo, exec_lo
	s_and_not1_saveexec_b32 s7, s7
	s_cbranch_execnz .LBB22_2505
.LBB22_2485:
	s_or_b32 exec_lo, exec_lo, s7
	v_mov_b32_e32 v2, 0
	s_and_saveexec_b32 s7, s8
	s_cbranch_execz .LBB22_2487
.LBB22_2486:
	v_and_b32_e32 v2, 0xffff, v1
	s_delay_alu instid0(VALU_DEP_1) | instskip(SKIP_1) | instid1(VALU_DEP_2)
	v_dual_lshlrev_b32 v1, 24, v1 :: v_dual_bitop2_b32 v3, 3, v2 bitop3:0x40
	v_bfe_u32 v10, v2, 2, 5
	v_and_b32_e32 v1, 0x80000000, v1
	s_delay_alu instid0(VALU_DEP_3) | instskip(NEXT) | instid1(VALU_DEP_3)
	v_clz_i32_u32_e32 v6, v3
	v_cmp_eq_u32_e32 vcc_lo, 0, v10
	s_delay_alu instid0(VALU_DEP_2) | instskip(NEXT) | instid1(VALU_DEP_1)
	v_min_u32_e32 v6, 32, v6
	v_subrev_nc_u32_e32 v9, 29, v6
	v_sub_nc_u32_e32 v6, 30, v6
	s_delay_alu instid0(VALU_DEP_2) | instskip(NEXT) | instid1(VALU_DEP_2)
	v_lshlrev_b32_e32 v2, v9, v2
	v_cndmask_b32_e32 v6, v10, v6, vcc_lo
	s_delay_alu instid0(VALU_DEP_2) | instskip(NEXT) | instid1(VALU_DEP_1)
	v_and_b32_e32 v2, 3, v2
	v_cndmask_b32_e32 v2, v3, v2, vcc_lo
	s_delay_alu instid0(VALU_DEP_3) | instskip(NEXT) | instid1(VALU_DEP_2)
	v_lshl_add_u32 v3, v6, 23, 0x37800000
	v_lshlrev_b32_e32 v2, 21, v2
	s_delay_alu instid0(VALU_DEP_1) | instskip(NEXT) | instid1(VALU_DEP_1)
	v_or3_b32 v1, v1, v3, v2
	v_cvt_i32_f32_e32 v2, v1
.LBB22_2487:
	s_or_b32 exec_lo, exec_lo, s7
	s_mov_b32 s7, 0
	s_branch .LBB22_2493
.LBB22_2488:
	s_mov_b32 s8, -1
                                        ; implicit-def: $vgpr2
	s_branch .LBB22_2499
.LBB22_2489:
	s_and_not1_saveexec_b32 s7, s7
	s_cbranch_execz .LBB22_2475
.LBB22_2490:
	v_cmp_ne_u16_e32 vcc_lo, 0, v1
	s_and_not1_b32 s9, s9, exec_lo
	s_and_b32 s10, vcc_lo, exec_lo
	s_delay_alu instid0(SALU_CYCLE_1)
	s_or_b32 s9, s9, s10
	s_or_b32 exec_lo, exec_lo, s7
	v_mov_b32_e32 v2, 0
	s_and_saveexec_b32 s7, s9
	s_cbranch_execnz .LBB22_2476
	s_branch .LBB22_2477
.LBB22_2491:
	s_mov_b32 s7, -1
                                        ; implicit-def: $vgpr2
	s_branch .LBB22_2496
.LBB22_2492:
	s_mov_b32 s7, -1
                                        ; implicit-def: $vgpr2
.LBB22_2493:
	s_delay_alu instid0(SALU_CYCLE_1)
	s_and_b32 vcc_lo, exec_lo, s7
	s_cbranch_vccz .LBB22_2495
; %bb.2494:
	global_load_u8 v1, v[4:5], off
	s_wait_loadcnt 0x0
	v_lshlrev_b32_e32 v1, 24, v1
	s_delay_alu instid0(VALU_DEP_1) | instskip(NEXT) | instid1(VALU_DEP_1)
	v_and_b32_e32 v2, 0x7f000000, v1
	v_clz_i32_u32_e32 v3, v2
	v_cmp_ne_u32_e32 vcc_lo, 0, v2
	v_add_nc_u32_e32 v9, 0x1000000, v2
	s_delay_alu instid0(VALU_DEP_3) | instskip(NEXT) | instid1(VALU_DEP_1)
	v_min_u32_e32 v3, 32, v3
	v_sub_nc_u32_e64 v3, v3, 4 clamp
	s_delay_alu instid0(VALU_DEP_1) | instskip(NEXT) | instid1(VALU_DEP_1)
	v_dual_lshlrev_b32 v6, v3, v2 :: v_dual_lshlrev_b32 v3, 23, v3
	v_lshrrev_b32_e32 v6, 4, v6
	s_delay_alu instid0(VALU_DEP_1) | instskip(NEXT) | instid1(VALU_DEP_1)
	v_dual_sub_nc_u32 v3, v6, v3 :: v_dual_ashrrev_i32 v6, 8, v9
	v_add_nc_u32_e32 v3, 0x3c000000, v3
	s_delay_alu instid0(VALU_DEP_1) | instskip(NEXT) | instid1(VALU_DEP_1)
	v_and_or_b32 v3, 0x7f800000, v6, v3
	v_cndmask_b32_e32 v2, 0, v3, vcc_lo
	s_delay_alu instid0(VALU_DEP_1) | instskip(NEXT) | instid1(VALU_DEP_1)
	v_and_or_b32 v1, 0x80000000, v1, v2
	v_cvt_i32_f32_e32 v2, v1
.LBB22_2495:
	s_mov_b32 s7, 0
.LBB22_2496:
	s_delay_alu instid0(SALU_CYCLE_1)
	s_and_not1_b32 vcc_lo, exec_lo, s7
	s_cbranch_vccnz .LBB22_2498
; %bb.2497:
	global_load_u8 v1, v[4:5], off
	s_wait_loadcnt 0x0
	v_lshlrev_b32_e32 v2, 25, v1
	v_lshlrev_b16 v1, 8, v1
	s_delay_alu instid0(VALU_DEP_1) | instskip(SKIP_1) | instid1(VALU_DEP_2)
	v_and_or_b32 v6, 0x7f00, v1, 0.5
	v_bfe_i32 v1, v1, 0, 16
	v_add_f32_e32 v6, -0.5, v6
	v_lshrrev_b32_e32 v3, 4, v2
	v_cmp_gt_u32_e32 vcc_lo, 0x8000000, v2
	s_delay_alu instid0(VALU_DEP_2) | instskip(NEXT) | instid1(VALU_DEP_1)
	v_or_b32_e32 v3, 0x70000000, v3
	v_mul_f32_e32 v3, 0x7800000, v3
	s_delay_alu instid0(VALU_DEP_1) | instskip(NEXT) | instid1(VALU_DEP_1)
	v_cndmask_b32_e32 v2, v3, v6, vcc_lo
	v_and_or_b32 v1, 0x80000000, v1, v2
	s_delay_alu instid0(VALU_DEP_1)
	v_cvt_i32_f32_e32 v2, v1
.LBB22_2498:
	s_mov_b32 s8, 0
	s_mov_b32 s7, -1
.LBB22_2499:
	s_and_not1_b32 vcc_lo, exec_lo, s8
	s_mov_b32 s8, 0
	s_cbranch_vccnz .LBB22_2510
; %bb.2500:
	s_cmp_gt_i32 s6, 14
	s_cbranch_scc0 .LBB22_2503
; %bb.2501:
	s_cmp_eq_u32 s6, 15
	s_cbranch_scc0 .LBB22_2506
; %bb.2502:
	global_load_u16 v1, v[4:5], off
	s_mov_b32 s5, 0
	s_mov_b32 s7, -1
	s_wait_loadcnt 0x0
	v_lshlrev_b32_e32 v1, 16, v1
	s_delay_alu instid0(VALU_DEP_1)
	v_cvt_i32_f32_e32 v2, v1
	s_branch .LBB22_2508
.LBB22_2503:
	s_mov_b32 s8, -1
	s_branch .LBB22_2507
.LBB22_2504:
	s_and_not1_saveexec_b32 s7, s7
	s_cbranch_execz .LBB22_2485
.LBB22_2505:
	v_cmp_ne_u16_e32 vcc_lo, 0, v1
	s_and_not1_b32 s8, s8, exec_lo
	s_and_b32 s9, vcc_lo, exec_lo
	s_delay_alu instid0(SALU_CYCLE_1)
	s_or_b32 s8, s8, s9
	s_or_b32 exec_lo, exec_lo, s7
	v_mov_b32_e32 v2, 0
	s_and_saveexec_b32 s7, s8
	s_cbranch_execnz .LBB22_2486
	s_branch .LBB22_2487
.LBB22_2506:
	s_mov_b32 s5, -1
.LBB22_2507:
                                        ; implicit-def: $vgpr2
.LBB22_2508:
	s_and_b32 vcc_lo, exec_lo, s8
	s_mov_b32 s8, 0
	s_cbranch_vccz .LBB22_2510
; %bb.2509:
	s_cmp_lg_u32 s6, 11
	s_mov_b32 s8, -1
	s_cselect_b32 s6, -1, 0
	s_and_not1_b32 s5, s5, exec_lo
	s_and_b32 s6, s6, exec_lo
	s_delay_alu instid0(SALU_CYCLE_1)
	s_or_b32 s5, s5, s6
.LBB22_2510:
	s_mov_b32 s6, 0
.LBB22_2511:
	s_delay_alu instid0(SALU_CYCLE_1)
	s_and_b32 s9, s6, exec_lo
	s_and_not1_b32 s6, s62, exec_lo
	s_and_b32 s10, s5, exec_lo
	s_and_b32 s7, s7, exec_lo
	;; [unrolled: 1-line block ×3, first 2 shown]
	s_or_b32 s62, s6, s10
	s_wait_xcnt 0x0
	s_or_b32 exec_lo, exec_lo, s4
	s_and_saveexec_b32 s4, s62
	s_cbranch_execz .LBB22_2444
.LBB22_2512:
	s_or_b32 s1, s1, exec_lo
	s_and_not1_b32 s5, s5, exec_lo
	s_trap 2
	s_or_b32 exec_lo, exec_lo, s4
	s_and_saveexec_b32 s4, s5
	s_delay_alu instid0(SALU_CYCLE_1)
	s_xor_b32 s4, exec_lo, s4
	s_cbranch_execnz .LBB22_2445
.LBB22_2513:
	s_or_b32 exec_lo, exec_lo, s4
	s_and_saveexec_b32 s4, s9
	s_cbranch_execz .LBB22_2559
.LBB22_2514:
	s_sext_i32_i16 s5, s0
	s_delay_alu instid0(SALU_CYCLE_1)
	s_cmp_lt_i32 s5, 5
	s_cbranch_scc1 .LBB22_2519
; %bb.2515:
	s_cmp_lt_i32 s5, 8
	s_cbranch_scc1 .LBB22_2520
; %bb.2516:
	s_cmp_lt_i32 s5, 9
	s_cbranch_scc1 .LBB22_2521
; %bb.2517:
	s_cmp_gt_i32 s5, 9
	s_cbranch_scc0 .LBB22_2522
; %bb.2518:
	s_wait_loadcnt 0x0
	global_load_b64 v[2:3], v[4:5], off
	s_mov_b32 s5, 0
	s_wait_loadcnt 0x0
	v_cvt_i32_f64_e32 v2, v[2:3]
	s_branch .LBB22_2523
.LBB22_2519:
                                        ; implicit-def: $vgpr2
	s_branch .LBB22_2540
.LBB22_2520:
                                        ; implicit-def: $vgpr2
	s_branch .LBB22_2529
.LBB22_2521:
	s_mov_b32 s5, -1
                                        ; implicit-def: $vgpr2
	s_branch .LBB22_2526
.LBB22_2522:
	s_mov_b32 s5, -1
                                        ; implicit-def: $vgpr2
.LBB22_2523:
	s_delay_alu instid0(SALU_CYCLE_1)
	s_and_not1_b32 vcc_lo, exec_lo, s5
	s_cbranch_vccnz .LBB22_2525
; %bb.2524:
	global_load_b32 v1, v[4:5], off
	s_wait_loadcnt 0x0
	v_cvt_i32_f32_e32 v2, v1
.LBB22_2525:
	s_mov_b32 s5, 0
.LBB22_2526:
	s_delay_alu instid0(SALU_CYCLE_1)
	s_and_not1_b32 vcc_lo, exec_lo, s5
	s_cbranch_vccnz .LBB22_2528
; %bb.2527:
	global_load_b32 v1, v[4:5], off
	s_wait_loadcnt 0x0
	v_cvt_f32_f16_e32 v1, v1
	s_delay_alu instid0(VALU_DEP_1)
	v_cvt_i32_f32_e32 v2, v1
.LBB22_2528:
	s_cbranch_execnz .LBB22_2539
.LBB22_2529:
	s_sext_i32_i16 s5, s0
	s_delay_alu instid0(SALU_CYCLE_1)
	s_cmp_lt_i32 s5, 6
	s_cbranch_scc1 .LBB22_2532
; %bb.2530:
	s_cmp_gt_i32 s5, 6
	s_cbranch_scc0 .LBB22_2533
; %bb.2531:
	s_wait_loadcnt 0x0
	global_load_b64 v[2:3], v[4:5], off
	s_mov_b32 s5, 0
	s_wait_loadcnt 0x0
	v_cvt_i32_f64_e32 v2, v[2:3]
	s_branch .LBB22_2534
.LBB22_2532:
	s_mov_b32 s5, -1
                                        ; implicit-def: $vgpr2
	s_branch .LBB22_2537
.LBB22_2533:
	s_mov_b32 s5, -1
                                        ; implicit-def: $vgpr2
.LBB22_2534:
	s_delay_alu instid0(SALU_CYCLE_1)
	s_and_not1_b32 vcc_lo, exec_lo, s5
	s_cbranch_vccnz .LBB22_2536
; %bb.2535:
	global_load_b32 v1, v[4:5], off
	s_wait_loadcnt 0x0
	v_cvt_i32_f32_e32 v2, v1
.LBB22_2536:
	s_mov_b32 s5, 0
.LBB22_2537:
	s_delay_alu instid0(SALU_CYCLE_1)
	s_and_not1_b32 vcc_lo, exec_lo, s5
	s_cbranch_vccnz .LBB22_2539
; %bb.2538:
	global_load_u16 v1, v[4:5], off
	s_wait_loadcnt 0x0
	v_cvt_f32_f16_e32 v1, v1
	s_delay_alu instid0(VALU_DEP_1)
	v_cvt_i32_f32_e32 v2, v1
.LBB22_2539:
	s_cbranch_execnz .LBB22_2558
.LBB22_2540:
	s_sext_i32_i16 s5, s0
	s_delay_alu instid0(SALU_CYCLE_1)
	s_cmp_lt_i32 s5, 2
	s_cbranch_scc1 .LBB22_2544
; %bb.2541:
	s_cmp_lt_i32 s5, 3
	s_cbranch_scc1 .LBB22_2545
; %bb.2542:
	s_cmp_gt_i32 s5, 3
	s_cbranch_scc0 .LBB22_2546
; %bb.2543:
	s_wait_loadcnt 0x0
	global_load_b32 v2, v[4:5], off
	s_mov_b32 s5, 0
	s_branch .LBB22_2547
.LBB22_2544:
                                        ; implicit-def: $vgpr2
	s_branch .LBB22_2553
.LBB22_2545:
	s_mov_b32 s5, -1
                                        ; implicit-def: $vgpr2
	s_branch .LBB22_2550
.LBB22_2546:
	s_mov_b32 s5, -1
                                        ; implicit-def: $vgpr2
.LBB22_2547:
	s_delay_alu instid0(SALU_CYCLE_1)
	s_and_not1_b32 vcc_lo, exec_lo, s5
	s_cbranch_vccnz .LBB22_2549
; %bb.2548:
	s_wait_loadcnt 0x0
	global_load_b32 v2, v[4:5], off
.LBB22_2549:
	s_mov_b32 s5, 0
.LBB22_2550:
	s_delay_alu instid0(SALU_CYCLE_1)
	s_and_not1_b32 vcc_lo, exec_lo, s5
	s_cbranch_vccnz .LBB22_2552
; %bb.2551:
	s_wait_loadcnt 0x0
	global_load_i16 v2, v[4:5], off
.LBB22_2552:
	s_cbranch_execnz .LBB22_2558
.LBB22_2553:
	s_sext_i32_i16 s0, s0
	s_delay_alu instid0(SALU_CYCLE_1)
	s_cmp_gt_i32 s0, 0
	s_mov_b32 s0, 0
	s_cbranch_scc0 .LBB22_2555
; %bb.2554:
	s_wait_loadcnt 0x0
	global_load_i8 v2, v[4:5], off
	s_branch .LBB22_2556
.LBB22_2555:
	s_mov_b32 s0, -1
                                        ; implicit-def: $vgpr2
.LBB22_2556:
	s_delay_alu instid0(SALU_CYCLE_1)
	s_and_not1_b32 vcc_lo, exec_lo, s0
	s_cbranch_vccnz .LBB22_2558
; %bb.2557:
	s_wait_loadcnt 0x0
	global_load_u8 v2, v[4:5], off
.LBB22_2558:
	s_or_b32 s7, s7, exec_lo
.LBB22_2559:
	s_wait_xcnt 0x0
	s_or_b32 exec_lo, exec_lo, s4
	s_mov_b32 s5, 0
	s_mov_b32 s8, 0
	;; [unrolled: 1-line block ×3, first 2 shown]
                                        ; implicit-def: $sgpr0
                                        ; implicit-def: $vgpr4_vgpr5
                                        ; implicit-def: $vgpr6
	s_and_saveexec_b32 s4, s7
	s_cbranch_execz .LBB22_2567
; %bb.2560:
	v_mul_lo_u32 v4, s28, v22
	s_and_b32 s0, s52, 0xff
	s_delay_alu instid0(SALU_CYCLE_1) | instskip(NEXT) | instid1(VALU_DEP_1)
	s_cmp_lt_i32 s0, 11
	v_ashrrev_i32_e32 v5, 31, v4
	s_delay_alu instid0(VALU_DEP_1)
	v_add_nc_u64_e32 v[4:5], s[30:31], v[4:5]
	s_cbranch_scc1 .LBB22_2570
; %bb.2561:
	s_and_b32 s6, 0xffff, s0
	s_mov_b32 s7, 0
	s_cmp_gt_i32 s6, 25
	s_cbranch_scc0 .LBB22_2571
; %bb.2562:
	s_cmp_gt_i32 s6, 28
	s_cbranch_scc0 .LBB22_2572
; %bb.2563:
	;; [unrolled: 3-line block ×4, first 2 shown]
	s_cmp_eq_u32 s6, 46
	s_mov_b32 s9, 0
	s_cbranch_scc0 .LBB22_2575
; %bb.2566:
	global_load_b32 v1, v[4:5], off
	s_mov_b32 s8, -1
	s_wait_loadcnt 0x0
	v_lshlrev_b32_e32 v1, 16, v1
	s_delay_alu instid0(VALU_DEP_1)
	v_cvt_i32_f32_e32 v6, v1
	s_branch .LBB22_2577
.LBB22_2567:
	s_or_b32 exec_lo, exec_lo, s4
	s_and_saveexec_b32 s4, s61
	s_cbranch_execnz .LBB22_2636
.LBB22_2568:
	s_or_b32 exec_lo, exec_lo, s4
	s_and_saveexec_b32 s4, s5
	s_delay_alu instid0(SALU_CYCLE_1)
	s_xor_b32 s4, exec_lo, s4
	s_cbranch_execz .LBB22_2637
.LBB22_2569:
	global_load_u8 v1, v[4:5], off
	s_or_b32 s6, s6, exec_lo
	s_wait_loadcnt 0x0
	v_cmp_ne_u16_e32 vcc_lo, 0, v1
	v_cndmask_b32_e64 v6, 0, 1, vcc_lo
	s_wait_xcnt 0x0
	s_or_b32 exec_lo, exec_lo, s4
	s_and_saveexec_b32 s4, s8
	s_cbranch_execz .LBB22_2683
	s_branch .LBB22_2638
.LBB22_2570:
	s_mov_b32 s9, -1
	s_mov_b32 s7, 0
	s_mov_b32 s5, s61
                                        ; implicit-def: $vgpr6
	s_branch .LBB22_2635
.LBB22_2571:
	s_mov_b32 s5, s61
                                        ; implicit-def: $vgpr6
	s_cbranch_execnz .LBB22_2604
	s_branch .LBB22_2634
.LBB22_2572:
	s_mov_b32 s9, -1
	s_mov_b32 s5, s61
                                        ; implicit-def: $vgpr6
	s_branch .LBB22_2587
.LBB22_2573:
	s_mov_b32 s9, -1
	s_mov_b32 s5, s61
                                        ; implicit-def: $vgpr6
	s_branch .LBB22_2582
.LBB22_2574:
	s_mov_b32 s9, -1
	s_mov_b32 s5, s61
	s_branch .LBB22_2576
.LBB22_2575:
	s_mov_b32 s5, -1
.LBB22_2576:
                                        ; implicit-def: $vgpr6
.LBB22_2577:
	s_and_b32 vcc_lo, exec_lo, s9
	s_cbranch_vccz .LBB22_2581
; %bb.2578:
	s_cmp_eq_u32 s6, 44
	s_cbranch_scc0 .LBB22_2580
; %bb.2579:
	global_load_u8 v1, v[4:5], off
	s_mov_b32 s5, 0
	s_mov_b32 s8, -1
	s_wait_loadcnt 0x0
	v_lshlrev_b32_e32 v3, 23, v1
	v_cmp_ne_u32_e32 vcc_lo, 0, v1
	s_delay_alu instid0(VALU_DEP_2) | instskip(NEXT) | instid1(VALU_DEP_1)
	v_cvt_i32_f32_e32 v3, v3
	v_cndmask_b32_e32 v6, 0, v3, vcc_lo
	s_branch .LBB22_2581
.LBB22_2580:
	s_mov_b32 s5, -1
                                        ; implicit-def: $vgpr6
.LBB22_2581:
	s_mov_b32 s9, 0
.LBB22_2582:
	s_delay_alu instid0(SALU_CYCLE_1)
	s_and_b32 vcc_lo, exec_lo, s9
	s_cbranch_vccz .LBB22_2586
; %bb.2583:
	s_cmp_eq_u32 s6, 29
	s_cbranch_scc0 .LBB22_2585
; %bb.2584:
	s_wait_loadcnt 0x0
	global_load_b32 v6, v[4:5], off
	s_mov_b32 s5, 0
	s_mov_b32 s8, -1
	s_branch .LBB22_2586
.LBB22_2585:
	s_mov_b32 s5, -1
                                        ; implicit-def: $vgpr6
.LBB22_2586:
	s_mov_b32 s9, 0
.LBB22_2587:
	s_delay_alu instid0(SALU_CYCLE_1)
	s_and_b32 vcc_lo, exec_lo, s9
	s_cbranch_vccz .LBB22_2603
; %bb.2588:
	s_cmp_lt_i32 s6, 27
	s_cbranch_scc1 .LBB22_2591
; %bb.2589:
	s_cmp_gt_i32 s6, 27
	s_cbranch_scc0 .LBB22_2592
; %bb.2590:
	s_wait_loadcnt 0x0
	global_load_b32 v6, v[4:5], off
	s_mov_b32 s8, 0
	s_branch .LBB22_2593
.LBB22_2591:
	s_mov_b32 s8, -1
                                        ; implicit-def: $vgpr6
	s_branch .LBB22_2596
.LBB22_2592:
	s_mov_b32 s8, -1
                                        ; implicit-def: $vgpr6
.LBB22_2593:
	s_delay_alu instid0(SALU_CYCLE_1)
	s_and_not1_b32 vcc_lo, exec_lo, s8
	s_cbranch_vccnz .LBB22_2595
; %bb.2594:
	s_wait_loadcnt 0x0
	global_load_u16 v6, v[4:5], off
.LBB22_2595:
	s_mov_b32 s8, 0
.LBB22_2596:
	s_delay_alu instid0(SALU_CYCLE_1)
	s_and_not1_b32 vcc_lo, exec_lo, s8
	s_cbranch_vccnz .LBB22_2602
; %bb.2597:
	global_load_u8 v1, v[4:5], off
	s_mov_b32 s9, 0
	s_mov_b32 s8, exec_lo
	s_wait_loadcnt 0x0
	v_cmpx_lt_i16_e32 0x7f, v1
	s_xor_b32 s8, exec_lo, s8
	s_cbranch_execz .LBB22_2613
; %bb.2598:
	v_cmp_ne_u16_e32 vcc_lo, 0x80, v1
	s_and_b32 s9, vcc_lo, exec_lo
	s_and_not1_saveexec_b32 s8, s8
	s_cbranch_execnz .LBB22_2614
.LBB22_2599:
	s_or_b32 exec_lo, exec_lo, s8
	v_mov_b32_e32 v6, 0
	s_and_saveexec_b32 s8, s9
	s_cbranch_execz .LBB22_2601
.LBB22_2600:
	v_and_b32_e32 v3, 0xffff, v1
	s_delay_alu instid0(VALU_DEP_1) | instskip(SKIP_1) | instid1(VALU_DEP_2)
	v_and_b32_e32 v6, 7, v3
	v_bfe_u32 v11, v3, 3, 4
	v_clz_i32_u32_e32 v9, v6
	s_delay_alu instid0(VALU_DEP_2) | instskip(NEXT) | instid1(VALU_DEP_2)
	v_cmp_eq_u32_e32 vcc_lo, 0, v11
	v_min_u32_e32 v9, 32, v9
	s_delay_alu instid0(VALU_DEP_1) | instskip(NEXT) | instid1(VALU_DEP_1)
	v_subrev_nc_u32_e32 v10, 28, v9
	v_dual_lshlrev_b32 v3, v10, v3 :: v_dual_sub_nc_u32 v9, 29, v9
	s_delay_alu instid0(VALU_DEP_1) | instskip(NEXT) | instid1(VALU_DEP_1)
	v_dual_lshlrev_b32 v1, 24, v1 :: v_dual_bitop2_b32 v3, 7, v3 bitop3:0x40
	v_dual_cndmask_b32 v3, v6, v3, vcc_lo :: v_dual_cndmask_b32 v9, v11, v9, vcc_lo
	s_delay_alu instid0(VALU_DEP_2) | instskip(NEXT) | instid1(VALU_DEP_2)
	v_and_b32_e32 v1, 0x80000000, v1
	v_lshlrev_b32_e32 v3, 20, v3
	s_delay_alu instid0(VALU_DEP_3) | instskip(NEXT) | instid1(VALU_DEP_1)
	v_lshl_add_u32 v6, v9, 23, 0x3b800000
	v_or3_b32 v1, v1, v6, v3
	s_delay_alu instid0(VALU_DEP_1)
	v_cvt_i32_f32_e32 v6, v1
.LBB22_2601:
	s_or_b32 exec_lo, exec_lo, s8
.LBB22_2602:
	s_mov_b32 s8, -1
.LBB22_2603:
	s_branch .LBB22_2634
.LBB22_2604:
	s_cmp_gt_i32 s6, 22
	s_cbranch_scc0 .LBB22_2612
; %bb.2605:
	s_cmp_lt_i32 s6, 24
	s_cbranch_scc1 .LBB22_2615
; %bb.2606:
	s_cmp_gt_i32 s6, 24
	s_cbranch_scc0 .LBB22_2616
; %bb.2607:
	global_load_u8 v1, v[4:5], off
	s_mov_b32 s8, 0
	s_mov_b32 s7, exec_lo
	s_wait_loadcnt 0x0
	v_cmpx_lt_i16_e32 0x7f, v1
	s_xor_b32 s7, exec_lo, s7
	s_cbranch_execz .LBB22_2628
; %bb.2608:
	v_cmp_ne_u16_e32 vcc_lo, 0x80, v1
	s_and_b32 s8, vcc_lo, exec_lo
	s_and_not1_saveexec_b32 s7, s7
	s_cbranch_execnz .LBB22_2629
.LBB22_2609:
	s_or_b32 exec_lo, exec_lo, s7
	v_mov_b32_e32 v6, 0
	s_and_saveexec_b32 s7, s8
	s_cbranch_execz .LBB22_2611
.LBB22_2610:
	v_and_b32_e32 v3, 0xffff, v1
	s_delay_alu instid0(VALU_DEP_1) | instskip(SKIP_1) | instid1(VALU_DEP_2)
	v_and_b32_e32 v6, 3, v3
	v_bfe_u32 v11, v3, 2, 5
	v_clz_i32_u32_e32 v9, v6
	s_delay_alu instid0(VALU_DEP_2) | instskip(NEXT) | instid1(VALU_DEP_2)
	v_cmp_eq_u32_e32 vcc_lo, 0, v11
	v_min_u32_e32 v9, 32, v9
	s_delay_alu instid0(VALU_DEP_1) | instskip(NEXT) | instid1(VALU_DEP_1)
	v_subrev_nc_u32_e32 v10, 29, v9
	v_dual_lshlrev_b32 v3, v10, v3 :: v_dual_sub_nc_u32 v9, 30, v9
	s_delay_alu instid0(VALU_DEP_1) | instskip(NEXT) | instid1(VALU_DEP_1)
	v_dual_lshlrev_b32 v1, 24, v1 :: v_dual_bitop2_b32 v3, 3, v3 bitop3:0x40
	v_dual_cndmask_b32 v3, v6, v3, vcc_lo :: v_dual_cndmask_b32 v9, v11, v9, vcc_lo
	s_delay_alu instid0(VALU_DEP_2) | instskip(NEXT) | instid1(VALU_DEP_2)
	v_and_b32_e32 v1, 0x80000000, v1
	v_lshlrev_b32_e32 v3, 21, v3
	s_delay_alu instid0(VALU_DEP_3) | instskip(NEXT) | instid1(VALU_DEP_1)
	v_lshl_add_u32 v6, v9, 23, 0x37800000
	v_or3_b32 v1, v1, v6, v3
	s_delay_alu instid0(VALU_DEP_1)
	v_cvt_i32_f32_e32 v6, v1
.LBB22_2611:
	s_or_b32 exec_lo, exec_lo, s7
	s_mov_b32 s7, 0
	s_branch .LBB22_2617
.LBB22_2612:
	s_mov_b32 s7, -1
                                        ; implicit-def: $vgpr6
	s_branch .LBB22_2623
.LBB22_2613:
	s_and_not1_saveexec_b32 s8, s8
	s_cbranch_execz .LBB22_2599
.LBB22_2614:
	v_cmp_ne_u16_e32 vcc_lo, 0, v1
	s_and_not1_b32 s9, s9, exec_lo
	s_and_b32 s10, vcc_lo, exec_lo
	s_delay_alu instid0(SALU_CYCLE_1)
	s_or_b32 s9, s9, s10
	s_or_b32 exec_lo, exec_lo, s8
	v_mov_b32_e32 v6, 0
	s_and_saveexec_b32 s8, s9
	s_cbranch_execnz .LBB22_2600
	s_branch .LBB22_2601
.LBB22_2615:
	s_mov_b32 s7, -1
                                        ; implicit-def: $vgpr6
	s_branch .LBB22_2620
.LBB22_2616:
	s_mov_b32 s7, -1
                                        ; implicit-def: $vgpr6
.LBB22_2617:
	s_delay_alu instid0(SALU_CYCLE_1)
	s_and_b32 vcc_lo, exec_lo, s7
	s_cbranch_vccz .LBB22_2619
; %bb.2618:
	global_load_u8 v1, v[4:5], off
	s_wait_loadcnt 0x0
	v_lshlrev_b32_e32 v1, 24, v1
	s_delay_alu instid0(VALU_DEP_1) | instskip(NEXT) | instid1(VALU_DEP_1)
	v_and_b32_e32 v3, 0x7f000000, v1
	v_clz_i32_u32_e32 v6, v3
	v_cmp_ne_u32_e32 vcc_lo, 0, v3
	v_add_nc_u32_e32 v10, 0x1000000, v3
	s_delay_alu instid0(VALU_DEP_3) | instskip(NEXT) | instid1(VALU_DEP_1)
	v_min_u32_e32 v6, 32, v6
	v_sub_nc_u32_e64 v6, v6, 4 clamp
	s_delay_alu instid0(VALU_DEP_1) | instskip(NEXT) | instid1(VALU_DEP_1)
	v_dual_lshlrev_b32 v9, v6, v3 :: v_dual_lshlrev_b32 v6, 23, v6
	v_lshrrev_b32_e32 v9, 4, v9
	s_delay_alu instid0(VALU_DEP_1) | instskip(SKIP_1) | instid1(VALU_DEP_2)
	v_sub_nc_u32_e32 v6, v9, v6
	v_ashrrev_i32_e32 v9, 8, v10
	v_add_nc_u32_e32 v6, 0x3c000000, v6
	s_delay_alu instid0(VALU_DEP_1) | instskip(NEXT) | instid1(VALU_DEP_1)
	v_and_or_b32 v6, 0x7f800000, v9, v6
	v_cndmask_b32_e32 v3, 0, v6, vcc_lo
	s_delay_alu instid0(VALU_DEP_1) | instskip(NEXT) | instid1(VALU_DEP_1)
	v_and_or_b32 v1, 0x80000000, v1, v3
	v_cvt_i32_f32_e32 v6, v1
.LBB22_2619:
	s_mov_b32 s7, 0
.LBB22_2620:
	s_delay_alu instid0(SALU_CYCLE_1)
	s_and_not1_b32 vcc_lo, exec_lo, s7
	s_cbranch_vccnz .LBB22_2622
; %bb.2621:
	global_load_u8 v1, v[4:5], off
	s_wait_loadcnt 0x0
	v_lshlrev_b32_e32 v3, 25, v1
	v_lshlrev_b16 v1, 8, v1
	s_delay_alu instid0(VALU_DEP_1) | instskip(NEXT) | instid1(VALU_DEP_3)
	v_and_or_b32 v9, 0x7f00, v1, 0.5
	v_lshrrev_b32_e32 v6, 4, v3
	v_bfe_i32 v1, v1, 0, 16
	s_delay_alu instid0(VALU_DEP_3) | instskip(NEXT) | instid1(VALU_DEP_3)
	v_add_f32_e32 v9, -0.5, v9
	v_or_b32_e32 v6, 0x70000000, v6
	s_delay_alu instid0(VALU_DEP_1) | instskip(SKIP_1) | instid1(VALU_DEP_2)
	v_mul_f32_e32 v6, 0x7800000, v6
	v_cmp_gt_u32_e32 vcc_lo, 0x8000000, v3
	v_cndmask_b32_e32 v3, v6, v9, vcc_lo
	s_delay_alu instid0(VALU_DEP_1) | instskip(NEXT) | instid1(VALU_DEP_1)
	v_and_or_b32 v1, 0x80000000, v1, v3
	v_cvt_i32_f32_e32 v6, v1
.LBB22_2622:
	s_mov_b32 s7, 0
	s_mov_b32 s8, -1
.LBB22_2623:
	s_and_not1_b32 vcc_lo, exec_lo, s7
	s_mov_b32 s7, 0
	s_cbranch_vccnz .LBB22_2634
; %bb.2624:
	s_cmp_gt_i32 s6, 14
	s_cbranch_scc0 .LBB22_2627
; %bb.2625:
	s_cmp_eq_u32 s6, 15
	s_cbranch_scc0 .LBB22_2630
; %bb.2626:
	global_load_u16 v1, v[4:5], off
	s_mov_b32 s5, 0
	s_mov_b32 s8, -1
	s_wait_loadcnt 0x0
	v_lshlrev_b32_e32 v1, 16, v1
	s_delay_alu instid0(VALU_DEP_1)
	v_cvt_i32_f32_e32 v6, v1
	s_branch .LBB22_2632
.LBB22_2627:
	s_mov_b32 s7, -1
	s_branch .LBB22_2631
.LBB22_2628:
	s_and_not1_saveexec_b32 s7, s7
	s_cbranch_execz .LBB22_2609
.LBB22_2629:
	v_cmp_ne_u16_e32 vcc_lo, 0, v1
	s_and_not1_b32 s8, s8, exec_lo
	s_and_b32 s9, vcc_lo, exec_lo
	s_delay_alu instid0(SALU_CYCLE_1)
	s_or_b32 s8, s8, s9
	s_or_b32 exec_lo, exec_lo, s7
	v_mov_b32_e32 v6, 0
	s_and_saveexec_b32 s7, s8
	s_cbranch_execnz .LBB22_2610
	s_branch .LBB22_2611
.LBB22_2630:
	s_mov_b32 s5, -1
.LBB22_2631:
                                        ; implicit-def: $vgpr6
.LBB22_2632:
	s_and_b32 vcc_lo, exec_lo, s7
	s_mov_b32 s7, 0
	s_cbranch_vccz .LBB22_2634
; %bb.2633:
	s_cmp_lg_u32 s6, 11
	s_mov_b32 s7, -1
	s_cselect_b32 s6, -1, 0
	s_and_not1_b32 s5, s5, exec_lo
	s_and_b32 s6, s6, exec_lo
	s_delay_alu instid0(SALU_CYCLE_1)
	s_or_b32 s5, s5, s6
.LBB22_2634:
	s_mov_b32 s9, 0
.LBB22_2635:
	s_and_b32 s6, s8, exec_lo
	s_and_b32 s8, s9, exec_lo
	s_and_not1_b32 s9, s61, exec_lo
	s_and_b32 s10, s5, exec_lo
	s_and_b32 s5, s7, exec_lo
	s_or_b32 s61, s9, s10
	s_wait_xcnt 0x0
	s_or_b32 exec_lo, exec_lo, s4
	s_and_saveexec_b32 s4, s61
	s_cbranch_execz .LBB22_2568
.LBB22_2636:
	s_or_b32 s1, s1, exec_lo
	s_and_not1_b32 s5, s5, exec_lo
	s_trap 2
	s_or_b32 exec_lo, exec_lo, s4
	s_and_saveexec_b32 s4, s5
	s_delay_alu instid0(SALU_CYCLE_1)
	s_xor_b32 s4, exec_lo, s4
	s_cbranch_execnz .LBB22_2569
.LBB22_2637:
	s_or_b32 exec_lo, exec_lo, s4
	s_and_saveexec_b32 s4, s8
	s_cbranch_execz .LBB22_2683
.LBB22_2638:
	s_sext_i32_i16 s5, s0
	s_delay_alu instid0(SALU_CYCLE_1)
	s_cmp_lt_i32 s5, 5
	s_cbranch_scc1 .LBB22_2643
; %bb.2639:
	s_cmp_lt_i32 s5, 8
	s_cbranch_scc1 .LBB22_2644
; %bb.2640:
	;; [unrolled: 3-line block ×3, first 2 shown]
	s_cmp_gt_i32 s5, 9
	s_cbranch_scc0 .LBB22_2646
; %bb.2642:
	global_load_b64 v[10:11], v[4:5], off
	s_mov_b32 s5, 0
	s_wait_loadcnt 0x0
	v_cvt_i32_f64_e32 v6, v[10:11]
	s_branch .LBB22_2647
.LBB22_2643:
                                        ; implicit-def: $vgpr6
	s_branch .LBB22_2664
.LBB22_2644:
                                        ; implicit-def: $vgpr6
	s_branch .LBB22_2653
.LBB22_2645:
	s_mov_b32 s5, -1
                                        ; implicit-def: $vgpr6
	s_branch .LBB22_2650
.LBB22_2646:
	s_mov_b32 s5, -1
                                        ; implicit-def: $vgpr6
.LBB22_2647:
	s_delay_alu instid0(SALU_CYCLE_1)
	s_and_not1_b32 vcc_lo, exec_lo, s5
	s_cbranch_vccnz .LBB22_2649
; %bb.2648:
	global_load_b32 v1, v[4:5], off
	s_wait_loadcnt 0x0
	v_cvt_i32_f32_e32 v6, v1
.LBB22_2649:
	s_mov_b32 s5, 0
.LBB22_2650:
	s_delay_alu instid0(SALU_CYCLE_1)
	s_and_not1_b32 vcc_lo, exec_lo, s5
	s_cbranch_vccnz .LBB22_2652
; %bb.2651:
	global_load_b32 v1, v[4:5], off
	s_wait_loadcnt 0x0
	v_cvt_f32_f16_e32 v1, v1
	s_delay_alu instid0(VALU_DEP_1)
	v_cvt_i32_f32_e32 v6, v1
.LBB22_2652:
	s_cbranch_execnz .LBB22_2663
.LBB22_2653:
	s_sext_i32_i16 s5, s0
	s_delay_alu instid0(SALU_CYCLE_1)
	s_cmp_lt_i32 s5, 6
	s_cbranch_scc1 .LBB22_2656
; %bb.2654:
	s_cmp_gt_i32 s5, 6
	s_cbranch_scc0 .LBB22_2657
; %bb.2655:
	global_load_b64 v[10:11], v[4:5], off
	s_mov_b32 s5, 0
	s_wait_loadcnt 0x0
	v_cvt_i32_f64_e32 v6, v[10:11]
	s_branch .LBB22_2658
.LBB22_2656:
	s_mov_b32 s5, -1
                                        ; implicit-def: $vgpr6
	s_branch .LBB22_2661
.LBB22_2657:
	s_mov_b32 s5, -1
                                        ; implicit-def: $vgpr6
.LBB22_2658:
	s_delay_alu instid0(SALU_CYCLE_1)
	s_and_not1_b32 vcc_lo, exec_lo, s5
	s_cbranch_vccnz .LBB22_2660
; %bb.2659:
	global_load_b32 v1, v[4:5], off
	s_wait_loadcnt 0x0
	v_cvt_i32_f32_e32 v6, v1
.LBB22_2660:
	s_mov_b32 s5, 0
.LBB22_2661:
	s_delay_alu instid0(SALU_CYCLE_1)
	s_and_not1_b32 vcc_lo, exec_lo, s5
	s_cbranch_vccnz .LBB22_2663
; %bb.2662:
	global_load_u16 v1, v[4:5], off
	s_wait_loadcnt 0x0
	v_cvt_f32_f16_e32 v1, v1
	s_delay_alu instid0(VALU_DEP_1)
	v_cvt_i32_f32_e32 v6, v1
.LBB22_2663:
	s_cbranch_execnz .LBB22_2682
.LBB22_2664:
	s_sext_i32_i16 s5, s0
	s_delay_alu instid0(SALU_CYCLE_1)
	s_cmp_lt_i32 s5, 2
	s_cbranch_scc1 .LBB22_2668
; %bb.2665:
	s_cmp_lt_i32 s5, 3
	s_cbranch_scc1 .LBB22_2669
; %bb.2666:
	s_cmp_gt_i32 s5, 3
	s_cbranch_scc0 .LBB22_2670
; %bb.2667:
	s_wait_loadcnt 0x0
	global_load_b32 v6, v[4:5], off
	s_mov_b32 s5, 0
	s_branch .LBB22_2671
.LBB22_2668:
                                        ; implicit-def: $vgpr6
	s_branch .LBB22_2677
.LBB22_2669:
	s_mov_b32 s5, -1
                                        ; implicit-def: $vgpr6
	s_branch .LBB22_2674
.LBB22_2670:
	s_mov_b32 s5, -1
                                        ; implicit-def: $vgpr6
.LBB22_2671:
	s_delay_alu instid0(SALU_CYCLE_1)
	s_and_not1_b32 vcc_lo, exec_lo, s5
	s_cbranch_vccnz .LBB22_2673
; %bb.2672:
	s_wait_loadcnt 0x0
	global_load_b32 v6, v[4:5], off
.LBB22_2673:
	s_mov_b32 s5, 0
.LBB22_2674:
	s_delay_alu instid0(SALU_CYCLE_1)
	s_and_not1_b32 vcc_lo, exec_lo, s5
	s_cbranch_vccnz .LBB22_2676
; %bb.2675:
	s_wait_loadcnt 0x0
	global_load_i16 v6, v[4:5], off
.LBB22_2676:
	s_cbranch_execnz .LBB22_2682
.LBB22_2677:
	s_sext_i32_i16 s0, s0
	s_delay_alu instid0(SALU_CYCLE_1)
	s_cmp_gt_i32 s0, 0
	s_mov_b32 s0, 0
	s_cbranch_scc0 .LBB22_2679
; %bb.2678:
	s_wait_loadcnt 0x0
	global_load_i8 v6, v[4:5], off
	s_branch .LBB22_2680
.LBB22_2679:
	s_mov_b32 s0, -1
                                        ; implicit-def: $vgpr6
.LBB22_2680:
	s_delay_alu instid0(SALU_CYCLE_1)
	s_and_not1_b32 vcc_lo, exec_lo, s0
	s_cbranch_vccnz .LBB22_2682
; %bb.2681:
	s_wait_loadcnt 0x0
	global_load_u8 v6, v[4:5], off
.LBB22_2682:
	s_or_b32 s6, s6, exec_lo
.LBB22_2683:
	s_wait_xcnt 0x0
	s_or_b32 exec_lo, exec_lo, s4
	s_mov_b32 s0, 0
	s_and_saveexec_b32 s4, s6
	s_delay_alu instid0(SALU_CYCLE_1)
	s_xor_b32 s4, exec_lo, s4
	s_cbranch_execz .LBB22_2685
; %bb.2684:
	s_wait_loadcnt 0x0
	v_cmp_ne_u32_e32 vcc_lo, s29, v7
	s_xor_b32 s5, s51, -1
	s_and_not1_b32 s6, s60, exec_lo
	s_mov_b32 s0, exec_lo
	s_or_b32 s5, s5, vcc_lo
	s_delay_alu instid0(SALU_CYCLE_1) | instskip(NEXT) | instid1(SALU_CYCLE_1)
	s_and_b32 s5, s5, exec_lo
	s_or_b32 s60, s6, s5
.LBB22_2685:
	s_or_b32 exec_lo, exec_lo, s4
	s_and_saveexec_b32 s4, s60
	s_cbranch_execnz .LBB22_2722
.LBB22_2686:
	s_or_b32 exec_lo, exec_lo, s4
	s_mov_b32 s5, 0
	s_and_saveexec_b32 s4, s0
	s_delay_alu instid0(SALU_CYCLE_1)
	s_xor_b32 s0, exec_lo, s4
	s_cbranch_execz .LBB22_2688
; %bb.2687:
	s_wait_loadcnt 0x0
	v_cmp_ne_u32_e32 vcc_lo, s18, v8
	s_xor_b32 s4, s50, -1
	s_and_not1_b32 s6, s59, exec_lo
	s_mov_b32 s5, exec_lo
	s_or_b32 s4, s4, vcc_lo
	s_delay_alu instid0(SALU_CYCLE_1) | instskip(NEXT) | instid1(SALU_CYCLE_1)
	s_and_b32 s4, s4, exec_lo
	s_or_b32 s59, s6, s4
.LBB22_2688:
	s_or_b32 exec_lo, exec_lo, s0
	s_and_saveexec_b32 s0, s59
	s_cbranch_execnz .LBB22_2723
.LBB22_2689:
	s_or_b32 exec_lo, exec_lo, s0
	s_mov_b32 s4, 0
	s_and_saveexec_b32 s0, s5
	s_delay_alu instid0(SALU_CYCLE_1)
	s_xor_b32 s5, exec_lo, s0
	s_cbranch_execz .LBB22_2701
; %bb.2690:
	s_wait_loadcnt 0x0
	v_sub_nc_u32_e32 v1, v2, v0
	s_and_not1_b32 s6, s58, exec_lo
	s_mov_b32 s4, exec_lo
	s_delay_alu instid0(VALU_DEP_1) | instskip(SKIP_2) | instid1(SALU_CYCLE_1)
	v_cmp_le_i32_e32 vcc_lo, s29, v1
	v_cmp_ge_i32_e64 s0, s16, v1
	s_and_b32 s0, vcc_lo, s0
	s_and_b32 s0, s49, s0
	s_delay_alu instid0(SALU_CYCLE_1) | instskip(NEXT) | instid1(SALU_CYCLE_1)
	s_xor_b32 s0, s0, -1
	s_and_b32 s0, s0, exec_lo
	s_delay_alu instid0(SALU_CYCLE_1)
	s_or_b32 s58, s6, s0
	s_or_b32 exec_lo, exec_lo, s5
	s_and_saveexec_b32 s0, s58
	s_cbranch_execz .LBB22_2702
.LBB22_2691:
	s_or_b32 s1, s1, exec_lo
	s_and_not1_b32 s4, s4, exec_lo
	s_trap 2
	s_or_b32 exec_lo, exec_lo, s0
	s_mov_b32 s5, 0
	s_and_saveexec_b32 s15, s4
	s_cbranch_execnz .LBB22_2703
.LBB22_2692:
	s_or_b32 exec_lo, exec_lo, s15
	s_and_saveexec_b32 s0, s57
	s_cbranch_execnz .LBB22_2721
.LBB22_2693:
	s_or_b32 exec_lo, exec_lo, s0
	s_mov_b32 s7, 0
	s_mov_b32 s6, 0
                                        ; implicit-def: $sgpr0
                                        ; implicit-def: $vgpr0_vgpr1
	s_and_saveexec_b32 s4, s5
	s_cbranch_execz .LBB22_2710
; %bb.2694:
	s_wait_loadcnt 0x0
	v_mul_lo_u32 v0, s33, v22
	s_and_b32 s0, s14, 0xff
	s_delay_alu instid0(SALU_CYCLE_1) | instskip(NEXT) | instid1(VALU_DEP_1)
	s_cmp_lt_i32 s0, 11
	v_ashrrev_i32_e32 v1, 31, v0
	s_delay_alu instid0(VALU_DEP_1)
	v_add_nc_u64_e32 v[0:1], s[2:3], v[0:1]
	s_cbranch_scc1 .LBB22_2718
; %bb.2695:
	s_and_b32 s6, 0xffff, s0
	s_mov_b32 s7, -1
	s_cmp_gt_i32 s6, 25
	s_mov_b32 s5, s54
	s_cbranch_scc0 .LBB22_2743
; %bb.2696:
	s_cmp_gt_i32 s6, 28
	s_mov_b32 s5, s54
	s_cbranch_scc0 .LBB22_2733
; %bb.2697:
	;; [unrolled: 4-line block ×4, first 2 shown]
	s_cmp_eq_u32 s6, 46
	s_mov_b32 s5, -1
	s_cbranch_scc0 .LBB22_2724
; %bb.2700:
	v_mov_b32_e32 v2, 0
	s_mov_b32 s5, 0
	s_mov_b32 s7, 0
	global_store_b32 v[0:1], v2, off
	s_branch .LBB22_2725
.LBB22_2701:
	s_or_b32 exec_lo, exec_lo, s5
	s_and_saveexec_b32 s0, s58
	s_cbranch_execnz .LBB22_2691
.LBB22_2702:
	s_or_b32 exec_lo, exec_lo, s0
	s_mov_b32 s5, 0
	s_and_saveexec_b32 s15, s4
	s_cbranch_execz .LBB22_2692
.LBB22_2703:
	v_mov_b64_e32 v[4:5], 0
	s_and_not1_b32 vcc_lo, exec_lo, s17
	s_cbranch_vccnz .LBB22_2713
; %bb.2704:
	s_wait_loadcnt 0x0
	v_ashrrev_i32_e32 v7, 31, v6
	s_mov_b32 s27, 0
	v_mov_b64_e32 v[4:5], 0
	s_lshl_b64 s[6:7], s[26:27], 3
	s_mov_b64 s[4:5], 0xffffffff
	v_mul_u64_e32 v[8:9], s[18:19], v[6:7]
	v_mov_b32_e32 v6, 0
	s_add_nc_u64 s[6:7], s[24:25], s[6:7]
	s_delay_alu instid0(SALU_CYCLE_1)
	s_add_nc_u64 s[6:7], s[6:7], 0x68
	s_branch .LBB22_2706
.LBB22_2705:                            ;   in Loop: Header=BB22_2706 Depth=1
	s_or_b32 exec_lo, exec_lo, s0
	s_delay_alu instid0(VALU_DEP_1)
	v_mul_u64_e32 v[12:13], s[8:9], v[10:11]
	s_load_b64 s[8:9], s[6:7], 0x40
	s_add_co_i32 s48, s48, -1
	s_wait_xcnt 0x0
	s_add_nc_u64 s[6:7], s[6:7], -8
	s_cmp_lg_u32 s48, 0
	s_delay_alu instid0(VALU_DEP_1) | instskip(SKIP_1) | instid1(VALU_DEP_1)
	v_sub_nc_u64_e32 v[8:9], v[8:9], v[12:13]
	s_wait_kmcnt 0x0
	v_mad_nc_u64_u32 v[4:5], v8, s8, v[4:5]
	s_delay_alu instid0(VALU_DEP_1) | instskip(NEXT) | instid1(VALU_DEP_1)
	v_mad_u32 v1, v9, s8, v5
	v_mad_u32 v5, v8, s9, v1
	v_mov_b64_e32 v[8:9], v[10:11]
	s_cbranch_scc0 .LBB22_2713
.LBB22_2706:                            ; =>This Inner Loop Header: Depth=1
	s_load_b64 s[8:9], s[6:7], 0x0
                                        ; implicit-def: $vgpr10_vgpr11
	s_mov_b32 s0, exec_lo
	s_wait_kmcnt 0x0
	s_delay_alu instid0(VALU_DEP_1) | instskip(NEXT) | instid1(VALU_DEP_1)
	v_or_b32_e32 v7, s9, v9
	v_cmpx_ne_u64_e32 0, v[6:7]
	s_xor_b32 s18, exec_lo, s0
	s_cbranch_execz .LBB22_2708
; %bb.2707:                             ;   in Loop: Header=BB22_2706 Depth=1
	s_ashr_i32 s10, s9, 31
	v_dual_mov_b32 v15, v6 :: v_dual_ashrrev_i32 v10, 31, v9
	s_mov_b32 s11, s10
	v_mov_b32_e32 v25, v6
	s_add_nc_u64 s[16:17], s[8:9], s[10:11]
	s_delay_alu instid0(VALU_DEP_2) | instskip(SKIP_1) | instid1(SALU_CYCLE_1)
	v_mov_b32_e32 v11, v10
	s_xor_b64 s[16:17], s[16:17], s[10:11]
	s_cvt_f32_u32 s0, s16
	s_cvt_f32_u32 s11, s17
	s_sub_nc_u64 s[22:23], 0, s[16:17]
	v_add_nc_u64_e32 v[12:13], v[8:9], v[10:11]
	v_mov_b32_e32 v19, v6
	s_fmamk_f32 s0, s11, 0x4f800000, s0
	s_delay_alu instid0(SALU_CYCLE_3) | instskip(NEXT) | instid1(VALU_DEP_2)
	v_s_rcp_f32 s0, s0
	v_xor_b32_e32 v14, v12, v10
	s_delay_alu instid0(VALU_DEP_3) | instskip(NEXT) | instid1(TRANS32_DEP_1)
	v_xor_b32_e32 v18, v13, v10
	s_mul_f32 s0, s0, 0x5f7ffffc
	s_delay_alu instid0(SALU_CYCLE_3) | instskip(NEXT) | instid1(SALU_CYCLE_3)
	s_mul_f32 s11, s0, 0x2f800000
	s_trunc_f32 s11, s11
	s_delay_alu instid0(SALU_CYCLE_3) | instskip(SKIP_1) | instid1(SALU_CYCLE_2)
	s_fmamk_f32 s0, s11, 0xcf800000, s0
	s_cvt_u32_f32 s21, s11
	s_cvt_u32_f32 s20, s0
	s_delay_alu instid0(SALU_CYCLE_3) | instskip(NEXT) | instid1(SALU_CYCLE_1)
	s_mul_u64 s[28:29], s[22:23], s[20:21]
	s_mul_hi_u32 s31, s20, s29
	s_mul_i32 s30, s20, s29
	s_mul_hi_u32 s26, s20, s28
	s_mul_i32 s11, s21, s28
	s_add_nc_u64 s[30:31], s[26:27], s[30:31]
	s_mul_hi_u32 s0, s21, s28
	s_mul_hi_u32 s19, s21, s29
	s_add_co_u32 s11, s30, s11
	s_add_co_ci_u32 s26, s31, s0
	s_mul_i32 s28, s21, s29
	s_add_co_ci_u32 s29, s19, 0
	s_delay_alu instid0(SALU_CYCLE_1) | instskip(NEXT) | instid1(SALU_CYCLE_1)
	s_add_nc_u64 s[28:29], s[26:27], s[28:29]
	s_add_co_u32 s20, s20, s28
	s_cselect_b32 s0, -1, 0
	s_delay_alu instid0(SALU_CYCLE_1) | instskip(SKIP_1) | instid1(SALU_CYCLE_1)
	s_cmp_lg_u32 s0, 0
	s_add_co_ci_u32 s21, s21, s29
	s_mul_u64 s[22:23], s[22:23], s[20:21]
	s_delay_alu instid0(SALU_CYCLE_1)
	s_mul_hi_u32 s29, s20, s23
	s_mul_i32 s28, s20, s23
	s_mul_hi_u32 s26, s20, s22
	s_mul_i32 s11, s21, s22
	s_add_nc_u64 s[28:29], s[26:27], s[28:29]
	s_mul_hi_u32 s0, s21, s22
	s_mul_hi_u32 s19, s21, s23
	s_add_co_u32 s11, s28, s11
	s_add_co_ci_u32 s26, s29, s0
	s_mul_i32 s22, s21, s23
	s_add_co_ci_u32 s23, s19, 0
	s_delay_alu instid0(SALU_CYCLE_1) | instskip(NEXT) | instid1(SALU_CYCLE_1)
	s_add_nc_u64 s[22:23], s[26:27], s[22:23]
	s_add_co_u32 s0, s20, s22
	s_cselect_b32 s11, -1, 0
	v_mul_hi_u32 v24, v14, s0
	s_cmp_lg_u32 s11, 0
	s_add_co_ci_u32 s26, s21, s23
	s_and_b64 s[20:21], s[0:1], s[4:5]
	v_mul_u64_e32 v[16:17], s[26:27], v[14:15]
	v_mul_u64_e32 v[12:13], s[20:21], v[18:19]
	;; [unrolled: 1-line block ×3, first 2 shown]
	s_delay_alu instid0(VALU_DEP_3) | instskip(NEXT) | instid1(VALU_DEP_1)
	v_add_nc_u64_e32 v[16:17], v[24:25], v[16:17]
	v_add_co_u32 v1, vcc_lo, v16, v12
	s_delay_alu instid0(VALU_DEP_2) | instskip(NEXT) | instid1(VALU_DEP_4)
	v_add_co_ci_u32_e32 v24, vcc_lo, v17, v13, vcc_lo
	v_add_co_ci_u32_e32 v21, vcc_lo, 0, v21, vcc_lo
	s_delay_alu instid0(VALU_DEP_1) | instskip(NEXT) | instid1(VALU_DEP_1)
	v_add_nc_u64_e32 v[12:13], v[24:25], v[20:21]
	v_mul_u64_e32 v[16:17], s[16:17], v[12:13]
	s_delay_alu instid0(VALU_DEP_1) | instskip(NEXT) | instid1(VALU_DEP_2)
	v_sub_nc_u32_e32 v1, v18, v17
	v_sub_co_u32 v3, vcc_lo, v14, v16
	s_delay_alu instid0(VALU_DEP_1) | instskip(NEXT) | instid1(VALU_DEP_3)
	v_sub_co_ci_u32_e64 v11, null, v18, v17, vcc_lo
	v_subrev_co_ci_u32_e64 v1, null, s17, v1, vcc_lo
	s_delay_alu instid0(VALU_DEP_3) | instskip(SKIP_1) | instid1(VALU_DEP_3)
	v_sub_co_u32 v7, s0, v3, s16
	v_add_nc_u64_e32 v[16:17], 1, v[12:13]
	v_subrev_co_ci_u32_e64 v1, null, 0, v1, s0
	s_delay_alu instid0(VALU_DEP_3) | instskip(SKIP_1) | instid1(VALU_DEP_3)
	v_cmp_le_u32_e32 vcc_lo, s16, v7
	v_cndmask_b32_e64 v7, 0, -1, vcc_lo
	v_cmp_le_u32_e32 vcc_lo, s17, v1
	v_cndmask_b32_e64 v14, 0, -1, vcc_lo
	;; [unrolled: 2-line block ×4, first 2 shown]
	v_cmp_eq_u32_e32 vcc_lo, s17, v1
	v_cndmask_b32_e32 v1, v14, v7, vcc_lo
	v_cmp_eq_u32_e32 vcc_lo, s17, v11
	v_add_nc_u64_e32 v[14:15], 2, v[12:13]
	v_cndmask_b32_e32 v3, v18, v3, vcc_lo
	s_delay_alu instid0(VALU_DEP_4) | instskip(NEXT) | instid1(VALU_DEP_2)
	v_cmp_ne_u32_e32 vcc_lo, 0, v1
	v_cmp_ne_u32_e64 s0, 0, v3
	s_delay_alu instid0(VALU_DEP_4) | instskip(NEXT) | instid1(VALU_DEP_1)
	v_dual_cndmask_b32 v1, v17, v15, vcc_lo :: v_dual_cndmask_b32 v3, v16, v14, vcc_lo
	v_dual_cndmask_b32 v1, v13, v1, s0 :: v_dual_bitop2_b32 v10, s10, v10 bitop3:0x14
	s_delay_alu instid0(VALU_DEP_1) | instskip(NEXT) | instid1(VALU_DEP_2)
	v_dual_cndmask_b32 v3, v12, v3, s0 :: v_dual_mov_b32 v11, v10
	v_xor_b32_e32 v13, v1, v10
	s_delay_alu instid0(VALU_DEP_2) | instskip(NEXT) | instid1(VALU_DEP_1)
	v_xor_b32_e32 v12, v3, v10
	v_sub_nc_u64_e32 v[10:11], v[12:13], v[10:11]
.LBB22_2708:                            ;   in Loop: Header=BB22_2706 Depth=1
	s_and_not1_saveexec_b32 s0, s18
	s_cbranch_execz .LBB22_2705
; %bb.2709:                             ;   in Loop: Header=BB22_2706 Depth=1
	v_cvt_f32_u32_e32 v1, s8
	s_sub_co_i32 s10, 0, s8
	v_mov_b32_e32 v11, v6
	s_delay_alu instid0(VALU_DEP_2) | instskip(SKIP_1) | instid1(TRANS32_DEP_1)
	v_rcp_iflag_f32_e32 v1, v1
	v_nop
	v_mul_f32_e32 v1, 0x4f7ffffe, v1
	s_delay_alu instid0(VALU_DEP_1) | instskip(NEXT) | instid1(VALU_DEP_1)
	v_cvt_u32_f32_e32 v1, v1
	v_mul_lo_u32 v3, s10, v1
	s_delay_alu instid0(VALU_DEP_1) | instskip(NEXT) | instid1(VALU_DEP_1)
	v_mul_hi_u32 v3, v1, v3
	v_add_nc_u32_e32 v1, v1, v3
	s_delay_alu instid0(VALU_DEP_1) | instskip(NEXT) | instid1(VALU_DEP_1)
	v_mul_hi_u32 v1, v8, v1
	v_mul_lo_u32 v3, v1, s8
	s_delay_alu instid0(VALU_DEP_1) | instskip(NEXT) | instid1(VALU_DEP_1)
	v_sub_nc_u32_e32 v3, v8, v3
	v_subrev_nc_u32_e32 v10, s8, v3
	v_cmp_le_u32_e32 vcc_lo, s8, v3
	s_delay_alu instid0(VALU_DEP_2) | instskip(NEXT) | instid1(VALU_DEP_1)
	v_dual_add_nc_u32 v7, 1, v1 :: v_dual_cndmask_b32 v3, v3, v10, vcc_lo
	v_cndmask_b32_e32 v1, v1, v7, vcc_lo
	s_delay_alu instid0(VALU_DEP_2) | instskip(NEXT) | instid1(VALU_DEP_2)
	v_cmp_le_u32_e32 vcc_lo, s8, v3
	v_add_nc_u32_e32 v7, 1, v1
	s_delay_alu instid0(VALU_DEP_1)
	v_cndmask_b32_e32 v10, v1, v7, vcc_lo
	s_branch .LBB22_2705
.LBB22_2710:
	s_or_b32 exec_lo, exec_lo, s4
	s_and_saveexec_b32 s4, s54
	s_cbranch_execnz .LBB22_2763
.LBB22_2711:
	s_or_b32 exec_lo, exec_lo, s4
	s_and_saveexec_b32 s4, s7
	s_delay_alu instid0(SALU_CYCLE_1)
	s_xor_b32 s4, exec_lo, s4
	s_cbranch_execz .LBB22_2764
.LBB22_2712:
	s_wait_loadcnt 0x0
	v_mov_b32_e32 v2, 0
	global_store_b8 v[0:1], v2, off
	s_wait_xcnt 0x0
	s_or_b32 exec_lo, exec_lo, s4
	s_and_saveexec_b32 s4, s6
	s_delay_alu instid0(SALU_CYCLE_1)
	s_xor_b32 s4, exec_lo, s4
	s_cbranch_execz .LBB22_2802
	s_branch .LBB22_2765
.LBB22_2713:
	s_mov_b32 s4, s57
	s_mov_b32 s0, exec_lo
	s_wait_loadcnt 0x0
	v_cmpx_gt_i32_e64 v2, v0
	s_cbranch_execz .LBB22_2720
; %bb.2714:
	s_delay_alu instid0(VALU_DEP_2) | instskip(SKIP_3) | instid1(VALU_DEP_1)
	v_lshlrev_b64_e32 v[4:5], 2, v[4:5]
	v_dual_ashrrev_i32 v1, 31, v0 :: v_dual_ashrrev_i32 v3, 31, v2
	s_mov_b32 s4, 0
	s_xor_b32 s6, s35, -1
                                        ; implicit-def: $sgpr5
                                        ; implicit-def: $sgpr8
                                        ; implicit-def: $sgpr7
	v_lshl_add_u64 v[0:1], v[0:1], 2, v[4:5]
	v_add_nc_u64_e32 v[4:5], s[12:13], v[4:5]
	s_delay_alu instid0(VALU_DEP_2) | instskip(NEXT) | instid1(VALU_DEP_2)
	v_add_nc_u64_e32 v[0:1], s[12:13], v[0:1]
	v_lshl_add_u64 v[2:3], v[2:3], 2, v[4:5]
	s_delay_alu instid0(VALU_DEP_2)
	v_add_nc_u64_e32 v[0:1], 4, v[0:1]
	s_branch .LBB22_2716
.LBB22_2715:                            ;   in Loop: Header=BB22_2716 Depth=1
	s_or_b32 exec_lo, exec_lo, s9
	s_xor_b32 s9, s7, -1
	s_and_b32 s10, exec_lo, s8
	s_delay_alu instid0(SALU_CYCLE_1) | instskip(SKIP_2) | instid1(SALU_CYCLE_1)
	s_or_b32 s4, s10, s4
	s_and_not1_b32 s5, s5, exec_lo
	s_and_b32 s9, s9, exec_lo
	s_or_b32 s5, s5, s9
	s_and_not1_b32 exec_lo, exec_lo, s4
	s_cbranch_execz .LBB22_2719
.LBB22_2716:                            ; =>This Inner Loop Header: Depth=1
	s_or_b32 s7, s7, exec_lo
	s_or_b32 s8, s8, exec_lo
	s_mov_b32 s9, exec_lo
	s_delay_alu instid0(VALU_DEP_1)
	v_cmpx_lt_u64_e64 v[0:1], v[2:3]
	s_cbranch_execz .LBB22_2715
; %bb.2717:                             ;   in Loop: Header=BB22_2716 Depth=1
	global_load_b64 v[4:5], v[0:1], off offset:-4
	s_wait_xcnt 0x0
	v_add_nc_u64_e32 v[0:1], 4, v[0:1]
	s_and_not1_b32 s8, s8, exec_lo
	s_and_not1_b32 s7, s7, exec_lo
	s_wait_loadcnt 0x0
	v_cmp_ge_i32_e32 vcc_lo, v4, v5
	s_or_b32 s10, s6, vcc_lo
	s_delay_alu instid0(SALU_CYCLE_1) | instskip(NEXT) | instid1(SALU_CYCLE_1)
	s_and_b32 s10, s10, exec_lo
	s_or_b32 s8, s8, s10
	s_branch .LBB22_2715
.LBB22_2718:
	s_mov_b32 s8, 0
	s_mov_b32 s7, -1
	s_mov_b32 s5, s54
	s_branch .LBB22_2762
.LBB22_2719:
	s_or_b32 exec_lo, exec_lo, s4
	s_delay_alu instid0(SALU_CYCLE_1) | instskip(SKIP_1) | instid1(SALU_CYCLE_1)
	s_and_not1_b32 s4, s57, exec_lo
	s_and_b32 s5, s5, exec_lo
	s_or_b32 s4, s4, s5
.LBB22_2720:
	s_or_b32 exec_lo, exec_lo, s0
	s_delay_alu instid0(SALU_CYCLE_1)
	s_and_not1_b32 s0, s57, exec_lo
	s_and_b32 s4, s4, exec_lo
	s_mov_b32 s5, exec_lo
	s_or_b32 s57, s0, s4
	s_or_b32 exec_lo, exec_lo, s15
	s_and_saveexec_b32 s0, s57
	s_cbranch_execz .LBB22_2693
.LBB22_2721:
	s_or_b32 s1, s1, exec_lo
	s_and_not1_b32 s5, s5, exec_lo
	s_trap 2
	s_branch .LBB22_2693
.LBB22_2722:
	s_or_b32 s1, s1, exec_lo
	s_and_not1_b32 s0, s0, exec_lo
	s_trap 2
	s_branch .LBB22_2686
.LBB22_2723:
	s_or_b32 s1, s1, exec_lo
	s_and_not1_b32 s5, s5, exec_lo
	s_trap 2
	s_branch .LBB22_2689
.LBB22_2724:
	s_mov_b32 s7, 0
.LBB22_2725:
	s_delay_alu instid0(SALU_CYCLE_1)
	s_and_b32 vcc_lo, exec_lo, s7
	s_cbranch_vccz .LBB22_2728
; %bb.2726:
	s_cmp_eq_u32 s6, 44
	s_mov_b32 s5, -1
	s_cbranch_scc0 .LBB22_2728
; %bb.2727:
	s_wait_xcnt 0x0
	v_mov_b32_e32 v2, 0
	s_mov_b32 s5, 0
	s_mov_b32 s7, 0
	global_store_b8 v[0:1], v2, off
	s_branch .LBB22_2729
.LBB22_2728:
	s_mov_b32 s7, 0
.LBB22_2729:
	s_delay_alu instid0(SALU_CYCLE_1)
	s_and_b32 vcc_lo, exec_lo, s7
	s_cbranch_vccz .LBB22_2732
; %bb.2730:
	s_cmp_eq_u32 s6, 29
	s_mov_b32 s5, -1
	s_cbranch_scc0 .LBB22_2732
; %bb.2731:
	s_wait_xcnt 0x0
	v_mov_b64_e32 v[2:3], 0
	s_mov_b32 s5, 0
	s_mov_b32 s7, 0
	global_store_b64 v[0:1], v[2:3], off
	s_branch .LBB22_2733
.LBB22_2732:
	s_mov_b32 s7, 0
.LBB22_2733:
	s_delay_alu instid0(SALU_CYCLE_1)
	s_and_b32 vcc_lo, exec_lo, s7
	s_cbranch_vccz .LBB22_2742
; %bb.2734:
	s_cmp_lt_i32 s6, 27
	s_mov_b32 s7, -1
	s_cbranch_scc1 .LBB22_2740
; %bb.2735:
	s_cmp_gt_i32 s6, 27
	s_cbranch_scc0 .LBB22_2737
; %bb.2736:
	s_wait_xcnt 0x0
	v_mov_b32_e32 v2, 0
	s_mov_b32 s7, 0
	global_store_b32 v[0:1], v2, off
.LBB22_2737:
	s_and_not1_b32 vcc_lo, exec_lo, s7
	s_cbranch_vccnz .LBB22_2739
; %bb.2738:
	s_wait_xcnt 0x0
	v_mov_b32_e32 v2, 0
	global_store_b16 v[0:1], v2, off
.LBB22_2739:
	s_mov_b32 s7, 0
.LBB22_2740:
	s_delay_alu instid0(SALU_CYCLE_1)
	s_and_not1_b32 vcc_lo, exec_lo, s7
	s_cbranch_vccnz .LBB22_2742
; %bb.2741:
	s_wait_xcnt 0x0
	v_mov_b32_e32 v2, 0
	global_store_b8 v[0:1], v2, off
.LBB22_2742:
	s_mov_b32 s7, 0
.LBB22_2743:
	s_delay_alu instid0(SALU_CYCLE_1)
	s_and_b32 vcc_lo, exec_lo, s7
	s_mov_b32 s7, 0
	s_cbranch_vccz .LBB22_2761
; %bb.2744:
	s_cmp_gt_i32 s6, 22
	s_mov_b32 s8, -1
	s_cbranch_scc0 .LBB22_2754
; %bb.2745:
	s_cmp_lt_i32 s6, 24
	s_cbranch_scc1 .LBB22_2751
; %bb.2746:
	s_cmp_gt_i32 s6, 24
	s_cbranch_scc0 .LBB22_2748
; %bb.2747:
	s_wait_xcnt 0x0
	v_mov_b32_e32 v2, 0
	s_mov_b32 s8, 0
	global_store_b8 v[0:1], v2, off
.LBB22_2748:
	s_and_not1_b32 vcc_lo, exec_lo, s8
	s_cbranch_vccnz .LBB22_2750
; %bb.2749:
	s_wait_xcnt 0x0
	v_mov_b32_e32 v2, 0
	global_store_b8 v[0:1], v2, off
.LBB22_2750:
	s_mov_b32 s8, 0
.LBB22_2751:
	s_delay_alu instid0(SALU_CYCLE_1)
	s_and_not1_b32 vcc_lo, exec_lo, s8
	s_cbranch_vccnz .LBB22_2753
; %bb.2752:
	s_wait_xcnt 0x0
	v_mov_b32_e32 v2, 0
	global_store_b8 v[0:1], v2, off
.LBB22_2753:
	s_mov_b32 s8, 0
.LBB22_2754:
	s_delay_alu instid0(SALU_CYCLE_1)
	s_and_not1_b32 vcc_lo, exec_lo, s8
	s_mov_b32 s8, 0
	s_cbranch_vccnz .LBB22_2762
; %bb.2755:
	s_cmp_gt_i32 s6, 14
	s_mov_b32 s8, -1
	s_cbranch_scc0 .LBB22_2759
; %bb.2756:
	s_cmp_eq_u32 s6, 15
	s_mov_b32 s5, -1
	s_cbranch_scc0 .LBB22_2758
; %bb.2757:
	s_wait_xcnt 0x0
	v_mov_b32_e32 v2, 0
	s_mov_b32 s5, 0
	global_store_b16 v[0:1], v2, off
.LBB22_2758:
	s_mov_b32 s8, 0
.LBB22_2759:
	s_delay_alu instid0(SALU_CYCLE_1)
	s_and_b32 vcc_lo, exec_lo, s8
	s_mov_b32 s8, 0
	s_cbranch_vccz .LBB22_2762
; %bb.2760:
	s_cmp_lg_u32 s6, 11
	s_mov_b32 s8, -1
	s_cselect_b32 s6, -1, 0
	s_and_not1_b32 s5, s5, exec_lo
	s_and_b32 s6, s6, exec_lo
	s_delay_alu instid0(SALU_CYCLE_1)
	s_or_b32 s5, s5, s6
	s_branch .LBB22_2762
.LBB22_2761:
	s_mov_b32 s8, 0
.LBB22_2762:
	s_and_not1_b32 s9, s54, exec_lo
	s_and_b32 s5, s5, exec_lo
	s_and_b32 s6, s7, exec_lo
	;; [unrolled: 1-line block ×3, first 2 shown]
	s_or_b32 s54, s9, s5
	s_wait_xcnt 0x0
	s_or_b32 exec_lo, exec_lo, s4
	s_and_saveexec_b32 s4, s54
	s_cbranch_execz .LBB22_2711
.LBB22_2763:
	s_or_b32 s1, s1, exec_lo
	s_and_not1_b32 s7, s7, exec_lo
	s_trap 2
	s_or_b32 exec_lo, exec_lo, s4
	s_and_saveexec_b32 s4, s7
	s_delay_alu instid0(SALU_CYCLE_1)
	s_xor_b32 s4, exec_lo, s4
	s_cbranch_execnz .LBB22_2712
.LBB22_2764:
	s_or_b32 exec_lo, exec_lo, s4
	s_and_saveexec_b32 s4, s6
	s_delay_alu instid0(SALU_CYCLE_1)
	s_xor_b32 s4, exec_lo, s4
	s_cbranch_execz .LBB22_2802
.LBB22_2765:
	s_sext_i32_i16 s6, s0
	s_mov_b32 s5, -1
	s_cmp_lt_i32 s6, 5
	s_cbranch_scc1 .LBB22_2786
; %bb.2766:
	s_cmp_lt_i32 s6, 8
	s_cbranch_scc1 .LBB22_2776
; %bb.2767:
	;; [unrolled: 3-line block ×3, first 2 shown]
	s_cmp_gt_i32 s6, 9
	s_cbranch_scc0 .LBB22_2770
; %bb.2769:
	s_wait_loadcnt 0x0
	v_mov_b32_e32 v2, 0
	s_mov_b32 s5, 0
	s_delay_alu instid0(VALU_DEP_1)
	v_dual_mov_b32 v3, v2 :: v_dual_mov_b32 v4, v2
	v_mov_b32_e32 v5, v2
	global_store_b128 v[0:1], v[2:5], off
.LBB22_2770:
	s_and_not1_b32 vcc_lo, exec_lo, s5
	s_cbranch_vccnz .LBB22_2772
; %bb.2771:
	s_wait_loadcnt 0x0
	v_mov_b64_e32 v[2:3], 0
	global_store_b64 v[0:1], v[2:3], off
.LBB22_2772:
	s_mov_b32 s5, 0
.LBB22_2773:
	s_delay_alu instid0(SALU_CYCLE_1)
	s_and_not1_b32 vcc_lo, exec_lo, s5
	s_cbranch_vccnz .LBB22_2775
; %bb.2774:
	s_wait_loadcnt 0x0
	v_mov_b32_e32 v2, 0
	global_store_b32 v[0:1], v2, off
.LBB22_2775:
	s_mov_b32 s5, 0
.LBB22_2776:
	s_delay_alu instid0(SALU_CYCLE_1)
	s_and_not1_b32 vcc_lo, exec_lo, s5
	s_cbranch_vccnz .LBB22_2785
; %bb.2777:
	s_sext_i32_i16 s6, s0
	s_mov_b32 s5, -1
	s_cmp_lt_i32 s6, 6
	s_cbranch_scc1 .LBB22_2783
; %bb.2778:
	s_cmp_gt_i32 s6, 6
	s_cbranch_scc0 .LBB22_2780
; %bb.2779:
	s_wait_loadcnt 0x0
	v_mov_b64_e32 v[2:3], 0
	s_mov_b32 s5, 0
	global_store_b64 v[0:1], v[2:3], off
.LBB22_2780:
	s_and_not1_b32 vcc_lo, exec_lo, s5
	s_cbranch_vccnz .LBB22_2782
; %bb.2781:
	s_wait_loadcnt 0x0
	v_mov_b32_e32 v2, 0
	global_store_b32 v[0:1], v2, off
.LBB22_2782:
	s_mov_b32 s5, 0
.LBB22_2783:
	s_delay_alu instid0(SALU_CYCLE_1)
	s_and_not1_b32 vcc_lo, exec_lo, s5
	s_cbranch_vccnz .LBB22_2785
; %bb.2784:
	s_wait_loadcnt 0x0
	v_mov_b32_e32 v2, 0
	global_store_b16 v[0:1], v2, off
.LBB22_2785:
	s_mov_b32 s5, 0
.LBB22_2786:
	s_delay_alu instid0(SALU_CYCLE_1)
	s_and_not1_b32 vcc_lo, exec_lo, s5
	s_cbranch_vccnz .LBB22_2802
; %bb.2787:
	s_sext_i32_i16 s6, s0
	s_mov_b32 s5, -1
	s_cmp_lt_i32 s6, 2
	s_cbranch_scc1 .LBB22_2797
; %bb.2788:
	s_cmp_lt_i32 s6, 3
	s_cbranch_scc1 .LBB22_2794
; %bb.2789:
	s_cmp_gt_i32 s6, 3
	s_cbranch_scc0 .LBB22_2791
; %bb.2790:
	s_wait_loadcnt 0x0
	v_mov_b64_e32 v[2:3], 0
	s_mov_b32 s5, 0
	global_store_b64 v[0:1], v[2:3], off
.LBB22_2791:
	s_and_not1_b32 vcc_lo, exec_lo, s5
	s_cbranch_vccnz .LBB22_2793
; %bb.2792:
	s_wait_loadcnt 0x0
	v_mov_b32_e32 v2, 0
	global_store_b32 v[0:1], v2, off
.LBB22_2793:
	s_mov_b32 s5, 0
.LBB22_2794:
	s_delay_alu instid0(SALU_CYCLE_1)
	s_and_not1_b32 vcc_lo, exec_lo, s5
	s_cbranch_vccnz .LBB22_2796
; %bb.2795:
	s_wait_loadcnt 0x0
	v_mov_b32_e32 v2, 0
	global_store_b16 v[0:1], v2, off
.LBB22_2796:
	s_mov_b32 s5, 0
.LBB22_2797:
	s_delay_alu instid0(SALU_CYCLE_1)
	s_and_not1_b32 vcc_lo, exec_lo, s5
	s_cbranch_vccnz .LBB22_2802
; %bb.2798:
	s_sext_i32_i16 s0, s0
	s_delay_alu instid0(SALU_CYCLE_1)
	s_cmp_gt_i32 s0, 0
	s_mov_b32 s0, -1
	s_cbranch_scc0 .LBB22_2800
; %bb.2799:
	s_wait_loadcnt 0x0
	v_mov_b32_e32 v2, 0
	s_mov_b32 s0, 0
	global_store_b8 v[0:1], v2, off
.LBB22_2800:
	s_and_not1_b32 vcc_lo, exec_lo, s0
	s_cbranch_vccnz .LBB22_2802
; %bb.2801:
	s_wait_loadcnt 0x0
	v_mov_b32_e32 v2, 0
	global_store_b8 v[0:1], v2, off
.LBB22_2802:
	s_wait_xcnt 0x0
	s_or_b32 exec_lo, exec_lo, s4
	s_delay_alu instid0(SALU_CYCLE_1)
	s_and_b32 s36, s1, exec_lo
                                        ; implicit-def: $vgpr22
.LBB22_2803:
	s_or_saveexec_b32 s37, s47
	s_mov_b32 s4, 0
                                        ; implicit-def: $vgpr14_vgpr15
                                        ; implicit-def: $sgpr0
	s_xor_b32 exec_lo, exec_lo, s37
	s_cbranch_execz .LBB22_3436
; %bb.2804:
	s_wait_loadcnt 0x0
	v_mov_b32_e32 v0, 0
	s_clause 0x1
	s_load_b32 s55, s[24:25], 0x34
	s_load_b64 s[8:9], s[24:25], 0x8
	global_load_u8 v2, v0, s[24:25] offset:241
	s_wait_kmcnt 0x0
	v_mul_lo_u32 v0, s55, v22
	s_delay_alu instid0(VALU_DEP_1) | instskip(NEXT) | instid1(VALU_DEP_1)
	v_ashrrev_i32_e32 v1, 31, v0
	v_add_nc_u64_e32 v[0:1], s[8:9], v[0:1]
	s_wait_loadcnt 0x0
	v_and_b32_e32 v3, 0xffff, v2
	v_readfirstlane_b32 s34, v2
	s_delay_alu instid0(VALU_DEP_2)
	v_cmp_gt_i32_e32 vcc_lo, 11, v3
	s_cbranch_vccnz .LBB22_2811
; %bb.2805:
	s_and_b32 s0, 0xffff, s34
	s_delay_alu instid0(SALU_CYCLE_1)
	s_cmp_gt_i32 s0, 25
	s_cbranch_scc0 .LBB22_2813
; %bb.2806:
	s_cmp_gt_i32 s0, 28
	s_cbranch_scc0 .LBB22_2814
; %bb.2807:
	;; [unrolled: 3-line block ×4, first 2 shown]
	s_cmp_eq_u32 s0, 46
	s_mov_b32 s6, 0
	s_cbranch_scc0 .LBB22_2817
; %bb.2810:
	global_load_b32 v2, v[0:1], off
	s_mov_b32 s1, 0
	s_mov_b32 s5, -1
	s_wait_loadcnt 0x0
	v_lshlrev_b32_e32 v2, 16, v2
	s_delay_alu instid0(VALU_DEP_1)
	v_cvt_i32_f32_e32 v23, v2
	s_branch .LBB22_2819
.LBB22_2811:
	s_mov_b32 s5, 0
	s_mov_b32 s38, s36
                                        ; implicit-def: $vgpr23
	s_cbranch_execnz .LBB22_2877
.LBB22_2812:
	s_and_not1_b32 vcc_lo, exec_lo, s5
	s_cbranch_vccz .LBB22_2922
	s_branch .LBB22_3434
.LBB22_2813:
	s_mov_b32 s5, 0
	s_mov_b32 s1, 0
                                        ; implicit-def: $vgpr23
	s_cbranch_execnz .LBB22_2844
	s_branch .LBB22_2873
.LBB22_2814:
	s_mov_b32 s5, 0
	s_mov_b32 s1, 0
                                        ; implicit-def: $vgpr23
	s_cbranch_execz .LBB22_2843
	s_branch .LBB22_2828
.LBB22_2815:
	s_mov_b32 s5, 0
	s_mov_b32 s1, 0
                                        ; implicit-def: $vgpr23
	s_cbranch_execnz .LBB22_2824
	s_branch .LBB22_2827
.LBB22_2816:
	s_mov_b32 s6, -1
	s_mov_b32 s5, 0
	s_mov_b32 s1, 0
	s_branch .LBB22_2818
.LBB22_2817:
	s_mov_b32 s1, -1
	s_mov_b32 s5, 0
.LBB22_2818:
                                        ; implicit-def: $vgpr23
.LBB22_2819:
	s_and_b32 vcc_lo, exec_lo, s6
	s_cbranch_vccz .LBB22_2822
; %bb.2820:
	s_cmp_eq_u32 s0, 44
	s_cbranch_scc0 .LBB22_2823
; %bb.2821:
	global_load_u8 v2, v[0:1], off
	s_mov_b32 s1, 0
	s_mov_b32 s5, -1
	s_wait_loadcnt 0x0
	v_lshlrev_b32_e32 v3, 23, v2
	v_cmp_ne_u32_e32 vcc_lo, 0, v2
	s_delay_alu instid0(VALU_DEP_2) | instskip(NEXT) | instid1(VALU_DEP_1)
	v_cvt_i32_f32_e32 v3, v3
	v_cndmask_b32_e32 v23, 0, v3, vcc_lo
.LBB22_2822:
	s_branch .LBB22_2827
.LBB22_2823:
	s_mov_b32 s1, -1
                                        ; implicit-def: $vgpr23
	s_branch .LBB22_2827
.LBB22_2824:
	s_cmp_eq_u32 s0, 29
	s_cbranch_scc0 .LBB22_2826
; %bb.2825:
	global_load_b32 v23, v[0:1], off
	s_mov_b32 s1, 0
	s_mov_b32 s5, -1
	s_branch .LBB22_2827
.LBB22_2826:
	s_mov_b32 s1, -1
                                        ; implicit-def: $vgpr23
.LBB22_2827:
	s_branch .LBB22_2843
.LBB22_2828:
	s_cmp_lt_i32 s0, 27
	s_cbranch_scc1 .LBB22_2831
; %bb.2829:
	s_cmp_gt_i32 s0, 27
	s_cbranch_scc0 .LBB22_2832
; %bb.2830:
	s_wait_loadcnt 0x0
	global_load_b32 v23, v[0:1], off
	s_mov_b32 s5, 0
	s_branch .LBB22_2833
.LBB22_2831:
	s_mov_b32 s5, -1
                                        ; implicit-def: $vgpr23
	s_branch .LBB22_2836
.LBB22_2832:
	s_mov_b32 s5, -1
                                        ; implicit-def: $vgpr23
.LBB22_2833:
	s_delay_alu instid0(SALU_CYCLE_1)
	s_and_not1_b32 vcc_lo, exec_lo, s5
	s_cbranch_vccnz .LBB22_2835
; %bb.2834:
	s_wait_loadcnt 0x0
	global_load_u16 v23, v[0:1], off
.LBB22_2835:
	s_mov_b32 s5, 0
.LBB22_2836:
	s_delay_alu instid0(SALU_CYCLE_1)
	s_and_not1_b32 vcc_lo, exec_lo, s5
	s_cbranch_vccnz .LBB22_2842
; %bb.2837:
	global_load_u8 v2, v[0:1], off
	s_mov_b32 s6, 0
	s_mov_b32 s5, exec_lo
	s_wait_loadcnt 0x0
	v_cmpx_lt_i16_e32 0x7f, v2
	s_xor_b32 s5, exec_lo, s5
	s_cbranch_execz .LBB22_2853
; %bb.2838:
	v_cmp_ne_u16_e32 vcc_lo, 0x80, v2
	s_and_b32 s6, vcc_lo, exec_lo
	s_and_not1_saveexec_b32 s5, s5
	s_cbranch_execnz .LBB22_2854
.LBB22_2839:
	s_or_b32 exec_lo, exec_lo, s5
	v_mov_b32_e32 v23, 0
	s_and_saveexec_b32 s5, s6
	s_cbranch_execz .LBB22_2841
.LBB22_2840:
	v_and_b32_e32 v3, 0xffff, v2
	s_delay_alu instid0(VALU_DEP_1) | instskip(SKIP_1) | instid1(VALU_DEP_2)
	v_and_b32_e32 v4, 7, v3
	v_bfe_u32 v7, v3, 3, 4
	v_clz_i32_u32_e32 v5, v4
	s_delay_alu instid0(VALU_DEP_2) | instskip(NEXT) | instid1(VALU_DEP_2)
	v_cmp_eq_u32_e32 vcc_lo, 0, v7
	v_min_u32_e32 v5, 32, v5
	s_delay_alu instid0(VALU_DEP_1) | instskip(NEXT) | instid1(VALU_DEP_1)
	v_subrev_nc_u32_e32 v6, 28, v5
	v_dual_lshlrev_b32 v3, v6, v3 :: v_dual_sub_nc_u32 v5, 29, v5
	s_delay_alu instid0(VALU_DEP_1) | instskip(NEXT) | instid1(VALU_DEP_1)
	v_dual_lshlrev_b32 v2, 24, v2 :: v_dual_bitop2_b32 v3, 7, v3 bitop3:0x40
	v_dual_cndmask_b32 v5, v7, v5, vcc_lo :: v_dual_cndmask_b32 v3, v4, v3, vcc_lo
	s_delay_alu instid0(VALU_DEP_2) | instskip(NEXT) | instid1(VALU_DEP_2)
	v_and_b32_e32 v2, 0x80000000, v2
	v_lshl_add_u32 v4, v5, 23, 0x3b800000
	s_delay_alu instid0(VALU_DEP_3) | instskip(NEXT) | instid1(VALU_DEP_1)
	v_lshlrev_b32_e32 v3, 20, v3
	v_or3_b32 v2, v2, v4, v3
	s_delay_alu instid0(VALU_DEP_1)
	v_cvt_i32_f32_e32 v23, v2
.LBB22_2841:
	s_or_b32 exec_lo, exec_lo, s5
.LBB22_2842:
	s_mov_b32 s5, -1
.LBB22_2843:
	s_branch .LBB22_2873
.LBB22_2844:
	s_cmp_gt_i32 s0, 22
	s_cbranch_scc0 .LBB22_2852
; %bb.2845:
	s_cmp_lt_i32 s0, 24
	s_cbranch_scc1 .LBB22_2855
; %bb.2846:
	s_cmp_gt_i32 s0, 24
	s_cbranch_scc0 .LBB22_2856
; %bb.2847:
	global_load_u8 v2, v[0:1], off
	s_mov_b32 s5, 0
	s_mov_b32 s4, exec_lo
	s_wait_loadcnt 0x0
	v_cmpx_lt_i16_e32 0x7f, v2
	s_xor_b32 s4, exec_lo, s4
	s_cbranch_execz .LBB22_2867
; %bb.2848:
	v_cmp_ne_u16_e32 vcc_lo, 0x80, v2
	s_and_b32 s5, vcc_lo, exec_lo
	s_and_not1_saveexec_b32 s4, s4
	s_cbranch_execnz .LBB22_2868
.LBB22_2849:
	s_or_b32 exec_lo, exec_lo, s4
	v_mov_b32_e32 v23, 0
	s_and_saveexec_b32 s4, s5
	s_cbranch_execz .LBB22_2851
.LBB22_2850:
	v_and_b32_e32 v3, 0xffff, v2
	s_delay_alu instid0(VALU_DEP_1) | instskip(SKIP_1) | instid1(VALU_DEP_2)
	v_and_b32_e32 v4, 3, v3
	v_bfe_u32 v7, v3, 2, 5
	v_clz_i32_u32_e32 v5, v4
	s_delay_alu instid0(VALU_DEP_2) | instskip(NEXT) | instid1(VALU_DEP_2)
	v_cmp_eq_u32_e32 vcc_lo, 0, v7
	v_min_u32_e32 v5, 32, v5
	s_delay_alu instid0(VALU_DEP_1) | instskip(NEXT) | instid1(VALU_DEP_1)
	v_subrev_nc_u32_e32 v6, 29, v5
	v_dual_lshlrev_b32 v3, v6, v3 :: v_dual_sub_nc_u32 v5, 30, v5
	s_delay_alu instid0(VALU_DEP_1) | instskip(NEXT) | instid1(VALU_DEP_1)
	v_dual_lshlrev_b32 v2, 24, v2 :: v_dual_bitop2_b32 v3, 3, v3 bitop3:0x40
	v_dual_cndmask_b32 v5, v7, v5, vcc_lo :: v_dual_cndmask_b32 v3, v4, v3, vcc_lo
	s_delay_alu instid0(VALU_DEP_2) | instskip(NEXT) | instid1(VALU_DEP_2)
	v_and_b32_e32 v2, 0x80000000, v2
	v_lshl_add_u32 v4, v5, 23, 0x37800000
	s_delay_alu instid0(VALU_DEP_3) | instskip(NEXT) | instid1(VALU_DEP_1)
	v_lshlrev_b32_e32 v3, 21, v3
	v_or3_b32 v2, v2, v4, v3
	s_delay_alu instid0(VALU_DEP_1)
	v_cvt_i32_f32_e32 v23, v2
.LBB22_2851:
	s_or_b32 exec_lo, exec_lo, s4
	s_mov_b32 s4, 0
	s_branch .LBB22_2857
.LBB22_2852:
                                        ; implicit-def: $vgpr23
	s_mov_b32 s4, 0
	s_branch .LBB22_2863
.LBB22_2853:
	s_and_not1_saveexec_b32 s5, s5
	s_cbranch_execz .LBB22_2839
.LBB22_2854:
	v_cmp_ne_u16_e32 vcc_lo, 0, v2
	s_and_not1_b32 s6, s6, exec_lo
	s_and_b32 s7, vcc_lo, exec_lo
	s_delay_alu instid0(SALU_CYCLE_1)
	s_or_b32 s6, s6, s7
	s_or_b32 exec_lo, exec_lo, s5
	v_mov_b32_e32 v23, 0
	s_and_saveexec_b32 s5, s6
	s_cbranch_execnz .LBB22_2840
	s_branch .LBB22_2841
.LBB22_2855:
	s_mov_b32 s4, -1
                                        ; implicit-def: $vgpr23
	s_branch .LBB22_2860
.LBB22_2856:
	s_mov_b32 s4, -1
                                        ; implicit-def: $vgpr23
.LBB22_2857:
	s_delay_alu instid0(SALU_CYCLE_1)
	s_and_b32 vcc_lo, exec_lo, s4
	s_cbranch_vccz .LBB22_2859
; %bb.2858:
	global_load_u8 v2, v[0:1], off
	s_wait_loadcnt 0x0
	v_lshlrev_b32_e32 v2, 24, v2
	s_delay_alu instid0(VALU_DEP_1) | instskip(NEXT) | instid1(VALU_DEP_1)
	v_and_b32_e32 v3, 0x7f000000, v2
	v_clz_i32_u32_e32 v4, v3
	v_cmp_ne_u32_e32 vcc_lo, 0, v3
	v_add_nc_u32_e32 v6, 0x1000000, v3
	s_delay_alu instid0(VALU_DEP_3) | instskip(NEXT) | instid1(VALU_DEP_1)
	v_min_u32_e32 v4, 32, v4
	v_sub_nc_u32_e64 v4, v4, 4 clamp
	s_delay_alu instid0(VALU_DEP_1) | instskip(NEXT) | instid1(VALU_DEP_1)
	v_dual_lshlrev_b32 v5, v4, v3 :: v_dual_lshlrev_b32 v4, 23, v4
	v_lshrrev_b32_e32 v5, 4, v5
	s_delay_alu instid0(VALU_DEP_1) | instskip(NEXT) | instid1(VALU_DEP_1)
	v_dual_sub_nc_u32 v4, v5, v4 :: v_dual_ashrrev_i32 v5, 8, v6
	v_add_nc_u32_e32 v4, 0x3c000000, v4
	s_delay_alu instid0(VALU_DEP_1) | instskip(NEXT) | instid1(VALU_DEP_1)
	v_and_or_b32 v4, 0x7f800000, v5, v4
	v_cndmask_b32_e32 v3, 0, v4, vcc_lo
	s_delay_alu instid0(VALU_DEP_1) | instskip(NEXT) | instid1(VALU_DEP_1)
	v_and_or_b32 v2, 0x80000000, v2, v3
	v_cvt_i32_f32_e32 v23, v2
.LBB22_2859:
	s_mov_b32 s4, 0
.LBB22_2860:
	s_delay_alu instid0(SALU_CYCLE_1)
	s_and_not1_b32 vcc_lo, exec_lo, s4
	s_cbranch_vccnz .LBB22_2862
; %bb.2861:
	global_load_u8 v2, v[0:1], off
	s_wait_loadcnt 0x0
	v_lshlrev_b32_e32 v3, 25, v2
	v_lshlrev_b16 v2, 8, v2
	s_delay_alu instid0(VALU_DEP_1) | instskip(SKIP_1) | instid1(VALU_DEP_2)
	v_and_or_b32 v5, 0x7f00, v2, 0.5
	v_bfe_i32 v2, v2, 0, 16
	v_dual_add_f32 v5, -0.5, v5 :: v_dual_lshrrev_b32 v4, 4, v3
	v_cmp_gt_u32_e32 vcc_lo, 0x8000000, v3
	s_delay_alu instid0(VALU_DEP_2) | instskip(NEXT) | instid1(VALU_DEP_1)
	v_or_b32_e32 v4, 0x70000000, v4
	v_mul_f32_e32 v4, 0x7800000, v4
	s_delay_alu instid0(VALU_DEP_1) | instskip(NEXT) | instid1(VALU_DEP_1)
	v_cndmask_b32_e32 v3, v4, v5, vcc_lo
	v_and_or_b32 v2, 0x80000000, v2, v3
	s_delay_alu instid0(VALU_DEP_1)
	v_cvt_i32_f32_e32 v23, v2
.LBB22_2862:
	s_mov_b32 s5, -1
	s_mov_b32 s4, 0
	s_cbranch_execnz .LBB22_2873
.LBB22_2863:
	s_cmp_gt_i32 s0, 14
	s_cbranch_scc0 .LBB22_2866
; %bb.2864:
	s_cmp_eq_u32 s0, 15
	s_cbranch_scc0 .LBB22_2869
; %bb.2865:
	global_load_u16 v2, v[0:1], off
	s_mov_b32 s1, 0
	s_mov_b32 s5, -1
	s_wait_loadcnt 0x0
	v_lshlrev_b32_e32 v2, 16, v2
	s_delay_alu instid0(VALU_DEP_1)
	v_cvt_i32_f32_e32 v23, v2
	s_branch .LBB22_2871
.LBB22_2866:
	s_mov_b32 s4, -1
	s_branch .LBB22_2870
.LBB22_2867:
	s_and_not1_saveexec_b32 s4, s4
	s_cbranch_execz .LBB22_2849
.LBB22_2868:
	v_cmp_ne_u16_e32 vcc_lo, 0, v2
	s_and_not1_b32 s5, s5, exec_lo
	s_and_b32 s6, vcc_lo, exec_lo
	s_delay_alu instid0(SALU_CYCLE_1)
	s_or_b32 s5, s5, s6
	s_or_b32 exec_lo, exec_lo, s4
	v_mov_b32_e32 v23, 0
	s_and_saveexec_b32 s4, s5
	s_cbranch_execnz .LBB22_2850
	s_branch .LBB22_2851
.LBB22_2869:
	s_mov_b32 s1, -1
.LBB22_2870:
                                        ; implicit-def: $vgpr23
.LBB22_2871:
	s_and_b32 vcc_lo, exec_lo, s4
	s_mov_b32 s4, 0
	s_cbranch_vccz .LBB22_2873
; %bb.2872:
	s_cmp_lg_u32 s0, 11
	s_mov_b32 s4, -1
	s_cselect_b32 s1, -1, 0
.LBB22_2873:
	s_delay_alu instid0(SALU_CYCLE_1)
	s_and_b32 vcc_lo, exec_lo, s1
	s_mov_b32 s38, s36
	s_cbranch_vccnz .LBB22_2934
; %bb.2874:
	s_and_not1_b32 vcc_lo, exec_lo, s4
	s_cbranch_vccnz .LBB22_2876
.LBB22_2875:
	global_load_u8 v2, v[0:1], off
	s_mov_b32 s5, -1
	s_wait_loadcnt 0x0
	v_cmp_ne_u16_e32 vcc_lo, 0, v2
	v_cndmask_b32_e64 v23, 0, 1, vcc_lo
.LBB22_2876:
	s_branch .LBB22_2812
.LBB22_2877:
	s_and_b32 s0, 0xffff, s34
	s_delay_alu instid0(SALU_CYCLE_1)
	s_cmp_lt_i32 s0, 5
	s_cbranch_scc1 .LBB22_2882
; %bb.2878:
	s_cmp_lt_i32 s0, 8
	s_cbranch_scc1 .LBB22_2883
; %bb.2879:
	;; [unrolled: 3-line block ×3, first 2 shown]
	s_cmp_gt_i32 s0, 9
	s_cbranch_scc0 .LBB22_2885
; %bb.2881:
	global_load_b64 v[2:3], v[0:1], off
	s_mov_b32 s1, 0
	s_wait_loadcnt 0x0
	v_cvt_i32_f64_e32 v23, v[2:3]
	s_branch .LBB22_2886
.LBB22_2882:
                                        ; implicit-def: $vgpr23
	s_branch .LBB22_2903
.LBB22_2883:
                                        ; implicit-def: $vgpr23
	s_branch .LBB22_2892
.LBB22_2884:
	s_mov_b32 s1, -1
                                        ; implicit-def: $vgpr23
	s_branch .LBB22_2889
.LBB22_2885:
	s_mov_b32 s1, -1
                                        ; implicit-def: $vgpr23
.LBB22_2886:
	s_delay_alu instid0(SALU_CYCLE_1)
	s_and_not1_b32 vcc_lo, exec_lo, s1
	s_cbranch_vccnz .LBB22_2888
; %bb.2887:
	global_load_b32 v2, v[0:1], off
	s_wait_loadcnt 0x0
	v_cvt_i32_f32_e32 v23, v2
.LBB22_2888:
	s_mov_b32 s1, 0
.LBB22_2889:
	s_delay_alu instid0(SALU_CYCLE_1)
	s_and_not1_b32 vcc_lo, exec_lo, s1
	s_cbranch_vccnz .LBB22_2891
; %bb.2890:
	global_load_b32 v2, v[0:1], off
	s_wait_loadcnt 0x0
	v_cvt_f32_f16_e32 v2, v2
	s_delay_alu instid0(VALU_DEP_1)
	v_cvt_i32_f32_e32 v23, v2
.LBB22_2891:
	s_cbranch_execnz .LBB22_2902
.LBB22_2892:
	s_cmp_lt_i32 s0, 6
	s_cbranch_scc1 .LBB22_2895
; %bb.2893:
	s_cmp_gt_i32 s0, 6
	s_cbranch_scc0 .LBB22_2896
; %bb.2894:
	global_load_b64 v[2:3], v[0:1], off
	s_mov_b32 s1, 0
	s_wait_loadcnt 0x0
	v_cvt_i32_f64_e32 v23, v[2:3]
	s_branch .LBB22_2897
.LBB22_2895:
	s_mov_b32 s1, -1
                                        ; implicit-def: $vgpr23
	s_branch .LBB22_2900
.LBB22_2896:
	s_mov_b32 s1, -1
                                        ; implicit-def: $vgpr23
.LBB22_2897:
	s_delay_alu instid0(SALU_CYCLE_1)
	s_and_not1_b32 vcc_lo, exec_lo, s1
	s_cbranch_vccnz .LBB22_2899
; %bb.2898:
	global_load_b32 v2, v[0:1], off
	s_wait_loadcnt 0x0
	v_cvt_i32_f32_e32 v23, v2
.LBB22_2899:
	s_mov_b32 s1, 0
.LBB22_2900:
	s_delay_alu instid0(SALU_CYCLE_1)
	s_and_not1_b32 vcc_lo, exec_lo, s1
	s_cbranch_vccnz .LBB22_2902
; %bb.2901:
	global_load_u16 v2, v[0:1], off
	s_wait_loadcnt 0x0
	v_cvt_f32_f16_e32 v2, v2
	s_delay_alu instid0(VALU_DEP_1)
	v_cvt_i32_f32_e32 v23, v2
.LBB22_2902:
	s_cbranch_execnz .LBB22_2921
.LBB22_2903:
	s_cmp_lt_i32 s0, 2
	s_cbranch_scc1 .LBB22_2907
; %bb.2904:
	s_cmp_lt_i32 s0, 3
	s_cbranch_scc1 .LBB22_2908
; %bb.2905:
	s_cmp_gt_i32 s0, 3
	s_cbranch_scc0 .LBB22_2909
; %bb.2906:
	s_wait_loadcnt 0x0
	global_load_b32 v23, v[0:1], off
	s_mov_b32 s1, 0
	s_branch .LBB22_2910
.LBB22_2907:
                                        ; implicit-def: $vgpr23
	s_branch .LBB22_2916
.LBB22_2908:
	s_mov_b32 s1, -1
                                        ; implicit-def: $vgpr23
	s_branch .LBB22_2913
.LBB22_2909:
	s_mov_b32 s1, -1
                                        ; implicit-def: $vgpr23
.LBB22_2910:
	s_delay_alu instid0(SALU_CYCLE_1)
	s_and_not1_b32 vcc_lo, exec_lo, s1
	s_cbranch_vccnz .LBB22_2912
; %bb.2911:
	s_wait_loadcnt 0x0
	global_load_b32 v23, v[0:1], off
.LBB22_2912:
	s_mov_b32 s1, 0
.LBB22_2913:
	s_delay_alu instid0(SALU_CYCLE_1)
	s_and_not1_b32 vcc_lo, exec_lo, s1
	s_cbranch_vccnz .LBB22_2915
; %bb.2914:
	s_wait_loadcnt 0x0
	global_load_i16 v23, v[0:1], off
.LBB22_2915:
	s_cbranch_execnz .LBB22_2921
.LBB22_2916:
	s_cmp_gt_i32 s0, 0
	s_mov_b32 s0, 0
	s_cbranch_scc0 .LBB22_2918
; %bb.2917:
	s_wait_loadcnt 0x0
	global_load_i8 v23, v[0:1], off
	s_branch .LBB22_2919
.LBB22_2918:
	s_mov_b32 s0, -1
                                        ; implicit-def: $vgpr23
.LBB22_2919:
	s_delay_alu instid0(SALU_CYCLE_1)
	s_and_not1_b32 vcc_lo, exec_lo, s0
	s_cbranch_vccnz .LBB22_2921
; %bb.2920:
	s_wait_loadcnt 0x0
	global_load_u8 v23, v[0:1], off
.LBB22_2921:
.LBB22_2922:
	s_wait_xcnt 0x0
	v_mov_b32_e32 v0, 0
	s_clause 0x1
	s_load_b32 s61, s[24:25], 0x38
	s_load_b64 s[10:11], s[24:25], 0x10
	global_load_u8 v2, v0, s[24:25] offset:242
	s_wait_kmcnt 0x0
	v_mul_lo_u32 v0, s61, v22
	s_delay_alu instid0(VALU_DEP_1) | instskip(NEXT) | instid1(VALU_DEP_1)
	v_ashrrev_i32_e32 v1, 31, v0
	v_add_nc_u64_e32 v[0:1], s[10:11], v[0:1]
	s_wait_loadcnt 0x0
	v_and_b32_e32 v3, 0xffff, v2
	v_readfirstlane_b32 s35, v2
	s_delay_alu instid0(VALU_DEP_2)
	v_cmp_gt_i32_e32 vcc_lo, 11, v3
	s_cbranch_vccnz .LBB22_2929
; %bb.2923:
	s_and_b32 s0, 0xffff, s35
	s_mov_b32 s4, 0
	s_cmp_gt_i32 s0, 25
	s_cbranch_scc0 .LBB22_2931
; %bb.2924:
	s_cmp_gt_i32 s0, 28
	s_cbranch_scc0 .LBB22_2932
; %bb.2925:
	;; [unrolled: 3-line block ×4, first 2 shown]
	s_cmp_eq_u32 s0, 46
	s_mov_b32 s6, 0
	s_cbranch_scc0 .LBB22_2936
; %bb.2928:
	global_load_b32 v2, v[0:1], off
	s_mov_b32 s1, 0
	s_mov_b32 s5, -1
	s_wait_loadcnt 0x0
	v_lshlrev_b32_e32 v2, 16, v2
	s_delay_alu instid0(VALU_DEP_1)
	v_cvt_i32_f32_e32 v24, v2
	s_branch .LBB22_2938
.LBB22_2929:
	s_mov_b32 s5, 0
                                        ; implicit-def: $vgpr24
	s_cbranch_execnz .LBB22_2999
.LBB22_2930:
	s_and_not1_b32 vcc_lo, exec_lo, s5
	s_cbranch_vccnz .LBB22_3434
	s_branch .LBB22_3046
.LBB22_2931:
	s_mov_b32 s5, 0
	s_mov_b32 s1, 0
                                        ; implicit-def: $vgpr24
	s_cbranch_execnz .LBB22_2965
	s_branch .LBB22_2995
.LBB22_2932:
	s_mov_b32 s6, -1
	s_mov_b32 s5, 0
	s_mov_b32 s1, 0
                                        ; implicit-def: $vgpr24
	s_branch .LBB22_2948
.LBB22_2933:
	s_mov_b32 s6, -1
	s_mov_b32 s5, 0
	s_mov_b32 s1, 0
                                        ; implicit-def: $vgpr24
	s_branch .LBB22_2943
.LBB22_2934:
	s_or_b32 s38, s36, exec_lo
	s_trap 2
	s_cbranch_execz .LBB22_2875
	s_branch .LBB22_2876
.LBB22_2935:
	s_mov_b32 s6, -1
	s_mov_b32 s5, 0
	s_mov_b32 s1, 0
	s_branch .LBB22_2937
.LBB22_2936:
	s_mov_b32 s1, -1
	s_mov_b32 s5, 0
.LBB22_2937:
                                        ; implicit-def: $vgpr24
.LBB22_2938:
	s_and_b32 vcc_lo, exec_lo, s6
	s_cbranch_vccz .LBB22_2942
; %bb.2939:
	s_cmp_eq_u32 s0, 44
	s_cbranch_scc0 .LBB22_2941
; %bb.2940:
	global_load_u8 v2, v[0:1], off
	s_mov_b32 s1, 0
	s_mov_b32 s5, -1
	s_wait_loadcnt 0x0
	v_lshlrev_b32_e32 v3, 23, v2
	v_cmp_ne_u32_e32 vcc_lo, 0, v2
	s_delay_alu instid0(VALU_DEP_2) | instskip(NEXT) | instid1(VALU_DEP_1)
	v_cvt_i32_f32_e32 v3, v3
	v_cndmask_b32_e32 v24, 0, v3, vcc_lo
	s_branch .LBB22_2942
.LBB22_2941:
	s_mov_b32 s1, -1
                                        ; implicit-def: $vgpr24
.LBB22_2942:
	s_mov_b32 s6, 0
.LBB22_2943:
	s_delay_alu instid0(SALU_CYCLE_1)
	s_and_b32 vcc_lo, exec_lo, s6
	s_cbranch_vccz .LBB22_2947
; %bb.2944:
	s_cmp_eq_u32 s0, 29
	s_cbranch_scc0 .LBB22_2946
; %bb.2945:
	global_load_b32 v24, v[0:1], off
	s_mov_b32 s1, 0
	s_mov_b32 s5, -1
	s_branch .LBB22_2947
.LBB22_2946:
	s_mov_b32 s1, -1
                                        ; implicit-def: $vgpr24
.LBB22_2947:
	s_mov_b32 s6, 0
.LBB22_2948:
	s_delay_alu instid0(SALU_CYCLE_1)
	s_and_b32 vcc_lo, exec_lo, s6
	s_cbranch_vccz .LBB22_2964
; %bb.2949:
	s_cmp_lt_i32 s0, 27
	s_cbranch_scc1 .LBB22_2952
; %bb.2950:
	s_cmp_gt_i32 s0, 27
	s_cbranch_scc0 .LBB22_2953
; %bb.2951:
	s_wait_loadcnt 0x0
	global_load_b32 v24, v[0:1], off
	s_mov_b32 s5, 0
	s_branch .LBB22_2954
.LBB22_2952:
	s_mov_b32 s5, -1
                                        ; implicit-def: $vgpr24
	s_branch .LBB22_2957
.LBB22_2953:
	s_mov_b32 s5, -1
                                        ; implicit-def: $vgpr24
.LBB22_2954:
	s_delay_alu instid0(SALU_CYCLE_1)
	s_and_not1_b32 vcc_lo, exec_lo, s5
	s_cbranch_vccnz .LBB22_2956
; %bb.2955:
	s_wait_loadcnt 0x0
	global_load_u16 v24, v[0:1], off
.LBB22_2956:
	s_mov_b32 s5, 0
.LBB22_2957:
	s_delay_alu instid0(SALU_CYCLE_1)
	s_and_not1_b32 vcc_lo, exec_lo, s5
	s_cbranch_vccnz .LBB22_2963
; %bb.2958:
	global_load_u8 v2, v[0:1], off
	s_mov_b32 s6, 0
	s_mov_b32 s5, exec_lo
	s_wait_loadcnt 0x0
	v_cmpx_lt_i16_e32 0x7f, v2
	s_xor_b32 s5, exec_lo, s5
	s_cbranch_execz .LBB22_2974
; %bb.2959:
	v_cmp_ne_u16_e32 vcc_lo, 0x80, v2
	s_and_b32 s6, vcc_lo, exec_lo
	s_and_not1_saveexec_b32 s5, s5
	s_cbranch_execnz .LBB22_2975
.LBB22_2960:
	s_or_b32 exec_lo, exec_lo, s5
	v_mov_b32_e32 v24, 0
	s_and_saveexec_b32 s5, s6
	s_cbranch_execz .LBB22_2962
.LBB22_2961:
	v_and_b32_e32 v3, 0xffff, v2
	s_delay_alu instid0(VALU_DEP_1) | instskip(SKIP_1) | instid1(VALU_DEP_2)
	v_and_b32_e32 v4, 7, v3
	v_bfe_u32 v7, v3, 3, 4
	v_clz_i32_u32_e32 v5, v4
	s_delay_alu instid0(VALU_DEP_2) | instskip(NEXT) | instid1(VALU_DEP_2)
	v_cmp_eq_u32_e32 vcc_lo, 0, v7
	v_min_u32_e32 v5, 32, v5
	s_delay_alu instid0(VALU_DEP_1) | instskip(NEXT) | instid1(VALU_DEP_1)
	v_subrev_nc_u32_e32 v6, 28, v5
	v_dual_lshlrev_b32 v3, v6, v3 :: v_dual_sub_nc_u32 v5, 29, v5
	s_delay_alu instid0(VALU_DEP_1) | instskip(NEXT) | instid1(VALU_DEP_1)
	v_dual_lshlrev_b32 v2, 24, v2 :: v_dual_bitop2_b32 v3, 7, v3 bitop3:0x40
	v_dual_cndmask_b32 v5, v7, v5, vcc_lo :: v_dual_cndmask_b32 v3, v4, v3, vcc_lo
	s_delay_alu instid0(VALU_DEP_2) | instskip(NEXT) | instid1(VALU_DEP_2)
	v_and_b32_e32 v2, 0x80000000, v2
	v_lshl_add_u32 v4, v5, 23, 0x3b800000
	s_delay_alu instid0(VALU_DEP_3) | instskip(NEXT) | instid1(VALU_DEP_1)
	v_lshlrev_b32_e32 v3, 20, v3
	v_or3_b32 v2, v2, v4, v3
	s_delay_alu instid0(VALU_DEP_1)
	v_cvt_i32_f32_e32 v24, v2
.LBB22_2962:
	s_or_b32 exec_lo, exec_lo, s5
.LBB22_2963:
	s_mov_b32 s5, -1
.LBB22_2964:
	s_branch .LBB22_2995
.LBB22_2965:
	s_cmp_gt_i32 s0, 22
	s_cbranch_scc0 .LBB22_2973
; %bb.2966:
	s_cmp_lt_i32 s0, 24
	s_cbranch_scc1 .LBB22_2976
; %bb.2967:
	s_cmp_gt_i32 s0, 24
	s_cbranch_scc0 .LBB22_2977
; %bb.2968:
	global_load_u8 v2, v[0:1], off
	s_mov_b32 s5, 0
	s_mov_b32 s4, exec_lo
	s_wait_loadcnt 0x0
	v_cmpx_lt_i16_e32 0x7f, v2
	s_xor_b32 s4, exec_lo, s4
	s_cbranch_execz .LBB22_2989
; %bb.2969:
	v_cmp_ne_u16_e32 vcc_lo, 0x80, v2
	s_and_b32 s5, vcc_lo, exec_lo
	s_and_not1_saveexec_b32 s4, s4
	s_cbranch_execnz .LBB22_2990
.LBB22_2970:
	s_or_b32 exec_lo, exec_lo, s4
	v_mov_b32_e32 v24, 0
	s_and_saveexec_b32 s4, s5
	s_cbranch_execz .LBB22_2972
.LBB22_2971:
	v_and_b32_e32 v3, 0xffff, v2
	s_delay_alu instid0(VALU_DEP_1) | instskip(SKIP_1) | instid1(VALU_DEP_2)
	v_and_b32_e32 v4, 3, v3
	v_bfe_u32 v7, v3, 2, 5
	v_clz_i32_u32_e32 v5, v4
	s_delay_alu instid0(VALU_DEP_2) | instskip(NEXT) | instid1(VALU_DEP_2)
	v_cmp_eq_u32_e32 vcc_lo, 0, v7
	v_min_u32_e32 v5, 32, v5
	s_delay_alu instid0(VALU_DEP_1) | instskip(NEXT) | instid1(VALU_DEP_1)
	v_subrev_nc_u32_e32 v6, 29, v5
	v_dual_lshlrev_b32 v3, v6, v3 :: v_dual_sub_nc_u32 v5, 30, v5
	s_delay_alu instid0(VALU_DEP_1) | instskip(NEXT) | instid1(VALU_DEP_1)
	v_dual_lshlrev_b32 v2, 24, v2 :: v_dual_bitop2_b32 v3, 3, v3 bitop3:0x40
	v_dual_cndmask_b32 v5, v7, v5, vcc_lo :: v_dual_cndmask_b32 v3, v4, v3, vcc_lo
	s_delay_alu instid0(VALU_DEP_2) | instskip(NEXT) | instid1(VALU_DEP_2)
	v_and_b32_e32 v2, 0x80000000, v2
	v_lshl_add_u32 v4, v5, 23, 0x37800000
	s_delay_alu instid0(VALU_DEP_3) | instskip(NEXT) | instid1(VALU_DEP_1)
	v_lshlrev_b32_e32 v3, 21, v3
	v_or3_b32 v2, v2, v4, v3
	s_delay_alu instid0(VALU_DEP_1)
	v_cvt_i32_f32_e32 v24, v2
.LBB22_2972:
	s_or_b32 exec_lo, exec_lo, s4
	s_mov_b32 s4, 0
	s_branch .LBB22_2978
.LBB22_2973:
	s_mov_b32 s4, -1
                                        ; implicit-def: $vgpr24
	s_branch .LBB22_2984
.LBB22_2974:
	s_and_not1_saveexec_b32 s5, s5
	s_cbranch_execz .LBB22_2960
.LBB22_2975:
	v_cmp_ne_u16_e32 vcc_lo, 0, v2
	s_and_not1_b32 s6, s6, exec_lo
	s_and_b32 s7, vcc_lo, exec_lo
	s_delay_alu instid0(SALU_CYCLE_1)
	s_or_b32 s6, s6, s7
	s_or_b32 exec_lo, exec_lo, s5
	v_mov_b32_e32 v24, 0
	s_and_saveexec_b32 s5, s6
	s_cbranch_execnz .LBB22_2961
	s_branch .LBB22_2962
.LBB22_2976:
	s_mov_b32 s4, -1
                                        ; implicit-def: $vgpr24
	s_branch .LBB22_2981
.LBB22_2977:
	s_mov_b32 s4, -1
                                        ; implicit-def: $vgpr24
.LBB22_2978:
	s_delay_alu instid0(SALU_CYCLE_1)
	s_and_b32 vcc_lo, exec_lo, s4
	s_cbranch_vccz .LBB22_2980
; %bb.2979:
	global_load_u8 v2, v[0:1], off
	s_wait_loadcnt 0x0
	v_lshlrev_b32_e32 v2, 24, v2
	s_delay_alu instid0(VALU_DEP_1) | instskip(NEXT) | instid1(VALU_DEP_1)
	v_and_b32_e32 v3, 0x7f000000, v2
	v_clz_i32_u32_e32 v4, v3
	v_cmp_ne_u32_e32 vcc_lo, 0, v3
	v_add_nc_u32_e32 v6, 0x1000000, v3
	s_delay_alu instid0(VALU_DEP_3) | instskip(NEXT) | instid1(VALU_DEP_1)
	v_min_u32_e32 v4, 32, v4
	v_sub_nc_u32_e64 v4, v4, 4 clamp
	s_delay_alu instid0(VALU_DEP_1) | instskip(NEXT) | instid1(VALU_DEP_1)
	v_dual_lshlrev_b32 v5, v4, v3 :: v_dual_lshlrev_b32 v4, 23, v4
	v_lshrrev_b32_e32 v5, 4, v5
	s_delay_alu instid0(VALU_DEP_1) | instskip(NEXT) | instid1(VALU_DEP_1)
	v_dual_sub_nc_u32 v4, v5, v4 :: v_dual_ashrrev_i32 v5, 8, v6
	v_add_nc_u32_e32 v4, 0x3c000000, v4
	s_delay_alu instid0(VALU_DEP_1) | instskip(NEXT) | instid1(VALU_DEP_1)
	v_and_or_b32 v4, 0x7f800000, v5, v4
	v_cndmask_b32_e32 v3, 0, v4, vcc_lo
	s_delay_alu instid0(VALU_DEP_1) | instskip(NEXT) | instid1(VALU_DEP_1)
	v_and_or_b32 v2, 0x80000000, v2, v3
	v_cvt_i32_f32_e32 v24, v2
.LBB22_2980:
	s_mov_b32 s4, 0
.LBB22_2981:
	s_delay_alu instid0(SALU_CYCLE_1)
	s_and_not1_b32 vcc_lo, exec_lo, s4
	s_cbranch_vccnz .LBB22_2983
; %bb.2982:
	global_load_u8 v2, v[0:1], off
	s_wait_loadcnt 0x0
	v_lshlrev_b32_e32 v3, 25, v2
	v_lshlrev_b16 v2, 8, v2
	s_delay_alu instid0(VALU_DEP_1) | instskip(SKIP_1) | instid1(VALU_DEP_2)
	v_and_or_b32 v5, 0x7f00, v2, 0.5
	v_bfe_i32 v2, v2, 0, 16
	v_dual_add_f32 v5, -0.5, v5 :: v_dual_lshrrev_b32 v4, 4, v3
	v_cmp_gt_u32_e32 vcc_lo, 0x8000000, v3
	s_delay_alu instid0(VALU_DEP_2) | instskip(NEXT) | instid1(VALU_DEP_1)
	v_or_b32_e32 v4, 0x70000000, v4
	v_mul_f32_e32 v4, 0x7800000, v4
	s_delay_alu instid0(VALU_DEP_1) | instskip(NEXT) | instid1(VALU_DEP_1)
	v_cndmask_b32_e32 v3, v4, v5, vcc_lo
	v_and_or_b32 v2, 0x80000000, v2, v3
	s_delay_alu instid0(VALU_DEP_1)
	v_cvt_i32_f32_e32 v24, v2
.LBB22_2983:
	s_mov_b32 s4, 0
	s_mov_b32 s5, -1
.LBB22_2984:
	s_and_not1_b32 vcc_lo, exec_lo, s4
	s_mov_b32 s4, 0
	s_cbranch_vccnz .LBB22_2995
; %bb.2985:
	s_cmp_gt_i32 s0, 14
	s_cbranch_scc0 .LBB22_2988
; %bb.2986:
	s_cmp_eq_u32 s0, 15
	s_cbranch_scc0 .LBB22_2991
; %bb.2987:
	global_load_u16 v2, v[0:1], off
	s_mov_b32 s1, 0
	s_mov_b32 s5, -1
	s_wait_loadcnt 0x0
	v_lshlrev_b32_e32 v2, 16, v2
	s_delay_alu instid0(VALU_DEP_1)
	v_cvt_i32_f32_e32 v24, v2
	s_branch .LBB22_2993
.LBB22_2988:
	s_mov_b32 s4, -1
	s_branch .LBB22_2992
.LBB22_2989:
	s_and_not1_saveexec_b32 s4, s4
	s_cbranch_execz .LBB22_2970
.LBB22_2990:
	v_cmp_ne_u16_e32 vcc_lo, 0, v2
	s_and_not1_b32 s5, s5, exec_lo
	s_and_b32 s6, vcc_lo, exec_lo
	s_delay_alu instid0(SALU_CYCLE_1)
	s_or_b32 s5, s5, s6
	s_or_b32 exec_lo, exec_lo, s4
	v_mov_b32_e32 v24, 0
	s_and_saveexec_b32 s4, s5
	s_cbranch_execnz .LBB22_2971
	s_branch .LBB22_2972
.LBB22_2991:
	s_mov_b32 s1, -1
.LBB22_2992:
                                        ; implicit-def: $vgpr24
.LBB22_2993:
	s_and_b32 vcc_lo, exec_lo, s4
	s_mov_b32 s4, 0
	s_cbranch_vccz .LBB22_2995
; %bb.2994:
	s_cmp_lg_u32 s0, 11
	s_mov_b32 s4, -1
	s_cselect_b32 s1, -1, 0
.LBB22_2995:
	s_delay_alu instid0(SALU_CYCLE_1)
	s_and_b32 vcc_lo, exec_lo, s1
	s_cbranch_vccnz .LBB22_3058
; %bb.2996:
	s_and_not1_b32 vcc_lo, exec_lo, s4
	s_cbranch_vccnz .LBB22_2998
.LBB22_2997:
	global_load_u8 v2, v[0:1], off
	s_mov_b32 s5, -1
	s_wait_loadcnt 0x0
	v_cmp_ne_u16_e32 vcc_lo, 0, v2
	v_cndmask_b32_e64 v24, 0, 1, vcc_lo
.LBB22_2998:
	s_branch .LBB22_2930
.LBB22_2999:
	s_and_b32 s0, 0xffff, s35
	s_delay_alu instid0(SALU_CYCLE_1)
	s_cmp_lt_i32 s0, 5
	s_cbranch_scc1 .LBB22_3004
; %bb.3000:
	s_cmp_lt_i32 s0, 8
	s_cbranch_scc1 .LBB22_3005
; %bb.3001:
	;; [unrolled: 3-line block ×3, first 2 shown]
	s_cmp_gt_i32 s0, 9
	s_cbranch_scc0 .LBB22_3007
; %bb.3003:
	global_load_b64 v[2:3], v[0:1], off
	s_mov_b32 s1, 0
	s_wait_loadcnt 0x0
	v_cvt_i32_f64_e32 v24, v[2:3]
	s_branch .LBB22_3008
.LBB22_3004:
                                        ; implicit-def: $vgpr24
	s_branch .LBB22_3026
.LBB22_3005:
	s_mov_b32 s1, -1
                                        ; implicit-def: $vgpr24
	s_branch .LBB22_3014
.LBB22_3006:
	s_mov_b32 s1, -1
                                        ; implicit-def: $vgpr24
	s_branch .LBB22_3011
.LBB22_3007:
	s_mov_b32 s1, -1
                                        ; implicit-def: $vgpr24
.LBB22_3008:
	s_delay_alu instid0(SALU_CYCLE_1)
	s_and_not1_b32 vcc_lo, exec_lo, s1
	s_cbranch_vccnz .LBB22_3010
; %bb.3009:
	global_load_b32 v2, v[0:1], off
	s_wait_loadcnt 0x0
	v_cvt_i32_f32_e32 v24, v2
.LBB22_3010:
	s_mov_b32 s1, 0
.LBB22_3011:
	s_delay_alu instid0(SALU_CYCLE_1)
	s_and_not1_b32 vcc_lo, exec_lo, s1
	s_cbranch_vccnz .LBB22_3013
; %bb.3012:
	global_load_b32 v2, v[0:1], off
	s_wait_loadcnt 0x0
	v_cvt_f32_f16_e32 v2, v2
	s_delay_alu instid0(VALU_DEP_1)
	v_cvt_i32_f32_e32 v24, v2
.LBB22_3013:
	s_mov_b32 s1, 0
.LBB22_3014:
	s_delay_alu instid0(SALU_CYCLE_1)
	s_and_not1_b32 vcc_lo, exec_lo, s1
	s_cbranch_vccnz .LBB22_3025
; %bb.3015:
	s_cmp_lt_i32 s0, 6
	s_cbranch_scc1 .LBB22_3018
; %bb.3016:
	s_cmp_gt_i32 s0, 6
	s_cbranch_scc0 .LBB22_3019
; %bb.3017:
	global_load_b64 v[2:3], v[0:1], off
	s_mov_b32 s1, 0
	s_wait_loadcnt 0x0
	v_cvt_i32_f64_e32 v24, v[2:3]
	s_branch .LBB22_3020
.LBB22_3018:
	s_mov_b32 s1, -1
                                        ; implicit-def: $vgpr24
	s_branch .LBB22_3023
.LBB22_3019:
	s_mov_b32 s1, -1
                                        ; implicit-def: $vgpr24
.LBB22_3020:
	s_delay_alu instid0(SALU_CYCLE_1)
	s_and_not1_b32 vcc_lo, exec_lo, s1
	s_cbranch_vccnz .LBB22_3022
; %bb.3021:
	global_load_b32 v2, v[0:1], off
	s_wait_loadcnt 0x0
	v_cvt_i32_f32_e32 v24, v2
.LBB22_3022:
	s_mov_b32 s1, 0
.LBB22_3023:
	s_delay_alu instid0(SALU_CYCLE_1)
	s_and_not1_b32 vcc_lo, exec_lo, s1
	s_cbranch_vccnz .LBB22_3025
; %bb.3024:
	global_load_u16 v2, v[0:1], off
	s_wait_loadcnt 0x0
	v_cvt_f32_f16_e32 v2, v2
	s_delay_alu instid0(VALU_DEP_1)
	v_cvt_i32_f32_e32 v24, v2
.LBB22_3025:
	s_cbranch_execnz .LBB22_3045
.LBB22_3026:
	s_cmp_lt_i32 s0, 2
	s_cbranch_scc1 .LBB22_3030
; %bb.3027:
	s_cmp_lt_i32 s0, 3
	s_cbranch_scc1 .LBB22_3031
; %bb.3028:
	s_cmp_gt_i32 s0, 3
	s_cbranch_scc0 .LBB22_3032
; %bb.3029:
	s_wait_loadcnt 0x0
	global_load_b32 v24, v[0:1], off
	s_mov_b32 s1, 0
	s_branch .LBB22_3033
.LBB22_3030:
	s_mov_b32 s1, -1
                                        ; implicit-def: $vgpr24
	s_branch .LBB22_3039
.LBB22_3031:
	s_mov_b32 s1, -1
                                        ; implicit-def: $vgpr24
	s_branch .LBB22_3036
.LBB22_3032:
	s_mov_b32 s1, -1
                                        ; implicit-def: $vgpr24
.LBB22_3033:
	s_delay_alu instid0(SALU_CYCLE_1)
	s_and_not1_b32 vcc_lo, exec_lo, s1
	s_cbranch_vccnz .LBB22_3035
; %bb.3034:
	s_wait_loadcnt 0x0
	global_load_b32 v24, v[0:1], off
.LBB22_3035:
	s_mov_b32 s1, 0
.LBB22_3036:
	s_delay_alu instid0(SALU_CYCLE_1)
	s_and_not1_b32 vcc_lo, exec_lo, s1
	s_cbranch_vccnz .LBB22_3038
; %bb.3037:
	s_wait_loadcnt 0x0
	global_load_i16 v24, v[0:1], off
.LBB22_3038:
	s_mov_b32 s1, 0
.LBB22_3039:
	s_delay_alu instid0(SALU_CYCLE_1)
	s_and_not1_b32 vcc_lo, exec_lo, s1
	s_cbranch_vccnz .LBB22_3045
; %bb.3040:
	s_cmp_gt_i32 s0, 0
	s_mov_b32 s0, 0
	s_cbranch_scc0 .LBB22_3042
; %bb.3041:
	s_wait_loadcnt 0x0
	global_load_i8 v24, v[0:1], off
	s_branch .LBB22_3043
.LBB22_3042:
	s_mov_b32 s0, -1
                                        ; implicit-def: $vgpr24
.LBB22_3043:
	s_delay_alu instid0(SALU_CYCLE_1)
	s_and_not1_b32 vcc_lo, exec_lo, s0
	s_cbranch_vccnz .LBB22_3045
; %bb.3044:
	s_wait_loadcnt 0x0
	global_load_u8 v24, v[0:1], off
.LBB22_3045:
.LBB22_3046:
	s_wait_xcnt 0x0
	v_mov_b32_e32 v0, 0
	s_clause 0x1
	s_load_b32 s62, s[24:25], 0x3c
	s_load_b64 s[12:13], s[24:25], 0x18
	global_load_u8 v4, v0, s[24:25] offset:243
	s_wait_kmcnt 0x0
	v_mul_lo_u32 v0, s62, v22
	s_delay_alu instid0(VALU_DEP_1) | instskip(SKIP_3) | instid1(VALU_DEP_2)
	v_ashrrev_i32_e32 v1, 31, v0
	s_wait_loadcnt 0x0
	v_and_b32_e32 v2, 0xffff, v4
	v_readfirstlane_b32 s48, v4
	v_cmp_gt_i32_e32 vcc_lo, 11, v2
	v_add_nc_u64_e32 v[2:3], s[12:13], v[0:1]
	s_cbranch_vccnz .LBB22_3053
; %bb.3047:
	s_and_b32 s0, 0xffff, s48
	s_mov_b32 s4, 0
	s_cmp_gt_i32 s0, 25
	s_cbranch_scc0 .LBB22_3055
; %bb.3048:
	s_cmp_gt_i32 s0, 28
	s_cbranch_scc0 .LBB22_3056
; %bb.3049:
	;; [unrolled: 3-line block ×4, first 2 shown]
	s_cmp_eq_u32 s0, 46
	s_mov_b32 s6, 0
	s_cbranch_scc0 .LBB22_3060
; %bb.3052:
	global_load_b32 v0, v[2:3], off
	s_mov_b32 s1, 0
	s_mov_b32 s5, -1
	s_wait_loadcnt 0x0
	v_lshlrev_b32_e32 v0, 16, v0
	s_delay_alu instid0(VALU_DEP_1)
	v_cvt_i32_f32_e32 v0, v0
	s_branch .LBB22_3062
.LBB22_3053:
	s_mov_b32 s5, 0
                                        ; implicit-def: $vgpr0
	s_cbranch_execnz .LBB22_3124
.LBB22_3054:
	s_and_not1_b32 vcc_lo, exec_lo, s5
	s_cbranch_vccnz .LBB22_3434
	s_branch .LBB22_3172
.LBB22_3055:
	s_mov_b32 s6, -1
	s_mov_b32 s5, 0
	s_mov_b32 s1, 0
                                        ; implicit-def: $vgpr0
	s_branch .LBB22_3089
.LBB22_3056:
	s_mov_b32 s6, -1
	s_mov_b32 s5, 0
	s_mov_b32 s1, 0
                                        ; implicit-def: $vgpr0
	s_branch .LBB22_3072
.LBB22_3057:
	s_mov_b32 s6, -1
	s_mov_b32 s5, 0
	s_mov_b32 s1, 0
                                        ; implicit-def: $vgpr0
	s_branch .LBB22_3067
.LBB22_3058:
	s_or_b32 s38, s38, exec_lo
	s_trap 2
	s_cbranch_execz .LBB22_2997
	s_branch .LBB22_2998
.LBB22_3059:
	s_mov_b32 s6, -1
	s_mov_b32 s5, 0
	s_mov_b32 s1, 0
	s_branch .LBB22_3061
.LBB22_3060:
	s_mov_b32 s1, -1
	s_mov_b32 s5, 0
.LBB22_3061:
                                        ; implicit-def: $vgpr0
.LBB22_3062:
	s_and_b32 vcc_lo, exec_lo, s6
	s_cbranch_vccz .LBB22_3066
; %bb.3063:
	s_cmp_eq_u32 s0, 44
	s_cbranch_scc0 .LBB22_3065
; %bb.3064:
	global_load_u8 v0, v[2:3], off
	s_mov_b32 s1, 0
	s_mov_b32 s5, -1
	s_wait_loadcnt 0x0
	v_lshlrev_b32_e32 v1, 23, v0
	v_cmp_ne_u32_e32 vcc_lo, 0, v0
	s_delay_alu instid0(VALU_DEP_2) | instskip(NEXT) | instid1(VALU_DEP_1)
	v_cvt_i32_f32_e32 v1, v1
	v_cndmask_b32_e32 v0, 0, v1, vcc_lo
	s_branch .LBB22_3066
.LBB22_3065:
	s_mov_b32 s1, -1
                                        ; implicit-def: $vgpr0
.LBB22_3066:
	s_mov_b32 s6, 0
.LBB22_3067:
	s_delay_alu instid0(SALU_CYCLE_1)
	s_and_b32 vcc_lo, exec_lo, s6
	s_cbranch_vccz .LBB22_3071
; %bb.3068:
	s_cmp_eq_u32 s0, 29
	s_cbranch_scc0 .LBB22_3070
; %bb.3069:
	global_load_b32 v0, v[2:3], off
	s_mov_b32 s1, 0
	s_mov_b32 s5, -1
	s_branch .LBB22_3071
.LBB22_3070:
	s_mov_b32 s1, -1
                                        ; implicit-def: $vgpr0
.LBB22_3071:
	s_mov_b32 s6, 0
.LBB22_3072:
	s_delay_alu instid0(SALU_CYCLE_1)
	s_and_b32 vcc_lo, exec_lo, s6
	s_cbranch_vccz .LBB22_3088
; %bb.3073:
	s_cmp_lt_i32 s0, 27
	s_cbranch_scc1 .LBB22_3076
; %bb.3074:
	s_cmp_gt_i32 s0, 27
	s_cbranch_scc0 .LBB22_3077
; %bb.3075:
	s_wait_loadcnt 0x0
	global_load_b32 v0, v[2:3], off
	s_mov_b32 s5, 0
	s_branch .LBB22_3078
.LBB22_3076:
	s_mov_b32 s5, -1
                                        ; implicit-def: $vgpr0
	s_branch .LBB22_3081
.LBB22_3077:
	s_mov_b32 s5, -1
                                        ; implicit-def: $vgpr0
.LBB22_3078:
	s_delay_alu instid0(SALU_CYCLE_1)
	s_and_not1_b32 vcc_lo, exec_lo, s5
	s_cbranch_vccnz .LBB22_3080
; %bb.3079:
	s_wait_loadcnt 0x0
	global_load_u16 v0, v[2:3], off
.LBB22_3080:
	s_mov_b32 s5, 0
.LBB22_3081:
	s_delay_alu instid0(SALU_CYCLE_1)
	s_and_not1_b32 vcc_lo, exec_lo, s5
	s_cbranch_vccnz .LBB22_3087
; %bb.3082:
	global_load_u8 v1, v[2:3], off
	s_mov_b32 s6, 0
	s_mov_b32 s5, exec_lo
	s_wait_loadcnt 0x0
	v_cmpx_lt_i16_e32 0x7f, v1
	s_xor_b32 s5, exec_lo, s5
	s_cbranch_execz .LBB22_3099
; %bb.3083:
	v_cmp_ne_u16_e32 vcc_lo, 0x80, v1
	s_and_b32 s6, vcc_lo, exec_lo
	s_and_not1_saveexec_b32 s5, s5
	s_cbranch_execnz .LBB22_3100
.LBB22_3084:
	s_or_b32 exec_lo, exec_lo, s5
	v_mov_b32_e32 v0, 0
	s_and_saveexec_b32 s5, s6
	s_cbranch_execz .LBB22_3086
.LBB22_3085:
	v_and_b32_e32 v0, 0xffff, v1
	s_delay_alu instid0(VALU_DEP_1) | instskip(SKIP_1) | instid1(VALU_DEP_2)
	v_and_b32_e32 v4, 7, v0
	v_bfe_u32 v7, v0, 3, 4
	v_clz_i32_u32_e32 v5, v4
	s_delay_alu instid0(VALU_DEP_2) | instskip(NEXT) | instid1(VALU_DEP_2)
	v_cmp_eq_u32_e32 vcc_lo, 0, v7
	v_min_u32_e32 v5, 32, v5
	s_delay_alu instid0(VALU_DEP_1) | instskip(NEXT) | instid1(VALU_DEP_1)
	v_subrev_nc_u32_e32 v6, 28, v5
	v_dual_lshlrev_b32 v0, v6, v0 :: v_dual_sub_nc_u32 v5, 29, v5
	s_delay_alu instid0(VALU_DEP_1) | instskip(NEXT) | instid1(VALU_DEP_1)
	v_dual_lshlrev_b32 v1, 24, v1 :: v_dual_bitop2_b32 v0, 7, v0 bitop3:0x40
	v_dual_cndmask_b32 v0, v4, v0 :: v_dual_cndmask_b32 v5, v7, v5
	s_delay_alu instid0(VALU_DEP_2) | instskip(NEXT) | instid1(VALU_DEP_2)
	v_and_b32_e32 v1, 0x80000000, v1
	v_lshlrev_b32_e32 v0, 20, v0
	s_delay_alu instid0(VALU_DEP_3) | instskip(NEXT) | instid1(VALU_DEP_1)
	v_lshl_add_u32 v4, v5, 23, 0x3b800000
	v_or3_b32 v0, v1, v4, v0
	s_delay_alu instid0(VALU_DEP_1)
	v_cvt_i32_f32_e32 v0, v0
.LBB22_3086:
	s_or_b32 exec_lo, exec_lo, s5
.LBB22_3087:
	s_mov_b32 s5, -1
.LBB22_3088:
	s_mov_b32 s6, 0
.LBB22_3089:
	s_delay_alu instid0(SALU_CYCLE_1)
	s_and_b32 vcc_lo, exec_lo, s6
	s_cbranch_vccz .LBB22_3120
; %bb.3090:
	s_cmp_gt_i32 s0, 22
	s_cbranch_scc0 .LBB22_3098
; %bb.3091:
	s_cmp_lt_i32 s0, 24
	s_cbranch_scc1 .LBB22_3101
; %bb.3092:
	s_cmp_gt_i32 s0, 24
	s_cbranch_scc0 .LBB22_3102
; %bb.3093:
	global_load_u8 v1, v[2:3], off
	s_mov_b32 s5, 0
	s_mov_b32 s4, exec_lo
	s_wait_loadcnt 0x0
	v_cmpx_lt_i16_e32 0x7f, v1
	s_xor_b32 s4, exec_lo, s4
	s_cbranch_execz .LBB22_3114
; %bb.3094:
	v_cmp_ne_u16_e32 vcc_lo, 0x80, v1
	s_and_b32 s5, vcc_lo, exec_lo
	s_and_not1_saveexec_b32 s4, s4
	s_cbranch_execnz .LBB22_3115
.LBB22_3095:
	s_or_b32 exec_lo, exec_lo, s4
	v_mov_b32_e32 v0, 0
	s_and_saveexec_b32 s4, s5
	s_cbranch_execz .LBB22_3097
.LBB22_3096:
	v_and_b32_e32 v0, 0xffff, v1
	s_delay_alu instid0(VALU_DEP_1) | instskip(SKIP_1) | instid1(VALU_DEP_2)
	v_and_b32_e32 v4, 3, v0
	v_bfe_u32 v7, v0, 2, 5
	v_clz_i32_u32_e32 v5, v4
	s_delay_alu instid0(VALU_DEP_2) | instskip(NEXT) | instid1(VALU_DEP_2)
	v_cmp_eq_u32_e32 vcc_lo, 0, v7
	v_min_u32_e32 v5, 32, v5
	s_delay_alu instid0(VALU_DEP_1) | instskip(NEXT) | instid1(VALU_DEP_1)
	v_subrev_nc_u32_e32 v6, 29, v5
	v_dual_lshlrev_b32 v0, v6, v0 :: v_dual_sub_nc_u32 v5, 30, v5
	s_delay_alu instid0(VALU_DEP_1) | instskip(NEXT) | instid1(VALU_DEP_1)
	v_dual_lshlrev_b32 v1, 24, v1 :: v_dual_bitop2_b32 v0, 3, v0 bitop3:0x40
	v_dual_cndmask_b32 v0, v4, v0 :: v_dual_cndmask_b32 v5, v7, v5
	s_delay_alu instid0(VALU_DEP_2) | instskip(NEXT) | instid1(VALU_DEP_2)
	v_and_b32_e32 v1, 0x80000000, v1
	v_lshlrev_b32_e32 v0, 21, v0
	s_delay_alu instid0(VALU_DEP_3) | instskip(NEXT) | instid1(VALU_DEP_1)
	v_lshl_add_u32 v4, v5, 23, 0x37800000
	v_or3_b32 v0, v1, v4, v0
	s_delay_alu instid0(VALU_DEP_1)
	v_cvt_i32_f32_e32 v0, v0
.LBB22_3097:
	s_or_b32 exec_lo, exec_lo, s4
	s_mov_b32 s4, 0
	s_branch .LBB22_3103
.LBB22_3098:
	s_mov_b32 s4, -1
                                        ; implicit-def: $vgpr0
	s_branch .LBB22_3109
.LBB22_3099:
	s_and_not1_saveexec_b32 s5, s5
	s_cbranch_execz .LBB22_3084
.LBB22_3100:
	v_cmp_ne_u16_e32 vcc_lo, 0, v1
	s_and_not1_b32 s6, s6, exec_lo
	s_and_b32 s7, vcc_lo, exec_lo
	s_delay_alu instid0(SALU_CYCLE_1)
	s_or_b32 s6, s6, s7
	s_or_b32 exec_lo, exec_lo, s5
	v_mov_b32_e32 v0, 0
	s_and_saveexec_b32 s5, s6
	s_cbranch_execnz .LBB22_3085
	s_branch .LBB22_3086
.LBB22_3101:
	s_mov_b32 s4, -1
                                        ; implicit-def: $vgpr0
	s_branch .LBB22_3106
.LBB22_3102:
	s_mov_b32 s4, -1
                                        ; implicit-def: $vgpr0
.LBB22_3103:
	s_delay_alu instid0(SALU_CYCLE_1)
	s_and_b32 vcc_lo, exec_lo, s4
	s_cbranch_vccz .LBB22_3105
; %bb.3104:
	s_wait_loadcnt 0x0
	global_load_u8 v0, v[2:3], off
	s_wait_loadcnt 0x0
	v_lshlrev_b32_e32 v0, 24, v0
	s_delay_alu instid0(VALU_DEP_1) | instskip(NEXT) | instid1(VALU_DEP_1)
	v_and_b32_e32 v1, 0x7f000000, v0
	v_clz_i32_u32_e32 v4, v1
	v_cmp_ne_u32_e32 vcc_lo, 0, v1
	v_add_nc_u32_e32 v6, 0x1000000, v1
	s_delay_alu instid0(VALU_DEP_3) | instskip(NEXT) | instid1(VALU_DEP_1)
	v_min_u32_e32 v4, 32, v4
	v_sub_nc_u32_e64 v4, v4, 4 clamp
	s_delay_alu instid0(VALU_DEP_1) | instskip(NEXT) | instid1(VALU_DEP_1)
	v_dual_lshlrev_b32 v5, v4, v1 :: v_dual_lshlrev_b32 v4, 23, v4
	v_lshrrev_b32_e32 v5, 4, v5
	s_delay_alu instid0(VALU_DEP_1) | instskip(NEXT) | instid1(VALU_DEP_1)
	v_dual_sub_nc_u32 v4, v5, v4 :: v_dual_ashrrev_i32 v5, 8, v6
	v_add_nc_u32_e32 v4, 0x3c000000, v4
	s_delay_alu instid0(VALU_DEP_1) | instskip(NEXT) | instid1(VALU_DEP_1)
	v_and_or_b32 v4, 0x7f800000, v5, v4
	v_cndmask_b32_e32 v1, 0, v4, vcc_lo
	s_delay_alu instid0(VALU_DEP_1) | instskip(NEXT) | instid1(VALU_DEP_1)
	v_and_or_b32 v0, 0x80000000, v0, v1
	v_cvt_i32_f32_e32 v0, v0
.LBB22_3105:
	s_mov_b32 s4, 0
.LBB22_3106:
	s_delay_alu instid0(SALU_CYCLE_1)
	s_and_not1_b32 vcc_lo, exec_lo, s4
	s_cbranch_vccnz .LBB22_3108
; %bb.3107:
	s_wait_loadcnt 0x0
	global_load_u8 v0, v[2:3], off
	s_wait_loadcnt 0x0
	v_lshlrev_b32_e32 v1, 25, v0
	v_lshlrev_b16 v0, 8, v0
	s_delay_alu instid0(VALU_DEP_1) | instskip(SKIP_1) | instid1(VALU_DEP_2)
	v_and_or_b32 v5, 0x7f00, v0, 0.5
	v_bfe_i32 v0, v0, 0, 16
	v_add_f32_e32 v5, -0.5, v5
	v_lshrrev_b32_e32 v4, 4, v1
	v_cmp_gt_u32_e32 vcc_lo, 0x8000000, v1
	s_delay_alu instid0(VALU_DEP_2) | instskip(NEXT) | instid1(VALU_DEP_1)
	v_or_b32_e32 v4, 0x70000000, v4
	v_mul_f32_e32 v4, 0x7800000, v4
	s_delay_alu instid0(VALU_DEP_1) | instskip(NEXT) | instid1(VALU_DEP_1)
	v_cndmask_b32_e32 v1, v4, v5, vcc_lo
	v_and_or_b32 v0, 0x80000000, v0, v1
	s_delay_alu instid0(VALU_DEP_1)
	v_cvt_i32_f32_e32 v0, v0
.LBB22_3108:
	s_mov_b32 s4, 0
	s_mov_b32 s5, -1
.LBB22_3109:
	s_and_not1_b32 vcc_lo, exec_lo, s4
	s_mov_b32 s4, 0
	s_cbranch_vccnz .LBB22_3120
; %bb.3110:
	s_cmp_gt_i32 s0, 14
	s_cbranch_scc0 .LBB22_3113
; %bb.3111:
	s_cmp_eq_u32 s0, 15
	s_cbranch_scc0 .LBB22_3116
; %bb.3112:
	s_wait_loadcnt 0x0
	global_load_u16 v0, v[2:3], off
	s_mov_b32 s1, 0
	s_mov_b32 s5, -1
	s_wait_loadcnt 0x0
	v_lshlrev_b32_e32 v0, 16, v0
	s_delay_alu instid0(VALU_DEP_1)
	v_cvt_i32_f32_e32 v0, v0
	s_branch .LBB22_3118
.LBB22_3113:
	s_mov_b32 s4, -1
	s_branch .LBB22_3117
.LBB22_3114:
	s_and_not1_saveexec_b32 s4, s4
	s_cbranch_execz .LBB22_3095
.LBB22_3115:
	v_cmp_ne_u16_e32 vcc_lo, 0, v1
	s_and_not1_b32 s5, s5, exec_lo
	s_and_b32 s6, vcc_lo, exec_lo
	s_delay_alu instid0(SALU_CYCLE_1)
	s_or_b32 s5, s5, s6
	s_or_b32 exec_lo, exec_lo, s4
	v_mov_b32_e32 v0, 0
	s_and_saveexec_b32 s4, s5
	s_cbranch_execnz .LBB22_3096
	s_branch .LBB22_3097
.LBB22_3116:
	s_mov_b32 s1, -1
.LBB22_3117:
                                        ; implicit-def: $vgpr0
.LBB22_3118:
	s_and_b32 vcc_lo, exec_lo, s4
	s_mov_b32 s4, 0
	s_cbranch_vccz .LBB22_3120
; %bb.3119:
	s_cmp_lg_u32 s0, 11
	s_mov_b32 s4, -1
	s_cselect_b32 s1, -1, 0
.LBB22_3120:
	s_delay_alu instid0(SALU_CYCLE_1)
	s_and_b32 vcc_lo, exec_lo, s1
	s_cbranch_vccnz .LBB22_3183
; %bb.3121:
	s_and_not1_b32 vcc_lo, exec_lo, s4
	s_cbranch_vccnz .LBB22_3123
.LBB22_3122:
	s_wait_loadcnt 0x0
	global_load_u8 v0, v[2:3], off
	s_mov_b32 s5, -1
	s_wait_loadcnt 0x0
	v_cmp_ne_u16_e32 vcc_lo, 0, v0
	v_cndmask_b32_e64 v0, 0, 1, vcc_lo
.LBB22_3123:
	s_branch .LBB22_3054
.LBB22_3124:
	s_and_b32 s0, 0xffff, s48
	s_delay_alu instid0(SALU_CYCLE_1)
	s_cmp_lt_i32 s0, 5
	s_cbranch_scc1 .LBB22_3129
; %bb.3125:
	s_cmp_lt_i32 s0, 8
	s_cbranch_scc1 .LBB22_3130
; %bb.3126:
	;; [unrolled: 3-line block ×3, first 2 shown]
	s_cmp_gt_i32 s0, 9
	s_cbranch_scc0 .LBB22_3132
; %bb.3128:
	s_wait_loadcnt 0x0
	global_load_b64 v[0:1], v[2:3], off
	s_mov_b32 s1, 0
	s_wait_loadcnt 0x0
	v_cvt_i32_f64_e32 v0, v[0:1]
	s_branch .LBB22_3133
.LBB22_3129:
	s_mov_b32 s1, -1
                                        ; implicit-def: $vgpr0
	s_branch .LBB22_3151
.LBB22_3130:
	s_mov_b32 s1, -1
                                        ; implicit-def: $vgpr0
	s_branch .LBB22_3139
.LBB22_3131:
	s_mov_b32 s1, -1
                                        ; implicit-def: $vgpr0
	s_branch .LBB22_3136
.LBB22_3132:
	s_mov_b32 s1, -1
                                        ; implicit-def: $vgpr0
.LBB22_3133:
	s_delay_alu instid0(SALU_CYCLE_1)
	s_and_not1_b32 vcc_lo, exec_lo, s1
	s_cbranch_vccnz .LBB22_3135
; %bb.3134:
	s_wait_loadcnt 0x0
	global_load_b32 v0, v[2:3], off
	s_wait_loadcnt 0x0
	v_cvt_i32_f32_e32 v0, v0
.LBB22_3135:
	s_mov_b32 s1, 0
.LBB22_3136:
	s_delay_alu instid0(SALU_CYCLE_1)
	s_and_not1_b32 vcc_lo, exec_lo, s1
	s_cbranch_vccnz .LBB22_3138
; %bb.3137:
	s_wait_loadcnt 0x0
	global_load_b32 v0, v[2:3], off
	s_wait_loadcnt 0x0
	v_cvt_f32_f16_e32 v0, v0
	s_delay_alu instid0(VALU_DEP_1)
	v_cvt_i32_f32_e32 v0, v0
.LBB22_3138:
	s_mov_b32 s1, 0
.LBB22_3139:
	s_delay_alu instid0(SALU_CYCLE_1)
	s_and_not1_b32 vcc_lo, exec_lo, s1
	s_cbranch_vccnz .LBB22_3150
; %bb.3140:
	s_cmp_lt_i32 s0, 6
	s_cbranch_scc1 .LBB22_3143
; %bb.3141:
	s_cmp_gt_i32 s0, 6
	s_cbranch_scc0 .LBB22_3144
; %bb.3142:
	s_wait_loadcnt 0x0
	global_load_b64 v[0:1], v[2:3], off
	s_mov_b32 s1, 0
	s_wait_loadcnt 0x0
	v_cvt_i32_f64_e32 v0, v[0:1]
	s_branch .LBB22_3145
.LBB22_3143:
	s_mov_b32 s1, -1
                                        ; implicit-def: $vgpr0
	s_branch .LBB22_3148
.LBB22_3144:
	s_mov_b32 s1, -1
                                        ; implicit-def: $vgpr0
.LBB22_3145:
	s_delay_alu instid0(SALU_CYCLE_1)
	s_and_not1_b32 vcc_lo, exec_lo, s1
	s_cbranch_vccnz .LBB22_3147
; %bb.3146:
	s_wait_loadcnt 0x0
	global_load_b32 v0, v[2:3], off
	s_wait_loadcnt 0x0
	v_cvt_i32_f32_e32 v0, v0
.LBB22_3147:
	s_mov_b32 s1, 0
.LBB22_3148:
	s_delay_alu instid0(SALU_CYCLE_1)
	s_and_not1_b32 vcc_lo, exec_lo, s1
	s_cbranch_vccnz .LBB22_3150
; %bb.3149:
	s_wait_loadcnt 0x0
	global_load_u16 v0, v[2:3], off
	s_wait_loadcnt 0x0
	v_cvt_f32_f16_e32 v0, v0
	s_delay_alu instid0(VALU_DEP_1)
	v_cvt_i32_f32_e32 v0, v0
.LBB22_3150:
	s_mov_b32 s1, 0
.LBB22_3151:
	s_delay_alu instid0(SALU_CYCLE_1)
	s_and_not1_b32 vcc_lo, exec_lo, s1
	s_cbranch_vccnz .LBB22_3171
; %bb.3152:
	s_cmp_lt_i32 s0, 2
	s_cbranch_scc1 .LBB22_3156
; %bb.3153:
	s_cmp_lt_i32 s0, 3
	s_cbranch_scc1 .LBB22_3157
; %bb.3154:
	s_cmp_gt_i32 s0, 3
	s_cbranch_scc0 .LBB22_3158
; %bb.3155:
	s_wait_loadcnt 0x0
	global_load_b32 v0, v[2:3], off
	s_mov_b32 s1, 0
	s_branch .LBB22_3159
.LBB22_3156:
	s_mov_b32 s1, -1
                                        ; implicit-def: $vgpr0
	s_branch .LBB22_3165
.LBB22_3157:
	s_mov_b32 s1, -1
                                        ; implicit-def: $vgpr0
	s_branch .LBB22_3162
.LBB22_3158:
	s_mov_b32 s1, -1
                                        ; implicit-def: $vgpr0
.LBB22_3159:
	s_delay_alu instid0(SALU_CYCLE_1)
	s_and_not1_b32 vcc_lo, exec_lo, s1
	s_cbranch_vccnz .LBB22_3161
; %bb.3160:
	s_wait_loadcnt 0x0
	global_load_b32 v0, v[2:3], off
.LBB22_3161:
	s_mov_b32 s1, 0
.LBB22_3162:
	s_delay_alu instid0(SALU_CYCLE_1)
	s_and_not1_b32 vcc_lo, exec_lo, s1
	s_cbranch_vccnz .LBB22_3164
; %bb.3163:
	s_wait_loadcnt 0x0
	global_load_i16 v0, v[2:3], off
.LBB22_3164:
	s_mov_b32 s1, 0
.LBB22_3165:
	s_delay_alu instid0(SALU_CYCLE_1)
	s_and_not1_b32 vcc_lo, exec_lo, s1
	s_cbranch_vccnz .LBB22_3171
; %bb.3166:
	s_cmp_gt_i32 s0, 0
	s_mov_b32 s0, 0
	s_cbranch_scc0 .LBB22_3168
; %bb.3167:
	s_wait_loadcnt 0x0
	global_load_i8 v0, v[2:3], off
	s_branch .LBB22_3169
.LBB22_3168:
	s_mov_b32 s0, -1
                                        ; implicit-def: $vgpr0
.LBB22_3169:
	s_delay_alu instid0(SALU_CYCLE_1)
	s_and_not1_b32 vcc_lo, exec_lo, s0
	s_cbranch_vccnz .LBB22_3171
; %bb.3170:
	s_wait_loadcnt 0x0
	global_load_u8 v0, v[2:3], off
.LBB22_3171:
.LBB22_3172:
	s_clause 0x2
	s_load_b32 s49, s[24:25], 0x40
	s_load_b64 s[14:15], s[24:25], 0x20
	s_load_b32 s0, s[24:25], 0xf4
	s_wait_kmcnt 0x0
	v_mul_lo_u32 v6, s49, v22
	s_and_b32 s50, s0, 0xff
	s_delay_alu instid0(SALU_CYCLE_1) | instskip(NEXT) | instid1(VALU_DEP_1)
	s_cmp_lt_i32 s50, 11
	v_ashrrev_i32_e32 v7, 31, v6
	s_delay_alu instid0(VALU_DEP_1)
	v_add_nc_u64_e32 v[4:5], s[14:15], v[6:7]
	s_cbranch_scc1 .LBB22_3179
; %bb.3173:
	s_and_b32 s0, 0xffff, s50
	s_mov_b32 s4, 0
	s_cmp_gt_i32 s0, 25
	s_cbranch_scc0 .LBB22_3180
; %bb.3174:
	s_cmp_gt_i32 s0, 28
	s_cbranch_scc0 .LBB22_3181
; %bb.3175:
	;; [unrolled: 3-line block ×4, first 2 shown]
	s_cmp_eq_u32 s0, 46
	s_mov_b32 s6, 0
	s_cbranch_scc0 .LBB22_3185
; %bb.3178:
	global_load_b32 v1, v[4:5], off
	s_mov_b32 s1, 0
	s_mov_b32 s5, -1
	s_wait_loadcnt 0x0
	v_lshlrev_b32_e32 v1, 16, v1
	s_delay_alu instid0(VALU_DEP_1)
	v_cvt_i32_f32_e32 v2, v1
	s_branch .LBB22_3187
.LBB22_3179:
	s_mov_b32 s0, -1
	s_mov_b32 s5, 0
                                        ; implicit-def: $vgpr2
	s_branch .LBB22_3249
.LBB22_3180:
	s_mov_b32 s6, -1
	s_mov_b32 s5, 0
	s_mov_b32 s1, 0
                                        ; implicit-def: $vgpr2
	s_branch .LBB22_3214
.LBB22_3181:
	s_mov_b32 s6, -1
	s_mov_b32 s5, 0
	s_mov_b32 s1, 0
                                        ; implicit-def: $vgpr2
	s_branch .LBB22_3197
.LBB22_3182:
	s_mov_b32 s6, -1
	s_mov_b32 s5, 0
	s_mov_b32 s1, 0
                                        ; implicit-def: $vgpr2
	s_branch .LBB22_3192
.LBB22_3183:
	s_or_b32 s38, s38, exec_lo
	s_trap 2
	s_cbranch_execz .LBB22_3122
	s_branch .LBB22_3123
.LBB22_3184:
	s_mov_b32 s6, -1
	s_mov_b32 s5, 0
	s_mov_b32 s1, 0
	s_branch .LBB22_3186
.LBB22_3185:
	s_mov_b32 s1, -1
	s_mov_b32 s5, 0
.LBB22_3186:
                                        ; implicit-def: $vgpr2
.LBB22_3187:
	s_and_b32 vcc_lo, exec_lo, s6
	s_cbranch_vccz .LBB22_3191
; %bb.3188:
	s_cmp_eq_u32 s0, 44
	s_cbranch_scc0 .LBB22_3190
; %bb.3189:
	global_load_u8 v1, v[4:5], off
	s_mov_b32 s1, 0
	s_mov_b32 s5, -1
	s_wait_loadcnt 0x0
	v_lshlrev_b32_e32 v2, 23, v1
	v_cmp_ne_u32_e32 vcc_lo, 0, v1
	s_delay_alu instid0(VALU_DEP_2) | instskip(NEXT) | instid1(VALU_DEP_1)
	v_cvt_i32_f32_e32 v2, v2
	v_cndmask_b32_e32 v2, 0, v2, vcc_lo
	s_branch .LBB22_3191
.LBB22_3190:
	s_mov_b32 s1, -1
                                        ; implicit-def: $vgpr2
.LBB22_3191:
	s_mov_b32 s6, 0
.LBB22_3192:
	s_delay_alu instid0(SALU_CYCLE_1)
	s_and_b32 vcc_lo, exec_lo, s6
	s_cbranch_vccz .LBB22_3196
; %bb.3193:
	s_cmp_eq_u32 s0, 29
	s_cbranch_scc0 .LBB22_3195
; %bb.3194:
	global_load_b32 v2, v[4:5], off
	s_mov_b32 s1, 0
	s_mov_b32 s5, -1
	s_branch .LBB22_3196
.LBB22_3195:
	s_mov_b32 s1, -1
                                        ; implicit-def: $vgpr2
.LBB22_3196:
	s_mov_b32 s6, 0
.LBB22_3197:
	s_delay_alu instid0(SALU_CYCLE_1)
	s_and_b32 vcc_lo, exec_lo, s6
	s_cbranch_vccz .LBB22_3213
; %bb.3198:
	s_cmp_lt_i32 s0, 27
	s_cbranch_scc1 .LBB22_3201
; %bb.3199:
	s_cmp_gt_i32 s0, 27
	s_cbranch_scc0 .LBB22_3202
; %bb.3200:
	s_wait_loadcnt 0x0
	global_load_b32 v2, v[4:5], off
	s_mov_b32 s5, 0
	s_branch .LBB22_3203
.LBB22_3201:
	s_mov_b32 s5, -1
                                        ; implicit-def: $vgpr2
	s_branch .LBB22_3206
.LBB22_3202:
	s_mov_b32 s5, -1
                                        ; implicit-def: $vgpr2
.LBB22_3203:
	s_delay_alu instid0(SALU_CYCLE_1)
	s_and_not1_b32 vcc_lo, exec_lo, s5
	s_cbranch_vccnz .LBB22_3205
; %bb.3204:
	s_wait_loadcnt 0x0
	global_load_u16 v2, v[4:5], off
.LBB22_3205:
	s_mov_b32 s5, 0
.LBB22_3206:
	s_delay_alu instid0(SALU_CYCLE_1)
	s_and_not1_b32 vcc_lo, exec_lo, s5
	s_cbranch_vccnz .LBB22_3212
; %bb.3207:
	global_load_u8 v1, v[4:5], off
	s_mov_b32 s6, 0
	s_mov_b32 s5, exec_lo
	s_wait_loadcnt 0x0
	v_cmpx_lt_i16_e32 0x7f, v1
	s_xor_b32 s5, exec_lo, s5
	s_cbranch_execz .LBB22_3224
; %bb.3208:
	v_cmp_ne_u16_e32 vcc_lo, 0x80, v1
	s_and_b32 s6, vcc_lo, exec_lo
	s_and_not1_saveexec_b32 s5, s5
	s_cbranch_execnz .LBB22_3225
.LBB22_3209:
	s_or_b32 exec_lo, exec_lo, s5
	v_mov_b32_e32 v2, 0
	s_and_saveexec_b32 s5, s6
	s_cbranch_execz .LBB22_3211
.LBB22_3210:
	v_and_b32_e32 v2, 0xffff, v1
	s_delay_alu instid0(VALU_DEP_1) | instskip(SKIP_1) | instid1(VALU_DEP_2)
	v_and_b32_e32 v3, 7, v2
	v_bfe_u32 v9, v2, 3, 4
	v_clz_i32_u32_e32 v7, v3
	s_delay_alu instid0(VALU_DEP_2) | instskip(NEXT) | instid1(VALU_DEP_2)
	v_cmp_eq_u32_e32 vcc_lo, 0, v9
	v_min_u32_e32 v7, 32, v7
	s_delay_alu instid0(VALU_DEP_1) | instskip(NEXT) | instid1(VALU_DEP_1)
	v_subrev_nc_u32_e32 v8, 28, v7
	v_dual_lshlrev_b32 v2, v8, v2 :: v_dual_sub_nc_u32 v7, 29, v7
	s_delay_alu instid0(VALU_DEP_1) | instskip(NEXT) | instid1(VALU_DEP_1)
	v_dual_lshlrev_b32 v1, 24, v1 :: v_dual_bitop2_b32 v2, 7, v2 bitop3:0x40
	v_dual_cndmask_b32 v7, v9, v7 :: v_dual_cndmask_b32 v2, v3, v2
	s_delay_alu instid0(VALU_DEP_2) | instskip(NEXT) | instid1(VALU_DEP_2)
	v_and_b32_e32 v1, 0x80000000, v1
	v_lshl_add_u32 v3, v7, 23, 0x3b800000
	s_delay_alu instid0(VALU_DEP_3) | instskip(NEXT) | instid1(VALU_DEP_1)
	v_lshlrev_b32_e32 v2, 20, v2
	v_or3_b32 v1, v1, v3, v2
	s_delay_alu instid0(VALU_DEP_1)
	v_cvt_i32_f32_e32 v2, v1
.LBB22_3211:
	s_or_b32 exec_lo, exec_lo, s5
.LBB22_3212:
	s_mov_b32 s5, -1
.LBB22_3213:
	s_mov_b32 s6, 0
.LBB22_3214:
	s_delay_alu instid0(SALU_CYCLE_1)
	s_and_b32 vcc_lo, exec_lo, s6
	s_cbranch_vccz .LBB22_3245
; %bb.3215:
	s_cmp_gt_i32 s0, 22
	s_cbranch_scc0 .LBB22_3223
; %bb.3216:
	s_cmp_lt_i32 s0, 24
	s_cbranch_scc1 .LBB22_3226
; %bb.3217:
	s_cmp_gt_i32 s0, 24
	s_cbranch_scc0 .LBB22_3227
; %bb.3218:
	global_load_u8 v1, v[4:5], off
	s_mov_b32 s5, 0
	s_mov_b32 s4, exec_lo
	s_wait_loadcnt 0x0
	v_cmpx_lt_i16_e32 0x7f, v1
	s_xor_b32 s4, exec_lo, s4
	s_cbranch_execz .LBB22_3239
; %bb.3219:
	v_cmp_ne_u16_e32 vcc_lo, 0x80, v1
	s_and_b32 s5, vcc_lo, exec_lo
	s_and_not1_saveexec_b32 s4, s4
	s_cbranch_execnz .LBB22_3240
.LBB22_3220:
	s_or_b32 exec_lo, exec_lo, s4
	v_mov_b32_e32 v2, 0
	s_and_saveexec_b32 s4, s5
	s_cbranch_execz .LBB22_3222
.LBB22_3221:
	v_and_b32_e32 v2, 0xffff, v1
	s_delay_alu instid0(VALU_DEP_1) | instskip(SKIP_1) | instid1(VALU_DEP_2)
	v_and_b32_e32 v3, 3, v2
	v_bfe_u32 v9, v2, 2, 5
	v_clz_i32_u32_e32 v7, v3
	s_delay_alu instid0(VALU_DEP_2) | instskip(NEXT) | instid1(VALU_DEP_2)
	v_cmp_eq_u32_e32 vcc_lo, 0, v9
	v_min_u32_e32 v7, 32, v7
	s_delay_alu instid0(VALU_DEP_1) | instskip(NEXT) | instid1(VALU_DEP_1)
	v_subrev_nc_u32_e32 v8, 29, v7
	v_dual_lshlrev_b32 v2, v8, v2 :: v_dual_sub_nc_u32 v7, 30, v7
	s_delay_alu instid0(VALU_DEP_1) | instskip(NEXT) | instid1(VALU_DEP_1)
	v_dual_lshlrev_b32 v1, 24, v1 :: v_dual_bitop2_b32 v2, 3, v2 bitop3:0x40
	v_dual_cndmask_b32 v7, v9, v7 :: v_dual_cndmask_b32 v2, v3, v2
	s_delay_alu instid0(VALU_DEP_2) | instskip(NEXT) | instid1(VALU_DEP_2)
	v_and_b32_e32 v1, 0x80000000, v1
	v_lshl_add_u32 v3, v7, 23, 0x37800000
	s_delay_alu instid0(VALU_DEP_3) | instskip(NEXT) | instid1(VALU_DEP_1)
	v_lshlrev_b32_e32 v2, 21, v2
	v_or3_b32 v1, v1, v3, v2
	s_delay_alu instid0(VALU_DEP_1)
	v_cvt_i32_f32_e32 v2, v1
.LBB22_3222:
	s_or_b32 exec_lo, exec_lo, s4
	s_mov_b32 s4, 0
	s_branch .LBB22_3228
.LBB22_3223:
	s_mov_b32 s4, -1
                                        ; implicit-def: $vgpr2
	s_branch .LBB22_3234
.LBB22_3224:
	s_and_not1_saveexec_b32 s5, s5
	s_cbranch_execz .LBB22_3209
.LBB22_3225:
	v_cmp_ne_u16_e32 vcc_lo, 0, v1
	s_and_not1_b32 s6, s6, exec_lo
	s_and_b32 s7, vcc_lo, exec_lo
	s_delay_alu instid0(SALU_CYCLE_1)
	s_or_b32 s6, s6, s7
	s_or_b32 exec_lo, exec_lo, s5
	v_mov_b32_e32 v2, 0
	s_and_saveexec_b32 s5, s6
	s_cbranch_execnz .LBB22_3210
	s_branch .LBB22_3211
.LBB22_3226:
	s_mov_b32 s4, -1
                                        ; implicit-def: $vgpr2
	s_branch .LBB22_3231
.LBB22_3227:
	s_mov_b32 s4, -1
                                        ; implicit-def: $vgpr2
.LBB22_3228:
	s_delay_alu instid0(SALU_CYCLE_1)
	s_and_b32 vcc_lo, exec_lo, s4
	s_cbranch_vccz .LBB22_3230
; %bb.3229:
	global_load_u8 v1, v[4:5], off
	s_wait_loadcnt 0x0
	v_lshlrev_b32_e32 v1, 24, v1
	s_delay_alu instid0(VALU_DEP_1) | instskip(NEXT) | instid1(VALU_DEP_1)
	v_and_b32_e32 v2, 0x7f000000, v1
	v_clz_i32_u32_e32 v3, v2
	v_add_nc_u32_e32 v8, 0x1000000, v2
	v_cmp_ne_u32_e32 vcc_lo, 0, v2
	s_delay_alu instid0(VALU_DEP_3) | instskip(NEXT) | instid1(VALU_DEP_1)
	v_min_u32_e32 v3, 32, v3
	v_sub_nc_u32_e64 v3, v3, 4 clamp
	s_delay_alu instid0(VALU_DEP_1) | instskip(NEXT) | instid1(VALU_DEP_1)
	v_dual_lshlrev_b32 v7, v3, v2 :: v_dual_lshlrev_b32 v3, 23, v3
	v_lshrrev_b32_e32 v7, 4, v7
	s_delay_alu instid0(VALU_DEP_1) | instskip(NEXT) | instid1(VALU_DEP_1)
	v_dual_sub_nc_u32 v3, v7, v3 :: v_dual_ashrrev_i32 v7, 8, v8
	v_add_nc_u32_e32 v3, 0x3c000000, v3
	s_delay_alu instid0(VALU_DEP_1) | instskip(NEXT) | instid1(VALU_DEP_1)
	v_and_or_b32 v3, 0x7f800000, v7, v3
	v_cndmask_b32_e32 v2, 0, v3, vcc_lo
	s_delay_alu instid0(VALU_DEP_1) | instskip(NEXT) | instid1(VALU_DEP_1)
	v_and_or_b32 v1, 0x80000000, v1, v2
	v_cvt_i32_f32_e32 v2, v1
.LBB22_3230:
	s_mov_b32 s4, 0
.LBB22_3231:
	s_delay_alu instid0(SALU_CYCLE_1)
	s_and_not1_b32 vcc_lo, exec_lo, s4
	s_cbranch_vccnz .LBB22_3233
; %bb.3232:
	global_load_u8 v1, v[4:5], off
	s_wait_loadcnt 0x0
	v_lshlrev_b32_e32 v2, 25, v1
	v_lshlrev_b16 v1, 8, v1
	s_delay_alu instid0(VALU_DEP_1) | instskip(SKIP_1) | instid1(VALU_DEP_2)
	v_and_or_b32 v7, 0x7f00, v1, 0.5
	v_bfe_i32 v1, v1, 0, 16
	v_dual_add_f32 v7, -0.5, v7 :: v_dual_lshrrev_b32 v3, 4, v2
	v_cmp_gt_u32_e32 vcc_lo, 0x8000000, v2
	s_delay_alu instid0(VALU_DEP_2) | instskip(NEXT) | instid1(VALU_DEP_1)
	v_or_b32_e32 v3, 0x70000000, v3
	v_mul_f32_e32 v3, 0x7800000, v3
	s_delay_alu instid0(VALU_DEP_1) | instskip(NEXT) | instid1(VALU_DEP_1)
	v_cndmask_b32_e32 v2, v3, v7, vcc_lo
	v_and_or_b32 v1, 0x80000000, v1, v2
	s_delay_alu instid0(VALU_DEP_1)
	v_cvt_i32_f32_e32 v2, v1
.LBB22_3233:
	s_mov_b32 s4, 0
	s_mov_b32 s5, -1
.LBB22_3234:
	s_and_not1_b32 vcc_lo, exec_lo, s4
	s_mov_b32 s4, 0
	s_cbranch_vccnz .LBB22_3245
; %bb.3235:
	s_cmp_gt_i32 s0, 14
	s_cbranch_scc0 .LBB22_3238
; %bb.3236:
	s_cmp_eq_u32 s0, 15
	s_cbranch_scc0 .LBB22_3241
; %bb.3237:
	global_load_u16 v1, v[4:5], off
	s_mov_b32 s1, 0
	s_mov_b32 s5, -1
	s_wait_loadcnt 0x0
	v_lshlrev_b32_e32 v1, 16, v1
	s_delay_alu instid0(VALU_DEP_1)
	v_cvt_i32_f32_e32 v2, v1
	s_branch .LBB22_3243
.LBB22_3238:
	s_mov_b32 s4, -1
	s_branch .LBB22_3242
.LBB22_3239:
	s_and_not1_saveexec_b32 s4, s4
	s_cbranch_execz .LBB22_3220
.LBB22_3240:
	v_cmp_ne_u16_e32 vcc_lo, 0, v1
	s_and_not1_b32 s5, s5, exec_lo
	s_and_b32 s6, vcc_lo, exec_lo
	s_delay_alu instid0(SALU_CYCLE_1)
	s_or_b32 s5, s5, s6
	s_or_b32 exec_lo, exec_lo, s4
	v_mov_b32_e32 v2, 0
	s_and_saveexec_b32 s4, s5
	s_cbranch_execnz .LBB22_3221
	s_branch .LBB22_3222
.LBB22_3241:
	s_mov_b32 s1, -1
.LBB22_3242:
                                        ; implicit-def: $vgpr2
.LBB22_3243:
	s_and_b32 vcc_lo, exec_lo, s4
	s_mov_b32 s4, 0
	s_cbranch_vccz .LBB22_3245
; %bb.3244:
	s_cmp_lg_u32 s0, 11
	s_mov_b32 s4, -1
	s_cselect_b32 s1, -1, 0
.LBB22_3245:
	s_delay_alu instid0(SALU_CYCLE_1)
	s_and_b32 vcc_lo, exec_lo, s1
	s_cbranch_vccnz .LBB22_3310
; %bb.3246:
	s_and_not1_b32 vcc_lo, exec_lo, s4
	s_cbranch_vccnz .LBB22_3248
.LBB22_3247:
	global_load_u8 v1, v[4:5], off
	s_mov_b32 s5, -1
	s_wait_loadcnt 0x0
	v_cmp_ne_u16_e32 vcc_lo, 0, v1
	v_cndmask_b32_e64 v2, 0, 1, vcc_lo
.LBB22_3248:
	s_mov_b32 s0, 0
.LBB22_3249:
	s_delay_alu instid0(SALU_CYCLE_1)
	s_and_b32 vcc_lo, exec_lo, s0
	s_cbranch_vccz .LBB22_3298
; %bb.3250:
	s_and_b32 s0, 0xffff, s50
	s_delay_alu instid0(SALU_CYCLE_1)
	s_cmp_lt_i32 s0, 5
	s_cbranch_scc1 .LBB22_3255
; %bb.3251:
	s_cmp_lt_i32 s0, 8
	s_cbranch_scc1 .LBB22_3256
; %bb.3252:
	;; [unrolled: 3-line block ×3, first 2 shown]
	s_cmp_gt_i32 s0, 9
	s_cbranch_scc0 .LBB22_3258
; %bb.3254:
	s_wait_loadcnt 0x0
	global_load_b64 v[2:3], v[4:5], off
	s_mov_b32 s1, 0
	s_wait_loadcnt 0x0
	v_cvt_i32_f64_e32 v2, v[2:3]
	s_branch .LBB22_3259
.LBB22_3255:
	s_mov_b32 s1, -1
                                        ; implicit-def: $vgpr2
	s_branch .LBB22_3277
.LBB22_3256:
	s_mov_b32 s1, -1
                                        ; implicit-def: $vgpr2
	s_branch .LBB22_3265
.LBB22_3257:
	s_mov_b32 s1, -1
                                        ; implicit-def: $vgpr2
	s_branch .LBB22_3262
.LBB22_3258:
	s_mov_b32 s1, -1
                                        ; implicit-def: $vgpr2
.LBB22_3259:
	s_delay_alu instid0(SALU_CYCLE_1)
	s_and_not1_b32 vcc_lo, exec_lo, s1
	s_cbranch_vccnz .LBB22_3261
; %bb.3260:
	global_load_b32 v1, v[4:5], off
	s_wait_loadcnt 0x0
	v_cvt_i32_f32_e32 v2, v1
.LBB22_3261:
	s_mov_b32 s1, 0
.LBB22_3262:
	s_delay_alu instid0(SALU_CYCLE_1)
	s_and_not1_b32 vcc_lo, exec_lo, s1
	s_cbranch_vccnz .LBB22_3264
; %bb.3263:
	global_load_b32 v1, v[4:5], off
	s_wait_loadcnt 0x0
	v_cvt_f32_f16_e32 v1, v1
	s_delay_alu instid0(VALU_DEP_1)
	v_cvt_i32_f32_e32 v2, v1
.LBB22_3264:
	s_mov_b32 s1, 0
.LBB22_3265:
	s_delay_alu instid0(SALU_CYCLE_1)
	s_and_not1_b32 vcc_lo, exec_lo, s1
	s_cbranch_vccnz .LBB22_3276
; %bb.3266:
	s_cmp_lt_i32 s0, 6
	s_cbranch_scc1 .LBB22_3269
; %bb.3267:
	s_cmp_gt_i32 s0, 6
	s_cbranch_scc0 .LBB22_3270
; %bb.3268:
	s_wait_loadcnt 0x0
	global_load_b64 v[2:3], v[4:5], off
	s_mov_b32 s1, 0
	s_wait_loadcnt 0x0
	v_cvt_i32_f64_e32 v2, v[2:3]
	s_branch .LBB22_3271
.LBB22_3269:
	s_mov_b32 s1, -1
                                        ; implicit-def: $vgpr2
	s_branch .LBB22_3274
.LBB22_3270:
	s_mov_b32 s1, -1
                                        ; implicit-def: $vgpr2
.LBB22_3271:
	s_delay_alu instid0(SALU_CYCLE_1)
	s_and_not1_b32 vcc_lo, exec_lo, s1
	s_cbranch_vccnz .LBB22_3273
; %bb.3272:
	global_load_b32 v1, v[4:5], off
	s_wait_loadcnt 0x0
	v_cvt_i32_f32_e32 v2, v1
.LBB22_3273:
	s_mov_b32 s1, 0
.LBB22_3274:
	s_delay_alu instid0(SALU_CYCLE_1)
	s_and_not1_b32 vcc_lo, exec_lo, s1
	s_cbranch_vccnz .LBB22_3276
; %bb.3275:
	global_load_u16 v1, v[4:5], off
	s_wait_loadcnt 0x0
	v_cvt_f32_f16_e32 v1, v1
	s_delay_alu instid0(VALU_DEP_1)
	v_cvt_i32_f32_e32 v2, v1
.LBB22_3276:
	s_mov_b32 s1, 0
.LBB22_3277:
	s_delay_alu instid0(SALU_CYCLE_1)
	s_and_not1_b32 vcc_lo, exec_lo, s1
	s_cbranch_vccnz .LBB22_3297
; %bb.3278:
	s_cmp_lt_i32 s0, 2
	s_cbranch_scc1 .LBB22_3282
; %bb.3279:
	s_cmp_lt_i32 s0, 3
	s_cbranch_scc1 .LBB22_3283
; %bb.3280:
	s_cmp_gt_i32 s0, 3
	s_cbranch_scc0 .LBB22_3284
; %bb.3281:
	s_wait_loadcnt 0x0
	global_load_b32 v2, v[4:5], off
	s_mov_b32 s1, 0
	s_branch .LBB22_3285
.LBB22_3282:
	s_mov_b32 s1, -1
                                        ; implicit-def: $vgpr2
	s_branch .LBB22_3291
.LBB22_3283:
	s_mov_b32 s1, -1
                                        ; implicit-def: $vgpr2
	s_branch .LBB22_3288
.LBB22_3284:
	s_mov_b32 s1, -1
                                        ; implicit-def: $vgpr2
.LBB22_3285:
	s_delay_alu instid0(SALU_CYCLE_1)
	s_and_not1_b32 vcc_lo, exec_lo, s1
	s_cbranch_vccnz .LBB22_3287
; %bb.3286:
	s_wait_loadcnt 0x0
	global_load_b32 v2, v[4:5], off
.LBB22_3287:
	s_mov_b32 s1, 0
.LBB22_3288:
	s_delay_alu instid0(SALU_CYCLE_1)
	s_and_not1_b32 vcc_lo, exec_lo, s1
	s_cbranch_vccnz .LBB22_3290
; %bb.3289:
	s_wait_loadcnt 0x0
	global_load_i16 v2, v[4:5], off
.LBB22_3290:
	s_mov_b32 s1, 0
.LBB22_3291:
	s_delay_alu instid0(SALU_CYCLE_1)
	s_and_not1_b32 vcc_lo, exec_lo, s1
	s_cbranch_vccnz .LBB22_3297
; %bb.3292:
	s_cmp_gt_i32 s0, 0
	s_mov_b32 s0, 0
	s_cbranch_scc0 .LBB22_3294
; %bb.3293:
	s_wait_loadcnt 0x0
	global_load_i8 v2, v[4:5], off
	s_branch .LBB22_3295
.LBB22_3294:
	s_mov_b32 s0, -1
                                        ; implicit-def: $vgpr2
.LBB22_3295:
	s_delay_alu instid0(SALU_CYCLE_1)
	s_and_not1_b32 vcc_lo, exec_lo, s0
	s_cbranch_vccnz .LBB22_3297
; %bb.3296:
	s_wait_loadcnt 0x0
	global_load_u8 v2, v[4:5], off
.LBB22_3297:
	s_mov_b32 s5, -1
.LBB22_3298:
	s_delay_alu instid0(SALU_CYCLE_1)
	s_and_not1_b32 vcc_lo, exec_lo, s5
	s_cbranch_vccnz .LBB22_3434
; %bb.3299:
	s_clause 0x1
	s_load_b32 s51, s[24:25], 0x44
	s_load_b64 s[16:17], s[24:25], 0x28
	s_wait_kmcnt 0x0
	v_mul_lo_u32 v8, s51, v22
	s_delay_alu instid0(VALU_DEP_1)
	v_dual_mov_b32 v1, 0 :: v_dual_ashrrev_i32 v9, 31, v8
	global_load_u8 v1, v1, s[24:25] offset:245
	v_add_nc_u64_e32 v[4:5], s[16:17], v[8:9]
	s_wait_loadcnt 0x0
	v_and_b32_e32 v3, 0xffff, v1
	v_readfirstlane_b32 s52, v1
	s_delay_alu instid0(VALU_DEP_2)
	v_cmp_gt_i32_e32 vcc_lo, 11, v3
	s_cbranch_vccnz .LBB22_3306
; %bb.3300:
	s_and_b32 s0, 0xffff, s52
	s_mov_b32 s4, 0
	s_cmp_gt_i32 s0, 25
	s_cbranch_scc0 .LBB22_3307
; %bb.3301:
	s_cmp_gt_i32 s0, 28
	s_cbranch_scc0 .LBB22_3308
; %bb.3302:
	;; [unrolled: 3-line block ×4, first 2 shown]
	s_cmp_eq_u32 s0, 46
	s_mov_b32 s6, 0
	s_cbranch_scc0 .LBB22_3312
; %bb.3305:
	global_load_b32 v1, v[4:5], off
	s_mov_b32 s1, 0
	s_mov_b32 s5, -1
	s_wait_loadcnt 0x0
	v_lshlrev_b32_e32 v1, 16, v1
	s_delay_alu instid0(VALU_DEP_1)
	v_cvt_i32_f32_e32 v10, v1
	s_branch .LBB22_3314
.LBB22_3306:
	s_mov_b32 s0, -1
	s_mov_b32 s5, 0
                                        ; implicit-def: $vgpr10
	s_branch .LBB22_3376
.LBB22_3307:
	s_mov_b32 s6, -1
	s_mov_b32 s5, 0
	s_mov_b32 s1, 0
                                        ; implicit-def: $vgpr10
	s_branch .LBB22_3341
.LBB22_3308:
	s_mov_b32 s6, -1
	s_mov_b32 s5, 0
	s_mov_b32 s1, 0
                                        ; implicit-def: $vgpr10
	s_branch .LBB22_3324
.LBB22_3309:
	s_mov_b32 s6, -1
	s_mov_b32 s5, 0
	s_mov_b32 s1, 0
                                        ; implicit-def: $vgpr10
	s_branch .LBB22_3319
.LBB22_3310:
	s_or_b32 s38, s38, exec_lo
	s_trap 2
	s_cbranch_execz .LBB22_3247
	s_branch .LBB22_3248
.LBB22_3311:
	s_mov_b32 s6, -1
	s_mov_b32 s5, 0
	s_mov_b32 s1, 0
	s_branch .LBB22_3313
.LBB22_3312:
	s_mov_b32 s1, -1
	s_mov_b32 s5, 0
.LBB22_3313:
                                        ; implicit-def: $vgpr10
.LBB22_3314:
	s_and_b32 vcc_lo, exec_lo, s6
	s_cbranch_vccz .LBB22_3318
; %bb.3315:
	s_cmp_eq_u32 s0, 44
	s_cbranch_scc0 .LBB22_3317
; %bb.3316:
	global_load_u8 v1, v[4:5], off
	s_mov_b32 s1, 0
	s_mov_b32 s5, -1
	s_wait_loadcnt 0x0
	v_lshlrev_b32_e32 v3, 23, v1
	v_cmp_ne_u32_e32 vcc_lo, 0, v1
	s_delay_alu instid0(VALU_DEP_2) | instskip(NEXT) | instid1(VALU_DEP_1)
	v_cvt_i32_f32_e32 v3, v3
	v_cndmask_b32_e32 v10, 0, v3, vcc_lo
	s_branch .LBB22_3318
.LBB22_3317:
	s_mov_b32 s1, -1
                                        ; implicit-def: $vgpr10
.LBB22_3318:
	s_mov_b32 s6, 0
.LBB22_3319:
	s_delay_alu instid0(SALU_CYCLE_1)
	s_and_b32 vcc_lo, exec_lo, s6
	s_cbranch_vccz .LBB22_3323
; %bb.3320:
	s_cmp_eq_u32 s0, 29
	s_cbranch_scc0 .LBB22_3322
; %bb.3321:
	global_load_b32 v10, v[4:5], off
	s_mov_b32 s1, 0
	s_mov_b32 s5, -1
	s_branch .LBB22_3323
.LBB22_3322:
	s_mov_b32 s1, -1
                                        ; implicit-def: $vgpr10
.LBB22_3323:
	s_mov_b32 s6, 0
.LBB22_3324:
	s_delay_alu instid0(SALU_CYCLE_1)
	s_and_b32 vcc_lo, exec_lo, s6
	s_cbranch_vccz .LBB22_3340
; %bb.3325:
	s_cmp_lt_i32 s0, 27
	s_cbranch_scc1 .LBB22_3328
; %bb.3326:
	s_cmp_gt_i32 s0, 27
	s_cbranch_scc0 .LBB22_3329
; %bb.3327:
	s_wait_loadcnt 0x0
	global_load_b32 v10, v[4:5], off
	s_mov_b32 s5, 0
	s_branch .LBB22_3330
.LBB22_3328:
	s_mov_b32 s5, -1
                                        ; implicit-def: $vgpr10
	s_branch .LBB22_3333
.LBB22_3329:
	s_mov_b32 s5, -1
                                        ; implicit-def: $vgpr10
.LBB22_3330:
	s_delay_alu instid0(SALU_CYCLE_1)
	s_and_not1_b32 vcc_lo, exec_lo, s5
	s_cbranch_vccnz .LBB22_3332
; %bb.3331:
	s_wait_loadcnt 0x0
	global_load_u16 v10, v[4:5], off
.LBB22_3332:
	s_mov_b32 s5, 0
.LBB22_3333:
	s_delay_alu instid0(SALU_CYCLE_1)
	s_and_not1_b32 vcc_lo, exec_lo, s5
	s_cbranch_vccnz .LBB22_3339
; %bb.3334:
	global_load_u8 v1, v[4:5], off
	s_mov_b32 s6, 0
	s_mov_b32 s5, exec_lo
	s_wait_loadcnt 0x0
	v_cmpx_lt_i16_e32 0x7f, v1
	s_xor_b32 s5, exec_lo, s5
	s_cbranch_execz .LBB22_3351
; %bb.3335:
	v_cmp_ne_u16_e32 vcc_lo, 0x80, v1
	s_and_b32 s6, vcc_lo, exec_lo
	s_and_not1_saveexec_b32 s5, s5
	s_cbranch_execnz .LBB22_3352
.LBB22_3336:
	s_or_b32 exec_lo, exec_lo, s5
	v_mov_b32_e32 v10, 0
	s_and_saveexec_b32 s5, s6
	s_cbranch_execz .LBB22_3338
.LBB22_3337:
	v_and_b32_e32 v3, 0xffff, v1
	s_delay_alu instid0(VALU_DEP_1) | instskip(SKIP_1) | instid1(VALU_DEP_2)
	v_and_b32_e32 v7, 7, v3
	v_bfe_u32 v11, v3, 3, 4
	v_clz_i32_u32_e32 v9, v7
	s_delay_alu instid0(VALU_DEP_2) | instskip(NEXT) | instid1(VALU_DEP_2)
	v_cmp_eq_u32_e32 vcc_lo, 0, v11
	v_min_u32_e32 v9, 32, v9
	s_delay_alu instid0(VALU_DEP_1) | instskip(NEXT) | instid1(VALU_DEP_1)
	v_subrev_nc_u32_e32 v10, 28, v9
	v_dual_lshlrev_b32 v3, v10, v3 :: v_dual_sub_nc_u32 v9, 29, v9
	s_delay_alu instid0(VALU_DEP_1) | instskip(NEXT) | instid1(VALU_DEP_1)
	v_dual_lshlrev_b32 v1, 24, v1 :: v_dual_bitop2_b32 v3, 7, v3 bitop3:0x40
	v_cndmask_b32_e32 v3, v7, v3, vcc_lo
	s_delay_alu instid0(VALU_DEP_3) | instskip(NEXT) | instid1(VALU_DEP_3)
	v_cndmask_b32_e32 v9, v11, v9, vcc_lo
	v_and_b32_e32 v1, 0x80000000, v1
	s_delay_alu instid0(VALU_DEP_3) | instskip(NEXT) | instid1(VALU_DEP_3)
	v_lshlrev_b32_e32 v3, 20, v3
	v_lshl_add_u32 v7, v9, 23, 0x3b800000
	s_delay_alu instid0(VALU_DEP_1) | instskip(NEXT) | instid1(VALU_DEP_1)
	v_or3_b32 v1, v1, v7, v3
	v_cvt_i32_f32_e32 v10, v1
.LBB22_3338:
	s_or_b32 exec_lo, exec_lo, s5
.LBB22_3339:
	s_mov_b32 s5, -1
.LBB22_3340:
	s_mov_b32 s6, 0
.LBB22_3341:
	s_delay_alu instid0(SALU_CYCLE_1)
	s_and_b32 vcc_lo, exec_lo, s6
	s_cbranch_vccz .LBB22_3372
; %bb.3342:
	s_cmp_gt_i32 s0, 22
	s_cbranch_scc0 .LBB22_3350
; %bb.3343:
	s_cmp_lt_i32 s0, 24
	s_cbranch_scc1 .LBB22_3353
; %bb.3344:
	s_cmp_gt_i32 s0, 24
	s_cbranch_scc0 .LBB22_3354
; %bb.3345:
	global_load_u8 v1, v[4:5], off
	s_mov_b32 s5, 0
	s_mov_b32 s4, exec_lo
	s_wait_loadcnt 0x0
	v_cmpx_lt_i16_e32 0x7f, v1
	s_xor_b32 s4, exec_lo, s4
	s_cbranch_execz .LBB22_3366
; %bb.3346:
	v_cmp_ne_u16_e32 vcc_lo, 0x80, v1
	s_and_b32 s5, vcc_lo, exec_lo
	s_and_not1_saveexec_b32 s4, s4
	s_cbranch_execnz .LBB22_3367
.LBB22_3347:
	s_or_b32 exec_lo, exec_lo, s4
	v_mov_b32_e32 v10, 0
	s_and_saveexec_b32 s4, s5
	s_cbranch_execz .LBB22_3349
.LBB22_3348:
	v_and_b32_e32 v3, 0xffff, v1
	s_delay_alu instid0(VALU_DEP_1) | instskip(SKIP_1) | instid1(VALU_DEP_2)
	v_and_b32_e32 v7, 3, v3
	v_bfe_u32 v11, v3, 2, 5
	v_clz_i32_u32_e32 v9, v7
	s_delay_alu instid0(VALU_DEP_2) | instskip(NEXT) | instid1(VALU_DEP_2)
	v_cmp_eq_u32_e32 vcc_lo, 0, v11
	v_min_u32_e32 v9, 32, v9
	s_delay_alu instid0(VALU_DEP_1) | instskip(NEXT) | instid1(VALU_DEP_1)
	v_subrev_nc_u32_e32 v10, 29, v9
	v_dual_lshlrev_b32 v3, v10, v3 :: v_dual_sub_nc_u32 v9, 30, v9
	s_delay_alu instid0(VALU_DEP_1) | instskip(NEXT) | instid1(VALU_DEP_1)
	v_dual_lshlrev_b32 v1, 24, v1 :: v_dual_bitop2_b32 v3, 3, v3 bitop3:0x40
	v_cndmask_b32_e32 v3, v7, v3, vcc_lo
	s_delay_alu instid0(VALU_DEP_3) | instskip(NEXT) | instid1(VALU_DEP_3)
	v_cndmask_b32_e32 v9, v11, v9, vcc_lo
	v_and_b32_e32 v1, 0x80000000, v1
	s_delay_alu instid0(VALU_DEP_3) | instskip(NEXT) | instid1(VALU_DEP_3)
	v_lshlrev_b32_e32 v3, 21, v3
	v_lshl_add_u32 v7, v9, 23, 0x37800000
	s_delay_alu instid0(VALU_DEP_1) | instskip(NEXT) | instid1(VALU_DEP_1)
	v_or3_b32 v1, v1, v7, v3
	v_cvt_i32_f32_e32 v10, v1
.LBB22_3349:
	s_or_b32 exec_lo, exec_lo, s4
	s_mov_b32 s4, 0
	s_branch .LBB22_3355
.LBB22_3350:
	s_mov_b32 s4, -1
                                        ; implicit-def: $vgpr10
	s_branch .LBB22_3361
.LBB22_3351:
	s_and_not1_saveexec_b32 s5, s5
	s_cbranch_execz .LBB22_3336
.LBB22_3352:
	v_cmp_ne_u16_e32 vcc_lo, 0, v1
	s_and_not1_b32 s6, s6, exec_lo
	s_and_b32 s7, vcc_lo, exec_lo
	s_delay_alu instid0(SALU_CYCLE_1)
	s_or_b32 s6, s6, s7
	s_or_b32 exec_lo, exec_lo, s5
	v_mov_b32_e32 v10, 0
	s_and_saveexec_b32 s5, s6
	s_cbranch_execnz .LBB22_3337
	s_branch .LBB22_3338
.LBB22_3353:
	s_mov_b32 s4, -1
                                        ; implicit-def: $vgpr10
	s_branch .LBB22_3358
.LBB22_3354:
	s_mov_b32 s4, -1
                                        ; implicit-def: $vgpr10
.LBB22_3355:
	s_delay_alu instid0(SALU_CYCLE_1)
	s_and_b32 vcc_lo, exec_lo, s4
	s_cbranch_vccz .LBB22_3357
; %bb.3356:
	global_load_u8 v1, v[4:5], off
	s_wait_loadcnt 0x0
	v_lshlrev_b32_e32 v1, 24, v1
	s_delay_alu instid0(VALU_DEP_1) | instskip(NEXT) | instid1(VALU_DEP_1)
	v_and_b32_e32 v3, 0x7f000000, v1
	v_clz_i32_u32_e32 v7, v3
	v_add_nc_u32_e32 v10, 0x1000000, v3
	v_cmp_ne_u32_e32 vcc_lo, 0, v3
	s_delay_alu instid0(VALU_DEP_3) | instskip(NEXT) | instid1(VALU_DEP_1)
	v_min_u32_e32 v7, 32, v7
	v_sub_nc_u32_e64 v7, v7, 4 clamp
	s_delay_alu instid0(VALU_DEP_1) | instskip(NEXT) | instid1(VALU_DEP_1)
	v_lshlrev_b32_e32 v9, v7, v3
	v_dual_lshlrev_b32 v7, 23, v7 :: v_dual_lshrrev_b32 v9, 4, v9
	s_delay_alu instid0(VALU_DEP_1) | instskip(NEXT) | instid1(VALU_DEP_1)
	v_dual_sub_nc_u32 v7, v9, v7 :: v_dual_ashrrev_i32 v9, 8, v10
	v_add_nc_u32_e32 v7, 0x3c000000, v7
	s_delay_alu instid0(VALU_DEP_1) | instskip(NEXT) | instid1(VALU_DEP_1)
	v_and_or_b32 v7, 0x7f800000, v9, v7
	v_cndmask_b32_e32 v3, 0, v7, vcc_lo
	s_delay_alu instid0(VALU_DEP_1) | instskip(NEXT) | instid1(VALU_DEP_1)
	v_and_or_b32 v1, 0x80000000, v1, v3
	v_cvt_i32_f32_e32 v10, v1
.LBB22_3357:
	s_mov_b32 s4, 0
.LBB22_3358:
	s_delay_alu instid0(SALU_CYCLE_1)
	s_and_not1_b32 vcc_lo, exec_lo, s4
	s_cbranch_vccnz .LBB22_3360
; %bb.3359:
	global_load_u8 v1, v[4:5], off
	s_wait_loadcnt 0x0
	v_lshlrev_b32_e32 v3, 25, v1
	v_lshlrev_b16 v1, 8, v1
	s_delay_alu instid0(VALU_DEP_2) | instskip(NEXT) | instid1(VALU_DEP_2)
	v_cmp_gt_u32_e32 vcc_lo, 0x8000000, v3
	v_and_or_b32 v9, 0x7f00, v1, 0.5
	v_lshrrev_b32_e32 v7, 4, v3
	v_bfe_i32 v1, v1, 0, 16
	s_delay_alu instid0(VALU_DEP_3) | instskip(NEXT) | instid1(VALU_DEP_3)
	v_add_f32_e32 v9, -0.5, v9
	v_or_b32_e32 v7, 0x70000000, v7
	s_delay_alu instid0(VALU_DEP_1) | instskip(NEXT) | instid1(VALU_DEP_1)
	v_mul_f32_e32 v7, 0x7800000, v7
	v_cndmask_b32_e32 v3, v7, v9, vcc_lo
	s_delay_alu instid0(VALU_DEP_1) | instskip(NEXT) | instid1(VALU_DEP_1)
	v_and_or_b32 v1, 0x80000000, v1, v3
	v_cvt_i32_f32_e32 v10, v1
.LBB22_3360:
	s_mov_b32 s4, 0
	s_mov_b32 s5, -1
.LBB22_3361:
	s_and_not1_b32 vcc_lo, exec_lo, s4
	s_mov_b32 s4, 0
	s_cbranch_vccnz .LBB22_3372
; %bb.3362:
	s_cmp_gt_i32 s0, 14
	s_cbranch_scc0 .LBB22_3365
; %bb.3363:
	s_cmp_eq_u32 s0, 15
	s_cbranch_scc0 .LBB22_3368
; %bb.3364:
	global_load_u16 v1, v[4:5], off
	s_mov_b32 s1, 0
	s_mov_b32 s5, -1
	s_wait_loadcnt 0x0
	v_lshlrev_b32_e32 v1, 16, v1
	s_delay_alu instid0(VALU_DEP_1)
	v_cvt_i32_f32_e32 v10, v1
	s_branch .LBB22_3370
.LBB22_3365:
	s_mov_b32 s4, -1
	s_branch .LBB22_3369
.LBB22_3366:
	s_and_not1_saveexec_b32 s4, s4
	s_cbranch_execz .LBB22_3347
.LBB22_3367:
	v_cmp_ne_u16_e32 vcc_lo, 0, v1
	s_and_not1_b32 s5, s5, exec_lo
	s_and_b32 s6, vcc_lo, exec_lo
	s_delay_alu instid0(SALU_CYCLE_1)
	s_or_b32 s5, s5, s6
	s_or_b32 exec_lo, exec_lo, s4
	v_mov_b32_e32 v10, 0
	s_and_saveexec_b32 s4, s5
	s_cbranch_execnz .LBB22_3348
	s_branch .LBB22_3349
.LBB22_3368:
	s_mov_b32 s1, -1
.LBB22_3369:
                                        ; implicit-def: $vgpr10
.LBB22_3370:
	s_and_b32 vcc_lo, exec_lo, s4
	s_mov_b32 s4, 0
	s_cbranch_vccz .LBB22_3372
; %bb.3371:
	s_cmp_lg_u32 s0, 11
	s_mov_b32 s4, -1
	s_cselect_b32 s1, -1, 0
.LBB22_3372:
	s_delay_alu instid0(SALU_CYCLE_1)
	s_and_b32 vcc_lo, exec_lo, s1
	s_cbranch_vccnz .LBB22_3499
; %bb.3373:
	s_and_not1_b32 vcc_lo, exec_lo, s4
	s_cbranch_vccnz .LBB22_3375
.LBB22_3374:
	global_load_u8 v1, v[4:5], off
	s_mov_b32 s5, -1
	s_wait_loadcnt 0x0
	v_cmp_ne_u16_e32 vcc_lo, 0, v1
	v_cndmask_b32_e64 v10, 0, 1, vcc_lo
.LBB22_3375:
	s_mov_b32 s0, 0
.LBB22_3376:
	s_delay_alu instid0(SALU_CYCLE_1)
	s_and_b32 vcc_lo, exec_lo, s0
	s_cbranch_vccz .LBB22_3425
; %bb.3377:
	s_and_b32 s0, 0xffff, s52
	s_delay_alu instid0(SALU_CYCLE_1)
	s_cmp_lt_i32 s0, 5
	s_cbranch_scc1 .LBB22_3382
; %bb.3378:
	s_cmp_lt_i32 s0, 8
	s_cbranch_scc1 .LBB22_3383
; %bb.3379:
	;; [unrolled: 3-line block ×3, first 2 shown]
	s_cmp_gt_i32 s0, 9
	s_cbranch_scc0 .LBB22_3385
; %bb.3381:
	s_wait_loadcnt 0x0
	global_load_b64 v[10:11], v[4:5], off
	s_mov_b32 s1, 0
	s_wait_loadcnt 0x0
	v_cvt_i32_f64_e32 v10, v[10:11]
	s_branch .LBB22_3386
.LBB22_3382:
	s_mov_b32 s1, -1
                                        ; implicit-def: $vgpr10
	s_branch .LBB22_3404
.LBB22_3383:
	s_mov_b32 s1, -1
                                        ; implicit-def: $vgpr10
	s_branch .LBB22_3392
.LBB22_3384:
	s_mov_b32 s1, -1
                                        ; implicit-def: $vgpr10
	s_branch .LBB22_3389
.LBB22_3385:
	s_mov_b32 s1, -1
                                        ; implicit-def: $vgpr10
.LBB22_3386:
	s_delay_alu instid0(SALU_CYCLE_1)
	s_and_not1_b32 vcc_lo, exec_lo, s1
	s_cbranch_vccnz .LBB22_3388
; %bb.3387:
	global_load_b32 v1, v[4:5], off
	s_wait_loadcnt 0x0
	v_cvt_i32_f32_e32 v10, v1
.LBB22_3388:
	s_mov_b32 s1, 0
.LBB22_3389:
	s_delay_alu instid0(SALU_CYCLE_1)
	s_and_not1_b32 vcc_lo, exec_lo, s1
	s_cbranch_vccnz .LBB22_3391
; %bb.3390:
	global_load_b32 v1, v[4:5], off
	s_wait_loadcnt 0x0
	v_cvt_f32_f16_e32 v1, v1
	s_delay_alu instid0(VALU_DEP_1)
	v_cvt_i32_f32_e32 v10, v1
.LBB22_3391:
	s_mov_b32 s1, 0
.LBB22_3392:
	s_delay_alu instid0(SALU_CYCLE_1)
	s_and_not1_b32 vcc_lo, exec_lo, s1
	s_cbranch_vccnz .LBB22_3403
; %bb.3393:
	s_cmp_lt_i32 s0, 6
	s_cbranch_scc1 .LBB22_3396
; %bb.3394:
	s_cmp_gt_i32 s0, 6
	s_cbranch_scc0 .LBB22_3397
; %bb.3395:
	s_wait_loadcnt 0x0
	global_load_b64 v[10:11], v[4:5], off
	s_mov_b32 s1, 0
	s_wait_loadcnt 0x0
	v_cvt_i32_f64_e32 v10, v[10:11]
	s_branch .LBB22_3398
.LBB22_3396:
	s_mov_b32 s1, -1
                                        ; implicit-def: $vgpr10
	s_branch .LBB22_3401
.LBB22_3397:
	s_mov_b32 s1, -1
                                        ; implicit-def: $vgpr10
.LBB22_3398:
	s_delay_alu instid0(SALU_CYCLE_1)
	s_and_not1_b32 vcc_lo, exec_lo, s1
	s_cbranch_vccnz .LBB22_3400
; %bb.3399:
	global_load_b32 v1, v[4:5], off
	s_wait_loadcnt 0x0
	v_cvt_i32_f32_e32 v10, v1
.LBB22_3400:
	s_mov_b32 s1, 0
.LBB22_3401:
	s_delay_alu instid0(SALU_CYCLE_1)
	s_and_not1_b32 vcc_lo, exec_lo, s1
	s_cbranch_vccnz .LBB22_3403
; %bb.3402:
	global_load_u16 v1, v[4:5], off
	s_wait_loadcnt 0x0
	v_cvt_f32_f16_e32 v1, v1
	s_delay_alu instid0(VALU_DEP_1)
	v_cvt_i32_f32_e32 v10, v1
.LBB22_3403:
	s_mov_b32 s1, 0
.LBB22_3404:
	s_delay_alu instid0(SALU_CYCLE_1)
	s_and_not1_b32 vcc_lo, exec_lo, s1
	s_cbranch_vccnz .LBB22_3424
; %bb.3405:
	s_cmp_lt_i32 s0, 2
	s_cbranch_scc1 .LBB22_3409
; %bb.3406:
	s_cmp_lt_i32 s0, 3
	s_cbranch_scc1 .LBB22_3410
; %bb.3407:
	s_cmp_gt_i32 s0, 3
	s_cbranch_scc0 .LBB22_3411
; %bb.3408:
	s_wait_loadcnt 0x0
	global_load_b32 v10, v[4:5], off
	s_mov_b32 s1, 0
	s_branch .LBB22_3412
.LBB22_3409:
	s_mov_b32 s1, -1
                                        ; implicit-def: $vgpr10
	s_branch .LBB22_3418
.LBB22_3410:
	s_mov_b32 s1, -1
                                        ; implicit-def: $vgpr10
	s_branch .LBB22_3415
.LBB22_3411:
	s_mov_b32 s1, -1
                                        ; implicit-def: $vgpr10
.LBB22_3412:
	s_delay_alu instid0(SALU_CYCLE_1)
	s_and_not1_b32 vcc_lo, exec_lo, s1
	s_cbranch_vccnz .LBB22_3414
; %bb.3413:
	s_wait_loadcnt 0x0
	global_load_b32 v10, v[4:5], off
.LBB22_3414:
	s_mov_b32 s1, 0
.LBB22_3415:
	s_delay_alu instid0(SALU_CYCLE_1)
	s_and_not1_b32 vcc_lo, exec_lo, s1
	s_cbranch_vccnz .LBB22_3417
; %bb.3416:
	s_wait_loadcnt 0x0
	global_load_i16 v10, v[4:5], off
.LBB22_3417:
	s_mov_b32 s1, 0
.LBB22_3418:
	s_delay_alu instid0(SALU_CYCLE_1)
	s_and_not1_b32 vcc_lo, exec_lo, s1
	s_cbranch_vccnz .LBB22_3424
; %bb.3419:
	s_cmp_gt_i32 s0, 0
	s_mov_b32 s0, 0
	s_cbranch_scc0 .LBB22_3421
; %bb.3420:
	s_wait_loadcnt 0x0
	global_load_i8 v10, v[4:5], off
	s_branch .LBB22_3422
.LBB22_3421:
	s_mov_b32 s0, -1
                                        ; implicit-def: $vgpr10
.LBB22_3422:
	s_delay_alu instid0(SALU_CYCLE_1)
	s_and_not1_b32 vcc_lo, exec_lo, s0
	s_cbranch_vccnz .LBB22_3424
; %bb.3423:
	s_wait_loadcnt 0x0
	global_load_u8 v10, v[4:5], off
.LBB22_3424:
	s_mov_b32 s5, -1
.LBB22_3425:
	s_delay_alu instid0(SALU_CYCLE_1)
	s_and_not1_b32 vcc_lo, exec_lo, s5
	s_cbranch_vccnz .LBB22_3434
; %bb.3426:
	s_load_b32 s4, s[24:25], 0x48
	s_get_pc_i64 s[0:1]
	s_add_nc_u64 s[0:1], s[0:1], .str.1@rel64+4
	s_delay_alu instid0(SALU_CYCLE_1) | instskip(SKIP_4) | instid1(SALU_CYCLE_1)
	s_cmp_eq_u64 s[0:1], 0
	s_cselect_b32 s0, -1, 0
	s_wait_kmcnt 0x0
	v_cmp_ne_u32_e32 vcc_lo, s4, v23
	s_or_b32 s0, s0, vcc_lo
	s_and_saveexec_b32 s1, s0
	s_delay_alu instid0(SALU_CYCLE_1)
	s_xor_b32 s0, exec_lo, s1
	s_cbranch_execnz .LBB22_3809
.LBB22_3427:
	s_or_saveexec_b32 s39, s0
	s_mov_b32 s1, 0
	s_mov_b32 s4, 0
                                        ; implicit-def: $vgpr14_vgpr15
                                        ; implicit-def: $sgpr0
	s_xor_b32 exec_lo, exec_lo, s39
	s_cbranch_execz .LBB22_4323
; %bb.3428:
	s_load_b64 s[6:7], s[24:25], 0x58
	s_get_pc_i64 s[0:1]
	s_add_nc_u64 s[0:1], s[0:1], .str.2@rel64+4
	s_mov_b32 s40, s38
	s_cmp_eq_u64 s[0:1], 0
	s_cselect_b32 s0, -1, 0
	s_wait_kmcnt 0x0
	v_cmp_ne_u32_e32 vcc_lo, s6, v24
	s_or_b32 s0, s0, vcc_lo
	s_delay_alu instid0(SALU_CYCLE_1) | instskip(NEXT) | instid1(SALU_CYCLE_1)
	s_and_saveexec_b32 s1, s0
	s_xor_b32 s0, exec_lo, s1
	s_cbranch_execnz .LBB22_3938
; %bb.3429:
	s_or_saveexec_b32 s41, s0
	s_mov_b32 s1, 0
                                        ; implicit-def: $vgpr14_vgpr15
                                        ; implicit-def: $sgpr0
	s_xor_b32 exec_lo, exec_lo, s41
	s_cbranch_execz .LBB22_4322
.LBB22_3430:
	s_load_b64 s[18:19], s[24:25], 0x50
	v_sub_nc_u32_e32 v1, v2, v0
	s_get_pc_i64 s[4:5]
	s_add_nc_u64 s[4:5], s[4:5], .str.3@rel64+4
	s_wait_kmcnt 0x0
	s_mov_b32 s19, s40
	v_cmp_gt_i32_e32 vcc_lo, v23, v1
	v_cmp_lt_i32_e64 s0, s18, v1
	s_or_b32 s0, vcc_lo, s0
	s_cmp_eq_u64 s[4:5], 0
	s_cselect_b32 s1, -1, 0
	s_delay_alu instid0(SALU_CYCLE_1) | instskip(NEXT) | instid1(SALU_CYCLE_1)
	s_or_b32 s0, s1, s0
	s_and_saveexec_b32 s1, s0
	s_delay_alu instid0(SALU_CYCLE_1)
	s_xor_b32 s0, exec_lo, s1
	s_cbranch_execnz .LBB22_4067
.LBB22_3431:
	s_or_saveexec_b32 s42, s0
	s_mov_b32 s1, 0
	s_mov_b32 s4, 0
                                        ; implicit-def: $vgpr14_vgpr15
                                        ; implicit-def: $sgpr0
	s_xor_b32 exec_lo, exec_lo, s42
	s_cbranch_execz .LBB22_4321
; %bb.3432:
	s_load_b32 s46, s[24:25], 0x60
	v_cmp_gt_i64_e64 s0, s[6:7], 0
	v_mov_b64_e32 v[4:5], 0
	s_wait_kmcnt 0x0
	s_add_co_i32 s4, s46, -1
	s_delay_alu instid0(SALU_CYCLE_1) | instskip(SKIP_1) | instid1(SALU_CYCLE_1)
	s_cmp_gt_i32 s4, -1
	s_cselect_b32 s1, -1, 0
	s_and_b32 s0, s0, s1
	s_delay_alu instid0(SALU_CYCLE_1) | instskip(NEXT) | instid1(VALU_DEP_1)
	v_cndmask_b32_e64 v25, 0, 1, s0
	v_cmp_ne_u32_e32 vcc_lo, 1, v25
	s_cbranch_vccnz .LBB22_3484
; %bb.3433:
	s_wait_loadcnt 0x0
	v_ashrrev_i32_e32 v11, 31, v10
	s_mov_b32 s1, 0
	v_mov_b64_e32 v[4:5], 0
	s_mov_b32 s5, s1
	s_mov_b64 s[20:21], 0xffffffff
	v_mul_u64_e32 v[12:13], s[6:7], v[10:11]
	s_lshl_b64 s[22:23], s[4:5], 3
	v_mov_b32_e32 v10, 0
	s_add_nc_u64 s[22:23], s[24:25], s[22:23]
	s_mov_b32 s5, s46
	s_add_nc_u64 s[22:23], s[22:23], 0x68
	s_branch .LBB22_3480
.LBB22_3434:
	s_mov_b32 s1, 0
	s_mov_b32 s4, 0
                                        ; implicit-def: $vgpr14_vgpr15
                                        ; implicit-def: $sgpr0
.LBB22_3435:
	s_and_not1_b32 s2, s36, exec_lo
	s_and_b32 s3, s38, exec_lo
	s_and_b32 s4, s4, exec_lo
	;; [unrolled: 1-line block ×3, first 2 shown]
	s_or_b32 s36, s2, s3
.LBB22_3436:
	s_wait_xcnt 0x0
	s_or_b32 exec_lo, exec_lo, s37
	s_and_saveexec_b32 s1, s36
	s_cbranch_execz .LBB22_3439
; %bb.3437:
	; divergent unreachable
	s_or_b32 exec_lo, exec_lo, s1
	s_and_saveexec_b32 s1, s46
	s_delay_alu instid0(SALU_CYCLE_1)
	s_xor_b32 s1, exec_lo, s1
	s_cbranch_execnz .LBB22_3440
.LBB22_3438:
	s_or_b32 exec_lo, exec_lo, s1
	s_and_saveexec_b32 s1, s4
	s_cbranch_execnz .LBB22_3441
	s_branch .LBB22_3478
.LBB22_3439:
	s_or_b32 exec_lo, exec_lo, s1
	s_and_saveexec_b32 s1, s46
	s_delay_alu instid0(SALU_CYCLE_1)
	s_xor_b32 s1, exec_lo, s1
	s_cbranch_execz .LBB22_3438
.LBB22_3440:
	s_wait_loadcnt 0x0
	v_mov_b32_e32 v0, 0
	global_store_b8 v[14:15], v0, off
	s_wait_xcnt 0x0
	s_or_b32 exec_lo, exec_lo, s1
	s_and_saveexec_b32 s1, s4
	s_cbranch_execz .LBB22_3478
.LBB22_3441:
	s_sext_i32_i16 s2, s0
	s_mov_b32 s1, -1
	s_cmp_lt_i32 s2, 5
	s_cbranch_scc1 .LBB22_3462
; %bb.3442:
	s_cmp_lt_i32 s2, 8
	s_cbranch_scc1 .LBB22_3452
; %bb.3443:
	;; [unrolled: 3-line block ×3, first 2 shown]
	s_cmp_gt_i32 s2, 9
	s_cbranch_scc0 .LBB22_3446
; %bb.3445:
	s_wait_loadcnt 0x0
	v_mov_b32_e32 v0, 0
	s_mov_b32 s1, 0
	s_delay_alu instid0(VALU_DEP_1)
	v_dual_mov_b32 v1, v0 :: v_dual_mov_b32 v2, v0
	v_mov_b32_e32 v3, v0
	global_store_b128 v[14:15], v[0:3], off
.LBB22_3446:
	s_and_not1_b32 vcc_lo, exec_lo, s1
	s_cbranch_vccnz .LBB22_3448
; %bb.3447:
	s_wait_loadcnt 0x0
	v_mov_b64_e32 v[0:1], 0
	global_store_b64 v[14:15], v[0:1], off
.LBB22_3448:
	s_mov_b32 s1, 0
.LBB22_3449:
	s_delay_alu instid0(SALU_CYCLE_1)
	s_and_not1_b32 vcc_lo, exec_lo, s1
	s_cbranch_vccnz .LBB22_3451
; %bb.3450:
	s_wait_loadcnt 0x0
	v_mov_b32_e32 v0, 0
	global_store_b32 v[14:15], v0, off
.LBB22_3451:
	s_mov_b32 s1, 0
.LBB22_3452:
	s_delay_alu instid0(SALU_CYCLE_1)
	s_and_not1_b32 vcc_lo, exec_lo, s1
	s_cbranch_vccnz .LBB22_3461
; %bb.3453:
	s_sext_i32_i16 s2, s0
	s_mov_b32 s1, -1
	s_cmp_lt_i32 s2, 6
	s_cbranch_scc1 .LBB22_3459
; %bb.3454:
	s_cmp_gt_i32 s2, 6
	s_cbranch_scc0 .LBB22_3456
; %bb.3455:
	s_wait_loadcnt 0x0
	v_mov_b64_e32 v[0:1], 0
	s_mov_b32 s1, 0
	global_store_b64 v[14:15], v[0:1], off
.LBB22_3456:
	s_and_not1_b32 vcc_lo, exec_lo, s1
	s_cbranch_vccnz .LBB22_3458
; %bb.3457:
	s_wait_loadcnt 0x0
	v_mov_b32_e32 v0, 0
	global_store_b32 v[14:15], v0, off
.LBB22_3458:
	s_mov_b32 s1, 0
.LBB22_3459:
	s_delay_alu instid0(SALU_CYCLE_1)
	s_and_not1_b32 vcc_lo, exec_lo, s1
	s_cbranch_vccnz .LBB22_3461
; %bb.3460:
	s_wait_loadcnt 0x0
	v_mov_b32_e32 v0, 0
	global_store_b16 v[14:15], v0, off
.LBB22_3461:
	s_mov_b32 s1, 0
.LBB22_3462:
	s_delay_alu instid0(SALU_CYCLE_1)
	s_and_not1_b32 vcc_lo, exec_lo, s1
	s_cbranch_vccnz .LBB22_3478
; %bb.3463:
	s_sext_i32_i16 s2, s0
	s_mov_b32 s1, -1
	s_cmp_lt_i32 s2, 2
	s_cbranch_scc1 .LBB22_3473
; %bb.3464:
	s_cmp_lt_i32 s2, 3
	s_cbranch_scc1 .LBB22_3470
; %bb.3465:
	s_cmp_gt_i32 s2, 3
	s_cbranch_scc0 .LBB22_3467
; %bb.3466:
	s_wait_loadcnt 0x0
	v_mov_b64_e32 v[0:1], 0
	s_mov_b32 s1, 0
	global_store_b64 v[14:15], v[0:1], off
.LBB22_3467:
	s_and_not1_b32 vcc_lo, exec_lo, s1
	s_cbranch_vccnz .LBB22_3469
; %bb.3468:
	s_wait_loadcnt 0x0
	v_mov_b32_e32 v0, 0
	global_store_b32 v[14:15], v0, off
.LBB22_3469:
	s_mov_b32 s1, 0
.LBB22_3470:
	s_delay_alu instid0(SALU_CYCLE_1)
	s_and_not1_b32 vcc_lo, exec_lo, s1
	s_cbranch_vccnz .LBB22_3472
; %bb.3471:
	s_wait_loadcnt 0x0
	v_mov_b32_e32 v0, 0
	global_store_b16 v[14:15], v0, off
.LBB22_3472:
	s_mov_b32 s1, 0
.LBB22_3473:
	s_delay_alu instid0(SALU_CYCLE_1)
	s_and_not1_b32 vcc_lo, exec_lo, s1
	s_cbranch_vccnz .LBB22_3478
; %bb.3474:
	s_sext_i32_i16 s0, s0
	s_delay_alu instid0(SALU_CYCLE_1)
	s_cmp_gt_i32 s0, 0
	s_mov_b32 s0, -1
	s_cbranch_scc0 .LBB22_3476
; %bb.3475:
	s_wait_loadcnt 0x0
	v_mov_b32_e32 v0, 0
	s_mov_b32 s0, 0
	global_store_b8 v[14:15], v0, off
.LBB22_3476:
	s_and_not1_b32 vcc_lo, exec_lo, s0
	s_cbranch_vccnz .LBB22_3478
; %bb.3477:
	s_wait_loadcnt 0x0
	v_mov_b32_e32 v0, 0
	global_store_b8 v[14:15], v0, off
	s_endpgm
.LBB22_3478:
	s_endpgm
.LBB22_3479:                            ;   in Loop: Header=BB22_3480 Depth=1
	s_or_b32 exec_lo, exec_lo, s0
	s_delay_alu instid0(VALU_DEP_1)
	v_mul_u64_e32 v[16:17], s[26:27], v[14:15]
	s_load_b64 s[26:27], s[22:23], 0x40
	s_add_co_i32 s5, s5, -1
	s_wait_xcnt 0x0
	s_add_nc_u64 s[22:23], s[22:23], -8
	s_cmp_eq_u32 s5, 0
	s_delay_alu instid0(VALU_DEP_1) | instskip(SKIP_1) | instid1(VALU_DEP_1)
	v_sub_nc_u64_e32 v[12:13], v[12:13], v[16:17]
	s_wait_kmcnt 0x0
	v_mad_nc_u64_u32 v[4:5], v12, s26, v[4:5]
	s_delay_alu instid0(VALU_DEP_1) | instskip(NEXT) | instid1(VALU_DEP_1)
	v_mad_u32 v1, v13, s26, v5
	v_mad_u32 v5, v12, s27, v1
	v_mov_b64_e32 v[12:13], v[14:15]
	s_cbranch_scc1 .LBB22_3484
.LBB22_3480:                            ; =>This Inner Loop Header: Depth=1
	s_load_b64 s[26:27], s[22:23], 0x0
                                        ; implicit-def: $vgpr14_vgpr15
	s_mov_b32 s0, exec_lo
	s_wait_kmcnt 0x0
	s_delay_alu instid0(VALU_DEP_1) | instskip(NEXT) | instid1(VALU_DEP_1)
	v_or_b32_e32 v11, s27, v13
	v_cmpx_ne_u64_e32 0, v[10:11]
	s_xor_b32 s43, exec_lo, s0
	s_cbranch_execz .LBB22_3482
; %bb.3481:                             ;   in Loop: Header=BB22_3480 Depth=1
	s_ashr_i32 s28, s27, 31
	v_dual_mov_b32 v19, v10 :: v_dual_ashrrev_i32 v14, 31, v13
	s_mov_b32 s29, s28
	v_mov_b32_e32 v31, v10
	s_add_nc_u64 s[30:31], s[26:27], s[28:29]
	s_delay_alu instid0(VALU_DEP_2) | instskip(SKIP_1) | instid1(SALU_CYCLE_1)
	v_mov_b32_e32 v15, v14
	s_xor_b64 s[30:31], s[30:31], s[28:29]
	s_cvt_f32_u32 s0, s30
	s_cvt_f32_u32 s29, s31
	s_sub_nc_u64 s[56:57], 0, s[30:31]
	v_add_nc_u64_e32 v[16:17], v[12:13], v[14:15]
	v_mov_b32_e32 v27, v10
	s_fmamk_f32 s0, s29, 0x4f800000, s0
	s_delay_alu instid0(SALU_CYCLE_3) | instskip(NEXT) | instid1(VALU_DEP_2)
	v_s_rcp_f32 s0, s0
	v_xor_b32_e32 v18, v16, v14
	s_delay_alu instid0(VALU_DEP_3) | instskip(NEXT) | instid1(TRANS32_DEP_1)
	v_xor_b32_e32 v26, v17, v14
	s_mul_f32 s0, s0, 0x5f7ffffc
	s_delay_alu instid0(SALU_CYCLE_3) | instskip(NEXT) | instid1(SALU_CYCLE_3)
	s_mul_f32 s29, s0, 0x2f800000
	s_trunc_f32 s29, s29
	s_delay_alu instid0(SALU_CYCLE_3) | instskip(SKIP_1) | instid1(SALU_CYCLE_2)
	s_fmamk_f32 s0, s29, 0xcf800000, s0
	s_cvt_u32_f32 s45, s29
	s_cvt_u32_f32 s44, s0
	s_delay_alu instid0(SALU_CYCLE_3) | instskip(NEXT) | instid1(SALU_CYCLE_1)
	s_mul_u64 s[58:59], s[56:57], s[44:45]
	s_mul_hi_u32 s65, s44, s59
	s_mul_i32 s64, s44, s59
	s_mul_hi_u32 s0, s44, s58
	s_mul_i32 s47, s45, s58
	s_add_nc_u64 s[64:65], s[0:1], s[64:65]
	s_mul_hi_u32 s29, s45, s58
	s_mul_hi_u32 s53, s45, s59
	s_add_co_u32 s0, s64, s47
	s_add_co_ci_u32 s0, s65, s29
	s_mul_i32 s58, s45, s59
	s_add_co_ci_u32 s59, s53, 0
	s_delay_alu instid0(SALU_CYCLE_1) | instskip(NEXT) | instid1(SALU_CYCLE_1)
	s_add_nc_u64 s[58:59], s[0:1], s[58:59]
	s_add_co_u32 s44, s44, s58
	s_cselect_b32 s0, -1, 0
	s_delay_alu instid0(SALU_CYCLE_1) | instskip(SKIP_1) | instid1(SALU_CYCLE_1)
	s_cmp_lg_u32 s0, 0
	s_add_co_ci_u32 s45, s45, s59
	s_mul_u64 s[56:57], s[56:57], s[44:45]
	s_delay_alu instid0(SALU_CYCLE_1)
	s_mul_hi_u32 s59, s44, s57
	s_mul_i32 s58, s44, s57
	s_mul_hi_u32 s0, s44, s56
	s_mul_i32 s47, s45, s56
	s_add_nc_u64 s[58:59], s[0:1], s[58:59]
	s_mul_hi_u32 s29, s45, s56
	s_mul_hi_u32 s53, s45, s57
	s_add_co_u32 s0, s58, s47
	s_add_co_ci_u32 s0, s59, s29
	s_mul_i32 s56, s45, s57
	s_add_co_ci_u32 s57, s53, 0
	s_delay_alu instid0(SALU_CYCLE_1) | instskip(NEXT) | instid1(SALU_CYCLE_1)
	s_add_nc_u64 s[56:57], s[0:1], s[56:57]
	s_add_co_u32 s44, s44, s56
	s_cselect_b32 s0, -1, 0
	v_mul_hi_u32 v30, v18, s44
	s_cmp_lg_u32 s0, 0
	s_add_co_ci_u32 s0, s45, s57
	s_and_b64 s[56:57], s[44:45], s[20:21]
	v_mul_u64_e32 v[20:21], s[0:1], v[18:19]
	v_mul_u64_e32 v[16:17], s[56:57], v[26:27]
	;; [unrolled: 1-line block ×3, first 2 shown]
	s_delay_alu instid0(VALU_DEP_3) | instskip(NEXT) | instid1(VALU_DEP_1)
	v_add_nc_u64_e32 v[20:21], v[30:31], v[20:21]
	v_add_co_u32 v1, vcc_lo, v20, v16
	s_delay_alu instid0(VALU_DEP_2) | instskip(NEXT) | instid1(VALU_DEP_4)
	v_add_co_ci_u32_e32 v30, vcc_lo, v21, v17, vcc_lo
	v_add_co_ci_u32_e32 v29, vcc_lo, 0, v29, vcc_lo
	s_delay_alu instid0(VALU_DEP_1) | instskip(NEXT) | instid1(VALU_DEP_1)
	v_add_nc_u64_e32 v[16:17], v[30:31], v[28:29]
	v_mul_u64_e32 v[20:21], s[30:31], v[16:17]
	s_delay_alu instid0(VALU_DEP_1) | instskip(NEXT) | instid1(VALU_DEP_2)
	v_sub_nc_u32_e32 v1, v26, v21
	v_sub_co_u32 v3, vcc_lo, v18, v20
	s_delay_alu instid0(VALU_DEP_1) | instskip(NEXT) | instid1(VALU_DEP_3)
	v_sub_co_ci_u32_e64 v9, null, v26, v21, vcc_lo
	v_subrev_co_ci_u32_e64 v1, null, s31, v1, vcc_lo
	s_delay_alu instid0(VALU_DEP_3) | instskip(SKIP_1) | instid1(VALU_DEP_3)
	v_sub_co_u32 v7, s0, v3, s30
	v_add_nc_u64_e32 v[18:19], 2, v[16:17]
	v_subrev_co_ci_u32_e64 v1, null, 0, v1, s0
	s_delay_alu instid0(VALU_DEP_3) | instskip(SKIP_2) | instid1(VALU_DEP_4)
	v_cmp_le_u32_e32 vcc_lo, s30, v7
	v_add_nc_u64_e32 v[20:21], 1, v[16:17]
	v_cndmask_b32_e64 v7, 0, -1, vcc_lo
	v_cmp_le_u32_e32 vcc_lo, s31, v1
	v_cndmask_b32_e64 v11, 0, -1, vcc_lo
	v_cmp_le_u32_e32 vcc_lo, s30, v3
	;; [unrolled: 2-line block ×3, first 2 shown]
	v_cndmask_b32_e64 v15, 0, -1, vcc_lo
	v_cmp_eq_u32_e32 vcc_lo, s31, v1
	v_cndmask_b32_e32 v1, v11, v7, vcc_lo
	v_cmp_eq_u32_e32 vcc_lo, s31, v9
	s_delay_alu instid0(VALU_DEP_4) | instskip(NEXT) | instid1(VALU_DEP_3)
	v_cndmask_b32_e32 v3, v15, v3, vcc_lo
	v_cmp_ne_u32_e32 vcc_lo, 0, v1
	s_delay_alu instid0(VALU_DEP_2) | instskip(SKIP_1) | instid1(VALU_DEP_1)
	v_cmp_ne_u32_e64 s0, 0, v3
	v_dual_cndmask_b32 v1, v21, v19, vcc_lo :: v_dual_cndmask_b32 v3, v20, v18, vcc_lo
	v_dual_cndmask_b32 v1, v17, v1, s0 :: v_dual_bitop2_b32 v14, s28, v14 bitop3:0x14
	s_delay_alu instid0(VALU_DEP_1) | instskip(NEXT) | instid1(VALU_DEP_2)
	v_dual_cndmask_b32 v3, v16, v3, s0 :: v_dual_mov_b32 v15, v14
	v_xor_b32_e32 v17, v1, v14
	s_delay_alu instid0(VALU_DEP_2) | instskip(NEXT) | instid1(VALU_DEP_1)
	v_xor_b32_e32 v16, v3, v14
	v_sub_nc_u64_e32 v[14:15], v[16:17], v[14:15]
.LBB22_3482:                            ;   in Loop: Header=BB22_3480 Depth=1
	s_and_not1_saveexec_b32 s0, s43
	s_cbranch_execz .LBB22_3479
; %bb.3483:                             ;   in Loop: Header=BB22_3480 Depth=1
	v_cvt_f32_u32_e32 v1, s26
	s_sub_co_i32 s28, 0, s26
	v_mov_b32_e32 v15, v10
	s_delay_alu instid0(VALU_DEP_2) | instskip(SKIP_1) | instid1(TRANS32_DEP_1)
	v_rcp_iflag_f32_e32 v1, v1
	v_nop
	v_mul_f32_e32 v1, 0x4f7ffffe, v1
	s_delay_alu instid0(VALU_DEP_1) | instskip(NEXT) | instid1(VALU_DEP_1)
	v_cvt_u32_f32_e32 v1, v1
	v_mul_lo_u32 v3, s28, v1
	s_delay_alu instid0(VALU_DEP_1) | instskip(NEXT) | instid1(VALU_DEP_1)
	v_mul_hi_u32 v3, v1, v3
	v_add_nc_u32_e32 v1, v1, v3
	s_delay_alu instid0(VALU_DEP_1) | instskip(NEXT) | instid1(VALU_DEP_1)
	v_mul_hi_u32 v1, v12, v1
	v_mul_lo_u32 v3, v1, s26
	s_delay_alu instid0(VALU_DEP_1) | instskip(NEXT) | instid1(VALU_DEP_1)
	v_dual_add_nc_u32 v7, 1, v1 :: v_dual_sub_nc_u32 v3, v12, v3
	v_subrev_nc_u32_e32 v9, s26, v3
	v_cmp_le_u32_e32 vcc_lo, s26, v3
	s_delay_alu instid0(VALU_DEP_2) | instskip(NEXT) | instid1(VALU_DEP_1)
	v_dual_cndmask_b32 v3, v3, v9, vcc_lo :: v_dual_cndmask_b32 v1, v1, v7, vcc_lo
	v_cmp_le_u32_e32 vcc_lo, s26, v3
	s_delay_alu instid0(VALU_DEP_2) | instskip(NEXT) | instid1(VALU_DEP_1)
	v_add_nc_u32_e32 v7, 1, v1
	v_cndmask_b32_e32 v14, v1, v7, vcc_lo
	s_branch .LBB22_3479
.LBB22_3484:
	s_load_b64 s[20:21], s[24:25], 0xe8
	s_get_pc_i64 s[0:1]
	s_add_nc_u64 s[0:1], s[0:1], .str.4@rel64+4
	s_mov_b32 s22, -1
	s_cmp_lg_u64 s[0:1], 0
	s_mov_b32 s43, s19
	s_cselect_b32 s47, -1, 0
	s_mov_b32 s0, exec_lo
	v_cmpx_gt_i32_e64 v2, v0
	s_cbranch_execz .LBB22_3491
; %bb.3485:
	v_lshlrev_b64_e32 v[4:5], 2, v[4:5]
	v_dual_ashrrev_i32 v1, 31, v0 :: v_dual_ashrrev_i32 v3, 31, v2
	s_mov_b32 s5, 0
	s_xor_b32 s22, s47, -1
                                        ; implicit-def: $sgpr1
                                        ; implicit-def: $sgpr26
                                        ; implicit-def: $sgpr23
	s_delay_alu instid0(VALU_DEP_1) | instskip(SKIP_2) | instid1(VALU_DEP_2)
	v_lshl_add_u64 v[0:1], v[0:1], 2, v[4:5]
	s_wait_kmcnt 0x0
	v_add_nc_u64_e32 v[4:5], s[20:21], v[4:5]
	v_add_nc_u64_e32 v[0:1], s[20:21], v[0:1]
	s_delay_alu instid0(VALU_DEP_2) | instskip(NEXT) | instid1(VALU_DEP_2)
	v_lshl_add_u64 v[2:3], v[2:3], 2, v[4:5]
	v_add_nc_u64_e32 v[0:1], 4, v[0:1]
	s_branch .LBB22_3487
.LBB22_3486:                            ;   in Loop: Header=BB22_3487 Depth=1
	s_or_b32 exec_lo, exec_lo, s27
	s_xor_b32 s27, s23, -1
	s_and_b32 s28, exec_lo, s26
	s_delay_alu instid0(SALU_CYCLE_1) | instskip(SKIP_2) | instid1(SALU_CYCLE_1)
	s_or_b32 s5, s28, s5
	s_and_not1_b32 s1, s1, exec_lo
	s_and_b32 s27, s27, exec_lo
	s_or_b32 s1, s1, s27
	s_and_not1_b32 exec_lo, exec_lo, s5
	s_cbranch_execz .LBB22_3489
.LBB22_3487:                            ; =>This Inner Loop Header: Depth=1
	s_or_b32 s23, s23, exec_lo
	s_or_b32 s26, s26, exec_lo
	s_mov_b32 s27, exec_lo
	s_delay_alu instid0(VALU_DEP_1)
	v_cmpx_lt_u64_e64 v[0:1], v[2:3]
	s_cbranch_execz .LBB22_3486
; %bb.3488:                             ;   in Loop: Header=BB22_3487 Depth=1
	global_load_b64 v[4:5], v[0:1], off offset:-4
	s_wait_xcnt 0x0
	v_add_nc_u64_e32 v[0:1], 4, v[0:1]
	s_and_not1_b32 s26, s26, exec_lo
	s_and_not1_b32 s23, s23, exec_lo
	s_wait_loadcnt 0x0
	v_cmp_ge_i32_e32 vcc_lo, v4, v5
	s_or_b32 s28, s22, vcc_lo
	s_delay_alu instid0(SALU_CYCLE_1) | instskip(NEXT) | instid1(SALU_CYCLE_1)
	s_and_b32 s28, s28, exec_lo
	s_or_b32 s26, s26, s28
	s_branch .LBB22_3486
.LBB22_3489:
	s_or_b32 exec_lo, exec_lo, s5
	s_mov_b32 s5, -1
	s_mov_b32 s22, s19
	s_and_saveexec_b32 s23, s1
	s_delay_alu instid0(SALU_CYCLE_1)
	s_xor_b32 s1, exec_lo, s23
	s_cbranch_execnz .LBB22_3594
.LBB22_3490:
	s_or_b32 exec_lo, exec_lo, s1
	s_delay_alu instid0(SALU_CYCLE_1) | instskip(SKIP_1) | instid1(SALU_CYCLE_1)
	s_and_not1_b32 s1, s19, exec_lo
	s_and_b32 s22, s22, exec_lo
	s_or_b32 s43, s1, s22
	s_or_not1_b32 s22, s5, exec_lo
.LBB22_3491:
	s_or_b32 exec_lo, exec_lo, s0
	s_mov_b32 s1, 0
	s_mov_b32 s5, 0
                                        ; implicit-def: $vgpr14_vgpr15
                                        ; implicit-def: $sgpr0
	s_and_saveexec_b32 s44, s22
	s_cbranch_execz .LBB22_4320
; %bb.3492:
	v_add_nc_u32_e32 v7, 0x80, v22
	s_and_b32 s56, 0xffff, s34
	s_delay_alu instid0(SALU_CYCLE_1) | instskip(NEXT) | instid1(VALU_DEP_1)
	s_cmp_lt_i32 s56, 11
	v_mul_lo_u32 v0, s55, v7
	s_delay_alu instid0(VALU_DEP_1) | instskip(NEXT) | instid1(VALU_DEP_1)
	v_ashrrev_i32_e32 v1, 31, v0
	v_add_nc_u64_e32 v[2:3], s[8:9], v[0:1]
	s_cbranch_scc1 .LBB22_3500
; %bb.3493:
	s_cmp_gt_i32 s56, 25
	s_cbranch_scc0 .LBB22_3502
; %bb.3494:
	s_cmp_gt_i32 s56, 28
	s_cbranch_scc0 .LBB22_3504
	;; [unrolled: 3-line block ×4, first 2 shown]
; %bb.3497:
	s_cmp_eq_u32 s56, 46
	s_mov_b32 s22, 0
	s_cbranch_scc0 .LBB22_3682
; %bb.3498:
	global_load_b32 v1, v[2:3], off
	s_mov_b32 s0, 0
	s_mov_b32 s5, -1
	s_wait_loadcnt 0x0
	v_lshlrev_b32_e32 v1, 16, v1
	s_delay_alu instid0(VALU_DEP_1)
	v_cvt_i32_f32_e32 v1, v1
	s_branch .LBB22_3684
.LBB22_3499:
	s_or_b32 s38, s38, exec_lo
	s_trap 2
	s_cbranch_execz .LBB22_3374
	s_branch .LBB22_3375
.LBB22_3500:
	s_mov_b32 s0, -1
	s_mov_b32 s45, s43
                                        ; implicit-def: $vgpr1
	s_branch .LBB22_3746
.LBB22_3501:
	s_mov_b32 s37, -1
	s_mov_b32 s38, 0
	s_mov_b32 s27, s74
	s_branch .LBB22_3636
.LBB22_3502:
	s_mov_b32 s22, -1
	s_mov_b32 s0, 0
                                        ; implicit-def: $vgpr1
	s_branch .LBB22_3711
.LBB22_3503:
	s_mov_b32 s39, -1
	s_mov_b32 s38, 0
	s_mov_b32 s27, s74
	s_branch .LBB22_3616
.LBB22_3504:
	s_mov_b32 s22, -1
	s_mov_b32 s0, 0
                                        ; implicit-def: $vgpr1
	s_branch .LBB22_3694
.LBB22_3505:
	s_mov_b32 s39, -1
	s_mov_b32 s38, 0
	s_mov_b32 s27, s74
	s_branch .LBB22_3605
.LBB22_3506:
	s_mov_b32 s22, -1
	s_mov_b32 s0, 0
                                        ; implicit-def: $vgpr1
	s_branch .LBB22_3689
.LBB22_3507:
	s_mov_b32 s39, -1
	s_mov_b32 s38, 0
	s_mov_b32 s27, s54
.LBB22_3508:
	s_and_b32 vcc_lo, exec_lo, s39
	s_cbranch_vccz .LBB22_3511
; %bb.3509:
	s_cmp_eq_u32 s37, 44
	s_mov_b32 s27, -1
	s_cbranch_scc0 .LBB22_3511
; %bb.3510:
	s_wait_xcnt 0x0
	v_mov_b32_e32 v2, 0
	s_mov_b32 s38, -1
	s_mov_b32 s27, 0
	global_store_b8 v[0:1], v2, off
.LBB22_3511:
	s_mov_b32 s39, 0
.LBB22_3512:
	s_delay_alu instid0(SALU_CYCLE_1)
	s_and_b32 vcc_lo, exec_lo, s39
	s_cbranch_vccz .LBB22_3515
; %bb.3513:
	s_cmp_eq_u32 s37, 29
	s_mov_b32 s27, -1
	s_cbranch_scc0 .LBB22_3515
; %bb.3514:
	s_wait_xcnt 0x0
	v_mov_b64_e32 v[2:3], 0
	s_mov_b32 s38, -1
	s_mov_b32 s27, 0
	s_mov_b32 s39, 0
	global_store_b64 v[0:1], v[2:3], off
	s_branch .LBB22_3516
.LBB22_3515:
	s_mov_b32 s39, 0
.LBB22_3516:
	s_delay_alu instid0(SALU_CYCLE_1)
	s_and_b32 vcc_lo, exec_lo, s39
	s_cbranch_vccz .LBB22_3526
; %bb.3517:
	s_cmp_lt_i32 s37, 27
	s_mov_b32 s38, -1
	s_cbranch_scc1 .LBB22_3523
; %bb.3518:
	s_cmp_gt_i32 s37, 27
	s_cbranch_scc0 .LBB22_3520
; %bb.3519:
	s_wait_xcnt 0x0
	v_mov_b32_e32 v2, 0
	s_mov_b32 s38, 0
	global_store_b32 v[0:1], v2, off
.LBB22_3520:
	s_and_not1_b32 vcc_lo, exec_lo, s38
	s_cbranch_vccnz .LBB22_3522
; %bb.3521:
	s_wait_xcnt 0x0
	v_mov_b32_e32 v2, 0
	global_store_b16 v[0:1], v2, off
.LBB22_3522:
	s_mov_b32 s38, 0
.LBB22_3523:
	s_delay_alu instid0(SALU_CYCLE_1)
	s_and_not1_b32 vcc_lo, exec_lo, s38
	s_cbranch_vccnz .LBB22_3525
; %bb.3524:
	s_wait_xcnt 0x0
	v_mov_b32_e32 v2, 0
	global_store_b8 v[0:1], v2, off
.LBB22_3525:
	s_mov_b32 s38, -1
.LBB22_3526:
	s_mov_b32 s39, 0
.LBB22_3527:
	s_delay_alu instid0(SALU_CYCLE_1)
	s_and_b32 vcc_lo, exec_lo, s39
	s_cbranch_vccz .LBB22_3546
; %bb.3528:
	s_cmp_gt_i32 s37, 22
	s_mov_b32 s39, -1
	s_cbranch_scc0 .LBB22_3538
; %bb.3529:
	s_cmp_lt_i32 s37, 24
	s_mov_b32 s38, -1
	s_cbranch_scc1 .LBB22_3535
; %bb.3530:
	s_cmp_gt_i32 s37, 24
	s_cbranch_scc0 .LBB22_3532
; %bb.3531:
	s_wait_xcnt 0x0
	v_mov_b32_e32 v2, 0
	s_mov_b32 s38, 0
	global_store_b8 v[0:1], v2, off
.LBB22_3532:
	s_and_not1_b32 vcc_lo, exec_lo, s38
	s_cbranch_vccnz .LBB22_3534
; %bb.3533:
	s_wait_xcnt 0x0
	v_mov_b32_e32 v2, 0
	global_store_b8 v[0:1], v2, off
.LBB22_3534:
	s_mov_b32 s38, 0
.LBB22_3535:
	s_delay_alu instid0(SALU_CYCLE_1)
	s_and_not1_b32 vcc_lo, exec_lo, s38
	s_cbranch_vccnz .LBB22_3537
; %bb.3536:
	s_wait_xcnt 0x0
	v_mov_b32_e32 v2, 0
	global_store_b8 v[0:1], v2, off
.LBB22_3537:
	s_mov_b32 s39, 0
	s_mov_b32 s38, -1
.LBB22_3538:
	s_and_not1_b32 vcc_lo, exec_lo, s39
	s_cbranch_vccnz .LBB22_3546
; %bb.3539:
	s_cmp_gt_i32 s37, 14
	s_mov_b32 s39, -1
	s_cbranch_scc0 .LBB22_3543
; %bb.3540:
	s_cmp_eq_u32 s37, 15
	s_mov_b32 s27, -1
	s_cbranch_scc0 .LBB22_3542
; %bb.3541:
	s_wait_xcnt 0x0
	v_mov_b32_e32 v2, 0
	s_mov_b32 s38, -1
	s_mov_b32 s27, 0
	global_store_b16 v[0:1], v2, off
.LBB22_3542:
	s_mov_b32 s39, 0
.LBB22_3543:
	s_delay_alu instid0(SALU_CYCLE_1)
	s_and_b32 vcc_lo, exec_lo, s39
	s_cbranch_vccz .LBB22_3546
; %bb.3544:
	s_cmp_eq_u32 s37, 11
	s_mov_b32 s27, -1
	s_cbranch_scc0 .LBB22_3546
; %bb.3545:
	s_wait_xcnt 0x0
	v_mov_b32_e32 v2, 0
	s_mov_b32 s38, -1
	s_mov_b32 s27, 0
	global_store_b8 v[0:1], v2, off
.LBB22_3546:
	s_mov_b32 s37, 0
.LBB22_3547:
	s_delay_alu instid0(SALU_CYCLE_1)
	s_and_b32 vcc_lo, exec_lo, s37
	s_cbranch_vccz .LBB22_3586
; %bb.3548:
	s_and_b32 s36, 0xffff, s36
	s_mov_b32 s37, -1
	s_cmp_lt_i32 s36, 5
	s_cbranch_scc1 .LBB22_3569
; %bb.3549:
	s_cmp_lt_i32 s36, 8
	s_cbranch_scc1 .LBB22_3559
; %bb.3550:
	;; [unrolled: 3-line block ×3, first 2 shown]
	s_cmp_gt_i32 s36, 9
	s_cbranch_scc0 .LBB22_3553
; %bb.3552:
	s_wait_xcnt 0x0
	v_mov_b32_e32 v2, 0
	s_mov_b32 s37, 0
	s_delay_alu instid0(VALU_DEP_1)
	v_dual_mov_b32 v3, v2 :: v_dual_mov_b32 v4, v2
	v_mov_b32_e32 v5, v2
	global_store_b128 v[0:1], v[2:5], off
.LBB22_3553:
	s_and_not1_b32 vcc_lo, exec_lo, s37
	s_cbranch_vccnz .LBB22_3555
; %bb.3554:
	s_wait_xcnt 0x0
	v_mov_b64_e32 v[2:3], 0
	global_store_b64 v[0:1], v[2:3], off
.LBB22_3555:
	s_mov_b32 s37, 0
.LBB22_3556:
	s_delay_alu instid0(SALU_CYCLE_1)
	s_and_not1_b32 vcc_lo, exec_lo, s37
	s_cbranch_vccnz .LBB22_3558
; %bb.3557:
	s_wait_xcnt 0x0
	v_mov_b32_e32 v2, 0
	global_store_b32 v[0:1], v2, off
.LBB22_3558:
	s_mov_b32 s37, 0
.LBB22_3559:
	s_delay_alu instid0(SALU_CYCLE_1)
	s_and_not1_b32 vcc_lo, exec_lo, s37
	s_cbranch_vccnz .LBB22_3568
; %bb.3560:
	s_cmp_lt_i32 s36, 6
	s_mov_b32 s37, -1
	s_cbranch_scc1 .LBB22_3566
; %bb.3561:
	s_cmp_gt_i32 s36, 6
	s_cbranch_scc0 .LBB22_3563
; %bb.3562:
	s_wait_xcnt 0x0
	v_mov_b64_e32 v[2:3], 0
	s_mov_b32 s37, 0
	global_store_b64 v[0:1], v[2:3], off
.LBB22_3563:
	s_and_not1_b32 vcc_lo, exec_lo, s37
	s_cbranch_vccnz .LBB22_3565
; %bb.3564:
	s_wait_xcnt 0x0
	v_mov_b32_e32 v2, 0
	global_store_b32 v[0:1], v2, off
.LBB22_3565:
	s_mov_b32 s37, 0
.LBB22_3566:
	s_delay_alu instid0(SALU_CYCLE_1)
	s_and_not1_b32 vcc_lo, exec_lo, s37
	s_cbranch_vccnz .LBB22_3568
; %bb.3567:
	s_wait_xcnt 0x0
	v_mov_b32_e32 v2, 0
	global_store_b16 v[0:1], v2, off
.LBB22_3568:
	s_mov_b32 s37, 0
.LBB22_3569:
	s_delay_alu instid0(SALU_CYCLE_1)
	s_and_not1_b32 vcc_lo, exec_lo, s37
	s_cbranch_vccnz .LBB22_3585
; %bb.3570:
	s_cmp_lt_i32 s36, 2
	s_mov_b32 s37, -1
	s_cbranch_scc1 .LBB22_3580
; %bb.3571:
	s_cmp_lt_i32 s36, 3
	s_cbranch_scc1 .LBB22_3577
; %bb.3572:
	s_cmp_gt_i32 s36, 3
	s_cbranch_scc0 .LBB22_3574
; %bb.3573:
	s_wait_xcnt 0x0
	v_mov_b64_e32 v[2:3], 0
	s_mov_b32 s37, 0
	global_store_b64 v[0:1], v[2:3], off
.LBB22_3574:
	s_and_not1_b32 vcc_lo, exec_lo, s37
	s_cbranch_vccnz .LBB22_3576
; %bb.3575:
	s_wait_xcnt 0x0
	v_mov_b32_e32 v2, 0
	global_store_b32 v[0:1], v2, off
.LBB22_3576:
	s_mov_b32 s37, 0
.LBB22_3577:
	s_delay_alu instid0(SALU_CYCLE_1)
	s_and_not1_b32 vcc_lo, exec_lo, s37
	s_cbranch_vccnz .LBB22_3579
; %bb.3578:
	s_wait_xcnt 0x0
	v_mov_b32_e32 v2, 0
	global_store_b16 v[0:1], v2, off
.LBB22_3579:
	s_mov_b32 s37, 0
.LBB22_3580:
	s_delay_alu instid0(SALU_CYCLE_1)
	s_and_not1_b32 vcc_lo, exec_lo, s37
	s_cbranch_vccnz .LBB22_3585
; %bb.3581:
	s_cmp_gt_i32 s36, 0
	s_mov_b32 s36, -1
	s_cbranch_scc0 .LBB22_3583
; %bb.3582:
	s_wait_xcnt 0x0
	v_mov_b32_e32 v2, 0
	s_mov_b32 s36, 0
	global_store_b8 v[0:1], v2, off
.LBB22_3583:
	s_and_not1_b32 vcc_lo, exec_lo, s36
	s_cbranch_vccnz .LBB22_3585
; %bb.3584:
	s_wait_xcnt 0x0
	v_mov_b32_e32 v2, 0
	global_store_b8 v[0:1], v2, off
.LBB22_3585:
	s_mov_b32 s38, -1
.LBB22_3586:
	s_delay_alu instid0(SALU_CYCLE_1)
	s_and_not1_b32 vcc_lo, exec_lo, s38
	s_cbranch_vccnz .LBB22_3588
; %bb.3587:
	v_add_nc_u32_e32 v22, 0x80, v22
	s_mov_b32 s36, -1
	s_branch .LBB22_3589
.LBB22_3588:
	s_mov_b32 s36, 0
                                        ; implicit-def: $vgpr22
.LBB22_3589:
	s_and_not1_b32 s37, s54, exec_lo
	s_and_b32 s27, s27, exec_lo
	s_and_not1_b32 s0, s0, exec_lo
	s_or_b32 s27, s37, s27
	s_and_b32 s36, s36, exec_lo
.LBB22_3590:
	s_wait_xcnt 0x0
	s_or_b32 exec_lo, exec_lo, s1
	s_delay_alu instid0(SALU_CYCLE_1)
	s_and_not1_b32 s1, s54, exec_lo
	s_and_b32 s27, s27, exec_lo
	s_and_not1_b32 s38, s57, exec_lo
	s_and_b32 s0, s0, exec_lo
	s_or_b32 s37, s1, s27
	s_or_b32 s0, s38, s0
	s_xor_b32 s27, exec_lo, -1
	s_and_b32 s1, s36, exec_lo
.LBB22_3591:
	s_or_b32 exec_lo, exec_lo, s74
	s_delay_alu instid0(SALU_CYCLE_1)
	s_and_not1_b32 s36, s54, exec_lo
	s_and_b32 s37, s37, exec_lo
	s_and_b32 s0, s0, exec_lo
	s_or_b32 s38, s36, s37
	s_and_not1_b32 s36, s57, exec_lo
	s_and_not1_b32 s37, s58, exec_lo
	s_and_b32 s39, s27, exec_lo
	s_or_b32 s27, s36, s0
	s_or_b32 s37, s37, s39
	s_xor_b32 s36, exec_lo, -1
	s_and_b32 s0, s1, exec_lo
.LBB22_3592:
	s_or_b32 exec_lo, exec_lo, s73
	s_delay_alu instid0(SALU_CYCLE_1)
	s_and_not1_b32 s1, s54, exec_lo
	s_and_b32 s38, s38, exec_lo
	s_and_not1_b32 s39, s57, exec_lo
	s_and_b32 s27, s27, exec_lo
	s_or_b32 s1, s1, s38
	s_or_b32 s27, s39, s27
	s_and_not1_b32 s38, s58, exec_lo
	s_and_b32 s37, s37, exec_lo
	s_and_not1_b32 s39, s59, exec_lo
	s_and_b32 s40, s36, exec_lo
	s_or_b32 s36, s38, s37
	s_or_b32 s38, s39, s40
	s_xor_b32 s37, exec_lo, -1
	s_and_b32 s0, s0, exec_lo
	s_or_b32 exec_lo, exec_lo, s72
	s_branch .LBB22_1298
.LBB22_3593:
	s_mov_b32 s39, -1
	s_mov_b32 s38, 0
	s_mov_b32 s27, s74
	s_branch .LBB22_3601
.LBB22_3594:
	s_or_b32 s22, s19, exec_lo
	s_xor_b32 s5, exec_lo, -1
	s_trap 2
	s_branch .LBB22_3490
.LBB22_3595:
	s_mov_b32 s22, -1
	s_mov_b32 s0, 0
	s_branch .LBB22_3683
.LBB22_3596:
	s_mov_b32 s39, -1
	s_mov_b32 s38, 0
	s_mov_b32 s27, s74
.LBB22_3597:
	s_and_b32 vcc_lo, exec_lo, s39
	s_cbranch_vccz .LBB22_3600
; %bb.3598:
	s_cmp_eq_u32 s37, 44
	s_mov_b32 s27, -1
	s_cbranch_scc0 .LBB22_3600
; %bb.3599:
	s_wait_xcnt 0x0
	v_mov_b32_e32 v2, 0
	s_mov_b32 s38, -1
	s_mov_b32 s27, 0
	global_store_b8 v[0:1], v2, off
.LBB22_3600:
	s_mov_b32 s39, 0
.LBB22_3601:
	s_delay_alu instid0(SALU_CYCLE_1)
	s_and_b32 vcc_lo, exec_lo, s39
	s_cbranch_vccz .LBB22_3604
; %bb.3602:
	s_cmp_eq_u32 s37, 29
	s_mov_b32 s27, -1
	s_cbranch_scc0 .LBB22_3604
; %bb.3603:
	s_wait_xcnt 0x0
	v_mov_b64_e32 v[2:3], 0
	s_mov_b32 s38, -1
	s_mov_b32 s27, 0
	s_mov_b32 s39, 0
	global_store_b64 v[0:1], v[2:3], off
	s_branch .LBB22_3605
.LBB22_3604:
	s_mov_b32 s39, 0
.LBB22_3605:
	s_delay_alu instid0(SALU_CYCLE_1)
	s_and_b32 vcc_lo, exec_lo, s39
	s_cbranch_vccz .LBB22_3615
; %bb.3606:
	s_cmp_lt_i32 s37, 27
	s_mov_b32 s38, -1
	s_cbranch_scc1 .LBB22_3612
; %bb.3607:
	s_cmp_gt_i32 s37, 27
	s_cbranch_scc0 .LBB22_3609
; %bb.3608:
	s_wait_xcnt 0x0
	v_mov_b32_e32 v2, 0
	s_mov_b32 s38, 0
	global_store_b32 v[0:1], v2, off
.LBB22_3609:
	s_and_not1_b32 vcc_lo, exec_lo, s38
	s_cbranch_vccnz .LBB22_3611
; %bb.3610:
	s_wait_xcnt 0x0
	v_mov_b32_e32 v2, 0
	global_store_b16 v[0:1], v2, off
.LBB22_3611:
	s_mov_b32 s38, 0
.LBB22_3612:
	s_delay_alu instid0(SALU_CYCLE_1)
	s_and_not1_b32 vcc_lo, exec_lo, s38
	s_cbranch_vccnz .LBB22_3614
; %bb.3613:
	s_wait_xcnt 0x0
	v_mov_b32_e32 v2, 0
	global_store_b8 v[0:1], v2, off
.LBB22_3614:
	s_mov_b32 s38, -1
.LBB22_3615:
	s_mov_b32 s39, 0
.LBB22_3616:
	s_delay_alu instid0(SALU_CYCLE_1)
	s_and_b32 vcc_lo, exec_lo, s39
	s_cbranch_vccz .LBB22_3635
; %bb.3617:
	s_cmp_gt_i32 s37, 22
	s_mov_b32 s39, -1
	s_cbranch_scc0 .LBB22_3627
; %bb.3618:
	s_cmp_lt_i32 s37, 24
	s_mov_b32 s38, -1
	s_cbranch_scc1 .LBB22_3624
; %bb.3619:
	s_cmp_gt_i32 s37, 24
	s_cbranch_scc0 .LBB22_3621
; %bb.3620:
	s_wait_xcnt 0x0
	v_mov_b32_e32 v2, 0
	s_mov_b32 s38, 0
	global_store_b8 v[0:1], v2, off
.LBB22_3621:
	s_and_not1_b32 vcc_lo, exec_lo, s38
	s_cbranch_vccnz .LBB22_3623
; %bb.3622:
	s_wait_xcnt 0x0
	v_mov_b32_e32 v2, 0
	global_store_b8 v[0:1], v2, off
.LBB22_3623:
	s_mov_b32 s38, 0
.LBB22_3624:
	s_delay_alu instid0(SALU_CYCLE_1)
	s_and_not1_b32 vcc_lo, exec_lo, s38
	s_cbranch_vccnz .LBB22_3626
; %bb.3625:
	s_wait_xcnt 0x0
	v_mov_b32_e32 v2, 0
	global_store_b8 v[0:1], v2, off
.LBB22_3626:
	s_mov_b32 s39, 0
	s_mov_b32 s38, -1
.LBB22_3627:
	s_and_not1_b32 vcc_lo, exec_lo, s39
	s_cbranch_vccnz .LBB22_3635
; %bb.3628:
	s_cmp_gt_i32 s37, 14
	s_mov_b32 s39, -1
	s_cbranch_scc0 .LBB22_3632
; %bb.3629:
	s_cmp_eq_u32 s37, 15
	s_mov_b32 s27, -1
	s_cbranch_scc0 .LBB22_3631
; %bb.3630:
	s_wait_xcnt 0x0
	v_mov_b32_e32 v2, 0
	s_mov_b32 s38, -1
	s_mov_b32 s27, 0
	global_store_b16 v[0:1], v2, off
.LBB22_3631:
	s_mov_b32 s39, 0
.LBB22_3632:
	s_delay_alu instid0(SALU_CYCLE_1)
	s_and_b32 vcc_lo, exec_lo, s39
	s_cbranch_vccz .LBB22_3635
; %bb.3633:
	s_cmp_eq_u32 s37, 11
	s_mov_b32 s27, -1
	s_cbranch_scc0 .LBB22_3635
; %bb.3634:
	s_wait_xcnt 0x0
	v_mov_b32_e32 v2, 0
	s_mov_b32 s38, -1
	s_mov_b32 s27, 0
	global_store_b8 v[0:1], v2, off
.LBB22_3635:
	s_mov_b32 s37, 0
.LBB22_3636:
	s_delay_alu instid0(SALU_CYCLE_1)
	s_and_b32 vcc_lo, exec_lo, s37
	s_cbranch_vccz .LBB22_3675
; %bb.3637:
	s_and_b32 s36, 0xffff, s36
	s_mov_b32 s37, -1
	s_cmp_lt_i32 s36, 5
	s_cbranch_scc1 .LBB22_3658
; %bb.3638:
	s_cmp_lt_i32 s36, 8
	s_cbranch_scc1 .LBB22_3648
; %bb.3639:
	;; [unrolled: 3-line block ×3, first 2 shown]
	s_cmp_gt_i32 s36, 9
	s_cbranch_scc0 .LBB22_3642
; %bb.3641:
	s_wait_xcnt 0x0
	v_mov_b32_e32 v2, 0
	s_mov_b32 s37, 0
	s_delay_alu instid0(VALU_DEP_1)
	v_dual_mov_b32 v3, v2 :: v_dual_mov_b32 v4, v2
	v_mov_b32_e32 v5, v2
	global_store_b128 v[0:1], v[2:5], off
.LBB22_3642:
	s_and_not1_b32 vcc_lo, exec_lo, s37
	s_cbranch_vccnz .LBB22_3644
; %bb.3643:
	s_wait_xcnt 0x0
	v_mov_b64_e32 v[2:3], 0
	global_store_b64 v[0:1], v[2:3], off
.LBB22_3644:
	s_mov_b32 s37, 0
.LBB22_3645:
	s_delay_alu instid0(SALU_CYCLE_1)
	s_and_not1_b32 vcc_lo, exec_lo, s37
	s_cbranch_vccnz .LBB22_3647
; %bb.3646:
	s_wait_xcnt 0x0
	v_mov_b32_e32 v2, 0
	global_store_b32 v[0:1], v2, off
.LBB22_3647:
	s_mov_b32 s37, 0
.LBB22_3648:
	s_delay_alu instid0(SALU_CYCLE_1)
	s_and_not1_b32 vcc_lo, exec_lo, s37
	s_cbranch_vccnz .LBB22_3657
; %bb.3649:
	s_cmp_lt_i32 s36, 6
	s_mov_b32 s37, -1
	s_cbranch_scc1 .LBB22_3655
; %bb.3650:
	s_cmp_gt_i32 s36, 6
	s_cbranch_scc0 .LBB22_3652
; %bb.3651:
	s_wait_xcnt 0x0
	v_mov_b64_e32 v[2:3], 0
	s_mov_b32 s37, 0
	global_store_b64 v[0:1], v[2:3], off
.LBB22_3652:
	s_and_not1_b32 vcc_lo, exec_lo, s37
	s_cbranch_vccnz .LBB22_3654
; %bb.3653:
	s_wait_xcnt 0x0
	v_mov_b32_e32 v2, 0
	global_store_b32 v[0:1], v2, off
.LBB22_3654:
	s_mov_b32 s37, 0
.LBB22_3655:
	s_delay_alu instid0(SALU_CYCLE_1)
	s_and_not1_b32 vcc_lo, exec_lo, s37
	s_cbranch_vccnz .LBB22_3657
; %bb.3656:
	s_wait_xcnt 0x0
	v_mov_b32_e32 v2, 0
	global_store_b16 v[0:1], v2, off
.LBB22_3657:
	s_mov_b32 s37, 0
.LBB22_3658:
	s_delay_alu instid0(SALU_CYCLE_1)
	s_and_not1_b32 vcc_lo, exec_lo, s37
	s_cbranch_vccnz .LBB22_3674
; %bb.3659:
	s_cmp_lt_i32 s36, 2
	s_mov_b32 s37, -1
	s_cbranch_scc1 .LBB22_3669
; %bb.3660:
	s_cmp_lt_i32 s36, 3
	s_cbranch_scc1 .LBB22_3666
; %bb.3661:
	s_cmp_gt_i32 s36, 3
	s_cbranch_scc0 .LBB22_3663
; %bb.3662:
	s_wait_xcnt 0x0
	v_mov_b64_e32 v[2:3], 0
	s_mov_b32 s37, 0
	global_store_b64 v[0:1], v[2:3], off
.LBB22_3663:
	s_and_not1_b32 vcc_lo, exec_lo, s37
	s_cbranch_vccnz .LBB22_3665
; %bb.3664:
	s_wait_xcnt 0x0
	v_mov_b32_e32 v2, 0
	global_store_b32 v[0:1], v2, off
.LBB22_3665:
	s_mov_b32 s37, 0
.LBB22_3666:
	s_delay_alu instid0(SALU_CYCLE_1)
	s_and_not1_b32 vcc_lo, exec_lo, s37
	s_cbranch_vccnz .LBB22_3668
; %bb.3667:
	s_wait_xcnt 0x0
	v_mov_b32_e32 v2, 0
	global_store_b16 v[0:1], v2, off
.LBB22_3668:
	s_mov_b32 s37, 0
.LBB22_3669:
	s_delay_alu instid0(SALU_CYCLE_1)
	s_and_not1_b32 vcc_lo, exec_lo, s37
	s_cbranch_vccnz .LBB22_3674
; %bb.3670:
	s_cmp_gt_i32 s36, 0
	s_mov_b32 s36, -1
	s_cbranch_scc0 .LBB22_3672
; %bb.3671:
	s_wait_xcnt 0x0
	v_mov_b32_e32 v2, 0
	s_mov_b32 s36, 0
	global_store_b8 v[0:1], v2, off
.LBB22_3672:
	s_and_not1_b32 vcc_lo, exec_lo, s36
	s_cbranch_vccnz .LBB22_3674
; %bb.3673:
	s_wait_xcnt 0x0
	v_mov_b32_e32 v2, 0
	global_store_b8 v[0:1], v2, off
.LBB22_3674:
	s_mov_b32 s38, -1
.LBB22_3675:
	s_delay_alu instid0(SALU_CYCLE_1)
	s_and_not1_b32 vcc_lo, exec_lo, s38
	s_cbranch_vccnz .LBB22_3677
; %bb.3676:
	v_add_nc_u32_e32 v22, 0x80, v22
	s_mov_b32 s36, -1
	s_branch .LBB22_3678
.LBB22_3677:
	s_mov_b32 s36, 0
                                        ; implicit-def: $vgpr22
.LBB22_3678:
	s_and_not1_b32 s37, s74, exec_lo
	s_and_b32 s27, s27, exec_lo
	s_and_not1_b32 s0, s0, exec_lo
	s_or_b32 s27, s37, s27
	s_and_b32 s36, s36, exec_lo
.LBB22_3679:
	s_wait_xcnt 0x0
	s_or_b32 exec_lo, exec_lo, s1
	s_delay_alu instid0(SALU_CYCLE_1)
	s_and_not1_b32 s1, s74, exec_lo
	s_and_b32 s27, s27, exec_lo
	s_and_not1_b32 s38, s75, exec_lo
	s_and_b32 s0, s0, exec_lo
	s_or_b32 s37, s1, s27
	s_or_b32 s0, s38, s0
	s_xor_b32 s27, exec_lo, -1
	s_and_b32 s1, s36, exec_lo
.LBB22_3680:
	s_or_b32 exec_lo, exec_lo, s86
	s_delay_alu instid0(SALU_CYCLE_1)
	s_and_not1_b32 s36, s74, exec_lo
	s_and_b32 s37, s37, exec_lo
	s_and_b32 s0, s0, exec_lo
	s_or_b32 s38, s36, s37
	s_and_not1_b32 s36, s75, exec_lo
	s_and_not1_b32 s37, s76, exec_lo
	s_and_b32 s39, s27, exec_lo
	s_or_b32 s27, s36, s0
	s_or_b32 s37, s37, s39
	s_xor_b32 s36, exec_lo, -1
	s_and_b32 s0, s1, exec_lo
.LBB22_3681:
	s_or_b32 exec_lo, exec_lo, s85
	s_delay_alu instid0(SALU_CYCLE_1)
	s_and_not1_b32 s1, s74, exec_lo
	s_and_b32 s38, s38, exec_lo
	s_and_not1_b32 s39, s75, exec_lo
	s_and_b32 s27, s27, exec_lo
	s_or_b32 s1, s1, s38
	s_or_b32 s27, s39, s27
	s_and_not1_b32 s38, s76, exec_lo
	s_and_b32 s37, s37, exec_lo
	s_and_not1_b32 s39, s72, exec_lo
	s_and_b32 s40, s36, exec_lo
	s_or_b32 s36, s38, s37
	s_or_b32 s38, s39, s40
	s_xor_b32 s37, exec_lo, -1
	s_and_b32 s0, s0, exec_lo
	s_or_b32 exec_lo, exec_lo, s84
	s_branch .LBB22_2046
.LBB22_3682:
	s_mov_b32 s0, -1
.LBB22_3683:
                                        ; implicit-def: $vgpr1
.LBB22_3684:
	s_and_b32 vcc_lo, exec_lo, s22
	s_cbranch_vccz .LBB22_3688
; %bb.3685:
	s_cmp_eq_u32 s56, 44
	s_cbranch_scc0 .LBB22_3687
; %bb.3686:
	global_load_u8 v1, v[2:3], off
	s_mov_b32 s0, 0
	s_mov_b32 s5, -1
	s_wait_loadcnt 0x0
	v_lshlrev_b32_e32 v4, 23, v1
	v_cmp_ne_u32_e32 vcc_lo, 0, v1
	s_delay_alu instid0(VALU_DEP_2) | instskip(NEXT) | instid1(VALU_DEP_1)
	v_cvt_i32_f32_e32 v4, v4
	v_cndmask_b32_e32 v1, 0, v4, vcc_lo
	s_branch .LBB22_3688
.LBB22_3687:
	s_mov_b32 s0, -1
                                        ; implicit-def: $vgpr1
.LBB22_3688:
	s_mov_b32 s22, 0
.LBB22_3689:
	s_delay_alu instid0(SALU_CYCLE_1)
	s_and_b32 vcc_lo, exec_lo, s22
	s_cbranch_vccz .LBB22_3693
; %bb.3690:
	s_cmp_eq_u32 s56, 29
	s_cbranch_scc0 .LBB22_3692
; %bb.3691:
	global_load_b32 v1, v[2:3], off
	s_mov_b32 s0, 0
	s_mov_b32 s5, -1
	s_branch .LBB22_3693
.LBB22_3692:
	s_mov_b32 s0, -1
                                        ; implicit-def: $vgpr1
.LBB22_3693:
	s_mov_b32 s22, 0
.LBB22_3694:
	s_delay_alu instid0(SALU_CYCLE_1)
	s_and_b32 vcc_lo, exec_lo, s22
	s_cbranch_vccz .LBB22_3710
; %bb.3695:
	s_cmp_lt_i32 s56, 27
	s_cbranch_scc1 .LBB22_3698
; %bb.3696:
	s_cmp_gt_i32 s56, 27
	s_cbranch_scc0 .LBB22_3699
; %bb.3697:
	s_wait_loadcnt 0x0
	global_load_b32 v1, v[2:3], off
	s_mov_b32 s5, 0
	s_branch .LBB22_3700
.LBB22_3698:
	s_mov_b32 s5, -1
                                        ; implicit-def: $vgpr1
	s_branch .LBB22_3703
.LBB22_3699:
	s_mov_b32 s5, -1
                                        ; implicit-def: $vgpr1
.LBB22_3700:
	s_delay_alu instid0(SALU_CYCLE_1)
	s_and_not1_b32 vcc_lo, exec_lo, s5
	s_cbranch_vccnz .LBB22_3702
; %bb.3701:
	s_wait_loadcnt 0x0
	global_load_u16 v1, v[2:3], off
.LBB22_3702:
	s_mov_b32 s5, 0
.LBB22_3703:
	s_delay_alu instid0(SALU_CYCLE_1)
	s_and_not1_b32 vcc_lo, exec_lo, s5
	s_cbranch_vccnz .LBB22_3709
; %bb.3704:
	global_load_u8 v4, v[2:3], off
	s_mov_b32 s22, 0
	s_mov_b32 s5, exec_lo
	s_wait_loadcnt 0x0
	v_cmpx_lt_i16_e32 0x7f, v4
	s_xor_b32 s5, exec_lo, s5
	s_cbranch_execz .LBB22_3721
; %bb.3705:
	v_cmp_ne_u16_e32 vcc_lo, 0x80, v4
	s_and_b32 s22, vcc_lo, exec_lo
	s_and_not1_saveexec_b32 s5, s5
	s_cbranch_execnz .LBB22_3722
.LBB22_3706:
	s_or_b32 exec_lo, exec_lo, s5
	v_mov_b32_e32 v1, 0
	s_and_saveexec_b32 s5, s22
	s_cbranch_execz .LBB22_3708
.LBB22_3707:
	v_and_b32_e32 v1, 0xffff, v4
	s_delay_alu instid0(VALU_DEP_1) | instskip(SKIP_1) | instid1(VALU_DEP_2)
	v_dual_lshlrev_b32 v4, 24, v4 :: v_dual_bitop2_b32 v5, 7, v1 bitop3:0x40
	v_bfe_u32 v11, v1, 3, 4
	v_and_b32_e32 v4, 0x80000000, v4
	s_delay_alu instid0(VALU_DEP_3) | instskip(NEXT) | instid1(VALU_DEP_3)
	v_clz_i32_u32_e32 v9, v5
	v_cmp_eq_u32_e32 vcc_lo, 0, v11
	s_delay_alu instid0(VALU_DEP_2) | instskip(NEXT) | instid1(VALU_DEP_1)
	v_min_u32_e32 v9, 32, v9
	v_subrev_nc_u32_e32 v10, 28, v9
	v_sub_nc_u32_e32 v9, 29, v9
	s_delay_alu instid0(VALU_DEP_2) | instskip(NEXT) | instid1(VALU_DEP_2)
	v_lshlrev_b32_e32 v1, v10, v1
	v_cndmask_b32_e32 v9, v11, v9, vcc_lo
	s_delay_alu instid0(VALU_DEP_2) | instskip(NEXT) | instid1(VALU_DEP_1)
	v_and_b32_e32 v1, 7, v1
	v_cndmask_b32_e32 v1, v5, v1, vcc_lo
	s_delay_alu instid0(VALU_DEP_3) | instskip(NEXT) | instid1(VALU_DEP_2)
	v_lshl_add_u32 v5, v9, 23, 0x3b800000
	v_lshlrev_b32_e32 v1, 20, v1
	s_delay_alu instid0(VALU_DEP_1) | instskip(NEXT) | instid1(VALU_DEP_1)
	v_or3_b32 v1, v4, v5, v1
	v_cvt_i32_f32_e32 v1, v1
.LBB22_3708:
	s_or_b32 exec_lo, exec_lo, s5
.LBB22_3709:
	s_mov_b32 s5, -1
.LBB22_3710:
	s_mov_b32 s22, 0
.LBB22_3711:
	s_delay_alu instid0(SALU_CYCLE_1)
	s_and_b32 vcc_lo, exec_lo, s22
	s_cbranch_vccz .LBB22_3742
; %bb.3712:
	s_cmp_gt_i32 s56, 22
	s_cbranch_scc0 .LBB22_3720
; %bb.3713:
	s_cmp_lt_i32 s56, 24
	s_cbranch_scc1 .LBB22_3723
; %bb.3714:
	s_cmp_gt_i32 s56, 24
	s_cbranch_scc0 .LBB22_3724
; %bb.3715:
	global_load_u8 v4, v[2:3], off
	s_mov_b32 s5, 0
	s_mov_b32 s1, exec_lo
	s_wait_loadcnt 0x0
	v_cmpx_lt_i16_e32 0x7f, v4
	s_xor_b32 s1, exec_lo, s1
	s_cbranch_execz .LBB22_3736
; %bb.3716:
	v_cmp_ne_u16_e32 vcc_lo, 0x80, v4
	s_and_b32 s5, vcc_lo, exec_lo
	s_and_not1_saveexec_b32 s1, s1
	s_cbranch_execnz .LBB22_3737
.LBB22_3717:
	s_or_b32 exec_lo, exec_lo, s1
	v_mov_b32_e32 v1, 0
	s_and_saveexec_b32 s1, s5
	s_cbranch_execz .LBB22_3719
.LBB22_3718:
	v_and_b32_e32 v1, 0xffff, v4
	s_delay_alu instid0(VALU_DEP_1) | instskip(SKIP_1) | instid1(VALU_DEP_2)
	v_dual_lshlrev_b32 v4, 24, v4 :: v_dual_bitop2_b32 v5, 3, v1 bitop3:0x40
	v_bfe_u32 v11, v1, 2, 5
	v_and_b32_e32 v4, 0x80000000, v4
	s_delay_alu instid0(VALU_DEP_3) | instskip(NEXT) | instid1(VALU_DEP_3)
	v_clz_i32_u32_e32 v9, v5
	v_cmp_eq_u32_e32 vcc_lo, 0, v11
	s_delay_alu instid0(VALU_DEP_2) | instskip(NEXT) | instid1(VALU_DEP_1)
	v_min_u32_e32 v9, 32, v9
	v_subrev_nc_u32_e32 v10, 29, v9
	v_sub_nc_u32_e32 v9, 30, v9
	s_delay_alu instid0(VALU_DEP_2) | instskip(NEXT) | instid1(VALU_DEP_2)
	v_lshlrev_b32_e32 v1, v10, v1
	v_cndmask_b32_e32 v9, v11, v9, vcc_lo
	s_delay_alu instid0(VALU_DEP_2) | instskip(NEXT) | instid1(VALU_DEP_1)
	v_and_b32_e32 v1, 3, v1
	v_cndmask_b32_e32 v1, v5, v1, vcc_lo
	s_delay_alu instid0(VALU_DEP_3) | instskip(NEXT) | instid1(VALU_DEP_2)
	v_lshl_add_u32 v5, v9, 23, 0x37800000
	v_lshlrev_b32_e32 v1, 21, v1
	s_delay_alu instid0(VALU_DEP_1) | instskip(NEXT) | instid1(VALU_DEP_1)
	v_or3_b32 v1, v4, v5, v1
	v_cvt_i32_f32_e32 v1, v1
.LBB22_3719:
	s_or_b32 exec_lo, exec_lo, s1
	s_mov_b32 s1, 0
	s_branch .LBB22_3725
.LBB22_3720:
	s_mov_b32 s1, -1
                                        ; implicit-def: $vgpr1
	s_branch .LBB22_3731
.LBB22_3721:
	s_and_not1_saveexec_b32 s5, s5
	s_cbranch_execz .LBB22_3706
.LBB22_3722:
	v_cmp_ne_u16_e32 vcc_lo, 0, v4
	s_and_not1_b32 s22, s22, exec_lo
	s_and_b32 s23, vcc_lo, exec_lo
	s_delay_alu instid0(SALU_CYCLE_1)
	s_or_b32 s22, s22, s23
	s_or_b32 exec_lo, exec_lo, s5
	v_mov_b32_e32 v1, 0
	s_and_saveexec_b32 s5, s22
	s_cbranch_execnz .LBB22_3707
	s_branch .LBB22_3708
.LBB22_3723:
	s_mov_b32 s1, -1
                                        ; implicit-def: $vgpr1
	s_branch .LBB22_3728
.LBB22_3724:
	s_mov_b32 s1, -1
                                        ; implicit-def: $vgpr1
.LBB22_3725:
	s_delay_alu instid0(SALU_CYCLE_1)
	s_and_b32 vcc_lo, exec_lo, s1
	s_cbranch_vccz .LBB22_3727
; %bb.3726:
	s_wait_loadcnt 0x0
	global_load_u8 v1, v[2:3], off
	s_wait_loadcnt 0x0
	v_lshlrev_b32_e32 v1, 24, v1
	s_delay_alu instid0(VALU_DEP_1) | instskip(NEXT) | instid1(VALU_DEP_1)
	v_and_b32_e32 v4, 0x7f000000, v1
	v_clz_i32_u32_e32 v5, v4
	v_add_nc_u32_e32 v10, 0x1000000, v4
	v_cmp_ne_u32_e32 vcc_lo, 0, v4
	s_delay_alu instid0(VALU_DEP_3) | instskip(NEXT) | instid1(VALU_DEP_1)
	v_min_u32_e32 v5, 32, v5
	v_sub_nc_u32_e64 v5, v5, 4 clamp
	s_delay_alu instid0(VALU_DEP_1) | instskip(NEXT) | instid1(VALU_DEP_1)
	v_dual_lshlrev_b32 v9, v5, v4 :: v_dual_lshlrev_b32 v5, 23, v5
	v_lshrrev_b32_e32 v9, 4, v9
	s_delay_alu instid0(VALU_DEP_1) | instskip(NEXT) | instid1(VALU_DEP_1)
	v_dual_sub_nc_u32 v5, v9, v5 :: v_dual_ashrrev_i32 v9, 8, v10
	v_add_nc_u32_e32 v5, 0x3c000000, v5
	s_delay_alu instid0(VALU_DEP_1) | instskip(NEXT) | instid1(VALU_DEP_1)
	v_and_or_b32 v5, 0x7f800000, v9, v5
	v_cndmask_b32_e32 v4, 0, v5, vcc_lo
	s_delay_alu instid0(VALU_DEP_1) | instskip(NEXT) | instid1(VALU_DEP_1)
	v_and_or_b32 v1, 0x80000000, v1, v4
	v_cvt_i32_f32_e32 v1, v1
.LBB22_3727:
	s_mov_b32 s1, 0
.LBB22_3728:
	s_delay_alu instid0(SALU_CYCLE_1)
	s_and_not1_b32 vcc_lo, exec_lo, s1
	s_cbranch_vccnz .LBB22_3730
; %bb.3729:
	s_wait_loadcnt 0x0
	global_load_u8 v1, v[2:3], off
	s_wait_loadcnt 0x0
	v_lshlrev_b32_e32 v4, 25, v1
	v_lshlrev_b16 v1, 8, v1
	s_delay_alu instid0(VALU_DEP_2) | instskip(NEXT) | instid1(VALU_DEP_2)
	v_cmp_gt_u32_e32 vcc_lo, 0x8000000, v4
	v_and_or_b32 v9, 0x7f00, v1, 0.5
	v_lshrrev_b32_e32 v5, 4, v4
	v_bfe_i32 v1, v1, 0, 16
	s_delay_alu instid0(VALU_DEP_3) | instskip(NEXT) | instid1(VALU_DEP_3)
	v_add_f32_e32 v9, -0.5, v9
	v_or_b32_e32 v5, 0x70000000, v5
	s_delay_alu instid0(VALU_DEP_1) | instskip(NEXT) | instid1(VALU_DEP_1)
	v_mul_f32_e32 v5, 0x7800000, v5
	v_cndmask_b32_e32 v4, v5, v9, vcc_lo
	s_delay_alu instid0(VALU_DEP_1) | instskip(NEXT) | instid1(VALU_DEP_1)
	v_and_or_b32 v1, 0x80000000, v1, v4
	v_cvt_i32_f32_e32 v1, v1
.LBB22_3730:
	s_mov_b32 s1, 0
	s_mov_b32 s5, -1
.LBB22_3731:
	s_and_not1_b32 vcc_lo, exec_lo, s1
	s_mov_b32 s1, 0
	s_cbranch_vccnz .LBB22_3742
; %bb.3732:
	s_cmp_gt_i32 s56, 14
	s_cbranch_scc0 .LBB22_3735
; %bb.3733:
	s_cmp_eq_u32 s56, 15
	s_cbranch_scc0 .LBB22_3738
; %bb.3734:
	s_wait_loadcnt 0x0
	global_load_u16 v1, v[2:3], off
	s_mov_b32 s0, 0
	s_mov_b32 s5, -1
	s_wait_loadcnt 0x0
	v_lshlrev_b32_e32 v1, 16, v1
	s_delay_alu instid0(VALU_DEP_1)
	v_cvt_i32_f32_e32 v1, v1
	s_branch .LBB22_3740
.LBB22_3735:
	s_mov_b32 s1, -1
	s_branch .LBB22_3739
.LBB22_3736:
	s_and_not1_saveexec_b32 s1, s1
	s_cbranch_execz .LBB22_3717
.LBB22_3737:
	v_cmp_ne_u16_e32 vcc_lo, 0, v4
	s_and_not1_b32 s5, s5, exec_lo
	s_and_b32 s22, vcc_lo, exec_lo
	s_delay_alu instid0(SALU_CYCLE_1)
	s_or_b32 s5, s5, s22
	s_or_b32 exec_lo, exec_lo, s1
	v_mov_b32_e32 v1, 0
	s_and_saveexec_b32 s1, s5
	s_cbranch_execnz .LBB22_3718
	s_branch .LBB22_3719
.LBB22_3738:
	s_mov_b32 s0, -1
.LBB22_3739:
                                        ; implicit-def: $vgpr1
.LBB22_3740:
	s_and_b32 vcc_lo, exec_lo, s1
	s_mov_b32 s1, 0
	s_cbranch_vccz .LBB22_3742
; %bb.3741:
	s_cmp_lg_u32 s56, 11
	s_mov_b32 s1, -1
	s_cselect_b32 s0, -1, 0
.LBB22_3742:
	s_delay_alu instid0(SALU_CYCLE_1)
	s_and_b32 vcc_lo, exec_lo, s0
	s_mov_b32 s45, s43
	s_cbranch_vccnz .LBB22_3807
; %bb.3743:
	s_and_not1_b32 vcc_lo, exec_lo, s1
	s_cbranch_vccnz .LBB22_3745
.LBB22_3744:
	s_wait_loadcnt 0x0
	global_load_u8 v1, v[2:3], off
	s_mov_b32 s5, -1
	s_wait_loadcnt 0x0
	v_cmp_ne_u16_e32 vcc_lo, 0, v1
	v_cndmask_b32_e64 v1, 0, 1, vcc_lo
.LBB22_3745:
	s_mov_b32 s0, 0
.LBB22_3746:
	s_delay_alu instid0(SALU_CYCLE_1)
	s_and_b32 vcc_lo, exec_lo, s0
	s_cbranch_vccz .LBB22_3795
; %bb.3747:
	s_cmp_lt_i32 s56, 5
	s_cbranch_scc1 .LBB22_3752
; %bb.3748:
	s_cmp_lt_i32 s56, 8
	s_cbranch_scc1 .LBB22_3753
	;; [unrolled: 3-line block ×3, first 2 shown]
; %bb.3750:
	s_cmp_gt_i32 s56, 9
	s_cbranch_scc0 .LBB22_3755
; %bb.3751:
	global_load_b64 v[4:5], v[2:3], off
	s_mov_b32 s0, 0
	s_wait_loadcnt 0x0
	v_cvt_i32_f64_e32 v1, v[4:5]
	s_branch .LBB22_3756
.LBB22_3752:
	s_mov_b32 s0, -1
                                        ; implicit-def: $vgpr1
	s_branch .LBB22_3774
.LBB22_3753:
	s_mov_b32 s0, -1
                                        ; implicit-def: $vgpr1
	s_branch .LBB22_3762
.LBB22_3754:
	s_mov_b32 s0, -1
                                        ; implicit-def: $vgpr1
	s_branch .LBB22_3759
.LBB22_3755:
	s_mov_b32 s0, -1
                                        ; implicit-def: $vgpr1
.LBB22_3756:
	s_delay_alu instid0(SALU_CYCLE_1)
	s_and_not1_b32 vcc_lo, exec_lo, s0
	s_cbranch_vccnz .LBB22_3758
; %bb.3757:
	s_wait_loadcnt 0x0
	global_load_b32 v1, v[2:3], off
	s_wait_loadcnt 0x0
	v_cvt_i32_f32_e32 v1, v1
.LBB22_3758:
	s_mov_b32 s0, 0
.LBB22_3759:
	s_delay_alu instid0(SALU_CYCLE_1)
	s_and_not1_b32 vcc_lo, exec_lo, s0
	s_cbranch_vccnz .LBB22_3761
; %bb.3760:
	s_wait_loadcnt 0x0
	global_load_b32 v1, v[2:3], off
	s_wait_loadcnt 0x0
	v_cvt_f32_f16_e32 v1, v1
	s_delay_alu instid0(VALU_DEP_1)
	v_cvt_i32_f32_e32 v1, v1
.LBB22_3761:
	s_mov_b32 s0, 0
.LBB22_3762:
	s_delay_alu instid0(SALU_CYCLE_1)
	s_and_not1_b32 vcc_lo, exec_lo, s0
	s_cbranch_vccnz .LBB22_3773
; %bb.3763:
	s_cmp_lt_i32 s56, 6
	s_cbranch_scc1 .LBB22_3766
; %bb.3764:
	s_cmp_gt_i32 s56, 6
	s_cbranch_scc0 .LBB22_3767
; %bb.3765:
	global_load_b64 v[4:5], v[2:3], off
	s_mov_b32 s0, 0
	s_wait_loadcnt 0x0
	v_cvt_i32_f64_e32 v1, v[4:5]
	s_branch .LBB22_3768
.LBB22_3766:
	s_mov_b32 s0, -1
                                        ; implicit-def: $vgpr1
	s_branch .LBB22_3771
.LBB22_3767:
	s_mov_b32 s0, -1
                                        ; implicit-def: $vgpr1
.LBB22_3768:
	s_delay_alu instid0(SALU_CYCLE_1)
	s_and_not1_b32 vcc_lo, exec_lo, s0
	s_cbranch_vccnz .LBB22_3770
; %bb.3769:
	s_wait_loadcnt 0x0
	global_load_b32 v1, v[2:3], off
	s_wait_loadcnt 0x0
	v_cvt_i32_f32_e32 v1, v1
.LBB22_3770:
	s_mov_b32 s0, 0
.LBB22_3771:
	s_delay_alu instid0(SALU_CYCLE_1)
	s_and_not1_b32 vcc_lo, exec_lo, s0
	s_cbranch_vccnz .LBB22_3773
; %bb.3772:
	s_wait_loadcnt 0x0
	global_load_u16 v1, v[2:3], off
	s_wait_loadcnt 0x0
	v_cvt_f32_f16_e32 v1, v1
	s_delay_alu instid0(VALU_DEP_1)
	v_cvt_i32_f32_e32 v1, v1
.LBB22_3773:
	s_mov_b32 s0, 0
.LBB22_3774:
	s_delay_alu instid0(SALU_CYCLE_1)
	s_and_not1_b32 vcc_lo, exec_lo, s0
	s_cbranch_vccnz .LBB22_3794
; %bb.3775:
	s_cmp_lt_i32 s56, 2
	s_cbranch_scc1 .LBB22_3779
; %bb.3776:
	s_cmp_lt_i32 s56, 3
	s_cbranch_scc1 .LBB22_3780
; %bb.3777:
	s_cmp_gt_i32 s56, 3
	s_cbranch_scc0 .LBB22_3781
; %bb.3778:
	s_wait_loadcnt 0x0
	global_load_b32 v1, v[2:3], off
	s_mov_b32 s0, 0
	s_branch .LBB22_3782
.LBB22_3779:
	s_mov_b32 s0, -1
                                        ; implicit-def: $vgpr1
	s_branch .LBB22_3788
.LBB22_3780:
	s_mov_b32 s0, -1
                                        ; implicit-def: $vgpr1
	s_branch .LBB22_3785
.LBB22_3781:
	s_mov_b32 s0, -1
                                        ; implicit-def: $vgpr1
.LBB22_3782:
	s_delay_alu instid0(SALU_CYCLE_1)
	s_and_not1_b32 vcc_lo, exec_lo, s0
	s_cbranch_vccnz .LBB22_3784
; %bb.3783:
	s_wait_loadcnt 0x0
	global_load_b32 v1, v[2:3], off
.LBB22_3784:
	s_mov_b32 s0, 0
.LBB22_3785:
	s_delay_alu instid0(SALU_CYCLE_1)
	s_and_not1_b32 vcc_lo, exec_lo, s0
	s_cbranch_vccnz .LBB22_3787
; %bb.3786:
	s_wait_loadcnt 0x0
	global_load_i16 v1, v[2:3], off
.LBB22_3787:
	s_mov_b32 s0, 0
.LBB22_3788:
	s_delay_alu instid0(SALU_CYCLE_1)
	s_and_not1_b32 vcc_lo, exec_lo, s0
	s_cbranch_vccnz .LBB22_3794
; %bb.3789:
	s_cmp_gt_i32 s56, 0
	s_mov_b32 s0, 0
	s_cbranch_scc0 .LBB22_3791
; %bb.3790:
	s_wait_loadcnt 0x0
	global_load_i8 v1, v[2:3], off
	s_branch .LBB22_3792
.LBB22_3791:
	s_mov_b32 s0, -1
                                        ; implicit-def: $vgpr1
.LBB22_3792:
	s_delay_alu instid0(SALU_CYCLE_1)
	s_and_not1_b32 vcc_lo, exec_lo, s0
	s_cbranch_vccnz .LBB22_3794
; %bb.3793:
	s_wait_loadcnt 0x0
	global_load_u8 v1, v[2:3], off
.LBB22_3794:
	s_mov_b32 s5, -1
.LBB22_3795:
	s_delay_alu instid0(SALU_CYCLE_1)
	s_and_not1_b32 vcc_lo, exec_lo, s5
	s_cbranch_vccnz .LBB22_4318
; %bb.3796:
	s_wait_xcnt 0x0
	v_mul_lo_u32 v2, s61, v7
	s_and_b32 s57, 0xffff, s35
	s_delay_alu instid0(SALU_CYCLE_1) | instskip(NEXT) | instid1(VALU_DEP_1)
	s_cmp_lt_i32 s57, 11
	v_ashrrev_i32_e32 v3, 31, v2
	s_delay_alu instid0(VALU_DEP_1)
	v_add_nc_u64_e32 v[4:5], s[10:11], v[2:3]
	s_cbranch_scc1 .LBB22_3803
; %bb.3797:
	s_cmp_gt_i32 s57, 25
	s_mov_b32 s1, 0
	s_cbranch_scc0 .LBB22_3804
; %bb.3798:
	s_cmp_gt_i32 s57, 28
	s_cbranch_scc0 .LBB22_3805
; %bb.3799:
	s_cmp_gt_i32 s57, 43
	;; [unrolled: 3-line block ×3, first 2 shown]
	s_cbranch_scc0 .LBB22_3808
; %bb.3801:
	s_cmp_eq_u32 s57, 46
	s_mov_b32 s22, 0
	s_cbranch_scc0 .LBB22_3810
; %bb.3802:
	global_load_b32 v3, v[4:5], off
	s_mov_b32 s0, 0
	s_mov_b32 s5, -1
	s_wait_loadcnt 0x0
	v_lshlrev_b32_e32 v3, 16, v3
	s_delay_alu instid0(VALU_DEP_1)
	v_cvt_i32_f32_e32 v3, v3
	s_branch .LBB22_3812
.LBB22_3803:
	s_mov_b32 s0, -1
	s_mov_b32 s5, 0
                                        ; implicit-def: $vgpr3
	s_branch .LBB22_3874
.LBB22_3804:
	s_mov_b32 s22, -1
	s_mov_b32 s5, 0
	s_mov_b32 s0, 0
                                        ; implicit-def: $vgpr3
	s_branch .LBB22_3839
.LBB22_3805:
	s_mov_b32 s22, -1
	s_mov_b32 s5, 0
	s_mov_b32 s0, 0
                                        ; implicit-def: $vgpr3
	s_branch .LBB22_3822
.LBB22_3806:
	s_mov_b32 s22, -1
	s_mov_b32 s5, 0
	s_mov_b32 s0, 0
                                        ; implicit-def: $vgpr3
	s_branch .LBB22_3817
.LBB22_3807:
	s_or_b32 s45, s43, exec_lo
	s_trap 2
	s_cbranch_execz .LBB22_3744
	s_branch .LBB22_3745
.LBB22_3808:
	s_mov_b32 s22, -1
	s_mov_b32 s5, 0
	s_mov_b32 s0, 0
	s_branch .LBB22_3811
.LBB22_3809:
	s_or_b32 s38, s38, exec_lo
	s_trap 2
                                        ; implicit-def: $vgpr24
                                        ; implicit-def: $vgpr2
                                        ; implicit-def: $vgpr0
                                        ; implicit-def: $vgpr23
                                        ; implicit-def: $vgpr22
                                        ; implicit-def: $vgpr10
                                        ; implicit-def: $vgpr6
                                        ; implicit-def: $vgpr8
	s_branch .LBB22_3427
.LBB22_3810:
	s_mov_b32 s0, -1
	s_mov_b32 s5, 0
.LBB22_3811:
                                        ; implicit-def: $vgpr3
.LBB22_3812:
	s_and_b32 vcc_lo, exec_lo, s22
	s_cbranch_vccz .LBB22_3816
; %bb.3813:
	s_cmp_eq_u32 s57, 44
	s_cbranch_scc0 .LBB22_3815
; %bb.3814:
	global_load_u8 v3, v[4:5], off
	s_mov_b32 s0, 0
	s_mov_b32 s5, -1
	s_wait_loadcnt 0x0
	v_lshlrev_b32_e32 v9, 23, v3
	v_cmp_ne_u32_e32 vcc_lo, 0, v3
	s_delay_alu instid0(VALU_DEP_2) | instskip(NEXT) | instid1(VALU_DEP_1)
	v_cvt_i32_f32_e32 v9, v9
	v_cndmask_b32_e32 v3, 0, v9, vcc_lo
	s_branch .LBB22_3816
.LBB22_3815:
	s_mov_b32 s0, -1
                                        ; implicit-def: $vgpr3
.LBB22_3816:
	s_mov_b32 s22, 0
.LBB22_3817:
	s_delay_alu instid0(SALU_CYCLE_1)
	s_and_b32 vcc_lo, exec_lo, s22
	s_cbranch_vccz .LBB22_3821
; %bb.3818:
	s_cmp_eq_u32 s57, 29
	s_cbranch_scc0 .LBB22_3820
; %bb.3819:
	global_load_b32 v3, v[4:5], off
	s_mov_b32 s0, 0
	s_mov_b32 s5, -1
	s_branch .LBB22_3821
.LBB22_3820:
	s_mov_b32 s0, -1
                                        ; implicit-def: $vgpr3
.LBB22_3821:
	s_mov_b32 s22, 0
.LBB22_3822:
	s_delay_alu instid0(SALU_CYCLE_1)
	s_and_b32 vcc_lo, exec_lo, s22
	s_cbranch_vccz .LBB22_3838
; %bb.3823:
	s_cmp_lt_i32 s57, 27
	s_cbranch_scc1 .LBB22_3826
; %bb.3824:
	s_cmp_gt_i32 s57, 27
	s_cbranch_scc0 .LBB22_3827
; %bb.3825:
	s_wait_loadcnt 0x0
	global_load_b32 v3, v[4:5], off
	s_mov_b32 s5, 0
	s_branch .LBB22_3828
.LBB22_3826:
	s_mov_b32 s5, -1
                                        ; implicit-def: $vgpr3
	s_branch .LBB22_3831
.LBB22_3827:
	s_mov_b32 s5, -1
                                        ; implicit-def: $vgpr3
.LBB22_3828:
	s_delay_alu instid0(SALU_CYCLE_1)
	s_and_not1_b32 vcc_lo, exec_lo, s5
	s_cbranch_vccnz .LBB22_3830
; %bb.3829:
	s_wait_loadcnt 0x0
	global_load_u16 v3, v[4:5], off
.LBB22_3830:
	s_mov_b32 s5, 0
.LBB22_3831:
	s_delay_alu instid0(SALU_CYCLE_1)
	s_and_not1_b32 vcc_lo, exec_lo, s5
	s_cbranch_vccnz .LBB22_3837
; %bb.3832:
	global_load_u8 v9, v[4:5], off
	s_mov_b32 s22, 0
	s_mov_b32 s5, exec_lo
	s_wait_loadcnt 0x0
	v_cmpx_lt_i16_e32 0x7f, v9
	s_xor_b32 s5, exec_lo, s5
	s_cbranch_execz .LBB22_3849
; %bb.3833:
	v_cmp_ne_u16_e32 vcc_lo, 0x80, v9
	s_and_b32 s22, vcc_lo, exec_lo
	s_and_not1_saveexec_b32 s5, s5
	s_cbranch_execnz .LBB22_3850
.LBB22_3834:
	s_or_b32 exec_lo, exec_lo, s5
	v_mov_b32_e32 v3, 0
	s_and_saveexec_b32 s5, s22
	s_cbranch_execz .LBB22_3836
.LBB22_3835:
	v_and_b32_e32 v3, 0xffff, v9
	s_delay_alu instid0(VALU_DEP_1) | instskip(SKIP_1) | instid1(VALU_DEP_2)
	v_dual_lshlrev_b32 v9, 24, v9 :: v_dual_bitop2_b32 v10, 7, v3 bitop3:0x40
	v_bfe_u32 v13, v3, 3, 4
	v_and_b32_e32 v9, 0x80000000, v9
	s_delay_alu instid0(VALU_DEP_3) | instskip(NEXT) | instid1(VALU_DEP_3)
	v_clz_i32_u32_e32 v11, v10
	v_cmp_eq_u32_e32 vcc_lo, 0, v13
	s_delay_alu instid0(VALU_DEP_2) | instskip(NEXT) | instid1(VALU_DEP_1)
	v_min_u32_e32 v11, 32, v11
	v_subrev_nc_u32_e32 v12, 28, v11
	v_sub_nc_u32_e32 v11, 29, v11
	s_delay_alu instid0(VALU_DEP_2) | instskip(NEXT) | instid1(VALU_DEP_2)
	v_lshlrev_b32_e32 v3, v12, v3
	v_cndmask_b32_e32 v11, v13, v11, vcc_lo
	s_delay_alu instid0(VALU_DEP_2) | instskip(NEXT) | instid1(VALU_DEP_1)
	v_and_b32_e32 v3, 7, v3
	v_cndmask_b32_e32 v3, v10, v3, vcc_lo
	s_delay_alu instid0(VALU_DEP_3) | instskip(NEXT) | instid1(VALU_DEP_2)
	v_lshl_add_u32 v10, v11, 23, 0x3b800000
	v_lshlrev_b32_e32 v3, 20, v3
	s_delay_alu instid0(VALU_DEP_1) | instskip(NEXT) | instid1(VALU_DEP_1)
	v_or3_b32 v3, v9, v10, v3
	v_cvt_i32_f32_e32 v3, v3
.LBB22_3836:
	s_or_b32 exec_lo, exec_lo, s5
.LBB22_3837:
	s_mov_b32 s5, -1
.LBB22_3838:
	s_mov_b32 s22, 0
.LBB22_3839:
	s_delay_alu instid0(SALU_CYCLE_1)
	s_and_b32 vcc_lo, exec_lo, s22
	s_cbranch_vccz .LBB22_3870
; %bb.3840:
	s_cmp_gt_i32 s57, 22
	s_cbranch_scc0 .LBB22_3848
; %bb.3841:
	s_cmp_lt_i32 s57, 24
	s_cbranch_scc1 .LBB22_3851
; %bb.3842:
	s_cmp_gt_i32 s57, 24
	s_cbranch_scc0 .LBB22_3852
; %bb.3843:
	global_load_u8 v9, v[4:5], off
	s_mov_b32 s5, 0
	s_mov_b32 s1, exec_lo
	s_wait_loadcnt 0x0
	v_cmpx_lt_i16_e32 0x7f, v9
	s_xor_b32 s1, exec_lo, s1
	s_cbranch_execz .LBB22_3864
; %bb.3844:
	v_cmp_ne_u16_e32 vcc_lo, 0x80, v9
	s_and_b32 s5, vcc_lo, exec_lo
	s_and_not1_saveexec_b32 s1, s1
	s_cbranch_execnz .LBB22_3865
.LBB22_3845:
	s_or_b32 exec_lo, exec_lo, s1
	v_mov_b32_e32 v3, 0
	s_and_saveexec_b32 s1, s5
	s_cbranch_execz .LBB22_3847
.LBB22_3846:
	v_and_b32_e32 v3, 0xffff, v9
	s_delay_alu instid0(VALU_DEP_1) | instskip(SKIP_1) | instid1(VALU_DEP_2)
	v_dual_lshlrev_b32 v9, 24, v9 :: v_dual_bitop2_b32 v10, 3, v3 bitop3:0x40
	v_bfe_u32 v13, v3, 2, 5
	v_and_b32_e32 v9, 0x80000000, v9
	s_delay_alu instid0(VALU_DEP_3) | instskip(NEXT) | instid1(VALU_DEP_3)
	v_clz_i32_u32_e32 v11, v10
	v_cmp_eq_u32_e32 vcc_lo, 0, v13
	s_delay_alu instid0(VALU_DEP_2) | instskip(NEXT) | instid1(VALU_DEP_1)
	v_min_u32_e32 v11, 32, v11
	v_subrev_nc_u32_e32 v12, 29, v11
	v_sub_nc_u32_e32 v11, 30, v11
	s_delay_alu instid0(VALU_DEP_2) | instskip(NEXT) | instid1(VALU_DEP_2)
	v_lshlrev_b32_e32 v3, v12, v3
	v_cndmask_b32_e32 v11, v13, v11, vcc_lo
	s_delay_alu instid0(VALU_DEP_2) | instskip(NEXT) | instid1(VALU_DEP_1)
	v_and_b32_e32 v3, 3, v3
	v_cndmask_b32_e32 v3, v10, v3, vcc_lo
	s_delay_alu instid0(VALU_DEP_3) | instskip(NEXT) | instid1(VALU_DEP_2)
	v_lshl_add_u32 v10, v11, 23, 0x37800000
	v_lshlrev_b32_e32 v3, 21, v3
	s_delay_alu instid0(VALU_DEP_1) | instskip(NEXT) | instid1(VALU_DEP_1)
	v_or3_b32 v3, v9, v10, v3
	v_cvt_i32_f32_e32 v3, v3
.LBB22_3847:
	s_or_b32 exec_lo, exec_lo, s1
	s_mov_b32 s1, 0
	s_branch .LBB22_3853
.LBB22_3848:
	s_mov_b32 s1, -1
                                        ; implicit-def: $vgpr3
	s_branch .LBB22_3859
.LBB22_3849:
	s_and_not1_saveexec_b32 s5, s5
	s_cbranch_execz .LBB22_3834
.LBB22_3850:
	v_cmp_ne_u16_e32 vcc_lo, 0, v9
	s_and_not1_b32 s22, s22, exec_lo
	s_and_b32 s23, vcc_lo, exec_lo
	s_delay_alu instid0(SALU_CYCLE_1)
	s_or_b32 s22, s22, s23
	s_or_b32 exec_lo, exec_lo, s5
	v_mov_b32_e32 v3, 0
	s_and_saveexec_b32 s5, s22
	s_cbranch_execnz .LBB22_3835
	s_branch .LBB22_3836
.LBB22_3851:
	s_mov_b32 s1, -1
                                        ; implicit-def: $vgpr3
	s_branch .LBB22_3856
.LBB22_3852:
	s_mov_b32 s1, -1
                                        ; implicit-def: $vgpr3
.LBB22_3853:
	s_delay_alu instid0(SALU_CYCLE_1)
	s_and_b32 vcc_lo, exec_lo, s1
	s_cbranch_vccz .LBB22_3855
; %bb.3854:
	s_wait_loadcnt 0x0
	global_load_u8 v3, v[4:5], off
	s_wait_loadcnt 0x0
	v_lshlrev_b32_e32 v3, 24, v3
	s_delay_alu instid0(VALU_DEP_1) | instskip(NEXT) | instid1(VALU_DEP_1)
	v_and_b32_e32 v9, 0x7f000000, v3
	v_clz_i32_u32_e32 v10, v9
	v_cmp_ne_u32_e32 vcc_lo, 0, v9
	v_add_nc_u32_e32 v12, 0x1000000, v9
	s_delay_alu instid0(VALU_DEP_3) | instskip(NEXT) | instid1(VALU_DEP_1)
	v_min_u32_e32 v10, 32, v10
	v_sub_nc_u32_e64 v10, v10, 4 clamp
	s_delay_alu instid0(VALU_DEP_1) | instskip(NEXT) | instid1(VALU_DEP_1)
	v_dual_lshlrev_b32 v11, v10, v9 :: v_dual_lshlrev_b32 v10, 23, v10
	v_lshrrev_b32_e32 v11, 4, v11
	s_delay_alu instid0(VALU_DEP_1) | instskip(NEXT) | instid1(VALU_DEP_1)
	v_dual_sub_nc_u32 v10, v11, v10 :: v_dual_ashrrev_i32 v11, 8, v12
	v_add_nc_u32_e32 v10, 0x3c000000, v10
	s_delay_alu instid0(VALU_DEP_1) | instskip(NEXT) | instid1(VALU_DEP_1)
	v_and_or_b32 v10, 0x7f800000, v11, v10
	v_cndmask_b32_e32 v9, 0, v10, vcc_lo
	s_delay_alu instid0(VALU_DEP_1) | instskip(NEXT) | instid1(VALU_DEP_1)
	v_and_or_b32 v3, 0x80000000, v3, v9
	v_cvt_i32_f32_e32 v3, v3
.LBB22_3855:
	s_mov_b32 s1, 0
.LBB22_3856:
	s_delay_alu instid0(SALU_CYCLE_1)
	s_and_not1_b32 vcc_lo, exec_lo, s1
	s_cbranch_vccnz .LBB22_3858
; %bb.3857:
	s_wait_loadcnt 0x0
	global_load_u8 v3, v[4:5], off
	s_wait_loadcnt 0x0
	v_lshlrev_b32_e32 v9, 25, v3
	v_lshlrev_b16 v3, 8, v3
	s_delay_alu instid0(VALU_DEP_1) | instskip(NEXT) | instid1(VALU_DEP_3)
	v_and_or_b32 v11, 0x7f00, v3, 0.5
	v_lshrrev_b32_e32 v10, 4, v9
	v_bfe_i32 v3, v3, 0, 16
	s_delay_alu instid0(VALU_DEP_3) | instskip(NEXT) | instid1(VALU_DEP_3)
	v_add_f32_e32 v11, -0.5, v11
	v_or_b32_e32 v10, 0x70000000, v10
	s_delay_alu instid0(VALU_DEP_1) | instskip(SKIP_1) | instid1(VALU_DEP_2)
	v_mul_f32_e32 v10, 0x7800000, v10
	v_cmp_gt_u32_e32 vcc_lo, 0x8000000, v9
	v_cndmask_b32_e32 v9, v10, v11, vcc_lo
	s_delay_alu instid0(VALU_DEP_1) | instskip(NEXT) | instid1(VALU_DEP_1)
	v_and_or_b32 v3, 0x80000000, v3, v9
	v_cvt_i32_f32_e32 v3, v3
.LBB22_3858:
	s_mov_b32 s1, 0
	s_mov_b32 s5, -1
.LBB22_3859:
	s_and_not1_b32 vcc_lo, exec_lo, s1
	s_mov_b32 s1, 0
	s_cbranch_vccnz .LBB22_3870
; %bb.3860:
	s_cmp_gt_i32 s57, 14
	s_cbranch_scc0 .LBB22_3863
; %bb.3861:
	s_cmp_eq_u32 s57, 15
	s_cbranch_scc0 .LBB22_3866
; %bb.3862:
	s_wait_loadcnt 0x0
	global_load_u16 v3, v[4:5], off
	s_mov_b32 s0, 0
	s_mov_b32 s5, -1
	s_wait_loadcnt 0x0
	v_lshlrev_b32_e32 v3, 16, v3
	s_delay_alu instid0(VALU_DEP_1)
	v_cvt_i32_f32_e32 v3, v3
	s_branch .LBB22_3868
.LBB22_3863:
	s_mov_b32 s1, -1
	s_branch .LBB22_3867
.LBB22_3864:
	s_and_not1_saveexec_b32 s1, s1
	s_cbranch_execz .LBB22_3845
.LBB22_3865:
	v_cmp_ne_u16_e32 vcc_lo, 0, v9
	s_and_not1_b32 s5, s5, exec_lo
	s_and_b32 s22, vcc_lo, exec_lo
	s_delay_alu instid0(SALU_CYCLE_1)
	s_or_b32 s5, s5, s22
	s_or_b32 exec_lo, exec_lo, s1
	v_mov_b32_e32 v3, 0
	s_and_saveexec_b32 s1, s5
	s_cbranch_execnz .LBB22_3846
	s_branch .LBB22_3847
.LBB22_3866:
	s_mov_b32 s0, -1
.LBB22_3867:
                                        ; implicit-def: $vgpr3
.LBB22_3868:
	s_and_b32 vcc_lo, exec_lo, s1
	s_mov_b32 s1, 0
	s_cbranch_vccz .LBB22_3870
; %bb.3869:
	s_cmp_lg_u32 s57, 11
	s_mov_b32 s1, -1
	s_cselect_b32 s0, -1, 0
.LBB22_3870:
	s_delay_alu instid0(SALU_CYCLE_1)
	s_and_b32 vcc_lo, exec_lo, s0
	s_cbranch_vccnz .LBB22_3935
; %bb.3871:
	s_and_not1_b32 vcc_lo, exec_lo, s1
	s_cbranch_vccnz .LBB22_3873
.LBB22_3872:
	s_wait_loadcnt 0x0
	global_load_u8 v3, v[4:5], off
	s_mov_b32 s5, -1
	s_wait_loadcnt 0x0
	v_cmp_ne_u16_e32 vcc_lo, 0, v3
	v_cndmask_b32_e64 v3, 0, 1, vcc_lo
.LBB22_3873:
	s_mov_b32 s0, 0
.LBB22_3874:
	s_delay_alu instid0(SALU_CYCLE_1)
	s_and_b32 vcc_lo, exec_lo, s0
	s_cbranch_vccz .LBB22_3923
; %bb.3875:
	s_cmp_lt_i32 s57, 5
	s_cbranch_scc1 .LBB22_3880
; %bb.3876:
	s_cmp_lt_i32 s57, 8
	s_cbranch_scc1 .LBB22_3881
	;; [unrolled: 3-line block ×3, first 2 shown]
; %bb.3878:
	s_cmp_gt_i32 s57, 9
	s_cbranch_scc0 .LBB22_3883
; %bb.3879:
	s_wait_loadcnt 0x0
	global_load_b64 v[10:11], v[4:5], off
	s_mov_b32 s0, 0
	s_wait_loadcnt 0x0
	v_cvt_i32_f64_e32 v3, v[10:11]
	s_branch .LBB22_3884
.LBB22_3880:
	s_mov_b32 s0, -1
                                        ; implicit-def: $vgpr3
	s_branch .LBB22_3902
.LBB22_3881:
	s_mov_b32 s0, -1
                                        ; implicit-def: $vgpr3
	s_branch .LBB22_3890
.LBB22_3882:
	s_mov_b32 s0, -1
                                        ; implicit-def: $vgpr3
	s_branch .LBB22_3887
.LBB22_3883:
	s_mov_b32 s0, -1
                                        ; implicit-def: $vgpr3
.LBB22_3884:
	s_delay_alu instid0(SALU_CYCLE_1)
	s_and_not1_b32 vcc_lo, exec_lo, s0
	s_cbranch_vccnz .LBB22_3886
; %bb.3885:
	s_wait_loadcnt 0x0
	global_load_b32 v3, v[4:5], off
	s_wait_loadcnt 0x0
	v_cvt_i32_f32_e32 v3, v3
.LBB22_3886:
	s_mov_b32 s0, 0
.LBB22_3887:
	s_delay_alu instid0(SALU_CYCLE_1)
	s_and_not1_b32 vcc_lo, exec_lo, s0
	s_cbranch_vccnz .LBB22_3889
; %bb.3888:
	s_wait_loadcnt 0x0
	global_load_b32 v3, v[4:5], off
	s_wait_loadcnt 0x0
	v_cvt_f32_f16_e32 v3, v3
	s_delay_alu instid0(VALU_DEP_1)
	v_cvt_i32_f32_e32 v3, v3
.LBB22_3889:
	s_mov_b32 s0, 0
.LBB22_3890:
	s_delay_alu instid0(SALU_CYCLE_1)
	s_and_not1_b32 vcc_lo, exec_lo, s0
	s_cbranch_vccnz .LBB22_3901
; %bb.3891:
	s_cmp_lt_i32 s57, 6
	s_cbranch_scc1 .LBB22_3894
; %bb.3892:
	s_cmp_gt_i32 s57, 6
	s_cbranch_scc0 .LBB22_3895
; %bb.3893:
	s_wait_loadcnt 0x0
	global_load_b64 v[10:11], v[4:5], off
	s_mov_b32 s0, 0
	s_wait_loadcnt 0x0
	v_cvt_i32_f64_e32 v3, v[10:11]
	s_branch .LBB22_3896
.LBB22_3894:
	s_mov_b32 s0, -1
                                        ; implicit-def: $vgpr3
	s_branch .LBB22_3899
.LBB22_3895:
	s_mov_b32 s0, -1
                                        ; implicit-def: $vgpr3
.LBB22_3896:
	s_delay_alu instid0(SALU_CYCLE_1)
	s_and_not1_b32 vcc_lo, exec_lo, s0
	s_cbranch_vccnz .LBB22_3898
; %bb.3897:
	s_wait_loadcnt 0x0
	global_load_b32 v3, v[4:5], off
	s_wait_loadcnt 0x0
	v_cvt_i32_f32_e32 v3, v3
.LBB22_3898:
	s_mov_b32 s0, 0
.LBB22_3899:
	s_delay_alu instid0(SALU_CYCLE_1)
	s_and_not1_b32 vcc_lo, exec_lo, s0
	s_cbranch_vccnz .LBB22_3901
; %bb.3900:
	s_wait_loadcnt 0x0
	global_load_u16 v3, v[4:5], off
	s_wait_loadcnt 0x0
	v_cvt_f32_f16_e32 v3, v3
	s_delay_alu instid0(VALU_DEP_1)
	v_cvt_i32_f32_e32 v3, v3
.LBB22_3901:
	s_mov_b32 s0, 0
.LBB22_3902:
	s_delay_alu instid0(SALU_CYCLE_1)
	s_and_not1_b32 vcc_lo, exec_lo, s0
	s_cbranch_vccnz .LBB22_3922
; %bb.3903:
	s_cmp_lt_i32 s57, 2
	s_cbranch_scc1 .LBB22_3907
; %bb.3904:
	s_cmp_lt_i32 s57, 3
	s_cbranch_scc1 .LBB22_3908
; %bb.3905:
	s_cmp_gt_i32 s57, 3
	s_cbranch_scc0 .LBB22_3909
; %bb.3906:
	s_wait_loadcnt 0x0
	global_load_b32 v3, v[4:5], off
	s_mov_b32 s0, 0
	s_branch .LBB22_3910
.LBB22_3907:
	s_mov_b32 s0, -1
                                        ; implicit-def: $vgpr3
	s_branch .LBB22_3916
.LBB22_3908:
	s_mov_b32 s0, -1
                                        ; implicit-def: $vgpr3
	s_branch .LBB22_3913
.LBB22_3909:
	s_mov_b32 s0, -1
                                        ; implicit-def: $vgpr3
.LBB22_3910:
	s_delay_alu instid0(SALU_CYCLE_1)
	s_and_not1_b32 vcc_lo, exec_lo, s0
	s_cbranch_vccnz .LBB22_3912
; %bb.3911:
	s_wait_loadcnt 0x0
	global_load_b32 v3, v[4:5], off
.LBB22_3912:
	s_mov_b32 s0, 0
.LBB22_3913:
	s_delay_alu instid0(SALU_CYCLE_1)
	s_and_not1_b32 vcc_lo, exec_lo, s0
	s_cbranch_vccnz .LBB22_3915
; %bb.3914:
	s_wait_loadcnt 0x0
	global_load_i16 v3, v[4:5], off
.LBB22_3915:
	s_mov_b32 s0, 0
.LBB22_3916:
	s_delay_alu instid0(SALU_CYCLE_1)
	s_and_not1_b32 vcc_lo, exec_lo, s0
	s_cbranch_vccnz .LBB22_3922
; %bb.3917:
	s_cmp_gt_i32 s57, 0
	s_mov_b32 s0, 0
	s_cbranch_scc0 .LBB22_3919
; %bb.3918:
	s_wait_loadcnt 0x0
	global_load_i8 v3, v[4:5], off
	s_branch .LBB22_3920
.LBB22_3919:
	s_mov_b32 s0, -1
                                        ; implicit-def: $vgpr3
.LBB22_3920:
	s_delay_alu instid0(SALU_CYCLE_1)
	s_and_not1_b32 vcc_lo, exec_lo, s0
	s_cbranch_vccnz .LBB22_3922
; %bb.3921:
	s_wait_loadcnt 0x0
	global_load_u8 v3, v[4:5], off
.LBB22_3922:
	s_mov_b32 s5, -1
.LBB22_3923:
	s_delay_alu instid0(SALU_CYCLE_1)
	s_and_not1_b32 vcc_lo, exec_lo, s5
	s_cbranch_vccnz .LBB22_4318
; %bb.3924:
	s_wait_xcnt 0x0
	v_mul_lo_u32 v4, s62, v7
	s_and_b32 s58, 0xffff, s48
	s_delay_alu instid0(SALU_CYCLE_1) | instskip(NEXT) | instid1(VALU_DEP_1)
	s_cmp_lt_i32 s58, 11
	v_ashrrev_i32_e32 v5, 31, v4
	s_delay_alu instid0(VALU_DEP_1)
	v_add_nc_u64_e32 v[12:13], s[12:13], v[4:5]
	s_cbranch_scc1 .LBB22_3931
; %bb.3925:
	s_cmp_gt_i32 s58, 25
	s_mov_b32 s1, 0
	s_cbranch_scc0 .LBB22_3932
; %bb.3926:
	s_cmp_gt_i32 s58, 28
	s_cbranch_scc0 .LBB22_3933
; %bb.3927:
	s_cmp_gt_i32 s58, 43
	;; [unrolled: 3-line block ×3, first 2 shown]
	s_cbranch_scc0 .LBB22_3936
; %bb.3929:
	s_cmp_eq_u32 s58, 46
	s_mov_b32 s22, 0
	s_cbranch_scc0 .LBB22_3939
; %bb.3930:
	global_load_b32 v5, v[12:13], off
	s_mov_b32 s0, 0
	s_mov_b32 s5, -1
	s_wait_loadcnt 0x0
	v_lshlrev_b32_e32 v5, 16, v5
	s_delay_alu instid0(VALU_DEP_1)
	v_cvt_i32_f32_e32 v10, v5
	s_branch .LBB22_3941
.LBB22_3931:
	s_mov_b32 s0, -1
	s_mov_b32 s5, 0
                                        ; implicit-def: $vgpr10
	s_branch .LBB22_4003
.LBB22_3932:
	s_mov_b32 s22, -1
	s_mov_b32 s5, 0
	s_mov_b32 s0, 0
                                        ; implicit-def: $vgpr10
	s_branch .LBB22_3968
.LBB22_3933:
	s_mov_b32 s22, -1
	s_mov_b32 s5, 0
	s_mov_b32 s0, 0
                                        ; implicit-def: $vgpr10
	s_branch .LBB22_3951
.LBB22_3934:
	s_mov_b32 s22, -1
	s_mov_b32 s5, 0
	s_mov_b32 s0, 0
                                        ; implicit-def: $vgpr10
	s_branch .LBB22_3946
.LBB22_3935:
	s_or_b32 s45, s45, exec_lo
	s_trap 2
	s_cbranch_execz .LBB22_3872
	s_branch .LBB22_3873
.LBB22_3936:
	s_mov_b32 s22, -1
	s_mov_b32 s5, 0
	s_mov_b32 s0, 0
	s_branch .LBB22_3940
.LBB22_3937:
	s_or_b32 exec_lo, exec_lo, s54
	s_branch .LBB22_629
.LBB22_3938:
	s_or_b32 s40, s38, exec_lo
	s_trap 2
                                        ; implicit-def: $vgpr2
                                        ; implicit-def: $vgpr0
                                        ; implicit-def: $vgpr23
                                        ; implicit-def: $vgpr22
                                        ; implicit-def: $vgpr10
                                        ; implicit-def: $vgpr24
                                        ; implicit-def: $vgpr6
                                        ; implicit-def: $vgpr8
	s_or_saveexec_b32 s41, s0
	s_mov_b32 s1, 0
                                        ; implicit-def: $vgpr14_vgpr15
                                        ; implicit-def: $sgpr0
	s_xor_b32 exec_lo, exec_lo, s41
	s_cbranch_execz .LBB22_4322
	s_branch .LBB22_3430
.LBB22_3939:
	s_mov_b32 s0, -1
	s_mov_b32 s5, 0
.LBB22_3940:
                                        ; implicit-def: $vgpr10
.LBB22_3941:
	s_and_b32 vcc_lo, exec_lo, s22
	s_cbranch_vccz .LBB22_3945
; %bb.3942:
	s_cmp_eq_u32 s58, 44
	s_cbranch_scc0 .LBB22_3944
; %bb.3943:
	global_load_u8 v5, v[12:13], off
	s_mov_b32 s0, 0
	s_mov_b32 s5, -1
	s_wait_loadcnt 0x0
	v_lshlrev_b32_e32 v7, 23, v5
	v_cmp_ne_u32_e32 vcc_lo, 0, v5
	s_delay_alu instid0(VALU_DEP_2) | instskip(NEXT) | instid1(VALU_DEP_1)
	v_cvt_i32_f32_e32 v7, v7
	v_cndmask_b32_e32 v10, 0, v7, vcc_lo
	s_branch .LBB22_3945
.LBB22_3944:
	s_mov_b32 s0, -1
                                        ; implicit-def: $vgpr10
.LBB22_3945:
	s_mov_b32 s22, 0
.LBB22_3946:
	s_delay_alu instid0(SALU_CYCLE_1)
	s_and_b32 vcc_lo, exec_lo, s22
	s_cbranch_vccz .LBB22_3950
; %bb.3947:
	s_cmp_eq_u32 s58, 29
	s_cbranch_scc0 .LBB22_3949
; %bb.3948:
	s_wait_loadcnt 0x0
	global_load_b32 v10, v[12:13], off
	s_mov_b32 s0, 0
	s_mov_b32 s5, -1
	s_branch .LBB22_3950
.LBB22_3949:
	s_mov_b32 s0, -1
                                        ; implicit-def: $vgpr10
.LBB22_3950:
	s_mov_b32 s22, 0
.LBB22_3951:
	s_delay_alu instid0(SALU_CYCLE_1)
	s_and_b32 vcc_lo, exec_lo, s22
	s_cbranch_vccz .LBB22_3967
; %bb.3952:
	s_cmp_lt_i32 s58, 27
	s_cbranch_scc1 .LBB22_3955
; %bb.3953:
	s_cmp_gt_i32 s58, 27
	s_cbranch_scc0 .LBB22_3956
; %bb.3954:
	s_wait_loadcnt 0x0
	global_load_b32 v10, v[12:13], off
	s_mov_b32 s5, 0
	s_branch .LBB22_3957
.LBB22_3955:
	s_mov_b32 s5, -1
                                        ; implicit-def: $vgpr10
	s_branch .LBB22_3960
.LBB22_3956:
	s_mov_b32 s5, -1
                                        ; implicit-def: $vgpr10
.LBB22_3957:
	s_delay_alu instid0(SALU_CYCLE_1)
	s_and_not1_b32 vcc_lo, exec_lo, s5
	s_cbranch_vccnz .LBB22_3959
; %bb.3958:
	s_wait_loadcnt 0x0
	global_load_u16 v10, v[12:13], off
.LBB22_3959:
	s_mov_b32 s5, 0
.LBB22_3960:
	s_delay_alu instid0(SALU_CYCLE_1)
	s_and_not1_b32 vcc_lo, exec_lo, s5
	s_cbranch_vccnz .LBB22_3966
; %bb.3961:
	global_load_u8 v5, v[12:13], off
	s_mov_b32 s22, 0
	s_mov_b32 s5, exec_lo
	s_wait_loadcnt 0x0
	v_cmpx_lt_i16_e32 0x7f, v5
	s_xor_b32 s5, exec_lo, s5
	s_cbranch_execz .LBB22_3978
; %bb.3962:
	v_cmp_ne_u16_e32 vcc_lo, 0x80, v5
	s_and_b32 s22, vcc_lo, exec_lo
	s_and_not1_saveexec_b32 s5, s5
	s_cbranch_execnz .LBB22_3979
.LBB22_3963:
	s_or_b32 exec_lo, exec_lo, s5
	v_mov_b32_e32 v10, 0
	s_and_saveexec_b32 s5, s22
	s_cbranch_execz .LBB22_3965
.LBB22_3964:
	v_and_b32_e32 v7, 0xffff, v5
	s_delay_alu instid0(VALU_DEP_1) | instskip(SKIP_1) | instid1(VALU_DEP_2)
	v_and_b32_e32 v9, 7, v7
	v_bfe_u32 v14, v7, 3, 4
	v_clz_i32_u32_e32 v10, v9
	s_delay_alu instid0(VALU_DEP_2) | instskip(NEXT) | instid1(VALU_DEP_2)
	v_cmp_eq_u32_e32 vcc_lo, 0, v14
	v_min_u32_e32 v10, 32, v10
	s_delay_alu instid0(VALU_DEP_1) | instskip(NEXT) | instid1(VALU_DEP_1)
	v_subrev_nc_u32_e32 v11, 28, v10
	v_dual_lshlrev_b32 v7, v11, v7 :: v_dual_sub_nc_u32 v10, 29, v10
	s_delay_alu instid0(VALU_DEP_1) | instskip(NEXT) | instid1(VALU_DEP_1)
	v_dual_lshlrev_b32 v5, 24, v5 :: v_dual_bitop2_b32 v7, 7, v7 bitop3:0x40
	v_dual_cndmask_b32 v10, v14, v10 :: v_dual_cndmask_b32 v7, v9, v7
	s_delay_alu instid0(VALU_DEP_2) | instskip(NEXT) | instid1(VALU_DEP_2)
	v_and_b32_e32 v5, 0x80000000, v5
	v_lshl_add_u32 v9, v10, 23, 0x3b800000
	s_delay_alu instid0(VALU_DEP_3) | instskip(NEXT) | instid1(VALU_DEP_1)
	v_lshlrev_b32_e32 v7, 20, v7
	v_or3_b32 v5, v5, v9, v7
	s_delay_alu instid0(VALU_DEP_1)
	v_cvt_i32_f32_e32 v10, v5
.LBB22_3965:
	s_or_b32 exec_lo, exec_lo, s5
.LBB22_3966:
	s_mov_b32 s5, -1
.LBB22_3967:
	s_mov_b32 s22, 0
.LBB22_3968:
	s_delay_alu instid0(SALU_CYCLE_1)
	s_and_b32 vcc_lo, exec_lo, s22
	s_cbranch_vccz .LBB22_3999
; %bb.3969:
	s_cmp_gt_i32 s58, 22
	s_cbranch_scc0 .LBB22_3977
; %bb.3970:
	s_cmp_lt_i32 s58, 24
	s_cbranch_scc1 .LBB22_3980
; %bb.3971:
	s_cmp_gt_i32 s58, 24
	s_cbranch_scc0 .LBB22_3981
; %bb.3972:
	global_load_u8 v5, v[12:13], off
	s_mov_b32 s5, 0
	s_mov_b32 s1, exec_lo
	s_wait_loadcnt 0x0
	v_cmpx_lt_i16_e32 0x7f, v5
	s_xor_b32 s1, exec_lo, s1
	s_cbranch_execz .LBB22_3993
; %bb.3973:
	v_cmp_ne_u16_e32 vcc_lo, 0x80, v5
	s_and_b32 s5, vcc_lo, exec_lo
	s_and_not1_saveexec_b32 s1, s1
	s_cbranch_execnz .LBB22_3994
.LBB22_3974:
	s_or_b32 exec_lo, exec_lo, s1
	v_mov_b32_e32 v10, 0
	s_and_saveexec_b32 s1, s5
	s_cbranch_execz .LBB22_3976
.LBB22_3975:
	v_and_b32_e32 v7, 0xffff, v5
	s_delay_alu instid0(VALU_DEP_1) | instskip(SKIP_1) | instid1(VALU_DEP_2)
	v_and_b32_e32 v9, 3, v7
	v_bfe_u32 v14, v7, 2, 5
	v_clz_i32_u32_e32 v10, v9
	s_delay_alu instid0(VALU_DEP_2) | instskip(NEXT) | instid1(VALU_DEP_2)
	v_cmp_eq_u32_e32 vcc_lo, 0, v14
	v_min_u32_e32 v10, 32, v10
	s_delay_alu instid0(VALU_DEP_1) | instskip(NEXT) | instid1(VALU_DEP_1)
	v_subrev_nc_u32_e32 v11, 29, v10
	v_dual_lshlrev_b32 v7, v11, v7 :: v_dual_sub_nc_u32 v10, 30, v10
	s_delay_alu instid0(VALU_DEP_1) | instskip(NEXT) | instid1(VALU_DEP_1)
	v_dual_lshlrev_b32 v5, 24, v5 :: v_dual_bitop2_b32 v7, 3, v7 bitop3:0x40
	v_dual_cndmask_b32 v10, v14, v10 :: v_dual_cndmask_b32 v7, v9, v7
	s_delay_alu instid0(VALU_DEP_2) | instskip(NEXT) | instid1(VALU_DEP_2)
	v_and_b32_e32 v5, 0x80000000, v5
	v_lshl_add_u32 v9, v10, 23, 0x37800000
	s_delay_alu instid0(VALU_DEP_3) | instskip(NEXT) | instid1(VALU_DEP_1)
	v_lshlrev_b32_e32 v7, 21, v7
	v_or3_b32 v5, v5, v9, v7
	s_delay_alu instid0(VALU_DEP_1)
	v_cvt_i32_f32_e32 v10, v5
.LBB22_3976:
	s_or_b32 exec_lo, exec_lo, s1
	s_mov_b32 s1, 0
	s_branch .LBB22_3982
.LBB22_3977:
	s_mov_b32 s1, -1
                                        ; implicit-def: $vgpr10
	s_branch .LBB22_3988
.LBB22_3978:
	s_and_not1_saveexec_b32 s5, s5
	s_cbranch_execz .LBB22_3963
.LBB22_3979:
	v_cmp_ne_u16_e32 vcc_lo, 0, v5
	s_and_not1_b32 s22, s22, exec_lo
	s_and_b32 s23, vcc_lo, exec_lo
	s_delay_alu instid0(SALU_CYCLE_1)
	s_or_b32 s22, s22, s23
	s_or_b32 exec_lo, exec_lo, s5
	v_mov_b32_e32 v10, 0
	s_and_saveexec_b32 s5, s22
	s_cbranch_execnz .LBB22_3964
	s_branch .LBB22_3965
.LBB22_3980:
	s_mov_b32 s1, -1
                                        ; implicit-def: $vgpr10
	s_branch .LBB22_3985
.LBB22_3981:
	s_mov_b32 s1, -1
                                        ; implicit-def: $vgpr10
.LBB22_3982:
	s_delay_alu instid0(SALU_CYCLE_1)
	s_and_b32 vcc_lo, exec_lo, s1
	s_cbranch_vccz .LBB22_3984
; %bb.3983:
	global_load_u8 v5, v[12:13], off
	s_wait_loadcnt 0x0
	v_lshlrev_b32_e32 v5, 24, v5
	s_delay_alu instid0(VALU_DEP_1) | instskip(NEXT) | instid1(VALU_DEP_1)
	v_and_b32_e32 v7, 0x7f000000, v5
	v_clz_i32_u32_e32 v9, v7
	v_add_nc_u32_e32 v11, 0x1000000, v7
	v_cmp_ne_u32_e32 vcc_lo, 0, v7
	s_delay_alu instid0(VALU_DEP_3) | instskip(NEXT) | instid1(VALU_DEP_1)
	v_min_u32_e32 v9, 32, v9
	v_sub_nc_u32_e64 v9, v9, 4 clamp
	s_delay_alu instid0(VALU_DEP_1) | instskip(NEXT) | instid1(VALU_DEP_1)
	v_dual_lshlrev_b32 v10, v9, v7 :: v_dual_lshlrev_b32 v9, 23, v9
	v_lshrrev_b32_e32 v10, 4, v10
	s_delay_alu instid0(VALU_DEP_1) | instskip(NEXT) | instid1(VALU_DEP_1)
	v_dual_sub_nc_u32 v9, v10, v9 :: v_dual_ashrrev_i32 v10, 8, v11
	v_add_nc_u32_e32 v9, 0x3c000000, v9
	s_delay_alu instid0(VALU_DEP_1) | instskip(NEXT) | instid1(VALU_DEP_1)
	v_and_or_b32 v9, 0x7f800000, v10, v9
	v_cndmask_b32_e32 v7, 0, v9, vcc_lo
	s_delay_alu instid0(VALU_DEP_1) | instskip(NEXT) | instid1(VALU_DEP_1)
	v_and_or_b32 v5, 0x80000000, v5, v7
	v_cvt_i32_f32_e32 v10, v5
.LBB22_3984:
	s_mov_b32 s1, 0
.LBB22_3985:
	s_delay_alu instid0(SALU_CYCLE_1)
	s_and_not1_b32 vcc_lo, exec_lo, s1
	s_cbranch_vccnz .LBB22_3987
; %bb.3986:
	global_load_u8 v5, v[12:13], off
	s_wait_loadcnt 0x0
	v_lshlrev_b32_e32 v7, 25, v5
	v_lshlrev_b16 v5, 8, v5
	s_delay_alu instid0(VALU_DEP_1) | instskip(SKIP_1) | instid1(VALU_DEP_2)
	v_and_or_b32 v10, 0x7f00, v5, 0.5
	v_bfe_i32 v5, v5, 0, 16
	v_dual_add_f32 v10, -0.5, v10 :: v_dual_lshrrev_b32 v9, 4, v7
	v_cmp_gt_u32_e32 vcc_lo, 0x8000000, v7
	s_delay_alu instid0(VALU_DEP_2) | instskip(NEXT) | instid1(VALU_DEP_1)
	v_or_b32_e32 v9, 0x70000000, v9
	v_mul_f32_e32 v9, 0x7800000, v9
	s_delay_alu instid0(VALU_DEP_1) | instskip(NEXT) | instid1(VALU_DEP_1)
	v_cndmask_b32_e32 v7, v9, v10, vcc_lo
	v_and_or_b32 v5, 0x80000000, v5, v7
	s_delay_alu instid0(VALU_DEP_1)
	v_cvt_i32_f32_e32 v10, v5
.LBB22_3987:
	s_mov_b32 s1, 0
	s_mov_b32 s5, -1
.LBB22_3988:
	s_and_not1_b32 vcc_lo, exec_lo, s1
	s_mov_b32 s1, 0
	s_cbranch_vccnz .LBB22_3999
; %bb.3989:
	s_cmp_gt_i32 s58, 14
	s_cbranch_scc0 .LBB22_3992
; %bb.3990:
	s_cmp_eq_u32 s58, 15
	s_cbranch_scc0 .LBB22_3995
; %bb.3991:
	global_load_u16 v5, v[12:13], off
	s_mov_b32 s0, 0
	s_mov_b32 s5, -1
	s_wait_loadcnt 0x0
	v_lshlrev_b32_e32 v5, 16, v5
	s_delay_alu instid0(VALU_DEP_1)
	v_cvt_i32_f32_e32 v10, v5
	s_branch .LBB22_3997
.LBB22_3992:
	s_mov_b32 s1, -1
	s_branch .LBB22_3996
.LBB22_3993:
	s_and_not1_saveexec_b32 s1, s1
	s_cbranch_execz .LBB22_3974
.LBB22_3994:
	v_cmp_ne_u16_e32 vcc_lo, 0, v5
	s_and_not1_b32 s5, s5, exec_lo
	s_and_b32 s22, vcc_lo, exec_lo
	s_delay_alu instid0(SALU_CYCLE_1)
	s_or_b32 s5, s5, s22
	s_or_b32 exec_lo, exec_lo, s1
	v_mov_b32_e32 v10, 0
	s_and_saveexec_b32 s1, s5
	s_cbranch_execnz .LBB22_3975
	s_branch .LBB22_3976
.LBB22_3995:
	s_mov_b32 s0, -1
.LBB22_3996:
                                        ; implicit-def: $vgpr10
.LBB22_3997:
	s_and_b32 vcc_lo, exec_lo, s1
	s_mov_b32 s1, 0
	s_cbranch_vccz .LBB22_3999
; %bb.3998:
	s_cmp_lg_u32 s58, 11
	s_mov_b32 s1, -1
	s_cselect_b32 s0, -1, 0
.LBB22_3999:
	s_delay_alu instid0(SALU_CYCLE_1)
	s_and_b32 vcc_lo, exec_lo, s0
	s_cbranch_vccnz .LBB22_4064
; %bb.4000:
	s_and_not1_b32 vcc_lo, exec_lo, s1
	s_cbranch_vccnz .LBB22_4002
.LBB22_4001:
	global_load_u8 v5, v[12:13], off
	s_mov_b32 s5, -1
	s_wait_loadcnt 0x0
	v_cmp_ne_u16_e32 vcc_lo, 0, v5
	v_cndmask_b32_e64 v10, 0, 1, vcc_lo
.LBB22_4002:
	s_mov_b32 s0, 0
.LBB22_4003:
	s_delay_alu instid0(SALU_CYCLE_1)
	s_and_b32 vcc_lo, exec_lo, s0
	s_cbranch_vccz .LBB22_4052
; %bb.4004:
	s_cmp_lt_i32 s58, 5
	s_cbranch_scc1 .LBB22_4009
; %bb.4005:
	s_cmp_lt_i32 s58, 8
	s_cbranch_scc1 .LBB22_4010
	;; [unrolled: 3-line block ×3, first 2 shown]
; %bb.4007:
	s_cmp_gt_i32 s58, 9
	s_cbranch_scc0 .LBB22_4012
; %bb.4008:
	s_wait_loadcnt 0x0
	global_load_b64 v[10:11], v[12:13], off
	s_mov_b32 s0, 0
	s_wait_loadcnt 0x0
	v_cvt_i32_f64_e32 v10, v[10:11]
	s_branch .LBB22_4013
.LBB22_4009:
	s_mov_b32 s0, -1
                                        ; implicit-def: $vgpr10
	s_branch .LBB22_4031
.LBB22_4010:
	s_mov_b32 s0, -1
                                        ; implicit-def: $vgpr10
	s_branch .LBB22_4019
.LBB22_4011:
	s_mov_b32 s0, -1
                                        ; implicit-def: $vgpr10
	s_branch .LBB22_4016
.LBB22_4012:
	s_mov_b32 s0, -1
                                        ; implicit-def: $vgpr10
.LBB22_4013:
	s_delay_alu instid0(SALU_CYCLE_1)
	s_and_not1_b32 vcc_lo, exec_lo, s0
	s_cbranch_vccnz .LBB22_4015
; %bb.4014:
	global_load_b32 v5, v[12:13], off
	s_wait_loadcnt 0x0
	v_cvt_i32_f32_e32 v10, v5
.LBB22_4015:
	s_mov_b32 s0, 0
.LBB22_4016:
	s_delay_alu instid0(SALU_CYCLE_1)
	s_and_not1_b32 vcc_lo, exec_lo, s0
	s_cbranch_vccnz .LBB22_4018
; %bb.4017:
	global_load_b32 v5, v[12:13], off
	s_wait_loadcnt 0x0
	v_cvt_f32_f16_e32 v5, v5
	s_delay_alu instid0(VALU_DEP_1)
	v_cvt_i32_f32_e32 v10, v5
.LBB22_4018:
	s_mov_b32 s0, 0
.LBB22_4019:
	s_delay_alu instid0(SALU_CYCLE_1)
	s_and_not1_b32 vcc_lo, exec_lo, s0
	s_cbranch_vccnz .LBB22_4030
; %bb.4020:
	s_cmp_lt_i32 s58, 6
	s_cbranch_scc1 .LBB22_4023
; %bb.4021:
	s_cmp_gt_i32 s58, 6
	s_cbranch_scc0 .LBB22_4024
; %bb.4022:
	s_wait_loadcnt 0x0
	global_load_b64 v[10:11], v[12:13], off
	s_mov_b32 s0, 0
	s_wait_loadcnt 0x0
	v_cvt_i32_f64_e32 v10, v[10:11]
	s_branch .LBB22_4025
.LBB22_4023:
	s_mov_b32 s0, -1
                                        ; implicit-def: $vgpr10
	s_branch .LBB22_4028
.LBB22_4024:
	s_mov_b32 s0, -1
                                        ; implicit-def: $vgpr10
.LBB22_4025:
	s_delay_alu instid0(SALU_CYCLE_1)
	s_and_not1_b32 vcc_lo, exec_lo, s0
	s_cbranch_vccnz .LBB22_4027
; %bb.4026:
	global_load_b32 v5, v[12:13], off
	s_wait_loadcnt 0x0
	v_cvt_i32_f32_e32 v10, v5
.LBB22_4027:
	s_mov_b32 s0, 0
.LBB22_4028:
	s_delay_alu instid0(SALU_CYCLE_1)
	s_and_not1_b32 vcc_lo, exec_lo, s0
	s_cbranch_vccnz .LBB22_4030
; %bb.4029:
	global_load_u16 v5, v[12:13], off
	s_wait_loadcnt 0x0
	v_cvt_f32_f16_e32 v5, v5
	s_delay_alu instid0(VALU_DEP_1)
	v_cvt_i32_f32_e32 v10, v5
.LBB22_4030:
	s_mov_b32 s0, 0
.LBB22_4031:
	s_delay_alu instid0(SALU_CYCLE_1)
	s_and_not1_b32 vcc_lo, exec_lo, s0
	s_cbranch_vccnz .LBB22_4051
; %bb.4032:
	s_cmp_lt_i32 s58, 2
	s_cbranch_scc1 .LBB22_4036
; %bb.4033:
	s_cmp_lt_i32 s58, 3
	s_cbranch_scc1 .LBB22_4037
; %bb.4034:
	s_cmp_gt_i32 s58, 3
	s_cbranch_scc0 .LBB22_4038
; %bb.4035:
	s_wait_loadcnt 0x0
	global_load_b32 v10, v[12:13], off
	s_mov_b32 s0, 0
	s_branch .LBB22_4039
.LBB22_4036:
	s_mov_b32 s0, -1
                                        ; implicit-def: $vgpr10
	s_branch .LBB22_4045
.LBB22_4037:
	s_mov_b32 s0, -1
                                        ; implicit-def: $vgpr10
	s_branch .LBB22_4042
.LBB22_4038:
	s_mov_b32 s0, -1
                                        ; implicit-def: $vgpr10
.LBB22_4039:
	s_delay_alu instid0(SALU_CYCLE_1)
	s_and_not1_b32 vcc_lo, exec_lo, s0
	s_cbranch_vccnz .LBB22_4041
; %bb.4040:
	s_wait_loadcnt 0x0
	global_load_b32 v10, v[12:13], off
.LBB22_4041:
	s_mov_b32 s0, 0
.LBB22_4042:
	s_delay_alu instid0(SALU_CYCLE_1)
	s_and_not1_b32 vcc_lo, exec_lo, s0
	s_cbranch_vccnz .LBB22_4044
; %bb.4043:
	s_wait_loadcnt 0x0
	global_load_i16 v10, v[12:13], off
.LBB22_4044:
	s_mov_b32 s0, 0
.LBB22_4045:
	s_delay_alu instid0(SALU_CYCLE_1)
	s_and_not1_b32 vcc_lo, exec_lo, s0
	s_cbranch_vccnz .LBB22_4051
; %bb.4046:
	s_cmp_gt_i32 s58, 0
	s_mov_b32 s0, 0
	s_cbranch_scc0 .LBB22_4048
; %bb.4047:
	s_wait_loadcnt 0x0
	global_load_i8 v10, v[12:13], off
	s_branch .LBB22_4049
.LBB22_4048:
	s_mov_b32 s0, -1
                                        ; implicit-def: $vgpr10
.LBB22_4049:
	s_delay_alu instid0(SALU_CYCLE_1)
	s_and_not1_b32 vcc_lo, exec_lo, s0
	s_cbranch_vccnz .LBB22_4051
; %bb.4050:
	s_wait_loadcnt 0x0
	global_load_u8 v10, v[12:13], off
.LBB22_4051:
	s_mov_b32 s5, -1
.LBB22_4052:
	s_delay_alu instid0(SALU_CYCLE_1)
	s_and_not1_b32 vcc_lo, exec_lo, s5
	s_cbranch_vccnz .LBB22_4318
; %bb.4053:
	s_lshl_b32 s63, s49, 7
	s_and_b32 s59, 0xffff, s50
	v_add_nc_u32_e32 v6, s63, v6
	s_cmp_lt_i32 s59, 11
	s_delay_alu instid0(VALU_DEP_1) | instskip(NEXT) | instid1(VALU_DEP_1)
	v_ashrrev_i32_e32 v7, 31, v6
	v_add_nc_u64_e32 v[14:15], s[14:15], v[6:7]
	s_cbranch_scc1 .LBB22_4060
; %bb.4054:
	s_cmp_gt_i32 s59, 25
	s_mov_b32 s1, 0
	s_cbranch_scc0 .LBB22_4061
; %bb.4055:
	s_cmp_gt_i32 s59, 28
	s_cbranch_scc0 .LBB22_4062
; %bb.4056:
	s_cmp_gt_i32 s59, 43
	;; [unrolled: 3-line block ×3, first 2 shown]
	s_cbranch_scc0 .LBB22_4065
; %bb.4058:
	s_cmp_eq_u32 s59, 46
	s_mov_b32 s22, 0
	s_cbranch_scc0 .LBB22_4068
; %bb.4059:
	global_load_b32 v5, v[14:15], off
	s_mov_b32 s0, 0
	s_mov_b32 s5, -1
	s_wait_loadcnt 0x0
	v_lshlrev_b32_e32 v5, 16, v5
	s_wait_xcnt 0x1
	s_delay_alu instid0(VALU_DEP_1)
	v_cvt_i32_f32_e32 v12, v5
	s_branch .LBB22_4070
.LBB22_4060:
	s_mov_b32 s0, -1
	s_mov_b32 s5, 0
                                        ; implicit-def: $vgpr12
	s_branch .LBB22_4132
.LBB22_4061:
	s_mov_b32 s22, -1
	s_mov_b32 s5, 0
	s_mov_b32 s0, 0
                                        ; implicit-def: $vgpr12
	s_branch .LBB22_4097
.LBB22_4062:
	s_mov_b32 s22, -1
	s_mov_b32 s5, 0
	s_mov_b32 s0, 0
                                        ; implicit-def: $vgpr12
	s_branch .LBB22_4080
.LBB22_4063:
	s_mov_b32 s22, -1
	s_mov_b32 s5, 0
	s_mov_b32 s0, 0
                                        ; implicit-def: $vgpr12
	s_branch .LBB22_4075
.LBB22_4064:
	s_or_b32 s45, s45, exec_lo
	s_trap 2
	s_cbranch_execz .LBB22_4001
	s_branch .LBB22_4002
.LBB22_4065:
	s_mov_b32 s22, -1
	s_mov_b32 s5, 0
	s_mov_b32 s0, 0
	s_branch .LBB22_4069
.LBB22_4066:
	s_or_b32 exec_lo, exec_lo, s72
	s_branch .LBB22_1298
.LBB22_4067:
	s_or_b32 s19, s40, exec_lo
	s_trap 2
                                        ; implicit-def: $vgpr2
                                        ; implicit-def: $vgpr0
                                        ; implicit-def: $vgpr22
                                        ; implicit-def: $vgpr10
                                        ; implicit-def: $vgpr23
                                        ; implicit-def: $vgpr24
                                        ; implicit-def: $vgpr6
                                        ; implicit-def: $vgpr8
	s_branch .LBB22_3431
.LBB22_4068:
	s_mov_b32 s0, -1
	s_mov_b32 s5, 0
.LBB22_4069:
                                        ; implicit-def: $vgpr12
.LBB22_4070:
	s_and_b32 vcc_lo, exec_lo, s22
	s_cbranch_vccz .LBB22_4074
; %bb.4071:
	s_cmp_eq_u32 s59, 44
	s_cbranch_scc0 .LBB22_4073
; %bb.4072:
	global_load_u8 v5, v[14:15], off
	s_mov_b32 s0, 0
	s_mov_b32 s5, -1
	s_wait_loadcnt 0x0
	v_lshlrev_b32_e32 v7, 23, v5
	v_cmp_ne_u32_e32 vcc_lo, 0, v5
	s_delay_alu instid0(VALU_DEP_2) | instskip(SKIP_1) | instid1(VALU_DEP_1)
	v_cvt_i32_f32_e32 v7, v7
	s_wait_xcnt 0x1
	v_cndmask_b32_e32 v12, 0, v7, vcc_lo
	s_branch .LBB22_4074
.LBB22_4073:
	s_mov_b32 s0, -1
                                        ; implicit-def: $vgpr12
.LBB22_4074:
	s_mov_b32 s22, 0
.LBB22_4075:
	s_delay_alu instid0(SALU_CYCLE_1)
	s_and_b32 vcc_lo, exec_lo, s22
	s_cbranch_vccz .LBB22_4079
; %bb.4076:
	s_cmp_eq_u32 s59, 29
	s_cbranch_scc0 .LBB22_4078
; %bb.4077:
	global_load_b32 v12, v[14:15], off
	s_mov_b32 s0, 0
	s_mov_b32 s5, -1
	s_branch .LBB22_4079
.LBB22_4078:
	s_mov_b32 s0, -1
                                        ; implicit-def: $vgpr12
.LBB22_4079:
	s_mov_b32 s22, 0
.LBB22_4080:
	s_delay_alu instid0(SALU_CYCLE_1)
	s_and_b32 vcc_lo, exec_lo, s22
	s_cbranch_vccz .LBB22_4096
; %bb.4081:
	s_cmp_lt_i32 s59, 27
	s_cbranch_scc1 .LBB22_4084
; %bb.4082:
	s_cmp_gt_i32 s59, 27
	s_cbranch_scc0 .LBB22_4085
; %bb.4083:
	s_wait_loadcnt 0x0
	global_load_b32 v12, v[14:15], off
	s_mov_b32 s5, 0
	s_branch .LBB22_4086
.LBB22_4084:
	s_mov_b32 s5, -1
                                        ; implicit-def: $vgpr12
	s_branch .LBB22_4089
.LBB22_4085:
	s_mov_b32 s5, -1
                                        ; implicit-def: $vgpr12
.LBB22_4086:
	s_delay_alu instid0(SALU_CYCLE_1)
	s_and_not1_b32 vcc_lo, exec_lo, s5
	s_cbranch_vccnz .LBB22_4088
; %bb.4087:
	s_wait_loadcnt 0x0
	global_load_u16 v12, v[14:15], off
.LBB22_4088:
	s_mov_b32 s5, 0
.LBB22_4089:
	s_delay_alu instid0(SALU_CYCLE_1)
	s_and_not1_b32 vcc_lo, exec_lo, s5
	s_cbranch_vccnz .LBB22_4095
; %bb.4090:
	global_load_u8 v5, v[14:15], off
	s_mov_b32 s22, 0
	s_mov_b32 s5, exec_lo
	s_wait_loadcnt 0x0
	v_cmpx_lt_i16_e32 0x7f, v5
	s_xor_b32 s5, exec_lo, s5
	s_cbranch_execz .LBB22_4107
; %bb.4091:
	v_cmp_ne_u16_e32 vcc_lo, 0x80, v5
	s_and_b32 s22, vcc_lo, exec_lo
	s_and_not1_saveexec_b32 s5, s5
	s_cbranch_execnz .LBB22_4108
.LBB22_4092:
	s_or_b32 exec_lo, exec_lo, s5
	v_mov_b32_e32 v12, 0
	s_and_saveexec_b32 s5, s22
	s_cbranch_execz .LBB22_4094
.LBB22_4093:
	v_and_b32_e32 v7, 0xffff, v5
	s_delay_alu instid0(VALU_DEP_1) | instskip(SKIP_1) | instid1(VALU_DEP_2)
	v_dual_lshlrev_b32 v5, 24, v5 :: v_dual_bitop2_b32 v9, 7, v7 bitop3:0x40
	v_bfe_u32 v13, v7, 3, 4
	v_and_b32_e32 v5, 0x80000000, v5
	s_delay_alu instid0(VALU_DEP_3) | instskip(NEXT) | instid1(VALU_DEP_3)
	v_clz_i32_u32_e32 v11, v9
	v_cmp_eq_u32_e32 vcc_lo, 0, v13
	s_delay_alu instid0(VALU_DEP_2) | instskip(NEXT) | instid1(VALU_DEP_1)
	v_min_u32_e32 v11, 32, v11
	v_subrev_nc_u32_e32 v12, 28, v11
	v_sub_nc_u32_e32 v11, 29, v11
	s_delay_alu instid0(VALU_DEP_2) | instskip(NEXT) | instid1(VALU_DEP_2)
	v_lshlrev_b32_e32 v7, v12, v7
	v_cndmask_b32_e32 v11, v13, v11, vcc_lo
	s_delay_alu instid0(VALU_DEP_2) | instskip(NEXT) | instid1(VALU_DEP_1)
	v_and_b32_e32 v7, 7, v7
	v_cndmask_b32_e32 v7, v9, v7, vcc_lo
	s_delay_alu instid0(VALU_DEP_3) | instskip(NEXT) | instid1(VALU_DEP_2)
	v_lshl_add_u32 v9, v11, 23, 0x3b800000
	v_lshlrev_b32_e32 v7, 20, v7
	s_delay_alu instid0(VALU_DEP_1) | instskip(NEXT) | instid1(VALU_DEP_1)
	v_or3_b32 v5, v5, v9, v7
	v_cvt_i32_f32_e32 v12, v5
.LBB22_4094:
	s_or_b32 exec_lo, exec_lo, s5
.LBB22_4095:
	s_mov_b32 s5, -1
.LBB22_4096:
	s_mov_b32 s22, 0
.LBB22_4097:
	s_delay_alu instid0(SALU_CYCLE_1)
	s_and_b32 vcc_lo, exec_lo, s22
	s_cbranch_vccz .LBB22_4128
; %bb.4098:
	s_cmp_gt_i32 s59, 22
	s_cbranch_scc0 .LBB22_4106
; %bb.4099:
	s_cmp_lt_i32 s59, 24
	s_cbranch_scc1 .LBB22_4109
; %bb.4100:
	s_cmp_gt_i32 s59, 24
	s_cbranch_scc0 .LBB22_4110
; %bb.4101:
	global_load_u8 v5, v[14:15], off
	s_mov_b32 s5, 0
	s_mov_b32 s1, exec_lo
	s_wait_loadcnt 0x0
	v_cmpx_lt_i16_e32 0x7f, v5
	s_xor_b32 s1, exec_lo, s1
	s_cbranch_execz .LBB22_4122
; %bb.4102:
	v_cmp_ne_u16_e32 vcc_lo, 0x80, v5
	s_and_b32 s5, vcc_lo, exec_lo
	s_and_not1_saveexec_b32 s1, s1
	s_cbranch_execnz .LBB22_4123
.LBB22_4103:
	s_or_b32 exec_lo, exec_lo, s1
	v_mov_b32_e32 v12, 0
	s_and_saveexec_b32 s1, s5
	s_cbranch_execz .LBB22_4105
.LBB22_4104:
	v_and_b32_e32 v7, 0xffff, v5
	s_delay_alu instid0(VALU_DEP_1) | instskip(SKIP_1) | instid1(VALU_DEP_2)
	v_dual_lshlrev_b32 v5, 24, v5 :: v_dual_bitop2_b32 v9, 3, v7 bitop3:0x40
	v_bfe_u32 v13, v7, 2, 5
	v_and_b32_e32 v5, 0x80000000, v5
	s_delay_alu instid0(VALU_DEP_3) | instskip(NEXT) | instid1(VALU_DEP_3)
	v_clz_i32_u32_e32 v11, v9
	v_cmp_eq_u32_e32 vcc_lo, 0, v13
	s_delay_alu instid0(VALU_DEP_2) | instskip(NEXT) | instid1(VALU_DEP_1)
	v_min_u32_e32 v11, 32, v11
	v_subrev_nc_u32_e32 v12, 29, v11
	v_sub_nc_u32_e32 v11, 30, v11
	s_delay_alu instid0(VALU_DEP_2) | instskip(NEXT) | instid1(VALU_DEP_2)
	v_lshlrev_b32_e32 v7, v12, v7
	v_cndmask_b32_e32 v11, v13, v11, vcc_lo
	s_delay_alu instid0(VALU_DEP_2) | instskip(NEXT) | instid1(VALU_DEP_1)
	v_and_b32_e32 v7, 3, v7
	v_cndmask_b32_e32 v7, v9, v7, vcc_lo
	s_delay_alu instid0(VALU_DEP_3) | instskip(NEXT) | instid1(VALU_DEP_2)
	v_lshl_add_u32 v9, v11, 23, 0x37800000
	v_lshlrev_b32_e32 v7, 21, v7
	s_delay_alu instid0(VALU_DEP_1) | instskip(NEXT) | instid1(VALU_DEP_1)
	v_or3_b32 v5, v5, v9, v7
	v_cvt_i32_f32_e32 v12, v5
.LBB22_4105:
	s_or_b32 exec_lo, exec_lo, s1
	s_mov_b32 s1, 0
	s_branch .LBB22_4111
.LBB22_4106:
	s_mov_b32 s1, -1
                                        ; implicit-def: $vgpr12
	s_branch .LBB22_4117
.LBB22_4107:
	s_and_not1_saveexec_b32 s5, s5
	s_cbranch_execz .LBB22_4092
.LBB22_4108:
	v_cmp_ne_u16_e32 vcc_lo, 0, v5
	s_and_not1_b32 s22, s22, exec_lo
	s_and_b32 s23, vcc_lo, exec_lo
	s_delay_alu instid0(SALU_CYCLE_1)
	s_or_b32 s22, s22, s23
	s_or_b32 exec_lo, exec_lo, s5
	v_mov_b32_e32 v12, 0
	s_and_saveexec_b32 s5, s22
	s_cbranch_execnz .LBB22_4093
	s_branch .LBB22_4094
.LBB22_4109:
	s_mov_b32 s1, -1
                                        ; implicit-def: $vgpr12
	s_branch .LBB22_4114
.LBB22_4110:
	s_mov_b32 s1, -1
                                        ; implicit-def: $vgpr12
.LBB22_4111:
	s_delay_alu instid0(SALU_CYCLE_1)
	s_and_b32 vcc_lo, exec_lo, s1
	s_cbranch_vccz .LBB22_4113
; %bb.4112:
	global_load_u8 v5, v[14:15], off
	s_wait_loadcnt 0x0
	v_lshlrev_b32_e32 v5, 24, v5
	s_delay_alu instid0(VALU_DEP_1) | instskip(NEXT) | instid1(VALU_DEP_1)
	v_and_b32_e32 v7, 0x7f000000, v5
	v_clz_i32_u32_e32 v9, v7
	v_cmp_ne_u32_e32 vcc_lo, 0, v7
	s_wait_xcnt 0x1
	v_add_nc_u32_e32 v12, 0x1000000, v7
	s_delay_alu instid0(VALU_DEP_3) | instskip(NEXT) | instid1(VALU_DEP_1)
	v_min_u32_e32 v9, 32, v9
	v_sub_nc_u32_e64 v9, v9, 4 clamp
	s_delay_alu instid0(VALU_DEP_1) | instskip(NEXT) | instid1(VALU_DEP_1)
	v_dual_lshlrev_b32 v11, v9, v7 :: v_dual_lshlrev_b32 v9, 23, v9
	v_lshrrev_b32_e32 v11, 4, v11
	s_delay_alu instid0(VALU_DEP_1) | instskip(NEXT) | instid1(VALU_DEP_1)
	v_dual_sub_nc_u32 v9, v11, v9 :: v_dual_ashrrev_i32 v11, 8, v12
	v_add_nc_u32_e32 v9, 0x3c000000, v9
	s_delay_alu instid0(VALU_DEP_1) | instskip(NEXT) | instid1(VALU_DEP_1)
	v_and_or_b32 v9, 0x7f800000, v11, v9
	v_cndmask_b32_e32 v7, 0, v9, vcc_lo
	s_delay_alu instid0(VALU_DEP_1) | instskip(NEXT) | instid1(VALU_DEP_1)
	v_and_or_b32 v5, 0x80000000, v5, v7
	v_cvt_i32_f32_e32 v12, v5
.LBB22_4113:
	s_mov_b32 s1, 0
.LBB22_4114:
	s_delay_alu instid0(SALU_CYCLE_1)
	s_and_not1_b32 vcc_lo, exec_lo, s1
	s_cbranch_vccnz .LBB22_4116
; %bb.4115:
	global_load_u8 v5, v[14:15], off
	s_wait_loadcnt 0x0
	v_lshlrev_b32_e32 v7, 25, v5
	v_lshlrev_b16 v5, 8, v5
	s_delay_alu instid0(VALU_DEP_1) | instskip(SKIP_1) | instid1(VALU_DEP_2)
	v_and_or_b32 v11, 0x7f00, v5, 0.5
	v_bfe_i32 v5, v5, 0, 16
	v_add_f32_e32 v11, -0.5, v11
	v_lshrrev_b32_e32 v9, 4, v7
	v_cmp_gt_u32_e32 vcc_lo, 0x8000000, v7
	s_delay_alu instid0(VALU_DEP_2) | instskip(NEXT) | instid1(VALU_DEP_1)
	v_or_b32_e32 v9, 0x70000000, v9
	v_mul_f32_e32 v9, 0x7800000, v9
	s_delay_alu instid0(VALU_DEP_1) | instskip(NEXT) | instid1(VALU_DEP_1)
	v_cndmask_b32_e32 v7, v9, v11, vcc_lo
	v_and_or_b32 v5, 0x80000000, v5, v7
	s_wait_xcnt 0x1
	s_delay_alu instid0(VALU_DEP_1)
	v_cvt_i32_f32_e32 v12, v5
.LBB22_4116:
	s_mov_b32 s1, 0
	s_mov_b32 s5, -1
.LBB22_4117:
	s_and_not1_b32 vcc_lo, exec_lo, s1
	s_mov_b32 s1, 0
	s_cbranch_vccnz .LBB22_4128
; %bb.4118:
	s_cmp_gt_i32 s59, 14
	s_cbranch_scc0 .LBB22_4121
; %bb.4119:
	s_cmp_eq_u32 s59, 15
	s_cbranch_scc0 .LBB22_4124
; %bb.4120:
	global_load_u16 v5, v[14:15], off
	s_mov_b32 s0, 0
	s_mov_b32 s5, -1
	s_wait_loadcnt 0x0
	v_lshlrev_b32_e32 v5, 16, v5
	s_wait_xcnt 0x1
	s_delay_alu instid0(VALU_DEP_1)
	v_cvt_i32_f32_e32 v12, v5
	s_branch .LBB22_4126
.LBB22_4121:
	s_mov_b32 s1, -1
	s_branch .LBB22_4125
.LBB22_4122:
	s_and_not1_saveexec_b32 s1, s1
	s_cbranch_execz .LBB22_4103
.LBB22_4123:
	v_cmp_ne_u16_e32 vcc_lo, 0, v5
	s_and_not1_b32 s5, s5, exec_lo
	s_and_b32 s22, vcc_lo, exec_lo
	s_delay_alu instid0(SALU_CYCLE_1)
	s_or_b32 s5, s5, s22
	s_or_b32 exec_lo, exec_lo, s1
	v_mov_b32_e32 v12, 0
	s_and_saveexec_b32 s1, s5
	s_cbranch_execnz .LBB22_4104
	s_branch .LBB22_4105
.LBB22_4124:
	s_mov_b32 s0, -1
.LBB22_4125:
                                        ; implicit-def: $vgpr12
.LBB22_4126:
	s_and_b32 vcc_lo, exec_lo, s1
	s_mov_b32 s1, 0
	s_cbranch_vccz .LBB22_4128
; %bb.4127:
	s_cmp_lg_u32 s59, 11
	s_mov_b32 s1, -1
	s_cselect_b32 s0, -1, 0
.LBB22_4128:
	s_delay_alu instid0(SALU_CYCLE_1)
	s_and_b32 vcc_lo, exec_lo, s0
	s_cbranch_vccnz .LBB22_4193
; %bb.4129:
	s_and_not1_b32 vcc_lo, exec_lo, s1
	s_cbranch_vccnz .LBB22_4131
.LBB22_4130:
	global_load_u8 v5, v[14:15], off
	s_mov_b32 s5, -1
	s_wait_loadcnt 0x0
	v_cmp_ne_u16_e32 vcc_lo, 0, v5
	s_wait_xcnt 0x1
	v_cndmask_b32_e64 v12, 0, 1, vcc_lo
.LBB22_4131:
	s_mov_b32 s0, 0
.LBB22_4132:
	s_delay_alu instid0(SALU_CYCLE_1)
	s_and_b32 vcc_lo, exec_lo, s0
	s_cbranch_vccz .LBB22_4181
; %bb.4133:
	s_cmp_lt_i32 s59, 5
	s_cbranch_scc1 .LBB22_4138
; %bb.4134:
	s_cmp_lt_i32 s59, 8
	s_cbranch_scc1 .LBB22_4139
	;; [unrolled: 3-line block ×3, first 2 shown]
; %bb.4136:
	s_cmp_gt_i32 s59, 9
	s_cbranch_scc0 .LBB22_4141
; %bb.4137:
	s_wait_loadcnt 0x0
	global_load_b64 v[12:13], v[14:15], off
	s_mov_b32 s0, 0
	s_wait_loadcnt 0x0
	v_cvt_i32_f64_e32 v12, v[12:13]
	s_branch .LBB22_4142
.LBB22_4138:
	s_mov_b32 s0, -1
                                        ; implicit-def: $vgpr12
	s_branch .LBB22_4160
.LBB22_4139:
	s_mov_b32 s0, -1
                                        ; implicit-def: $vgpr12
	s_branch .LBB22_4148
.LBB22_4140:
	s_mov_b32 s0, -1
                                        ; implicit-def: $vgpr12
	s_branch .LBB22_4145
.LBB22_4141:
	s_mov_b32 s0, -1
                                        ; implicit-def: $vgpr12
.LBB22_4142:
	s_delay_alu instid0(SALU_CYCLE_1)
	s_and_not1_b32 vcc_lo, exec_lo, s0
	s_cbranch_vccnz .LBB22_4144
; %bb.4143:
	global_load_b32 v5, v[14:15], off
	s_wait_loadcnt 0x0
	s_wait_xcnt 0x1
	v_cvt_i32_f32_e32 v12, v5
.LBB22_4144:
	s_mov_b32 s0, 0
.LBB22_4145:
	s_delay_alu instid0(SALU_CYCLE_1)
	s_and_not1_b32 vcc_lo, exec_lo, s0
	s_cbranch_vccnz .LBB22_4147
; %bb.4146:
	global_load_b32 v5, v[14:15], off
	s_wait_loadcnt 0x0
	v_cvt_f32_f16_e32 v5, v5
	s_wait_xcnt 0x1
	s_delay_alu instid0(VALU_DEP_1)
	v_cvt_i32_f32_e32 v12, v5
.LBB22_4147:
	s_mov_b32 s0, 0
.LBB22_4148:
	s_delay_alu instid0(SALU_CYCLE_1)
	s_and_not1_b32 vcc_lo, exec_lo, s0
	s_cbranch_vccnz .LBB22_4159
; %bb.4149:
	s_cmp_lt_i32 s59, 6
	s_cbranch_scc1 .LBB22_4152
; %bb.4150:
	s_cmp_gt_i32 s59, 6
	s_cbranch_scc0 .LBB22_4153
; %bb.4151:
	s_wait_loadcnt 0x0
	global_load_b64 v[12:13], v[14:15], off
	s_mov_b32 s0, 0
	s_wait_loadcnt 0x0
	v_cvt_i32_f64_e32 v12, v[12:13]
	s_branch .LBB22_4154
.LBB22_4152:
	s_mov_b32 s0, -1
                                        ; implicit-def: $vgpr12
	s_branch .LBB22_4157
.LBB22_4153:
	s_mov_b32 s0, -1
                                        ; implicit-def: $vgpr12
.LBB22_4154:
	s_delay_alu instid0(SALU_CYCLE_1)
	s_and_not1_b32 vcc_lo, exec_lo, s0
	s_cbranch_vccnz .LBB22_4156
; %bb.4155:
	global_load_b32 v5, v[14:15], off
	s_wait_loadcnt 0x0
	s_wait_xcnt 0x1
	v_cvt_i32_f32_e32 v12, v5
.LBB22_4156:
	s_mov_b32 s0, 0
.LBB22_4157:
	s_delay_alu instid0(SALU_CYCLE_1)
	s_and_not1_b32 vcc_lo, exec_lo, s0
	s_cbranch_vccnz .LBB22_4159
; %bb.4158:
	global_load_u16 v5, v[14:15], off
	s_wait_loadcnt 0x0
	v_cvt_f32_f16_e32 v5, v5
	s_wait_xcnt 0x1
	s_delay_alu instid0(VALU_DEP_1)
	v_cvt_i32_f32_e32 v12, v5
.LBB22_4159:
	s_mov_b32 s0, 0
.LBB22_4160:
	s_delay_alu instid0(SALU_CYCLE_1)
	s_and_not1_b32 vcc_lo, exec_lo, s0
	s_cbranch_vccnz .LBB22_4180
; %bb.4161:
	s_cmp_lt_i32 s59, 2
	s_cbranch_scc1 .LBB22_4165
; %bb.4162:
	s_cmp_lt_i32 s59, 3
	s_cbranch_scc1 .LBB22_4166
; %bb.4163:
	s_cmp_gt_i32 s59, 3
	s_cbranch_scc0 .LBB22_4167
; %bb.4164:
	s_wait_loadcnt 0x0
	global_load_b32 v12, v[14:15], off
	s_mov_b32 s0, 0
	s_branch .LBB22_4168
.LBB22_4165:
	s_mov_b32 s0, -1
                                        ; implicit-def: $vgpr12
	s_branch .LBB22_4174
.LBB22_4166:
	s_mov_b32 s0, -1
                                        ; implicit-def: $vgpr12
	s_branch .LBB22_4171
.LBB22_4167:
	s_mov_b32 s0, -1
                                        ; implicit-def: $vgpr12
.LBB22_4168:
	s_delay_alu instid0(SALU_CYCLE_1)
	s_and_not1_b32 vcc_lo, exec_lo, s0
	s_cbranch_vccnz .LBB22_4170
; %bb.4169:
	s_wait_loadcnt 0x0
	global_load_b32 v12, v[14:15], off
.LBB22_4170:
	s_mov_b32 s0, 0
.LBB22_4171:
	s_delay_alu instid0(SALU_CYCLE_1)
	s_and_not1_b32 vcc_lo, exec_lo, s0
	s_cbranch_vccnz .LBB22_4173
; %bb.4172:
	s_wait_loadcnt 0x0
	global_load_i16 v12, v[14:15], off
.LBB22_4173:
	s_mov_b32 s0, 0
.LBB22_4174:
	s_delay_alu instid0(SALU_CYCLE_1)
	s_and_not1_b32 vcc_lo, exec_lo, s0
	s_cbranch_vccnz .LBB22_4180
; %bb.4175:
	s_cmp_gt_i32 s59, 0
	s_mov_b32 s0, 0
	s_cbranch_scc0 .LBB22_4177
; %bb.4176:
	s_wait_loadcnt 0x0
	global_load_i8 v12, v[14:15], off
	s_branch .LBB22_4178
.LBB22_4177:
	s_mov_b32 s0, -1
                                        ; implicit-def: $vgpr12
.LBB22_4178:
	s_delay_alu instid0(SALU_CYCLE_1)
	s_and_not1_b32 vcc_lo, exec_lo, s0
	s_cbranch_vccnz .LBB22_4180
; %bb.4179:
	s_wait_loadcnt 0x0
	global_load_u8 v12, v[14:15], off
.LBB22_4180:
	s_mov_b32 s5, -1
.LBB22_4181:
	s_delay_alu instid0(SALU_CYCLE_1)
	s_and_not1_b32 vcc_lo, exec_lo, s5
	s_cbranch_vccnz .LBB22_4318
; %bb.4182:
	s_lshl_b32 s64, s51, 7
	s_and_b32 s60, 0xffff, s52
	v_add_nc_u32_e32 v8, s64, v8
	s_cmp_lt_i32 s60, 11
	s_delay_alu instid0(VALU_DEP_1) | instskip(SKIP_1) | instid1(VALU_DEP_1)
	v_ashrrev_i32_e32 v9, 31, v8
	s_wait_xcnt 0x0
	v_add_nc_u64_e32 v[14:15], s[16:17], v[8:9]
	s_cbranch_scc1 .LBB22_4189
; %bb.4183:
	s_cmp_gt_i32 s60, 25
	s_mov_b32 s1, 0
	s_cbranch_scc0 .LBB22_4190
; %bb.4184:
	s_cmp_gt_i32 s60, 28
	s_cbranch_scc0 .LBB22_4191
; %bb.4185:
	s_cmp_gt_i32 s60, 43
	;; [unrolled: 3-line block ×3, first 2 shown]
	s_cbranch_scc0 .LBB22_4194
; %bb.4187:
	s_cmp_eq_u32 s60, 46
	s_mov_b32 s22, 0
	s_cbranch_scc0 .LBB22_4196
; %bb.4188:
	global_load_b32 v5, v[14:15], off
	s_mov_b32 s0, 0
	s_mov_b32 s5, -1
	s_wait_loadcnt 0x0
	v_lshlrev_b32_e32 v5, 16, v5
	s_delay_alu instid0(VALU_DEP_1)
	v_cvt_i32_f32_e32 v16, v5
	s_branch .LBB22_4198
.LBB22_4189:
	s_mov_b32 s0, -1
	s_mov_b32 s5, 0
                                        ; implicit-def: $vgpr16
	s_branch .LBB22_4260
.LBB22_4190:
	s_mov_b32 s22, -1
	s_mov_b32 s5, 0
	s_mov_b32 s0, 0
                                        ; implicit-def: $vgpr16
	s_branch .LBB22_4225
.LBB22_4191:
	s_mov_b32 s22, -1
	s_mov_b32 s5, 0
	s_mov_b32 s0, 0
                                        ; implicit-def: $vgpr16
	s_branch .LBB22_4208
.LBB22_4192:
	s_mov_b32 s22, -1
	s_mov_b32 s5, 0
	s_mov_b32 s0, 0
                                        ; implicit-def: $vgpr16
	s_branch .LBB22_4203
.LBB22_4193:
	s_or_b32 s45, s45, exec_lo
	s_trap 2
	s_cbranch_execz .LBB22_4130
	s_branch .LBB22_4131
.LBB22_4194:
	s_mov_b32 s22, -1
	s_mov_b32 s5, 0
	s_mov_b32 s0, 0
	s_branch .LBB22_4197
.LBB22_4195:
	s_or_b32 exec_lo, exec_lo, s84
	s_branch .LBB22_2046
.LBB22_4196:
	s_mov_b32 s0, -1
	s_mov_b32 s5, 0
.LBB22_4197:
                                        ; implicit-def: $vgpr16
.LBB22_4198:
	s_and_b32 vcc_lo, exec_lo, s22
	s_cbranch_vccz .LBB22_4202
; %bb.4199:
	s_cmp_eq_u32 s60, 44
	s_cbranch_scc0 .LBB22_4201
; %bb.4200:
	global_load_u8 v5, v[14:15], off
	s_mov_b32 s0, 0
	s_mov_b32 s5, -1
	s_wait_loadcnt 0x0
	v_lshlrev_b32_e32 v7, 23, v5
	v_cmp_ne_u32_e32 vcc_lo, 0, v5
	s_delay_alu instid0(VALU_DEP_2) | instskip(NEXT) | instid1(VALU_DEP_1)
	v_cvt_i32_f32_e32 v7, v7
	v_cndmask_b32_e32 v16, 0, v7, vcc_lo
	s_branch .LBB22_4202
.LBB22_4201:
	s_mov_b32 s0, -1
                                        ; implicit-def: $vgpr16
.LBB22_4202:
	s_mov_b32 s22, 0
.LBB22_4203:
	s_delay_alu instid0(SALU_CYCLE_1)
	s_and_b32 vcc_lo, exec_lo, s22
	s_cbranch_vccz .LBB22_4207
; %bb.4204:
	s_cmp_eq_u32 s60, 29
	s_cbranch_scc0 .LBB22_4206
; %bb.4205:
	global_load_b32 v16, v[14:15], off
	s_mov_b32 s0, 0
	s_mov_b32 s5, -1
	s_branch .LBB22_4207
.LBB22_4206:
	s_mov_b32 s0, -1
                                        ; implicit-def: $vgpr16
.LBB22_4207:
	s_mov_b32 s22, 0
.LBB22_4208:
	s_delay_alu instid0(SALU_CYCLE_1)
	s_and_b32 vcc_lo, exec_lo, s22
	s_cbranch_vccz .LBB22_4224
; %bb.4209:
	s_cmp_lt_i32 s60, 27
	s_cbranch_scc1 .LBB22_4212
; %bb.4210:
	s_cmp_gt_i32 s60, 27
	s_cbranch_scc0 .LBB22_4213
; %bb.4211:
	s_wait_loadcnt 0x0
	global_load_b32 v16, v[14:15], off
	s_mov_b32 s5, 0
	s_branch .LBB22_4214
.LBB22_4212:
	s_mov_b32 s5, -1
                                        ; implicit-def: $vgpr16
	s_branch .LBB22_4217
.LBB22_4213:
	s_mov_b32 s5, -1
                                        ; implicit-def: $vgpr16
.LBB22_4214:
	s_delay_alu instid0(SALU_CYCLE_1)
	s_and_not1_b32 vcc_lo, exec_lo, s5
	s_cbranch_vccnz .LBB22_4216
; %bb.4215:
	s_wait_loadcnt 0x0
	global_load_u16 v16, v[14:15], off
.LBB22_4216:
	s_mov_b32 s5, 0
.LBB22_4217:
	s_delay_alu instid0(SALU_CYCLE_1)
	s_and_not1_b32 vcc_lo, exec_lo, s5
	s_cbranch_vccnz .LBB22_4223
; %bb.4218:
	global_load_u8 v5, v[14:15], off
	s_mov_b32 s22, 0
	s_mov_b32 s5, exec_lo
	s_wait_loadcnt 0x0
	v_cmpx_lt_i16_e32 0x7f, v5
	s_xor_b32 s5, exec_lo, s5
	s_cbranch_execz .LBB22_4235
; %bb.4219:
	v_cmp_ne_u16_e32 vcc_lo, 0x80, v5
	s_and_b32 s22, vcc_lo, exec_lo
	s_and_not1_saveexec_b32 s5, s5
	s_cbranch_execnz .LBB22_4236
.LBB22_4220:
	s_or_b32 exec_lo, exec_lo, s5
	v_mov_b32_e32 v16, 0
	s_and_saveexec_b32 s5, s22
	s_cbranch_execz .LBB22_4222
.LBB22_4221:
	v_and_b32_e32 v7, 0xffff, v5
	s_delay_alu instid0(VALU_DEP_1) | instskip(SKIP_1) | instid1(VALU_DEP_2)
	v_dual_lshlrev_b32 v5, 24, v5 :: v_dual_bitop2_b32 v9, 7, v7 bitop3:0x40
	v_bfe_u32 v16, v7, 3, 4
	v_and_b32_e32 v5, 0x80000000, v5
	s_delay_alu instid0(VALU_DEP_3) | instskip(NEXT) | instid1(VALU_DEP_3)
	v_clz_i32_u32_e32 v11, v9
	v_cmp_eq_u32_e32 vcc_lo, 0, v16
	s_delay_alu instid0(VALU_DEP_2) | instskip(NEXT) | instid1(VALU_DEP_1)
	v_min_u32_e32 v11, 32, v11
	v_subrev_nc_u32_e32 v13, 28, v11
	v_sub_nc_u32_e32 v11, 29, v11
	s_delay_alu instid0(VALU_DEP_2) | instskip(NEXT) | instid1(VALU_DEP_2)
	v_lshlrev_b32_e32 v7, v13, v7
	v_cndmask_b32_e32 v11, v16, v11, vcc_lo
	s_delay_alu instid0(VALU_DEP_2) | instskip(NEXT) | instid1(VALU_DEP_1)
	v_and_b32_e32 v7, 7, v7
	v_cndmask_b32_e32 v7, v9, v7, vcc_lo
	s_delay_alu instid0(VALU_DEP_3) | instskip(NEXT) | instid1(VALU_DEP_2)
	v_lshl_add_u32 v9, v11, 23, 0x3b800000
	v_lshlrev_b32_e32 v7, 20, v7
	s_delay_alu instid0(VALU_DEP_1) | instskip(NEXT) | instid1(VALU_DEP_1)
	v_or3_b32 v5, v5, v9, v7
	v_cvt_i32_f32_e32 v16, v5
.LBB22_4222:
	s_or_b32 exec_lo, exec_lo, s5
.LBB22_4223:
	s_mov_b32 s5, -1
.LBB22_4224:
	s_mov_b32 s22, 0
.LBB22_4225:
	s_delay_alu instid0(SALU_CYCLE_1)
	s_and_b32 vcc_lo, exec_lo, s22
	s_cbranch_vccz .LBB22_4256
; %bb.4226:
	s_cmp_gt_i32 s60, 22
	s_cbranch_scc0 .LBB22_4234
; %bb.4227:
	s_cmp_lt_i32 s60, 24
	s_cbranch_scc1 .LBB22_4237
; %bb.4228:
	s_cmp_gt_i32 s60, 24
	s_cbranch_scc0 .LBB22_4238
; %bb.4229:
	global_load_u8 v5, v[14:15], off
	s_mov_b32 s5, 0
	s_mov_b32 s1, exec_lo
	s_wait_loadcnt 0x0
	v_cmpx_lt_i16_e32 0x7f, v5
	s_xor_b32 s1, exec_lo, s1
	s_cbranch_execz .LBB22_4250
; %bb.4230:
	v_cmp_ne_u16_e32 vcc_lo, 0x80, v5
	s_and_b32 s5, vcc_lo, exec_lo
	s_and_not1_saveexec_b32 s1, s1
	s_cbranch_execnz .LBB22_4251
.LBB22_4231:
	s_or_b32 exec_lo, exec_lo, s1
	v_mov_b32_e32 v16, 0
	s_and_saveexec_b32 s1, s5
	s_cbranch_execz .LBB22_4233
.LBB22_4232:
	v_and_b32_e32 v7, 0xffff, v5
	s_delay_alu instid0(VALU_DEP_1) | instskip(SKIP_1) | instid1(VALU_DEP_2)
	v_dual_lshlrev_b32 v5, 24, v5 :: v_dual_bitop2_b32 v9, 3, v7 bitop3:0x40
	v_bfe_u32 v16, v7, 2, 5
	v_and_b32_e32 v5, 0x80000000, v5
	s_delay_alu instid0(VALU_DEP_3) | instskip(NEXT) | instid1(VALU_DEP_3)
	v_clz_i32_u32_e32 v11, v9
	v_cmp_eq_u32_e32 vcc_lo, 0, v16
	s_delay_alu instid0(VALU_DEP_2) | instskip(NEXT) | instid1(VALU_DEP_1)
	v_min_u32_e32 v11, 32, v11
	v_subrev_nc_u32_e32 v13, 29, v11
	v_sub_nc_u32_e32 v11, 30, v11
	s_delay_alu instid0(VALU_DEP_2) | instskip(NEXT) | instid1(VALU_DEP_2)
	v_lshlrev_b32_e32 v7, v13, v7
	v_cndmask_b32_e32 v11, v16, v11, vcc_lo
	s_delay_alu instid0(VALU_DEP_2) | instskip(NEXT) | instid1(VALU_DEP_1)
	v_and_b32_e32 v7, 3, v7
	v_cndmask_b32_e32 v7, v9, v7, vcc_lo
	s_delay_alu instid0(VALU_DEP_3) | instskip(NEXT) | instid1(VALU_DEP_2)
	v_lshl_add_u32 v9, v11, 23, 0x37800000
	v_lshlrev_b32_e32 v7, 21, v7
	s_delay_alu instid0(VALU_DEP_1) | instskip(NEXT) | instid1(VALU_DEP_1)
	v_or3_b32 v5, v5, v9, v7
	v_cvt_i32_f32_e32 v16, v5
.LBB22_4233:
	s_or_b32 exec_lo, exec_lo, s1
	s_mov_b32 s1, 0
	s_branch .LBB22_4239
.LBB22_4234:
	s_mov_b32 s1, -1
                                        ; implicit-def: $vgpr16
	s_branch .LBB22_4245
.LBB22_4235:
	s_and_not1_saveexec_b32 s5, s5
	s_cbranch_execz .LBB22_4220
.LBB22_4236:
	v_cmp_ne_u16_e32 vcc_lo, 0, v5
	s_and_not1_b32 s22, s22, exec_lo
	s_and_b32 s23, vcc_lo, exec_lo
	s_delay_alu instid0(SALU_CYCLE_1)
	s_or_b32 s22, s22, s23
	s_or_b32 exec_lo, exec_lo, s5
	v_mov_b32_e32 v16, 0
	s_and_saveexec_b32 s5, s22
	s_cbranch_execnz .LBB22_4221
	s_branch .LBB22_4222
.LBB22_4237:
	s_mov_b32 s1, -1
                                        ; implicit-def: $vgpr16
	s_branch .LBB22_4242
.LBB22_4238:
	s_mov_b32 s1, -1
                                        ; implicit-def: $vgpr16
.LBB22_4239:
	s_delay_alu instid0(SALU_CYCLE_1)
	s_and_b32 vcc_lo, exec_lo, s1
	s_cbranch_vccz .LBB22_4241
; %bb.4240:
	global_load_u8 v5, v[14:15], off
	s_wait_loadcnt 0x0
	v_lshlrev_b32_e32 v5, 24, v5
	s_delay_alu instid0(VALU_DEP_1) | instskip(NEXT) | instid1(VALU_DEP_1)
	v_and_b32_e32 v7, 0x7f000000, v5
	v_clz_i32_u32_e32 v9, v7
	v_add_nc_u32_e32 v13, 0x1000000, v7
	v_cmp_ne_u32_e32 vcc_lo, 0, v7
	s_delay_alu instid0(VALU_DEP_3) | instskip(NEXT) | instid1(VALU_DEP_1)
	v_min_u32_e32 v9, 32, v9
	v_sub_nc_u32_e64 v9, v9, 4 clamp
	s_delay_alu instid0(VALU_DEP_1) | instskip(NEXT) | instid1(VALU_DEP_1)
	v_dual_lshlrev_b32 v11, v9, v7 :: v_dual_lshlrev_b32 v9, 23, v9
	v_lshrrev_b32_e32 v11, 4, v11
	s_delay_alu instid0(VALU_DEP_1) | instskip(SKIP_1) | instid1(VALU_DEP_2)
	v_sub_nc_u32_e32 v9, v11, v9
	v_ashrrev_i32_e32 v11, 8, v13
	v_add_nc_u32_e32 v9, 0x3c000000, v9
	s_delay_alu instid0(VALU_DEP_1) | instskip(NEXT) | instid1(VALU_DEP_1)
	v_and_or_b32 v9, 0x7f800000, v11, v9
	v_cndmask_b32_e32 v7, 0, v9, vcc_lo
	s_delay_alu instid0(VALU_DEP_1) | instskip(NEXT) | instid1(VALU_DEP_1)
	v_and_or_b32 v5, 0x80000000, v5, v7
	v_cvt_i32_f32_e32 v16, v5
.LBB22_4241:
	s_mov_b32 s1, 0
.LBB22_4242:
	s_delay_alu instid0(SALU_CYCLE_1)
	s_and_not1_b32 vcc_lo, exec_lo, s1
	s_cbranch_vccnz .LBB22_4244
; %bb.4243:
	global_load_u8 v5, v[14:15], off
	s_wait_loadcnt 0x0
	v_lshlrev_b32_e32 v7, 25, v5
	v_lshlrev_b16 v5, 8, v5
	s_delay_alu instid0(VALU_DEP_1) | instskip(SKIP_1) | instid1(VALU_DEP_2)
	v_and_or_b32 v11, 0x7f00, v5, 0.5
	v_bfe_i32 v5, v5, 0, 16
	v_add_f32_e32 v11, -0.5, v11
	v_lshrrev_b32_e32 v9, 4, v7
	v_cmp_gt_u32_e32 vcc_lo, 0x8000000, v7
	s_delay_alu instid0(VALU_DEP_2) | instskip(NEXT) | instid1(VALU_DEP_1)
	v_or_b32_e32 v9, 0x70000000, v9
	v_mul_f32_e32 v9, 0x7800000, v9
	s_delay_alu instid0(VALU_DEP_1) | instskip(NEXT) | instid1(VALU_DEP_1)
	v_cndmask_b32_e32 v7, v9, v11, vcc_lo
	v_and_or_b32 v5, 0x80000000, v5, v7
	s_delay_alu instid0(VALU_DEP_1)
	v_cvt_i32_f32_e32 v16, v5
.LBB22_4244:
	s_mov_b32 s1, 0
	s_mov_b32 s5, -1
.LBB22_4245:
	s_and_not1_b32 vcc_lo, exec_lo, s1
	s_mov_b32 s1, 0
	s_cbranch_vccnz .LBB22_4256
; %bb.4246:
	s_cmp_gt_i32 s60, 14
	s_cbranch_scc0 .LBB22_4249
; %bb.4247:
	s_cmp_eq_u32 s60, 15
	s_cbranch_scc0 .LBB22_4252
; %bb.4248:
	global_load_u16 v5, v[14:15], off
	s_mov_b32 s0, 0
	s_mov_b32 s5, -1
	s_wait_loadcnt 0x0
	v_lshlrev_b32_e32 v5, 16, v5
	s_delay_alu instid0(VALU_DEP_1)
	v_cvt_i32_f32_e32 v16, v5
	s_branch .LBB22_4254
.LBB22_4249:
	s_mov_b32 s1, -1
	s_branch .LBB22_4253
.LBB22_4250:
	s_and_not1_saveexec_b32 s1, s1
	s_cbranch_execz .LBB22_4231
.LBB22_4251:
	v_cmp_ne_u16_e32 vcc_lo, 0, v5
	s_and_not1_b32 s5, s5, exec_lo
	s_and_b32 s22, vcc_lo, exec_lo
	s_delay_alu instid0(SALU_CYCLE_1)
	s_or_b32 s5, s5, s22
	s_or_b32 exec_lo, exec_lo, s1
	v_mov_b32_e32 v16, 0
	s_and_saveexec_b32 s1, s5
	s_cbranch_execnz .LBB22_4232
	s_branch .LBB22_4233
.LBB22_4252:
	s_mov_b32 s0, -1
.LBB22_4253:
                                        ; implicit-def: $vgpr16
.LBB22_4254:
	s_and_b32 vcc_lo, exec_lo, s1
	s_mov_b32 s1, 0
	s_cbranch_vccz .LBB22_4256
; %bb.4255:
	s_cmp_lg_u32 s60, 11
	s_mov_b32 s1, -1
	s_cselect_b32 s0, -1, 0
.LBB22_4256:
	s_delay_alu instid0(SALU_CYCLE_1)
	s_and_b32 vcc_lo, exec_lo, s0
	s_cbranch_vccnz .LBB22_4344
; %bb.4257:
	s_and_not1_b32 vcc_lo, exec_lo, s1
	s_cbranch_vccnz .LBB22_4259
.LBB22_4258:
	global_load_u8 v5, v[14:15], off
	s_mov_b32 s5, -1
	s_wait_loadcnt 0x0
	v_cmp_ne_u16_e32 vcc_lo, 0, v5
	v_cndmask_b32_e64 v16, 0, 1, vcc_lo
.LBB22_4259:
	s_mov_b32 s0, 0
.LBB22_4260:
	s_delay_alu instid0(SALU_CYCLE_1)
	s_and_b32 vcc_lo, exec_lo, s0
	s_cbranch_vccz .LBB22_4309
; %bb.4261:
	s_cmp_lt_i32 s60, 5
	s_cbranch_scc1 .LBB22_4266
; %bb.4262:
	s_cmp_lt_i32 s60, 8
	s_cbranch_scc1 .LBB22_4267
	;; [unrolled: 3-line block ×3, first 2 shown]
; %bb.4264:
	s_cmp_gt_i32 s60, 9
	s_cbranch_scc0 .LBB22_4269
; %bb.4265:
	s_wait_loadcnt 0x0
	global_load_b64 v[16:17], v[14:15], off
	s_mov_b32 s0, 0
	s_wait_loadcnt 0x0
	v_cvt_i32_f64_e32 v16, v[16:17]
	s_branch .LBB22_4270
.LBB22_4266:
	s_mov_b32 s0, -1
                                        ; implicit-def: $vgpr16
	s_branch .LBB22_4288
.LBB22_4267:
	s_mov_b32 s0, -1
                                        ; implicit-def: $vgpr16
	s_branch .LBB22_4276
.LBB22_4268:
	s_mov_b32 s0, -1
                                        ; implicit-def: $vgpr16
	s_branch .LBB22_4273
.LBB22_4269:
	s_mov_b32 s0, -1
                                        ; implicit-def: $vgpr16
.LBB22_4270:
	s_delay_alu instid0(SALU_CYCLE_1)
	s_and_not1_b32 vcc_lo, exec_lo, s0
	s_cbranch_vccnz .LBB22_4272
; %bb.4271:
	global_load_b32 v5, v[14:15], off
	s_wait_loadcnt 0x0
	v_cvt_i32_f32_e32 v16, v5
.LBB22_4272:
	s_mov_b32 s0, 0
.LBB22_4273:
	s_delay_alu instid0(SALU_CYCLE_1)
	s_and_not1_b32 vcc_lo, exec_lo, s0
	s_cbranch_vccnz .LBB22_4275
; %bb.4274:
	global_load_b32 v5, v[14:15], off
	s_wait_loadcnt 0x0
	v_cvt_f32_f16_e32 v5, v5
	s_delay_alu instid0(VALU_DEP_1)
	v_cvt_i32_f32_e32 v16, v5
.LBB22_4275:
	s_mov_b32 s0, 0
.LBB22_4276:
	s_delay_alu instid0(SALU_CYCLE_1)
	s_and_not1_b32 vcc_lo, exec_lo, s0
	s_cbranch_vccnz .LBB22_4287
; %bb.4277:
	s_cmp_lt_i32 s60, 6
	s_cbranch_scc1 .LBB22_4280
; %bb.4278:
	s_cmp_gt_i32 s60, 6
	s_cbranch_scc0 .LBB22_4281
; %bb.4279:
	s_wait_loadcnt 0x0
	global_load_b64 v[16:17], v[14:15], off
	s_mov_b32 s0, 0
	s_wait_loadcnt 0x0
	v_cvt_i32_f64_e32 v16, v[16:17]
	s_branch .LBB22_4282
.LBB22_4280:
	s_mov_b32 s0, -1
                                        ; implicit-def: $vgpr16
	s_branch .LBB22_4285
.LBB22_4281:
	s_mov_b32 s0, -1
                                        ; implicit-def: $vgpr16
.LBB22_4282:
	s_delay_alu instid0(SALU_CYCLE_1)
	s_and_not1_b32 vcc_lo, exec_lo, s0
	s_cbranch_vccnz .LBB22_4284
; %bb.4283:
	global_load_b32 v5, v[14:15], off
	s_wait_loadcnt 0x0
	v_cvt_i32_f32_e32 v16, v5
.LBB22_4284:
	s_mov_b32 s0, 0
.LBB22_4285:
	s_delay_alu instid0(SALU_CYCLE_1)
	s_and_not1_b32 vcc_lo, exec_lo, s0
	s_cbranch_vccnz .LBB22_4287
; %bb.4286:
	global_load_u16 v5, v[14:15], off
	s_wait_loadcnt 0x0
	v_cvt_f32_f16_e32 v5, v5
	s_delay_alu instid0(VALU_DEP_1)
	v_cvt_i32_f32_e32 v16, v5
.LBB22_4287:
	s_mov_b32 s0, 0
.LBB22_4288:
	s_delay_alu instid0(SALU_CYCLE_1)
	s_and_not1_b32 vcc_lo, exec_lo, s0
	s_cbranch_vccnz .LBB22_4308
; %bb.4289:
	s_cmp_lt_i32 s60, 2
	s_cbranch_scc1 .LBB22_4293
; %bb.4290:
	s_cmp_lt_i32 s60, 3
	s_cbranch_scc1 .LBB22_4294
; %bb.4291:
	s_cmp_gt_i32 s60, 3
	s_cbranch_scc0 .LBB22_4295
; %bb.4292:
	s_wait_loadcnt 0x0
	global_load_b32 v16, v[14:15], off
	s_mov_b32 s0, 0
	s_branch .LBB22_4296
.LBB22_4293:
	s_mov_b32 s0, -1
                                        ; implicit-def: $vgpr16
	s_branch .LBB22_4302
.LBB22_4294:
	s_mov_b32 s0, -1
                                        ; implicit-def: $vgpr16
	s_branch .LBB22_4299
.LBB22_4295:
	s_mov_b32 s0, -1
                                        ; implicit-def: $vgpr16
.LBB22_4296:
	s_delay_alu instid0(SALU_CYCLE_1)
	s_and_not1_b32 vcc_lo, exec_lo, s0
	s_cbranch_vccnz .LBB22_4298
; %bb.4297:
	s_wait_loadcnt 0x0
	global_load_b32 v16, v[14:15], off
.LBB22_4298:
	s_mov_b32 s0, 0
.LBB22_4299:
	s_delay_alu instid0(SALU_CYCLE_1)
	s_and_not1_b32 vcc_lo, exec_lo, s0
	s_cbranch_vccnz .LBB22_4301
; %bb.4300:
	s_wait_loadcnt 0x0
	global_load_i16 v16, v[14:15], off
.LBB22_4301:
	s_mov_b32 s0, 0
.LBB22_4302:
	s_delay_alu instid0(SALU_CYCLE_1)
	s_and_not1_b32 vcc_lo, exec_lo, s0
	s_cbranch_vccnz .LBB22_4308
; %bb.4303:
	s_cmp_gt_i32 s60, 0
	s_mov_b32 s0, 0
	s_cbranch_scc0 .LBB22_4305
; %bb.4304:
	s_wait_loadcnt 0x0
	global_load_i8 v16, v[14:15], off
	s_branch .LBB22_4306
.LBB22_4305:
	s_mov_b32 s0, -1
                                        ; implicit-def: $vgpr16
.LBB22_4306:
	s_delay_alu instid0(SALU_CYCLE_1)
	s_and_not1_b32 vcc_lo, exec_lo, s0
	s_cbranch_vccnz .LBB22_4308
; %bb.4307:
	s_wait_loadcnt 0x0
	global_load_u8 v16, v[14:15], off
.LBB22_4308:
	s_mov_b32 s5, -1
.LBB22_4309:
	s_delay_alu instid0(SALU_CYCLE_1)
	s_and_not1_b32 vcc_lo, exec_lo, s5
	s_cbranch_vccnz .LBB22_4318
; %bb.4310:
	s_mov_b32 s0, exec_lo
	s_wait_loadcnt 0x0
	v_cmpx_ne_u32_e64 v1, v23
	s_xor_b32 s0, exec_lo, s0
	s_cbranch_execnz .LBB22_4478
.LBB22_4311:
	s_or_saveexec_b32 s48, s0
	s_mov_b32 s1, 0
	s_mov_b32 s5, 0
                                        ; implicit-def: $vgpr14_vgpr15
                                        ; implicit-def: $sgpr0
	s_xor_b32 exec_lo, exec_lo, s48
	s_cbranch_execz .LBB22_4989
; %bb.4312:
	s_mov_b32 s49, s45
	s_mov_b32 s0, exec_lo
	v_cmpx_ne_u32_e64 v3, v24
	s_xor_b32 s0, exec_lo, s0
	s_cbranch_execnz .LBB22_4606
; %bb.4313:
	s_or_saveexec_b32 s50, s0
                                        ; implicit-def: $vgpr14_vgpr15
                                        ; implicit-def: $sgpr0
	s_delay_alu instid0(SALU_CYCLE_1)
	s_xor_b32 exec_lo, exec_lo, s50
	s_cbranch_execz .LBB22_4988
.LBB22_4314:
	v_sub_nc_u32_e32 v1, v12, v10
	s_mov_b32 s51, s49
	s_delay_alu instid0(VALU_DEP_1) | instskip(SKIP_2) | instid1(SALU_CYCLE_1)
	v_cmp_gt_i32_e32 vcc_lo, v23, v1
	v_cmp_lt_i32_e64 s0, s18, v1
	s_or_b32 s0, vcc_lo, s0
	s_and_saveexec_b32 s1, s0
	s_delay_alu instid0(SALU_CYCLE_1)
	s_xor_b32 s0, exec_lo, s1
	s_cbranch_execnz .LBB22_4734
; %bb.4315:
	s_or_saveexec_b32 s52, s0
	s_mov_b32 s1, 0
                                        ; implicit-def: $vgpr14_vgpr15
                                        ; implicit-def: $sgpr0
	s_xor_b32 exec_lo, exec_lo, s52
	s_cbranch_execz .LBB22_4987
.LBB22_4316:
	v_cmp_ne_u32_e32 vcc_lo, 1, v25
	v_mov_b64_e32 v[14:15], 0
	s_cbranch_vccnz .LBB22_4329
; %bb.4317:
	v_ashrrev_i32_e32 v17, 31, v16
	s_mov_b32 s5, s1
	v_mov_b64_e32 v[14:15], 0
	s_lshl_b64 s[26:27], s[4:5], 3
	s_mov_b64 s[22:23], 0xffffffff
	v_mul_u64_e32 v[18:19], s[6:7], v[16:17]
	v_mov_b32_e32 v16, 0
	s_add_nc_u64 s[26:27], s[24:25], s[26:27]
	s_mov_b32 s5, s46
	s_add_nc_u64 s[26:27], s[26:27], 0x68
	s_branch .LBB22_4325
.LBB22_4318:
	s_mov_b32 s1, 0
	s_mov_b32 s5, 0
                                        ; implicit-def: $vgpr14_vgpr15
                                        ; implicit-def: $sgpr0
.LBB22_4319:
	s_and_not1_b32 s2, s43, exec_lo
	s_and_b32 s3, s45, exec_lo
	s_and_b32 s5, s5, exec_lo
	;; [unrolled: 1-line block ×3, first 2 shown]
	s_or_b32 s43, s2, s3
.LBB22_4320:
	s_wait_xcnt 0x0
	s_or_b32 exec_lo, exec_lo, s44
	s_delay_alu instid0(SALU_CYCLE_1)
	s_and_not1_b32 s2, s19, exec_lo
	s_and_b32 s3, s43, exec_lo
	s_and_b32 s4, s5, exec_lo
	;; [unrolled: 1-line block ×3, first 2 shown]
	s_or_b32 s19, s2, s3
.LBB22_4321:
	s_or_b32 exec_lo, exec_lo, s42
	s_delay_alu instid0(SALU_CYCLE_1)
	s_and_not1_b32 s2, s40, exec_lo
	s_and_b32 s3, s19, exec_lo
	s_and_b32 s4, s4, exec_lo
	;; [unrolled: 1-line block ×3, first 2 shown]
	s_or_b32 s40, s2, s3
.LBB22_4322:
	s_or_b32 exec_lo, exec_lo, s41
	s_delay_alu instid0(SALU_CYCLE_1)
	s_and_not1_b32 s2, s38, exec_lo
	s_and_b32 s3, s40, exec_lo
	s_and_b32 s4, s4, exec_lo
	;; [unrolled: 1-line block ×3, first 2 shown]
	s_or_b32 s38, s2, s3
.LBB22_4323:
	s_or_b32 exec_lo, exec_lo, s39
	s_branch .LBB22_3435
.LBB22_4324:                            ;   in Loop: Header=BB22_4325 Depth=1
	s_or_b32 exec_lo, exec_lo, s0
	s_delay_alu instid0(VALU_DEP_1)
	v_mul_u64_e32 v[26:27], s[28:29], v[20:21]
	s_load_b64 s[28:29], s[26:27], 0x40
	s_add_co_i32 s5, s5, -1
	s_wait_xcnt 0x0
	s_add_nc_u64 s[26:27], s[26:27], -8
	s_cmp_eq_u32 s5, 0
	s_delay_alu instid0(VALU_DEP_1) | instskip(SKIP_1) | instid1(VALU_DEP_1)
	v_sub_nc_u64_e32 v[18:19], v[18:19], v[26:27]
	s_wait_kmcnt 0x0
	v_mad_nc_u64_u32 v[14:15], v18, s28, v[14:15]
	s_delay_alu instid0(VALU_DEP_1) | instskip(NEXT) | instid1(VALU_DEP_1)
	v_mad_u32 v1, v19, s28, v15
	v_mad_u32 v15, v18, s29, v1
	v_mov_b64_e32 v[18:19], v[20:21]
	s_cbranch_scc1 .LBB22_4329
.LBB22_4325:                            ; =>This Inner Loop Header: Depth=1
	s_load_b64 s[28:29], s[26:27], 0x0
                                        ; implicit-def: $vgpr20_vgpr21
	s_mov_b32 s0, exec_lo
	s_wait_kmcnt 0x0
	s_delay_alu instid0(VALU_DEP_1) | instskip(NEXT) | instid1(VALU_DEP_1)
	v_or_b32_e32 v17, s29, v19
	v_cmpx_ne_u64_e32 0, v[16:17]
	s_xor_b32 s53, exec_lo, s0
	s_cbranch_execz .LBB22_4327
; %bb.4326:                             ;   in Loop: Header=BB22_4325 Depth=1
	s_ashr_i32 s30, s29, 31
	v_dual_mov_b32 v29, v16 :: v_dual_ashrrev_i32 v20, 31, v19
	s_mov_b32 s31, s30
	v_mov_b32_e32 v37, v16
	s_add_nc_u64 s[34:35], s[28:29], s[30:31]
	s_delay_alu instid0(VALU_DEP_2) | instskip(SKIP_1) | instid1(SALU_CYCLE_1)
	v_mov_b32_e32 v21, v20
	s_xor_b64 s[34:35], s[34:35], s[30:31]
	s_cvt_f32_u32 s0, s34
	s_cvt_f32_u32 s31, s35
	s_sub_nc_u64 s[68:69], 0, s[34:35]
	v_add_nc_u64_e32 v[26:27], v[18:19], v[20:21]
	v_mov_b32_e32 v33, v16
	s_fmamk_f32 s0, s31, 0x4f800000, s0
	s_delay_alu instid0(SALU_CYCLE_3) | instskip(NEXT) | instid1(VALU_DEP_2)
	v_s_rcp_f32 s0, s0
	v_xor_b32_e32 v28, v26, v20
	s_delay_alu instid0(VALU_DEP_3) | instskip(SKIP_1) | instid1(TRANS32_DEP_1)
	v_xor_b32_e32 v32, v27, v20
	v_xor_b32_e32 v20, s30, v20
	s_mul_f32 s0, s0, 0x5f7ffffc
	s_delay_alu instid0(VALU_DEP_1) | instskip(NEXT) | instid1(SALU_CYCLE_2)
	v_mov_b32_e32 v21, v20
	s_mul_f32 s31, s0, 0x2f800000
	s_delay_alu instid0(SALU_CYCLE_3) | instskip(NEXT) | instid1(SALU_CYCLE_3)
	s_trunc_f32 s31, s31
	s_fmamk_f32 s0, s31, 0xcf800000, s0
	s_cvt_u32_f32 s67, s31
	s_delay_alu instid0(SALU_CYCLE_2) | instskip(NEXT) | instid1(SALU_CYCLE_3)
	s_cvt_u32_f32 s66, s0
	s_mul_u64 s[70:71], s[68:69], s[66:67]
	s_delay_alu instid0(SALU_CYCLE_1)
	s_mul_hi_u32 s73, s66, s71
	s_mul_i32 s72, s66, s71
	s_mul_hi_u32 s0, s66, s70
	s_mul_i32 s54, s67, s70
	s_add_nc_u64 s[72:73], s[0:1], s[72:73]
	s_mul_hi_u32 s31, s67, s70
	s_mul_hi_u32 s65, s67, s71
	s_add_co_u32 s0, s72, s54
	s_add_co_ci_u32 s0, s73, s31
	s_mul_i32 s70, s67, s71
	s_add_co_ci_u32 s71, s65, 0
	s_delay_alu instid0(SALU_CYCLE_1) | instskip(NEXT) | instid1(SALU_CYCLE_1)
	s_add_nc_u64 s[70:71], s[0:1], s[70:71]
	s_add_co_u32 s66, s66, s70
	s_cselect_b32 s0, -1, 0
	s_delay_alu instid0(SALU_CYCLE_1) | instskip(SKIP_1) | instid1(SALU_CYCLE_1)
	s_cmp_lg_u32 s0, 0
	s_add_co_ci_u32 s67, s67, s71
	s_mul_u64 s[68:69], s[68:69], s[66:67]
	s_delay_alu instid0(SALU_CYCLE_1)
	s_mul_hi_u32 s71, s66, s69
	s_mul_i32 s70, s66, s69
	s_mul_hi_u32 s0, s66, s68
	s_mul_i32 s54, s67, s68
	s_add_nc_u64 s[70:71], s[0:1], s[70:71]
	s_mul_hi_u32 s31, s67, s68
	s_mul_hi_u32 s65, s67, s69
	s_add_co_u32 s0, s70, s54
	s_add_co_ci_u32 s0, s71, s31
	s_mul_i32 s68, s67, s69
	s_add_co_ci_u32 s69, s65, 0
	s_delay_alu instid0(SALU_CYCLE_1) | instskip(NEXT) | instid1(SALU_CYCLE_1)
	s_add_nc_u64 s[68:69], s[0:1], s[68:69]
	s_add_co_u32 s54, s66, s68
	s_cselect_b32 s0, -1, 0
	v_mul_hi_u32 v36, v28, s54
	s_cmp_lg_u32 s0, 0
	s_add_co_ci_u32 s0, s67, s69
	s_and_b64 s[66:67], s[54:55], s[22:23]
	v_mul_u64_e32 v[30:31], s[0:1], v[28:29]
	v_mul_u64_e32 v[26:27], s[66:67], v[32:33]
	;; [unrolled: 1-line block ×3, first 2 shown]
	s_delay_alu instid0(VALU_DEP_3) | instskip(NEXT) | instid1(VALU_DEP_1)
	v_add_nc_u64_e32 v[30:31], v[36:37], v[30:31]
	v_add_co_u32 v1, vcc_lo, v30, v26
	s_delay_alu instid0(VALU_DEP_2) | instskip(NEXT) | instid1(VALU_DEP_4)
	v_add_co_ci_u32_e32 v36, vcc_lo, v31, v27, vcc_lo
	v_add_co_ci_u32_e32 v35, vcc_lo, 0, v35, vcc_lo
	s_delay_alu instid0(VALU_DEP_1) | instskip(NEXT) | instid1(VALU_DEP_1)
	v_add_nc_u64_e32 v[26:27], v[36:37], v[34:35]
	v_mul_u64_e32 v[30:31], s[34:35], v[26:27]
	s_delay_alu instid0(VALU_DEP_1) | instskip(SKIP_1) | instid1(VALU_DEP_3)
	v_sub_co_u32 v3, vcc_lo, v28, v30
	v_add_nc_u64_e32 v[28:29], 2, v[26:27]
	v_sub_nc_u32_e32 v1, v32, v31
	v_sub_co_ci_u32_e64 v7, null, v32, v31, vcc_lo
	s_delay_alu instid0(VALU_DEP_4) | instskip(NEXT) | instid1(VALU_DEP_3)
	v_sub_co_u32 v5, s0, v3, s34
	v_subrev_co_ci_u32_e64 v1, null, s35, v1, vcc_lo
	v_add_nc_u64_e32 v[30:31], 1, v[26:27]
	s_delay_alu instid0(VALU_DEP_3) | instskip(NEXT) | instid1(VALU_DEP_3)
	v_cmp_le_u32_e32 vcc_lo, s34, v5
	v_subrev_co_ci_u32_e64 v1, null, 0, v1, s0
	v_cndmask_b32_e64 v5, 0, -1, vcc_lo
	s_delay_alu instid0(VALU_DEP_2)
	v_cmp_le_u32_e32 vcc_lo, s35, v1
	v_cndmask_b32_e64 v9, 0, -1, vcc_lo
	v_cmp_le_u32_e32 vcc_lo, s34, v3
	v_cndmask_b32_e64 v3, 0, -1, vcc_lo
	;; [unrolled: 2-line block ×3, first 2 shown]
	v_cmp_eq_u32_e32 vcc_lo, s35, v1
	v_cndmask_b32_e32 v1, v9, v5, vcc_lo
	v_cmp_eq_u32_e32 vcc_lo, s35, v7
	s_delay_alu instid0(VALU_DEP_4) | instskip(NEXT) | instid1(VALU_DEP_3)
	v_cndmask_b32_e32 v3, v11, v3, vcc_lo
	v_cmp_ne_u32_e32 vcc_lo, 0, v1
	s_delay_alu instid0(VALU_DEP_2) | instskip(SKIP_1) | instid1(VALU_DEP_1)
	v_cmp_ne_u32_e64 s0, 0, v3
	v_dual_cndmask_b32 v3, v30, v28, vcc_lo :: v_dual_cndmask_b32 v1, v31, v29, vcc_lo
	v_dual_cndmask_b32 v3, v26, v3, s0 :: v_dual_cndmask_b32 v1, v27, v1, s0
	s_delay_alu instid0(VALU_DEP_1) | instskip(NEXT) | instid1(VALU_DEP_2)
	v_xor_b32_e32 v26, v3, v20
	v_xor_b32_e32 v27, v1, v20
	s_delay_alu instid0(VALU_DEP_1)
	v_sub_nc_u64_e32 v[20:21], v[26:27], v[20:21]
.LBB22_4327:                            ;   in Loop: Header=BB22_4325 Depth=1
	s_and_not1_saveexec_b32 s0, s53
	s_cbranch_execz .LBB22_4324
; %bb.4328:                             ;   in Loop: Header=BB22_4325 Depth=1
	v_cvt_f32_u32_e32 v1, s28
	s_sub_co_i32 s30, 0, s28
	v_mov_b32_e32 v21, v16
	s_delay_alu instid0(VALU_DEP_2) | instskip(SKIP_1) | instid1(TRANS32_DEP_1)
	v_rcp_iflag_f32_e32 v1, v1
	v_nop
	v_mul_f32_e32 v1, 0x4f7ffffe, v1
	s_delay_alu instid0(VALU_DEP_1) | instskip(NEXT) | instid1(VALU_DEP_1)
	v_cvt_u32_f32_e32 v1, v1
	v_mul_lo_u32 v3, s30, v1
	s_delay_alu instid0(VALU_DEP_1) | instskip(NEXT) | instid1(VALU_DEP_1)
	v_mul_hi_u32 v3, v1, v3
	v_add_nc_u32_e32 v1, v1, v3
	s_delay_alu instid0(VALU_DEP_1) | instskip(NEXT) | instid1(VALU_DEP_1)
	v_mul_hi_u32 v1, v18, v1
	v_mul_lo_u32 v3, v1, s28
	s_delay_alu instid0(VALU_DEP_1) | instskip(NEXT) | instid1(VALU_DEP_1)
	v_sub_nc_u32_e32 v3, v18, v3
	v_subrev_nc_u32_e32 v7, s28, v3
	v_cmp_le_u32_e32 vcc_lo, s28, v3
	s_delay_alu instid0(VALU_DEP_2) | instskip(NEXT) | instid1(VALU_DEP_1)
	v_dual_add_nc_u32 v5, 1, v1 :: v_dual_cndmask_b32 v3, v3, v7, vcc_lo
	v_cndmask_b32_e32 v1, v1, v5, vcc_lo
	s_delay_alu instid0(VALU_DEP_2) | instskip(NEXT) | instid1(VALU_DEP_2)
	v_cmp_le_u32_e32 vcc_lo, s28, v3
	v_add_nc_u32_e32 v5, 1, v1
	s_delay_alu instid0(VALU_DEP_1)
	v_cndmask_b32_e32 v20, v1, v5, vcc_lo
	s_branch .LBB22_4324
.LBB22_4329:
	s_mov_b32 s22, -1
	s_mov_b32 s53, s51
	s_mov_b32 s0, exec_lo
	v_cmpx_gt_i32_e64 v12, v10
	s_cbranch_execz .LBB22_4336
; %bb.4330:
	s_delay_alu instid0(VALU_DEP_2) | instskip(SKIP_3) | instid1(VALU_DEP_1)
	v_lshlrev_b64_e32 v[14:15], 2, v[14:15]
	v_dual_ashrrev_i32 v11, 31, v10 :: v_dual_ashrrev_i32 v13, 31, v12
	s_mov_b32 s5, 0
	s_xor_b32 s22, s47, -1
                                        ; implicit-def: $sgpr1
                                        ; implicit-def: $sgpr26
                                        ; implicit-def: $sgpr23
	v_lshl_add_u64 v[10:11], v[10:11], 2, v[14:15]
	s_wait_kmcnt 0x0
	v_add_nc_u64_e32 v[14:15], s[20:21], v[14:15]
	s_delay_alu instid0(VALU_DEP_2) | instskip(NEXT) | instid1(VALU_DEP_2)
	v_add_nc_u64_e32 v[10:11], s[20:21], v[10:11]
	v_lshl_add_u64 v[12:13], v[12:13], 2, v[14:15]
	s_delay_alu instid0(VALU_DEP_2)
	v_add_nc_u64_e32 v[10:11], 4, v[10:11]
	s_branch .LBB22_4332
.LBB22_4331:                            ;   in Loop: Header=BB22_4332 Depth=1
	s_or_b32 exec_lo, exec_lo, s27
	s_xor_b32 s27, s23, -1
	s_and_b32 s28, exec_lo, s26
	s_delay_alu instid0(SALU_CYCLE_1) | instskip(SKIP_2) | instid1(SALU_CYCLE_1)
	s_or_b32 s5, s28, s5
	s_and_not1_b32 s1, s1, exec_lo
	s_and_b32 s27, s27, exec_lo
	s_or_b32 s1, s1, s27
	s_and_not1_b32 exec_lo, exec_lo, s5
	s_cbranch_execz .LBB22_4334
.LBB22_4332:                            ; =>This Inner Loop Header: Depth=1
	s_or_b32 s23, s23, exec_lo
	s_or_b32 s26, s26, exec_lo
	s_mov_b32 s27, exec_lo
	s_delay_alu instid0(VALU_DEP_1)
	v_cmpx_lt_u64_e64 v[10:11], v[12:13]
	s_cbranch_execz .LBB22_4331
; %bb.4333:                             ;   in Loop: Header=BB22_4332 Depth=1
	global_load_b64 v[14:15], v[10:11], off offset:-4
	s_wait_xcnt 0x0
	v_add_nc_u64_e32 v[10:11], 4, v[10:11]
	s_and_not1_b32 s26, s26, exec_lo
	s_and_not1_b32 s23, s23, exec_lo
	s_wait_loadcnt 0x0
	v_cmp_ge_i32_e32 vcc_lo, v14, v15
	s_or_b32 s28, s22, vcc_lo
	s_delay_alu instid0(SALU_CYCLE_1) | instskip(NEXT) | instid1(SALU_CYCLE_1)
	s_and_b32 s28, s28, exec_lo
	s_or_b32 s26, s26, s28
	s_branch .LBB22_4331
.LBB22_4334:
	s_or_b32 exec_lo, exec_lo, s5
	s_mov_b32 s5, -1
	s_mov_b32 s22, s51
	s_and_saveexec_b32 s23, s1
	s_delay_alu instid0(SALU_CYCLE_1)
	s_xor_b32 s1, exec_lo, s23
	s_cbranch_execnz .LBB22_4349
.LBB22_4335:
	s_or_b32 exec_lo, exec_lo, s1
	s_delay_alu instid0(SALU_CYCLE_1) | instskip(SKIP_1) | instid1(SALU_CYCLE_1)
	s_and_not1_b32 s1, s51, exec_lo
	s_and_b32 s22, s22, exec_lo
	s_or_b32 s53, s1, s22
	s_or_not1_b32 s22, s5, exec_lo
.LBB22_4336:
	s_or_b32 exec_lo, exec_lo, s0
	s_mov_b32 s1, 0
	s_mov_b32 s5, 0
                                        ; implicit-def: $vgpr14_vgpr15
                                        ; implicit-def: $sgpr0
	s_and_saveexec_b32 s54, s22
	s_cbranch_execz .LBB22_4986
; %bb.4337:
	s_lshl_b32 s68, s55, 7
	s_cmp_lt_i32 s56, 11
	v_add_nc_u32_e32 v0, s68, v0
	s_delay_alu instid0(VALU_DEP_1) | instskip(NEXT) | instid1(VALU_DEP_1)
	v_ashrrev_i32_e32 v1, 31, v0
	v_add_nc_u64_e32 v[10:11], s[8:9], v[0:1]
	s_cbranch_scc1 .LBB22_4345
; %bb.4338:
	s_cmp_gt_i32 s56, 25
	s_cbranch_scc0 .LBB22_4346
; %bb.4339:
	s_cmp_gt_i32 s56, 28
	s_cbranch_scc0 .LBB22_4347
	;; [unrolled: 3-line block ×4, first 2 shown]
; %bb.4342:
	s_cmp_eq_u32 s56, 46
	s_mov_b32 s22, 0
	s_cbranch_scc0 .LBB22_4351
; %bb.4343:
	global_load_b32 v1, v[10:11], off
	s_mov_b32 s0, 0
	s_mov_b32 s5, -1
	s_wait_loadcnt 0x0
	v_lshlrev_b32_e32 v1, 16, v1
	s_delay_alu instid0(VALU_DEP_1)
	v_cvt_i32_f32_e32 v1, v1
	s_branch .LBB22_4353
.LBB22_4344:
	s_or_b32 s45, s45, exec_lo
	s_trap 2
	s_cbranch_execz .LBB22_4258
	s_branch .LBB22_4259
.LBB22_4345:
	s_mov_b32 s0, -1
	s_mov_b32 s55, s53
                                        ; implicit-def: $vgpr1
	s_branch .LBB22_4415
.LBB22_4346:
	s_mov_b32 s22, -1
	s_mov_b32 s0, 0
                                        ; implicit-def: $vgpr1
	s_branch .LBB22_4380
.LBB22_4347:
	s_mov_b32 s22, -1
	s_mov_b32 s0, 0
                                        ; implicit-def: $vgpr1
	s_branch .LBB22_4363
.LBB22_4348:
	s_mov_b32 s22, -1
	s_mov_b32 s0, 0
                                        ; implicit-def: $vgpr1
	s_branch .LBB22_4358
.LBB22_4349:
	s_or_b32 s22, s51, exec_lo
	s_xor_b32 s5, exec_lo, -1
	s_trap 2
	s_branch .LBB22_4335
.LBB22_4350:
	s_mov_b32 s22, -1
	s_mov_b32 s0, 0
	s_branch .LBB22_4352
.LBB22_4351:
	s_mov_b32 s0, -1
.LBB22_4352:
                                        ; implicit-def: $vgpr1
.LBB22_4353:
	s_and_b32 vcc_lo, exec_lo, s22
	s_cbranch_vccz .LBB22_4357
; %bb.4354:
	s_cmp_eq_u32 s56, 44
	s_cbranch_scc0 .LBB22_4356
; %bb.4355:
	global_load_u8 v1, v[10:11], off
	s_mov_b32 s0, 0
	s_mov_b32 s5, -1
	s_wait_loadcnt 0x0
	v_lshlrev_b32_e32 v3, 23, v1
	v_cmp_ne_u32_e32 vcc_lo, 0, v1
	s_delay_alu instid0(VALU_DEP_2) | instskip(NEXT) | instid1(VALU_DEP_1)
	v_cvt_i32_f32_e32 v3, v3
	v_cndmask_b32_e32 v1, 0, v3, vcc_lo
	s_branch .LBB22_4357
.LBB22_4356:
	s_mov_b32 s0, -1
                                        ; implicit-def: $vgpr1
.LBB22_4357:
	s_mov_b32 s22, 0
.LBB22_4358:
	s_delay_alu instid0(SALU_CYCLE_1)
	s_and_b32 vcc_lo, exec_lo, s22
	s_cbranch_vccz .LBB22_4362
; %bb.4359:
	s_cmp_eq_u32 s56, 29
	s_cbranch_scc0 .LBB22_4361
; %bb.4360:
	global_load_b32 v1, v[10:11], off
	s_mov_b32 s0, 0
	s_mov_b32 s5, -1
	s_branch .LBB22_4362
.LBB22_4361:
	s_mov_b32 s0, -1
                                        ; implicit-def: $vgpr1
.LBB22_4362:
	s_mov_b32 s22, 0
.LBB22_4363:
	s_delay_alu instid0(SALU_CYCLE_1)
	s_and_b32 vcc_lo, exec_lo, s22
	s_cbranch_vccz .LBB22_4379
; %bb.4364:
	s_cmp_lt_i32 s56, 27
	s_cbranch_scc1 .LBB22_4367
; %bb.4365:
	s_cmp_gt_i32 s56, 27
	s_cbranch_scc0 .LBB22_4368
; %bb.4366:
	s_wait_loadcnt 0x0
	global_load_b32 v1, v[10:11], off
	s_mov_b32 s5, 0
	s_branch .LBB22_4369
.LBB22_4367:
	s_mov_b32 s5, -1
                                        ; implicit-def: $vgpr1
	s_branch .LBB22_4372
.LBB22_4368:
	s_mov_b32 s5, -1
                                        ; implicit-def: $vgpr1
.LBB22_4369:
	s_delay_alu instid0(SALU_CYCLE_1)
	s_and_not1_b32 vcc_lo, exec_lo, s5
	s_cbranch_vccnz .LBB22_4371
; %bb.4370:
	s_wait_loadcnt 0x0
	global_load_u16 v1, v[10:11], off
.LBB22_4371:
	s_mov_b32 s5, 0
.LBB22_4372:
	s_delay_alu instid0(SALU_CYCLE_1)
	s_and_not1_b32 vcc_lo, exec_lo, s5
	s_cbranch_vccnz .LBB22_4378
; %bb.4373:
	global_load_u8 v3, v[10:11], off
	s_mov_b32 s22, 0
	s_mov_b32 s5, exec_lo
	s_wait_loadcnt 0x0
	v_cmpx_lt_i16_e32 0x7f, v3
	s_xor_b32 s5, exec_lo, s5
	s_cbranch_execz .LBB22_4390
; %bb.4374:
	v_cmp_ne_u16_e32 vcc_lo, 0x80, v3
	s_and_b32 s22, vcc_lo, exec_lo
	s_and_not1_saveexec_b32 s5, s5
	s_cbranch_execnz .LBB22_4391
.LBB22_4375:
	s_or_b32 exec_lo, exec_lo, s5
	v_mov_b32_e32 v1, 0
	s_and_saveexec_b32 s5, s22
	s_cbranch_execz .LBB22_4377
.LBB22_4376:
	v_and_b32_e32 v1, 0xffff, v3
	s_delay_alu instid0(VALU_DEP_1) | instskip(SKIP_1) | instid1(VALU_DEP_2)
	v_and_b32_e32 v5, 7, v1
	v_bfe_u32 v12, v1, 3, 4
	v_clz_i32_u32_e32 v7, v5
	s_delay_alu instid0(VALU_DEP_2) | instskip(NEXT) | instid1(VALU_DEP_2)
	v_cmp_eq_u32_e32 vcc_lo, 0, v12
	v_min_u32_e32 v7, 32, v7
	s_delay_alu instid0(VALU_DEP_1) | instskip(NEXT) | instid1(VALU_DEP_1)
	v_subrev_nc_u32_e32 v9, 28, v7
	v_dual_lshlrev_b32 v1, v9, v1 :: v_dual_sub_nc_u32 v7, 29, v7
	s_delay_alu instid0(VALU_DEP_1) | instskip(NEXT) | instid1(VALU_DEP_1)
	v_dual_lshlrev_b32 v3, 24, v3 :: v_dual_bitop2_b32 v1, 7, v1 bitop3:0x40
	v_dual_cndmask_b32 v1, v5, v1, vcc_lo :: v_dual_cndmask_b32 v7, v12, v7, vcc_lo
	s_delay_alu instid0(VALU_DEP_2) | instskip(NEXT) | instid1(VALU_DEP_2)
	v_and_b32_e32 v3, 0x80000000, v3
	v_lshlrev_b32_e32 v1, 20, v1
	s_delay_alu instid0(VALU_DEP_3) | instskip(NEXT) | instid1(VALU_DEP_1)
	v_lshl_add_u32 v5, v7, 23, 0x3b800000
	v_or3_b32 v1, v3, v5, v1
	s_delay_alu instid0(VALU_DEP_1)
	v_cvt_i32_f32_e32 v1, v1
.LBB22_4377:
	s_or_b32 exec_lo, exec_lo, s5
.LBB22_4378:
	s_mov_b32 s5, -1
.LBB22_4379:
	s_mov_b32 s22, 0
.LBB22_4380:
	s_delay_alu instid0(SALU_CYCLE_1)
	s_and_b32 vcc_lo, exec_lo, s22
	s_cbranch_vccz .LBB22_4411
; %bb.4381:
	s_cmp_gt_i32 s56, 22
	s_cbranch_scc0 .LBB22_4389
; %bb.4382:
	s_cmp_lt_i32 s56, 24
	s_cbranch_scc1 .LBB22_4392
; %bb.4383:
	s_cmp_gt_i32 s56, 24
	s_cbranch_scc0 .LBB22_4393
; %bb.4384:
	global_load_u8 v3, v[10:11], off
	s_mov_b32 s5, 0
	s_mov_b32 s1, exec_lo
	s_wait_loadcnt 0x0
	v_cmpx_lt_i16_e32 0x7f, v3
	s_xor_b32 s1, exec_lo, s1
	s_cbranch_execz .LBB22_4405
; %bb.4385:
	v_cmp_ne_u16_e32 vcc_lo, 0x80, v3
	s_and_b32 s5, vcc_lo, exec_lo
	s_and_not1_saveexec_b32 s1, s1
	s_cbranch_execnz .LBB22_4406
.LBB22_4386:
	s_or_b32 exec_lo, exec_lo, s1
	v_mov_b32_e32 v1, 0
	s_and_saveexec_b32 s1, s5
	s_cbranch_execz .LBB22_4388
.LBB22_4387:
	v_and_b32_e32 v1, 0xffff, v3
	s_delay_alu instid0(VALU_DEP_1) | instskip(SKIP_1) | instid1(VALU_DEP_2)
	v_and_b32_e32 v5, 3, v1
	v_bfe_u32 v12, v1, 2, 5
	v_clz_i32_u32_e32 v7, v5
	s_delay_alu instid0(VALU_DEP_2) | instskip(NEXT) | instid1(VALU_DEP_2)
	v_cmp_eq_u32_e32 vcc_lo, 0, v12
	v_min_u32_e32 v7, 32, v7
	s_delay_alu instid0(VALU_DEP_1) | instskip(NEXT) | instid1(VALU_DEP_1)
	v_subrev_nc_u32_e32 v9, 29, v7
	v_dual_lshlrev_b32 v1, v9, v1 :: v_dual_sub_nc_u32 v7, 30, v7
	s_delay_alu instid0(VALU_DEP_1) | instskip(NEXT) | instid1(VALU_DEP_1)
	v_dual_lshlrev_b32 v3, 24, v3 :: v_dual_bitop2_b32 v1, 3, v1 bitop3:0x40
	v_dual_cndmask_b32 v1, v5, v1, vcc_lo :: v_dual_cndmask_b32 v7, v12, v7, vcc_lo
	s_delay_alu instid0(VALU_DEP_2) | instskip(NEXT) | instid1(VALU_DEP_2)
	v_and_b32_e32 v3, 0x80000000, v3
	v_lshlrev_b32_e32 v1, 21, v1
	s_delay_alu instid0(VALU_DEP_3) | instskip(NEXT) | instid1(VALU_DEP_1)
	v_lshl_add_u32 v5, v7, 23, 0x37800000
	v_or3_b32 v1, v3, v5, v1
	s_delay_alu instid0(VALU_DEP_1)
	v_cvt_i32_f32_e32 v1, v1
.LBB22_4388:
	s_or_b32 exec_lo, exec_lo, s1
	s_mov_b32 s1, 0
	s_branch .LBB22_4394
.LBB22_4389:
	s_mov_b32 s1, -1
                                        ; implicit-def: $vgpr1
	s_branch .LBB22_4400
.LBB22_4390:
	s_and_not1_saveexec_b32 s5, s5
	s_cbranch_execz .LBB22_4375
.LBB22_4391:
	v_cmp_ne_u16_e32 vcc_lo, 0, v3
	s_and_not1_b32 s22, s22, exec_lo
	s_and_b32 s23, vcc_lo, exec_lo
	s_delay_alu instid0(SALU_CYCLE_1)
	s_or_b32 s22, s22, s23
	s_or_b32 exec_lo, exec_lo, s5
	v_mov_b32_e32 v1, 0
	s_and_saveexec_b32 s5, s22
	s_cbranch_execnz .LBB22_4376
	s_branch .LBB22_4377
.LBB22_4392:
	s_mov_b32 s1, -1
                                        ; implicit-def: $vgpr1
	s_branch .LBB22_4397
.LBB22_4393:
	s_mov_b32 s1, -1
                                        ; implicit-def: $vgpr1
.LBB22_4394:
	s_delay_alu instid0(SALU_CYCLE_1)
	s_and_b32 vcc_lo, exec_lo, s1
	s_cbranch_vccz .LBB22_4396
; %bb.4395:
	s_wait_loadcnt 0x0
	global_load_u8 v1, v[10:11], off
	s_wait_loadcnt 0x0
	v_lshlrev_b32_e32 v1, 24, v1
	s_delay_alu instid0(VALU_DEP_1) | instskip(NEXT) | instid1(VALU_DEP_1)
	v_and_b32_e32 v3, 0x7f000000, v1
	v_clz_i32_u32_e32 v5, v3
	v_add_nc_u32_e32 v9, 0x1000000, v3
	v_cmp_ne_u32_e32 vcc_lo, 0, v3
	s_delay_alu instid0(VALU_DEP_3) | instskip(NEXT) | instid1(VALU_DEP_1)
	v_min_u32_e32 v5, 32, v5
	v_sub_nc_u32_e64 v5, v5, 4 clamp
	s_delay_alu instid0(VALU_DEP_1) | instskip(NEXT) | instid1(VALU_DEP_1)
	v_dual_lshlrev_b32 v7, v5, v3 :: v_dual_lshlrev_b32 v5, 23, v5
	v_lshrrev_b32_e32 v7, 4, v7
	s_delay_alu instid0(VALU_DEP_1) | instskip(SKIP_1) | instid1(VALU_DEP_2)
	v_sub_nc_u32_e32 v5, v7, v5
	v_ashrrev_i32_e32 v7, 8, v9
	v_add_nc_u32_e32 v5, 0x3c000000, v5
	s_delay_alu instid0(VALU_DEP_1) | instskip(NEXT) | instid1(VALU_DEP_1)
	v_and_or_b32 v5, 0x7f800000, v7, v5
	v_cndmask_b32_e32 v3, 0, v5, vcc_lo
	s_delay_alu instid0(VALU_DEP_1) | instskip(NEXT) | instid1(VALU_DEP_1)
	v_and_or_b32 v1, 0x80000000, v1, v3
	v_cvt_i32_f32_e32 v1, v1
.LBB22_4396:
	s_mov_b32 s1, 0
.LBB22_4397:
	s_delay_alu instid0(SALU_CYCLE_1)
	s_and_not1_b32 vcc_lo, exec_lo, s1
	s_cbranch_vccnz .LBB22_4399
; %bb.4398:
	s_wait_loadcnt 0x0
	global_load_u8 v1, v[10:11], off
	s_wait_loadcnt 0x0
	v_lshlrev_b32_e32 v3, 25, v1
	v_lshlrev_b16 v1, 8, v1
	s_delay_alu instid0(VALU_DEP_1) | instskip(SKIP_1) | instid1(VALU_DEP_2)
	v_and_or_b32 v7, 0x7f00, v1, 0.5
	v_bfe_i32 v1, v1, 0, 16
	v_add_f32_e32 v7, -0.5, v7
	v_lshrrev_b32_e32 v5, 4, v3
	v_cmp_gt_u32_e32 vcc_lo, 0x8000000, v3
	s_delay_alu instid0(VALU_DEP_2) | instskip(NEXT) | instid1(VALU_DEP_1)
	v_or_b32_e32 v5, 0x70000000, v5
	v_mul_f32_e32 v5, 0x7800000, v5
	s_delay_alu instid0(VALU_DEP_1) | instskip(NEXT) | instid1(VALU_DEP_1)
	v_cndmask_b32_e32 v3, v5, v7, vcc_lo
	v_and_or_b32 v1, 0x80000000, v1, v3
	s_delay_alu instid0(VALU_DEP_1)
	v_cvt_i32_f32_e32 v1, v1
.LBB22_4399:
	s_mov_b32 s1, 0
	s_mov_b32 s5, -1
.LBB22_4400:
	s_and_not1_b32 vcc_lo, exec_lo, s1
	s_mov_b32 s1, 0
	s_cbranch_vccnz .LBB22_4411
; %bb.4401:
	s_cmp_gt_i32 s56, 14
	s_cbranch_scc0 .LBB22_4404
; %bb.4402:
	s_cmp_eq_u32 s56, 15
	s_cbranch_scc0 .LBB22_4407
; %bb.4403:
	s_wait_loadcnt 0x0
	global_load_u16 v1, v[10:11], off
	s_mov_b32 s0, 0
	s_mov_b32 s5, -1
	s_wait_loadcnt 0x0
	v_lshlrev_b32_e32 v1, 16, v1
	s_delay_alu instid0(VALU_DEP_1)
	v_cvt_i32_f32_e32 v1, v1
	s_branch .LBB22_4409
.LBB22_4404:
	s_mov_b32 s1, -1
	s_branch .LBB22_4408
.LBB22_4405:
	s_and_not1_saveexec_b32 s1, s1
	s_cbranch_execz .LBB22_4386
.LBB22_4406:
	v_cmp_ne_u16_e32 vcc_lo, 0, v3
	s_and_not1_b32 s5, s5, exec_lo
	s_and_b32 s22, vcc_lo, exec_lo
	s_delay_alu instid0(SALU_CYCLE_1)
	s_or_b32 s5, s5, s22
	s_or_b32 exec_lo, exec_lo, s1
	v_mov_b32_e32 v1, 0
	s_and_saveexec_b32 s1, s5
	s_cbranch_execnz .LBB22_4387
	s_branch .LBB22_4388
.LBB22_4407:
	s_mov_b32 s0, -1
.LBB22_4408:
                                        ; implicit-def: $vgpr1
.LBB22_4409:
	s_and_b32 vcc_lo, exec_lo, s1
	s_mov_b32 s1, 0
	s_cbranch_vccz .LBB22_4411
; %bb.4410:
	s_cmp_lg_u32 s56, 11
	s_mov_b32 s1, -1
	s_cselect_b32 s0, -1, 0
.LBB22_4411:
	s_delay_alu instid0(SALU_CYCLE_1)
	s_and_b32 vcc_lo, exec_lo, s0
	s_mov_b32 s55, s53
	s_cbranch_vccnz .LBB22_4476
; %bb.4412:
	s_and_not1_b32 vcc_lo, exec_lo, s1
	s_cbranch_vccnz .LBB22_4414
.LBB22_4413:
	s_wait_loadcnt 0x0
	global_load_u8 v1, v[10:11], off
	s_mov_b32 s5, -1
	s_wait_loadcnt 0x0
	v_cmp_ne_u16_e32 vcc_lo, 0, v1
	v_cndmask_b32_e64 v1, 0, 1, vcc_lo
.LBB22_4414:
	s_mov_b32 s0, 0
.LBB22_4415:
	s_delay_alu instid0(SALU_CYCLE_1)
	s_and_b32 vcc_lo, exec_lo, s0
	s_cbranch_vccz .LBB22_4464
; %bb.4416:
	s_cmp_lt_i32 s56, 5
	s_cbranch_scc1 .LBB22_4421
; %bb.4417:
	s_cmp_lt_i32 s56, 8
	s_cbranch_scc1 .LBB22_4422
	;; [unrolled: 3-line block ×3, first 2 shown]
; %bb.4419:
	s_cmp_gt_i32 s56, 9
	s_cbranch_scc0 .LBB22_4424
; %bb.4420:
	global_load_b64 v[12:13], v[10:11], off
	s_mov_b32 s0, 0
	s_wait_loadcnt 0x0
	v_cvt_i32_f64_e32 v1, v[12:13]
	s_branch .LBB22_4425
.LBB22_4421:
	s_mov_b32 s0, -1
                                        ; implicit-def: $vgpr1
	s_branch .LBB22_4443
.LBB22_4422:
	s_mov_b32 s0, -1
                                        ; implicit-def: $vgpr1
	s_branch .LBB22_4431
.LBB22_4423:
	s_mov_b32 s0, -1
                                        ; implicit-def: $vgpr1
	s_branch .LBB22_4428
.LBB22_4424:
	s_mov_b32 s0, -1
                                        ; implicit-def: $vgpr1
.LBB22_4425:
	s_delay_alu instid0(SALU_CYCLE_1)
	s_and_not1_b32 vcc_lo, exec_lo, s0
	s_cbranch_vccnz .LBB22_4427
; %bb.4426:
	s_wait_loadcnt 0x0
	global_load_b32 v1, v[10:11], off
	s_wait_loadcnt 0x0
	v_cvt_i32_f32_e32 v1, v1
.LBB22_4427:
	s_mov_b32 s0, 0
.LBB22_4428:
	s_delay_alu instid0(SALU_CYCLE_1)
	s_and_not1_b32 vcc_lo, exec_lo, s0
	s_cbranch_vccnz .LBB22_4430
; %bb.4429:
	s_wait_loadcnt 0x0
	global_load_b32 v1, v[10:11], off
	s_wait_loadcnt 0x0
	v_cvt_f32_f16_e32 v1, v1
	s_delay_alu instid0(VALU_DEP_1)
	v_cvt_i32_f32_e32 v1, v1
.LBB22_4430:
	s_mov_b32 s0, 0
.LBB22_4431:
	s_delay_alu instid0(SALU_CYCLE_1)
	s_and_not1_b32 vcc_lo, exec_lo, s0
	s_cbranch_vccnz .LBB22_4442
; %bb.4432:
	s_cmp_lt_i32 s56, 6
	s_cbranch_scc1 .LBB22_4435
; %bb.4433:
	s_cmp_gt_i32 s56, 6
	s_cbranch_scc0 .LBB22_4436
; %bb.4434:
	global_load_b64 v[12:13], v[10:11], off
	s_mov_b32 s0, 0
	s_wait_loadcnt 0x0
	v_cvt_i32_f64_e32 v1, v[12:13]
	s_branch .LBB22_4437
.LBB22_4435:
	s_mov_b32 s0, -1
                                        ; implicit-def: $vgpr1
	s_branch .LBB22_4440
.LBB22_4436:
	s_mov_b32 s0, -1
                                        ; implicit-def: $vgpr1
.LBB22_4437:
	s_delay_alu instid0(SALU_CYCLE_1)
	s_and_not1_b32 vcc_lo, exec_lo, s0
	s_cbranch_vccnz .LBB22_4439
; %bb.4438:
	s_wait_loadcnt 0x0
	global_load_b32 v1, v[10:11], off
	s_wait_loadcnt 0x0
	v_cvt_i32_f32_e32 v1, v1
.LBB22_4439:
	s_mov_b32 s0, 0
.LBB22_4440:
	s_delay_alu instid0(SALU_CYCLE_1)
	s_and_not1_b32 vcc_lo, exec_lo, s0
	s_cbranch_vccnz .LBB22_4442
; %bb.4441:
	s_wait_loadcnt 0x0
	global_load_u16 v1, v[10:11], off
	s_wait_loadcnt 0x0
	v_cvt_f32_f16_e32 v1, v1
	s_delay_alu instid0(VALU_DEP_1)
	v_cvt_i32_f32_e32 v1, v1
.LBB22_4442:
	s_mov_b32 s0, 0
.LBB22_4443:
	s_delay_alu instid0(SALU_CYCLE_1)
	s_and_not1_b32 vcc_lo, exec_lo, s0
	s_cbranch_vccnz .LBB22_4463
; %bb.4444:
	s_cmp_lt_i32 s56, 2
	s_cbranch_scc1 .LBB22_4448
; %bb.4445:
	s_cmp_lt_i32 s56, 3
	s_cbranch_scc1 .LBB22_4449
; %bb.4446:
	s_cmp_gt_i32 s56, 3
	s_cbranch_scc0 .LBB22_4450
; %bb.4447:
	s_wait_loadcnt 0x0
	global_load_b32 v1, v[10:11], off
	s_mov_b32 s0, 0
	s_branch .LBB22_4451
.LBB22_4448:
	s_mov_b32 s0, -1
                                        ; implicit-def: $vgpr1
	s_branch .LBB22_4457
.LBB22_4449:
	s_mov_b32 s0, -1
                                        ; implicit-def: $vgpr1
	s_branch .LBB22_4454
.LBB22_4450:
	s_mov_b32 s0, -1
                                        ; implicit-def: $vgpr1
.LBB22_4451:
	s_delay_alu instid0(SALU_CYCLE_1)
	s_and_not1_b32 vcc_lo, exec_lo, s0
	s_cbranch_vccnz .LBB22_4453
; %bb.4452:
	s_wait_loadcnt 0x0
	global_load_b32 v1, v[10:11], off
.LBB22_4453:
	s_mov_b32 s0, 0
.LBB22_4454:
	s_delay_alu instid0(SALU_CYCLE_1)
	s_and_not1_b32 vcc_lo, exec_lo, s0
	s_cbranch_vccnz .LBB22_4456
; %bb.4455:
	s_wait_loadcnt 0x0
	global_load_i16 v1, v[10:11], off
.LBB22_4456:
	s_mov_b32 s0, 0
.LBB22_4457:
	s_delay_alu instid0(SALU_CYCLE_1)
	s_and_not1_b32 vcc_lo, exec_lo, s0
	s_cbranch_vccnz .LBB22_4463
; %bb.4458:
	s_cmp_gt_i32 s56, 0
	s_mov_b32 s0, 0
	s_cbranch_scc0 .LBB22_4460
; %bb.4459:
	s_wait_loadcnt 0x0
	global_load_i8 v1, v[10:11], off
	s_branch .LBB22_4461
.LBB22_4460:
	s_mov_b32 s0, -1
                                        ; implicit-def: $vgpr1
.LBB22_4461:
	s_delay_alu instid0(SALU_CYCLE_1)
	s_and_not1_b32 vcc_lo, exec_lo, s0
	s_cbranch_vccnz .LBB22_4463
; %bb.4462:
	s_wait_loadcnt 0x0
	global_load_u8 v1, v[10:11], off
.LBB22_4463:
	s_mov_b32 s5, -1
.LBB22_4464:
	s_delay_alu instid0(SALU_CYCLE_1)
	s_and_not1_b32 vcc_lo, exec_lo, s5
	s_cbranch_vccnz .LBB22_4984
; %bb.4465:
	s_lshl_b32 s69, s61, 7
	s_cmp_lt_i32 s57, 11
	v_add_nc_u32_e32 v2, s69, v2
	s_delay_alu instid0(VALU_DEP_1) | instskip(SKIP_1) | instid1(VALU_DEP_1)
	v_ashrrev_i32_e32 v3, 31, v2
	s_wait_xcnt 0x0
	v_add_nc_u64_e32 v[10:11], s[10:11], v[2:3]
	s_cbranch_scc1 .LBB22_4472
; %bb.4466:
	s_cmp_gt_i32 s57, 25
	s_mov_b32 s1, 0
	s_cbranch_scc0 .LBB22_4473
; %bb.4467:
	s_cmp_gt_i32 s57, 28
	s_cbranch_scc0 .LBB22_4474
; %bb.4468:
	s_cmp_gt_i32 s57, 43
	;; [unrolled: 3-line block ×3, first 2 shown]
	s_cbranch_scc0 .LBB22_4477
; %bb.4470:
	s_cmp_eq_u32 s57, 46
	s_mov_b32 s22, 0
	s_cbranch_scc0 .LBB22_4479
; %bb.4471:
	global_load_b32 v3, v[10:11], off
	s_mov_b32 s0, 0
	s_mov_b32 s5, -1
	s_wait_loadcnt 0x0
	v_lshlrev_b32_e32 v3, 16, v3
	s_delay_alu instid0(VALU_DEP_1)
	v_cvt_i32_f32_e32 v3, v3
	s_branch .LBB22_4481
.LBB22_4472:
	s_mov_b32 s0, -1
	s_mov_b32 s5, 0
                                        ; implicit-def: $vgpr3
	s_branch .LBB22_4543
.LBB22_4473:
	s_mov_b32 s22, -1
	s_mov_b32 s5, 0
	s_mov_b32 s0, 0
                                        ; implicit-def: $vgpr3
	s_branch .LBB22_4508
.LBB22_4474:
	s_mov_b32 s22, -1
	s_mov_b32 s5, 0
	s_mov_b32 s0, 0
                                        ; implicit-def: $vgpr3
	s_branch .LBB22_4491
.LBB22_4475:
	s_mov_b32 s22, -1
	s_mov_b32 s5, 0
	s_mov_b32 s0, 0
                                        ; implicit-def: $vgpr3
	s_branch .LBB22_4486
.LBB22_4476:
	s_or_b32 s55, s53, exec_lo
	s_trap 2
	s_cbranch_execz .LBB22_4413
	s_branch .LBB22_4414
.LBB22_4477:
	s_mov_b32 s22, -1
	s_mov_b32 s5, 0
	s_mov_b32 s0, 0
	s_branch .LBB22_4480
.LBB22_4478:
	s_or_b32 s45, s45, exec_lo
	s_trap 2
                                        ; implicit-def: $vgpr0
                                        ; implicit-def: $vgpr2
                                        ; implicit-def: $vgpr3
                                        ; implicit-def: $vgpr4
                                        ; implicit-def: $vgpr10
                                        ; implicit-def: $vgpr6
                                        ; implicit-def: $vgpr12
                                        ; implicit-def: $vgpr8
                                        ; implicit-def: $vgpr16
                                        ; implicit-def: $vgpr25
                                        ; implicit-def: $vgpr22
                                        ; implicit-def: $vgpr23
                                        ; implicit-def: $vgpr24
	s_branch .LBB22_4311
.LBB22_4479:
	s_mov_b32 s0, -1
	s_mov_b32 s5, 0
.LBB22_4480:
                                        ; implicit-def: $vgpr3
.LBB22_4481:
	s_and_b32 vcc_lo, exec_lo, s22
	s_cbranch_vccz .LBB22_4485
; %bb.4482:
	s_cmp_eq_u32 s57, 44
	s_cbranch_scc0 .LBB22_4484
; %bb.4483:
	global_load_u8 v3, v[10:11], off
	s_mov_b32 s0, 0
	s_mov_b32 s5, -1
	s_wait_loadcnt 0x0
	v_lshlrev_b32_e32 v5, 23, v3
	v_cmp_ne_u32_e32 vcc_lo, 0, v3
	s_delay_alu instid0(VALU_DEP_2) | instskip(NEXT) | instid1(VALU_DEP_1)
	v_cvt_i32_f32_e32 v5, v5
	v_cndmask_b32_e32 v3, 0, v5, vcc_lo
	s_branch .LBB22_4485
.LBB22_4484:
	s_mov_b32 s0, -1
                                        ; implicit-def: $vgpr3
.LBB22_4485:
	s_mov_b32 s22, 0
.LBB22_4486:
	s_delay_alu instid0(SALU_CYCLE_1)
	s_and_b32 vcc_lo, exec_lo, s22
	s_cbranch_vccz .LBB22_4490
; %bb.4487:
	s_cmp_eq_u32 s57, 29
	s_cbranch_scc0 .LBB22_4489
; %bb.4488:
	global_load_b32 v3, v[10:11], off
	s_mov_b32 s0, 0
	s_mov_b32 s5, -1
	s_branch .LBB22_4490
.LBB22_4489:
	s_mov_b32 s0, -1
                                        ; implicit-def: $vgpr3
.LBB22_4490:
	s_mov_b32 s22, 0
.LBB22_4491:
	s_delay_alu instid0(SALU_CYCLE_1)
	s_and_b32 vcc_lo, exec_lo, s22
	s_cbranch_vccz .LBB22_4507
; %bb.4492:
	s_cmp_lt_i32 s57, 27
	s_cbranch_scc1 .LBB22_4495
; %bb.4493:
	s_cmp_gt_i32 s57, 27
	s_cbranch_scc0 .LBB22_4496
; %bb.4494:
	s_wait_loadcnt 0x0
	global_load_b32 v3, v[10:11], off
	s_mov_b32 s5, 0
	s_branch .LBB22_4497
.LBB22_4495:
	s_mov_b32 s5, -1
                                        ; implicit-def: $vgpr3
	s_branch .LBB22_4500
.LBB22_4496:
	s_mov_b32 s5, -1
                                        ; implicit-def: $vgpr3
.LBB22_4497:
	s_delay_alu instid0(SALU_CYCLE_1)
	s_and_not1_b32 vcc_lo, exec_lo, s5
	s_cbranch_vccnz .LBB22_4499
; %bb.4498:
	s_wait_loadcnt 0x0
	global_load_u16 v3, v[10:11], off
.LBB22_4499:
	s_mov_b32 s5, 0
.LBB22_4500:
	s_delay_alu instid0(SALU_CYCLE_1)
	s_and_not1_b32 vcc_lo, exec_lo, s5
	s_cbranch_vccnz .LBB22_4506
; %bb.4501:
	global_load_u8 v5, v[10:11], off
	s_mov_b32 s22, 0
	s_mov_b32 s5, exec_lo
	s_wait_loadcnt 0x0
	v_cmpx_lt_i16_e32 0x7f, v5
	s_xor_b32 s5, exec_lo, s5
	s_cbranch_execz .LBB22_4518
; %bb.4502:
	v_cmp_ne_u16_e32 vcc_lo, 0x80, v5
	s_and_b32 s22, vcc_lo, exec_lo
	s_and_not1_saveexec_b32 s5, s5
	s_cbranch_execnz .LBB22_4519
.LBB22_4503:
	s_or_b32 exec_lo, exec_lo, s5
	v_mov_b32_e32 v3, 0
	s_and_saveexec_b32 s5, s22
	s_cbranch_execz .LBB22_4505
.LBB22_4504:
	v_and_b32_e32 v3, 0xffff, v5
	s_delay_alu instid0(VALU_DEP_1) | instskip(SKIP_1) | instid1(VALU_DEP_2)
	v_and_b32_e32 v7, 7, v3
	v_bfe_u32 v13, v3, 3, 4
	v_clz_i32_u32_e32 v9, v7
	s_delay_alu instid0(VALU_DEP_2) | instskip(NEXT) | instid1(VALU_DEP_2)
	v_cmp_eq_u32_e32 vcc_lo, 0, v13
	v_min_u32_e32 v9, 32, v9
	s_delay_alu instid0(VALU_DEP_1) | instskip(NEXT) | instid1(VALU_DEP_1)
	v_subrev_nc_u32_e32 v12, 28, v9
	v_dual_lshlrev_b32 v3, v12, v3 :: v_dual_sub_nc_u32 v9, 29, v9
	s_delay_alu instid0(VALU_DEP_1) | instskip(NEXT) | instid1(VALU_DEP_1)
	v_dual_lshlrev_b32 v5, 24, v5 :: v_dual_bitop2_b32 v3, 7, v3 bitop3:0x40
	v_dual_cndmask_b32 v3, v7, v3, vcc_lo :: v_dual_cndmask_b32 v9, v13, v9, vcc_lo
	s_delay_alu instid0(VALU_DEP_2) | instskip(NEXT) | instid1(VALU_DEP_2)
	v_and_b32_e32 v5, 0x80000000, v5
	v_lshlrev_b32_e32 v3, 20, v3
	s_delay_alu instid0(VALU_DEP_3) | instskip(NEXT) | instid1(VALU_DEP_1)
	v_lshl_add_u32 v7, v9, 23, 0x3b800000
	v_or3_b32 v3, v5, v7, v3
	s_delay_alu instid0(VALU_DEP_1)
	v_cvt_i32_f32_e32 v3, v3
.LBB22_4505:
	s_or_b32 exec_lo, exec_lo, s5
.LBB22_4506:
	s_mov_b32 s5, -1
.LBB22_4507:
	s_mov_b32 s22, 0
.LBB22_4508:
	s_delay_alu instid0(SALU_CYCLE_1)
	s_and_b32 vcc_lo, exec_lo, s22
	s_cbranch_vccz .LBB22_4539
; %bb.4509:
	s_cmp_gt_i32 s57, 22
	s_cbranch_scc0 .LBB22_4517
; %bb.4510:
	s_cmp_lt_i32 s57, 24
	s_cbranch_scc1 .LBB22_4520
; %bb.4511:
	s_cmp_gt_i32 s57, 24
	s_cbranch_scc0 .LBB22_4521
; %bb.4512:
	global_load_u8 v5, v[10:11], off
	s_mov_b32 s5, 0
	s_mov_b32 s1, exec_lo
	s_wait_loadcnt 0x0
	v_cmpx_lt_i16_e32 0x7f, v5
	s_xor_b32 s1, exec_lo, s1
	s_cbranch_execz .LBB22_4533
; %bb.4513:
	v_cmp_ne_u16_e32 vcc_lo, 0x80, v5
	s_and_b32 s5, vcc_lo, exec_lo
	s_and_not1_saveexec_b32 s1, s1
	s_cbranch_execnz .LBB22_4534
.LBB22_4514:
	s_or_b32 exec_lo, exec_lo, s1
	v_mov_b32_e32 v3, 0
	s_and_saveexec_b32 s1, s5
	s_cbranch_execz .LBB22_4516
.LBB22_4515:
	v_and_b32_e32 v3, 0xffff, v5
	s_delay_alu instid0(VALU_DEP_1) | instskip(SKIP_1) | instid1(VALU_DEP_2)
	v_and_b32_e32 v7, 3, v3
	v_bfe_u32 v13, v3, 2, 5
	v_clz_i32_u32_e32 v9, v7
	s_delay_alu instid0(VALU_DEP_2) | instskip(NEXT) | instid1(VALU_DEP_2)
	v_cmp_eq_u32_e32 vcc_lo, 0, v13
	v_min_u32_e32 v9, 32, v9
	s_delay_alu instid0(VALU_DEP_1) | instskip(NEXT) | instid1(VALU_DEP_1)
	v_subrev_nc_u32_e32 v12, 29, v9
	v_dual_lshlrev_b32 v3, v12, v3 :: v_dual_sub_nc_u32 v9, 30, v9
	s_delay_alu instid0(VALU_DEP_1) | instskip(NEXT) | instid1(VALU_DEP_1)
	v_dual_lshlrev_b32 v5, 24, v5 :: v_dual_bitop2_b32 v3, 3, v3 bitop3:0x40
	v_dual_cndmask_b32 v3, v7, v3, vcc_lo :: v_dual_cndmask_b32 v9, v13, v9, vcc_lo
	s_delay_alu instid0(VALU_DEP_2) | instskip(NEXT) | instid1(VALU_DEP_2)
	v_and_b32_e32 v5, 0x80000000, v5
	v_lshlrev_b32_e32 v3, 21, v3
	s_delay_alu instid0(VALU_DEP_3) | instskip(NEXT) | instid1(VALU_DEP_1)
	v_lshl_add_u32 v7, v9, 23, 0x37800000
	v_or3_b32 v3, v5, v7, v3
	s_delay_alu instid0(VALU_DEP_1)
	v_cvt_i32_f32_e32 v3, v3
.LBB22_4516:
	s_or_b32 exec_lo, exec_lo, s1
	s_mov_b32 s1, 0
	s_branch .LBB22_4522
.LBB22_4517:
	s_mov_b32 s1, -1
                                        ; implicit-def: $vgpr3
	s_branch .LBB22_4528
.LBB22_4518:
	s_and_not1_saveexec_b32 s5, s5
	s_cbranch_execz .LBB22_4503
.LBB22_4519:
	v_cmp_ne_u16_e32 vcc_lo, 0, v5
	s_and_not1_b32 s22, s22, exec_lo
	s_and_b32 s23, vcc_lo, exec_lo
	s_delay_alu instid0(SALU_CYCLE_1)
	s_or_b32 s22, s22, s23
	s_or_b32 exec_lo, exec_lo, s5
	v_mov_b32_e32 v3, 0
	s_and_saveexec_b32 s5, s22
	s_cbranch_execnz .LBB22_4504
	s_branch .LBB22_4505
.LBB22_4520:
	s_mov_b32 s1, -1
                                        ; implicit-def: $vgpr3
	s_branch .LBB22_4525
.LBB22_4521:
	s_mov_b32 s1, -1
                                        ; implicit-def: $vgpr3
.LBB22_4522:
	s_delay_alu instid0(SALU_CYCLE_1)
	s_and_b32 vcc_lo, exec_lo, s1
	s_cbranch_vccz .LBB22_4524
; %bb.4523:
	s_wait_loadcnt 0x0
	global_load_u8 v3, v[10:11], off
	s_wait_loadcnt 0x0
	v_lshlrev_b32_e32 v3, 24, v3
	s_delay_alu instid0(VALU_DEP_1) | instskip(NEXT) | instid1(VALU_DEP_1)
	v_and_b32_e32 v5, 0x7f000000, v3
	v_clz_i32_u32_e32 v7, v5
	v_cmp_ne_u32_e32 vcc_lo, 0, v5
	v_add_nc_u32_e32 v12, 0x1000000, v5
	s_delay_alu instid0(VALU_DEP_3) | instskip(NEXT) | instid1(VALU_DEP_1)
	v_min_u32_e32 v7, 32, v7
	v_sub_nc_u32_e64 v7, v7, 4 clamp
	s_delay_alu instid0(VALU_DEP_1) | instskip(NEXT) | instid1(VALU_DEP_1)
	v_dual_lshlrev_b32 v9, v7, v5 :: v_dual_lshlrev_b32 v7, 23, v7
	v_lshrrev_b32_e32 v9, 4, v9
	s_delay_alu instid0(VALU_DEP_1) | instskip(NEXT) | instid1(VALU_DEP_1)
	v_dual_sub_nc_u32 v7, v9, v7 :: v_dual_ashrrev_i32 v9, 8, v12
	v_add_nc_u32_e32 v7, 0x3c000000, v7
	s_delay_alu instid0(VALU_DEP_1) | instskip(NEXT) | instid1(VALU_DEP_1)
	v_and_or_b32 v7, 0x7f800000, v9, v7
	v_cndmask_b32_e32 v5, 0, v7, vcc_lo
	s_delay_alu instid0(VALU_DEP_1) | instskip(NEXT) | instid1(VALU_DEP_1)
	v_and_or_b32 v3, 0x80000000, v3, v5
	v_cvt_i32_f32_e32 v3, v3
.LBB22_4524:
	s_mov_b32 s1, 0
.LBB22_4525:
	s_delay_alu instid0(SALU_CYCLE_1)
	s_and_not1_b32 vcc_lo, exec_lo, s1
	s_cbranch_vccnz .LBB22_4527
; %bb.4526:
	s_wait_loadcnt 0x0
	global_load_u8 v3, v[10:11], off
	s_wait_loadcnt 0x0
	v_lshlrev_b32_e32 v5, 25, v3
	v_lshlrev_b16 v3, 8, v3
	s_delay_alu instid0(VALU_DEP_1) | instskip(SKIP_1) | instid1(VALU_DEP_2)
	v_and_or_b32 v9, 0x7f00, v3, 0.5
	v_bfe_i32 v3, v3, 0, 16
	v_add_f32_e32 v9, -0.5, v9
	v_lshrrev_b32_e32 v7, 4, v5
	v_cmp_gt_u32_e32 vcc_lo, 0x8000000, v5
	s_delay_alu instid0(VALU_DEP_2) | instskip(NEXT) | instid1(VALU_DEP_1)
	v_or_b32_e32 v7, 0x70000000, v7
	v_mul_f32_e32 v7, 0x7800000, v7
	s_delay_alu instid0(VALU_DEP_1) | instskip(NEXT) | instid1(VALU_DEP_1)
	v_cndmask_b32_e32 v5, v7, v9, vcc_lo
	v_and_or_b32 v3, 0x80000000, v3, v5
	s_delay_alu instid0(VALU_DEP_1)
	v_cvt_i32_f32_e32 v3, v3
.LBB22_4527:
	s_mov_b32 s1, 0
	s_mov_b32 s5, -1
.LBB22_4528:
	s_and_not1_b32 vcc_lo, exec_lo, s1
	s_mov_b32 s1, 0
	s_cbranch_vccnz .LBB22_4539
; %bb.4529:
	s_cmp_gt_i32 s57, 14
	s_cbranch_scc0 .LBB22_4532
; %bb.4530:
	s_cmp_eq_u32 s57, 15
	s_cbranch_scc0 .LBB22_4535
; %bb.4531:
	s_wait_loadcnt 0x0
	global_load_u16 v3, v[10:11], off
	s_mov_b32 s0, 0
	s_mov_b32 s5, -1
	s_wait_loadcnt 0x0
	v_lshlrev_b32_e32 v3, 16, v3
	s_delay_alu instid0(VALU_DEP_1)
	v_cvt_i32_f32_e32 v3, v3
	s_branch .LBB22_4537
.LBB22_4532:
	s_mov_b32 s1, -1
	s_branch .LBB22_4536
.LBB22_4533:
	s_and_not1_saveexec_b32 s1, s1
	s_cbranch_execz .LBB22_4514
.LBB22_4534:
	v_cmp_ne_u16_e32 vcc_lo, 0, v5
	s_and_not1_b32 s5, s5, exec_lo
	s_and_b32 s22, vcc_lo, exec_lo
	s_delay_alu instid0(SALU_CYCLE_1)
	s_or_b32 s5, s5, s22
	s_or_b32 exec_lo, exec_lo, s1
	v_mov_b32_e32 v3, 0
	s_and_saveexec_b32 s1, s5
	s_cbranch_execnz .LBB22_4515
	s_branch .LBB22_4516
.LBB22_4535:
	s_mov_b32 s0, -1
.LBB22_4536:
                                        ; implicit-def: $vgpr3
.LBB22_4537:
	s_and_b32 vcc_lo, exec_lo, s1
	s_mov_b32 s1, 0
	s_cbranch_vccz .LBB22_4539
; %bb.4538:
	s_cmp_lg_u32 s57, 11
	s_mov_b32 s1, -1
	s_cselect_b32 s0, -1, 0
.LBB22_4539:
	s_delay_alu instid0(SALU_CYCLE_1)
	s_and_b32 vcc_lo, exec_lo, s0
	s_cbranch_vccnz .LBB22_4604
; %bb.4540:
	s_and_not1_b32 vcc_lo, exec_lo, s1
	s_cbranch_vccnz .LBB22_4542
.LBB22_4541:
	s_wait_loadcnt 0x0
	global_load_u8 v3, v[10:11], off
	s_mov_b32 s5, -1
	s_wait_loadcnt 0x0
	v_cmp_ne_u16_e32 vcc_lo, 0, v3
	v_cndmask_b32_e64 v3, 0, 1, vcc_lo
.LBB22_4542:
	s_mov_b32 s0, 0
.LBB22_4543:
	s_delay_alu instid0(SALU_CYCLE_1)
	s_and_b32 vcc_lo, exec_lo, s0
	s_cbranch_vccz .LBB22_4592
; %bb.4544:
	s_cmp_lt_i32 s57, 5
	s_cbranch_scc1 .LBB22_4549
; %bb.4545:
	s_cmp_lt_i32 s57, 8
	s_cbranch_scc1 .LBB22_4550
	;; [unrolled: 3-line block ×3, first 2 shown]
; %bb.4547:
	s_cmp_gt_i32 s57, 9
	s_cbranch_scc0 .LBB22_4552
; %bb.4548:
	global_load_b64 v[12:13], v[10:11], off
	s_mov_b32 s0, 0
	s_wait_loadcnt 0x0
	v_cvt_i32_f64_e32 v3, v[12:13]
	s_branch .LBB22_4553
.LBB22_4549:
	s_mov_b32 s0, -1
                                        ; implicit-def: $vgpr3
	s_branch .LBB22_4571
.LBB22_4550:
	s_mov_b32 s0, -1
                                        ; implicit-def: $vgpr3
	s_branch .LBB22_4559
.LBB22_4551:
	s_mov_b32 s0, -1
                                        ; implicit-def: $vgpr3
	s_branch .LBB22_4556
.LBB22_4552:
	s_mov_b32 s0, -1
                                        ; implicit-def: $vgpr3
.LBB22_4553:
	s_delay_alu instid0(SALU_CYCLE_1)
	s_and_not1_b32 vcc_lo, exec_lo, s0
	s_cbranch_vccnz .LBB22_4555
; %bb.4554:
	s_wait_loadcnt 0x0
	global_load_b32 v3, v[10:11], off
	s_wait_loadcnt 0x0
	v_cvt_i32_f32_e32 v3, v3
.LBB22_4555:
	s_mov_b32 s0, 0
.LBB22_4556:
	s_delay_alu instid0(SALU_CYCLE_1)
	s_and_not1_b32 vcc_lo, exec_lo, s0
	s_cbranch_vccnz .LBB22_4558
; %bb.4557:
	s_wait_loadcnt 0x0
	global_load_b32 v3, v[10:11], off
	s_wait_loadcnt 0x0
	v_cvt_f32_f16_e32 v3, v3
	s_delay_alu instid0(VALU_DEP_1)
	v_cvt_i32_f32_e32 v3, v3
.LBB22_4558:
	s_mov_b32 s0, 0
.LBB22_4559:
	s_delay_alu instid0(SALU_CYCLE_1)
	s_and_not1_b32 vcc_lo, exec_lo, s0
	s_cbranch_vccnz .LBB22_4570
; %bb.4560:
	s_cmp_lt_i32 s57, 6
	s_cbranch_scc1 .LBB22_4563
; %bb.4561:
	s_cmp_gt_i32 s57, 6
	s_cbranch_scc0 .LBB22_4564
; %bb.4562:
	global_load_b64 v[12:13], v[10:11], off
	s_mov_b32 s0, 0
	s_wait_loadcnt 0x0
	v_cvt_i32_f64_e32 v3, v[12:13]
	s_branch .LBB22_4565
.LBB22_4563:
	s_mov_b32 s0, -1
                                        ; implicit-def: $vgpr3
	s_branch .LBB22_4568
.LBB22_4564:
	s_mov_b32 s0, -1
                                        ; implicit-def: $vgpr3
.LBB22_4565:
	s_delay_alu instid0(SALU_CYCLE_1)
	s_and_not1_b32 vcc_lo, exec_lo, s0
	s_cbranch_vccnz .LBB22_4567
; %bb.4566:
	s_wait_loadcnt 0x0
	global_load_b32 v3, v[10:11], off
	s_wait_loadcnt 0x0
	v_cvt_i32_f32_e32 v3, v3
.LBB22_4567:
	s_mov_b32 s0, 0
.LBB22_4568:
	s_delay_alu instid0(SALU_CYCLE_1)
	s_and_not1_b32 vcc_lo, exec_lo, s0
	s_cbranch_vccnz .LBB22_4570
; %bb.4569:
	s_wait_loadcnt 0x0
	global_load_u16 v3, v[10:11], off
	s_wait_loadcnt 0x0
	v_cvt_f32_f16_e32 v3, v3
	s_delay_alu instid0(VALU_DEP_1)
	v_cvt_i32_f32_e32 v3, v3
.LBB22_4570:
	s_mov_b32 s0, 0
.LBB22_4571:
	s_delay_alu instid0(SALU_CYCLE_1)
	s_and_not1_b32 vcc_lo, exec_lo, s0
	s_cbranch_vccnz .LBB22_4591
; %bb.4572:
	s_cmp_lt_i32 s57, 2
	s_cbranch_scc1 .LBB22_4576
; %bb.4573:
	s_cmp_lt_i32 s57, 3
	s_cbranch_scc1 .LBB22_4577
; %bb.4574:
	s_cmp_gt_i32 s57, 3
	s_cbranch_scc0 .LBB22_4578
; %bb.4575:
	s_wait_loadcnt 0x0
	global_load_b32 v3, v[10:11], off
	s_mov_b32 s0, 0
	s_branch .LBB22_4579
.LBB22_4576:
	s_mov_b32 s0, -1
                                        ; implicit-def: $vgpr3
	s_branch .LBB22_4585
.LBB22_4577:
	s_mov_b32 s0, -1
                                        ; implicit-def: $vgpr3
	s_branch .LBB22_4582
.LBB22_4578:
	s_mov_b32 s0, -1
                                        ; implicit-def: $vgpr3
.LBB22_4579:
	s_delay_alu instid0(SALU_CYCLE_1)
	s_and_not1_b32 vcc_lo, exec_lo, s0
	s_cbranch_vccnz .LBB22_4581
; %bb.4580:
	s_wait_loadcnt 0x0
	global_load_b32 v3, v[10:11], off
.LBB22_4581:
	s_mov_b32 s0, 0
.LBB22_4582:
	s_delay_alu instid0(SALU_CYCLE_1)
	s_and_not1_b32 vcc_lo, exec_lo, s0
	s_cbranch_vccnz .LBB22_4584
; %bb.4583:
	s_wait_loadcnt 0x0
	global_load_i16 v3, v[10:11], off
.LBB22_4584:
	s_mov_b32 s0, 0
.LBB22_4585:
	s_delay_alu instid0(SALU_CYCLE_1)
	s_and_not1_b32 vcc_lo, exec_lo, s0
	s_cbranch_vccnz .LBB22_4591
; %bb.4586:
	s_cmp_gt_i32 s57, 0
	s_mov_b32 s0, 0
	s_cbranch_scc0 .LBB22_4588
; %bb.4587:
	s_wait_loadcnt 0x0
	global_load_i8 v3, v[10:11], off
	s_branch .LBB22_4589
.LBB22_4588:
	s_mov_b32 s0, -1
                                        ; implicit-def: $vgpr3
.LBB22_4589:
	s_delay_alu instid0(SALU_CYCLE_1)
	s_and_not1_b32 vcc_lo, exec_lo, s0
	s_cbranch_vccnz .LBB22_4591
; %bb.4590:
	s_wait_loadcnt 0x0
	global_load_u8 v3, v[10:11], off
.LBB22_4591:
	s_mov_b32 s5, -1
.LBB22_4592:
	s_delay_alu instid0(SALU_CYCLE_1)
	s_and_not1_b32 vcc_lo, exec_lo, s5
	s_cbranch_vccnz .LBB22_4984
; %bb.4593:
	s_lshl_b32 s70, s62, 7
	s_cmp_lt_i32 s58, 11
	v_add_nc_u32_e32 v4, s70, v4
	s_delay_alu instid0(VALU_DEP_1) | instskip(NEXT) | instid1(VALU_DEP_1)
	v_ashrrev_i32_e32 v5, 31, v4
	v_add_nc_u64_e32 v[12:13], s[12:13], v[4:5]
	s_cbranch_scc1 .LBB22_4600
; %bb.4594:
	s_cmp_gt_i32 s58, 25
	s_mov_b32 s1, 0
	s_cbranch_scc0 .LBB22_4601
; %bb.4595:
	s_cmp_gt_i32 s58, 28
	s_cbranch_scc0 .LBB22_4602
; %bb.4596:
	s_cmp_gt_i32 s58, 43
	;; [unrolled: 3-line block ×3, first 2 shown]
	s_cbranch_scc0 .LBB22_4605
; %bb.4598:
	s_cmp_eq_u32 s58, 46
	s_mov_b32 s22, 0
	s_cbranch_scc0 .LBB22_4607
; %bb.4599:
	global_load_b32 v5, v[12:13], off
	s_mov_b32 s0, 0
	s_mov_b32 s5, -1
	s_wait_loadcnt 0x0
	v_lshlrev_b32_e32 v5, 16, v5
	s_wait_xcnt 0x1
	s_delay_alu instid0(VALU_DEP_1)
	v_cvt_i32_f32_e32 v10, v5
	s_branch .LBB22_4609
.LBB22_4600:
	s_mov_b32 s0, -1
	s_mov_b32 s5, 0
                                        ; implicit-def: $vgpr10
	s_branch .LBB22_4671
.LBB22_4601:
	s_mov_b32 s22, -1
	s_mov_b32 s5, 0
	s_mov_b32 s0, 0
                                        ; implicit-def: $vgpr10
	s_branch .LBB22_4636
.LBB22_4602:
	s_mov_b32 s22, -1
	s_mov_b32 s5, 0
	s_mov_b32 s0, 0
                                        ; implicit-def: $vgpr10
	s_branch .LBB22_4619
.LBB22_4603:
	s_mov_b32 s22, -1
	s_mov_b32 s5, 0
	s_mov_b32 s0, 0
                                        ; implicit-def: $vgpr10
	s_branch .LBB22_4614
.LBB22_4604:
	s_or_b32 s55, s55, exec_lo
	s_trap 2
	s_cbranch_execz .LBB22_4541
	s_branch .LBB22_4542
.LBB22_4605:
	s_mov_b32 s22, -1
	s_mov_b32 s5, 0
	s_mov_b32 s0, 0
	s_branch .LBB22_4608
.LBB22_4606:
	s_or_b32 s49, s45, exec_lo
	s_trap 2
                                        ; implicit-def: $vgpr0
                                        ; implicit-def: $vgpr2
                                        ; implicit-def: $vgpr4
                                        ; implicit-def: $vgpr10
                                        ; implicit-def: $vgpr6
                                        ; implicit-def: $vgpr12
                                        ; implicit-def: $vgpr8
                                        ; implicit-def: $vgpr16
                                        ; implicit-def: $vgpr25
                                        ; implicit-def: $vgpr22
                                        ; implicit-def: $vgpr23
                                        ; implicit-def: $vgpr24
	s_or_saveexec_b32 s50, s0
                                        ; implicit-def: $vgpr14_vgpr15
                                        ; implicit-def: $sgpr0
	s_delay_alu instid0(SALU_CYCLE_1)
	s_xor_b32 exec_lo, exec_lo, s50
	s_cbranch_execz .LBB22_4988
	s_branch .LBB22_4314
.LBB22_4607:
	s_mov_b32 s0, -1
	s_mov_b32 s5, 0
.LBB22_4608:
                                        ; implicit-def: $vgpr10
.LBB22_4609:
	s_and_b32 vcc_lo, exec_lo, s22
	s_cbranch_vccz .LBB22_4613
; %bb.4610:
	s_cmp_eq_u32 s58, 44
	s_cbranch_scc0 .LBB22_4612
; %bb.4611:
	global_load_u8 v5, v[12:13], off
	s_mov_b32 s0, 0
	s_mov_b32 s5, -1
	s_wait_loadcnt 0x0
	v_lshlrev_b32_e32 v7, 23, v5
	v_cmp_ne_u32_e32 vcc_lo, 0, v5
	s_delay_alu instid0(VALU_DEP_2) | instskip(SKIP_1) | instid1(VALU_DEP_1)
	v_cvt_i32_f32_e32 v7, v7
	s_wait_xcnt 0x1
	v_cndmask_b32_e32 v10, 0, v7, vcc_lo
	s_branch .LBB22_4613
.LBB22_4612:
	s_mov_b32 s0, -1
                                        ; implicit-def: $vgpr10
.LBB22_4613:
	s_mov_b32 s22, 0
.LBB22_4614:
	s_delay_alu instid0(SALU_CYCLE_1)
	s_and_b32 vcc_lo, exec_lo, s22
	s_cbranch_vccz .LBB22_4618
; %bb.4615:
	s_cmp_eq_u32 s58, 29
	s_cbranch_scc0 .LBB22_4617
; %bb.4616:
	global_load_b32 v10, v[12:13], off
	s_mov_b32 s0, 0
	s_mov_b32 s5, -1
	s_branch .LBB22_4618
.LBB22_4617:
	s_mov_b32 s0, -1
                                        ; implicit-def: $vgpr10
.LBB22_4618:
	s_mov_b32 s22, 0
.LBB22_4619:
	s_delay_alu instid0(SALU_CYCLE_1)
	s_and_b32 vcc_lo, exec_lo, s22
	s_cbranch_vccz .LBB22_4635
; %bb.4620:
	s_cmp_lt_i32 s58, 27
	s_cbranch_scc1 .LBB22_4623
; %bb.4621:
	s_cmp_gt_i32 s58, 27
	s_cbranch_scc0 .LBB22_4624
; %bb.4622:
	s_wait_loadcnt 0x0
	global_load_b32 v10, v[12:13], off
	s_mov_b32 s5, 0
	s_branch .LBB22_4625
.LBB22_4623:
	s_mov_b32 s5, -1
                                        ; implicit-def: $vgpr10
	s_branch .LBB22_4628
.LBB22_4624:
	s_mov_b32 s5, -1
                                        ; implicit-def: $vgpr10
.LBB22_4625:
	s_delay_alu instid0(SALU_CYCLE_1)
	s_and_not1_b32 vcc_lo, exec_lo, s5
	s_cbranch_vccnz .LBB22_4627
; %bb.4626:
	s_wait_loadcnt 0x0
	global_load_u16 v10, v[12:13], off
.LBB22_4627:
	s_mov_b32 s5, 0
.LBB22_4628:
	s_delay_alu instid0(SALU_CYCLE_1)
	s_and_not1_b32 vcc_lo, exec_lo, s5
	s_cbranch_vccnz .LBB22_4634
; %bb.4629:
	global_load_u8 v5, v[12:13], off
	s_mov_b32 s22, 0
	s_mov_b32 s5, exec_lo
	s_wait_loadcnt 0x0
	v_cmpx_lt_i16_e32 0x7f, v5
	s_xor_b32 s5, exec_lo, s5
	s_cbranch_execz .LBB22_4646
; %bb.4630:
	v_cmp_ne_u16_e32 vcc_lo, 0x80, v5
	s_and_b32 s22, vcc_lo, exec_lo
	s_and_not1_saveexec_b32 s5, s5
	s_cbranch_execnz .LBB22_4647
.LBB22_4631:
	s_or_b32 exec_lo, exec_lo, s5
	v_mov_b32_e32 v10, 0
	s_and_saveexec_b32 s5, s22
	s_cbranch_execz .LBB22_4633
.LBB22_4632:
	v_and_b32_e32 v7, 0xffff, v5
	s_delay_alu instid0(VALU_DEP_1) | instskip(SKIP_1) | instid1(VALU_DEP_2)
	v_and_b32_e32 v9, 7, v7
	v_bfe_u32 v14, v7, 3, 4
	v_clz_i32_u32_e32 v10, v9
	s_delay_alu instid0(VALU_DEP_2) | instskip(NEXT) | instid1(VALU_DEP_2)
	v_cmp_eq_u32_e32 vcc_lo, 0, v14
	v_min_u32_e32 v10, 32, v10
	s_delay_alu instid0(VALU_DEP_1) | instskip(NEXT) | instid1(VALU_DEP_1)
	v_subrev_nc_u32_e32 v11, 28, v10
	v_dual_lshlrev_b32 v7, v11, v7 :: v_dual_sub_nc_u32 v10, 29, v10
	s_delay_alu instid0(VALU_DEP_1) | instskip(NEXT) | instid1(VALU_DEP_1)
	v_dual_lshlrev_b32 v5, 24, v5 :: v_dual_bitop2_b32 v7, 7, v7 bitop3:0x40
	v_dual_cndmask_b32 v10, v14, v10 :: v_dual_cndmask_b32 v7, v9, v7
	s_delay_alu instid0(VALU_DEP_2) | instskip(NEXT) | instid1(VALU_DEP_2)
	v_and_b32_e32 v5, 0x80000000, v5
	v_lshl_add_u32 v9, v10, 23, 0x3b800000
	s_delay_alu instid0(VALU_DEP_3) | instskip(NEXT) | instid1(VALU_DEP_1)
	v_lshlrev_b32_e32 v7, 20, v7
	v_or3_b32 v5, v5, v9, v7
	s_delay_alu instid0(VALU_DEP_1)
	v_cvt_i32_f32_e32 v10, v5
.LBB22_4633:
	s_or_b32 exec_lo, exec_lo, s5
.LBB22_4634:
	s_mov_b32 s5, -1
.LBB22_4635:
	s_mov_b32 s22, 0
.LBB22_4636:
	s_delay_alu instid0(SALU_CYCLE_1)
	s_and_b32 vcc_lo, exec_lo, s22
	s_cbranch_vccz .LBB22_4667
; %bb.4637:
	s_cmp_gt_i32 s58, 22
	s_cbranch_scc0 .LBB22_4645
; %bb.4638:
	s_cmp_lt_i32 s58, 24
	s_cbranch_scc1 .LBB22_4648
; %bb.4639:
	s_cmp_gt_i32 s58, 24
	s_cbranch_scc0 .LBB22_4649
; %bb.4640:
	global_load_u8 v5, v[12:13], off
	s_mov_b32 s5, 0
	s_mov_b32 s1, exec_lo
	s_wait_loadcnt 0x0
	v_cmpx_lt_i16_e32 0x7f, v5
	s_xor_b32 s1, exec_lo, s1
	s_cbranch_execz .LBB22_4661
; %bb.4641:
	v_cmp_ne_u16_e32 vcc_lo, 0x80, v5
	s_and_b32 s5, vcc_lo, exec_lo
	s_and_not1_saveexec_b32 s1, s1
	s_cbranch_execnz .LBB22_4662
.LBB22_4642:
	s_or_b32 exec_lo, exec_lo, s1
	v_mov_b32_e32 v10, 0
	s_and_saveexec_b32 s1, s5
	s_cbranch_execz .LBB22_4644
.LBB22_4643:
	v_and_b32_e32 v7, 0xffff, v5
	s_delay_alu instid0(VALU_DEP_1) | instskip(SKIP_1) | instid1(VALU_DEP_2)
	v_and_b32_e32 v9, 3, v7
	v_bfe_u32 v14, v7, 2, 5
	v_clz_i32_u32_e32 v10, v9
	s_delay_alu instid0(VALU_DEP_2) | instskip(NEXT) | instid1(VALU_DEP_2)
	v_cmp_eq_u32_e32 vcc_lo, 0, v14
	v_min_u32_e32 v10, 32, v10
	s_delay_alu instid0(VALU_DEP_1) | instskip(NEXT) | instid1(VALU_DEP_1)
	v_subrev_nc_u32_e32 v11, 29, v10
	v_dual_lshlrev_b32 v7, v11, v7 :: v_dual_sub_nc_u32 v10, 30, v10
	s_delay_alu instid0(VALU_DEP_1) | instskip(NEXT) | instid1(VALU_DEP_1)
	v_dual_lshlrev_b32 v5, 24, v5 :: v_dual_bitop2_b32 v7, 3, v7 bitop3:0x40
	v_dual_cndmask_b32 v10, v14, v10 :: v_dual_cndmask_b32 v7, v9, v7
	s_delay_alu instid0(VALU_DEP_2) | instskip(NEXT) | instid1(VALU_DEP_2)
	v_and_b32_e32 v5, 0x80000000, v5
	v_lshl_add_u32 v9, v10, 23, 0x37800000
	s_delay_alu instid0(VALU_DEP_3) | instskip(NEXT) | instid1(VALU_DEP_1)
	v_lshlrev_b32_e32 v7, 21, v7
	v_or3_b32 v5, v5, v9, v7
	s_delay_alu instid0(VALU_DEP_1)
	v_cvt_i32_f32_e32 v10, v5
.LBB22_4644:
	s_or_b32 exec_lo, exec_lo, s1
	s_mov_b32 s1, 0
	s_branch .LBB22_4650
.LBB22_4645:
	s_mov_b32 s1, -1
                                        ; implicit-def: $vgpr10
	s_branch .LBB22_4656
.LBB22_4646:
	s_and_not1_saveexec_b32 s5, s5
	s_cbranch_execz .LBB22_4631
.LBB22_4647:
	v_cmp_ne_u16_e32 vcc_lo, 0, v5
	s_and_not1_b32 s22, s22, exec_lo
	s_and_b32 s23, vcc_lo, exec_lo
	s_delay_alu instid0(SALU_CYCLE_1)
	s_or_b32 s22, s22, s23
	s_or_b32 exec_lo, exec_lo, s5
	v_mov_b32_e32 v10, 0
	s_and_saveexec_b32 s5, s22
	s_cbranch_execnz .LBB22_4632
	s_branch .LBB22_4633
.LBB22_4648:
	s_mov_b32 s1, -1
                                        ; implicit-def: $vgpr10
	s_branch .LBB22_4653
.LBB22_4649:
	s_mov_b32 s1, -1
                                        ; implicit-def: $vgpr10
.LBB22_4650:
	s_delay_alu instid0(SALU_CYCLE_1)
	s_and_b32 vcc_lo, exec_lo, s1
	s_cbranch_vccz .LBB22_4652
; %bb.4651:
	global_load_u8 v5, v[12:13], off
	s_wait_loadcnt 0x0
	v_lshlrev_b32_e32 v5, 24, v5
	s_delay_alu instid0(VALU_DEP_1) | instskip(NEXT) | instid1(VALU_DEP_1)
	v_and_b32_e32 v7, 0x7f000000, v5
	v_clz_i32_u32_e32 v9, v7
	s_wait_xcnt 0x1
	v_add_nc_u32_e32 v11, 0x1000000, v7
	v_cmp_ne_u32_e32 vcc_lo, 0, v7
	s_delay_alu instid0(VALU_DEP_3) | instskip(NEXT) | instid1(VALU_DEP_1)
	v_min_u32_e32 v9, 32, v9
	v_sub_nc_u32_e64 v9, v9, 4 clamp
	s_delay_alu instid0(VALU_DEP_1) | instskip(NEXT) | instid1(VALU_DEP_1)
	v_dual_lshlrev_b32 v10, v9, v7 :: v_dual_lshlrev_b32 v9, 23, v9
	v_lshrrev_b32_e32 v10, 4, v10
	s_delay_alu instid0(VALU_DEP_1) | instskip(NEXT) | instid1(VALU_DEP_1)
	v_dual_sub_nc_u32 v9, v10, v9 :: v_dual_ashrrev_i32 v10, 8, v11
	v_add_nc_u32_e32 v9, 0x3c000000, v9
	s_delay_alu instid0(VALU_DEP_1) | instskip(NEXT) | instid1(VALU_DEP_1)
	v_and_or_b32 v9, 0x7f800000, v10, v9
	v_cndmask_b32_e32 v7, 0, v9, vcc_lo
	s_delay_alu instid0(VALU_DEP_1) | instskip(NEXT) | instid1(VALU_DEP_1)
	v_and_or_b32 v5, 0x80000000, v5, v7
	v_cvt_i32_f32_e32 v10, v5
.LBB22_4652:
	s_mov_b32 s1, 0
.LBB22_4653:
	s_delay_alu instid0(SALU_CYCLE_1)
	s_and_not1_b32 vcc_lo, exec_lo, s1
	s_cbranch_vccnz .LBB22_4655
; %bb.4654:
	global_load_u8 v5, v[12:13], off
	s_wait_loadcnt 0x0
	v_lshlrev_b32_e32 v7, 25, v5
	v_lshlrev_b16 v5, 8, v5
	s_wait_xcnt 0x1
	s_delay_alu instid0(VALU_DEP_1) | instskip(SKIP_1) | instid1(VALU_DEP_2)
	v_and_or_b32 v10, 0x7f00, v5, 0.5
	v_bfe_i32 v5, v5, 0, 16
	v_dual_add_f32 v10, -0.5, v10 :: v_dual_lshrrev_b32 v9, 4, v7
	v_cmp_gt_u32_e32 vcc_lo, 0x8000000, v7
	s_delay_alu instid0(VALU_DEP_2) | instskip(NEXT) | instid1(VALU_DEP_1)
	v_or_b32_e32 v9, 0x70000000, v9
	v_mul_f32_e32 v9, 0x7800000, v9
	s_delay_alu instid0(VALU_DEP_1) | instskip(NEXT) | instid1(VALU_DEP_1)
	v_cndmask_b32_e32 v7, v9, v10, vcc_lo
	v_and_or_b32 v5, 0x80000000, v5, v7
	s_delay_alu instid0(VALU_DEP_1)
	v_cvt_i32_f32_e32 v10, v5
.LBB22_4655:
	s_mov_b32 s1, 0
	s_mov_b32 s5, -1
.LBB22_4656:
	s_and_not1_b32 vcc_lo, exec_lo, s1
	s_mov_b32 s1, 0
	s_cbranch_vccnz .LBB22_4667
; %bb.4657:
	s_cmp_gt_i32 s58, 14
	s_cbranch_scc0 .LBB22_4660
; %bb.4658:
	s_cmp_eq_u32 s58, 15
	s_cbranch_scc0 .LBB22_4663
; %bb.4659:
	global_load_u16 v5, v[12:13], off
	s_mov_b32 s0, 0
	s_mov_b32 s5, -1
	s_wait_loadcnt 0x0
	v_lshlrev_b32_e32 v5, 16, v5
	s_wait_xcnt 0x1
	s_delay_alu instid0(VALU_DEP_1)
	v_cvt_i32_f32_e32 v10, v5
	s_branch .LBB22_4665
.LBB22_4660:
	s_mov_b32 s1, -1
	s_branch .LBB22_4664
.LBB22_4661:
	s_and_not1_saveexec_b32 s1, s1
	s_cbranch_execz .LBB22_4642
.LBB22_4662:
	v_cmp_ne_u16_e32 vcc_lo, 0, v5
	s_and_not1_b32 s5, s5, exec_lo
	s_and_b32 s22, vcc_lo, exec_lo
	s_delay_alu instid0(SALU_CYCLE_1)
	s_or_b32 s5, s5, s22
	s_or_b32 exec_lo, exec_lo, s1
	v_mov_b32_e32 v10, 0
	s_and_saveexec_b32 s1, s5
	s_cbranch_execnz .LBB22_4643
	s_branch .LBB22_4644
.LBB22_4663:
	s_mov_b32 s0, -1
.LBB22_4664:
                                        ; implicit-def: $vgpr10
.LBB22_4665:
	s_and_b32 vcc_lo, exec_lo, s1
	s_mov_b32 s1, 0
	s_cbranch_vccz .LBB22_4667
; %bb.4666:
	s_cmp_lg_u32 s58, 11
	s_mov_b32 s1, -1
	s_cselect_b32 s0, -1, 0
.LBB22_4667:
	s_delay_alu instid0(SALU_CYCLE_1)
	s_and_b32 vcc_lo, exec_lo, s0
	s_cbranch_vccnz .LBB22_4732
; %bb.4668:
	s_and_not1_b32 vcc_lo, exec_lo, s1
	s_cbranch_vccnz .LBB22_4670
.LBB22_4669:
	global_load_u8 v5, v[12:13], off
	s_mov_b32 s5, -1
	s_wait_loadcnt 0x0
	v_cmp_ne_u16_e32 vcc_lo, 0, v5
	s_wait_xcnt 0x1
	v_cndmask_b32_e64 v10, 0, 1, vcc_lo
.LBB22_4670:
	s_mov_b32 s0, 0
.LBB22_4671:
	s_delay_alu instid0(SALU_CYCLE_1)
	s_and_b32 vcc_lo, exec_lo, s0
	s_cbranch_vccz .LBB22_4720
; %bb.4672:
	s_cmp_lt_i32 s58, 5
	s_cbranch_scc1 .LBB22_4677
; %bb.4673:
	s_cmp_lt_i32 s58, 8
	s_cbranch_scc1 .LBB22_4678
	;; [unrolled: 3-line block ×3, first 2 shown]
; %bb.4675:
	s_cmp_gt_i32 s58, 9
	s_cbranch_scc0 .LBB22_4680
; %bb.4676:
	s_wait_loadcnt 0x0
	global_load_b64 v[10:11], v[12:13], off
	s_mov_b32 s0, 0
	s_wait_loadcnt 0x0
	v_cvt_i32_f64_e32 v10, v[10:11]
	s_branch .LBB22_4681
.LBB22_4677:
	s_mov_b32 s0, -1
                                        ; implicit-def: $vgpr10
	s_branch .LBB22_4699
.LBB22_4678:
	s_mov_b32 s0, -1
                                        ; implicit-def: $vgpr10
	s_branch .LBB22_4687
.LBB22_4679:
	s_mov_b32 s0, -1
                                        ; implicit-def: $vgpr10
	s_branch .LBB22_4684
.LBB22_4680:
	s_mov_b32 s0, -1
                                        ; implicit-def: $vgpr10
.LBB22_4681:
	s_delay_alu instid0(SALU_CYCLE_1)
	s_and_not1_b32 vcc_lo, exec_lo, s0
	s_cbranch_vccnz .LBB22_4683
; %bb.4682:
	global_load_b32 v5, v[12:13], off
	s_wait_loadcnt 0x0
	s_wait_xcnt 0x1
	v_cvt_i32_f32_e32 v10, v5
.LBB22_4683:
	s_mov_b32 s0, 0
.LBB22_4684:
	s_delay_alu instid0(SALU_CYCLE_1)
	s_and_not1_b32 vcc_lo, exec_lo, s0
	s_cbranch_vccnz .LBB22_4686
; %bb.4685:
	global_load_b32 v5, v[12:13], off
	s_wait_loadcnt 0x0
	v_cvt_f32_f16_e32 v5, v5
	s_wait_xcnt 0x1
	s_delay_alu instid0(VALU_DEP_1)
	v_cvt_i32_f32_e32 v10, v5
.LBB22_4686:
	s_mov_b32 s0, 0
.LBB22_4687:
	s_delay_alu instid0(SALU_CYCLE_1)
	s_and_not1_b32 vcc_lo, exec_lo, s0
	s_cbranch_vccnz .LBB22_4698
; %bb.4688:
	s_cmp_lt_i32 s58, 6
	s_cbranch_scc1 .LBB22_4691
; %bb.4689:
	s_cmp_gt_i32 s58, 6
	s_cbranch_scc0 .LBB22_4692
; %bb.4690:
	s_wait_loadcnt 0x0
	global_load_b64 v[10:11], v[12:13], off
	s_mov_b32 s0, 0
	s_wait_loadcnt 0x0
	v_cvt_i32_f64_e32 v10, v[10:11]
	s_branch .LBB22_4693
.LBB22_4691:
	s_mov_b32 s0, -1
                                        ; implicit-def: $vgpr10
	s_branch .LBB22_4696
.LBB22_4692:
	s_mov_b32 s0, -1
                                        ; implicit-def: $vgpr10
.LBB22_4693:
	s_delay_alu instid0(SALU_CYCLE_1)
	s_and_not1_b32 vcc_lo, exec_lo, s0
	s_cbranch_vccnz .LBB22_4695
; %bb.4694:
	global_load_b32 v5, v[12:13], off
	s_wait_loadcnt 0x0
	s_wait_xcnt 0x1
	v_cvt_i32_f32_e32 v10, v5
.LBB22_4695:
	s_mov_b32 s0, 0
.LBB22_4696:
	s_delay_alu instid0(SALU_CYCLE_1)
	s_and_not1_b32 vcc_lo, exec_lo, s0
	s_cbranch_vccnz .LBB22_4698
; %bb.4697:
	global_load_u16 v5, v[12:13], off
	s_wait_loadcnt 0x0
	v_cvt_f32_f16_e32 v5, v5
	s_wait_xcnt 0x1
	s_delay_alu instid0(VALU_DEP_1)
	v_cvt_i32_f32_e32 v10, v5
.LBB22_4698:
	s_mov_b32 s0, 0
.LBB22_4699:
	s_delay_alu instid0(SALU_CYCLE_1)
	s_and_not1_b32 vcc_lo, exec_lo, s0
	s_cbranch_vccnz .LBB22_4719
; %bb.4700:
	s_cmp_lt_i32 s58, 2
	s_cbranch_scc1 .LBB22_4704
; %bb.4701:
	s_cmp_lt_i32 s58, 3
	s_cbranch_scc1 .LBB22_4705
; %bb.4702:
	s_cmp_gt_i32 s58, 3
	s_cbranch_scc0 .LBB22_4706
; %bb.4703:
	s_wait_loadcnt 0x0
	global_load_b32 v10, v[12:13], off
	s_mov_b32 s0, 0
	s_branch .LBB22_4707
.LBB22_4704:
	s_mov_b32 s0, -1
                                        ; implicit-def: $vgpr10
	s_branch .LBB22_4713
.LBB22_4705:
	s_mov_b32 s0, -1
                                        ; implicit-def: $vgpr10
	s_branch .LBB22_4710
.LBB22_4706:
	s_mov_b32 s0, -1
                                        ; implicit-def: $vgpr10
.LBB22_4707:
	s_delay_alu instid0(SALU_CYCLE_1)
	s_and_not1_b32 vcc_lo, exec_lo, s0
	s_cbranch_vccnz .LBB22_4709
; %bb.4708:
	s_wait_loadcnt 0x0
	global_load_b32 v10, v[12:13], off
.LBB22_4709:
	s_mov_b32 s0, 0
.LBB22_4710:
	s_delay_alu instid0(SALU_CYCLE_1)
	s_and_not1_b32 vcc_lo, exec_lo, s0
	s_cbranch_vccnz .LBB22_4712
; %bb.4711:
	s_wait_loadcnt 0x0
	global_load_i16 v10, v[12:13], off
.LBB22_4712:
	s_mov_b32 s0, 0
.LBB22_4713:
	s_delay_alu instid0(SALU_CYCLE_1)
	s_and_not1_b32 vcc_lo, exec_lo, s0
	s_cbranch_vccnz .LBB22_4719
; %bb.4714:
	s_cmp_gt_i32 s58, 0
	s_mov_b32 s0, 0
	s_cbranch_scc0 .LBB22_4716
; %bb.4715:
	s_wait_loadcnt 0x0
	global_load_i8 v10, v[12:13], off
	s_branch .LBB22_4717
.LBB22_4716:
	s_mov_b32 s0, -1
                                        ; implicit-def: $vgpr10
.LBB22_4717:
	s_delay_alu instid0(SALU_CYCLE_1)
	s_and_not1_b32 vcc_lo, exec_lo, s0
	s_cbranch_vccnz .LBB22_4719
; %bb.4718:
	s_wait_loadcnt 0x0
	global_load_u8 v10, v[12:13], off
.LBB22_4719:
	s_mov_b32 s5, -1
.LBB22_4720:
	s_delay_alu instid0(SALU_CYCLE_1)
	s_and_not1_b32 vcc_lo, exec_lo, s5
	s_cbranch_vccnz .LBB22_4984
; %bb.4721:
	v_add_nc_u32_e32 v6, s63, v6
	s_cmp_lt_i32 s59, 11
	s_delay_alu instid0(VALU_DEP_1) | instskip(NEXT) | instid1(VALU_DEP_1)
	v_ashrrev_i32_e32 v7, 31, v6
	v_add_nc_u64_e32 v[14:15], s[14:15], v[6:7]
	s_cbranch_scc1 .LBB22_4728
; %bb.4722:
	s_cmp_gt_i32 s59, 25
	s_mov_b32 s1, 0
	s_cbranch_scc0 .LBB22_4729
; %bb.4723:
	s_cmp_gt_i32 s59, 28
	s_cbranch_scc0 .LBB22_4730
; %bb.4724:
	s_cmp_gt_i32 s59, 43
	;; [unrolled: 3-line block ×3, first 2 shown]
	s_cbranch_scc0 .LBB22_4733
; %bb.4726:
	s_cmp_eq_u32 s59, 46
	s_mov_b32 s22, 0
	s_cbranch_scc0 .LBB22_4735
; %bb.4727:
	global_load_b32 v5, v[14:15], off
	s_mov_b32 s0, 0
	s_mov_b32 s5, -1
	s_wait_loadcnt 0x0
	v_lshlrev_b32_e32 v5, 16, v5
	s_wait_xcnt 0x1
	s_delay_alu instid0(VALU_DEP_1)
	v_cvt_i32_f32_e32 v12, v5
	s_branch .LBB22_4737
.LBB22_4728:
	s_mov_b32 s0, -1
	s_mov_b32 s5, 0
                                        ; implicit-def: $vgpr12
	s_branch .LBB22_4799
.LBB22_4729:
	s_mov_b32 s22, -1
	s_mov_b32 s5, 0
	s_mov_b32 s0, 0
                                        ; implicit-def: $vgpr12
	s_branch .LBB22_4764
.LBB22_4730:
	s_mov_b32 s22, -1
	s_mov_b32 s5, 0
	s_mov_b32 s0, 0
                                        ; implicit-def: $vgpr12
	s_branch .LBB22_4747
.LBB22_4731:
	s_mov_b32 s22, -1
	s_mov_b32 s5, 0
	s_mov_b32 s0, 0
                                        ; implicit-def: $vgpr12
	s_branch .LBB22_4742
.LBB22_4732:
	s_or_b32 s55, s55, exec_lo
	s_trap 2
	s_cbranch_execz .LBB22_4669
	s_branch .LBB22_4670
.LBB22_4733:
	s_mov_b32 s22, -1
	s_mov_b32 s5, 0
	s_mov_b32 s0, 0
	s_branch .LBB22_4736
.LBB22_4734:
	s_or_b32 s51, s49, exec_lo
	s_trap 2
                                        ; implicit-def: $vgpr0
                                        ; implicit-def: $vgpr2
                                        ; implicit-def: $vgpr4
                                        ; implicit-def: $vgpr10
                                        ; implicit-def: $vgpr6
                                        ; implicit-def: $vgpr12
                                        ; implicit-def: $vgpr8
                                        ; implicit-def: $vgpr16
                                        ; implicit-def: $vgpr25
                                        ; implicit-def: $vgpr22
                                        ; implicit-def: $vgpr23
                                        ; implicit-def: $vgpr24
	s_or_saveexec_b32 s52, s0
	s_mov_b32 s1, 0
                                        ; implicit-def: $vgpr14_vgpr15
                                        ; implicit-def: $sgpr0
	s_xor_b32 exec_lo, exec_lo, s52
	s_cbranch_execz .LBB22_4987
	s_branch .LBB22_4316
.LBB22_4735:
	s_mov_b32 s0, -1
	s_mov_b32 s5, 0
.LBB22_4736:
                                        ; implicit-def: $vgpr12
.LBB22_4737:
	s_and_b32 vcc_lo, exec_lo, s22
	s_cbranch_vccz .LBB22_4741
; %bb.4738:
	s_cmp_eq_u32 s59, 44
	s_cbranch_scc0 .LBB22_4740
; %bb.4739:
	global_load_u8 v5, v[14:15], off
	s_mov_b32 s0, 0
	s_mov_b32 s5, -1
	s_wait_loadcnt 0x0
	v_lshlrev_b32_e32 v7, 23, v5
	v_cmp_ne_u32_e32 vcc_lo, 0, v5
	s_delay_alu instid0(VALU_DEP_2) | instskip(SKIP_1) | instid1(VALU_DEP_1)
	v_cvt_i32_f32_e32 v7, v7
	s_wait_xcnt 0x1
	v_cndmask_b32_e32 v12, 0, v7, vcc_lo
	s_branch .LBB22_4741
.LBB22_4740:
	s_mov_b32 s0, -1
                                        ; implicit-def: $vgpr12
.LBB22_4741:
	s_mov_b32 s22, 0
.LBB22_4742:
	s_delay_alu instid0(SALU_CYCLE_1)
	s_and_b32 vcc_lo, exec_lo, s22
	s_cbranch_vccz .LBB22_4746
; %bb.4743:
	s_cmp_eq_u32 s59, 29
	s_cbranch_scc0 .LBB22_4745
; %bb.4744:
	global_load_b32 v12, v[14:15], off
	s_mov_b32 s0, 0
	s_mov_b32 s5, -1
	s_branch .LBB22_4746
.LBB22_4745:
	s_mov_b32 s0, -1
                                        ; implicit-def: $vgpr12
.LBB22_4746:
	s_mov_b32 s22, 0
.LBB22_4747:
	s_delay_alu instid0(SALU_CYCLE_1)
	s_and_b32 vcc_lo, exec_lo, s22
	s_cbranch_vccz .LBB22_4763
; %bb.4748:
	s_cmp_lt_i32 s59, 27
	s_cbranch_scc1 .LBB22_4751
; %bb.4749:
	s_cmp_gt_i32 s59, 27
	s_cbranch_scc0 .LBB22_4752
; %bb.4750:
	s_wait_loadcnt 0x0
	global_load_b32 v12, v[14:15], off
	s_mov_b32 s5, 0
	s_branch .LBB22_4753
.LBB22_4751:
	s_mov_b32 s5, -1
                                        ; implicit-def: $vgpr12
	s_branch .LBB22_4756
.LBB22_4752:
	s_mov_b32 s5, -1
                                        ; implicit-def: $vgpr12
.LBB22_4753:
	s_delay_alu instid0(SALU_CYCLE_1)
	s_and_not1_b32 vcc_lo, exec_lo, s5
	s_cbranch_vccnz .LBB22_4755
; %bb.4754:
	s_wait_loadcnt 0x0
	global_load_u16 v12, v[14:15], off
.LBB22_4755:
	s_mov_b32 s5, 0
.LBB22_4756:
	s_delay_alu instid0(SALU_CYCLE_1)
	s_and_not1_b32 vcc_lo, exec_lo, s5
	s_cbranch_vccnz .LBB22_4762
; %bb.4757:
	global_load_u8 v5, v[14:15], off
	s_mov_b32 s22, 0
	s_mov_b32 s5, exec_lo
	s_wait_loadcnt 0x0
	v_cmpx_lt_i16_e32 0x7f, v5
	s_xor_b32 s5, exec_lo, s5
	s_cbranch_execz .LBB22_4774
; %bb.4758:
	v_cmp_ne_u16_e32 vcc_lo, 0x80, v5
	s_and_b32 s22, vcc_lo, exec_lo
	s_and_not1_saveexec_b32 s5, s5
	s_cbranch_execnz .LBB22_4775
.LBB22_4759:
	s_or_b32 exec_lo, exec_lo, s5
	v_mov_b32_e32 v12, 0
	s_and_saveexec_b32 s5, s22
	s_cbranch_execz .LBB22_4761
.LBB22_4760:
	v_and_b32_e32 v7, 0xffff, v5
	s_delay_alu instid0(VALU_DEP_1) | instskip(SKIP_1) | instid1(VALU_DEP_2)
	v_dual_lshlrev_b32 v5, 24, v5 :: v_dual_bitop2_b32 v9, 7, v7 bitop3:0x40
	v_bfe_u32 v13, v7, 3, 4
	v_and_b32_e32 v5, 0x80000000, v5
	s_delay_alu instid0(VALU_DEP_3) | instskip(NEXT) | instid1(VALU_DEP_3)
	v_clz_i32_u32_e32 v11, v9
	v_cmp_eq_u32_e32 vcc_lo, 0, v13
	s_delay_alu instid0(VALU_DEP_2) | instskip(NEXT) | instid1(VALU_DEP_1)
	v_min_u32_e32 v11, 32, v11
	v_subrev_nc_u32_e32 v12, 28, v11
	v_sub_nc_u32_e32 v11, 29, v11
	s_delay_alu instid0(VALU_DEP_2) | instskip(NEXT) | instid1(VALU_DEP_2)
	v_lshlrev_b32_e32 v7, v12, v7
	v_cndmask_b32_e32 v11, v13, v11, vcc_lo
	s_delay_alu instid0(VALU_DEP_2) | instskip(NEXT) | instid1(VALU_DEP_1)
	v_and_b32_e32 v7, 7, v7
	v_cndmask_b32_e32 v7, v9, v7, vcc_lo
	s_delay_alu instid0(VALU_DEP_3) | instskip(NEXT) | instid1(VALU_DEP_2)
	v_lshl_add_u32 v9, v11, 23, 0x3b800000
	v_lshlrev_b32_e32 v7, 20, v7
	s_delay_alu instid0(VALU_DEP_1) | instskip(NEXT) | instid1(VALU_DEP_1)
	v_or3_b32 v5, v5, v9, v7
	v_cvt_i32_f32_e32 v12, v5
.LBB22_4761:
	s_or_b32 exec_lo, exec_lo, s5
.LBB22_4762:
	s_mov_b32 s5, -1
.LBB22_4763:
	s_mov_b32 s22, 0
.LBB22_4764:
	s_delay_alu instid0(SALU_CYCLE_1)
	s_and_b32 vcc_lo, exec_lo, s22
	s_cbranch_vccz .LBB22_4795
; %bb.4765:
	s_cmp_gt_i32 s59, 22
	s_cbranch_scc0 .LBB22_4773
; %bb.4766:
	s_cmp_lt_i32 s59, 24
	s_cbranch_scc1 .LBB22_4776
; %bb.4767:
	s_cmp_gt_i32 s59, 24
	s_cbranch_scc0 .LBB22_4777
; %bb.4768:
	global_load_u8 v5, v[14:15], off
	s_mov_b32 s5, 0
	s_mov_b32 s1, exec_lo
	s_wait_loadcnt 0x0
	v_cmpx_lt_i16_e32 0x7f, v5
	s_xor_b32 s1, exec_lo, s1
	s_cbranch_execz .LBB22_4789
; %bb.4769:
	v_cmp_ne_u16_e32 vcc_lo, 0x80, v5
	s_and_b32 s5, vcc_lo, exec_lo
	s_and_not1_saveexec_b32 s1, s1
	s_cbranch_execnz .LBB22_4790
.LBB22_4770:
	s_or_b32 exec_lo, exec_lo, s1
	v_mov_b32_e32 v12, 0
	s_and_saveexec_b32 s1, s5
	s_cbranch_execz .LBB22_4772
.LBB22_4771:
	v_and_b32_e32 v7, 0xffff, v5
	s_delay_alu instid0(VALU_DEP_1) | instskip(SKIP_1) | instid1(VALU_DEP_2)
	v_dual_lshlrev_b32 v5, 24, v5 :: v_dual_bitop2_b32 v9, 3, v7 bitop3:0x40
	v_bfe_u32 v13, v7, 2, 5
	v_and_b32_e32 v5, 0x80000000, v5
	s_delay_alu instid0(VALU_DEP_3) | instskip(NEXT) | instid1(VALU_DEP_3)
	v_clz_i32_u32_e32 v11, v9
	v_cmp_eq_u32_e32 vcc_lo, 0, v13
	s_delay_alu instid0(VALU_DEP_2) | instskip(NEXT) | instid1(VALU_DEP_1)
	v_min_u32_e32 v11, 32, v11
	v_subrev_nc_u32_e32 v12, 29, v11
	v_sub_nc_u32_e32 v11, 30, v11
	s_delay_alu instid0(VALU_DEP_2) | instskip(NEXT) | instid1(VALU_DEP_2)
	v_lshlrev_b32_e32 v7, v12, v7
	v_cndmask_b32_e32 v11, v13, v11, vcc_lo
	s_delay_alu instid0(VALU_DEP_2) | instskip(NEXT) | instid1(VALU_DEP_1)
	v_and_b32_e32 v7, 3, v7
	v_cndmask_b32_e32 v7, v9, v7, vcc_lo
	s_delay_alu instid0(VALU_DEP_3) | instskip(NEXT) | instid1(VALU_DEP_2)
	v_lshl_add_u32 v9, v11, 23, 0x37800000
	v_lshlrev_b32_e32 v7, 21, v7
	s_delay_alu instid0(VALU_DEP_1) | instskip(NEXT) | instid1(VALU_DEP_1)
	v_or3_b32 v5, v5, v9, v7
	v_cvt_i32_f32_e32 v12, v5
.LBB22_4772:
	s_or_b32 exec_lo, exec_lo, s1
	s_mov_b32 s1, 0
	s_branch .LBB22_4778
.LBB22_4773:
	s_mov_b32 s1, -1
                                        ; implicit-def: $vgpr12
	s_branch .LBB22_4784
.LBB22_4774:
	s_and_not1_saveexec_b32 s5, s5
	s_cbranch_execz .LBB22_4759
.LBB22_4775:
	v_cmp_ne_u16_e32 vcc_lo, 0, v5
	s_and_not1_b32 s22, s22, exec_lo
	s_and_b32 s23, vcc_lo, exec_lo
	s_delay_alu instid0(SALU_CYCLE_1)
	s_or_b32 s22, s22, s23
	s_or_b32 exec_lo, exec_lo, s5
	v_mov_b32_e32 v12, 0
	s_and_saveexec_b32 s5, s22
	s_cbranch_execnz .LBB22_4760
	s_branch .LBB22_4761
.LBB22_4776:
	s_mov_b32 s1, -1
                                        ; implicit-def: $vgpr12
	s_branch .LBB22_4781
.LBB22_4777:
	s_mov_b32 s1, -1
                                        ; implicit-def: $vgpr12
.LBB22_4778:
	s_delay_alu instid0(SALU_CYCLE_1)
	s_and_b32 vcc_lo, exec_lo, s1
	s_cbranch_vccz .LBB22_4780
; %bb.4779:
	global_load_u8 v5, v[14:15], off
	s_wait_loadcnt 0x0
	v_lshlrev_b32_e32 v5, 24, v5
	s_delay_alu instid0(VALU_DEP_1) | instskip(NEXT) | instid1(VALU_DEP_1)
	v_and_b32_e32 v7, 0x7f000000, v5
	v_clz_i32_u32_e32 v9, v7
	v_cmp_ne_u32_e32 vcc_lo, 0, v7
	s_wait_xcnt 0x1
	v_add_nc_u32_e32 v12, 0x1000000, v7
	s_delay_alu instid0(VALU_DEP_3) | instskip(NEXT) | instid1(VALU_DEP_1)
	v_min_u32_e32 v9, 32, v9
	v_sub_nc_u32_e64 v9, v9, 4 clamp
	s_delay_alu instid0(VALU_DEP_1) | instskip(NEXT) | instid1(VALU_DEP_1)
	v_dual_lshlrev_b32 v11, v9, v7 :: v_dual_lshlrev_b32 v9, 23, v9
	v_lshrrev_b32_e32 v11, 4, v11
	s_delay_alu instid0(VALU_DEP_1) | instskip(NEXT) | instid1(VALU_DEP_1)
	v_dual_sub_nc_u32 v9, v11, v9 :: v_dual_ashrrev_i32 v11, 8, v12
	v_add_nc_u32_e32 v9, 0x3c000000, v9
	s_delay_alu instid0(VALU_DEP_1) | instskip(NEXT) | instid1(VALU_DEP_1)
	v_and_or_b32 v9, 0x7f800000, v11, v9
	v_cndmask_b32_e32 v7, 0, v9, vcc_lo
	s_delay_alu instid0(VALU_DEP_1) | instskip(NEXT) | instid1(VALU_DEP_1)
	v_and_or_b32 v5, 0x80000000, v5, v7
	v_cvt_i32_f32_e32 v12, v5
.LBB22_4780:
	s_mov_b32 s1, 0
.LBB22_4781:
	s_delay_alu instid0(SALU_CYCLE_1)
	s_and_not1_b32 vcc_lo, exec_lo, s1
	s_cbranch_vccnz .LBB22_4783
; %bb.4782:
	global_load_u8 v5, v[14:15], off
	s_wait_loadcnt 0x0
	v_lshlrev_b32_e32 v7, 25, v5
	v_lshlrev_b16 v5, 8, v5
	s_wait_xcnt 0x1
	s_delay_alu instid0(VALU_DEP_1) | instskip(SKIP_1) | instid1(VALU_DEP_2)
	v_and_or_b32 v11, 0x7f00, v5, 0.5
	v_bfe_i32 v5, v5, 0, 16
	v_add_f32_e32 v11, -0.5, v11
	v_lshrrev_b32_e32 v9, 4, v7
	v_cmp_gt_u32_e32 vcc_lo, 0x8000000, v7
	s_delay_alu instid0(VALU_DEP_2) | instskip(NEXT) | instid1(VALU_DEP_1)
	v_or_b32_e32 v9, 0x70000000, v9
	v_mul_f32_e32 v9, 0x7800000, v9
	s_delay_alu instid0(VALU_DEP_1) | instskip(NEXT) | instid1(VALU_DEP_1)
	v_cndmask_b32_e32 v7, v9, v11, vcc_lo
	v_and_or_b32 v5, 0x80000000, v5, v7
	s_delay_alu instid0(VALU_DEP_1)
	v_cvt_i32_f32_e32 v12, v5
.LBB22_4783:
	s_mov_b32 s1, 0
	s_mov_b32 s5, -1
.LBB22_4784:
	s_and_not1_b32 vcc_lo, exec_lo, s1
	s_mov_b32 s1, 0
	s_cbranch_vccnz .LBB22_4795
; %bb.4785:
	s_cmp_gt_i32 s59, 14
	s_cbranch_scc0 .LBB22_4788
; %bb.4786:
	s_cmp_eq_u32 s59, 15
	s_cbranch_scc0 .LBB22_4791
; %bb.4787:
	global_load_u16 v5, v[14:15], off
	s_mov_b32 s0, 0
	s_mov_b32 s5, -1
	s_wait_loadcnt 0x0
	v_lshlrev_b32_e32 v5, 16, v5
	s_wait_xcnt 0x1
	s_delay_alu instid0(VALU_DEP_1)
	v_cvt_i32_f32_e32 v12, v5
	s_branch .LBB22_4793
.LBB22_4788:
	s_mov_b32 s1, -1
	s_branch .LBB22_4792
.LBB22_4789:
	s_and_not1_saveexec_b32 s1, s1
	s_cbranch_execz .LBB22_4770
.LBB22_4790:
	v_cmp_ne_u16_e32 vcc_lo, 0, v5
	s_and_not1_b32 s5, s5, exec_lo
	s_and_b32 s22, vcc_lo, exec_lo
	s_delay_alu instid0(SALU_CYCLE_1)
	s_or_b32 s5, s5, s22
	s_or_b32 exec_lo, exec_lo, s1
	v_mov_b32_e32 v12, 0
	s_and_saveexec_b32 s1, s5
	s_cbranch_execnz .LBB22_4771
	s_branch .LBB22_4772
.LBB22_4791:
	s_mov_b32 s0, -1
.LBB22_4792:
                                        ; implicit-def: $vgpr12
.LBB22_4793:
	s_and_b32 vcc_lo, exec_lo, s1
	s_mov_b32 s1, 0
	s_cbranch_vccz .LBB22_4795
; %bb.4794:
	s_cmp_lg_u32 s59, 11
	s_mov_b32 s1, -1
	s_cselect_b32 s0, -1, 0
.LBB22_4795:
	s_delay_alu instid0(SALU_CYCLE_1)
	s_and_b32 vcc_lo, exec_lo, s0
	s_cbranch_vccnz .LBB22_4860
; %bb.4796:
	s_and_not1_b32 vcc_lo, exec_lo, s1
	s_cbranch_vccnz .LBB22_4798
.LBB22_4797:
	global_load_u8 v5, v[14:15], off
	s_mov_b32 s5, -1
	s_wait_loadcnt 0x0
	v_cmp_ne_u16_e32 vcc_lo, 0, v5
	s_wait_xcnt 0x1
	v_cndmask_b32_e64 v12, 0, 1, vcc_lo
.LBB22_4798:
	s_mov_b32 s0, 0
.LBB22_4799:
	s_delay_alu instid0(SALU_CYCLE_1)
	s_and_b32 vcc_lo, exec_lo, s0
	s_cbranch_vccz .LBB22_4848
; %bb.4800:
	s_cmp_lt_i32 s59, 5
	s_cbranch_scc1 .LBB22_4805
; %bb.4801:
	s_cmp_lt_i32 s59, 8
	s_cbranch_scc1 .LBB22_4806
	;; [unrolled: 3-line block ×3, first 2 shown]
; %bb.4803:
	s_cmp_gt_i32 s59, 9
	s_cbranch_scc0 .LBB22_4808
; %bb.4804:
	s_wait_loadcnt 0x0
	global_load_b64 v[12:13], v[14:15], off
	s_mov_b32 s0, 0
	s_wait_loadcnt 0x0
	v_cvt_i32_f64_e32 v12, v[12:13]
	s_branch .LBB22_4809
.LBB22_4805:
	s_mov_b32 s0, -1
                                        ; implicit-def: $vgpr12
	s_branch .LBB22_4827
.LBB22_4806:
	s_mov_b32 s0, -1
                                        ; implicit-def: $vgpr12
	s_branch .LBB22_4815
.LBB22_4807:
	s_mov_b32 s0, -1
                                        ; implicit-def: $vgpr12
	s_branch .LBB22_4812
.LBB22_4808:
	s_mov_b32 s0, -1
                                        ; implicit-def: $vgpr12
.LBB22_4809:
	s_delay_alu instid0(SALU_CYCLE_1)
	s_and_not1_b32 vcc_lo, exec_lo, s0
	s_cbranch_vccnz .LBB22_4811
; %bb.4810:
	global_load_b32 v5, v[14:15], off
	s_wait_loadcnt 0x0
	s_wait_xcnt 0x1
	v_cvt_i32_f32_e32 v12, v5
.LBB22_4811:
	s_mov_b32 s0, 0
.LBB22_4812:
	s_delay_alu instid0(SALU_CYCLE_1)
	s_and_not1_b32 vcc_lo, exec_lo, s0
	s_cbranch_vccnz .LBB22_4814
; %bb.4813:
	global_load_b32 v5, v[14:15], off
	s_wait_loadcnt 0x0
	v_cvt_f32_f16_e32 v5, v5
	s_wait_xcnt 0x1
	s_delay_alu instid0(VALU_DEP_1)
	v_cvt_i32_f32_e32 v12, v5
.LBB22_4814:
	s_mov_b32 s0, 0
.LBB22_4815:
	s_delay_alu instid0(SALU_CYCLE_1)
	s_and_not1_b32 vcc_lo, exec_lo, s0
	s_cbranch_vccnz .LBB22_4826
; %bb.4816:
	s_cmp_lt_i32 s59, 6
	s_cbranch_scc1 .LBB22_4819
; %bb.4817:
	s_cmp_gt_i32 s59, 6
	s_cbranch_scc0 .LBB22_4820
; %bb.4818:
	s_wait_loadcnt 0x0
	global_load_b64 v[12:13], v[14:15], off
	s_mov_b32 s0, 0
	s_wait_loadcnt 0x0
	v_cvt_i32_f64_e32 v12, v[12:13]
	s_branch .LBB22_4821
.LBB22_4819:
	s_mov_b32 s0, -1
                                        ; implicit-def: $vgpr12
	s_branch .LBB22_4824
.LBB22_4820:
	s_mov_b32 s0, -1
                                        ; implicit-def: $vgpr12
.LBB22_4821:
	s_delay_alu instid0(SALU_CYCLE_1)
	s_and_not1_b32 vcc_lo, exec_lo, s0
	s_cbranch_vccnz .LBB22_4823
; %bb.4822:
	global_load_b32 v5, v[14:15], off
	s_wait_loadcnt 0x0
	s_wait_xcnt 0x1
	v_cvt_i32_f32_e32 v12, v5
.LBB22_4823:
	s_mov_b32 s0, 0
.LBB22_4824:
	s_delay_alu instid0(SALU_CYCLE_1)
	s_and_not1_b32 vcc_lo, exec_lo, s0
	s_cbranch_vccnz .LBB22_4826
; %bb.4825:
	global_load_u16 v5, v[14:15], off
	s_wait_loadcnt 0x0
	v_cvt_f32_f16_e32 v5, v5
	s_wait_xcnt 0x1
	s_delay_alu instid0(VALU_DEP_1)
	v_cvt_i32_f32_e32 v12, v5
.LBB22_4826:
	s_mov_b32 s0, 0
.LBB22_4827:
	s_delay_alu instid0(SALU_CYCLE_1)
	s_and_not1_b32 vcc_lo, exec_lo, s0
	s_cbranch_vccnz .LBB22_4847
; %bb.4828:
	s_cmp_lt_i32 s59, 2
	s_cbranch_scc1 .LBB22_4832
; %bb.4829:
	s_cmp_lt_i32 s59, 3
	s_cbranch_scc1 .LBB22_4833
; %bb.4830:
	s_cmp_gt_i32 s59, 3
	s_cbranch_scc0 .LBB22_4834
; %bb.4831:
	s_wait_loadcnt 0x0
	global_load_b32 v12, v[14:15], off
	s_mov_b32 s0, 0
	s_branch .LBB22_4835
.LBB22_4832:
	s_mov_b32 s0, -1
                                        ; implicit-def: $vgpr12
	s_branch .LBB22_4841
.LBB22_4833:
	s_mov_b32 s0, -1
                                        ; implicit-def: $vgpr12
	s_branch .LBB22_4838
.LBB22_4834:
	s_mov_b32 s0, -1
                                        ; implicit-def: $vgpr12
.LBB22_4835:
	s_delay_alu instid0(SALU_CYCLE_1)
	s_and_not1_b32 vcc_lo, exec_lo, s0
	s_cbranch_vccnz .LBB22_4837
; %bb.4836:
	s_wait_loadcnt 0x0
	global_load_b32 v12, v[14:15], off
.LBB22_4837:
	s_mov_b32 s0, 0
.LBB22_4838:
	s_delay_alu instid0(SALU_CYCLE_1)
	s_and_not1_b32 vcc_lo, exec_lo, s0
	s_cbranch_vccnz .LBB22_4840
; %bb.4839:
	s_wait_loadcnt 0x0
	global_load_i16 v12, v[14:15], off
.LBB22_4840:
	s_mov_b32 s0, 0
.LBB22_4841:
	s_delay_alu instid0(SALU_CYCLE_1)
	s_and_not1_b32 vcc_lo, exec_lo, s0
	s_cbranch_vccnz .LBB22_4847
; %bb.4842:
	s_cmp_gt_i32 s59, 0
	s_mov_b32 s0, 0
	s_cbranch_scc0 .LBB22_4844
; %bb.4843:
	s_wait_loadcnt 0x0
	global_load_i8 v12, v[14:15], off
	s_branch .LBB22_4845
.LBB22_4844:
	s_mov_b32 s0, -1
                                        ; implicit-def: $vgpr12
.LBB22_4845:
	s_delay_alu instid0(SALU_CYCLE_1)
	s_and_not1_b32 vcc_lo, exec_lo, s0
	s_cbranch_vccnz .LBB22_4847
; %bb.4846:
	s_wait_loadcnt 0x0
	global_load_u8 v12, v[14:15], off
.LBB22_4847:
	s_mov_b32 s5, -1
.LBB22_4848:
	s_delay_alu instid0(SALU_CYCLE_1)
	s_and_not1_b32 vcc_lo, exec_lo, s5
	s_cbranch_vccnz .LBB22_4984
; %bb.4849:
	v_add_nc_u32_e32 v8, s64, v8
	s_cmp_lt_i32 s60, 11
	s_delay_alu instid0(VALU_DEP_1) | instskip(SKIP_1) | instid1(VALU_DEP_1)
	v_ashrrev_i32_e32 v9, 31, v8
	s_wait_xcnt 0x0
	v_add_nc_u64_e32 v[14:15], s[16:17], v[8:9]
	s_cbranch_scc1 .LBB22_4856
; %bb.4850:
	s_cmp_gt_i32 s60, 25
	s_mov_b32 s1, 0
	s_cbranch_scc0 .LBB22_4857
; %bb.4851:
	s_cmp_gt_i32 s60, 28
	s_cbranch_scc0 .LBB22_4858
; %bb.4852:
	s_cmp_gt_i32 s60, 43
	;; [unrolled: 3-line block ×3, first 2 shown]
	s_cbranch_scc0 .LBB22_4861
; %bb.4854:
	s_cmp_eq_u32 s60, 46
	s_mov_b32 s22, 0
	s_cbranch_scc0 .LBB22_4862
; %bb.4855:
	global_load_b32 v5, v[14:15], off
	s_mov_b32 s0, 0
	s_mov_b32 s5, -1
	s_wait_loadcnt 0x0
	v_lshlrev_b32_e32 v5, 16, v5
	s_delay_alu instid0(VALU_DEP_1)
	v_cvt_i32_f32_e32 v16, v5
	s_branch .LBB22_4864
.LBB22_4856:
	s_mov_b32 s0, -1
	s_mov_b32 s5, 0
                                        ; implicit-def: $vgpr16
	s_branch .LBB22_4926
.LBB22_4857:
	s_mov_b32 s22, -1
	s_mov_b32 s5, 0
	s_mov_b32 s0, 0
                                        ; implicit-def: $vgpr16
	s_branch .LBB22_4891
.LBB22_4858:
	s_mov_b32 s22, -1
	s_mov_b32 s5, 0
	s_mov_b32 s0, 0
                                        ; implicit-def: $vgpr16
	s_branch .LBB22_4874
.LBB22_4859:
	s_mov_b32 s22, -1
	s_mov_b32 s5, 0
	s_mov_b32 s0, 0
                                        ; implicit-def: $vgpr16
	s_branch .LBB22_4869
.LBB22_4860:
	s_or_b32 s55, s55, exec_lo
	s_trap 2
	s_cbranch_execz .LBB22_4797
	s_branch .LBB22_4798
.LBB22_4861:
	s_mov_b32 s22, -1
	s_mov_b32 s5, 0
	s_mov_b32 s0, 0
	s_branch .LBB22_4863
.LBB22_4862:
	s_mov_b32 s0, -1
	s_mov_b32 s5, 0
.LBB22_4863:
                                        ; implicit-def: $vgpr16
.LBB22_4864:
	s_and_b32 vcc_lo, exec_lo, s22
	s_cbranch_vccz .LBB22_4868
; %bb.4865:
	s_cmp_eq_u32 s60, 44
	s_cbranch_scc0 .LBB22_4867
; %bb.4866:
	global_load_u8 v5, v[14:15], off
	s_mov_b32 s0, 0
	s_mov_b32 s5, -1
	s_wait_loadcnt 0x0
	v_lshlrev_b32_e32 v7, 23, v5
	v_cmp_ne_u32_e32 vcc_lo, 0, v5
	s_delay_alu instid0(VALU_DEP_2) | instskip(NEXT) | instid1(VALU_DEP_1)
	v_cvt_i32_f32_e32 v7, v7
	v_cndmask_b32_e32 v16, 0, v7, vcc_lo
	s_branch .LBB22_4868
.LBB22_4867:
	s_mov_b32 s0, -1
                                        ; implicit-def: $vgpr16
.LBB22_4868:
	s_mov_b32 s22, 0
.LBB22_4869:
	s_delay_alu instid0(SALU_CYCLE_1)
	s_and_b32 vcc_lo, exec_lo, s22
	s_cbranch_vccz .LBB22_4873
; %bb.4870:
	s_cmp_eq_u32 s60, 29
	s_cbranch_scc0 .LBB22_4872
; %bb.4871:
	global_load_b32 v16, v[14:15], off
	s_mov_b32 s0, 0
	s_mov_b32 s5, -1
	s_branch .LBB22_4873
.LBB22_4872:
	s_mov_b32 s0, -1
                                        ; implicit-def: $vgpr16
.LBB22_4873:
	s_mov_b32 s22, 0
.LBB22_4874:
	s_delay_alu instid0(SALU_CYCLE_1)
	s_and_b32 vcc_lo, exec_lo, s22
	s_cbranch_vccz .LBB22_4890
; %bb.4875:
	s_cmp_lt_i32 s60, 27
	s_cbranch_scc1 .LBB22_4878
; %bb.4876:
	s_cmp_gt_i32 s60, 27
	s_cbranch_scc0 .LBB22_4879
; %bb.4877:
	s_wait_loadcnt 0x0
	global_load_b32 v16, v[14:15], off
	s_mov_b32 s5, 0
	s_branch .LBB22_4880
.LBB22_4878:
	s_mov_b32 s5, -1
                                        ; implicit-def: $vgpr16
	s_branch .LBB22_4883
.LBB22_4879:
	s_mov_b32 s5, -1
                                        ; implicit-def: $vgpr16
.LBB22_4880:
	s_delay_alu instid0(SALU_CYCLE_1)
	s_and_not1_b32 vcc_lo, exec_lo, s5
	s_cbranch_vccnz .LBB22_4882
; %bb.4881:
	s_wait_loadcnt 0x0
	global_load_u16 v16, v[14:15], off
.LBB22_4882:
	s_mov_b32 s5, 0
.LBB22_4883:
	s_delay_alu instid0(SALU_CYCLE_1)
	s_and_not1_b32 vcc_lo, exec_lo, s5
	s_cbranch_vccnz .LBB22_4889
; %bb.4884:
	global_load_u8 v5, v[14:15], off
	s_mov_b32 s22, 0
	s_mov_b32 s5, exec_lo
	s_wait_loadcnt 0x0
	v_cmpx_lt_i16_e32 0x7f, v5
	s_xor_b32 s5, exec_lo, s5
	s_cbranch_execz .LBB22_4901
; %bb.4885:
	v_cmp_ne_u16_e32 vcc_lo, 0x80, v5
	s_and_b32 s22, vcc_lo, exec_lo
	s_and_not1_saveexec_b32 s5, s5
	s_cbranch_execnz .LBB22_4902
.LBB22_4886:
	s_or_b32 exec_lo, exec_lo, s5
	v_mov_b32_e32 v16, 0
	s_and_saveexec_b32 s5, s22
	s_cbranch_execz .LBB22_4888
.LBB22_4887:
	v_and_b32_e32 v7, 0xffff, v5
	s_delay_alu instid0(VALU_DEP_1) | instskip(SKIP_1) | instid1(VALU_DEP_2)
	v_dual_lshlrev_b32 v5, 24, v5 :: v_dual_bitop2_b32 v9, 7, v7 bitop3:0x40
	v_bfe_u32 v16, v7, 3, 4
	v_and_b32_e32 v5, 0x80000000, v5
	s_delay_alu instid0(VALU_DEP_3) | instskip(NEXT) | instid1(VALU_DEP_3)
	v_clz_i32_u32_e32 v11, v9
	v_cmp_eq_u32_e32 vcc_lo, 0, v16
	s_delay_alu instid0(VALU_DEP_2) | instskip(NEXT) | instid1(VALU_DEP_1)
	v_min_u32_e32 v11, 32, v11
	v_subrev_nc_u32_e32 v13, 28, v11
	v_sub_nc_u32_e32 v11, 29, v11
	s_delay_alu instid0(VALU_DEP_2) | instskip(NEXT) | instid1(VALU_DEP_2)
	v_lshlrev_b32_e32 v7, v13, v7
	v_cndmask_b32_e32 v11, v16, v11, vcc_lo
	s_delay_alu instid0(VALU_DEP_2) | instskip(NEXT) | instid1(VALU_DEP_1)
	v_and_b32_e32 v7, 7, v7
	v_cndmask_b32_e32 v7, v9, v7, vcc_lo
	s_delay_alu instid0(VALU_DEP_3) | instskip(NEXT) | instid1(VALU_DEP_2)
	v_lshl_add_u32 v9, v11, 23, 0x3b800000
	v_lshlrev_b32_e32 v7, 20, v7
	s_delay_alu instid0(VALU_DEP_1) | instskip(NEXT) | instid1(VALU_DEP_1)
	v_or3_b32 v5, v5, v9, v7
	v_cvt_i32_f32_e32 v16, v5
.LBB22_4888:
	s_or_b32 exec_lo, exec_lo, s5
.LBB22_4889:
	s_mov_b32 s5, -1
.LBB22_4890:
	s_mov_b32 s22, 0
.LBB22_4891:
	s_delay_alu instid0(SALU_CYCLE_1)
	s_and_b32 vcc_lo, exec_lo, s22
	s_cbranch_vccz .LBB22_4922
; %bb.4892:
	s_cmp_gt_i32 s60, 22
	s_cbranch_scc0 .LBB22_4900
; %bb.4893:
	s_cmp_lt_i32 s60, 24
	s_cbranch_scc1 .LBB22_4903
; %bb.4894:
	s_cmp_gt_i32 s60, 24
	s_cbranch_scc0 .LBB22_4904
; %bb.4895:
	global_load_u8 v5, v[14:15], off
	s_mov_b32 s5, 0
	s_mov_b32 s1, exec_lo
	s_wait_loadcnt 0x0
	v_cmpx_lt_i16_e32 0x7f, v5
	s_xor_b32 s1, exec_lo, s1
	s_cbranch_execz .LBB22_4916
; %bb.4896:
	v_cmp_ne_u16_e32 vcc_lo, 0x80, v5
	s_and_b32 s5, vcc_lo, exec_lo
	s_and_not1_saveexec_b32 s1, s1
	s_cbranch_execnz .LBB22_4917
.LBB22_4897:
	s_or_b32 exec_lo, exec_lo, s1
	v_mov_b32_e32 v16, 0
	s_and_saveexec_b32 s1, s5
	s_cbranch_execz .LBB22_4899
.LBB22_4898:
	v_and_b32_e32 v7, 0xffff, v5
	s_delay_alu instid0(VALU_DEP_1) | instskip(SKIP_1) | instid1(VALU_DEP_2)
	v_dual_lshlrev_b32 v5, 24, v5 :: v_dual_bitop2_b32 v9, 3, v7 bitop3:0x40
	v_bfe_u32 v16, v7, 2, 5
	v_and_b32_e32 v5, 0x80000000, v5
	s_delay_alu instid0(VALU_DEP_3) | instskip(NEXT) | instid1(VALU_DEP_3)
	v_clz_i32_u32_e32 v11, v9
	v_cmp_eq_u32_e32 vcc_lo, 0, v16
	s_delay_alu instid0(VALU_DEP_2) | instskip(NEXT) | instid1(VALU_DEP_1)
	v_min_u32_e32 v11, 32, v11
	v_subrev_nc_u32_e32 v13, 29, v11
	v_sub_nc_u32_e32 v11, 30, v11
	s_delay_alu instid0(VALU_DEP_2) | instskip(NEXT) | instid1(VALU_DEP_2)
	v_lshlrev_b32_e32 v7, v13, v7
	v_cndmask_b32_e32 v11, v16, v11, vcc_lo
	s_delay_alu instid0(VALU_DEP_2) | instskip(NEXT) | instid1(VALU_DEP_1)
	v_and_b32_e32 v7, 3, v7
	v_cndmask_b32_e32 v7, v9, v7, vcc_lo
	s_delay_alu instid0(VALU_DEP_3) | instskip(NEXT) | instid1(VALU_DEP_2)
	v_lshl_add_u32 v9, v11, 23, 0x37800000
	v_lshlrev_b32_e32 v7, 21, v7
	s_delay_alu instid0(VALU_DEP_1) | instskip(NEXT) | instid1(VALU_DEP_1)
	v_or3_b32 v5, v5, v9, v7
	v_cvt_i32_f32_e32 v16, v5
.LBB22_4899:
	s_or_b32 exec_lo, exec_lo, s1
	s_mov_b32 s1, 0
	s_branch .LBB22_4905
.LBB22_4900:
	s_mov_b32 s1, -1
                                        ; implicit-def: $vgpr16
	s_branch .LBB22_4911
.LBB22_4901:
	s_and_not1_saveexec_b32 s5, s5
	s_cbranch_execz .LBB22_4886
.LBB22_4902:
	v_cmp_ne_u16_e32 vcc_lo, 0, v5
	s_and_not1_b32 s22, s22, exec_lo
	s_and_b32 s23, vcc_lo, exec_lo
	s_delay_alu instid0(SALU_CYCLE_1)
	s_or_b32 s22, s22, s23
	s_or_b32 exec_lo, exec_lo, s5
	v_mov_b32_e32 v16, 0
	s_and_saveexec_b32 s5, s22
	s_cbranch_execnz .LBB22_4887
	s_branch .LBB22_4888
.LBB22_4903:
	s_mov_b32 s1, -1
                                        ; implicit-def: $vgpr16
	s_branch .LBB22_4908
.LBB22_4904:
	s_mov_b32 s1, -1
                                        ; implicit-def: $vgpr16
.LBB22_4905:
	s_delay_alu instid0(SALU_CYCLE_1)
	s_and_b32 vcc_lo, exec_lo, s1
	s_cbranch_vccz .LBB22_4907
; %bb.4906:
	global_load_u8 v5, v[14:15], off
	s_wait_loadcnt 0x0
	v_lshlrev_b32_e32 v5, 24, v5
	s_delay_alu instid0(VALU_DEP_1) | instskip(NEXT) | instid1(VALU_DEP_1)
	v_and_b32_e32 v7, 0x7f000000, v5
	v_clz_i32_u32_e32 v9, v7
	v_add_nc_u32_e32 v13, 0x1000000, v7
	v_cmp_ne_u32_e32 vcc_lo, 0, v7
	s_delay_alu instid0(VALU_DEP_3) | instskip(NEXT) | instid1(VALU_DEP_1)
	v_min_u32_e32 v9, 32, v9
	v_sub_nc_u32_e64 v9, v9, 4 clamp
	s_delay_alu instid0(VALU_DEP_1) | instskip(NEXT) | instid1(VALU_DEP_1)
	v_dual_lshlrev_b32 v11, v9, v7 :: v_dual_lshlrev_b32 v9, 23, v9
	v_lshrrev_b32_e32 v11, 4, v11
	s_delay_alu instid0(VALU_DEP_1) | instskip(SKIP_1) | instid1(VALU_DEP_2)
	v_sub_nc_u32_e32 v9, v11, v9
	v_ashrrev_i32_e32 v11, 8, v13
	v_add_nc_u32_e32 v9, 0x3c000000, v9
	s_delay_alu instid0(VALU_DEP_1) | instskip(NEXT) | instid1(VALU_DEP_1)
	v_and_or_b32 v9, 0x7f800000, v11, v9
	v_cndmask_b32_e32 v7, 0, v9, vcc_lo
	s_delay_alu instid0(VALU_DEP_1) | instskip(NEXT) | instid1(VALU_DEP_1)
	v_and_or_b32 v5, 0x80000000, v5, v7
	v_cvt_i32_f32_e32 v16, v5
.LBB22_4907:
	s_mov_b32 s1, 0
.LBB22_4908:
	s_delay_alu instid0(SALU_CYCLE_1)
	s_and_not1_b32 vcc_lo, exec_lo, s1
	s_cbranch_vccnz .LBB22_4910
; %bb.4909:
	global_load_u8 v5, v[14:15], off
	s_wait_loadcnt 0x0
	v_lshlrev_b32_e32 v7, 25, v5
	v_lshlrev_b16 v5, 8, v5
	s_delay_alu instid0(VALU_DEP_1) | instskip(SKIP_1) | instid1(VALU_DEP_2)
	v_and_or_b32 v11, 0x7f00, v5, 0.5
	v_bfe_i32 v5, v5, 0, 16
	v_add_f32_e32 v11, -0.5, v11
	v_lshrrev_b32_e32 v9, 4, v7
	v_cmp_gt_u32_e32 vcc_lo, 0x8000000, v7
	s_delay_alu instid0(VALU_DEP_2) | instskip(NEXT) | instid1(VALU_DEP_1)
	v_or_b32_e32 v9, 0x70000000, v9
	v_mul_f32_e32 v9, 0x7800000, v9
	s_delay_alu instid0(VALU_DEP_1) | instskip(NEXT) | instid1(VALU_DEP_1)
	v_cndmask_b32_e32 v7, v9, v11, vcc_lo
	v_and_or_b32 v5, 0x80000000, v5, v7
	s_delay_alu instid0(VALU_DEP_1)
	v_cvt_i32_f32_e32 v16, v5
.LBB22_4910:
	s_mov_b32 s1, 0
	s_mov_b32 s5, -1
.LBB22_4911:
	s_and_not1_b32 vcc_lo, exec_lo, s1
	s_mov_b32 s1, 0
	s_cbranch_vccnz .LBB22_4922
; %bb.4912:
	s_cmp_gt_i32 s60, 14
	s_cbranch_scc0 .LBB22_4915
; %bb.4913:
	s_cmp_eq_u32 s60, 15
	s_cbranch_scc0 .LBB22_4918
; %bb.4914:
	global_load_u16 v5, v[14:15], off
	s_mov_b32 s0, 0
	s_mov_b32 s5, -1
	s_wait_loadcnt 0x0
	v_lshlrev_b32_e32 v5, 16, v5
	s_delay_alu instid0(VALU_DEP_1)
	v_cvt_i32_f32_e32 v16, v5
	s_branch .LBB22_4920
.LBB22_4915:
	s_mov_b32 s1, -1
	s_branch .LBB22_4919
.LBB22_4916:
	s_and_not1_saveexec_b32 s1, s1
	s_cbranch_execz .LBB22_4897
.LBB22_4917:
	v_cmp_ne_u16_e32 vcc_lo, 0, v5
	s_and_not1_b32 s5, s5, exec_lo
	s_and_b32 s22, vcc_lo, exec_lo
	s_delay_alu instid0(SALU_CYCLE_1)
	s_or_b32 s5, s5, s22
	s_or_b32 exec_lo, exec_lo, s1
	v_mov_b32_e32 v16, 0
	s_and_saveexec_b32 s1, s5
	s_cbranch_execnz .LBB22_4898
	s_branch .LBB22_4899
.LBB22_4918:
	s_mov_b32 s0, -1
.LBB22_4919:
                                        ; implicit-def: $vgpr16
.LBB22_4920:
	s_and_b32 vcc_lo, exec_lo, s1
	s_mov_b32 s1, 0
	s_cbranch_vccz .LBB22_4922
; %bb.4921:
	s_cmp_lg_u32 s60, 11
	s_mov_b32 s1, -1
	s_cselect_b32 s0, -1, 0
.LBB22_4922:
	s_delay_alu instid0(SALU_CYCLE_1)
	s_and_b32 vcc_lo, exec_lo, s0
	s_cbranch_vccnz .LBB22_5010
; %bb.4923:
	s_and_not1_b32 vcc_lo, exec_lo, s1
	s_cbranch_vccnz .LBB22_4925
.LBB22_4924:
	global_load_u8 v5, v[14:15], off
	s_mov_b32 s5, -1
	s_wait_loadcnt 0x0
	v_cmp_ne_u16_e32 vcc_lo, 0, v5
	v_cndmask_b32_e64 v16, 0, 1, vcc_lo
.LBB22_4925:
	s_mov_b32 s0, 0
.LBB22_4926:
	s_delay_alu instid0(SALU_CYCLE_1)
	s_and_b32 vcc_lo, exec_lo, s0
	s_cbranch_vccz .LBB22_4975
; %bb.4927:
	s_cmp_lt_i32 s60, 5
	s_cbranch_scc1 .LBB22_4932
; %bb.4928:
	s_cmp_lt_i32 s60, 8
	s_cbranch_scc1 .LBB22_4933
	;; [unrolled: 3-line block ×3, first 2 shown]
; %bb.4930:
	s_cmp_gt_i32 s60, 9
	s_cbranch_scc0 .LBB22_4935
; %bb.4931:
	s_wait_loadcnt 0x0
	global_load_b64 v[16:17], v[14:15], off
	s_mov_b32 s0, 0
	s_wait_loadcnt 0x0
	v_cvt_i32_f64_e32 v16, v[16:17]
	s_branch .LBB22_4936
.LBB22_4932:
	s_mov_b32 s0, -1
                                        ; implicit-def: $vgpr16
	s_branch .LBB22_4954
.LBB22_4933:
	s_mov_b32 s0, -1
                                        ; implicit-def: $vgpr16
	s_branch .LBB22_4942
.LBB22_4934:
	s_mov_b32 s0, -1
                                        ; implicit-def: $vgpr16
	s_branch .LBB22_4939
.LBB22_4935:
	s_mov_b32 s0, -1
                                        ; implicit-def: $vgpr16
.LBB22_4936:
	s_delay_alu instid0(SALU_CYCLE_1)
	s_and_not1_b32 vcc_lo, exec_lo, s0
	s_cbranch_vccnz .LBB22_4938
; %bb.4937:
	global_load_b32 v5, v[14:15], off
	s_wait_loadcnt 0x0
	v_cvt_i32_f32_e32 v16, v5
.LBB22_4938:
	s_mov_b32 s0, 0
.LBB22_4939:
	s_delay_alu instid0(SALU_CYCLE_1)
	s_and_not1_b32 vcc_lo, exec_lo, s0
	s_cbranch_vccnz .LBB22_4941
; %bb.4940:
	global_load_b32 v5, v[14:15], off
	s_wait_loadcnt 0x0
	v_cvt_f32_f16_e32 v5, v5
	s_delay_alu instid0(VALU_DEP_1)
	v_cvt_i32_f32_e32 v16, v5
.LBB22_4941:
	s_mov_b32 s0, 0
.LBB22_4942:
	s_delay_alu instid0(SALU_CYCLE_1)
	s_and_not1_b32 vcc_lo, exec_lo, s0
	s_cbranch_vccnz .LBB22_4953
; %bb.4943:
	s_cmp_lt_i32 s60, 6
	s_cbranch_scc1 .LBB22_4946
; %bb.4944:
	s_cmp_gt_i32 s60, 6
	s_cbranch_scc0 .LBB22_4947
; %bb.4945:
	s_wait_loadcnt 0x0
	global_load_b64 v[16:17], v[14:15], off
	s_mov_b32 s0, 0
	s_wait_loadcnt 0x0
	v_cvt_i32_f64_e32 v16, v[16:17]
	s_branch .LBB22_4948
.LBB22_4946:
	s_mov_b32 s0, -1
                                        ; implicit-def: $vgpr16
	s_branch .LBB22_4951
.LBB22_4947:
	s_mov_b32 s0, -1
                                        ; implicit-def: $vgpr16
.LBB22_4948:
	s_delay_alu instid0(SALU_CYCLE_1)
	s_and_not1_b32 vcc_lo, exec_lo, s0
	s_cbranch_vccnz .LBB22_4950
; %bb.4949:
	global_load_b32 v5, v[14:15], off
	s_wait_loadcnt 0x0
	v_cvt_i32_f32_e32 v16, v5
.LBB22_4950:
	s_mov_b32 s0, 0
.LBB22_4951:
	s_delay_alu instid0(SALU_CYCLE_1)
	s_and_not1_b32 vcc_lo, exec_lo, s0
	s_cbranch_vccnz .LBB22_4953
; %bb.4952:
	global_load_u16 v5, v[14:15], off
	s_wait_loadcnt 0x0
	v_cvt_f32_f16_e32 v5, v5
	s_delay_alu instid0(VALU_DEP_1)
	v_cvt_i32_f32_e32 v16, v5
.LBB22_4953:
	s_mov_b32 s0, 0
.LBB22_4954:
	s_delay_alu instid0(SALU_CYCLE_1)
	s_and_not1_b32 vcc_lo, exec_lo, s0
	s_cbranch_vccnz .LBB22_4974
; %bb.4955:
	s_cmp_lt_i32 s60, 2
	s_cbranch_scc1 .LBB22_4959
; %bb.4956:
	s_cmp_lt_i32 s60, 3
	s_cbranch_scc1 .LBB22_4960
; %bb.4957:
	s_cmp_gt_i32 s60, 3
	s_cbranch_scc0 .LBB22_4961
; %bb.4958:
	s_wait_loadcnt 0x0
	global_load_b32 v16, v[14:15], off
	s_mov_b32 s0, 0
	s_branch .LBB22_4962
.LBB22_4959:
	s_mov_b32 s0, -1
                                        ; implicit-def: $vgpr16
	s_branch .LBB22_4968
.LBB22_4960:
	s_mov_b32 s0, -1
                                        ; implicit-def: $vgpr16
	s_branch .LBB22_4965
.LBB22_4961:
	s_mov_b32 s0, -1
                                        ; implicit-def: $vgpr16
.LBB22_4962:
	s_delay_alu instid0(SALU_CYCLE_1)
	s_and_not1_b32 vcc_lo, exec_lo, s0
	s_cbranch_vccnz .LBB22_4964
; %bb.4963:
	s_wait_loadcnt 0x0
	global_load_b32 v16, v[14:15], off
.LBB22_4964:
	s_mov_b32 s0, 0
.LBB22_4965:
	s_delay_alu instid0(SALU_CYCLE_1)
	s_and_not1_b32 vcc_lo, exec_lo, s0
	s_cbranch_vccnz .LBB22_4967
; %bb.4966:
	s_wait_loadcnt 0x0
	global_load_i16 v16, v[14:15], off
.LBB22_4967:
	s_mov_b32 s0, 0
.LBB22_4968:
	s_delay_alu instid0(SALU_CYCLE_1)
	s_and_not1_b32 vcc_lo, exec_lo, s0
	s_cbranch_vccnz .LBB22_4974
; %bb.4969:
	s_cmp_gt_i32 s60, 0
	s_mov_b32 s0, 0
	s_cbranch_scc0 .LBB22_4971
; %bb.4970:
	s_wait_loadcnt 0x0
	global_load_i8 v16, v[14:15], off
	s_branch .LBB22_4972
.LBB22_4971:
	s_mov_b32 s0, -1
                                        ; implicit-def: $vgpr16
.LBB22_4972:
	s_delay_alu instid0(SALU_CYCLE_1)
	s_and_not1_b32 vcc_lo, exec_lo, s0
	s_cbranch_vccnz .LBB22_4974
; %bb.4973:
	s_wait_loadcnt 0x0
	global_load_u8 v16, v[14:15], off
.LBB22_4974:
	s_mov_b32 s5, -1
.LBB22_4975:
	s_delay_alu instid0(SALU_CYCLE_1)
	s_and_not1_b32 vcc_lo, exec_lo, s5
	s_cbranch_vccnz .LBB22_4984
; %bb.4976:
	s_mov_b32 s0, exec_lo
	s_wait_loadcnt 0x0
	v_cmpx_ne_u32_e64 v1, v23
	s_xor_b32 s0, exec_lo, s0
	s_cbranch_execnz .LBB22_5144
.LBB22_4977:
	s_or_saveexec_b32 s61, s0
	s_mov_b32 s1, 0
	s_mov_b32 s5, 0
                                        ; implicit-def: $vgpr14_vgpr15
                                        ; implicit-def: $sgpr0
	s_xor_b32 exec_lo, exec_lo, s61
	s_cbranch_execz .LBB22_5655
; %bb.4978:
	s_mov_b32 s62, s55
	s_mov_b32 s0, exec_lo
	v_cmpx_ne_u32_e64 v3, v24
	s_xor_b32 s0, exec_lo, s0
	s_cbranch_execnz .LBB22_5272
; %bb.4979:
	s_or_saveexec_b32 s65, s0
                                        ; implicit-def: $vgpr14_vgpr15
                                        ; implicit-def: $sgpr0
	s_delay_alu instid0(SALU_CYCLE_1)
	s_xor_b32 exec_lo, exec_lo, s65
	s_cbranch_execz .LBB22_5654
.LBB22_4980:
	v_sub_nc_u32_e32 v1, v12, v10
	s_mov_b32 s66, s62
	s_delay_alu instid0(VALU_DEP_1) | instskip(SKIP_2) | instid1(SALU_CYCLE_1)
	v_cmp_gt_i32_e32 vcc_lo, v23, v1
	v_cmp_lt_i32_e64 s0, s18, v1
	s_or_b32 s0, vcc_lo, s0
	s_and_saveexec_b32 s1, s0
	s_delay_alu instid0(SALU_CYCLE_1)
	s_xor_b32 s0, exec_lo, s1
	s_cbranch_execnz .LBB22_5400
.LBB22_4981:
	s_or_saveexec_b32 s67, s0
	s_mov_b32 s1, 0
	s_mov_b32 s22, 0
                                        ; implicit-def: $vgpr14_vgpr15
                                        ; implicit-def: $sgpr0
	s_xor_b32 exec_lo, exec_lo, s67
	s_cbranch_execz .LBB22_5653
; %bb.4982:
	v_cmp_ne_u32_e32 vcc_lo, 1, v25
	v_mov_b64_e32 v[14:15], 0
	s_cbranch_vccnz .LBB22_4995
; %bb.4983:
	v_ashrrev_i32_e32 v17, 31, v16
	s_mov_b32 s5, s1
	v_mov_b64_e32 v[14:15], 0
	s_lshl_b64 s[26:27], s[4:5], 3
	s_mov_b64 s[22:23], 0xffffffff
	v_mul_u64_e32 v[18:19], s[6:7], v[16:17]
	v_mov_b32_e32 v16, 0
	s_add_nc_u64 s[26:27], s[24:25], s[26:27]
	s_mov_b32 s5, s46
	s_add_nc_u64 s[26:27], s[26:27], 0x68
	s_branch .LBB22_4991
.LBB22_4984:
	s_mov_b32 s1, 0
	s_mov_b32 s5, 0
                                        ; implicit-def: $vgpr14_vgpr15
                                        ; implicit-def: $sgpr0
.LBB22_4985:
	s_and_not1_b32 s2, s53, exec_lo
	s_and_b32 s3, s55, exec_lo
	s_and_b32 s5, s5, exec_lo
	s_and_b32 s1, s1, exec_lo
	s_or_b32 s53, s2, s3
.LBB22_4986:
	s_wait_xcnt 0x0
	s_or_b32 exec_lo, exec_lo, s54
	s_delay_alu instid0(SALU_CYCLE_1)
	s_and_not1_b32 s2, s51, exec_lo
	s_and_b32 s3, s53, exec_lo
	s_and_b32 s5, s5, exec_lo
	;; [unrolled: 1-line block ×3, first 2 shown]
	s_or_b32 s51, s2, s3
.LBB22_4987:
	s_or_b32 exec_lo, exec_lo, s52
	s_delay_alu instid0(SALU_CYCLE_1)
	s_and_not1_b32 s2, s49, exec_lo
	s_and_b32 s3, s51, exec_lo
	s_and_b32 s5, s5, exec_lo
	;; [unrolled: 1-line block ×3, first 2 shown]
	s_or_b32 s49, s2, s3
.LBB22_4988:
	s_or_b32 exec_lo, exec_lo, s50
	s_delay_alu instid0(SALU_CYCLE_1)
	s_and_not1_b32 s2, s45, exec_lo
	s_and_b32 s3, s49, exec_lo
	s_and_b32 s5, s5, exec_lo
	;; [unrolled: 1-line block ×3, first 2 shown]
	s_or_b32 s45, s2, s3
.LBB22_4989:
	s_or_b32 exec_lo, exec_lo, s48
	s_branch .LBB22_4319
.LBB22_4990:                            ;   in Loop: Header=BB22_4991 Depth=1
	s_or_b32 exec_lo, exec_lo, s0
	s_delay_alu instid0(VALU_DEP_1)
	v_mul_u64_e32 v[26:27], s[28:29], v[20:21]
	s_load_b64 s[28:29], s[26:27], 0x40
	s_add_co_i32 s5, s5, -1
	s_wait_xcnt 0x0
	s_add_nc_u64 s[26:27], s[26:27], -8
	s_cmp_eq_u32 s5, 0
	s_delay_alu instid0(VALU_DEP_1) | instskip(SKIP_1) | instid1(VALU_DEP_1)
	v_sub_nc_u64_e32 v[18:19], v[18:19], v[26:27]
	s_wait_kmcnt 0x0
	v_mad_nc_u64_u32 v[14:15], v18, s28, v[14:15]
	s_delay_alu instid0(VALU_DEP_1) | instskip(NEXT) | instid1(VALU_DEP_1)
	v_mad_u32 v1, v19, s28, v15
	v_mad_u32 v15, v18, s29, v1
	v_mov_b64_e32 v[18:19], v[20:21]
	s_cbranch_scc1 .LBB22_4995
.LBB22_4991:                            ; =>This Inner Loop Header: Depth=1
	s_load_b64 s[28:29], s[26:27], 0x0
                                        ; implicit-def: $vgpr20_vgpr21
	s_mov_b32 s0, exec_lo
	s_wait_kmcnt 0x0
	s_delay_alu instid0(VALU_DEP_1) | instskip(NEXT) | instid1(VALU_DEP_1)
	v_or_b32_e32 v17, s29, v19
	v_cmpx_ne_u64_e32 0, v[16:17]
	s_xor_b32 s71, exec_lo, s0
	s_cbranch_execz .LBB22_4993
; %bb.4992:                             ;   in Loop: Header=BB22_4991 Depth=1
	s_ashr_i32 s30, s29, 31
	v_dual_mov_b32 v29, v16 :: v_dual_ashrrev_i32 v20, 31, v19
	s_mov_b32 s31, s30
	v_mov_b32_e32 v37, v16
	s_add_nc_u64 s[34:35], s[28:29], s[30:31]
	s_delay_alu instid0(VALU_DEP_2) | instskip(SKIP_1) | instid1(SALU_CYCLE_1)
	v_mov_b32_e32 v21, v20
	s_xor_b64 s[34:35], s[34:35], s[30:31]
	s_cvt_f32_u32 s0, s34
	s_cvt_f32_u32 s31, s35
	s_sub_nc_u64 s[74:75], 0, s[34:35]
	v_add_nc_u64_e32 v[26:27], v[18:19], v[20:21]
	v_mov_b32_e32 v33, v16
	s_fmamk_f32 s0, s31, 0x4f800000, s0
	s_delay_alu instid0(SALU_CYCLE_3) | instskip(NEXT) | instid1(VALU_DEP_2)
	v_s_rcp_f32 s0, s0
	v_xor_b32_e32 v28, v26, v20
	s_delay_alu instid0(VALU_DEP_3) | instskip(SKIP_1) | instid1(TRANS32_DEP_1)
	v_xor_b32_e32 v32, v27, v20
	v_xor_b32_e32 v20, s30, v20
	s_mul_f32 s0, s0, 0x5f7ffffc
	s_delay_alu instid0(VALU_DEP_1) | instskip(NEXT) | instid1(SALU_CYCLE_2)
	v_mov_b32_e32 v21, v20
	s_mul_f32 s31, s0, 0x2f800000
	s_delay_alu instid0(SALU_CYCLE_3) | instskip(NEXT) | instid1(SALU_CYCLE_3)
	s_trunc_f32 s31, s31
	s_fmamk_f32 s0, s31, 0xcf800000, s0
	s_cvt_u32_f32 s73, s31
	s_delay_alu instid0(SALU_CYCLE_2) | instskip(NEXT) | instid1(SALU_CYCLE_3)
	s_cvt_u32_f32 s72, s0
	s_mul_u64 s[76:77], s[74:75], s[72:73]
	s_delay_alu instid0(SALU_CYCLE_1)
	s_mul_hi_u32 s79, s72, s77
	s_mul_i32 s78, s72, s77
	s_mul_hi_u32 s0, s72, s76
	s_mul_i32 s80, s73, s76
	s_add_nc_u64 s[78:79], s[0:1], s[78:79]
	s_mul_hi_u32 s31, s73, s76
	s_mul_hi_u32 s81, s73, s77
	s_add_co_u32 s0, s78, s80
	s_add_co_ci_u32 s0, s79, s31
	s_mul_i32 s76, s73, s77
	s_add_co_ci_u32 s77, s81, 0
	s_delay_alu instid0(SALU_CYCLE_1) | instskip(NEXT) | instid1(SALU_CYCLE_1)
	s_add_nc_u64 s[76:77], s[0:1], s[76:77]
	s_add_co_u32 s72, s72, s76
	s_cselect_b32 s0, -1, 0
	s_delay_alu instid0(SALU_CYCLE_1) | instskip(SKIP_1) | instid1(SALU_CYCLE_1)
	s_cmp_lg_u32 s0, 0
	s_add_co_ci_u32 s73, s73, s77
	s_mul_u64 s[74:75], s[74:75], s[72:73]
	s_delay_alu instid0(SALU_CYCLE_1)
	s_mul_hi_u32 s77, s72, s75
	s_mul_i32 s76, s72, s75
	s_mul_hi_u32 s0, s72, s74
	s_mul_i32 s78, s73, s74
	s_add_nc_u64 s[76:77], s[0:1], s[76:77]
	s_mul_hi_u32 s31, s73, s74
	s_mul_hi_u32 s79, s73, s75
	s_add_co_u32 s0, s76, s78
	s_add_co_ci_u32 s0, s77, s31
	s_mul_i32 s74, s73, s75
	s_add_co_ci_u32 s75, s79, 0
	s_delay_alu instid0(SALU_CYCLE_1) | instskip(NEXT) | instid1(SALU_CYCLE_1)
	s_add_nc_u64 s[74:75], s[0:1], s[74:75]
	s_add_co_u32 s72, s72, s74
	s_cselect_b32 s0, -1, 0
	v_mul_hi_u32 v36, v28, s72
	s_cmp_lg_u32 s0, 0
	s_add_co_ci_u32 s0, s73, s75
	s_and_b64 s[74:75], s[72:73], s[22:23]
	v_mul_u64_e32 v[30:31], s[0:1], v[28:29]
	v_mul_u64_e32 v[26:27], s[74:75], v[32:33]
	;; [unrolled: 1-line block ×3, first 2 shown]
	s_delay_alu instid0(VALU_DEP_3) | instskip(NEXT) | instid1(VALU_DEP_1)
	v_add_nc_u64_e32 v[30:31], v[36:37], v[30:31]
	v_add_co_u32 v1, vcc_lo, v30, v26
	s_delay_alu instid0(VALU_DEP_2) | instskip(NEXT) | instid1(VALU_DEP_4)
	v_add_co_ci_u32_e32 v36, vcc_lo, v31, v27, vcc_lo
	v_add_co_ci_u32_e32 v35, vcc_lo, 0, v35, vcc_lo
	s_delay_alu instid0(VALU_DEP_1) | instskip(NEXT) | instid1(VALU_DEP_1)
	v_add_nc_u64_e32 v[26:27], v[36:37], v[34:35]
	v_mul_u64_e32 v[30:31], s[34:35], v[26:27]
	s_delay_alu instid0(VALU_DEP_1) | instskip(SKIP_1) | instid1(VALU_DEP_3)
	v_sub_co_u32 v3, vcc_lo, v28, v30
	v_add_nc_u64_e32 v[28:29], 2, v[26:27]
	v_sub_nc_u32_e32 v1, v32, v31
	v_sub_co_ci_u32_e64 v7, null, v32, v31, vcc_lo
	s_delay_alu instid0(VALU_DEP_4) | instskip(NEXT) | instid1(VALU_DEP_3)
	v_sub_co_u32 v5, s0, v3, s34
	v_subrev_co_ci_u32_e64 v1, null, s35, v1, vcc_lo
	v_add_nc_u64_e32 v[30:31], 1, v[26:27]
	s_delay_alu instid0(VALU_DEP_3) | instskip(NEXT) | instid1(VALU_DEP_3)
	v_cmp_le_u32_e32 vcc_lo, s34, v5
	v_subrev_co_ci_u32_e64 v1, null, 0, v1, s0
	v_cndmask_b32_e64 v5, 0, -1, vcc_lo
	s_delay_alu instid0(VALU_DEP_2)
	v_cmp_le_u32_e32 vcc_lo, s35, v1
	v_cndmask_b32_e64 v9, 0, -1, vcc_lo
	v_cmp_le_u32_e32 vcc_lo, s34, v3
	v_cndmask_b32_e64 v3, 0, -1, vcc_lo
	;; [unrolled: 2-line block ×3, first 2 shown]
	v_cmp_eq_u32_e32 vcc_lo, s35, v1
	v_cndmask_b32_e32 v1, v9, v5, vcc_lo
	v_cmp_eq_u32_e32 vcc_lo, s35, v7
	s_delay_alu instid0(VALU_DEP_4) | instskip(NEXT) | instid1(VALU_DEP_3)
	v_cndmask_b32_e32 v3, v11, v3, vcc_lo
	v_cmp_ne_u32_e32 vcc_lo, 0, v1
	s_delay_alu instid0(VALU_DEP_2) | instskip(SKIP_1) | instid1(VALU_DEP_1)
	v_cmp_ne_u32_e64 s0, 0, v3
	v_dual_cndmask_b32 v3, v30, v28, vcc_lo :: v_dual_cndmask_b32 v1, v31, v29, vcc_lo
	v_dual_cndmask_b32 v3, v26, v3, s0 :: v_dual_cndmask_b32 v1, v27, v1, s0
	s_delay_alu instid0(VALU_DEP_1) | instskip(NEXT) | instid1(VALU_DEP_2)
	v_xor_b32_e32 v26, v3, v20
	v_xor_b32_e32 v27, v1, v20
	s_delay_alu instid0(VALU_DEP_1)
	v_sub_nc_u64_e32 v[20:21], v[26:27], v[20:21]
.LBB22_4993:                            ;   in Loop: Header=BB22_4991 Depth=1
	s_and_not1_saveexec_b32 s0, s71
	s_cbranch_execz .LBB22_4990
; %bb.4994:                             ;   in Loop: Header=BB22_4991 Depth=1
	v_cvt_f32_u32_e32 v1, s28
	s_sub_co_i32 s30, 0, s28
	v_mov_b32_e32 v21, v16
	s_delay_alu instid0(VALU_DEP_2) | instskip(SKIP_1) | instid1(TRANS32_DEP_1)
	v_rcp_iflag_f32_e32 v1, v1
	v_nop
	v_mul_f32_e32 v1, 0x4f7ffffe, v1
	s_delay_alu instid0(VALU_DEP_1) | instskip(NEXT) | instid1(VALU_DEP_1)
	v_cvt_u32_f32_e32 v1, v1
	v_mul_lo_u32 v3, s30, v1
	s_delay_alu instid0(VALU_DEP_1) | instskip(NEXT) | instid1(VALU_DEP_1)
	v_mul_hi_u32 v3, v1, v3
	v_add_nc_u32_e32 v1, v1, v3
	s_delay_alu instid0(VALU_DEP_1) | instskip(NEXT) | instid1(VALU_DEP_1)
	v_mul_hi_u32 v1, v18, v1
	v_mul_lo_u32 v3, v1, s28
	s_delay_alu instid0(VALU_DEP_1) | instskip(NEXT) | instid1(VALU_DEP_1)
	v_sub_nc_u32_e32 v3, v18, v3
	v_subrev_nc_u32_e32 v7, s28, v3
	v_cmp_le_u32_e32 vcc_lo, s28, v3
	s_delay_alu instid0(VALU_DEP_2) | instskip(NEXT) | instid1(VALU_DEP_1)
	v_dual_add_nc_u32 v5, 1, v1 :: v_dual_cndmask_b32 v3, v3, v7, vcc_lo
	v_cndmask_b32_e32 v1, v1, v5, vcc_lo
	s_delay_alu instid0(VALU_DEP_2) | instskip(NEXT) | instid1(VALU_DEP_2)
	v_cmp_le_u32_e32 vcc_lo, s28, v3
	v_add_nc_u32_e32 v5, 1, v1
	s_delay_alu instid0(VALU_DEP_1)
	v_cndmask_b32_e32 v20, v1, v5, vcc_lo
	s_branch .LBB22_4990
.LBB22_4995:
	s_mov_b32 s23, -1
	s_mov_b32 s1, s66
	s_mov_b32 s0, exec_lo
	v_cmpx_gt_i32_e64 v12, v10
	s_cbranch_execz .LBB22_5002
; %bb.4996:
	s_delay_alu instid0(VALU_DEP_2) | instskip(SKIP_3) | instid1(VALU_DEP_1)
	v_lshlrev_b64_e32 v[14:15], 2, v[14:15]
	v_dual_ashrrev_i32 v11, 31, v10 :: v_dual_ashrrev_i32 v13, 31, v12
	s_mov_b32 s5, 0
	s_xor_b32 s22, s47, -1
                                        ; implicit-def: $sgpr1
                                        ; implicit-def: $sgpr26
                                        ; implicit-def: $sgpr23
	v_lshl_add_u64 v[10:11], v[10:11], 2, v[14:15]
	s_wait_kmcnt 0x0
	v_add_nc_u64_e32 v[14:15], s[20:21], v[14:15]
	s_delay_alu instid0(VALU_DEP_2) | instskip(NEXT) | instid1(VALU_DEP_2)
	v_add_nc_u64_e32 v[10:11], s[20:21], v[10:11]
	v_lshl_add_u64 v[12:13], v[12:13], 2, v[14:15]
	s_delay_alu instid0(VALU_DEP_2)
	v_add_nc_u64_e32 v[10:11], 4, v[10:11]
	s_branch .LBB22_4998
.LBB22_4997:                            ;   in Loop: Header=BB22_4998 Depth=1
	s_or_b32 exec_lo, exec_lo, s27
	s_xor_b32 s27, s23, -1
	s_and_b32 s28, exec_lo, s26
	s_delay_alu instid0(SALU_CYCLE_1) | instskip(SKIP_2) | instid1(SALU_CYCLE_1)
	s_or_b32 s5, s28, s5
	s_and_not1_b32 s1, s1, exec_lo
	s_and_b32 s27, s27, exec_lo
	s_or_b32 s1, s1, s27
	s_and_not1_b32 exec_lo, exec_lo, s5
	s_cbranch_execz .LBB22_5000
.LBB22_4998:                            ; =>This Inner Loop Header: Depth=1
	s_or_b32 s23, s23, exec_lo
	s_or_b32 s26, s26, exec_lo
	s_mov_b32 s27, exec_lo
	s_delay_alu instid0(VALU_DEP_1)
	v_cmpx_lt_u64_e64 v[10:11], v[12:13]
	s_cbranch_execz .LBB22_4997
; %bb.4999:                             ;   in Loop: Header=BB22_4998 Depth=1
	global_load_b64 v[14:15], v[10:11], off offset:-4
	s_wait_xcnt 0x0
	v_add_nc_u64_e32 v[10:11], 4, v[10:11]
	s_and_not1_b32 s26, s26, exec_lo
	s_and_not1_b32 s23, s23, exec_lo
	s_wait_loadcnt 0x0
	v_cmp_ge_i32_e32 vcc_lo, v14, v15
	s_or_b32 s28, s22, vcc_lo
	s_delay_alu instid0(SALU_CYCLE_1) | instskip(NEXT) | instid1(SALU_CYCLE_1)
	s_and_b32 s28, s28, exec_lo
	s_or_b32 s26, s26, s28
	s_branch .LBB22_4997
.LBB22_5000:
	s_or_b32 exec_lo, exec_lo, s5
	s_mov_b32 s5, -1
	s_mov_b32 s22, s66
	s_and_saveexec_b32 s23, s1
	s_delay_alu instid0(SALU_CYCLE_1)
	s_xor_b32 s1, exec_lo, s23
	s_cbranch_execnz .LBB22_5015
.LBB22_5001:
	s_or_b32 exec_lo, exec_lo, s1
	s_delay_alu instid0(SALU_CYCLE_1)
	s_and_not1_b32 s1, s66, exec_lo
	s_and_b32 s22, s22, exec_lo
	s_or_not1_b32 s23, s5, exec_lo
	s_or_b32 s1, s1, s22
.LBB22_5002:
	s_or_b32 exec_lo, exec_lo, s0
	s_mov_b32 s5, 0
	s_mov_b32 s26, 0
                                        ; implicit-def: $vgpr14_vgpr15
                                        ; implicit-def: $sgpr0
	s_and_saveexec_b32 s22, s23
	s_cbranch_execz .LBB22_5652
; %bb.5003:
	v_add_nc_u32_e32 v0, s68, v0
	s_cmp_lt_i32 s56, 11
	s_delay_alu instid0(VALU_DEP_1) | instskip(NEXT) | instid1(VALU_DEP_1)
	v_ashrrev_i32_e32 v1, 31, v0
	v_add_nc_u64_e32 v[0:1], s[8:9], v[0:1]
	s_cbranch_scc1 .LBB22_5011
; %bb.5004:
	s_cmp_gt_i32 s56, 25
	s_cbranch_scc0 .LBB22_5012
; %bb.5005:
	s_cmp_gt_i32 s56, 28
	s_cbranch_scc0 .LBB22_5013
; %bb.5006:
	s_cmp_gt_i32 s56, 43
	s_cbranch_scc0 .LBB22_5014
; %bb.5007:
	s_cmp_gt_i32 s56, 45
	s_cbranch_scc0 .LBB22_5016
; %bb.5008:
	s_cmp_eq_u32 s56, 46
	s_mov_b32 s9, 0
	s_cbranch_scc0 .LBB22_5017
; %bb.5009:
	global_load_b32 v3, v[0:1], off
	s_mov_b32 s0, 0
	s_mov_b32 s8, -1
	s_wait_loadcnt 0x0
	v_lshlrev_b32_e32 v3, 16, v3
	s_delay_alu instid0(VALU_DEP_1)
	v_cvt_i32_f32_e32 v7, v3
	s_branch .LBB22_5019
.LBB22_5010:
	s_or_b32 s55, s55, exec_lo
	s_trap 2
	s_cbranch_execz .LBB22_4924
	s_branch .LBB22_4925
.LBB22_5011:
	s_mov_b32 s0, -1
	s_mov_b32 s8, 0
	s_mov_b32 s23, s1
                                        ; implicit-def: $vgpr7
	s_branch .LBB22_5081
.LBB22_5012:
	s_mov_b32 s9, -1
	s_mov_b32 s8, 0
	s_mov_b32 s0, 0
                                        ; implicit-def: $vgpr7
	s_branch .LBB22_5046
.LBB22_5013:
	s_mov_b32 s9, -1
	s_mov_b32 s8, 0
	s_mov_b32 s0, 0
                                        ; implicit-def: $vgpr7
	s_branch .LBB22_5029
.LBB22_5014:
	s_mov_b32 s9, -1
	s_mov_b32 s8, 0
	s_mov_b32 s0, 0
                                        ; implicit-def: $vgpr7
	s_branch .LBB22_5024
.LBB22_5015:
	s_or_b32 s22, s66, exec_lo
	s_xor_b32 s5, exec_lo, -1
	s_trap 2
	s_branch .LBB22_5001
.LBB22_5016:
	s_mov_b32 s9, -1
	s_mov_b32 s8, 0
	s_mov_b32 s0, 0
	s_branch .LBB22_5018
.LBB22_5017:
	s_mov_b32 s0, -1
	s_mov_b32 s8, 0
.LBB22_5018:
                                        ; implicit-def: $vgpr7
.LBB22_5019:
	s_and_b32 vcc_lo, exec_lo, s9
	s_cbranch_vccz .LBB22_5023
; %bb.5020:
	s_cmp_eq_u32 s56, 44
	s_cbranch_scc0 .LBB22_5022
; %bb.5021:
	global_load_u8 v3, v[0:1], off
	s_mov_b32 s0, 0
	s_mov_b32 s8, -1
	s_wait_loadcnt 0x0
	v_lshlrev_b32_e32 v5, 23, v3
	v_cmp_ne_u32_e32 vcc_lo, 0, v3
	s_delay_alu instid0(VALU_DEP_2) | instskip(NEXT) | instid1(VALU_DEP_1)
	v_cvt_i32_f32_e32 v5, v5
	v_cndmask_b32_e32 v7, 0, v5, vcc_lo
	s_branch .LBB22_5023
.LBB22_5022:
	s_mov_b32 s0, -1
                                        ; implicit-def: $vgpr7
.LBB22_5023:
	s_mov_b32 s9, 0
.LBB22_5024:
	s_delay_alu instid0(SALU_CYCLE_1)
	s_and_b32 vcc_lo, exec_lo, s9
	s_cbranch_vccz .LBB22_5028
; %bb.5025:
	s_cmp_eq_u32 s56, 29
	s_cbranch_scc0 .LBB22_5027
; %bb.5026:
	global_load_b32 v7, v[0:1], off
	s_mov_b32 s0, 0
	s_mov_b32 s8, -1
	s_branch .LBB22_5028
.LBB22_5027:
	s_mov_b32 s0, -1
                                        ; implicit-def: $vgpr7
.LBB22_5028:
	s_mov_b32 s9, 0
.LBB22_5029:
	s_delay_alu instid0(SALU_CYCLE_1)
	s_and_b32 vcc_lo, exec_lo, s9
	s_cbranch_vccz .LBB22_5045
; %bb.5030:
	s_cmp_lt_i32 s56, 27
	s_cbranch_scc1 .LBB22_5033
; %bb.5031:
	s_cmp_gt_i32 s56, 27
	s_cbranch_scc0 .LBB22_5034
; %bb.5032:
	s_wait_loadcnt 0x0
	global_load_b32 v7, v[0:1], off
	s_mov_b32 s8, 0
	s_branch .LBB22_5035
.LBB22_5033:
	s_mov_b32 s8, -1
                                        ; implicit-def: $vgpr7
	s_branch .LBB22_5038
.LBB22_5034:
	s_mov_b32 s8, -1
                                        ; implicit-def: $vgpr7
.LBB22_5035:
	s_delay_alu instid0(SALU_CYCLE_1)
	s_and_not1_b32 vcc_lo, exec_lo, s8
	s_cbranch_vccnz .LBB22_5037
; %bb.5036:
	s_wait_loadcnt 0x0
	global_load_u16 v7, v[0:1], off
.LBB22_5037:
	s_mov_b32 s8, 0
.LBB22_5038:
	s_delay_alu instid0(SALU_CYCLE_1)
	s_and_not1_b32 vcc_lo, exec_lo, s8
	s_cbranch_vccnz .LBB22_5044
; %bb.5039:
	global_load_u8 v3, v[0:1], off
	s_mov_b32 s9, 0
	s_mov_b32 s8, exec_lo
	s_wait_loadcnt 0x0
	v_cmpx_lt_i16_e32 0x7f, v3
	s_xor_b32 s8, exec_lo, s8
	s_cbranch_execz .LBB22_5056
; %bb.5040:
	v_cmp_ne_u16_e32 vcc_lo, 0x80, v3
	s_and_b32 s9, vcc_lo, exec_lo
	s_and_not1_saveexec_b32 s8, s8
	s_cbranch_execnz .LBB22_5057
.LBB22_5041:
	s_or_b32 exec_lo, exec_lo, s8
	v_mov_b32_e32 v7, 0
	s_and_saveexec_b32 s8, s9
	s_cbranch_execz .LBB22_5043
.LBB22_5042:
	v_and_b32_e32 v5, 0xffff, v3
	s_delay_alu instid0(VALU_DEP_1) | instskip(SKIP_1) | instid1(VALU_DEP_2)
	v_dual_lshlrev_b32 v3, 24, v3 :: v_dual_bitop2_b32 v7, 7, v5 bitop3:0x40
	v_bfe_u32 v11, v5, 3, 4
	v_and_b32_e32 v3, 0x80000000, v3
	s_delay_alu instid0(VALU_DEP_3) | instskip(NEXT) | instid1(VALU_DEP_3)
	v_clz_i32_u32_e32 v9, v7
	v_cmp_eq_u32_e32 vcc_lo, 0, v11
	s_delay_alu instid0(VALU_DEP_2) | instskip(NEXT) | instid1(VALU_DEP_1)
	v_min_u32_e32 v9, 32, v9
	v_subrev_nc_u32_e32 v10, 28, v9
	v_sub_nc_u32_e32 v9, 29, v9
	s_delay_alu instid0(VALU_DEP_2) | instskip(NEXT) | instid1(VALU_DEP_2)
	v_lshlrev_b32_e32 v5, v10, v5
	v_cndmask_b32_e32 v9, v11, v9, vcc_lo
	s_delay_alu instid0(VALU_DEP_2) | instskip(NEXT) | instid1(VALU_DEP_1)
	v_and_b32_e32 v5, 7, v5
	v_cndmask_b32_e32 v5, v7, v5, vcc_lo
	s_delay_alu instid0(VALU_DEP_3) | instskip(NEXT) | instid1(VALU_DEP_2)
	v_lshl_add_u32 v7, v9, 23, 0x3b800000
	v_lshlrev_b32_e32 v5, 20, v5
	s_delay_alu instid0(VALU_DEP_1) | instskip(NEXT) | instid1(VALU_DEP_1)
	v_or3_b32 v3, v3, v7, v5
	v_cvt_i32_f32_e32 v7, v3
.LBB22_5043:
	s_or_b32 exec_lo, exec_lo, s8
.LBB22_5044:
	s_mov_b32 s8, -1
.LBB22_5045:
	s_mov_b32 s9, 0
.LBB22_5046:
	s_delay_alu instid0(SALU_CYCLE_1)
	s_and_b32 vcc_lo, exec_lo, s9
	s_cbranch_vccz .LBB22_5077
; %bb.5047:
	s_cmp_gt_i32 s56, 22
	s_cbranch_scc0 .LBB22_5055
; %bb.5048:
	s_cmp_lt_i32 s56, 24
	s_cbranch_scc1 .LBB22_5058
; %bb.5049:
	s_cmp_gt_i32 s56, 24
	s_cbranch_scc0 .LBB22_5059
; %bb.5050:
	global_load_u8 v3, v[0:1], off
	s_mov_b32 s8, 0
	s_mov_b32 s5, exec_lo
	s_wait_loadcnt 0x0
	v_cmpx_lt_i16_e32 0x7f, v3
	s_xor_b32 s5, exec_lo, s5
	s_cbranch_execz .LBB22_5071
; %bb.5051:
	v_cmp_ne_u16_e32 vcc_lo, 0x80, v3
	s_and_b32 s8, vcc_lo, exec_lo
	s_and_not1_saveexec_b32 s5, s5
	s_cbranch_execnz .LBB22_5072
.LBB22_5052:
	s_or_b32 exec_lo, exec_lo, s5
	v_mov_b32_e32 v7, 0
	s_and_saveexec_b32 s5, s8
	s_cbranch_execz .LBB22_5054
.LBB22_5053:
	v_and_b32_e32 v5, 0xffff, v3
	s_delay_alu instid0(VALU_DEP_1) | instskip(SKIP_1) | instid1(VALU_DEP_2)
	v_dual_lshlrev_b32 v3, 24, v3 :: v_dual_bitop2_b32 v7, 3, v5 bitop3:0x40
	v_bfe_u32 v11, v5, 2, 5
	v_and_b32_e32 v3, 0x80000000, v3
	s_delay_alu instid0(VALU_DEP_3) | instskip(NEXT) | instid1(VALU_DEP_3)
	v_clz_i32_u32_e32 v9, v7
	v_cmp_eq_u32_e32 vcc_lo, 0, v11
	s_delay_alu instid0(VALU_DEP_2) | instskip(NEXT) | instid1(VALU_DEP_1)
	v_min_u32_e32 v9, 32, v9
	v_subrev_nc_u32_e32 v10, 29, v9
	v_sub_nc_u32_e32 v9, 30, v9
	s_delay_alu instid0(VALU_DEP_2) | instskip(NEXT) | instid1(VALU_DEP_2)
	v_lshlrev_b32_e32 v5, v10, v5
	v_cndmask_b32_e32 v9, v11, v9, vcc_lo
	s_delay_alu instid0(VALU_DEP_2) | instskip(NEXT) | instid1(VALU_DEP_1)
	v_and_b32_e32 v5, 3, v5
	v_cndmask_b32_e32 v5, v7, v5, vcc_lo
	s_delay_alu instid0(VALU_DEP_3) | instskip(NEXT) | instid1(VALU_DEP_2)
	v_lshl_add_u32 v7, v9, 23, 0x37800000
	v_lshlrev_b32_e32 v5, 21, v5
	s_delay_alu instid0(VALU_DEP_1) | instskip(NEXT) | instid1(VALU_DEP_1)
	v_or3_b32 v3, v3, v7, v5
	v_cvt_i32_f32_e32 v7, v3
.LBB22_5054:
	s_or_b32 exec_lo, exec_lo, s5
	s_mov_b32 s5, 0
	s_branch .LBB22_5060
.LBB22_5055:
	s_mov_b32 s5, -1
                                        ; implicit-def: $vgpr7
	s_branch .LBB22_5066
.LBB22_5056:
	s_and_not1_saveexec_b32 s8, s8
	s_cbranch_execz .LBB22_5041
.LBB22_5057:
	v_cmp_ne_u16_e32 vcc_lo, 0, v3
	s_and_not1_b32 s9, s9, exec_lo
	s_and_b32 s23, vcc_lo, exec_lo
	s_delay_alu instid0(SALU_CYCLE_1)
	s_or_b32 s9, s9, s23
	s_or_b32 exec_lo, exec_lo, s8
	v_mov_b32_e32 v7, 0
	s_and_saveexec_b32 s8, s9
	s_cbranch_execnz .LBB22_5042
	s_branch .LBB22_5043
.LBB22_5058:
	s_mov_b32 s5, -1
                                        ; implicit-def: $vgpr7
	s_branch .LBB22_5063
.LBB22_5059:
	s_mov_b32 s5, -1
                                        ; implicit-def: $vgpr7
.LBB22_5060:
	s_delay_alu instid0(SALU_CYCLE_1)
	s_and_b32 vcc_lo, exec_lo, s5
	s_cbranch_vccz .LBB22_5062
; %bb.5061:
	global_load_u8 v3, v[0:1], off
	s_wait_loadcnt 0x0
	v_lshlrev_b32_e32 v3, 24, v3
	s_delay_alu instid0(VALU_DEP_1) | instskip(NEXT) | instid1(VALU_DEP_1)
	v_and_b32_e32 v5, 0x7f000000, v3
	v_clz_i32_u32_e32 v7, v5
	v_cmp_ne_u32_e32 vcc_lo, 0, v5
	v_add_nc_u32_e32 v10, 0x1000000, v5
	s_delay_alu instid0(VALU_DEP_3) | instskip(NEXT) | instid1(VALU_DEP_1)
	v_min_u32_e32 v7, 32, v7
	v_sub_nc_u32_e64 v7, v7, 4 clamp
	s_delay_alu instid0(VALU_DEP_1) | instskip(NEXT) | instid1(VALU_DEP_1)
	v_dual_lshlrev_b32 v9, v7, v5 :: v_dual_lshlrev_b32 v7, 23, v7
	v_lshrrev_b32_e32 v9, 4, v9
	s_delay_alu instid0(VALU_DEP_1) | instskip(NEXT) | instid1(VALU_DEP_1)
	v_dual_sub_nc_u32 v7, v9, v7 :: v_dual_ashrrev_i32 v9, 8, v10
	v_add_nc_u32_e32 v7, 0x3c000000, v7
	s_delay_alu instid0(VALU_DEP_1) | instskip(NEXT) | instid1(VALU_DEP_1)
	v_and_or_b32 v7, 0x7f800000, v9, v7
	v_cndmask_b32_e32 v5, 0, v7, vcc_lo
	s_delay_alu instid0(VALU_DEP_1) | instskip(NEXT) | instid1(VALU_DEP_1)
	v_and_or_b32 v3, 0x80000000, v3, v5
	v_cvt_i32_f32_e32 v7, v3
.LBB22_5062:
	s_mov_b32 s5, 0
.LBB22_5063:
	s_delay_alu instid0(SALU_CYCLE_1)
	s_and_not1_b32 vcc_lo, exec_lo, s5
	s_cbranch_vccnz .LBB22_5065
; %bb.5064:
	global_load_u8 v3, v[0:1], off
	s_wait_loadcnt 0x0
	v_lshlrev_b32_e32 v5, 25, v3
	v_lshlrev_b16 v3, 8, v3
	s_delay_alu instid0(VALU_DEP_1) | instskip(SKIP_1) | instid1(VALU_DEP_2)
	v_and_or_b32 v9, 0x7f00, v3, 0.5
	v_bfe_i32 v3, v3, 0, 16
	v_add_f32_e32 v9, -0.5, v9
	v_lshrrev_b32_e32 v7, 4, v5
	v_cmp_gt_u32_e32 vcc_lo, 0x8000000, v5
	s_delay_alu instid0(VALU_DEP_2) | instskip(NEXT) | instid1(VALU_DEP_1)
	v_or_b32_e32 v7, 0x70000000, v7
	v_mul_f32_e32 v7, 0x7800000, v7
	s_delay_alu instid0(VALU_DEP_1) | instskip(NEXT) | instid1(VALU_DEP_1)
	v_cndmask_b32_e32 v5, v7, v9, vcc_lo
	v_and_or_b32 v3, 0x80000000, v3, v5
	s_delay_alu instid0(VALU_DEP_1)
	v_cvt_i32_f32_e32 v7, v3
.LBB22_5065:
	s_mov_b32 s5, 0
	s_mov_b32 s8, -1
.LBB22_5066:
	s_and_not1_b32 vcc_lo, exec_lo, s5
	s_mov_b32 s5, 0
	s_cbranch_vccnz .LBB22_5077
; %bb.5067:
	s_cmp_gt_i32 s56, 14
	s_cbranch_scc0 .LBB22_5070
; %bb.5068:
	s_cmp_eq_u32 s56, 15
	s_cbranch_scc0 .LBB22_5073
; %bb.5069:
	global_load_u16 v3, v[0:1], off
	s_mov_b32 s0, 0
	s_mov_b32 s8, -1
	s_wait_loadcnt 0x0
	v_lshlrev_b32_e32 v3, 16, v3
	s_delay_alu instid0(VALU_DEP_1)
	v_cvt_i32_f32_e32 v7, v3
	s_branch .LBB22_5075
.LBB22_5070:
	s_mov_b32 s5, -1
	s_branch .LBB22_5074
.LBB22_5071:
	s_and_not1_saveexec_b32 s5, s5
	s_cbranch_execz .LBB22_5052
.LBB22_5072:
	v_cmp_ne_u16_e32 vcc_lo, 0, v3
	s_and_not1_b32 s8, s8, exec_lo
	s_and_b32 s9, vcc_lo, exec_lo
	s_delay_alu instid0(SALU_CYCLE_1)
	s_or_b32 s8, s8, s9
	s_or_b32 exec_lo, exec_lo, s5
	v_mov_b32_e32 v7, 0
	s_and_saveexec_b32 s5, s8
	s_cbranch_execnz .LBB22_5053
	s_branch .LBB22_5054
.LBB22_5073:
	s_mov_b32 s0, -1
.LBB22_5074:
                                        ; implicit-def: $vgpr7
.LBB22_5075:
	s_and_b32 vcc_lo, exec_lo, s5
	s_mov_b32 s5, 0
	s_cbranch_vccz .LBB22_5077
; %bb.5076:
	s_cmp_lg_u32 s56, 11
	s_mov_b32 s5, -1
	s_cselect_b32 s0, -1, 0
.LBB22_5077:
	s_delay_alu instid0(SALU_CYCLE_1)
	s_and_b32 vcc_lo, exec_lo, s0
	s_mov_b32 s23, s1
	s_cbranch_vccnz .LBB22_5142
; %bb.5078:
	s_and_not1_b32 vcc_lo, exec_lo, s5
	s_cbranch_vccnz .LBB22_5080
.LBB22_5079:
	global_load_u8 v3, v[0:1], off
	s_mov_b32 s8, -1
	s_wait_loadcnt 0x0
	v_cmp_ne_u16_e32 vcc_lo, 0, v3
	v_cndmask_b32_e64 v7, 0, 1, vcc_lo
.LBB22_5080:
	s_mov_b32 s0, 0
.LBB22_5081:
	s_delay_alu instid0(SALU_CYCLE_1)
	s_and_b32 vcc_lo, exec_lo, s0
	s_cbranch_vccz .LBB22_5130
; %bb.5082:
	s_cmp_lt_i32 s56, 5
	s_cbranch_scc1 .LBB22_5087
; %bb.5083:
	s_cmp_lt_i32 s56, 8
	s_cbranch_scc1 .LBB22_5088
	;; [unrolled: 3-line block ×3, first 2 shown]
; %bb.5085:
	s_cmp_gt_i32 s56, 9
	s_cbranch_scc0 .LBB22_5090
; %bb.5086:
	global_load_b64 v[10:11], v[0:1], off
	s_mov_b32 s0, 0
	s_wait_loadcnt 0x0
	v_cvt_i32_f64_e32 v7, v[10:11]
	s_branch .LBB22_5091
.LBB22_5087:
	s_mov_b32 s0, -1
                                        ; implicit-def: $vgpr7
	s_branch .LBB22_5109
.LBB22_5088:
	s_mov_b32 s0, -1
                                        ; implicit-def: $vgpr7
	s_branch .LBB22_5097
.LBB22_5089:
	s_mov_b32 s0, -1
                                        ; implicit-def: $vgpr7
	s_branch .LBB22_5094
.LBB22_5090:
	s_mov_b32 s0, -1
                                        ; implicit-def: $vgpr7
.LBB22_5091:
	s_delay_alu instid0(SALU_CYCLE_1)
	s_and_not1_b32 vcc_lo, exec_lo, s0
	s_cbranch_vccnz .LBB22_5093
; %bb.5092:
	global_load_b32 v3, v[0:1], off
	s_wait_loadcnt 0x0
	v_cvt_i32_f32_e32 v7, v3
.LBB22_5093:
	s_mov_b32 s0, 0
.LBB22_5094:
	s_delay_alu instid0(SALU_CYCLE_1)
	s_and_not1_b32 vcc_lo, exec_lo, s0
	s_cbranch_vccnz .LBB22_5096
; %bb.5095:
	global_load_b32 v3, v[0:1], off
	s_wait_loadcnt 0x0
	v_cvt_f32_f16_e32 v3, v3
	s_delay_alu instid0(VALU_DEP_1)
	v_cvt_i32_f32_e32 v7, v3
.LBB22_5096:
	s_mov_b32 s0, 0
.LBB22_5097:
	s_delay_alu instid0(SALU_CYCLE_1)
	s_and_not1_b32 vcc_lo, exec_lo, s0
	s_cbranch_vccnz .LBB22_5108
; %bb.5098:
	s_cmp_lt_i32 s56, 6
	s_cbranch_scc1 .LBB22_5101
; %bb.5099:
	s_cmp_gt_i32 s56, 6
	s_cbranch_scc0 .LBB22_5102
; %bb.5100:
	global_load_b64 v[10:11], v[0:1], off
	s_mov_b32 s0, 0
	s_wait_loadcnt 0x0
	v_cvt_i32_f64_e32 v7, v[10:11]
	s_branch .LBB22_5103
.LBB22_5101:
	s_mov_b32 s0, -1
                                        ; implicit-def: $vgpr7
	s_branch .LBB22_5106
.LBB22_5102:
	s_mov_b32 s0, -1
                                        ; implicit-def: $vgpr7
.LBB22_5103:
	s_delay_alu instid0(SALU_CYCLE_1)
	s_and_not1_b32 vcc_lo, exec_lo, s0
	s_cbranch_vccnz .LBB22_5105
; %bb.5104:
	global_load_b32 v3, v[0:1], off
	s_wait_loadcnt 0x0
	v_cvt_i32_f32_e32 v7, v3
.LBB22_5105:
	s_mov_b32 s0, 0
.LBB22_5106:
	s_delay_alu instid0(SALU_CYCLE_1)
	s_and_not1_b32 vcc_lo, exec_lo, s0
	s_cbranch_vccnz .LBB22_5108
; %bb.5107:
	global_load_u16 v3, v[0:1], off
	s_wait_loadcnt 0x0
	v_cvt_f32_f16_e32 v3, v3
	s_delay_alu instid0(VALU_DEP_1)
	v_cvt_i32_f32_e32 v7, v3
.LBB22_5108:
	s_mov_b32 s0, 0
.LBB22_5109:
	s_delay_alu instid0(SALU_CYCLE_1)
	s_and_not1_b32 vcc_lo, exec_lo, s0
	s_cbranch_vccnz .LBB22_5129
; %bb.5110:
	s_cmp_lt_i32 s56, 2
	s_cbranch_scc1 .LBB22_5114
; %bb.5111:
	s_cmp_lt_i32 s56, 3
	s_cbranch_scc1 .LBB22_5115
; %bb.5112:
	s_cmp_gt_i32 s56, 3
	s_cbranch_scc0 .LBB22_5116
; %bb.5113:
	s_wait_loadcnt 0x0
	global_load_b32 v7, v[0:1], off
	s_mov_b32 s0, 0
	s_branch .LBB22_5117
.LBB22_5114:
	s_mov_b32 s0, -1
                                        ; implicit-def: $vgpr7
	s_branch .LBB22_5123
.LBB22_5115:
	s_mov_b32 s0, -1
                                        ; implicit-def: $vgpr7
	s_branch .LBB22_5120
.LBB22_5116:
	s_mov_b32 s0, -1
                                        ; implicit-def: $vgpr7
.LBB22_5117:
	s_delay_alu instid0(SALU_CYCLE_1)
	s_and_not1_b32 vcc_lo, exec_lo, s0
	s_cbranch_vccnz .LBB22_5119
; %bb.5118:
	s_wait_loadcnt 0x0
	global_load_b32 v7, v[0:1], off
.LBB22_5119:
	s_mov_b32 s0, 0
.LBB22_5120:
	s_delay_alu instid0(SALU_CYCLE_1)
	s_and_not1_b32 vcc_lo, exec_lo, s0
	s_cbranch_vccnz .LBB22_5122
; %bb.5121:
	s_wait_loadcnt 0x0
	global_load_i16 v7, v[0:1], off
.LBB22_5122:
	s_mov_b32 s0, 0
.LBB22_5123:
	s_delay_alu instid0(SALU_CYCLE_1)
	s_and_not1_b32 vcc_lo, exec_lo, s0
	s_cbranch_vccnz .LBB22_5129
; %bb.5124:
	s_cmp_gt_i32 s56, 0
	s_mov_b32 s0, 0
	s_cbranch_scc0 .LBB22_5126
; %bb.5125:
	s_wait_loadcnt 0x0
	global_load_i8 v7, v[0:1], off
	s_branch .LBB22_5127
.LBB22_5126:
	s_mov_b32 s0, -1
                                        ; implicit-def: $vgpr7
.LBB22_5127:
	s_delay_alu instid0(SALU_CYCLE_1)
	s_and_not1_b32 vcc_lo, exec_lo, s0
	s_cbranch_vccnz .LBB22_5129
; %bb.5128:
	s_wait_loadcnt 0x0
	global_load_u8 v7, v[0:1], off
.LBB22_5129:
	s_mov_b32 s8, -1
.LBB22_5130:
	s_delay_alu instid0(SALU_CYCLE_1)
	s_and_not1_b32 vcc_lo, exec_lo, s8
	s_cbranch_vccnz .LBB22_5650
; %bb.5131:
	s_wait_xcnt 0x0
	v_add_nc_u32_e32 v0, s69, v2
	s_cmp_lt_i32 s57, 11
	s_delay_alu instid0(VALU_DEP_1) | instskip(NEXT) | instid1(VALU_DEP_1)
	v_ashrrev_i32_e32 v1, 31, v0
	v_add_nc_u64_e32 v[0:1], s[10:11], v[0:1]
	s_cbranch_scc1 .LBB22_5138
; %bb.5132:
	s_cmp_gt_i32 s57, 25
	s_mov_b32 s5, 0
	s_cbranch_scc0 .LBB22_5139
; %bb.5133:
	s_cmp_gt_i32 s57, 28
	s_cbranch_scc0 .LBB22_5140
; %bb.5134:
	s_cmp_gt_i32 s57, 43
	;; [unrolled: 3-line block ×3, first 2 shown]
	s_cbranch_scc0 .LBB22_5143
; %bb.5136:
	s_cmp_eq_u32 s57, 46
	s_mov_b32 s9, 0
	s_cbranch_scc0 .LBB22_5145
; %bb.5137:
	global_load_b32 v2, v[0:1], off
	s_mov_b32 s0, 0
	s_mov_b32 s8, -1
	s_wait_loadcnt 0x0
	v_lshlrev_b32_e32 v2, 16, v2
	s_delay_alu instid0(VALU_DEP_1)
	v_cvt_i32_f32_e32 v9, v2
	s_branch .LBB22_5147
.LBB22_5138:
	s_mov_b32 s0, -1
	s_mov_b32 s8, 0
                                        ; implicit-def: $vgpr9
	s_branch .LBB22_5209
.LBB22_5139:
	s_mov_b32 s9, -1
	s_mov_b32 s8, 0
	s_mov_b32 s0, 0
                                        ; implicit-def: $vgpr9
	s_branch .LBB22_5174
.LBB22_5140:
	s_mov_b32 s9, -1
	s_mov_b32 s8, 0
	s_mov_b32 s0, 0
                                        ; implicit-def: $vgpr9
	s_branch .LBB22_5157
.LBB22_5141:
	s_mov_b32 s9, -1
	s_mov_b32 s8, 0
	s_mov_b32 s0, 0
                                        ; implicit-def: $vgpr9
	s_branch .LBB22_5152
.LBB22_5142:
	s_or_b32 s23, s1, exec_lo
	s_trap 2
	s_cbranch_execz .LBB22_5079
	s_branch .LBB22_5080
.LBB22_5143:
	s_mov_b32 s9, -1
	s_mov_b32 s8, 0
	s_mov_b32 s0, 0
	s_branch .LBB22_5146
.LBB22_5144:
	s_or_b32 s55, s55, exec_lo
	s_trap 2
                                        ; implicit-def: $vgpr0
                                        ; implicit-def: $vgpr2
                                        ; implicit-def: $vgpr3
                                        ; implicit-def: $vgpr4
                                        ; implicit-def: $vgpr10
                                        ; implicit-def: $vgpr6
                                        ; implicit-def: $vgpr12
                                        ; implicit-def: $vgpr8
                                        ; implicit-def: $vgpr16
                                        ; implicit-def: $vgpr25
                                        ; implicit-def: $vgpr22
                                        ; implicit-def: $vgpr23
                                        ; implicit-def: $vgpr24
	s_branch .LBB22_4977
.LBB22_5145:
	s_mov_b32 s0, -1
	s_mov_b32 s8, 0
.LBB22_5146:
                                        ; implicit-def: $vgpr9
.LBB22_5147:
	s_and_b32 vcc_lo, exec_lo, s9
	s_cbranch_vccz .LBB22_5151
; %bb.5148:
	s_cmp_eq_u32 s57, 44
	s_cbranch_scc0 .LBB22_5150
; %bb.5149:
	global_load_u8 v2, v[0:1], off
	s_mov_b32 s0, 0
	s_mov_b32 s8, -1
	s_wait_loadcnt 0x0
	v_lshlrev_b32_e32 v3, 23, v2
	v_cmp_ne_u32_e32 vcc_lo, 0, v2
	s_delay_alu instid0(VALU_DEP_2) | instskip(NEXT) | instid1(VALU_DEP_1)
	v_cvt_i32_f32_e32 v3, v3
	v_cndmask_b32_e32 v9, 0, v3, vcc_lo
	s_branch .LBB22_5151
.LBB22_5150:
	s_mov_b32 s0, -1
                                        ; implicit-def: $vgpr9
.LBB22_5151:
	s_mov_b32 s9, 0
.LBB22_5152:
	s_delay_alu instid0(SALU_CYCLE_1)
	s_and_b32 vcc_lo, exec_lo, s9
	s_cbranch_vccz .LBB22_5156
; %bb.5153:
	s_cmp_eq_u32 s57, 29
	s_cbranch_scc0 .LBB22_5155
; %bb.5154:
	global_load_b32 v9, v[0:1], off
	s_mov_b32 s0, 0
	s_mov_b32 s8, -1
	s_branch .LBB22_5156
.LBB22_5155:
	s_mov_b32 s0, -1
                                        ; implicit-def: $vgpr9
.LBB22_5156:
	s_mov_b32 s9, 0
.LBB22_5157:
	s_delay_alu instid0(SALU_CYCLE_1)
	s_and_b32 vcc_lo, exec_lo, s9
	s_cbranch_vccz .LBB22_5173
; %bb.5158:
	s_cmp_lt_i32 s57, 27
	s_cbranch_scc1 .LBB22_5161
; %bb.5159:
	s_cmp_gt_i32 s57, 27
	s_cbranch_scc0 .LBB22_5162
; %bb.5160:
	s_wait_loadcnt 0x0
	global_load_b32 v9, v[0:1], off
	s_mov_b32 s8, 0
	s_branch .LBB22_5163
.LBB22_5161:
	s_mov_b32 s8, -1
                                        ; implicit-def: $vgpr9
	s_branch .LBB22_5166
.LBB22_5162:
	s_mov_b32 s8, -1
                                        ; implicit-def: $vgpr9
.LBB22_5163:
	s_delay_alu instid0(SALU_CYCLE_1)
	s_and_not1_b32 vcc_lo, exec_lo, s8
	s_cbranch_vccnz .LBB22_5165
; %bb.5164:
	s_wait_loadcnt 0x0
	global_load_u16 v9, v[0:1], off
.LBB22_5165:
	s_mov_b32 s8, 0
.LBB22_5166:
	s_delay_alu instid0(SALU_CYCLE_1)
	s_and_not1_b32 vcc_lo, exec_lo, s8
	s_cbranch_vccnz .LBB22_5172
; %bb.5167:
	global_load_u8 v2, v[0:1], off
	s_mov_b32 s9, 0
	s_mov_b32 s8, exec_lo
	s_wait_loadcnt 0x0
	v_cmpx_lt_i16_e32 0x7f, v2
	s_xor_b32 s8, exec_lo, s8
	s_cbranch_execz .LBB22_5184
; %bb.5168:
	v_cmp_ne_u16_e32 vcc_lo, 0x80, v2
	s_and_b32 s9, vcc_lo, exec_lo
	s_and_not1_saveexec_b32 s8, s8
	s_cbranch_execnz .LBB22_5185
.LBB22_5169:
	s_or_b32 exec_lo, exec_lo, s8
	v_mov_b32_e32 v9, 0
	s_and_saveexec_b32 s8, s9
	s_cbranch_execz .LBB22_5171
.LBB22_5170:
	v_and_b32_e32 v3, 0xffff, v2
	s_delay_alu instid0(VALU_DEP_1) | instskip(SKIP_1) | instid1(VALU_DEP_2)
	v_and_b32_e32 v5, 7, v3
	v_bfe_u32 v11, v3, 3, 4
	v_clz_i32_u32_e32 v9, v5
	s_delay_alu instid0(VALU_DEP_2) | instskip(NEXT) | instid1(VALU_DEP_2)
	v_cmp_eq_u32_e32 vcc_lo, 0, v11
	v_min_u32_e32 v9, 32, v9
	s_delay_alu instid0(VALU_DEP_1) | instskip(NEXT) | instid1(VALU_DEP_1)
	v_subrev_nc_u32_e32 v10, 28, v9
	v_dual_lshlrev_b32 v3, v10, v3 :: v_dual_sub_nc_u32 v9, 29, v9
	s_delay_alu instid0(VALU_DEP_1) | instskip(NEXT) | instid1(VALU_DEP_1)
	v_dual_lshlrev_b32 v2, 24, v2 :: v_dual_bitop2_b32 v3, 7, v3 bitop3:0x40
	v_dual_cndmask_b32 v9, v11, v9, vcc_lo :: v_dual_cndmask_b32 v3, v5, v3, vcc_lo
	s_delay_alu instid0(VALU_DEP_2) | instskip(NEXT) | instid1(VALU_DEP_2)
	v_and_b32_e32 v2, 0x80000000, v2
	v_lshl_add_u32 v5, v9, 23, 0x3b800000
	s_delay_alu instid0(VALU_DEP_3) | instskip(NEXT) | instid1(VALU_DEP_1)
	v_lshlrev_b32_e32 v3, 20, v3
	v_or3_b32 v2, v2, v5, v3
	s_delay_alu instid0(VALU_DEP_1)
	v_cvt_i32_f32_e32 v9, v2
.LBB22_5171:
	s_or_b32 exec_lo, exec_lo, s8
.LBB22_5172:
	s_mov_b32 s8, -1
.LBB22_5173:
	s_mov_b32 s9, 0
.LBB22_5174:
	s_delay_alu instid0(SALU_CYCLE_1)
	s_and_b32 vcc_lo, exec_lo, s9
	s_cbranch_vccz .LBB22_5205
; %bb.5175:
	s_cmp_gt_i32 s57, 22
	s_cbranch_scc0 .LBB22_5183
; %bb.5176:
	s_cmp_lt_i32 s57, 24
	s_cbranch_scc1 .LBB22_5186
; %bb.5177:
	s_cmp_gt_i32 s57, 24
	s_cbranch_scc0 .LBB22_5187
; %bb.5178:
	global_load_u8 v2, v[0:1], off
	s_mov_b32 s8, 0
	s_mov_b32 s5, exec_lo
	s_wait_loadcnt 0x0
	v_cmpx_lt_i16_e32 0x7f, v2
	s_xor_b32 s5, exec_lo, s5
	s_cbranch_execz .LBB22_5199
; %bb.5179:
	v_cmp_ne_u16_e32 vcc_lo, 0x80, v2
	s_and_b32 s8, vcc_lo, exec_lo
	s_and_not1_saveexec_b32 s5, s5
	s_cbranch_execnz .LBB22_5200
.LBB22_5180:
	s_or_b32 exec_lo, exec_lo, s5
	v_mov_b32_e32 v9, 0
	s_and_saveexec_b32 s5, s8
	s_cbranch_execz .LBB22_5182
.LBB22_5181:
	v_and_b32_e32 v3, 0xffff, v2
	s_delay_alu instid0(VALU_DEP_1) | instskip(SKIP_1) | instid1(VALU_DEP_2)
	v_and_b32_e32 v5, 3, v3
	v_bfe_u32 v11, v3, 2, 5
	v_clz_i32_u32_e32 v9, v5
	s_delay_alu instid0(VALU_DEP_2) | instskip(NEXT) | instid1(VALU_DEP_2)
	v_cmp_eq_u32_e32 vcc_lo, 0, v11
	v_min_u32_e32 v9, 32, v9
	s_delay_alu instid0(VALU_DEP_1) | instskip(NEXT) | instid1(VALU_DEP_1)
	v_subrev_nc_u32_e32 v10, 29, v9
	v_dual_lshlrev_b32 v3, v10, v3 :: v_dual_sub_nc_u32 v9, 30, v9
	s_delay_alu instid0(VALU_DEP_1) | instskip(NEXT) | instid1(VALU_DEP_1)
	v_dual_lshlrev_b32 v2, 24, v2 :: v_dual_bitop2_b32 v3, 3, v3 bitop3:0x40
	v_dual_cndmask_b32 v9, v11, v9, vcc_lo :: v_dual_cndmask_b32 v3, v5, v3, vcc_lo
	s_delay_alu instid0(VALU_DEP_2) | instskip(NEXT) | instid1(VALU_DEP_2)
	v_and_b32_e32 v2, 0x80000000, v2
	v_lshl_add_u32 v5, v9, 23, 0x37800000
	s_delay_alu instid0(VALU_DEP_3) | instskip(NEXT) | instid1(VALU_DEP_1)
	v_lshlrev_b32_e32 v3, 21, v3
	v_or3_b32 v2, v2, v5, v3
	s_delay_alu instid0(VALU_DEP_1)
	v_cvt_i32_f32_e32 v9, v2
.LBB22_5182:
	s_or_b32 exec_lo, exec_lo, s5
	s_mov_b32 s5, 0
	s_branch .LBB22_5188
.LBB22_5183:
	s_mov_b32 s5, -1
                                        ; implicit-def: $vgpr9
	s_branch .LBB22_5194
.LBB22_5184:
	s_and_not1_saveexec_b32 s8, s8
	s_cbranch_execz .LBB22_5169
.LBB22_5185:
	v_cmp_ne_u16_e32 vcc_lo, 0, v2
	s_and_not1_b32 s9, s9, exec_lo
	s_and_b32 s10, vcc_lo, exec_lo
	s_delay_alu instid0(SALU_CYCLE_1)
	s_or_b32 s9, s9, s10
	s_or_b32 exec_lo, exec_lo, s8
	v_mov_b32_e32 v9, 0
	s_and_saveexec_b32 s8, s9
	s_cbranch_execnz .LBB22_5170
	s_branch .LBB22_5171
.LBB22_5186:
	s_mov_b32 s5, -1
                                        ; implicit-def: $vgpr9
	s_branch .LBB22_5191
.LBB22_5187:
	s_mov_b32 s5, -1
                                        ; implicit-def: $vgpr9
.LBB22_5188:
	s_delay_alu instid0(SALU_CYCLE_1)
	s_and_b32 vcc_lo, exec_lo, s5
	s_cbranch_vccz .LBB22_5190
; %bb.5189:
	global_load_u8 v2, v[0:1], off
	s_wait_loadcnt 0x0
	v_lshlrev_b32_e32 v2, 24, v2
	s_delay_alu instid0(VALU_DEP_1) | instskip(NEXT) | instid1(VALU_DEP_1)
	v_and_b32_e32 v3, 0x7f000000, v2
	v_clz_i32_u32_e32 v5, v3
	v_cmp_ne_u32_e32 vcc_lo, 0, v3
	v_add_nc_u32_e32 v10, 0x1000000, v3
	s_delay_alu instid0(VALU_DEP_3) | instskip(NEXT) | instid1(VALU_DEP_1)
	v_min_u32_e32 v5, 32, v5
	v_sub_nc_u32_e64 v5, v5, 4 clamp
	s_delay_alu instid0(VALU_DEP_1) | instskip(NEXT) | instid1(VALU_DEP_1)
	v_dual_lshlrev_b32 v9, v5, v3 :: v_dual_lshlrev_b32 v5, 23, v5
	v_lshrrev_b32_e32 v9, 4, v9
	s_delay_alu instid0(VALU_DEP_1) | instskip(NEXT) | instid1(VALU_DEP_1)
	v_dual_sub_nc_u32 v5, v9, v5 :: v_dual_ashrrev_i32 v9, 8, v10
	v_add_nc_u32_e32 v5, 0x3c000000, v5
	s_delay_alu instid0(VALU_DEP_1) | instskip(NEXT) | instid1(VALU_DEP_1)
	v_and_or_b32 v5, 0x7f800000, v9, v5
	v_cndmask_b32_e32 v3, 0, v5, vcc_lo
	s_delay_alu instid0(VALU_DEP_1) | instskip(NEXT) | instid1(VALU_DEP_1)
	v_and_or_b32 v2, 0x80000000, v2, v3
	v_cvt_i32_f32_e32 v9, v2
.LBB22_5190:
	s_mov_b32 s5, 0
.LBB22_5191:
	s_delay_alu instid0(SALU_CYCLE_1)
	s_and_not1_b32 vcc_lo, exec_lo, s5
	s_cbranch_vccnz .LBB22_5193
; %bb.5192:
	global_load_u8 v2, v[0:1], off
	s_wait_loadcnt 0x0
	v_lshlrev_b32_e32 v3, 25, v2
	v_lshlrev_b16 v2, 8, v2
	s_delay_alu instid0(VALU_DEP_1) | instskip(SKIP_1) | instid1(VALU_DEP_2)
	v_and_or_b32 v9, 0x7f00, v2, 0.5
	v_bfe_i32 v2, v2, 0, 16
	v_dual_add_f32 v9, -0.5, v9 :: v_dual_lshrrev_b32 v5, 4, v3
	v_cmp_gt_u32_e32 vcc_lo, 0x8000000, v3
	s_delay_alu instid0(VALU_DEP_2) | instskip(NEXT) | instid1(VALU_DEP_1)
	v_or_b32_e32 v5, 0x70000000, v5
	v_mul_f32_e32 v5, 0x7800000, v5
	s_delay_alu instid0(VALU_DEP_1) | instskip(NEXT) | instid1(VALU_DEP_1)
	v_cndmask_b32_e32 v3, v5, v9, vcc_lo
	v_and_or_b32 v2, 0x80000000, v2, v3
	s_delay_alu instid0(VALU_DEP_1)
	v_cvt_i32_f32_e32 v9, v2
.LBB22_5193:
	s_mov_b32 s5, 0
	s_mov_b32 s8, -1
.LBB22_5194:
	s_and_not1_b32 vcc_lo, exec_lo, s5
	s_mov_b32 s5, 0
	s_cbranch_vccnz .LBB22_5205
; %bb.5195:
	s_cmp_gt_i32 s57, 14
	s_cbranch_scc0 .LBB22_5198
; %bb.5196:
	s_cmp_eq_u32 s57, 15
	s_cbranch_scc0 .LBB22_5201
; %bb.5197:
	global_load_u16 v2, v[0:1], off
	s_mov_b32 s0, 0
	s_mov_b32 s8, -1
	s_wait_loadcnt 0x0
	v_lshlrev_b32_e32 v2, 16, v2
	s_delay_alu instid0(VALU_DEP_1)
	v_cvt_i32_f32_e32 v9, v2
	s_branch .LBB22_5203
.LBB22_5198:
	s_mov_b32 s5, -1
	s_branch .LBB22_5202
.LBB22_5199:
	s_and_not1_saveexec_b32 s5, s5
	s_cbranch_execz .LBB22_5180
.LBB22_5200:
	v_cmp_ne_u16_e32 vcc_lo, 0, v2
	s_and_not1_b32 s8, s8, exec_lo
	s_and_b32 s9, vcc_lo, exec_lo
	s_delay_alu instid0(SALU_CYCLE_1)
	s_or_b32 s8, s8, s9
	s_or_b32 exec_lo, exec_lo, s5
	v_mov_b32_e32 v9, 0
	s_and_saveexec_b32 s5, s8
	s_cbranch_execnz .LBB22_5181
	s_branch .LBB22_5182
.LBB22_5201:
	s_mov_b32 s0, -1
.LBB22_5202:
                                        ; implicit-def: $vgpr9
.LBB22_5203:
	s_and_b32 vcc_lo, exec_lo, s5
	s_mov_b32 s5, 0
	s_cbranch_vccz .LBB22_5205
; %bb.5204:
	s_cmp_lg_u32 s57, 11
	s_mov_b32 s5, -1
	s_cselect_b32 s0, -1, 0
.LBB22_5205:
	s_delay_alu instid0(SALU_CYCLE_1)
	s_and_b32 vcc_lo, exec_lo, s0
	s_cbranch_vccnz .LBB22_5270
; %bb.5206:
	s_and_not1_b32 vcc_lo, exec_lo, s5
	s_cbranch_vccnz .LBB22_5208
.LBB22_5207:
	global_load_u8 v2, v[0:1], off
	s_mov_b32 s8, -1
	s_wait_loadcnt 0x0
	v_cmp_ne_u16_e32 vcc_lo, 0, v2
	v_cndmask_b32_e64 v9, 0, 1, vcc_lo
.LBB22_5208:
	s_mov_b32 s0, 0
.LBB22_5209:
	s_delay_alu instid0(SALU_CYCLE_1)
	s_and_b32 vcc_lo, exec_lo, s0
	s_cbranch_vccz .LBB22_5258
; %bb.5210:
	s_cmp_lt_i32 s57, 5
	s_cbranch_scc1 .LBB22_5215
; %bb.5211:
	s_cmp_lt_i32 s57, 8
	s_cbranch_scc1 .LBB22_5216
	;; [unrolled: 3-line block ×3, first 2 shown]
; %bb.5213:
	s_cmp_gt_i32 s57, 9
	s_cbranch_scc0 .LBB22_5218
; %bb.5214:
	global_load_b64 v[2:3], v[0:1], off
	s_mov_b32 s0, 0
	s_wait_loadcnt 0x0
	v_cvt_i32_f64_e32 v9, v[2:3]
	s_branch .LBB22_5219
.LBB22_5215:
	s_mov_b32 s0, -1
                                        ; implicit-def: $vgpr9
	s_branch .LBB22_5237
.LBB22_5216:
	s_mov_b32 s0, -1
                                        ; implicit-def: $vgpr9
	s_branch .LBB22_5225
.LBB22_5217:
	s_mov_b32 s0, -1
                                        ; implicit-def: $vgpr9
	s_branch .LBB22_5222
.LBB22_5218:
	s_mov_b32 s0, -1
                                        ; implicit-def: $vgpr9
.LBB22_5219:
	s_delay_alu instid0(SALU_CYCLE_1)
	s_and_not1_b32 vcc_lo, exec_lo, s0
	s_cbranch_vccnz .LBB22_5221
; %bb.5220:
	global_load_b32 v2, v[0:1], off
	s_wait_loadcnt 0x0
	v_cvt_i32_f32_e32 v9, v2
.LBB22_5221:
	s_mov_b32 s0, 0
.LBB22_5222:
	s_delay_alu instid0(SALU_CYCLE_1)
	s_and_not1_b32 vcc_lo, exec_lo, s0
	s_cbranch_vccnz .LBB22_5224
; %bb.5223:
	global_load_b32 v2, v[0:1], off
	s_wait_loadcnt 0x0
	v_cvt_f32_f16_e32 v2, v2
	s_delay_alu instid0(VALU_DEP_1)
	v_cvt_i32_f32_e32 v9, v2
.LBB22_5224:
	s_mov_b32 s0, 0
.LBB22_5225:
	s_delay_alu instid0(SALU_CYCLE_1)
	s_and_not1_b32 vcc_lo, exec_lo, s0
	s_cbranch_vccnz .LBB22_5236
; %bb.5226:
	s_cmp_lt_i32 s57, 6
	s_cbranch_scc1 .LBB22_5229
; %bb.5227:
	s_cmp_gt_i32 s57, 6
	s_cbranch_scc0 .LBB22_5230
; %bb.5228:
	global_load_b64 v[2:3], v[0:1], off
	s_mov_b32 s0, 0
	s_wait_loadcnt 0x0
	v_cvt_i32_f64_e32 v9, v[2:3]
	s_branch .LBB22_5231
.LBB22_5229:
	s_mov_b32 s0, -1
                                        ; implicit-def: $vgpr9
	s_branch .LBB22_5234
.LBB22_5230:
	s_mov_b32 s0, -1
                                        ; implicit-def: $vgpr9
.LBB22_5231:
	s_delay_alu instid0(SALU_CYCLE_1)
	s_and_not1_b32 vcc_lo, exec_lo, s0
	s_cbranch_vccnz .LBB22_5233
; %bb.5232:
	global_load_b32 v2, v[0:1], off
	s_wait_loadcnt 0x0
	v_cvt_i32_f32_e32 v9, v2
.LBB22_5233:
	s_mov_b32 s0, 0
.LBB22_5234:
	s_delay_alu instid0(SALU_CYCLE_1)
	s_and_not1_b32 vcc_lo, exec_lo, s0
	s_cbranch_vccnz .LBB22_5236
; %bb.5235:
	global_load_u16 v2, v[0:1], off
	s_wait_loadcnt 0x0
	v_cvt_f32_f16_e32 v2, v2
	s_delay_alu instid0(VALU_DEP_1)
	v_cvt_i32_f32_e32 v9, v2
.LBB22_5236:
	s_mov_b32 s0, 0
.LBB22_5237:
	s_delay_alu instid0(SALU_CYCLE_1)
	s_and_not1_b32 vcc_lo, exec_lo, s0
	s_cbranch_vccnz .LBB22_5257
; %bb.5238:
	s_cmp_lt_i32 s57, 2
	s_cbranch_scc1 .LBB22_5242
; %bb.5239:
	s_cmp_lt_i32 s57, 3
	s_cbranch_scc1 .LBB22_5243
; %bb.5240:
	s_cmp_gt_i32 s57, 3
	s_cbranch_scc0 .LBB22_5244
; %bb.5241:
	s_wait_loadcnt 0x0
	global_load_b32 v9, v[0:1], off
	s_mov_b32 s0, 0
	s_branch .LBB22_5245
.LBB22_5242:
	s_mov_b32 s0, -1
                                        ; implicit-def: $vgpr9
	s_branch .LBB22_5251
.LBB22_5243:
	s_mov_b32 s0, -1
                                        ; implicit-def: $vgpr9
	s_branch .LBB22_5248
.LBB22_5244:
	s_mov_b32 s0, -1
                                        ; implicit-def: $vgpr9
.LBB22_5245:
	s_delay_alu instid0(SALU_CYCLE_1)
	s_and_not1_b32 vcc_lo, exec_lo, s0
	s_cbranch_vccnz .LBB22_5247
; %bb.5246:
	s_wait_loadcnt 0x0
	global_load_b32 v9, v[0:1], off
.LBB22_5247:
	s_mov_b32 s0, 0
.LBB22_5248:
	s_delay_alu instid0(SALU_CYCLE_1)
	s_and_not1_b32 vcc_lo, exec_lo, s0
	s_cbranch_vccnz .LBB22_5250
; %bb.5249:
	s_wait_loadcnt 0x0
	global_load_i16 v9, v[0:1], off
.LBB22_5250:
	s_mov_b32 s0, 0
.LBB22_5251:
	s_delay_alu instid0(SALU_CYCLE_1)
	s_and_not1_b32 vcc_lo, exec_lo, s0
	s_cbranch_vccnz .LBB22_5257
; %bb.5252:
	s_cmp_gt_i32 s57, 0
	s_mov_b32 s0, 0
	s_cbranch_scc0 .LBB22_5254
; %bb.5253:
	s_wait_loadcnt 0x0
	global_load_i8 v9, v[0:1], off
	s_branch .LBB22_5255
.LBB22_5254:
	s_mov_b32 s0, -1
                                        ; implicit-def: $vgpr9
.LBB22_5255:
	s_delay_alu instid0(SALU_CYCLE_1)
	s_and_not1_b32 vcc_lo, exec_lo, s0
	s_cbranch_vccnz .LBB22_5257
; %bb.5256:
	s_wait_loadcnt 0x0
	global_load_u8 v9, v[0:1], off
.LBB22_5257:
	s_mov_b32 s8, -1
.LBB22_5258:
	s_delay_alu instid0(SALU_CYCLE_1)
	s_and_not1_b32 vcc_lo, exec_lo, s8
	s_cbranch_vccnz .LBB22_5650
; %bb.5259:
	s_wait_xcnt 0x0
	v_add_nc_u32_e32 v0, s70, v4
	s_cmp_lt_i32 s58, 11
	s_delay_alu instid0(VALU_DEP_1) | instskip(NEXT) | instid1(VALU_DEP_1)
	v_ashrrev_i32_e32 v1, 31, v0
	v_add_nc_u64_e32 v[2:3], s[12:13], v[0:1]
	s_cbranch_scc1 .LBB22_5266
; %bb.5260:
	s_cmp_gt_i32 s58, 25
	s_mov_b32 s5, 0
	s_cbranch_scc0 .LBB22_5267
; %bb.5261:
	s_cmp_gt_i32 s58, 28
	s_cbranch_scc0 .LBB22_5268
; %bb.5262:
	s_cmp_gt_i32 s58, 43
	;; [unrolled: 3-line block ×3, first 2 shown]
	s_cbranch_scc0 .LBB22_5271
; %bb.5264:
	s_cmp_eq_u32 s58, 46
	s_mov_b32 s9, 0
	s_cbranch_scc0 .LBB22_5273
; %bb.5265:
	global_load_b32 v0, v[2:3], off
	s_mov_b32 s0, 0
	s_mov_b32 s8, -1
	s_wait_loadcnt 0x0
	v_lshlrev_b32_e32 v0, 16, v0
	s_delay_alu instid0(VALU_DEP_1)
	v_cvt_i32_f32_e32 v0, v0
	s_branch .LBB22_5275
.LBB22_5266:
	s_mov_b32 s0, -1
	s_mov_b32 s8, 0
                                        ; implicit-def: $vgpr0
	s_branch .LBB22_5337
.LBB22_5267:
	s_mov_b32 s9, -1
	s_mov_b32 s8, 0
	s_mov_b32 s0, 0
                                        ; implicit-def: $vgpr0
	s_branch .LBB22_5302
.LBB22_5268:
	s_mov_b32 s9, -1
	s_mov_b32 s8, 0
	s_mov_b32 s0, 0
                                        ; implicit-def: $vgpr0
	s_branch .LBB22_5285
.LBB22_5269:
	s_mov_b32 s9, -1
	s_mov_b32 s8, 0
	s_mov_b32 s0, 0
                                        ; implicit-def: $vgpr0
	s_branch .LBB22_5280
.LBB22_5270:
	s_or_b32 s23, s23, exec_lo
	s_trap 2
	s_cbranch_execz .LBB22_5207
	s_branch .LBB22_5208
.LBB22_5271:
	s_mov_b32 s9, -1
	s_mov_b32 s8, 0
	s_mov_b32 s0, 0
	s_branch .LBB22_5274
.LBB22_5272:
	s_or_b32 s62, s55, exec_lo
	s_trap 2
                                        ; implicit-def: $vgpr0
                                        ; implicit-def: $vgpr2
                                        ; implicit-def: $vgpr4
                                        ; implicit-def: $vgpr10
                                        ; implicit-def: $vgpr6
                                        ; implicit-def: $vgpr12
                                        ; implicit-def: $vgpr8
                                        ; implicit-def: $vgpr16
                                        ; implicit-def: $vgpr25
                                        ; implicit-def: $vgpr22
                                        ; implicit-def: $vgpr23
                                        ; implicit-def: $vgpr24
	s_or_saveexec_b32 s65, s0
                                        ; implicit-def: $vgpr14_vgpr15
                                        ; implicit-def: $sgpr0
	s_delay_alu instid0(SALU_CYCLE_1)
	s_xor_b32 exec_lo, exec_lo, s65
	s_cbranch_execz .LBB22_5654
	s_branch .LBB22_4980
.LBB22_5273:
	s_mov_b32 s0, -1
	s_mov_b32 s8, 0
.LBB22_5274:
                                        ; implicit-def: $vgpr0
.LBB22_5275:
	s_and_b32 vcc_lo, exec_lo, s9
	s_cbranch_vccz .LBB22_5279
; %bb.5276:
	s_cmp_eq_u32 s58, 44
	s_cbranch_scc0 .LBB22_5278
; %bb.5277:
	global_load_u8 v0, v[2:3], off
	s_mov_b32 s0, 0
	s_mov_b32 s8, -1
	s_wait_loadcnt 0x0
	v_lshlrev_b32_e32 v1, 23, v0
	v_cmp_ne_u32_e32 vcc_lo, 0, v0
	s_delay_alu instid0(VALU_DEP_2) | instskip(NEXT) | instid1(VALU_DEP_1)
	v_cvt_i32_f32_e32 v1, v1
	v_cndmask_b32_e32 v0, 0, v1, vcc_lo
	s_branch .LBB22_5279
.LBB22_5278:
	s_mov_b32 s0, -1
                                        ; implicit-def: $vgpr0
.LBB22_5279:
	s_mov_b32 s9, 0
.LBB22_5280:
	s_delay_alu instid0(SALU_CYCLE_1)
	s_and_b32 vcc_lo, exec_lo, s9
	s_cbranch_vccz .LBB22_5284
; %bb.5281:
	s_cmp_eq_u32 s58, 29
	s_cbranch_scc0 .LBB22_5283
; %bb.5282:
	global_load_b32 v0, v[2:3], off
	s_mov_b32 s0, 0
	s_mov_b32 s8, -1
	s_branch .LBB22_5284
.LBB22_5283:
	s_mov_b32 s0, -1
                                        ; implicit-def: $vgpr0
.LBB22_5284:
	s_mov_b32 s9, 0
.LBB22_5285:
	s_delay_alu instid0(SALU_CYCLE_1)
	s_and_b32 vcc_lo, exec_lo, s9
	s_cbranch_vccz .LBB22_5301
; %bb.5286:
	s_cmp_lt_i32 s58, 27
	s_cbranch_scc1 .LBB22_5289
; %bb.5287:
	s_cmp_gt_i32 s58, 27
	s_cbranch_scc0 .LBB22_5290
; %bb.5288:
	s_wait_loadcnt 0x0
	global_load_b32 v0, v[2:3], off
	s_mov_b32 s8, 0
	s_branch .LBB22_5291
.LBB22_5289:
	s_mov_b32 s8, -1
                                        ; implicit-def: $vgpr0
	s_branch .LBB22_5294
.LBB22_5290:
	s_mov_b32 s8, -1
                                        ; implicit-def: $vgpr0
.LBB22_5291:
	s_delay_alu instid0(SALU_CYCLE_1)
	s_and_not1_b32 vcc_lo, exec_lo, s8
	s_cbranch_vccnz .LBB22_5293
; %bb.5292:
	s_wait_loadcnt 0x0
	global_load_u16 v0, v[2:3], off
.LBB22_5293:
	s_mov_b32 s8, 0
.LBB22_5294:
	s_delay_alu instid0(SALU_CYCLE_1)
	s_and_not1_b32 vcc_lo, exec_lo, s8
	s_cbranch_vccnz .LBB22_5300
; %bb.5295:
	global_load_u8 v1, v[2:3], off
	s_mov_b32 s9, 0
	s_mov_b32 s8, exec_lo
	s_wait_loadcnt 0x0
	v_cmpx_lt_i16_e32 0x7f, v1
	s_xor_b32 s8, exec_lo, s8
	s_cbranch_execz .LBB22_5312
; %bb.5296:
	v_cmp_ne_u16_e32 vcc_lo, 0x80, v1
	s_and_b32 s9, vcc_lo, exec_lo
	s_and_not1_saveexec_b32 s8, s8
	s_cbranch_execnz .LBB22_5313
.LBB22_5297:
	s_or_b32 exec_lo, exec_lo, s8
	v_mov_b32_e32 v0, 0
	s_and_saveexec_b32 s8, s9
	s_cbranch_execz .LBB22_5299
.LBB22_5298:
	v_and_b32_e32 v0, 0xffff, v1
	s_delay_alu instid0(VALU_DEP_1) | instskip(SKIP_1) | instid1(VALU_DEP_2)
	v_and_b32_e32 v4, 7, v0
	v_bfe_u32 v11, v0, 3, 4
	v_clz_i32_u32_e32 v5, v4
	s_delay_alu instid0(VALU_DEP_2) | instskip(NEXT) | instid1(VALU_DEP_2)
	v_cmp_eq_u32_e32 vcc_lo, 0, v11
	v_min_u32_e32 v5, 32, v5
	s_delay_alu instid0(VALU_DEP_1) | instskip(NEXT) | instid1(VALU_DEP_1)
	v_subrev_nc_u32_e32 v10, 28, v5
	v_dual_lshlrev_b32 v0, v10, v0 :: v_dual_sub_nc_u32 v5, 29, v5
	s_delay_alu instid0(VALU_DEP_1) | instskip(NEXT) | instid1(VALU_DEP_1)
	v_dual_lshlrev_b32 v1, 24, v1 :: v_dual_bitop2_b32 v0, 7, v0 bitop3:0x40
	v_dual_cndmask_b32 v0, v4, v0 :: v_dual_cndmask_b32 v5, v11, v5
	s_delay_alu instid0(VALU_DEP_2) | instskip(NEXT) | instid1(VALU_DEP_2)
	v_and_b32_e32 v1, 0x80000000, v1
	v_lshlrev_b32_e32 v0, 20, v0
	s_delay_alu instid0(VALU_DEP_3) | instskip(NEXT) | instid1(VALU_DEP_1)
	v_lshl_add_u32 v4, v5, 23, 0x3b800000
	v_or3_b32 v0, v1, v4, v0
	s_delay_alu instid0(VALU_DEP_1)
	v_cvt_i32_f32_e32 v0, v0
.LBB22_5299:
	s_or_b32 exec_lo, exec_lo, s8
.LBB22_5300:
	s_mov_b32 s8, -1
.LBB22_5301:
	s_mov_b32 s9, 0
.LBB22_5302:
	s_delay_alu instid0(SALU_CYCLE_1)
	s_and_b32 vcc_lo, exec_lo, s9
	s_cbranch_vccz .LBB22_5333
; %bb.5303:
	s_cmp_gt_i32 s58, 22
	s_cbranch_scc0 .LBB22_5311
; %bb.5304:
	s_cmp_lt_i32 s58, 24
	s_cbranch_scc1 .LBB22_5314
; %bb.5305:
	s_cmp_gt_i32 s58, 24
	s_cbranch_scc0 .LBB22_5315
; %bb.5306:
	global_load_u8 v1, v[2:3], off
	s_mov_b32 s8, 0
	s_mov_b32 s5, exec_lo
	s_wait_loadcnt 0x0
	v_cmpx_lt_i16_e32 0x7f, v1
	s_xor_b32 s5, exec_lo, s5
	s_cbranch_execz .LBB22_5327
; %bb.5307:
	v_cmp_ne_u16_e32 vcc_lo, 0x80, v1
	s_and_b32 s8, vcc_lo, exec_lo
	s_and_not1_saveexec_b32 s5, s5
	s_cbranch_execnz .LBB22_5328
.LBB22_5308:
	s_or_b32 exec_lo, exec_lo, s5
	v_mov_b32_e32 v0, 0
	s_and_saveexec_b32 s5, s8
	s_cbranch_execz .LBB22_5310
.LBB22_5309:
	v_and_b32_e32 v0, 0xffff, v1
	s_delay_alu instid0(VALU_DEP_1) | instskip(SKIP_1) | instid1(VALU_DEP_2)
	v_and_b32_e32 v4, 3, v0
	v_bfe_u32 v11, v0, 2, 5
	v_clz_i32_u32_e32 v5, v4
	s_delay_alu instid0(VALU_DEP_2) | instskip(NEXT) | instid1(VALU_DEP_2)
	v_cmp_eq_u32_e32 vcc_lo, 0, v11
	v_min_u32_e32 v5, 32, v5
	s_delay_alu instid0(VALU_DEP_1) | instskip(NEXT) | instid1(VALU_DEP_1)
	v_subrev_nc_u32_e32 v10, 29, v5
	v_dual_lshlrev_b32 v0, v10, v0 :: v_dual_sub_nc_u32 v5, 30, v5
	s_delay_alu instid0(VALU_DEP_1) | instskip(NEXT) | instid1(VALU_DEP_1)
	v_dual_lshlrev_b32 v1, 24, v1 :: v_dual_bitop2_b32 v0, 3, v0 bitop3:0x40
	v_dual_cndmask_b32 v0, v4, v0 :: v_dual_cndmask_b32 v5, v11, v5
	s_delay_alu instid0(VALU_DEP_2) | instskip(NEXT) | instid1(VALU_DEP_2)
	v_and_b32_e32 v1, 0x80000000, v1
	v_lshlrev_b32_e32 v0, 21, v0
	s_delay_alu instid0(VALU_DEP_3) | instskip(NEXT) | instid1(VALU_DEP_1)
	v_lshl_add_u32 v4, v5, 23, 0x37800000
	v_or3_b32 v0, v1, v4, v0
	s_delay_alu instid0(VALU_DEP_1)
	v_cvt_i32_f32_e32 v0, v0
.LBB22_5310:
	s_or_b32 exec_lo, exec_lo, s5
	s_mov_b32 s5, 0
	s_branch .LBB22_5316
.LBB22_5311:
	s_mov_b32 s5, -1
                                        ; implicit-def: $vgpr0
	s_branch .LBB22_5322
.LBB22_5312:
	s_and_not1_saveexec_b32 s8, s8
	s_cbranch_execz .LBB22_5297
.LBB22_5313:
	v_cmp_ne_u16_e32 vcc_lo, 0, v1
	s_and_not1_b32 s9, s9, exec_lo
	s_and_b32 s10, vcc_lo, exec_lo
	s_delay_alu instid0(SALU_CYCLE_1)
	s_or_b32 s9, s9, s10
	s_or_b32 exec_lo, exec_lo, s8
	v_mov_b32_e32 v0, 0
	s_and_saveexec_b32 s8, s9
	s_cbranch_execnz .LBB22_5298
	s_branch .LBB22_5299
.LBB22_5314:
	s_mov_b32 s5, -1
                                        ; implicit-def: $vgpr0
	s_branch .LBB22_5319
.LBB22_5315:
	s_mov_b32 s5, -1
                                        ; implicit-def: $vgpr0
.LBB22_5316:
	s_delay_alu instid0(SALU_CYCLE_1)
	s_and_b32 vcc_lo, exec_lo, s5
	s_cbranch_vccz .LBB22_5318
; %bb.5317:
	s_wait_loadcnt 0x0
	global_load_u8 v0, v[2:3], off
	s_wait_loadcnt 0x0
	v_lshlrev_b32_e32 v0, 24, v0
	s_delay_alu instid0(VALU_DEP_1) | instskip(NEXT) | instid1(VALU_DEP_1)
	v_and_b32_e32 v1, 0x7f000000, v0
	v_clz_i32_u32_e32 v4, v1
	v_cmp_ne_u32_e32 vcc_lo, 0, v1
	v_add_nc_u32_e32 v10, 0x1000000, v1
	s_delay_alu instid0(VALU_DEP_3) | instskip(NEXT) | instid1(VALU_DEP_1)
	v_min_u32_e32 v4, 32, v4
	v_sub_nc_u32_e64 v4, v4, 4 clamp
	s_delay_alu instid0(VALU_DEP_1) | instskip(NEXT) | instid1(VALU_DEP_1)
	v_dual_lshlrev_b32 v5, v4, v1 :: v_dual_lshlrev_b32 v4, 23, v4
	v_lshrrev_b32_e32 v5, 4, v5
	s_delay_alu instid0(VALU_DEP_1) | instskip(NEXT) | instid1(VALU_DEP_1)
	v_dual_sub_nc_u32 v4, v5, v4 :: v_dual_ashrrev_i32 v5, 8, v10
	v_add_nc_u32_e32 v4, 0x3c000000, v4
	s_delay_alu instid0(VALU_DEP_1) | instskip(NEXT) | instid1(VALU_DEP_1)
	v_and_or_b32 v4, 0x7f800000, v5, v4
	v_cndmask_b32_e32 v1, 0, v4, vcc_lo
	s_delay_alu instid0(VALU_DEP_1) | instskip(NEXT) | instid1(VALU_DEP_1)
	v_and_or_b32 v0, 0x80000000, v0, v1
	v_cvt_i32_f32_e32 v0, v0
.LBB22_5318:
	s_mov_b32 s5, 0
.LBB22_5319:
	s_delay_alu instid0(SALU_CYCLE_1)
	s_and_not1_b32 vcc_lo, exec_lo, s5
	s_cbranch_vccnz .LBB22_5321
; %bb.5320:
	s_wait_loadcnt 0x0
	global_load_u8 v0, v[2:3], off
	s_wait_loadcnt 0x0
	v_lshlrev_b32_e32 v1, 25, v0
	v_lshlrev_b16 v0, 8, v0
	s_delay_alu instid0(VALU_DEP_1) | instskip(SKIP_1) | instid1(VALU_DEP_2)
	v_and_or_b32 v5, 0x7f00, v0, 0.5
	v_bfe_i32 v0, v0, 0, 16
	v_add_f32_e32 v5, -0.5, v5
	v_lshrrev_b32_e32 v4, 4, v1
	v_cmp_gt_u32_e32 vcc_lo, 0x8000000, v1
	s_delay_alu instid0(VALU_DEP_2) | instskip(NEXT) | instid1(VALU_DEP_1)
	v_or_b32_e32 v4, 0x70000000, v4
	v_mul_f32_e32 v4, 0x7800000, v4
	s_delay_alu instid0(VALU_DEP_1) | instskip(NEXT) | instid1(VALU_DEP_1)
	v_cndmask_b32_e32 v1, v4, v5, vcc_lo
	v_and_or_b32 v0, 0x80000000, v0, v1
	s_delay_alu instid0(VALU_DEP_1)
	v_cvt_i32_f32_e32 v0, v0
.LBB22_5321:
	s_mov_b32 s5, 0
	s_mov_b32 s8, -1
.LBB22_5322:
	s_and_not1_b32 vcc_lo, exec_lo, s5
	s_mov_b32 s5, 0
	s_cbranch_vccnz .LBB22_5333
; %bb.5323:
	s_cmp_gt_i32 s58, 14
	s_cbranch_scc0 .LBB22_5326
; %bb.5324:
	s_cmp_eq_u32 s58, 15
	s_cbranch_scc0 .LBB22_5329
; %bb.5325:
	s_wait_loadcnt 0x0
	global_load_u16 v0, v[2:3], off
	s_mov_b32 s0, 0
	s_mov_b32 s8, -1
	s_wait_loadcnt 0x0
	v_lshlrev_b32_e32 v0, 16, v0
	s_delay_alu instid0(VALU_DEP_1)
	v_cvt_i32_f32_e32 v0, v0
	s_branch .LBB22_5331
.LBB22_5326:
	s_mov_b32 s5, -1
	s_branch .LBB22_5330
.LBB22_5327:
	s_and_not1_saveexec_b32 s5, s5
	s_cbranch_execz .LBB22_5308
.LBB22_5328:
	v_cmp_ne_u16_e32 vcc_lo, 0, v1
	s_and_not1_b32 s8, s8, exec_lo
	s_and_b32 s9, vcc_lo, exec_lo
	s_delay_alu instid0(SALU_CYCLE_1)
	s_or_b32 s8, s8, s9
	s_or_b32 exec_lo, exec_lo, s5
	v_mov_b32_e32 v0, 0
	s_and_saveexec_b32 s5, s8
	s_cbranch_execnz .LBB22_5309
	s_branch .LBB22_5310
.LBB22_5329:
	s_mov_b32 s0, -1
.LBB22_5330:
                                        ; implicit-def: $vgpr0
.LBB22_5331:
	s_and_b32 vcc_lo, exec_lo, s5
	s_mov_b32 s5, 0
	s_cbranch_vccz .LBB22_5333
; %bb.5332:
	s_cmp_lg_u32 s58, 11
	s_mov_b32 s5, -1
	s_cselect_b32 s0, -1, 0
.LBB22_5333:
	s_delay_alu instid0(SALU_CYCLE_1)
	s_and_b32 vcc_lo, exec_lo, s0
	s_cbranch_vccnz .LBB22_5398
; %bb.5334:
	s_and_not1_b32 vcc_lo, exec_lo, s5
	s_cbranch_vccnz .LBB22_5336
.LBB22_5335:
	s_wait_loadcnt 0x0
	global_load_u8 v0, v[2:3], off
	s_mov_b32 s8, -1
	s_wait_loadcnt 0x0
	v_cmp_ne_u16_e32 vcc_lo, 0, v0
	v_cndmask_b32_e64 v0, 0, 1, vcc_lo
.LBB22_5336:
	s_mov_b32 s0, 0
.LBB22_5337:
	s_delay_alu instid0(SALU_CYCLE_1)
	s_and_b32 vcc_lo, exec_lo, s0
	s_cbranch_vccz .LBB22_5386
; %bb.5338:
	s_cmp_lt_i32 s58, 5
	s_cbranch_scc1 .LBB22_5343
; %bb.5339:
	s_cmp_lt_i32 s58, 8
	s_cbranch_scc1 .LBB22_5344
	;; [unrolled: 3-line block ×3, first 2 shown]
; %bb.5341:
	s_cmp_gt_i32 s58, 9
	s_cbranch_scc0 .LBB22_5346
; %bb.5342:
	s_wait_loadcnt 0x0
	global_load_b64 v[0:1], v[2:3], off
	s_mov_b32 s0, 0
	s_wait_loadcnt 0x0
	v_cvt_i32_f64_e32 v0, v[0:1]
	s_branch .LBB22_5347
.LBB22_5343:
	s_mov_b32 s0, -1
                                        ; implicit-def: $vgpr0
	s_branch .LBB22_5365
.LBB22_5344:
	s_mov_b32 s0, -1
                                        ; implicit-def: $vgpr0
	s_branch .LBB22_5353
.LBB22_5345:
	s_mov_b32 s0, -1
                                        ; implicit-def: $vgpr0
	s_branch .LBB22_5350
.LBB22_5346:
	s_mov_b32 s0, -1
                                        ; implicit-def: $vgpr0
.LBB22_5347:
	s_delay_alu instid0(SALU_CYCLE_1)
	s_and_not1_b32 vcc_lo, exec_lo, s0
	s_cbranch_vccnz .LBB22_5349
; %bb.5348:
	s_wait_loadcnt 0x0
	global_load_b32 v0, v[2:3], off
	s_wait_loadcnt 0x0
	v_cvt_i32_f32_e32 v0, v0
.LBB22_5349:
	s_mov_b32 s0, 0
.LBB22_5350:
	s_delay_alu instid0(SALU_CYCLE_1)
	s_and_not1_b32 vcc_lo, exec_lo, s0
	s_cbranch_vccnz .LBB22_5352
; %bb.5351:
	s_wait_loadcnt 0x0
	global_load_b32 v0, v[2:3], off
	s_wait_loadcnt 0x0
	v_cvt_f32_f16_e32 v0, v0
	s_delay_alu instid0(VALU_DEP_1)
	v_cvt_i32_f32_e32 v0, v0
.LBB22_5352:
	s_mov_b32 s0, 0
.LBB22_5353:
	s_delay_alu instid0(SALU_CYCLE_1)
	s_and_not1_b32 vcc_lo, exec_lo, s0
	s_cbranch_vccnz .LBB22_5364
; %bb.5354:
	s_cmp_lt_i32 s58, 6
	s_cbranch_scc1 .LBB22_5357
; %bb.5355:
	s_cmp_gt_i32 s58, 6
	s_cbranch_scc0 .LBB22_5358
; %bb.5356:
	s_wait_loadcnt 0x0
	global_load_b64 v[0:1], v[2:3], off
	s_mov_b32 s0, 0
	s_wait_loadcnt 0x0
	v_cvt_i32_f64_e32 v0, v[0:1]
	s_branch .LBB22_5359
.LBB22_5357:
	s_mov_b32 s0, -1
                                        ; implicit-def: $vgpr0
	s_branch .LBB22_5362
.LBB22_5358:
	s_mov_b32 s0, -1
                                        ; implicit-def: $vgpr0
.LBB22_5359:
	s_delay_alu instid0(SALU_CYCLE_1)
	s_and_not1_b32 vcc_lo, exec_lo, s0
	s_cbranch_vccnz .LBB22_5361
; %bb.5360:
	s_wait_loadcnt 0x0
	global_load_b32 v0, v[2:3], off
	s_wait_loadcnt 0x0
	v_cvt_i32_f32_e32 v0, v0
.LBB22_5361:
	s_mov_b32 s0, 0
.LBB22_5362:
	s_delay_alu instid0(SALU_CYCLE_1)
	s_and_not1_b32 vcc_lo, exec_lo, s0
	s_cbranch_vccnz .LBB22_5364
; %bb.5363:
	s_wait_loadcnt 0x0
	global_load_u16 v0, v[2:3], off
	s_wait_loadcnt 0x0
	v_cvt_f32_f16_e32 v0, v0
	s_delay_alu instid0(VALU_DEP_1)
	v_cvt_i32_f32_e32 v0, v0
.LBB22_5364:
	s_mov_b32 s0, 0
.LBB22_5365:
	s_delay_alu instid0(SALU_CYCLE_1)
	s_and_not1_b32 vcc_lo, exec_lo, s0
	s_cbranch_vccnz .LBB22_5385
; %bb.5366:
	s_cmp_lt_i32 s58, 2
	s_cbranch_scc1 .LBB22_5370
; %bb.5367:
	s_cmp_lt_i32 s58, 3
	s_cbranch_scc1 .LBB22_5371
; %bb.5368:
	s_cmp_gt_i32 s58, 3
	s_cbranch_scc0 .LBB22_5372
; %bb.5369:
	s_wait_loadcnt 0x0
	global_load_b32 v0, v[2:3], off
	s_mov_b32 s0, 0
	s_branch .LBB22_5373
.LBB22_5370:
	s_mov_b32 s0, -1
                                        ; implicit-def: $vgpr0
	s_branch .LBB22_5379
.LBB22_5371:
	s_mov_b32 s0, -1
                                        ; implicit-def: $vgpr0
	s_branch .LBB22_5376
.LBB22_5372:
	s_mov_b32 s0, -1
                                        ; implicit-def: $vgpr0
.LBB22_5373:
	s_delay_alu instid0(SALU_CYCLE_1)
	s_and_not1_b32 vcc_lo, exec_lo, s0
	s_cbranch_vccnz .LBB22_5375
; %bb.5374:
	s_wait_loadcnt 0x0
	global_load_b32 v0, v[2:3], off
.LBB22_5375:
	s_mov_b32 s0, 0
.LBB22_5376:
	s_delay_alu instid0(SALU_CYCLE_1)
	s_and_not1_b32 vcc_lo, exec_lo, s0
	s_cbranch_vccnz .LBB22_5378
; %bb.5377:
	s_wait_loadcnt 0x0
	global_load_i16 v0, v[2:3], off
.LBB22_5378:
	s_mov_b32 s0, 0
.LBB22_5379:
	s_delay_alu instid0(SALU_CYCLE_1)
	s_and_not1_b32 vcc_lo, exec_lo, s0
	s_cbranch_vccnz .LBB22_5385
; %bb.5380:
	s_cmp_gt_i32 s58, 0
	s_mov_b32 s0, 0
	s_cbranch_scc0 .LBB22_5382
; %bb.5381:
	s_wait_loadcnt 0x0
	global_load_i8 v0, v[2:3], off
	s_branch .LBB22_5383
.LBB22_5382:
	s_mov_b32 s0, -1
                                        ; implicit-def: $vgpr0
.LBB22_5383:
	s_delay_alu instid0(SALU_CYCLE_1)
	s_and_not1_b32 vcc_lo, exec_lo, s0
	s_cbranch_vccnz .LBB22_5385
; %bb.5384:
	s_wait_loadcnt 0x0
	global_load_u8 v0, v[2:3], off
.LBB22_5385:
	s_mov_b32 s8, -1
.LBB22_5386:
	s_delay_alu instid0(SALU_CYCLE_1)
	s_and_not1_b32 vcc_lo, exec_lo, s8
	s_cbranch_vccnz .LBB22_5650
; %bb.5387:
	s_wait_xcnt 0x0
	v_add_nc_u32_e32 v2, s63, v6
	s_cmp_lt_i32 s59, 11
	s_delay_alu instid0(VALU_DEP_1) | instskip(NEXT) | instid1(VALU_DEP_1)
	v_ashrrev_i32_e32 v3, 31, v2
	v_add_nc_u64_e32 v[4:5], s[14:15], v[2:3]
	s_cbranch_scc1 .LBB22_5394
; %bb.5388:
	s_cmp_gt_i32 s59, 25
	s_mov_b32 s5, 0
	s_cbranch_scc0 .LBB22_5395
; %bb.5389:
	s_cmp_gt_i32 s59, 28
	s_cbranch_scc0 .LBB22_5396
; %bb.5390:
	s_cmp_gt_i32 s59, 43
	s_cbranch_scc0 .LBB22_5397
; %bb.5391:
	s_cmp_gt_i32 s59, 45
	s_cbranch_scc0 .LBB22_5399
; %bb.5392:
	s_cmp_eq_u32 s59, 46
	s_mov_b32 s9, 0
	s_cbranch_scc0 .LBB22_5401
; %bb.5393:
	global_load_b32 v1, v[4:5], off
	s_mov_b32 s0, 0
	s_mov_b32 s8, -1
	s_wait_loadcnt 0x0
	v_lshlrev_b32_e32 v1, 16, v1
	s_delay_alu instid0(VALU_DEP_1)
	v_cvt_i32_f32_e32 v2, v1
	s_branch .LBB22_5403
.LBB22_5394:
	s_mov_b32 s0, -1
	s_mov_b32 s8, 0
                                        ; implicit-def: $vgpr2
	s_branch .LBB22_5465
.LBB22_5395:
	s_mov_b32 s9, -1
	s_mov_b32 s8, 0
	s_mov_b32 s0, 0
                                        ; implicit-def: $vgpr2
	s_branch .LBB22_5430
.LBB22_5396:
	s_mov_b32 s9, -1
	s_mov_b32 s8, 0
	s_mov_b32 s0, 0
                                        ; implicit-def: $vgpr2
	s_branch .LBB22_5413
.LBB22_5397:
	s_mov_b32 s9, -1
	s_mov_b32 s8, 0
	s_mov_b32 s0, 0
                                        ; implicit-def: $vgpr2
	s_branch .LBB22_5408
.LBB22_5398:
	s_or_b32 s23, s23, exec_lo
	s_trap 2
	s_cbranch_execz .LBB22_5335
	s_branch .LBB22_5336
.LBB22_5399:
	s_mov_b32 s9, -1
	s_mov_b32 s8, 0
	s_mov_b32 s0, 0
	s_branch .LBB22_5402
.LBB22_5400:
	s_or_b32 s66, s62, exec_lo
	s_trap 2
                                        ; implicit-def: $vgpr0
                                        ; implicit-def: $vgpr2
                                        ; implicit-def: $vgpr4
                                        ; implicit-def: $vgpr10
                                        ; implicit-def: $vgpr6
                                        ; implicit-def: $vgpr12
                                        ; implicit-def: $vgpr8
                                        ; implicit-def: $vgpr16
                                        ; implicit-def: $vgpr25
                                        ; implicit-def: $vgpr22
                                        ; implicit-def: $vgpr23
                                        ; implicit-def: $vgpr24
	s_branch .LBB22_4981
.LBB22_5401:
	s_mov_b32 s0, -1
	s_mov_b32 s8, 0
.LBB22_5402:
                                        ; implicit-def: $vgpr2
.LBB22_5403:
	s_and_b32 vcc_lo, exec_lo, s9
	s_cbranch_vccz .LBB22_5407
; %bb.5404:
	s_cmp_eq_u32 s59, 44
	s_cbranch_scc0 .LBB22_5406
; %bb.5405:
	global_load_u8 v1, v[4:5], off
	s_mov_b32 s0, 0
	s_mov_b32 s8, -1
	s_wait_loadcnt 0x0
	v_lshlrev_b32_e32 v2, 23, v1
	v_cmp_ne_u32_e32 vcc_lo, 0, v1
	s_delay_alu instid0(VALU_DEP_2) | instskip(NEXT) | instid1(VALU_DEP_1)
	v_cvt_i32_f32_e32 v2, v2
	v_cndmask_b32_e32 v2, 0, v2, vcc_lo
	s_branch .LBB22_5407
.LBB22_5406:
	s_mov_b32 s0, -1
                                        ; implicit-def: $vgpr2
.LBB22_5407:
	s_mov_b32 s9, 0
.LBB22_5408:
	s_delay_alu instid0(SALU_CYCLE_1)
	s_and_b32 vcc_lo, exec_lo, s9
	s_cbranch_vccz .LBB22_5412
; %bb.5409:
	s_cmp_eq_u32 s59, 29
	s_cbranch_scc0 .LBB22_5411
; %bb.5410:
	global_load_b32 v2, v[4:5], off
	s_mov_b32 s0, 0
	s_mov_b32 s8, -1
	s_branch .LBB22_5412
.LBB22_5411:
	s_mov_b32 s0, -1
                                        ; implicit-def: $vgpr2
.LBB22_5412:
	s_mov_b32 s9, 0
.LBB22_5413:
	s_delay_alu instid0(SALU_CYCLE_1)
	s_and_b32 vcc_lo, exec_lo, s9
	s_cbranch_vccz .LBB22_5429
; %bb.5414:
	s_cmp_lt_i32 s59, 27
	s_cbranch_scc1 .LBB22_5417
; %bb.5415:
	s_cmp_gt_i32 s59, 27
	s_cbranch_scc0 .LBB22_5418
; %bb.5416:
	s_wait_loadcnt 0x0
	global_load_b32 v2, v[4:5], off
	s_mov_b32 s8, 0
	s_branch .LBB22_5419
.LBB22_5417:
	s_mov_b32 s8, -1
                                        ; implicit-def: $vgpr2
	s_branch .LBB22_5422
.LBB22_5418:
	s_mov_b32 s8, -1
                                        ; implicit-def: $vgpr2
.LBB22_5419:
	s_delay_alu instid0(SALU_CYCLE_1)
	s_and_not1_b32 vcc_lo, exec_lo, s8
	s_cbranch_vccnz .LBB22_5421
; %bb.5420:
	s_wait_loadcnt 0x0
	global_load_u16 v2, v[4:5], off
.LBB22_5421:
	s_mov_b32 s8, 0
.LBB22_5422:
	s_delay_alu instid0(SALU_CYCLE_1)
	s_and_not1_b32 vcc_lo, exec_lo, s8
	s_cbranch_vccnz .LBB22_5428
; %bb.5423:
	global_load_u8 v1, v[4:5], off
	s_mov_b32 s9, 0
	s_mov_b32 s8, exec_lo
	s_wait_loadcnt 0x0
	v_cmpx_lt_i16_e32 0x7f, v1
	s_xor_b32 s8, exec_lo, s8
	s_cbranch_execz .LBB22_5440
; %bb.5424:
	v_cmp_ne_u16_e32 vcc_lo, 0x80, v1
	s_and_b32 s9, vcc_lo, exec_lo
	s_and_not1_saveexec_b32 s8, s8
	s_cbranch_execnz .LBB22_5441
.LBB22_5425:
	s_or_b32 exec_lo, exec_lo, s8
	v_mov_b32_e32 v2, 0
	s_and_saveexec_b32 s8, s9
	s_cbranch_execz .LBB22_5427
.LBB22_5426:
	v_and_b32_e32 v2, 0xffff, v1
	s_delay_alu instid0(VALU_DEP_1) | instskip(SKIP_1) | instid1(VALU_DEP_2)
	v_dual_lshlrev_b32 v1, 24, v1 :: v_dual_bitop2_b32 v3, 7, v2 bitop3:0x40
	v_bfe_u32 v11, v2, 3, 4
	v_and_b32_e32 v1, 0x80000000, v1
	s_delay_alu instid0(VALU_DEP_3) | instskip(NEXT) | instid1(VALU_DEP_3)
	v_clz_i32_u32_e32 v6, v3
	v_cmp_eq_u32_e32 vcc_lo, 0, v11
	s_delay_alu instid0(VALU_DEP_2) | instskip(NEXT) | instid1(VALU_DEP_1)
	v_min_u32_e32 v6, 32, v6
	v_subrev_nc_u32_e32 v10, 28, v6
	v_sub_nc_u32_e32 v6, 29, v6
	s_delay_alu instid0(VALU_DEP_2) | instskip(NEXT) | instid1(VALU_DEP_2)
	v_lshlrev_b32_e32 v2, v10, v2
	v_cndmask_b32_e32 v6, v11, v6, vcc_lo
	s_delay_alu instid0(VALU_DEP_2) | instskip(NEXT) | instid1(VALU_DEP_1)
	v_and_b32_e32 v2, 7, v2
	v_cndmask_b32_e32 v2, v3, v2, vcc_lo
	s_delay_alu instid0(VALU_DEP_3) | instskip(NEXT) | instid1(VALU_DEP_2)
	v_lshl_add_u32 v3, v6, 23, 0x3b800000
	v_lshlrev_b32_e32 v2, 20, v2
	s_delay_alu instid0(VALU_DEP_1) | instskip(NEXT) | instid1(VALU_DEP_1)
	v_or3_b32 v1, v1, v3, v2
	v_cvt_i32_f32_e32 v2, v1
.LBB22_5427:
	s_or_b32 exec_lo, exec_lo, s8
.LBB22_5428:
	s_mov_b32 s8, -1
.LBB22_5429:
	s_mov_b32 s9, 0
.LBB22_5430:
	s_delay_alu instid0(SALU_CYCLE_1)
	s_and_b32 vcc_lo, exec_lo, s9
	s_cbranch_vccz .LBB22_5461
; %bb.5431:
	s_cmp_gt_i32 s59, 22
	s_cbranch_scc0 .LBB22_5439
; %bb.5432:
	s_cmp_lt_i32 s59, 24
	s_cbranch_scc1 .LBB22_5442
; %bb.5433:
	s_cmp_gt_i32 s59, 24
	s_cbranch_scc0 .LBB22_5443
; %bb.5434:
	global_load_u8 v1, v[4:5], off
	s_mov_b32 s8, 0
	s_mov_b32 s5, exec_lo
	s_wait_loadcnt 0x0
	v_cmpx_lt_i16_e32 0x7f, v1
	s_xor_b32 s5, exec_lo, s5
	s_cbranch_execz .LBB22_5455
; %bb.5435:
	v_cmp_ne_u16_e32 vcc_lo, 0x80, v1
	s_and_b32 s8, vcc_lo, exec_lo
	s_and_not1_saveexec_b32 s5, s5
	s_cbranch_execnz .LBB22_5456
.LBB22_5436:
	s_or_b32 exec_lo, exec_lo, s5
	v_mov_b32_e32 v2, 0
	s_and_saveexec_b32 s5, s8
	s_cbranch_execz .LBB22_5438
.LBB22_5437:
	v_and_b32_e32 v2, 0xffff, v1
	s_delay_alu instid0(VALU_DEP_1) | instskip(SKIP_1) | instid1(VALU_DEP_2)
	v_dual_lshlrev_b32 v1, 24, v1 :: v_dual_bitop2_b32 v3, 3, v2 bitop3:0x40
	v_bfe_u32 v11, v2, 2, 5
	v_and_b32_e32 v1, 0x80000000, v1
	s_delay_alu instid0(VALU_DEP_3) | instskip(NEXT) | instid1(VALU_DEP_3)
	v_clz_i32_u32_e32 v6, v3
	v_cmp_eq_u32_e32 vcc_lo, 0, v11
	s_delay_alu instid0(VALU_DEP_2) | instskip(NEXT) | instid1(VALU_DEP_1)
	v_min_u32_e32 v6, 32, v6
	v_subrev_nc_u32_e32 v10, 29, v6
	v_sub_nc_u32_e32 v6, 30, v6
	s_delay_alu instid0(VALU_DEP_2) | instskip(NEXT) | instid1(VALU_DEP_2)
	v_lshlrev_b32_e32 v2, v10, v2
	v_cndmask_b32_e32 v6, v11, v6, vcc_lo
	s_delay_alu instid0(VALU_DEP_2) | instskip(NEXT) | instid1(VALU_DEP_1)
	v_and_b32_e32 v2, 3, v2
	v_cndmask_b32_e32 v2, v3, v2, vcc_lo
	s_delay_alu instid0(VALU_DEP_3) | instskip(NEXT) | instid1(VALU_DEP_2)
	v_lshl_add_u32 v3, v6, 23, 0x37800000
	v_lshlrev_b32_e32 v2, 21, v2
	s_delay_alu instid0(VALU_DEP_1) | instskip(NEXT) | instid1(VALU_DEP_1)
	v_or3_b32 v1, v1, v3, v2
	v_cvt_i32_f32_e32 v2, v1
.LBB22_5438:
	s_or_b32 exec_lo, exec_lo, s5
	s_mov_b32 s5, 0
	s_branch .LBB22_5444
.LBB22_5439:
	s_mov_b32 s5, -1
                                        ; implicit-def: $vgpr2
	s_branch .LBB22_5450
.LBB22_5440:
	s_and_not1_saveexec_b32 s8, s8
	s_cbranch_execz .LBB22_5425
.LBB22_5441:
	v_cmp_ne_u16_e32 vcc_lo, 0, v1
	s_and_not1_b32 s9, s9, exec_lo
	s_and_b32 s10, vcc_lo, exec_lo
	s_delay_alu instid0(SALU_CYCLE_1)
	s_or_b32 s9, s9, s10
	s_or_b32 exec_lo, exec_lo, s8
	v_mov_b32_e32 v2, 0
	s_and_saveexec_b32 s8, s9
	s_cbranch_execnz .LBB22_5426
	s_branch .LBB22_5427
.LBB22_5442:
	s_mov_b32 s5, -1
                                        ; implicit-def: $vgpr2
	s_branch .LBB22_5447
.LBB22_5443:
	s_mov_b32 s5, -1
                                        ; implicit-def: $vgpr2
.LBB22_5444:
	s_delay_alu instid0(SALU_CYCLE_1)
	s_and_b32 vcc_lo, exec_lo, s5
	s_cbranch_vccz .LBB22_5446
; %bb.5445:
	global_load_u8 v1, v[4:5], off
	s_wait_loadcnt 0x0
	v_lshlrev_b32_e32 v1, 24, v1
	s_delay_alu instid0(VALU_DEP_1) | instskip(NEXT) | instid1(VALU_DEP_1)
	v_and_b32_e32 v2, 0x7f000000, v1
	v_clz_i32_u32_e32 v3, v2
	v_add_nc_u32_e32 v10, 0x1000000, v2
	v_cmp_ne_u32_e32 vcc_lo, 0, v2
	s_delay_alu instid0(VALU_DEP_3) | instskip(NEXT) | instid1(VALU_DEP_1)
	v_min_u32_e32 v3, 32, v3
	v_sub_nc_u32_e64 v3, v3, 4 clamp
	s_delay_alu instid0(VALU_DEP_1) | instskip(NEXT) | instid1(VALU_DEP_1)
	v_dual_lshlrev_b32 v6, v3, v2 :: v_dual_lshlrev_b32 v3, 23, v3
	v_lshrrev_b32_e32 v6, 4, v6
	s_delay_alu instid0(VALU_DEP_1) | instskip(NEXT) | instid1(VALU_DEP_1)
	v_dual_sub_nc_u32 v3, v6, v3 :: v_dual_ashrrev_i32 v6, 8, v10
	v_add_nc_u32_e32 v3, 0x3c000000, v3
	s_delay_alu instid0(VALU_DEP_1) | instskip(NEXT) | instid1(VALU_DEP_1)
	v_and_or_b32 v3, 0x7f800000, v6, v3
	v_cndmask_b32_e32 v2, 0, v3, vcc_lo
	s_delay_alu instid0(VALU_DEP_1) | instskip(NEXT) | instid1(VALU_DEP_1)
	v_and_or_b32 v1, 0x80000000, v1, v2
	v_cvt_i32_f32_e32 v2, v1
.LBB22_5446:
	s_mov_b32 s5, 0
.LBB22_5447:
	s_delay_alu instid0(SALU_CYCLE_1)
	s_and_not1_b32 vcc_lo, exec_lo, s5
	s_cbranch_vccnz .LBB22_5449
; %bb.5448:
	global_load_u8 v1, v[4:5], off
	s_wait_loadcnt 0x0
	v_lshlrev_b32_e32 v2, 25, v1
	v_lshlrev_b16 v1, 8, v1
	s_delay_alu instid0(VALU_DEP_1) | instskip(SKIP_1) | instid1(VALU_DEP_2)
	v_and_or_b32 v6, 0x7f00, v1, 0.5
	v_bfe_i32 v1, v1, 0, 16
	v_add_f32_e32 v6, -0.5, v6
	v_lshrrev_b32_e32 v3, 4, v2
	v_cmp_gt_u32_e32 vcc_lo, 0x8000000, v2
	s_delay_alu instid0(VALU_DEP_2) | instskip(NEXT) | instid1(VALU_DEP_1)
	v_or_b32_e32 v3, 0x70000000, v3
	v_mul_f32_e32 v3, 0x7800000, v3
	s_delay_alu instid0(VALU_DEP_1) | instskip(NEXT) | instid1(VALU_DEP_1)
	v_cndmask_b32_e32 v2, v3, v6, vcc_lo
	v_and_or_b32 v1, 0x80000000, v1, v2
	s_delay_alu instid0(VALU_DEP_1)
	v_cvt_i32_f32_e32 v2, v1
.LBB22_5449:
	s_mov_b32 s5, 0
	s_mov_b32 s8, -1
.LBB22_5450:
	s_and_not1_b32 vcc_lo, exec_lo, s5
	s_mov_b32 s5, 0
	s_cbranch_vccnz .LBB22_5461
; %bb.5451:
	s_cmp_gt_i32 s59, 14
	s_cbranch_scc0 .LBB22_5454
; %bb.5452:
	s_cmp_eq_u32 s59, 15
	s_cbranch_scc0 .LBB22_5457
; %bb.5453:
	global_load_u16 v1, v[4:5], off
	s_mov_b32 s0, 0
	s_mov_b32 s8, -1
	s_wait_loadcnt 0x0
	v_lshlrev_b32_e32 v1, 16, v1
	s_delay_alu instid0(VALU_DEP_1)
	v_cvt_i32_f32_e32 v2, v1
	s_branch .LBB22_5459
.LBB22_5454:
	s_mov_b32 s5, -1
	s_branch .LBB22_5458
.LBB22_5455:
	s_and_not1_saveexec_b32 s5, s5
	s_cbranch_execz .LBB22_5436
.LBB22_5456:
	v_cmp_ne_u16_e32 vcc_lo, 0, v1
	s_and_not1_b32 s8, s8, exec_lo
	s_and_b32 s9, vcc_lo, exec_lo
	s_delay_alu instid0(SALU_CYCLE_1)
	s_or_b32 s8, s8, s9
	s_or_b32 exec_lo, exec_lo, s5
	v_mov_b32_e32 v2, 0
	s_and_saveexec_b32 s5, s8
	s_cbranch_execnz .LBB22_5437
	s_branch .LBB22_5438
.LBB22_5457:
	s_mov_b32 s0, -1
.LBB22_5458:
                                        ; implicit-def: $vgpr2
.LBB22_5459:
	s_and_b32 vcc_lo, exec_lo, s5
	s_mov_b32 s5, 0
	s_cbranch_vccz .LBB22_5461
; %bb.5460:
	s_cmp_lg_u32 s59, 11
	s_mov_b32 s5, -1
	s_cselect_b32 s0, -1, 0
.LBB22_5461:
	s_delay_alu instid0(SALU_CYCLE_1)
	s_and_b32 vcc_lo, exec_lo, s0
	s_cbranch_vccnz .LBB22_5526
; %bb.5462:
	s_and_not1_b32 vcc_lo, exec_lo, s5
	s_cbranch_vccnz .LBB22_5464
.LBB22_5463:
	global_load_u8 v1, v[4:5], off
	s_mov_b32 s8, -1
	s_wait_loadcnt 0x0
	v_cmp_ne_u16_e32 vcc_lo, 0, v1
	v_cndmask_b32_e64 v2, 0, 1, vcc_lo
.LBB22_5464:
	s_mov_b32 s0, 0
.LBB22_5465:
	s_delay_alu instid0(SALU_CYCLE_1)
	s_and_b32 vcc_lo, exec_lo, s0
	s_cbranch_vccz .LBB22_5514
; %bb.5466:
	s_cmp_lt_i32 s59, 5
	s_cbranch_scc1 .LBB22_5471
; %bb.5467:
	s_cmp_lt_i32 s59, 8
	s_cbranch_scc1 .LBB22_5472
	;; [unrolled: 3-line block ×3, first 2 shown]
; %bb.5469:
	s_cmp_gt_i32 s59, 9
	s_cbranch_scc0 .LBB22_5474
; %bb.5470:
	s_wait_loadcnt 0x0
	global_load_b64 v[2:3], v[4:5], off
	s_mov_b32 s0, 0
	s_wait_loadcnt 0x0
	v_cvt_i32_f64_e32 v2, v[2:3]
	s_branch .LBB22_5475
.LBB22_5471:
	s_mov_b32 s0, -1
                                        ; implicit-def: $vgpr2
	s_branch .LBB22_5493
.LBB22_5472:
	s_mov_b32 s0, -1
                                        ; implicit-def: $vgpr2
	s_branch .LBB22_5481
.LBB22_5473:
	s_mov_b32 s0, -1
                                        ; implicit-def: $vgpr2
	s_branch .LBB22_5478
.LBB22_5474:
	s_mov_b32 s0, -1
                                        ; implicit-def: $vgpr2
.LBB22_5475:
	s_delay_alu instid0(SALU_CYCLE_1)
	s_and_not1_b32 vcc_lo, exec_lo, s0
	s_cbranch_vccnz .LBB22_5477
; %bb.5476:
	global_load_b32 v1, v[4:5], off
	s_wait_loadcnt 0x0
	v_cvt_i32_f32_e32 v2, v1
.LBB22_5477:
	s_mov_b32 s0, 0
.LBB22_5478:
	s_delay_alu instid0(SALU_CYCLE_1)
	s_and_not1_b32 vcc_lo, exec_lo, s0
	s_cbranch_vccnz .LBB22_5480
; %bb.5479:
	global_load_b32 v1, v[4:5], off
	s_wait_loadcnt 0x0
	v_cvt_f32_f16_e32 v1, v1
	s_delay_alu instid0(VALU_DEP_1)
	v_cvt_i32_f32_e32 v2, v1
.LBB22_5480:
	s_mov_b32 s0, 0
.LBB22_5481:
	s_delay_alu instid0(SALU_CYCLE_1)
	s_and_not1_b32 vcc_lo, exec_lo, s0
	s_cbranch_vccnz .LBB22_5492
; %bb.5482:
	s_cmp_lt_i32 s59, 6
	s_cbranch_scc1 .LBB22_5485
; %bb.5483:
	s_cmp_gt_i32 s59, 6
	s_cbranch_scc0 .LBB22_5486
; %bb.5484:
	s_wait_loadcnt 0x0
	global_load_b64 v[2:3], v[4:5], off
	s_mov_b32 s0, 0
	s_wait_loadcnt 0x0
	v_cvt_i32_f64_e32 v2, v[2:3]
	s_branch .LBB22_5487
.LBB22_5485:
	s_mov_b32 s0, -1
                                        ; implicit-def: $vgpr2
	s_branch .LBB22_5490
.LBB22_5486:
	s_mov_b32 s0, -1
                                        ; implicit-def: $vgpr2
.LBB22_5487:
	s_delay_alu instid0(SALU_CYCLE_1)
	s_and_not1_b32 vcc_lo, exec_lo, s0
	s_cbranch_vccnz .LBB22_5489
; %bb.5488:
	global_load_b32 v1, v[4:5], off
	s_wait_loadcnt 0x0
	v_cvt_i32_f32_e32 v2, v1
.LBB22_5489:
	s_mov_b32 s0, 0
.LBB22_5490:
	s_delay_alu instid0(SALU_CYCLE_1)
	s_and_not1_b32 vcc_lo, exec_lo, s0
	s_cbranch_vccnz .LBB22_5492
; %bb.5491:
	global_load_u16 v1, v[4:5], off
	s_wait_loadcnt 0x0
	v_cvt_f32_f16_e32 v1, v1
	s_delay_alu instid0(VALU_DEP_1)
	v_cvt_i32_f32_e32 v2, v1
.LBB22_5492:
	s_mov_b32 s0, 0
.LBB22_5493:
	s_delay_alu instid0(SALU_CYCLE_1)
	s_and_not1_b32 vcc_lo, exec_lo, s0
	s_cbranch_vccnz .LBB22_5513
; %bb.5494:
	s_cmp_lt_i32 s59, 2
	s_cbranch_scc1 .LBB22_5498
; %bb.5495:
	s_cmp_lt_i32 s59, 3
	s_cbranch_scc1 .LBB22_5499
; %bb.5496:
	s_cmp_gt_i32 s59, 3
	s_cbranch_scc0 .LBB22_5500
; %bb.5497:
	s_wait_loadcnt 0x0
	global_load_b32 v2, v[4:5], off
	s_mov_b32 s0, 0
	s_branch .LBB22_5501
.LBB22_5498:
	s_mov_b32 s0, -1
                                        ; implicit-def: $vgpr2
	s_branch .LBB22_5507
.LBB22_5499:
	s_mov_b32 s0, -1
                                        ; implicit-def: $vgpr2
	s_branch .LBB22_5504
.LBB22_5500:
	s_mov_b32 s0, -1
                                        ; implicit-def: $vgpr2
.LBB22_5501:
	s_delay_alu instid0(SALU_CYCLE_1)
	s_and_not1_b32 vcc_lo, exec_lo, s0
	s_cbranch_vccnz .LBB22_5503
; %bb.5502:
	s_wait_loadcnt 0x0
	global_load_b32 v2, v[4:5], off
.LBB22_5503:
	s_mov_b32 s0, 0
.LBB22_5504:
	s_delay_alu instid0(SALU_CYCLE_1)
	s_and_not1_b32 vcc_lo, exec_lo, s0
	s_cbranch_vccnz .LBB22_5506
; %bb.5505:
	s_wait_loadcnt 0x0
	global_load_i16 v2, v[4:5], off
.LBB22_5506:
	s_mov_b32 s0, 0
.LBB22_5507:
	s_delay_alu instid0(SALU_CYCLE_1)
	s_and_not1_b32 vcc_lo, exec_lo, s0
	s_cbranch_vccnz .LBB22_5513
; %bb.5508:
	s_cmp_gt_i32 s59, 0
	s_mov_b32 s0, 0
	s_cbranch_scc0 .LBB22_5510
; %bb.5509:
	s_wait_loadcnt 0x0
	global_load_i8 v2, v[4:5], off
	s_branch .LBB22_5511
.LBB22_5510:
	s_mov_b32 s0, -1
                                        ; implicit-def: $vgpr2
.LBB22_5511:
	s_delay_alu instid0(SALU_CYCLE_1)
	s_and_not1_b32 vcc_lo, exec_lo, s0
	s_cbranch_vccnz .LBB22_5513
; %bb.5512:
	s_wait_loadcnt 0x0
	global_load_u8 v2, v[4:5], off
.LBB22_5513:
	s_mov_b32 s8, -1
.LBB22_5514:
	s_delay_alu instid0(SALU_CYCLE_1)
	s_and_not1_b32 vcc_lo, exec_lo, s8
	s_cbranch_vccnz .LBB22_5650
; %bb.5515:
	s_wait_xcnt 0x0
	v_add_nc_u32_e32 v4, s64, v8
	s_cmp_lt_i32 s60, 11
	s_delay_alu instid0(VALU_DEP_1) | instskip(NEXT) | instid1(VALU_DEP_1)
	v_ashrrev_i32_e32 v5, 31, v4
	v_add_nc_u64_e32 v[4:5], s[16:17], v[4:5]
	s_cbranch_scc1 .LBB22_5522
; %bb.5516:
	s_cmp_gt_i32 s60, 25
	s_mov_b32 s5, 0
	s_cbranch_scc0 .LBB22_5523
; %bb.5517:
	s_cmp_gt_i32 s60, 28
	s_cbranch_scc0 .LBB22_5524
; %bb.5518:
	s_cmp_gt_i32 s60, 43
	;; [unrolled: 3-line block ×3, first 2 shown]
	s_cbranch_scc0 .LBB22_5527
; %bb.5520:
	s_cmp_eq_u32 s60, 46
	s_mov_b32 s9, 0
	s_cbranch_scc0 .LBB22_5528
; %bb.5521:
	global_load_b32 v1, v[4:5], off
	s_mov_b32 s0, 0
	s_mov_b32 s8, -1
	s_wait_loadcnt 0x0
	v_lshlrev_b32_e32 v1, 16, v1
	s_delay_alu instid0(VALU_DEP_1)
	v_cvt_i32_f32_e32 v6, v1
	s_branch .LBB22_5530
.LBB22_5522:
	s_mov_b32 s0, -1
	s_mov_b32 s8, 0
                                        ; implicit-def: $vgpr6
	s_branch .LBB22_5592
.LBB22_5523:
	s_mov_b32 s9, -1
	s_mov_b32 s8, 0
	s_mov_b32 s0, 0
                                        ; implicit-def: $vgpr6
	s_branch .LBB22_5557
.LBB22_5524:
	s_mov_b32 s9, -1
	s_mov_b32 s8, 0
	s_mov_b32 s0, 0
                                        ; implicit-def: $vgpr6
	s_branch .LBB22_5540
.LBB22_5525:
	s_mov_b32 s9, -1
	s_mov_b32 s8, 0
	s_mov_b32 s0, 0
                                        ; implicit-def: $vgpr6
	s_branch .LBB22_5535
.LBB22_5526:
	s_or_b32 s23, s23, exec_lo
	s_trap 2
	s_cbranch_execz .LBB22_5463
	s_branch .LBB22_5464
.LBB22_5527:
	s_mov_b32 s9, -1
	s_mov_b32 s8, 0
	s_mov_b32 s0, 0
	s_branch .LBB22_5529
.LBB22_5528:
	s_mov_b32 s0, -1
	s_mov_b32 s8, 0
.LBB22_5529:
                                        ; implicit-def: $vgpr6
.LBB22_5530:
	s_and_b32 vcc_lo, exec_lo, s9
	s_cbranch_vccz .LBB22_5534
; %bb.5531:
	s_cmp_eq_u32 s60, 44
	s_cbranch_scc0 .LBB22_5533
; %bb.5532:
	global_load_u8 v1, v[4:5], off
	s_mov_b32 s0, 0
	s_mov_b32 s8, -1
	s_wait_loadcnt 0x0
	v_lshlrev_b32_e32 v3, 23, v1
	v_cmp_ne_u32_e32 vcc_lo, 0, v1
	s_delay_alu instid0(VALU_DEP_2) | instskip(NEXT) | instid1(VALU_DEP_1)
	v_cvt_i32_f32_e32 v3, v3
	v_cndmask_b32_e32 v6, 0, v3, vcc_lo
	s_branch .LBB22_5534
.LBB22_5533:
	s_mov_b32 s0, -1
                                        ; implicit-def: $vgpr6
.LBB22_5534:
	s_mov_b32 s9, 0
.LBB22_5535:
	s_delay_alu instid0(SALU_CYCLE_1)
	s_and_b32 vcc_lo, exec_lo, s9
	s_cbranch_vccz .LBB22_5539
; %bb.5536:
	s_cmp_eq_u32 s60, 29
	s_cbranch_scc0 .LBB22_5538
; %bb.5537:
	global_load_b32 v6, v[4:5], off
	s_mov_b32 s0, 0
	s_mov_b32 s8, -1
	s_branch .LBB22_5539
.LBB22_5538:
	s_mov_b32 s0, -1
                                        ; implicit-def: $vgpr6
.LBB22_5539:
	s_mov_b32 s9, 0
.LBB22_5540:
	s_delay_alu instid0(SALU_CYCLE_1)
	s_and_b32 vcc_lo, exec_lo, s9
	s_cbranch_vccz .LBB22_5556
; %bb.5541:
	s_cmp_lt_i32 s60, 27
	s_cbranch_scc1 .LBB22_5544
; %bb.5542:
	s_cmp_gt_i32 s60, 27
	s_cbranch_scc0 .LBB22_5545
; %bb.5543:
	s_wait_loadcnt 0x0
	global_load_b32 v6, v[4:5], off
	s_mov_b32 s8, 0
	s_branch .LBB22_5546
.LBB22_5544:
	s_mov_b32 s8, -1
                                        ; implicit-def: $vgpr6
	s_branch .LBB22_5549
.LBB22_5545:
	s_mov_b32 s8, -1
                                        ; implicit-def: $vgpr6
.LBB22_5546:
	s_delay_alu instid0(SALU_CYCLE_1)
	s_and_not1_b32 vcc_lo, exec_lo, s8
	s_cbranch_vccnz .LBB22_5548
; %bb.5547:
	s_wait_loadcnt 0x0
	global_load_u16 v6, v[4:5], off
.LBB22_5548:
	s_mov_b32 s8, 0
.LBB22_5549:
	s_delay_alu instid0(SALU_CYCLE_1)
	s_and_not1_b32 vcc_lo, exec_lo, s8
	s_cbranch_vccnz .LBB22_5555
; %bb.5550:
	global_load_u8 v1, v[4:5], off
	s_mov_b32 s9, 0
	s_mov_b32 s8, exec_lo
	s_wait_loadcnt 0x0
	v_cmpx_lt_i16_e32 0x7f, v1
	s_xor_b32 s8, exec_lo, s8
	s_cbranch_execz .LBB22_5567
; %bb.5551:
	v_cmp_ne_u16_e32 vcc_lo, 0x80, v1
	s_and_b32 s9, vcc_lo, exec_lo
	s_and_not1_saveexec_b32 s8, s8
	s_cbranch_execnz .LBB22_5568
.LBB22_5552:
	s_or_b32 exec_lo, exec_lo, s8
	v_mov_b32_e32 v6, 0
	s_and_saveexec_b32 s8, s9
	s_cbranch_execz .LBB22_5554
.LBB22_5553:
	v_and_b32_e32 v3, 0xffff, v1
	s_delay_alu instid0(VALU_DEP_1) | instskip(SKIP_1) | instid1(VALU_DEP_2)
	v_and_b32_e32 v6, 7, v3
	v_bfe_u32 v11, v3, 3, 4
	v_clz_i32_u32_e32 v8, v6
	s_delay_alu instid0(VALU_DEP_2) | instskip(NEXT) | instid1(VALU_DEP_2)
	v_cmp_eq_u32_e32 vcc_lo, 0, v11
	v_min_u32_e32 v8, 32, v8
	s_delay_alu instid0(VALU_DEP_1) | instskip(NEXT) | instid1(VALU_DEP_1)
	v_subrev_nc_u32_e32 v10, 28, v8
	v_dual_lshlrev_b32 v3, v10, v3 :: v_dual_sub_nc_u32 v8, 29, v8
	s_delay_alu instid0(VALU_DEP_1) | instskip(NEXT) | instid1(VALU_DEP_1)
	v_dual_lshlrev_b32 v1, 24, v1 :: v_dual_bitop2_b32 v3, 7, v3 bitop3:0x40
	v_dual_cndmask_b32 v8, v11, v8 :: v_dual_cndmask_b32 v3, v6, v3
	s_delay_alu instid0(VALU_DEP_2) | instskip(NEXT) | instid1(VALU_DEP_2)
	v_and_b32_e32 v1, 0x80000000, v1
	v_lshl_add_u32 v6, v8, 23, 0x3b800000
	s_delay_alu instid0(VALU_DEP_3) | instskip(NEXT) | instid1(VALU_DEP_1)
	v_lshlrev_b32_e32 v3, 20, v3
	v_or3_b32 v1, v1, v6, v3
	s_delay_alu instid0(VALU_DEP_1)
	v_cvt_i32_f32_e32 v6, v1
.LBB22_5554:
	s_or_b32 exec_lo, exec_lo, s8
.LBB22_5555:
	s_mov_b32 s8, -1
.LBB22_5556:
	s_mov_b32 s9, 0
.LBB22_5557:
	s_delay_alu instid0(SALU_CYCLE_1)
	s_and_b32 vcc_lo, exec_lo, s9
	s_cbranch_vccz .LBB22_5588
; %bb.5558:
	s_cmp_gt_i32 s60, 22
	s_cbranch_scc0 .LBB22_5566
; %bb.5559:
	s_cmp_lt_i32 s60, 24
	s_cbranch_scc1 .LBB22_5569
; %bb.5560:
	s_cmp_gt_i32 s60, 24
	s_cbranch_scc0 .LBB22_5570
; %bb.5561:
	global_load_u8 v1, v[4:5], off
	s_mov_b32 s8, 0
	s_mov_b32 s5, exec_lo
	s_wait_loadcnt 0x0
	v_cmpx_lt_i16_e32 0x7f, v1
	s_xor_b32 s5, exec_lo, s5
	s_cbranch_execz .LBB22_5582
; %bb.5562:
	v_cmp_ne_u16_e32 vcc_lo, 0x80, v1
	s_and_b32 s8, vcc_lo, exec_lo
	s_and_not1_saveexec_b32 s5, s5
	s_cbranch_execnz .LBB22_5583
.LBB22_5563:
	s_or_b32 exec_lo, exec_lo, s5
	v_mov_b32_e32 v6, 0
	s_and_saveexec_b32 s5, s8
	s_cbranch_execz .LBB22_5565
.LBB22_5564:
	v_and_b32_e32 v3, 0xffff, v1
	s_delay_alu instid0(VALU_DEP_1) | instskip(SKIP_1) | instid1(VALU_DEP_2)
	v_and_b32_e32 v6, 3, v3
	v_bfe_u32 v11, v3, 2, 5
	v_clz_i32_u32_e32 v8, v6
	s_delay_alu instid0(VALU_DEP_2) | instskip(NEXT) | instid1(VALU_DEP_2)
	v_cmp_eq_u32_e32 vcc_lo, 0, v11
	v_min_u32_e32 v8, 32, v8
	s_delay_alu instid0(VALU_DEP_1) | instskip(NEXT) | instid1(VALU_DEP_1)
	v_subrev_nc_u32_e32 v10, 29, v8
	v_dual_lshlrev_b32 v3, v10, v3 :: v_dual_sub_nc_u32 v8, 30, v8
	s_delay_alu instid0(VALU_DEP_1) | instskip(NEXT) | instid1(VALU_DEP_1)
	v_dual_lshlrev_b32 v1, 24, v1 :: v_dual_bitop2_b32 v3, 3, v3 bitop3:0x40
	v_dual_cndmask_b32 v8, v11, v8 :: v_dual_cndmask_b32 v3, v6, v3
	s_delay_alu instid0(VALU_DEP_2) | instskip(NEXT) | instid1(VALU_DEP_2)
	v_and_b32_e32 v1, 0x80000000, v1
	v_lshl_add_u32 v6, v8, 23, 0x37800000
	s_delay_alu instid0(VALU_DEP_3) | instskip(NEXT) | instid1(VALU_DEP_1)
	v_lshlrev_b32_e32 v3, 21, v3
	v_or3_b32 v1, v1, v6, v3
	s_delay_alu instid0(VALU_DEP_1)
	v_cvt_i32_f32_e32 v6, v1
.LBB22_5565:
	s_or_b32 exec_lo, exec_lo, s5
	s_mov_b32 s5, 0
	s_branch .LBB22_5571
.LBB22_5566:
	s_mov_b32 s5, -1
                                        ; implicit-def: $vgpr6
	s_branch .LBB22_5577
.LBB22_5567:
	s_and_not1_saveexec_b32 s8, s8
	s_cbranch_execz .LBB22_5552
.LBB22_5568:
	v_cmp_ne_u16_e32 vcc_lo, 0, v1
	s_and_not1_b32 s9, s9, exec_lo
	s_and_b32 s10, vcc_lo, exec_lo
	s_delay_alu instid0(SALU_CYCLE_1)
	s_or_b32 s9, s9, s10
	s_or_b32 exec_lo, exec_lo, s8
	v_mov_b32_e32 v6, 0
	s_and_saveexec_b32 s8, s9
	s_cbranch_execnz .LBB22_5553
	s_branch .LBB22_5554
.LBB22_5569:
	s_mov_b32 s5, -1
                                        ; implicit-def: $vgpr6
	s_branch .LBB22_5574
.LBB22_5570:
	s_mov_b32 s5, -1
                                        ; implicit-def: $vgpr6
.LBB22_5571:
	s_delay_alu instid0(SALU_CYCLE_1)
	s_and_b32 vcc_lo, exec_lo, s5
	s_cbranch_vccz .LBB22_5573
; %bb.5572:
	global_load_u8 v1, v[4:5], off
	s_wait_loadcnt 0x0
	v_lshlrev_b32_e32 v1, 24, v1
	s_delay_alu instid0(VALU_DEP_1) | instskip(NEXT) | instid1(VALU_DEP_1)
	v_and_b32_e32 v3, 0x7f000000, v1
	v_clz_i32_u32_e32 v6, v3
	v_cmp_ne_u32_e32 vcc_lo, 0, v3
	v_add_nc_u32_e32 v10, 0x1000000, v3
	s_delay_alu instid0(VALU_DEP_3) | instskip(NEXT) | instid1(VALU_DEP_1)
	v_min_u32_e32 v6, 32, v6
	v_sub_nc_u32_e64 v6, v6, 4 clamp
	s_delay_alu instid0(VALU_DEP_1) | instskip(NEXT) | instid1(VALU_DEP_1)
	v_dual_lshlrev_b32 v8, v6, v3 :: v_dual_lshlrev_b32 v6, 23, v6
	v_lshrrev_b32_e32 v8, 4, v8
	s_delay_alu instid0(VALU_DEP_1) | instskip(SKIP_1) | instid1(VALU_DEP_2)
	v_sub_nc_u32_e32 v6, v8, v6
	v_ashrrev_i32_e32 v8, 8, v10
	v_add_nc_u32_e32 v6, 0x3c000000, v6
	s_delay_alu instid0(VALU_DEP_1) | instskip(NEXT) | instid1(VALU_DEP_1)
	v_and_or_b32 v6, 0x7f800000, v8, v6
	v_cndmask_b32_e32 v3, 0, v6, vcc_lo
	s_delay_alu instid0(VALU_DEP_1) | instskip(NEXT) | instid1(VALU_DEP_1)
	v_and_or_b32 v1, 0x80000000, v1, v3
	v_cvt_i32_f32_e32 v6, v1
.LBB22_5573:
	s_mov_b32 s5, 0
.LBB22_5574:
	s_delay_alu instid0(SALU_CYCLE_1)
	s_and_not1_b32 vcc_lo, exec_lo, s5
	s_cbranch_vccnz .LBB22_5576
; %bb.5575:
	global_load_u8 v1, v[4:5], off
	s_wait_loadcnt 0x0
	v_lshlrev_b32_e32 v3, 25, v1
	v_lshlrev_b16 v1, 8, v1
	s_delay_alu instid0(VALU_DEP_1) | instskip(SKIP_1) | instid1(VALU_DEP_2)
	v_and_or_b32 v8, 0x7f00, v1, 0.5
	v_bfe_i32 v1, v1, 0, 16
	v_dual_add_f32 v8, -0.5, v8 :: v_dual_lshrrev_b32 v6, 4, v3
	v_cmp_gt_u32_e32 vcc_lo, 0x8000000, v3
	s_delay_alu instid0(VALU_DEP_2) | instskip(NEXT) | instid1(VALU_DEP_1)
	v_or_b32_e32 v6, 0x70000000, v6
	v_mul_f32_e32 v6, 0x7800000, v6
	s_delay_alu instid0(VALU_DEP_1) | instskip(NEXT) | instid1(VALU_DEP_1)
	v_cndmask_b32_e32 v3, v6, v8, vcc_lo
	v_and_or_b32 v1, 0x80000000, v1, v3
	s_delay_alu instid0(VALU_DEP_1)
	v_cvt_i32_f32_e32 v6, v1
.LBB22_5576:
	s_mov_b32 s5, 0
	s_mov_b32 s8, -1
.LBB22_5577:
	s_and_not1_b32 vcc_lo, exec_lo, s5
	s_mov_b32 s5, 0
	s_cbranch_vccnz .LBB22_5588
; %bb.5578:
	s_cmp_gt_i32 s60, 14
	s_cbranch_scc0 .LBB22_5581
; %bb.5579:
	s_cmp_eq_u32 s60, 15
	s_cbranch_scc0 .LBB22_5584
; %bb.5580:
	global_load_u16 v1, v[4:5], off
	s_mov_b32 s0, 0
	s_mov_b32 s8, -1
	s_wait_loadcnt 0x0
	v_lshlrev_b32_e32 v1, 16, v1
	s_delay_alu instid0(VALU_DEP_1)
	v_cvt_i32_f32_e32 v6, v1
	s_branch .LBB22_5586
.LBB22_5581:
	s_mov_b32 s5, -1
	s_branch .LBB22_5585
.LBB22_5582:
	s_and_not1_saveexec_b32 s5, s5
	s_cbranch_execz .LBB22_5563
.LBB22_5583:
	v_cmp_ne_u16_e32 vcc_lo, 0, v1
	s_and_not1_b32 s8, s8, exec_lo
	s_and_b32 s9, vcc_lo, exec_lo
	s_delay_alu instid0(SALU_CYCLE_1)
	s_or_b32 s8, s8, s9
	s_or_b32 exec_lo, exec_lo, s5
	v_mov_b32_e32 v6, 0
	s_and_saveexec_b32 s5, s8
	s_cbranch_execnz .LBB22_5564
	s_branch .LBB22_5565
.LBB22_5584:
	s_mov_b32 s0, -1
.LBB22_5585:
                                        ; implicit-def: $vgpr6
.LBB22_5586:
	s_and_b32 vcc_lo, exec_lo, s5
	s_mov_b32 s5, 0
	s_cbranch_vccz .LBB22_5588
; %bb.5587:
	s_cmp_lg_u32 s60, 11
	s_mov_b32 s5, -1
	s_cselect_b32 s0, -1, 0
.LBB22_5588:
	s_delay_alu instid0(SALU_CYCLE_1)
	s_and_b32 vcc_lo, exec_lo, s0
	s_cbranch_vccnz .LBB22_5717
; %bb.5589:
	s_and_not1_b32 vcc_lo, exec_lo, s5
	s_cbranch_vccnz .LBB22_5591
.LBB22_5590:
	global_load_u8 v1, v[4:5], off
	s_mov_b32 s8, -1
	s_wait_loadcnt 0x0
	v_cmp_ne_u16_e32 vcc_lo, 0, v1
	v_cndmask_b32_e64 v6, 0, 1, vcc_lo
.LBB22_5591:
	s_mov_b32 s0, 0
.LBB22_5592:
	s_delay_alu instid0(SALU_CYCLE_1)
	s_and_b32 vcc_lo, exec_lo, s0
	s_cbranch_vccz .LBB22_5641
; %bb.5593:
	s_cmp_lt_i32 s60, 5
	s_cbranch_scc1 .LBB22_5598
; %bb.5594:
	s_cmp_lt_i32 s60, 8
	s_cbranch_scc1 .LBB22_5599
	;; [unrolled: 3-line block ×3, first 2 shown]
; %bb.5596:
	s_cmp_gt_i32 s60, 9
	s_cbranch_scc0 .LBB22_5601
; %bb.5597:
	global_load_b64 v[10:11], v[4:5], off
	s_mov_b32 s0, 0
	s_wait_loadcnt 0x0
	v_cvt_i32_f64_e32 v6, v[10:11]
	s_branch .LBB22_5602
.LBB22_5598:
	s_mov_b32 s0, -1
                                        ; implicit-def: $vgpr6
	s_branch .LBB22_5620
.LBB22_5599:
	s_mov_b32 s0, -1
                                        ; implicit-def: $vgpr6
	s_branch .LBB22_5608
.LBB22_5600:
	s_mov_b32 s0, -1
                                        ; implicit-def: $vgpr6
	s_branch .LBB22_5605
.LBB22_5601:
	s_mov_b32 s0, -1
                                        ; implicit-def: $vgpr6
.LBB22_5602:
	s_delay_alu instid0(SALU_CYCLE_1)
	s_and_not1_b32 vcc_lo, exec_lo, s0
	s_cbranch_vccnz .LBB22_5604
; %bb.5603:
	global_load_b32 v1, v[4:5], off
	s_wait_loadcnt 0x0
	v_cvt_i32_f32_e32 v6, v1
.LBB22_5604:
	s_mov_b32 s0, 0
.LBB22_5605:
	s_delay_alu instid0(SALU_CYCLE_1)
	s_and_not1_b32 vcc_lo, exec_lo, s0
	s_cbranch_vccnz .LBB22_5607
; %bb.5606:
	global_load_b32 v1, v[4:5], off
	s_wait_loadcnt 0x0
	v_cvt_f32_f16_e32 v1, v1
	s_delay_alu instid0(VALU_DEP_1)
	v_cvt_i32_f32_e32 v6, v1
.LBB22_5607:
	s_mov_b32 s0, 0
.LBB22_5608:
	s_delay_alu instid0(SALU_CYCLE_1)
	s_and_not1_b32 vcc_lo, exec_lo, s0
	s_cbranch_vccnz .LBB22_5619
; %bb.5609:
	s_cmp_lt_i32 s60, 6
	s_cbranch_scc1 .LBB22_5612
; %bb.5610:
	s_cmp_gt_i32 s60, 6
	s_cbranch_scc0 .LBB22_5613
; %bb.5611:
	global_load_b64 v[10:11], v[4:5], off
	s_mov_b32 s0, 0
	s_wait_loadcnt 0x0
	v_cvt_i32_f64_e32 v6, v[10:11]
	s_branch .LBB22_5614
.LBB22_5612:
	s_mov_b32 s0, -1
                                        ; implicit-def: $vgpr6
	s_branch .LBB22_5617
.LBB22_5613:
	s_mov_b32 s0, -1
                                        ; implicit-def: $vgpr6
.LBB22_5614:
	s_delay_alu instid0(SALU_CYCLE_1)
	s_and_not1_b32 vcc_lo, exec_lo, s0
	s_cbranch_vccnz .LBB22_5616
; %bb.5615:
	global_load_b32 v1, v[4:5], off
	s_wait_loadcnt 0x0
	v_cvt_i32_f32_e32 v6, v1
.LBB22_5616:
	s_mov_b32 s0, 0
.LBB22_5617:
	s_delay_alu instid0(SALU_CYCLE_1)
	s_and_not1_b32 vcc_lo, exec_lo, s0
	s_cbranch_vccnz .LBB22_5619
; %bb.5618:
	global_load_u16 v1, v[4:5], off
	s_wait_loadcnt 0x0
	v_cvt_f32_f16_e32 v1, v1
	s_delay_alu instid0(VALU_DEP_1)
	v_cvt_i32_f32_e32 v6, v1
.LBB22_5619:
	s_mov_b32 s0, 0
.LBB22_5620:
	s_delay_alu instid0(SALU_CYCLE_1)
	s_and_not1_b32 vcc_lo, exec_lo, s0
	s_cbranch_vccnz .LBB22_5640
; %bb.5621:
	s_cmp_lt_i32 s60, 2
	s_cbranch_scc1 .LBB22_5625
; %bb.5622:
	s_cmp_lt_i32 s60, 3
	s_cbranch_scc1 .LBB22_5626
; %bb.5623:
	s_cmp_gt_i32 s60, 3
	s_cbranch_scc0 .LBB22_5627
; %bb.5624:
	s_wait_loadcnt 0x0
	global_load_b32 v6, v[4:5], off
	s_mov_b32 s0, 0
	s_branch .LBB22_5628
.LBB22_5625:
	s_mov_b32 s0, -1
                                        ; implicit-def: $vgpr6
	s_branch .LBB22_5634
.LBB22_5626:
	s_mov_b32 s0, -1
                                        ; implicit-def: $vgpr6
	s_branch .LBB22_5631
.LBB22_5627:
	s_mov_b32 s0, -1
                                        ; implicit-def: $vgpr6
.LBB22_5628:
	s_delay_alu instid0(SALU_CYCLE_1)
	s_and_not1_b32 vcc_lo, exec_lo, s0
	s_cbranch_vccnz .LBB22_5630
; %bb.5629:
	s_wait_loadcnt 0x0
	global_load_b32 v6, v[4:5], off
.LBB22_5630:
	s_mov_b32 s0, 0
.LBB22_5631:
	s_delay_alu instid0(SALU_CYCLE_1)
	s_and_not1_b32 vcc_lo, exec_lo, s0
	s_cbranch_vccnz .LBB22_5633
; %bb.5632:
	s_wait_loadcnt 0x0
	global_load_i16 v6, v[4:5], off
.LBB22_5633:
	s_mov_b32 s0, 0
.LBB22_5634:
	s_delay_alu instid0(SALU_CYCLE_1)
	s_and_not1_b32 vcc_lo, exec_lo, s0
	s_cbranch_vccnz .LBB22_5640
; %bb.5635:
	s_cmp_gt_i32 s60, 0
	s_mov_b32 s0, 0
	s_cbranch_scc0 .LBB22_5637
; %bb.5636:
	s_wait_loadcnt 0x0
	global_load_i8 v6, v[4:5], off
	s_branch .LBB22_5638
.LBB22_5637:
	s_mov_b32 s0, -1
                                        ; implicit-def: $vgpr6
.LBB22_5638:
	s_delay_alu instid0(SALU_CYCLE_1)
	s_and_not1_b32 vcc_lo, exec_lo, s0
	s_cbranch_vccnz .LBB22_5640
; %bb.5639:
	s_wait_loadcnt 0x0
	global_load_u8 v6, v[4:5], off
.LBB22_5640:
	s_mov_b32 s8, -1
.LBB22_5641:
	s_delay_alu instid0(SALU_CYCLE_1)
	s_and_not1_b32 vcc_lo, exec_lo, s8
	s_cbranch_vccnz .LBB22_5650
; %bb.5642:
	s_mov_b32 s0, exec_lo
	s_wait_loadcnt 0x0
	v_cmpx_ne_u32_e64 v7, v23
	s_xor_b32 s0, exec_lo, s0
	s_cbranch_execnz .LBB22_5993
.LBB22_5643:
	s_or_saveexec_b32 s16, s0
	s_mov_b32 s5, 0
	s_mov_b32 s8, 0
                                        ; implicit-def: $vgpr14_vgpr15
                                        ; implicit-def: $sgpr0
	s_xor_b32 exec_lo, exec_lo, s16
	s_cbranch_execz .LBB22_5988
; %bb.5644:
	s_mov_b32 s17, s23
	s_mov_b32 s0, exec_lo
	v_cmpx_ne_u32_e64 v9, v24
	s_xor_b32 s0, exec_lo, s0
	s_cbranch_execnz .LBB22_5995
; %bb.5645:
	s_or_saveexec_b32 s26, s0
                                        ; implicit-def: $vgpr14_vgpr15
                                        ; implicit-def: $sgpr0
	s_delay_alu instid0(SALU_CYCLE_1)
	s_xor_b32 exec_lo, exec_lo, s26
	s_cbranch_execz .LBB22_5987
.LBB22_5646:
	v_sub_nc_u32_e32 v1, v2, v0
	s_delay_alu instid0(VALU_DEP_1) | instskip(SKIP_3) | instid1(SALU_CYCLE_1)
	v_cmp_gt_i32_e32 vcc_lo, v23, v1
	v_cmp_lt_i32_e64 s0, s18, v1
	s_mov_b32 s18, s17
	s_or_b32 s0, vcc_lo, s0
	s_and_saveexec_b32 s5, s0
	s_delay_alu instid0(SALU_CYCLE_1)
	s_xor_b32 s0, exec_lo, s5
	s_cbranch_execnz .LBB22_5997
; %bb.5647:
	s_or_saveexec_b32 s27, s0
	s_mov_b32 s5, 0
                                        ; implicit-def: $vgpr14_vgpr15
                                        ; implicit-def: $sgpr0
	s_xor_b32 exec_lo, exec_lo, s27
	s_cbranch_execz .LBB22_5986
.LBB22_5648:
	v_cmp_ne_u32_e32 vcc_lo, 1, v25
	v_mov_b64_e32 v[4:5], 0
	s_cbranch_vccnz .LBB22_5661
; %bb.5649:
	v_ashrrev_i32_e32 v7, 31, v6
	v_mov_b64_e32 v[4:5], 0
	s_lshl_b64 s[8:9], s[4:5], 3
	s_delay_alu instid0(SALU_CYCLE_1) | instskip(NEXT) | instid1(VALU_DEP_2)
	s_add_nc_u64 s[8:9], s[24:25], s[8:9]
	v_mul_u64_e32 v[8:9], s[6:7], v[6:7]
	v_mov_b32_e32 v6, 0
	s_mov_b64 s[6:7], 0xffffffff
	s_add_nc_u64 s[8:9], s[8:9], 0x68
	s_branch .LBB22_5657
.LBB22_5650:
	s_mov_b32 s5, 0
	s_mov_b32 s8, 0
                                        ; implicit-def: $vgpr14_vgpr15
                                        ; implicit-def: $sgpr0
.LBB22_5651:
	s_and_not1_b32 s1, s1, exec_lo
	s_and_b32 s2, s23, exec_lo
	s_and_b32 s26, s8, exec_lo
	;; [unrolled: 1-line block ×3, first 2 shown]
	s_or_b32 s1, s1, s2
.LBB22_5652:
	s_wait_xcnt 0x0
	s_or_b32 exec_lo, exec_lo, s22
	s_delay_alu instid0(SALU_CYCLE_1)
	s_and_not1_b32 s2, s66, exec_lo
	s_and_b32 s3, s1, exec_lo
	s_and_b32 s22, s26, exec_lo
	;; [unrolled: 1-line block ×3, first 2 shown]
	s_or_b32 s66, s2, s3
.LBB22_5653:
	s_or_b32 exec_lo, exec_lo, s67
	s_delay_alu instid0(SALU_CYCLE_1)
	s_and_not1_b32 s2, s62, exec_lo
	s_and_b32 s3, s66, exec_lo
	s_and_b32 s5, s22, exec_lo
	;; [unrolled: 1-line block ×3, first 2 shown]
	s_or_b32 s62, s2, s3
.LBB22_5654:
	s_or_b32 exec_lo, exec_lo, s65
	s_delay_alu instid0(SALU_CYCLE_1)
	s_and_not1_b32 s2, s55, exec_lo
	s_and_b32 s3, s62, exec_lo
	s_and_b32 s5, s5, exec_lo
	;; [unrolled: 1-line block ×3, first 2 shown]
	s_or_b32 s55, s2, s3
.LBB22_5655:
	s_or_b32 exec_lo, exec_lo, s61
	s_branch .LBB22_4985
.LBB22_5656:                            ;   in Loop: Header=BB22_5657 Depth=1
	s_or_b32 exec_lo, exec_lo, s0
	s_delay_alu instid0(VALU_DEP_1)
	v_mul_u64_e32 v[12:13], s[10:11], v[10:11]
	s_load_b64 s[10:11], s[8:9], 0x40
	s_add_co_i32 s46, s46, -1
	s_wait_xcnt 0x0
	s_add_nc_u64 s[8:9], s[8:9], -8
	s_cmp_eq_u32 s46, 0
	s_delay_alu instid0(VALU_DEP_1) | instskip(SKIP_1) | instid1(VALU_DEP_1)
	v_sub_nc_u64_e32 v[8:9], v[8:9], v[12:13]
	s_wait_kmcnt 0x0
	v_mad_nc_u64_u32 v[4:5], v8, s10, v[4:5]
	s_delay_alu instid0(VALU_DEP_1) | instskip(NEXT) | instid1(VALU_DEP_1)
	v_mad_u32 v1, v9, s10, v5
	v_mad_u32 v5, v8, s11, v1
	v_mov_b64_e32 v[8:9], v[10:11]
	s_cbranch_scc1 .LBB22_5661
.LBB22_5657:                            ; =>This Inner Loop Header: Depth=1
	s_load_b64 s[10:11], s[8:9], 0x0
                                        ; implicit-def: $vgpr10_vgpr11
	s_mov_b32 s0, exec_lo
	s_wait_kmcnt 0x0
	s_delay_alu instid0(VALU_DEP_1) | instskip(NEXT) | instid1(VALU_DEP_1)
	v_or_b32_e32 v7, s11, v9
	v_cmpx_ne_u64_e32 0, v[6:7]
	s_xor_b32 s28, exec_lo, s0
	s_cbranch_execz .LBB22_5659
; %bb.5658:                             ;   in Loop: Header=BB22_5657 Depth=1
	s_ashr_i32 s12, s11, 31
	v_dual_mov_b32 v15, v6 :: v_dual_ashrrev_i32 v10, 31, v9
	s_mov_b32 s13, s12
	v_mov_b32_e32 v25, v6
	s_add_nc_u64 s[14:15], s[10:11], s[12:13]
	s_delay_alu instid0(VALU_DEP_2) | instskip(SKIP_1) | instid1(SALU_CYCLE_1)
	v_mov_b32_e32 v11, v10
	s_xor_b64 s[14:15], s[14:15], s[12:13]
	s_cvt_f32_u32 s0, s14
	s_cvt_f32_u32 s4, s15
	s_sub_nc_u64 s[34:35], 0, s[14:15]
	v_add_nc_u64_e32 v[12:13], v[8:9], v[10:11]
	v_mov_b32_e32 v19, v6
	s_fmamk_f32 s0, s4, 0x4f800000, s0
	s_delay_alu instid0(SALU_CYCLE_3) | instskip(NEXT) | instid1(VALU_DEP_2)
	v_s_rcp_f32 s0, s0
	v_xor_b32_e32 v14, v12, v10
	s_delay_alu instid0(VALU_DEP_3) | instskip(NEXT) | instid1(TRANS32_DEP_1)
	v_xor_b32_e32 v18, v13, v10
	s_mul_f32 s0, s0, 0x5f7ffffc
	s_delay_alu instid0(SALU_CYCLE_3) | instskip(NEXT) | instid1(SALU_CYCLE_3)
	s_mul_f32 s4, s0, 0x2f800000
	s_trunc_f32 s4, s4
	s_delay_alu instid0(SALU_CYCLE_3) | instskip(SKIP_1) | instid1(SALU_CYCLE_2)
	s_fmamk_f32 s0, s4, 0xcf800000, s0
	s_cvt_u32_f32 s31, s4
	s_cvt_u32_f32 s30, s0
	s_delay_alu instid0(SALU_CYCLE_3) | instskip(NEXT) | instid1(SALU_CYCLE_1)
	s_mul_u64 s[56:57], s[34:35], s[30:31]
	s_mul_hi_u32 s59, s30, s57
	s_mul_i32 s58, s30, s57
	s_mul_hi_u32 s4, s30, s56
	s_mul_i32 s13, s31, s56
	s_add_nc_u64 s[58:59], s[4:5], s[58:59]
	s_mul_hi_u32 s0, s31, s56
	s_mul_hi_u32 s29, s31, s57
	s_add_co_u32 s4, s58, s13
	s_add_co_ci_u32 s4, s59, s0
	s_mul_i32 s56, s31, s57
	s_add_co_ci_u32 s57, s29, 0
	s_delay_alu instid0(SALU_CYCLE_1) | instskip(NEXT) | instid1(SALU_CYCLE_1)
	s_add_nc_u64 s[56:57], s[4:5], s[56:57]
	s_add_co_u32 s30, s30, s56
	s_cselect_b32 s0, -1, 0
	s_delay_alu instid0(SALU_CYCLE_1) | instskip(SKIP_1) | instid1(SALU_CYCLE_1)
	s_cmp_lg_u32 s0, 0
	s_add_co_ci_u32 s31, s31, s57
	s_mul_u64 s[34:35], s[34:35], s[30:31]
	s_delay_alu instid0(SALU_CYCLE_1)
	s_mul_hi_u32 s57, s30, s35
	s_mul_i32 s56, s30, s35
	s_mul_hi_u32 s4, s30, s34
	s_mul_i32 s13, s31, s34
	s_add_nc_u64 s[56:57], s[4:5], s[56:57]
	s_mul_hi_u32 s0, s31, s34
	s_mul_hi_u32 s29, s31, s35
	s_add_co_u32 s4, s56, s13
	s_add_co_ci_u32 s4, s57, s0
	s_mul_i32 s34, s31, s35
	s_add_co_ci_u32 s35, s29, 0
	s_delay_alu instid0(SALU_CYCLE_1) | instskip(NEXT) | instid1(SALU_CYCLE_1)
	s_add_nc_u64 s[34:35], s[4:5], s[34:35]
	s_add_co_u32 s0, s30, s34
	s_cselect_b32 s4, -1, 0
	v_mul_hi_u32 v24, v14, s0
	s_cmp_lg_u32 s4, 0
	s_add_co_ci_u32 s4, s31, s35
	s_and_b64 s[30:31], s[0:1], s[6:7]
	v_mul_u64_e32 v[16:17], s[4:5], v[14:15]
	v_mul_u64_e32 v[12:13], s[30:31], v[18:19]
	;; [unrolled: 1-line block ×3, first 2 shown]
	s_delay_alu instid0(VALU_DEP_3) | instskip(NEXT) | instid1(VALU_DEP_1)
	v_add_nc_u64_e32 v[16:17], v[24:25], v[16:17]
	v_add_co_u32 v1, vcc_lo, v16, v12
	s_delay_alu instid0(VALU_DEP_2) | instskip(NEXT) | instid1(VALU_DEP_4)
	v_add_co_ci_u32_e32 v24, vcc_lo, v17, v13, vcc_lo
	v_add_co_ci_u32_e32 v21, vcc_lo, 0, v21, vcc_lo
	s_delay_alu instid0(VALU_DEP_1) | instskip(NEXT) | instid1(VALU_DEP_1)
	v_add_nc_u64_e32 v[12:13], v[24:25], v[20:21]
	v_mul_u64_e32 v[16:17], s[14:15], v[12:13]
	s_delay_alu instid0(VALU_DEP_1) | instskip(NEXT) | instid1(VALU_DEP_2)
	v_sub_nc_u32_e32 v1, v18, v17
	v_sub_co_u32 v3, vcc_lo, v14, v16
	s_delay_alu instid0(VALU_DEP_1) | instskip(NEXT) | instid1(VALU_DEP_3)
	v_sub_co_ci_u32_e64 v11, null, v18, v17, vcc_lo
	v_subrev_co_ci_u32_e64 v1, null, s15, v1, vcc_lo
	s_delay_alu instid0(VALU_DEP_3) | instskip(SKIP_1) | instid1(VALU_DEP_3)
	v_sub_co_u32 v7, s0, v3, s14
	v_add_nc_u64_e32 v[16:17], 1, v[12:13]
	v_subrev_co_ci_u32_e64 v1, null, 0, v1, s0
	s_delay_alu instid0(VALU_DEP_3) | instskip(SKIP_1) | instid1(VALU_DEP_3)
	v_cmp_le_u32_e32 vcc_lo, s14, v7
	v_cndmask_b32_e64 v7, 0, -1, vcc_lo
	v_cmp_le_u32_e32 vcc_lo, s15, v1
	v_cndmask_b32_e64 v14, 0, -1, vcc_lo
	;; [unrolled: 2-line block ×4, first 2 shown]
	v_cmp_eq_u32_e32 vcc_lo, s15, v1
	v_cndmask_b32_e32 v1, v14, v7, vcc_lo
	v_cmp_eq_u32_e32 vcc_lo, s15, v11
	v_add_nc_u64_e32 v[14:15], 2, v[12:13]
	v_cndmask_b32_e32 v3, v18, v3, vcc_lo
	s_delay_alu instid0(VALU_DEP_4) | instskip(NEXT) | instid1(VALU_DEP_2)
	v_cmp_ne_u32_e32 vcc_lo, 0, v1
	v_cmp_ne_u32_e64 s0, 0, v3
	s_delay_alu instid0(VALU_DEP_4) | instskip(NEXT) | instid1(VALU_DEP_1)
	v_dual_cndmask_b32 v1, v17, v15, vcc_lo :: v_dual_cndmask_b32 v3, v16, v14, vcc_lo
	v_dual_cndmask_b32 v1, v13, v1, s0 :: v_dual_bitop2_b32 v10, s12, v10 bitop3:0x14
	s_delay_alu instid0(VALU_DEP_1) | instskip(NEXT) | instid1(VALU_DEP_2)
	v_dual_cndmask_b32 v3, v12, v3, s0 :: v_dual_mov_b32 v11, v10
	v_xor_b32_e32 v13, v1, v10
	s_delay_alu instid0(VALU_DEP_2) | instskip(NEXT) | instid1(VALU_DEP_1)
	v_xor_b32_e32 v12, v3, v10
	v_sub_nc_u64_e32 v[10:11], v[12:13], v[10:11]
.LBB22_5659:                            ;   in Loop: Header=BB22_5657 Depth=1
	s_and_not1_saveexec_b32 s0, s28
	s_cbranch_execz .LBB22_5656
; %bb.5660:                             ;   in Loop: Header=BB22_5657 Depth=1
	v_cvt_f32_u32_e32 v1, s10
	s_sub_co_i32 s4, 0, s10
	v_mov_b32_e32 v11, v6
	s_delay_alu instid0(VALU_DEP_2) | instskip(SKIP_1) | instid1(TRANS32_DEP_1)
	v_rcp_iflag_f32_e32 v1, v1
	v_nop
	v_mul_f32_e32 v1, 0x4f7ffffe, v1
	s_delay_alu instid0(VALU_DEP_1) | instskip(NEXT) | instid1(VALU_DEP_1)
	v_cvt_u32_f32_e32 v1, v1
	v_mul_lo_u32 v3, s4, v1
	s_delay_alu instid0(VALU_DEP_1) | instskip(NEXT) | instid1(VALU_DEP_1)
	v_mul_hi_u32 v3, v1, v3
	v_add_nc_u32_e32 v1, v1, v3
	s_delay_alu instid0(VALU_DEP_1) | instskip(NEXT) | instid1(VALU_DEP_1)
	v_mul_hi_u32 v1, v8, v1
	v_mul_lo_u32 v3, v1, s10
	s_delay_alu instid0(VALU_DEP_1) | instskip(NEXT) | instid1(VALU_DEP_1)
	v_sub_nc_u32_e32 v3, v8, v3
	v_subrev_nc_u32_e32 v10, s10, v3
	v_cmp_le_u32_e32 vcc_lo, s10, v3
	s_delay_alu instid0(VALU_DEP_2) | instskip(NEXT) | instid1(VALU_DEP_1)
	v_dual_add_nc_u32 v7, 1, v1 :: v_dual_cndmask_b32 v3, v3, v10, vcc_lo
	v_cndmask_b32_e32 v1, v1, v7, vcc_lo
	s_delay_alu instid0(VALU_DEP_2) | instskip(NEXT) | instid1(VALU_DEP_2)
	v_cmp_le_u32_e32 vcc_lo, s10, v3
	v_add_nc_u32_e32 v7, 1, v1
	s_delay_alu instid0(VALU_DEP_1)
	v_cndmask_b32_e32 v10, v1, v7, vcc_lo
	s_branch .LBB22_5656
.LBB22_5661:
	s_mov_b32 s8, -1
	s_mov_b32 s4, s18
	s_mov_b32 s0, exec_lo
	v_cmpx_gt_i32_e64 v2, v0
	s_cbranch_execz .LBB22_5668
; %bb.5662:
	s_delay_alu instid0(VALU_DEP_2) | instskip(SKIP_3) | instid1(VALU_DEP_1)
	v_lshlrev_b64_e32 v[4:5], 2, v[4:5]
	v_dual_ashrrev_i32 v1, 31, v0 :: v_dual_ashrrev_i32 v3, 31, v2
	s_mov_b32 s5, 0
	s_xor_b32 s6, s47, -1
                                        ; implicit-def: $sgpr4
                                        ; implicit-def: $sgpr8
                                        ; implicit-def: $sgpr7
	v_lshl_add_u64 v[0:1], v[0:1], 2, v[4:5]
	s_wait_kmcnt 0x0
	v_add_nc_u64_e32 v[4:5], s[20:21], v[4:5]
	s_delay_alu instid0(VALU_DEP_2) | instskip(NEXT) | instid1(VALU_DEP_2)
	v_add_nc_u64_e32 v[0:1], s[20:21], v[0:1]
	v_lshl_add_u64 v[2:3], v[2:3], 2, v[4:5]
	s_delay_alu instid0(VALU_DEP_2)
	v_add_nc_u64_e32 v[0:1], 4, v[0:1]
	s_branch .LBB22_5664
.LBB22_5663:                            ;   in Loop: Header=BB22_5664 Depth=1
	s_or_b32 exec_lo, exec_lo, s9
	s_xor_b32 s9, s7, -1
	s_and_b32 s10, exec_lo, s8
	s_delay_alu instid0(SALU_CYCLE_1) | instskip(SKIP_2) | instid1(SALU_CYCLE_1)
	s_or_b32 s5, s10, s5
	s_and_not1_b32 s4, s4, exec_lo
	s_and_b32 s9, s9, exec_lo
	s_or_b32 s4, s4, s9
	s_and_not1_b32 exec_lo, exec_lo, s5
	s_cbranch_execz .LBB22_5666
.LBB22_5664:                            ; =>This Inner Loop Header: Depth=1
	s_or_b32 s7, s7, exec_lo
	s_or_b32 s8, s8, exec_lo
	s_mov_b32 s9, exec_lo
	s_delay_alu instid0(VALU_DEP_1)
	v_cmpx_lt_u64_e64 v[0:1], v[2:3]
	s_cbranch_execz .LBB22_5663
; %bb.5665:                             ;   in Loop: Header=BB22_5664 Depth=1
	global_load_b64 v[4:5], v[0:1], off offset:-4
	s_wait_xcnt 0x0
	v_add_nc_u64_e32 v[0:1], 4, v[0:1]
	s_and_not1_b32 s8, s8, exec_lo
	s_and_not1_b32 s7, s7, exec_lo
	s_wait_loadcnt 0x0
	v_cmp_ge_i32_e32 vcc_lo, v4, v5
	s_or_b32 s10, s6, vcc_lo
	s_delay_alu instid0(SALU_CYCLE_1) | instskip(NEXT) | instid1(SALU_CYCLE_1)
	s_and_b32 s10, s10, exec_lo
	s_or_b32 s8, s8, s10
	s_branch .LBB22_5663
.LBB22_5666:
	s_or_b32 exec_lo, exec_lo, s5
	s_mov_b32 s5, -1
	s_mov_b32 s6, s18
	s_and_saveexec_b32 s7, s4
	s_delay_alu instid0(SALU_CYCLE_1)
	s_xor_b32 s4, exec_lo, s7
	s_cbranch_execnz .LBB22_5990
.LBB22_5667:
	s_or_b32 exec_lo, exec_lo, s4
	s_delay_alu instid0(SALU_CYCLE_1)
	s_and_not1_b32 s4, s18, exec_lo
	s_and_b32 s6, s6, exec_lo
	s_or_not1_b32 s8, s5, exec_lo
	s_or_b32 s4, s4, s6
.LBB22_5668:
	s_or_b32 exec_lo, exec_lo, s0
	s_mov_b32 s6, 0
	s_mov_b32 s7, 0
                                        ; implicit-def: $vgpr14_vgpr15
                                        ; implicit-def: $sgpr0
	s_and_saveexec_b32 s5, s8
	s_cbranch_execz .LBB22_5985
; %bb.5669:
	s_load_b32 s0, s[24:25], 0xf0
	v_mul_lo_u32 v0, s33, v22
	s_delay_alu instid0(VALU_DEP_1) | instskip(NEXT) | instid1(VALU_DEP_1)
	v_ashrrev_i32_e32 v1, 31, v0
	v_add_nc_u64_e32 v[2:3], s[2:3], v[0:1]
	s_wait_kmcnt 0x0
	s_and_b32 s0, s0, 0xff
	s_delay_alu instid0(SALU_CYCLE_1)
	s_cmp_lt_i32 s0, 11
	s_cbranch_scc1 .LBB22_5718
; %bb.5670:
	s_and_b32 s6, 0xffff, s0
	s_mov_b32 s10, -1
	s_mov_b32 s9, 0
	s_cmp_gt_i32 s6, 25
	s_mov_b32 s8, 0
	s_cbranch_scc0 .LBB22_5695
; %bb.5671:
	s_cmp_gt_i32 s6, 28
	s_cbranch_scc0 .LBB22_5684
; %bb.5672:
	s_cmp_gt_i32 s6, 43
	;; [unrolled: 3-line block ×3, first 2 shown]
	s_cbranch_scc0 .LBB22_5676
; %bb.5674:
	s_mov_b32 s7, -1
	s_mov_b32 s10, 0
	s_cmp_eq_u32 s6, 46
	s_cbranch_scc0 .LBB22_5676
; %bb.5675:
	v_mov_b32_e32 v1, 0
	s_mov_b32 s7, 0
	s_mov_b32 s8, -1
	global_store_b32 v[2:3], v1, off
.LBB22_5676:
	s_and_b32 vcc_lo, exec_lo, s10
	s_cbranch_vccz .LBB22_5679
; %bb.5677:
	s_cmp_eq_u32 s6, 44
	s_mov_b32 s7, -1
	s_cbranch_scc0 .LBB22_5679
; %bb.5678:
	s_wait_xcnt 0x0
	v_mov_b32_e32 v1, 0
	s_mov_b32 s7, 0
	s_mov_b32 s8, -1
	global_store_b8 v[2:3], v1, off
.LBB22_5679:
	s_mov_b32 s10, 0
.LBB22_5680:
	s_delay_alu instid0(SALU_CYCLE_1)
	s_and_b32 vcc_lo, exec_lo, s10
	s_cbranch_vccz .LBB22_5683
; %bb.5681:
	s_cmp_eq_u32 s6, 29
	s_mov_b32 s7, -1
	s_cbranch_scc0 .LBB22_5683
; %bb.5682:
	v_mov_b64_e32 v[4:5], 0
	s_mov_b32 s7, 0
	s_mov_b32 s8, -1
	global_store_b64 v[2:3], v[4:5], off
.LBB22_5683:
	s_mov_b32 s10, 0
.LBB22_5684:
	s_delay_alu instid0(SALU_CYCLE_1)
	s_and_b32 vcc_lo, exec_lo, s10
	s_cbranch_vccz .LBB22_5694
; %bb.5685:
	s_cmp_lt_i32 s6, 27
	s_mov_b32 s8, -1
	s_cbranch_scc1 .LBB22_5691
; %bb.5686:
	s_cmp_gt_i32 s6, 27
	s_cbranch_scc0 .LBB22_5688
; %bb.5687:
	s_wait_xcnt 0x0
	v_mov_b32_e32 v1, 0
	s_mov_b32 s8, 0
	global_store_b32 v[2:3], v1, off
.LBB22_5688:
	s_and_not1_b32 vcc_lo, exec_lo, s8
	s_cbranch_vccnz .LBB22_5690
; %bb.5689:
	s_wait_xcnt 0x0
	v_mov_b32_e32 v1, 0
	global_store_b16 v[2:3], v1, off
.LBB22_5690:
	s_mov_b32 s8, 0
.LBB22_5691:
	s_delay_alu instid0(SALU_CYCLE_1)
	s_and_not1_b32 vcc_lo, exec_lo, s8
	s_cbranch_vccnz .LBB22_5693
; %bb.5692:
	s_wait_xcnt 0x0
	v_mov_b32_e32 v1, 0
	global_store_b8 v[2:3], v1, off
.LBB22_5693:
	s_mov_b32 s8, -1
.LBB22_5694:
	s_mov_b32 s10, 0
.LBB22_5695:
	s_delay_alu instid0(SALU_CYCLE_1)
	s_and_b32 vcc_lo, exec_lo, s10
	s_cbranch_vccz .LBB22_5713
; %bb.5696:
	s_cmp_gt_i32 s6, 22
	s_mov_b32 s9, -1
	s_cbranch_scc0 .LBB22_5706
; %bb.5697:
	s_cmp_lt_i32 s6, 24
	s_mov_b32 s8, -1
	s_cbranch_scc1 .LBB22_5703
; %bb.5698:
	s_cmp_gt_i32 s6, 24
	s_cbranch_scc0 .LBB22_5700
; %bb.5699:
	s_wait_xcnt 0x0
	v_mov_b32_e32 v1, 0
	s_mov_b32 s8, 0
	global_store_b8 v[2:3], v1, off
.LBB22_5700:
	s_and_not1_b32 vcc_lo, exec_lo, s8
	s_cbranch_vccnz .LBB22_5702
; %bb.5701:
	s_wait_xcnt 0x0
	v_mov_b32_e32 v1, 0
	global_store_b8 v[2:3], v1, off
.LBB22_5702:
	s_mov_b32 s8, 0
.LBB22_5703:
	s_delay_alu instid0(SALU_CYCLE_1)
	s_and_not1_b32 vcc_lo, exec_lo, s8
	s_cbranch_vccnz .LBB22_5705
; %bb.5704:
	s_wait_xcnt 0x0
	v_mov_b32_e32 v1, 0
	global_store_b8 v[2:3], v1, off
.LBB22_5705:
	s_mov_b32 s9, 0
	s_mov_b32 s8, -1
.LBB22_5706:
	s_and_not1_b32 vcc_lo, exec_lo, s9
	s_mov_b32 s9, 0
	s_cbranch_vccnz .LBB22_5713
; %bb.5707:
	s_cmp_gt_i32 s6, 14
	s_mov_b32 s9, -1
	s_cbranch_scc0 .LBB22_5711
; %bb.5708:
	s_cmp_eq_u32 s6, 15
	s_mov_b32 s7, -1
	s_cbranch_scc0 .LBB22_5710
; %bb.5709:
	s_wait_xcnt 0x0
	v_mov_b32_e32 v1, 0
	s_mov_b32 s7, 0
	s_mov_b32 s8, -1
	global_store_b16 v[2:3], v1, off
.LBB22_5710:
	s_mov_b32 s9, 0
.LBB22_5711:
	s_delay_alu instid0(SALU_CYCLE_1)
	s_and_b32 vcc_lo, exec_lo, s9
	s_mov_b32 s9, 0
	s_cbranch_vccz .LBB22_5713
; %bb.5712:
	s_cmp_lg_u32 s6, 11
	s_mov_b32 s9, -1
	s_cselect_b32 s7, -1, 0
.LBB22_5713:
	s_delay_alu instid0(SALU_CYCLE_1)
	s_and_b32 vcc_lo, exec_lo, s7
	s_mov_b32 s6, s4
	s_cbranch_vccnz .LBB22_5991
; %bb.5714:
	s_and_not1_b32 vcc_lo, exec_lo, s9
	s_cbranch_vccnz .LBB22_5716
.LBB22_5715:
	s_wait_xcnt 0x0
	v_mov_b32_e32 v1, 0
	s_mov_b32 s8, -1
	global_store_b8 v[2:3], v1, off
.LBB22_5716:
	s_mov_b32 s7, 0
	s_branch .LBB22_5719
.LBB22_5717:
	s_or_b32 s23, s23, exec_lo
	s_trap 2
	s_cbranch_execz .LBB22_5590
	s_branch .LBB22_5591
.LBB22_5718:
	s_mov_b32 s7, -1
	s_mov_b32 s8, 0
	s_mov_b32 s6, s4
.LBB22_5719:
	s_and_b32 vcc_lo, exec_lo, s7
	s_cbranch_vccz .LBB22_5758
; %bb.5720:
	s_and_b32 s7, 0xffff, s0
	s_mov_b32 s8, -1
	s_cmp_lt_i32 s7, 5
	s_cbranch_scc1 .LBB22_5741
; %bb.5721:
	s_cmp_lt_i32 s7, 8
	s_cbranch_scc1 .LBB22_5731
; %bb.5722:
	;; [unrolled: 3-line block ×3, first 2 shown]
	s_cmp_gt_i32 s7, 9
	s_cbranch_scc0 .LBB22_5725
; %bb.5724:
	s_wait_xcnt 0x0
	v_mov_b32_e32 v4, 0
	s_mov_b32 s8, 0
	s_delay_alu instid0(VALU_DEP_1)
	v_dual_mov_b32 v5, v4 :: v_dual_mov_b32 v6, v4
	v_mov_b32_e32 v7, v4
	global_store_b128 v[2:3], v[4:7], off
.LBB22_5725:
	s_and_not1_b32 vcc_lo, exec_lo, s8
	s_cbranch_vccnz .LBB22_5727
; %bb.5726:
	s_wait_xcnt 0x0
	v_mov_b64_e32 v[4:5], 0
	global_store_b64 v[2:3], v[4:5], off
.LBB22_5727:
	s_mov_b32 s8, 0
.LBB22_5728:
	s_delay_alu instid0(SALU_CYCLE_1)
	s_and_not1_b32 vcc_lo, exec_lo, s8
	s_cbranch_vccnz .LBB22_5730
; %bb.5729:
	s_wait_xcnt 0x0
	v_mov_b32_e32 v1, 0
	global_store_b32 v[2:3], v1, off
.LBB22_5730:
	s_mov_b32 s8, 0
.LBB22_5731:
	s_delay_alu instid0(SALU_CYCLE_1)
	s_and_not1_b32 vcc_lo, exec_lo, s8
	s_cbranch_vccnz .LBB22_5740
; %bb.5732:
	s_cmp_lt_i32 s7, 6
	s_mov_b32 s8, -1
	s_cbranch_scc1 .LBB22_5738
; %bb.5733:
	s_cmp_gt_i32 s7, 6
	s_cbranch_scc0 .LBB22_5735
; %bb.5734:
	s_wait_xcnt 0x0
	v_mov_b64_e32 v[4:5], 0
	s_mov_b32 s8, 0
	global_store_b64 v[2:3], v[4:5], off
.LBB22_5735:
	s_and_not1_b32 vcc_lo, exec_lo, s8
	s_cbranch_vccnz .LBB22_5737
; %bb.5736:
	s_wait_xcnt 0x0
	v_mov_b32_e32 v1, 0
	global_store_b32 v[2:3], v1, off
.LBB22_5737:
	s_mov_b32 s8, 0
.LBB22_5738:
	s_delay_alu instid0(SALU_CYCLE_1)
	s_and_not1_b32 vcc_lo, exec_lo, s8
	s_cbranch_vccnz .LBB22_5740
; %bb.5739:
	s_wait_xcnt 0x0
	v_mov_b32_e32 v1, 0
	global_store_b16 v[2:3], v1, off
.LBB22_5740:
	s_mov_b32 s8, 0
.LBB22_5741:
	s_delay_alu instid0(SALU_CYCLE_1)
	s_and_not1_b32 vcc_lo, exec_lo, s8
	s_cbranch_vccnz .LBB22_5757
; %bb.5742:
	s_cmp_lt_i32 s7, 2
	s_mov_b32 s8, -1
	s_cbranch_scc1 .LBB22_5752
; %bb.5743:
	s_cmp_lt_i32 s7, 3
	s_cbranch_scc1 .LBB22_5749
; %bb.5744:
	s_cmp_gt_i32 s7, 3
	s_cbranch_scc0 .LBB22_5746
; %bb.5745:
	s_wait_xcnt 0x0
	v_mov_b64_e32 v[4:5], 0
	s_mov_b32 s8, 0
	global_store_b64 v[2:3], v[4:5], off
.LBB22_5746:
	s_and_not1_b32 vcc_lo, exec_lo, s8
	s_cbranch_vccnz .LBB22_5748
; %bb.5747:
	s_wait_xcnt 0x0
	v_mov_b32_e32 v1, 0
	global_store_b32 v[2:3], v1, off
.LBB22_5748:
	s_mov_b32 s8, 0
.LBB22_5749:
	s_delay_alu instid0(SALU_CYCLE_1)
	s_and_not1_b32 vcc_lo, exec_lo, s8
	s_cbranch_vccnz .LBB22_5751
; %bb.5750:
	s_wait_xcnt 0x0
	v_mov_b32_e32 v1, 0
	global_store_b16 v[2:3], v1, off
.LBB22_5751:
	s_mov_b32 s8, 0
.LBB22_5752:
	s_delay_alu instid0(SALU_CYCLE_1)
	s_and_not1_b32 vcc_lo, exec_lo, s8
	s_cbranch_vccnz .LBB22_5757
; %bb.5753:
	s_cmp_gt_i32 s7, 0
	s_mov_b32 s7, -1
	s_cbranch_scc0 .LBB22_5755
; %bb.5754:
	s_wait_xcnt 0x0
	v_mov_b32_e32 v1, 0
	s_mov_b32 s7, 0
	global_store_b8 v[2:3], v1, off
.LBB22_5755:
	s_and_not1_b32 vcc_lo, exec_lo, s7
	s_cbranch_vccnz .LBB22_5757
; %bb.5756:
	s_wait_xcnt 0x0
	v_mov_b32_e32 v1, 0
	global_store_b8 v[2:3], v1, off
.LBB22_5757:
	s_mov_b32 s8, -1
.LBB22_5758:
	s_delay_alu instid0(SALU_CYCLE_1)
	s_and_not1_b32 vcc_lo, exec_lo, s8
	s_cbranch_vccnz .LBB22_5983
; %bb.5759:
	s_lshl_b32 s8, s33, 7
	s_and_b32 s7, 0xffff, s0
	v_add_nc_u32_e32 v0, s8, v0
	s_cmp_lt_i32 s7, 11
	s_wait_xcnt 0x0
	s_delay_alu instid0(VALU_DEP_1) | instskip(NEXT) | instid1(VALU_DEP_1)
	v_ashrrev_i32_e32 v1, 31, v0
	v_add_nc_u64_e32 v[2:3], s[2:3], v[0:1]
	s_cbranch_scc1 .LBB22_5807
; %bb.5760:
	s_mov_b32 s12, -1
	s_mov_b32 s11, 0
	s_cmp_gt_i32 s7, 25
	s_mov_b32 s10, 0
	s_mov_b32 s9, 0
	s_cbranch_scc0 .LBB22_5785
; %bb.5761:
	s_cmp_gt_i32 s7, 28
	s_cbranch_scc0 .LBB22_5774
; %bb.5762:
	s_cmp_gt_i32 s7, 43
	;; [unrolled: 3-line block ×3, first 2 shown]
	s_cbranch_scc0 .LBB22_5766
; %bb.5764:
	s_mov_b32 s9, -1
	s_mov_b32 s12, 0
	s_cmp_eq_u32 s7, 46
	s_cbranch_scc0 .LBB22_5766
; %bb.5765:
	v_mov_b32_e32 v1, 0
	s_mov_b32 s9, 0
	s_mov_b32 s10, -1
	global_store_b32 v[2:3], v1, off
.LBB22_5766:
	s_and_b32 vcc_lo, exec_lo, s12
	s_cbranch_vccz .LBB22_5769
; %bb.5767:
	s_cmp_eq_u32 s7, 44
	s_mov_b32 s9, -1
	s_cbranch_scc0 .LBB22_5769
; %bb.5768:
	s_wait_xcnt 0x0
	v_mov_b32_e32 v1, 0
	s_mov_b32 s9, 0
	s_mov_b32 s10, -1
	global_store_b8 v[2:3], v1, off
.LBB22_5769:
	s_mov_b32 s12, 0
.LBB22_5770:
	s_delay_alu instid0(SALU_CYCLE_1)
	s_and_b32 vcc_lo, exec_lo, s12
	s_cbranch_vccz .LBB22_5773
; %bb.5771:
	s_cmp_eq_u32 s7, 29
	s_mov_b32 s9, -1
	s_cbranch_scc0 .LBB22_5773
; %bb.5772:
	v_mov_b64_e32 v[4:5], 0
	s_mov_b32 s9, 0
	s_mov_b32 s10, -1
	global_store_b64 v[2:3], v[4:5], off
.LBB22_5773:
	s_mov_b32 s12, 0
.LBB22_5774:
	s_delay_alu instid0(SALU_CYCLE_1)
	s_and_b32 vcc_lo, exec_lo, s12
	s_cbranch_vccz .LBB22_5784
; %bb.5775:
	s_cmp_lt_i32 s7, 27
	s_mov_b32 s10, -1
	s_cbranch_scc1 .LBB22_5781
; %bb.5776:
	s_cmp_gt_i32 s7, 27
	s_cbranch_scc0 .LBB22_5778
; %bb.5777:
	s_wait_xcnt 0x0
	v_mov_b32_e32 v1, 0
	s_mov_b32 s10, 0
	global_store_b32 v[2:3], v1, off
.LBB22_5778:
	s_and_not1_b32 vcc_lo, exec_lo, s10
	s_cbranch_vccnz .LBB22_5780
; %bb.5779:
	s_wait_xcnt 0x0
	v_mov_b32_e32 v1, 0
	global_store_b16 v[2:3], v1, off
.LBB22_5780:
	s_mov_b32 s10, 0
.LBB22_5781:
	s_delay_alu instid0(SALU_CYCLE_1)
	s_and_not1_b32 vcc_lo, exec_lo, s10
	s_cbranch_vccnz .LBB22_5783
; %bb.5782:
	s_wait_xcnt 0x0
	v_mov_b32_e32 v1, 0
	global_store_b8 v[2:3], v1, off
.LBB22_5783:
	s_mov_b32 s10, -1
.LBB22_5784:
	s_mov_b32 s12, 0
.LBB22_5785:
	s_delay_alu instid0(SALU_CYCLE_1)
	s_and_b32 vcc_lo, exec_lo, s12
	s_cbranch_vccz .LBB22_5803
; %bb.5786:
	s_cmp_gt_i32 s7, 22
	s_mov_b32 s11, -1
	s_cbranch_scc0 .LBB22_5796
; %bb.5787:
	s_cmp_lt_i32 s7, 24
	s_mov_b32 s10, -1
	s_cbranch_scc1 .LBB22_5793
; %bb.5788:
	s_cmp_gt_i32 s7, 24
	s_cbranch_scc0 .LBB22_5790
; %bb.5789:
	s_wait_xcnt 0x0
	v_mov_b32_e32 v1, 0
	s_mov_b32 s10, 0
	global_store_b8 v[2:3], v1, off
.LBB22_5790:
	s_and_not1_b32 vcc_lo, exec_lo, s10
	s_cbranch_vccnz .LBB22_5792
; %bb.5791:
	s_wait_xcnt 0x0
	v_mov_b32_e32 v1, 0
	global_store_b8 v[2:3], v1, off
.LBB22_5792:
	s_mov_b32 s10, 0
.LBB22_5793:
	s_delay_alu instid0(SALU_CYCLE_1)
	s_and_not1_b32 vcc_lo, exec_lo, s10
	s_cbranch_vccnz .LBB22_5795
; %bb.5794:
	s_wait_xcnt 0x0
	v_mov_b32_e32 v1, 0
	global_store_b8 v[2:3], v1, off
.LBB22_5795:
	s_mov_b32 s11, 0
	s_mov_b32 s10, -1
.LBB22_5796:
	s_and_not1_b32 vcc_lo, exec_lo, s11
	s_mov_b32 s11, 0
	s_cbranch_vccnz .LBB22_5803
; %bb.5797:
	s_cmp_gt_i32 s7, 14
	s_mov_b32 s11, -1
	s_cbranch_scc0 .LBB22_5801
; %bb.5798:
	s_cmp_eq_u32 s7, 15
	s_mov_b32 s9, -1
	s_cbranch_scc0 .LBB22_5800
; %bb.5799:
	s_wait_xcnt 0x0
	v_mov_b32_e32 v1, 0
	s_mov_b32 s9, 0
	s_mov_b32 s10, -1
	global_store_b16 v[2:3], v1, off
.LBB22_5800:
	s_mov_b32 s11, 0
.LBB22_5801:
	s_delay_alu instid0(SALU_CYCLE_1)
	s_and_b32 vcc_lo, exec_lo, s11
	s_mov_b32 s11, 0
	s_cbranch_vccz .LBB22_5803
; %bb.5802:
	s_cmp_lg_u32 s7, 11
	s_mov_b32 s11, -1
	s_cselect_b32 s9, -1, 0
.LBB22_5803:
	s_delay_alu instid0(SALU_CYCLE_1)
	s_and_b32 vcc_lo, exec_lo, s9
	s_cbranch_vccnz .LBB22_5992
; %bb.5804:
	s_and_not1_b32 vcc_lo, exec_lo, s11
	s_cbranch_vccnz .LBB22_5806
.LBB22_5805:
	s_wait_xcnt 0x0
	v_mov_b32_e32 v1, 0
	s_mov_b32 s10, -1
	global_store_b8 v[2:3], v1, off
.LBB22_5806:
	s_mov_b32 s9, 0
	s_branch .LBB22_5808
.LBB22_5807:
	s_mov_b32 s9, -1
	s_mov_b32 s10, 0
.LBB22_5808:
	s_and_b32 vcc_lo, exec_lo, s9
	s_cbranch_vccz .LBB22_5847
; %bb.5809:
	s_cmp_lt_i32 s7, 5
	s_mov_b32 s9, -1
	s_cbranch_scc1 .LBB22_5830
; %bb.5810:
	s_cmp_lt_i32 s7, 8
	s_cbranch_scc1 .LBB22_5820
; %bb.5811:
	s_cmp_lt_i32 s7, 9
	s_cbranch_scc1 .LBB22_5817
; %bb.5812:
	s_cmp_gt_i32 s7, 9
	s_cbranch_scc0 .LBB22_5814
; %bb.5813:
	s_wait_xcnt 0x0
	v_mov_b32_e32 v4, 0
	s_mov_b32 s9, 0
	s_delay_alu instid0(VALU_DEP_1)
	v_dual_mov_b32 v5, v4 :: v_dual_mov_b32 v6, v4
	v_mov_b32_e32 v7, v4
	global_store_b128 v[2:3], v[4:7], off
.LBB22_5814:
	s_and_not1_b32 vcc_lo, exec_lo, s9
	s_cbranch_vccnz .LBB22_5816
; %bb.5815:
	s_wait_xcnt 0x0
	v_mov_b64_e32 v[4:5], 0
	global_store_b64 v[2:3], v[4:5], off
.LBB22_5816:
	s_mov_b32 s9, 0
.LBB22_5817:
	s_delay_alu instid0(SALU_CYCLE_1)
	s_and_not1_b32 vcc_lo, exec_lo, s9
	s_cbranch_vccnz .LBB22_5819
; %bb.5818:
	s_wait_xcnt 0x0
	v_mov_b32_e32 v1, 0
	global_store_b32 v[2:3], v1, off
.LBB22_5819:
	s_mov_b32 s9, 0
.LBB22_5820:
	s_delay_alu instid0(SALU_CYCLE_1)
	s_and_not1_b32 vcc_lo, exec_lo, s9
	s_cbranch_vccnz .LBB22_5829
; %bb.5821:
	s_cmp_lt_i32 s7, 6
	s_mov_b32 s9, -1
	s_cbranch_scc1 .LBB22_5827
; %bb.5822:
	s_cmp_gt_i32 s7, 6
	s_cbranch_scc0 .LBB22_5824
; %bb.5823:
	s_wait_xcnt 0x0
	v_mov_b64_e32 v[4:5], 0
	s_mov_b32 s9, 0
	global_store_b64 v[2:3], v[4:5], off
.LBB22_5824:
	s_and_not1_b32 vcc_lo, exec_lo, s9
	s_cbranch_vccnz .LBB22_5826
; %bb.5825:
	s_wait_xcnt 0x0
	v_mov_b32_e32 v1, 0
	global_store_b32 v[2:3], v1, off
.LBB22_5826:
	s_mov_b32 s9, 0
.LBB22_5827:
	s_delay_alu instid0(SALU_CYCLE_1)
	s_and_not1_b32 vcc_lo, exec_lo, s9
	s_cbranch_vccnz .LBB22_5829
; %bb.5828:
	s_wait_xcnt 0x0
	v_mov_b32_e32 v1, 0
	global_store_b16 v[2:3], v1, off
.LBB22_5829:
	s_mov_b32 s9, 0
.LBB22_5830:
	s_delay_alu instid0(SALU_CYCLE_1)
	s_and_not1_b32 vcc_lo, exec_lo, s9
	s_cbranch_vccnz .LBB22_5846
; %bb.5831:
	s_cmp_lt_i32 s7, 2
	s_mov_b32 s9, -1
	s_cbranch_scc1 .LBB22_5841
; %bb.5832:
	s_cmp_lt_i32 s7, 3
	s_cbranch_scc1 .LBB22_5838
; %bb.5833:
	s_cmp_gt_i32 s7, 3
	s_cbranch_scc0 .LBB22_5835
; %bb.5834:
	s_wait_xcnt 0x0
	v_mov_b64_e32 v[4:5], 0
	s_mov_b32 s9, 0
	global_store_b64 v[2:3], v[4:5], off
.LBB22_5835:
	s_and_not1_b32 vcc_lo, exec_lo, s9
	s_cbranch_vccnz .LBB22_5837
; %bb.5836:
	s_wait_xcnt 0x0
	v_mov_b32_e32 v1, 0
	global_store_b32 v[2:3], v1, off
.LBB22_5837:
	s_mov_b32 s9, 0
.LBB22_5838:
	s_delay_alu instid0(SALU_CYCLE_1)
	s_and_not1_b32 vcc_lo, exec_lo, s9
	s_cbranch_vccnz .LBB22_5840
; %bb.5839:
	s_wait_xcnt 0x0
	v_mov_b32_e32 v1, 0
	global_store_b16 v[2:3], v1, off
.LBB22_5840:
	s_mov_b32 s9, 0
.LBB22_5841:
	s_delay_alu instid0(SALU_CYCLE_1)
	s_and_not1_b32 vcc_lo, exec_lo, s9
	s_cbranch_vccnz .LBB22_5846
; %bb.5842:
	s_cmp_gt_i32 s7, 0
	s_mov_b32 s9, -1
	s_cbranch_scc0 .LBB22_5844
; %bb.5843:
	s_wait_xcnt 0x0
	v_mov_b32_e32 v1, 0
	s_mov_b32 s9, 0
	global_store_b8 v[2:3], v1, off
.LBB22_5844:
	s_and_not1_b32 vcc_lo, exec_lo, s9
	s_cbranch_vccnz .LBB22_5846
; %bb.5845:
	s_wait_xcnt 0x0
	v_mov_b32_e32 v1, 0
	global_store_b8 v[2:3], v1, off
.LBB22_5846:
	s_mov_b32 s10, -1
.LBB22_5847:
	s_delay_alu instid0(SALU_CYCLE_1)
	s_and_not1_b32 vcc_lo, exec_lo, s10
	s_cbranch_vccnz .LBB22_5983
; %bb.5848:
	v_add_nc_u32_e32 v0, s8, v0
	s_cmp_lt_i32 s7, 11
	s_wait_xcnt 0x0
	s_delay_alu instid0(VALU_DEP_1) | instskip(NEXT) | instid1(VALU_DEP_1)
	v_ashrrev_i32_e32 v1, 31, v0
	v_add_nc_u64_e32 v[2:3], s[2:3], v[0:1]
	s_cbranch_scc1 .LBB22_5896
; %bb.5849:
	s_mov_b32 s12, -1
	s_mov_b32 s11, 0
	s_cmp_gt_i32 s7, 25
	s_mov_b32 s10, 0
	s_mov_b32 s9, 0
	s_cbranch_scc0 .LBB22_5874
; %bb.5850:
	s_cmp_gt_i32 s7, 28
	s_cbranch_scc0 .LBB22_5863
; %bb.5851:
	s_cmp_gt_i32 s7, 43
	;; [unrolled: 3-line block ×3, first 2 shown]
	s_cbranch_scc0 .LBB22_5855
; %bb.5853:
	s_mov_b32 s9, -1
	s_mov_b32 s12, 0
	s_cmp_eq_u32 s7, 46
	s_cbranch_scc0 .LBB22_5855
; %bb.5854:
	v_mov_b32_e32 v1, 0
	s_mov_b32 s9, 0
	s_mov_b32 s10, -1
	global_store_b32 v[2:3], v1, off
.LBB22_5855:
	s_and_b32 vcc_lo, exec_lo, s12
	s_cbranch_vccz .LBB22_5858
; %bb.5856:
	s_cmp_eq_u32 s7, 44
	s_mov_b32 s9, -1
	s_cbranch_scc0 .LBB22_5858
; %bb.5857:
	s_wait_xcnt 0x0
	v_mov_b32_e32 v1, 0
	s_mov_b32 s9, 0
	s_mov_b32 s10, -1
	global_store_b8 v[2:3], v1, off
.LBB22_5858:
	s_mov_b32 s12, 0
.LBB22_5859:
	s_delay_alu instid0(SALU_CYCLE_1)
	s_and_b32 vcc_lo, exec_lo, s12
	s_cbranch_vccz .LBB22_5862
; %bb.5860:
	s_cmp_eq_u32 s7, 29
	s_mov_b32 s9, -1
	s_cbranch_scc0 .LBB22_5862
; %bb.5861:
	v_mov_b64_e32 v[4:5], 0
	s_mov_b32 s9, 0
	s_mov_b32 s10, -1
	global_store_b64 v[2:3], v[4:5], off
.LBB22_5862:
	s_mov_b32 s12, 0
.LBB22_5863:
	s_delay_alu instid0(SALU_CYCLE_1)
	s_and_b32 vcc_lo, exec_lo, s12
	s_cbranch_vccz .LBB22_5873
; %bb.5864:
	s_cmp_lt_i32 s7, 27
	s_mov_b32 s10, -1
	s_cbranch_scc1 .LBB22_5870
; %bb.5865:
	s_cmp_gt_i32 s7, 27
	s_cbranch_scc0 .LBB22_5867
; %bb.5866:
	s_wait_xcnt 0x0
	v_mov_b32_e32 v1, 0
	s_mov_b32 s10, 0
	global_store_b32 v[2:3], v1, off
.LBB22_5867:
	s_and_not1_b32 vcc_lo, exec_lo, s10
	s_cbranch_vccnz .LBB22_5869
; %bb.5868:
	s_wait_xcnt 0x0
	v_mov_b32_e32 v1, 0
	global_store_b16 v[2:3], v1, off
.LBB22_5869:
	s_mov_b32 s10, 0
.LBB22_5870:
	s_delay_alu instid0(SALU_CYCLE_1)
	s_and_not1_b32 vcc_lo, exec_lo, s10
	s_cbranch_vccnz .LBB22_5872
; %bb.5871:
	s_wait_xcnt 0x0
	v_mov_b32_e32 v1, 0
	global_store_b8 v[2:3], v1, off
.LBB22_5872:
	s_mov_b32 s10, -1
.LBB22_5873:
	s_mov_b32 s12, 0
.LBB22_5874:
	s_delay_alu instid0(SALU_CYCLE_1)
	s_and_b32 vcc_lo, exec_lo, s12
	s_cbranch_vccz .LBB22_5892
; %bb.5875:
	s_cmp_gt_i32 s7, 22
	s_mov_b32 s11, -1
	s_cbranch_scc0 .LBB22_5885
; %bb.5876:
	s_cmp_lt_i32 s7, 24
	s_mov_b32 s10, -1
	s_cbranch_scc1 .LBB22_5882
; %bb.5877:
	s_cmp_gt_i32 s7, 24
	s_cbranch_scc0 .LBB22_5879
; %bb.5878:
	s_wait_xcnt 0x0
	v_mov_b32_e32 v1, 0
	s_mov_b32 s10, 0
	global_store_b8 v[2:3], v1, off
.LBB22_5879:
	s_and_not1_b32 vcc_lo, exec_lo, s10
	s_cbranch_vccnz .LBB22_5881
; %bb.5880:
	s_wait_xcnt 0x0
	v_mov_b32_e32 v1, 0
	global_store_b8 v[2:3], v1, off
.LBB22_5881:
	s_mov_b32 s10, 0
.LBB22_5882:
	s_delay_alu instid0(SALU_CYCLE_1)
	s_and_not1_b32 vcc_lo, exec_lo, s10
	s_cbranch_vccnz .LBB22_5884
; %bb.5883:
	s_wait_xcnt 0x0
	v_mov_b32_e32 v1, 0
	global_store_b8 v[2:3], v1, off
.LBB22_5884:
	s_mov_b32 s11, 0
	s_mov_b32 s10, -1
.LBB22_5885:
	s_and_not1_b32 vcc_lo, exec_lo, s11
	s_mov_b32 s11, 0
	s_cbranch_vccnz .LBB22_5892
; %bb.5886:
	s_cmp_gt_i32 s7, 14
	s_mov_b32 s11, -1
	s_cbranch_scc0 .LBB22_5890
; %bb.5887:
	s_cmp_eq_u32 s7, 15
	s_mov_b32 s9, -1
	s_cbranch_scc0 .LBB22_5889
; %bb.5888:
	s_wait_xcnt 0x0
	v_mov_b32_e32 v1, 0
	s_mov_b32 s9, 0
	s_mov_b32 s10, -1
	global_store_b16 v[2:3], v1, off
.LBB22_5889:
	s_mov_b32 s11, 0
.LBB22_5890:
	s_delay_alu instid0(SALU_CYCLE_1)
	s_and_b32 vcc_lo, exec_lo, s11
	s_mov_b32 s11, 0
	s_cbranch_vccz .LBB22_5892
; %bb.5891:
	s_cmp_lg_u32 s7, 11
	s_mov_b32 s11, -1
	s_cselect_b32 s9, -1, 0
.LBB22_5892:
	s_delay_alu instid0(SALU_CYCLE_1)
	s_and_b32 vcc_lo, exec_lo, s9
	s_cbranch_vccnz .LBB22_5994
; %bb.5893:
	s_and_not1_b32 vcc_lo, exec_lo, s11
	s_cbranch_vccnz .LBB22_5895
.LBB22_5894:
	s_wait_xcnt 0x0
	v_mov_b32_e32 v1, 0
	s_mov_b32 s10, -1
	global_store_b8 v[2:3], v1, off
.LBB22_5895:
	s_mov_b32 s9, 0
	s_branch .LBB22_5897
.LBB22_5896:
	s_mov_b32 s9, -1
	s_mov_b32 s10, 0
.LBB22_5897:
	s_and_b32 vcc_lo, exec_lo, s9
	s_cbranch_vccz .LBB22_5936
; %bb.5898:
	s_cmp_lt_i32 s7, 5
	s_mov_b32 s9, -1
	s_cbranch_scc1 .LBB22_5919
; %bb.5899:
	s_cmp_lt_i32 s7, 8
	s_cbranch_scc1 .LBB22_5909
; %bb.5900:
	s_cmp_lt_i32 s7, 9
	s_cbranch_scc1 .LBB22_5906
; %bb.5901:
	s_cmp_gt_i32 s7, 9
	s_cbranch_scc0 .LBB22_5903
; %bb.5902:
	s_wait_xcnt 0x0
	v_mov_b32_e32 v4, 0
	s_mov_b32 s9, 0
	s_delay_alu instid0(VALU_DEP_1)
	v_dual_mov_b32 v5, v4 :: v_dual_mov_b32 v6, v4
	v_mov_b32_e32 v7, v4
	global_store_b128 v[2:3], v[4:7], off
.LBB22_5903:
	s_and_not1_b32 vcc_lo, exec_lo, s9
	s_cbranch_vccnz .LBB22_5905
; %bb.5904:
	s_wait_xcnt 0x0
	v_mov_b64_e32 v[4:5], 0
	global_store_b64 v[2:3], v[4:5], off
.LBB22_5905:
	s_mov_b32 s9, 0
.LBB22_5906:
	s_delay_alu instid0(SALU_CYCLE_1)
	s_and_not1_b32 vcc_lo, exec_lo, s9
	s_cbranch_vccnz .LBB22_5908
; %bb.5907:
	s_wait_xcnt 0x0
	v_mov_b32_e32 v1, 0
	global_store_b32 v[2:3], v1, off
.LBB22_5908:
	s_mov_b32 s9, 0
.LBB22_5909:
	s_delay_alu instid0(SALU_CYCLE_1)
	s_and_not1_b32 vcc_lo, exec_lo, s9
	s_cbranch_vccnz .LBB22_5918
; %bb.5910:
	s_cmp_lt_i32 s7, 6
	s_mov_b32 s9, -1
	s_cbranch_scc1 .LBB22_5916
; %bb.5911:
	s_cmp_gt_i32 s7, 6
	s_cbranch_scc0 .LBB22_5913
; %bb.5912:
	s_wait_xcnt 0x0
	v_mov_b64_e32 v[4:5], 0
	s_mov_b32 s9, 0
	global_store_b64 v[2:3], v[4:5], off
.LBB22_5913:
	s_and_not1_b32 vcc_lo, exec_lo, s9
	s_cbranch_vccnz .LBB22_5915
; %bb.5914:
	s_wait_xcnt 0x0
	v_mov_b32_e32 v1, 0
	global_store_b32 v[2:3], v1, off
.LBB22_5915:
	s_mov_b32 s9, 0
.LBB22_5916:
	s_delay_alu instid0(SALU_CYCLE_1)
	s_and_not1_b32 vcc_lo, exec_lo, s9
	s_cbranch_vccnz .LBB22_5918
; %bb.5917:
	s_wait_xcnt 0x0
	v_mov_b32_e32 v1, 0
	global_store_b16 v[2:3], v1, off
.LBB22_5918:
	s_mov_b32 s9, 0
.LBB22_5919:
	s_delay_alu instid0(SALU_CYCLE_1)
	s_and_not1_b32 vcc_lo, exec_lo, s9
	s_cbranch_vccnz .LBB22_5935
; %bb.5920:
	s_cmp_lt_i32 s7, 2
	s_mov_b32 s9, -1
	s_cbranch_scc1 .LBB22_5930
; %bb.5921:
	s_cmp_lt_i32 s7, 3
	s_cbranch_scc1 .LBB22_5927
; %bb.5922:
	s_cmp_gt_i32 s7, 3
	s_cbranch_scc0 .LBB22_5924
; %bb.5923:
	s_wait_xcnt 0x0
	v_mov_b64_e32 v[4:5], 0
	s_mov_b32 s9, 0
	global_store_b64 v[2:3], v[4:5], off
.LBB22_5924:
	s_and_not1_b32 vcc_lo, exec_lo, s9
	s_cbranch_vccnz .LBB22_5926
; %bb.5925:
	s_wait_xcnt 0x0
	v_mov_b32_e32 v1, 0
	global_store_b32 v[2:3], v1, off
.LBB22_5926:
	s_mov_b32 s9, 0
.LBB22_5927:
	s_delay_alu instid0(SALU_CYCLE_1)
	s_and_not1_b32 vcc_lo, exec_lo, s9
	s_cbranch_vccnz .LBB22_5929
; %bb.5928:
	s_wait_xcnt 0x0
	v_mov_b32_e32 v1, 0
	global_store_b16 v[2:3], v1, off
.LBB22_5929:
	s_mov_b32 s9, 0
.LBB22_5930:
	s_delay_alu instid0(SALU_CYCLE_1)
	s_and_not1_b32 vcc_lo, exec_lo, s9
	s_cbranch_vccnz .LBB22_5935
; %bb.5931:
	s_cmp_gt_i32 s7, 0
	s_mov_b32 s9, -1
	s_cbranch_scc0 .LBB22_5933
; %bb.5932:
	s_wait_xcnt 0x0
	v_mov_b32_e32 v1, 0
	s_mov_b32 s9, 0
	global_store_b8 v[2:3], v1, off
.LBB22_5933:
	s_and_not1_b32 vcc_lo, exec_lo, s9
	s_cbranch_vccnz .LBB22_5935
; %bb.5934:
	s_wait_xcnt 0x0
	v_mov_b32_e32 v1, 0
	global_store_b8 v[2:3], v1, off
.LBB22_5935:
	s_mov_b32 s10, -1
.LBB22_5936:
	s_delay_alu instid0(SALU_CYCLE_1)
	s_and_not1_b32 vcc_lo, exec_lo, s10
	s_cbranch_vccnz .LBB22_5983
; %bb.5937:
	v_add_nc_u32_e32 v0, s8, v0
	s_cmp_lt_i32 s7, 11
	s_wait_xcnt 0x0
	s_delay_alu instid0(VALU_DEP_1) | instskip(NEXT) | instid1(VALU_DEP_1)
	v_ashrrev_i32_e32 v1, 31, v0
	v_add_nc_u64_e32 v[14:15], s[2:3], v[0:1]
	s_cbranch_scc1 .LBB22_5989
; %bb.5938:
	s_mov_b32 s8, -1
	s_mov_b32 s2, 0
	s_cmp_gt_i32 s7, 25
	s_mov_b32 s3, 0
	s_cbranch_scc0 .LBB22_5963
; %bb.5939:
	s_cmp_gt_i32 s7, 28
	s_cbranch_scc0 .LBB22_5953
; %bb.5940:
	s_cmp_gt_i32 s7, 43
	;; [unrolled: 3-line block ×3, first 2 shown]
	s_cbranch_scc0 .LBB22_5945
; %bb.5942:
	s_cmp_eq_u32 s7, 46
	s_mov_b32 s3, -1
	s_cbranch_scc0 .LBB22_5944
; %bb.5943:
	v_mov_b32_e32 v0, 0
	s_mov_b32 s3, 0
	global_store_b32 v[14:15], v0, off
.LBB22_5944:
	s_mov_b32 s8, 0
.LBB22_5945:
	s_delay_alu instid0(SALU_CYCLE_1)
	s_and_b32 vcc_lo, exec_lo, s8
	s_cbranch_vccz .LBB22_5948
; %bb.5946:
	s_cmp_eq_u32 s7, 44
	s_mov_b32 s3, -1
	s_cbranch_scc0 .LBB22_5948
; %bb.5947:
	s_wait_xcnt 0x0
	v_mov_b32_e32 v0, 0
	s_mov_b32 s3, 0
	global_store_b8 v[14:15], v0, off
.LBB22_5948:
	s_mov_b32 s8, 0
.LBB22_5949:
	s_delay_alu instid0(SALU_CYCLE_1)
	s_and_b32 vcc_lo, exec_lo, s8
	s_cbranch_vccz .LBB22_5952
; %bb.5950:
	s_cmp_eq_u32 s7, 29
	s_mov_b32 s3, -1
	s_cbranch_scc0 .LBB22_5952
; %bb.5951:
	s_wait_xcnt 0x0
	v_mov_b64_e32 v[0:1], 0
	s_mov_b32 s3, 0
	global_store_b64 v[14:15], v[0:1], off
.LBB22_5952:
	s_mov_b32 s8, 0
.LBB22_5953:
	s_delay_alu instid0(SALU_CYCLE_1)
	s_and_b32 vcc_lo, exec_lo, s8
	s_cbranch_vccz .LBB22_5962
; %bb.5954:
	s_cmp_lt_i32 s7, 27
	s_mov_b32 s8, -1
	s_cbranch_scc1 .LBB22_5960
; %bb.5955:
	s_cmp_gt_i32 s7, 27
	s_cbranch_scc0 .LBB22_5957
; %bb.5956:
	s_wait_xcnt 0x0
	v_mov_b32_e32 v0, 0
	s_mov_b32 s8, 0
	global_store_b32 v[14:15], v0, off
.LBB22_5957:
	s_and_not1_b32 vcc_lo, exec_lo, s8
	s_cbranch_vccnz .LBB22_5959
; %bb.5958:
	s_wait_xcnt 0x0
	v_mov_b32_e32 v0, 0
	global_store_b16 v[14:15], v0, off
.LBB22_5959:
	s_mov_b32 s8, 0
.LBB22_5960:
	s_delay_alu instid0(SALU_CYCLE_1)
	s_and_not1_b32 vcc_lo, exec_lo, s8
	s_cbranch_vccnz .LBB22_5962
; %bb.5961:
	s_wait_xcnt 0x0
	v_mov_b32_e32 v0, 0
	global_store_b8 v[14:15], v0, off
.LBB22_5962:
	s_mov_b32 s8, 0
.LBB22_5963:
	s_delay_alu instid0(SALU_CYCLE_1)
	s_and_b32 vcc_lo, exec_lo, s8
	s_cbranch_vccz .LBB22_5981
; %bb.5964:
	s_cmp_gt_i32 s7, 22
	s_mov_b32 s2, -1
	s_cbranch_scc0 .LBB22_5974
; %bb.5965:
	s_cmp_lt_i32 s7, 24
	s_cbranch_scc1 .LBB22_5971
; %bb.5966:
	s_cmp_gt_i32 s7, 24
	s_cbranch_scc0 .LBB22_5968
; %bb.5967:
	s_wait_xcnt 0x0
	v_mov_b32_e32 v0, 0
	s_mov_b32 s2, 0
	global_store_b8 v[14:15], v0, off
.LBB22_5968:
	s_and_not1_b32 vcc_lo, exec_lo, s2
	s_cbranch_vccnz .LBB22_5970
; %bb.5969:
	s_wait_xcnt 0x0
	v_mov_b32_e32 v0, 0
	global_store_b8 v[14:15], v0, off
.LBB22_5970:
	s_mov_b32 s2, 0
.LBB22_5971:
	s_delay_alu instid0(SALU_CYCLE_1)
	s_and_not1_b32 vcc_lo, exec_lo, s2
	s_cbranch_vccnz .LBB22_5973
; %bb.5972:
	s_wait_xcnt 0x0
	v_mov_b32_e32 v0, 0
	global_store_b8 v[14:15], v0, off
.LBB22_5973:
	s_mov_b32 s2, 0
.LBB22_5974:
	s_delay_alu instid0(SALU_CYCLE_1)
	s_and_not1_b32 vcc_lo, exec_lo, s2
	s_mov_b32 s2, 0
	s_cbranch_vccnz .LBB22_5981
; %bb.5975:
	s_cmp_gt_i32 s7, 14
	s_mov_b32 s2, -1
	s_cbranch_scc0 .LBB22_5979
; %bb.5976:
	s_cmp_eq_u32 s7, 15
	s_mov_b32 s3, -1
	s_cbranch_scc0 .LBB22_5978
; %bb.5977:
	s_wait_xcnt 0x0
	v_mov_b32_e32 v0, 0
	s_mov_b32 s3, 0
	global_store_b16 v[14:15], v0, off
.LBB22_5978:
	s_mov_b32 s2, 0
.LBB22_5979:
	s_delay_alu instid0(SALU_CYCLE_1)
	s_and_b32 vcc_lo, exec_lo, s2
	s_mov_b32 s2, 0
	s_cbranch_vccz .LBB22_5981
; %bb.5980:
	s_cmp_lg_u32 s7, 11
	s_mov_b32 s2, -1
	s_cselect_b32 s3, -1, 0
.LBB22_5981:
	s_delay_alu instid0(SALU_CYCLE_1)
	s_and_b32 vcc_lo, exec_lo, s3
	s_cbranch_vccnz .LBB22_5996
.LBB22_5982:
	s_mov_b32 s3, 0
	s_branch .LBB22_5984
.LBB22_5983:
	s_mov_b32 s3, 0
	s_mov_b32 s2, 0
                                        ; implicit-def: $vgpr14_vgpr15
                                        ; implicit-def: $sgpr0
.LBB22_5984:
	s_and_b32 s7, s3, exec_lo
	s_and_not1_b32 s3, s4, exec_lo
	s_and_b32 s4, s6, exec_lo
	s_and_b32 s6, s2, exec_lo
	s_or_b32 s4, s3, s4
.LBB22_5985:
	s_wait_xcnt 0x0
	s_or_b32 exec_lo, exec_lo, s5
	s_delay_alu instid0(SALU_CYCLE_1)
	s_and_not1_b32 s2, s18, exec_lo
	s_and_b32 s3, s4, exec_lo
	s_and_b32 s8, s7, exec_lo
	;; [unrolled: 1-line block ×3, first 2 shown]
	s_or_b32 s18, s2, s3
.LBB22_5986:
	s_or_b32 exec_lo, exec_lo, s27
	s_delay_alu instid0(SALU_CYCLE_1)
	s_and_not1_b32 s2, s17, exec_lo
	s_and_b32 s3, s18, exec_lo
	s_and_b32 s8, s8, exec_lo
	;; [unrolled: 1-line block ×3, first 2 shown]
	s_or_b32 s17, s2, s3
.LBB22_5987:
	s_or_b32 exec_lo, exec_lo, s26
	s_delay_alu instid0(SALU_CYCLE_1)
	s_and_not1_b32 s2, s23, exec_lo
	s_and_b32 s3, s17, exec_lo
	s_and_b32 s8, s8, exec_lo
	;; [unrolled: 1-line block ×3, first 2 shown]
	s_or_b32 s23, s2, s3
.LBB22_5988:
	s_or_b32 exec_lo, exec_lo, s16
	s_branch .LBB22_5651
.LBB22_5989:
	s_mov_b32 s2, 0
	s_mov_b32 s3, -1
	s_branch .LBB22_5984
.LBB22_5990:
	s_or_b32 s6, s18, exec_lo
	s_xor_b32 s5, exec_lo, -1
	s_trap 2
	s_branch .LBB22_5667
.LBB22_5991:
	s_or_b32 s6, s4, exec_lo
	s_trap 2
	s_cbranch_execz .LBB22_5715
	s_branch .LBB22_5716
.LBB22_5992:
	s_or_b32 s6, s6, exec_lo
	s_trap 2
	s_cbranch_execz .LBB22_5805
	s_branch .LBB22_5806
.LBB22_5993:
	s_or_b32 s23, s23, exec_lo
	s_trap 2
                                        ; implicit-def: $vgpr9
                                        ; implicit-def: $vgpr24
                                        ; implicit-def: $vgpr2
                                        ; implicit-def: $vgpr0
                                        ; implicit-def: $vgpr23
                                        ; implicit-def: $vgpr25
                                        ; implicit-def: $vgpr22
                                        ; implicit-def: $vgpr6
	s_branch .LBB22_5643
.LBB22_5994:
	s_or_b32 s6, s6, exec_lo
	s_trap 2
	s_cbranch_execz .LBB22_5894
	s_branch .LBB22_5895
.LBB22_5995:
	s_or_b32 s17, s23, exec_lo
	s_trap 2
                                        ; implicit-def: $vgpr2
                                        ; implicit-def: $vgpr0
                                        ; implicit-def: $vgpr23
                                        ; implicit-def: $vgpr25
                                        ; implicit-def: $vgpr22
                                        ; implicit-def: $vgpr6
	s_or_saveexec_b32 s26, s0
                                        ; implicit-def: $vgpr14_vgpr15
                                        ; implicit-def: $sgpr0
	s_delay_alu instid0(SALU_CYCLE_1)
	s_xor_b32 exec_lo, exec_lo, s26
	s_cbranch_execz .LBB22_5987
	s_branch .LBB22_5646
.LBB22_5996:
	s_mov_b32 s2, 0
	s_or_b32 s6, s6, exec_lo
	s_trap 2
	s_branch .LBB22_5982
.LBB22_5997:
	s_or_b32 s18, s17, exec_lo
	s_trap 2
                                        ; implicit-def: $vgpr2
                                        ; implicit-def: $vgpr0
                                        ; implicit-def: $vgpr25
                                        ; implicit-def: $vgpr22
                                        ; implicit-def: $vgpr6
	s_or_saveexec_b32 s27, s0
	s_mov_b32 s5, 0
                                        ; implicit-def: $vgpr14_vgpr15
                                        ; implicit-def: $sgpr0
	s_xor_b32 exec_lo, exec_lo, s27
	s_cbranch_execz .LBB22_5986
	s_branch .LBB22_5648
	.section	.rodata,"a",@progbits
	.p2align	6, 0x0
	.amdhsa_kernel _ZN2at6native32elementwise_kernel_manual_unrollILi128ELi4EZNS0_15gpu_kernel_implIZZZNS0_12_GLOBAL__N_142_validate_compressed_sparse_indices_kernelILNS3_8CDimNameE0ENS3_18CUDAKernelLauncherENS3_14EmptyVecKernelENS3_8DummyVecELm8EEEvRKNS_6TensorESB_lllENKUlvE1_clEvENKUlvE_clEvEUliiiiiE_EEvRNS_18TensorIteratorBaseERKT_EUlibE_EEviT1_
		.amdhsa_group_segment_fixed_size 0
		.amdhsa_private_segment_fixed_size 0
		.amdhsa_kernarg_size 256
		.amdhsa_user_sgpr_count 2
		.amdhsa_user_sgpr_dispatch_ptr 0
		.amdhsa_user_sgpr_queue_ptr 0
		.amdhsa_user_sgpr_kernarg_segment_ptr 1
		.amdhsa_user_sgpr_dispatch_id 0
		.amdhsa_user_sgpr_kernarg_preload_length 0
		.amdhsa_user_sgpr_kernarg_preload_offset 0
		.amdhsa_user_sgpr_private_segment_size 0
		.amdhsa_wavefront_size32 1
		.amdhsa_uses_dynamic_stack 0
		.amdhsa_enable_private_segment 0
		.amdhsa_system_sgpr_workgroup_id_x 1
		.amdhsa_system_sgpr_workgroup_id_y 0
		.amdhsa_system_sgpr_workgroup_id_z 0
		.amdhsa_system_sgpr_workgroup_info 0
		.amdhsa_system_vgpr_workitem_id 0
		.amdhsa_next_free_vgpr 38
		.amdhsa_next_free_sgpr 98
		.amdhsa_named_barrier_count 0
		.amdhsa_reserve_vcc 1
		.amdhsa_float_round_mode_32 0
		.amdhsa_float_round_mode_16_64 0
		.amdhsa_float_denorm_mode_32 3
		.amdhsa_float_denorm_mode_16_64 3
		.amdhsa_fp16_overflow 0
		.amdhsa_memory_ordered 1
		.amdhsa_forward_progress 1
		.amdhsa_inst_pref_size 255
		.amdhsa_round_robin_scheduling 0
		.amdhsa_exception_fp_ieee_invalid_op 0
		.amdhsa_exception_fp_denorm_src 0
		.amdhsa_exception_fp_ieee_div_zero 0
		.amdhsa_exception_fp_ieee_overflow 0
		.amdhsa_exception_fp_ieee_underflow 0
		.amdhsa_exception_fp_ieee_inexact 0
		.amdhsa_exception_int_div_zero 0
	.end_amdhsa_kernel
	.section	.text._ZN2at6native32elementwise_kernel_manual_unrollILi128ELi4EZNS0_15gpu_kernel_implIZZZNS0_12_GLOBAL__N_142_validate_compressed_sparse_indices_kernelILNS3_8CDimNameE0ENS3_18CUDAKernelLauncherENS3_14EmptyVecKernelENS3_8DummyVecELm8EEEvRKNS_6TensorESB_lllENKUlvE1_clEvENKUlvE_clEvEUliiiiiE_EEvRNS_18TensorIteratorBaseERKT_EUlibE_EEviT1_,"axG",@progbits,_ZN2at6native32elementwise_kernel_manual_unrollILi128ELi4EZNS0_15gpu_kernel_implIZZZNS0_12_GLOBAL__N_142_validate_compressed_sparse_indices_kernelILNS3_8CDimNameE0ENS3_18CUDAKernelLauncherENS3_14EmptyVecKernelENS3_8DummyVecELm8EEEvRKNS_6TensorESB_lllENKUlvE1_clEvENKUlvE_clEvEUliiiiiE_EEvRNS_18TensorIteratorBaseERKT_EUlibE_EEviT1_,comdat
.Lfunc_end22:
	.size	_ZN2at6native32elementwise_kernel_manual_unrollILi128ELi4EZNS0_15gpu_kernel_implIZZZNS0_12_GLOBAL__N_142_validate_compressed_sparse_indices_kernelILNS3_8CDimNameE0ENS3_18CUDAKernelLauncherENS3_14EmptyVecKernelENS3_8DummyVecELm8EEEvRKNS_6TensorESB_lllENKUlvE1_clEvENKUlvE_clEvEUliiiiiE_EEvRNS_18TensorIteratorBaseERKT_EUlibE_EEviT1_, .Lfunc_end22-_ZN2at6native32elementwise_kernel_manual_unrollILi128ELi4EZNS0_15gpu_kernel_implIZZZNS0_12_GLOBAL__N_142_validate_compressed_sparse_indices_kernelILNS3_8CDimNameE0ENS3_18CUDAKernelLauncherENS3_14EmptyVecKernelENS3_8DummyVecELm8EEEvRKNS_6TensorESB_lllENKUlvE1_clEvENKUlvE_clEvEUliiiiiE_EEvRNS_18TensorIteratorBaseERKT_EUlibE_EEviT1_
                                        ; -- End function
	.set _ZN2at6native32elementwise_kernel_manual_unrollILi128ELi4EZNS0_15gpu_kernel_implIZZZNS0_12_GLOBAL__N_142_validate_compressed_sparse_indices_kernelILNS3_8CDimNameE0ENS3_18CUDAKernelLauncherENS3_14EmptyVecKernelENS3_8DummyVecELm8EEEvRKNS_6TensorESB_lllENKUlvE1_clEvENKUlvE_clEvEUliiiiiE_EEvRNS_18TensorIteratorBaseERKT_EUlibE_EEviT1_.num_vgpr, 38
	.set _ZN2at6native32elementwise_kernel_manual_unrollILi128ELi4EZNS0_15gpu_kernel_implIZZZNS0_12_GLOBAL__N_142_validate_compressed_sparse_indices_kernelILNS3_8CDimNameE0ENS3_18CUDAKernelLauncherENS3_14EmptyVecKernelENS3_8DummyVecELm8EEEvRKNS_6TensorESB_lllENKUlvE1_clEvENKUlvE_clEvEUliiiiiE_EEvRNS_18TensorIteratorBaseERKT_EUlibE_EEviT1_.num_agpr, 0
	.set _ZN2at6native32elementwise_kernel_manual_unrollILi128ELi4EZNS0_15gpu_kernel_implIZZZNS0_12_GLOBAL__N_142_validate_compressed_sparse_indices_kernelILNS3_8CDimNameE0ENS3_18CUDAKernelLauncherENS3_14EmptyVecKernelENS3_8DummyVecELm8EEEvRKNS_6TensorESB_lllENKUlvE1_clEvENKUlvE_clEvEUliiiiiE_EEvRNS_18TensorIteratorBaseERKT_EUlibE_EEviT1_.numbered_sgpr, 98
	.set _ZN2at6native32elementwise_kernel_manual_unrollILi128ELi4EZNS0_15gpu_kernel_implIZZZNS0_12_GLOBAL__N_142_validate_compressed_sparse_indices_kernelILNS3_8CDimNameE0ENS3_18CUDAKernelLauncherENS3_14EmptyVecKernelENS3_8DummyVecELm8EEEvRKNS_6TensorESB_lllENKUlvE1_clEvENKUlvE_clEvEUliiiiiE_EEvRNS_18TensorIteratorBaseERKT_EUlibE_EEviT1_.num_named_barrier, 0
	.set _ZN2at6native32elementwise_kernel_manual_unrollILi128ELi4EZNS0_15gpu_kernel_implIZZZNS0_12_GLOBAL__N_142_validate_compressed_sparse_indices_kernelILNS3_8CDimNameE0ENS3_18CUDAKernelLauncherENS3_14EmptyVecKernelENS3_8DummyVecELm8EEEvRKNS_6TensorESB_lllENKUlvE1_clEvENKUlvE_clEvEUliiiiiE_EEvRNS_18TensorIteratorBaseERKT_EUlibE_EEviT1_.private_seg_size, 0
	.set _ZN2at6native32elementwise_kernel_manual_unrollILi128ELi4EZNS0_15gpu_kernel_implIZZZNS0_12_GLOBAL__N_142_validate_compressed_sparse_indices_kernelILNS3_8CDimNameE0ENS3_18CUDAKernelLauncherENS3_14EmptyVecKernelENS3_8DummyVecELm8EEEvRKNS_6TensorESB_lllENKUlvE1_clEvENKUlvE_clEvEUliiiiiE_EEvRNS_18TensorIteratorBaseERKT_EUlibE_EEviT1_.uses_vcc, 1
	.set _ZN2at6native32elementwise_kernel_manual_unrollILi128ELi4EZNS0_15gpu_kernel_implIZZZNS0_12_GLOBAL__N_142_validate_compressed_sparse_indices_kernelILNS3_8CDimNameE0ENS3_18CUDAKernelLauncherENS3_14EmptyVecKernelENS3_8DummyVecELm8EEEvRKNS_6TensorESB_lllENKUlvE1_clEvENKUlvE_clEvEUliiiiiE_EEvRNS_18TensorIteratorBaseERKT_EUlibE_EEviT1_.uses_flat_scratch, 0
	.set _ZN2at6native32elementwise_kernel_manual_unrollILi128ELi4EZNS0_15gpu_kernel_implIZZZNS0_12_GLOBAL__N_142_validate_compressed_sparse_indices_kernelILNS3_8CDimNameE0ENS3_18CUDAKernelLauncherENS3_14EmptyVecKernelENS3_8DummyVecELm8EEEvRKNS_6TensorESB_lllENKUlvE1_clEvENKUlvE_clEvEUliiiiiE_EEvRNS_18TensorIteratorBaseERKT_EUlibE_EEviT1_.has_dyn_sized_stack, 0
	.set _ZN2at6native32elementwise_kernel_manual_unrollILi128ELi4EZNS0_15gpu_kernel_implIZZZNS0_12_GLOBAL__N_142_validate_compressed_sparse_indices_kernelILNS3_8CDimNameE0ENS3_18CUDAKernelLauncherENS3_14EmptyVecKernelENS3_8DummyVecELm8EEEvRKNS_6TensorESB_lllENKUlvE1_clEvENKUlvE_clEvEUliiiiiE_EEvRNS_18TensorIteratorBaseERKT_EUlibE_EEviT1_.has_recursion, 0
	.set _ZN2at6native32elementwise_kernel_manual_unrollILi128ELi4EZNS0_15gpu_kernel_implIZZZNS0_12_GLOBAL__N_142_validate_compressed_sparse_indices_kernelILNS3_8CDimNameE0ENS3_18CUDAKernelLauncherENS3_14EmptyVecKernelENS3_8DummyVecELm8EEEvRKNS_6TensorESB_lllENKUlvE1_clEvENKUlvE_clEvEUliiiiiE_EEvRNS_18TensorIteratorBaseERKT_EUlibE_EEviT1_.has_indirect_call, 0
	.section	.AMDGPU.csdata,"",@progbits
; Kernel info:
; codeLenInByte = 107596
; TotalNumSgprs: 100
; NumVgprs: 38
; ScratchSize: 0
; MemoryBound: 1
; FloatMode: 240
; IeeeMode: 1
; LDSByteSize: 0 bytes/workgroup (compile time only)
; SGPRBlocks: 0
; VGPRBlocks: 2
; NumSGPRsForWavesPerEU: 100
; NumVGPRsForWavesPerEU: 38
; NamedBarCnt: 0
; Occupancy: 16
; WaveLimiterHint : 1
; COMPUTE_PGM_RSRC2:SCRATCH_EN: 0
; COMPUTE_PGM_RSRC2:USER_SGPR: 2
; COMPUTE_PGM_RSRC2:TRAP_HANDLER: 0
; COMPUTE_PGM_RSRC2:TGID_X_EN: 1
; COMPUTE_PGM_RSRC2:TGID_Y_EN: 0
; COMPUTE_PGM_RSRC2:TGID_Z_EN: 0
; COMPUTE_PGM_RSRC2:TIDIG_COMP_CNT: 0
	.section	.text._ZN2at6native32elementwise_kernel_manual_unrollILi128ELi4EZNS0_15gpu_kernel_implIZZZNS0_12_GLOBAL__N_142_validate_compressed_sparse_indices_kernelILNS3_8CDimNameE0ENS3_18CUDAKernelLauncherENS3_14EmptyVecKernelENS3_8DummyVecELm8EEEvRKNS_6TensorESB_lllENKUlvE1_clEvENKUlvE_clEvEUliiiiiE_EEvRNS_18TensorIteratorBaseERKT_EUlibE0_EEviT1_,"axG",@progbits,_ZN2at6native32elementwise_kernel_manual_unrollILi128ELi4EZNS0_15gpu_kernel_implIZZZNS0_12_GLOBAL__N_142_validate_compressed_sparse_indices_kernelILNS3_8CDimNameE0ENS3_18CUDAKernelLauncherENS3_14EmptyVecKernelENS3_8DummyVecELm8EEEvRKNS_6TensorESB_lllENKUlvE1_clEvENKUlvE_clEvEUliiiiiE_EEvRNS_18TensorIteratorBaseERKT_EUlibE0_EEviT1_,comdat
	.globl	_ZN2at6native32elementwise_kernel_manual_unrollILi128ELi4EZNS0_15gpu_kernel_implIZZZNS0_12_GLOBAL__N_142_validate_compressed_sparse_indices_kernelILNS3_8CDimNameE0ENS3_18CUDAKernelLauncherENS3_14EmptyVecKernelENS3_8DummyVecELm8EEEvRKNS_6TensorESB_lllENKUlvE1_clEvENKUlvE_clEvEUliiiiiE_EEvRNS_18TensorIteratorBaseERKT_EUlibE0_EEviT1_ ; -- Begin function _ZN2at6native32elementwise_kernel_manual_unrollILi128ELi4EZNS0_15gpu_kernel_implIZZZNS0_12_GLOBAL__N_142_validate_compressed_sparse_indices_kernelILNS3_8CDimNameE0ENS3_18CUDAKernelLauncherENS3_14EmptyVecKernelENS3_8DummyVecELm8EEEvRKNS_6TensorESB_lllENKUlvE1_clEvENKUlvE_clEvEUliiiiiE_EEvRNS_18TensorIteratorBaseERKT_EUlibE0_EEviT1_
	.p2align	8
	.type	_ZN2at6native32elementwise_kernel_manual_unrollILi128ELi4EZNS0_15gpu_kernel_implIZZZNS0_12_GLOBAL__N_142_validate_compressed_sparse_indices_kernelILNS3_8CDimNameE0ENS3_18CUDAKernelLauncherENS3_14EmptyVecKernelENS3_8DummyVecELm8EEEvRKNS_6TensorESB_lllENKUlvE1_clEvENKUlvE_clEvEUliiiiiE_EEvRNS_18TensorIteratorBaseERKT_EUlibE0_EEviT1_,@function
_ZN2at6native32elementwise_kernel_manual_unrollILi128ELi4EZNS0_15gpu_kernel_implIZZZNS0_12_GLOBAL__N_142_validate_compressed_sparse_indices_kernelILNS3_8CDimNameE0ENS3_18CUDAKernelLauncherENS3_14EmptyVecKernelENS3_8DummyVecELm8EEEvRKNS_6TensorESB_lllENKUlvE1_clEvENKUlvE_clEvEUliiiiiE_EEvRNS_18TensorIteratorBaseERKT_EUlibE0_EEviT1_: ; @_ZN2at6native32elementwise_kernel_manual_unrollILi128ELi4EZNS0_15gpu_kernel_implIZZZNS0_12_GLOBAL__N_142_validate_compressed_sparse_indices_kernelILNS3_8CDimNameE0ENS3_18CUDAKernelLauncherENS3_14EmptyVecKernelENS3_8DummyVecELm8EEEvRKNS_6TensorESB_lllENKUlvE1_clEvENKUlvE_clEvEUliiiiiE_EEvRNS_18TensorIteratorBaseERKT_EUlibE0_EEviT1_
; %bb.0:
	s_clause 0x1
	s_load_b32 s33, s[0:1], 0x8
	s_load_b32 s75, s[0:1], 0x0
	s_bfe_u32 s2, ttmp6, 0x4000c
	s_and_b32 s3, ttmp6, 15
	s_add_co_i32 s2, s2, 1
	s_getreg_b32 s4, hwreg(HW_REG_IB_STS2, 6, 4)
	s_mul_i32 s2, ttmp9, s2
	s_mov_b32 s63, 0
	s_add_co_i32 s3, s3, s2
	s_cmp_eq_u32 s4, 0
	s_mov_b32 s50, -1
	s_cselect_b32 s2, ttmp9, s3
	s_mov_b32 s36, 0
	v_lshl_or_b32 v0, s2, 9, v0
	s_add_nc_u64 s[2:3], s[0:1], 8
	s_wait_xcnt 0x0
	s_mov_b32 s0, exec_lo
	s_delay_alu instid0(VALU_DEP_1) | instskip(SKIP_2) | instid1(SALU_CYCLE_1)
	v_or_b32_e32 v1, 0x180, v0
	s_wait_kmcnt 0x0
	s_add_co_i32 s62, s33, -1
	s_cmp_gt_u32 s62, 1
	s_cselect_b32 s64, -1, 0
	v_cmpx_le_i32_e64 s75, v1
	s_xor_b32 s65, exec_lo, s0
	s_cbranch_execz .LBB23_2856
; %bb.1:
	s_clause 0x6
	s_load_b128 s[20:23], s[2:3], 0x318
	s_load_b128 s[40:43], s[2:3], 0x4
	s_load_b64 s[0:1], s[2:3], 0x14
	s_load_b128 s[56:59], s[2:3], 0xe4
	s_load_b128 s[68:71], s[2:3], 0x280
	s_load_b256 s[88:95], s[2:3], 0xc4
	s_load_b32 s25, s[2:3], 0x290
	s_cmp_lg_u32 s33, 0
	s_clause 0x1
	s_load_b128 s[28:31], s[2:3], 0x268
	s_load_b32 s38, s[2:3], 0x278
	s_cselect_b32 s13, -1, 0
	s_min_u32 s74, s62, 15
	s_cmp_gt_u32 s33, 1
	s_get_pc_i64 s[4:5]
	s_add_nc_u64 s[4:5], s[4:5], .str.1@rel64+4
	s_cselect_b32 s73, -1, 0
	s_get_pc_i64 s[6:7]
	s_add_nc_u64 s[6:7], s[6:7], .str.2@rel64+4
	s_mov_b32 s47, 0
	s_mov_b32 s85, exec_lo
	s_mov_b32 s49, s47
	s_mov_b32 s84, s47
	;; [unrolled: 1-line block ×4, first 2 shown]
	s_wait_kmcnt 0x0
	s_mov_b32 s46, s41
	s_mov_b32 s48, s0
	;; [unrolled: 1-line block ×4, first 2 shown]
	s_lshr_b32 s72, s22, 8
	s_lshr_b32 s24, s22, 16
	s_lshr_b64 s[44:45], s[22:23], 24
	s_lshr_b32 s18, s23, 8
	s_cmp_lg_u64 s[4:5], 0
	s_get_pc_i64 s[4:5]
	s_add_nc_u64 s[4:5], s[4:5], .str.3@rel64+4
	s_cselect_b32 s66, -1, 0
	s_cmp_lg_u64 s[6:7], 0
	v_cmp_gt_i64_e64 s6, s[70:71], 0
	s_cselect_b32 s45, -1, 0
	s_cmp_lg_u64 s[4:5], 0
	s_get_pc_i64 s[4:5]
	s_add_nc_u64 s[4:5], s[4:5], .str.4@rel64+4
	s_cselect_b32 s16, -1, 0
	s_add_co_i32 s34, s25, -1
	s_mov_b32 s79, s47
	s_cmp_gt_i32 s34, -1
	s_mov_b32 s78, s47
	s_cselect_b32 s7, -1, 0
	s_mov_b32 s77, s47
	s_and_b32 s17, s6, s7
	s_cmp_lg_u64 s[4:5], 0
	s_mov_b32 s61, s47
	s_cselect_b32 s39, -1, 0
	s_mov_b32 s60, s47
	v_cmpx_gt_i32_e64 s75, v0
	s_cbranch_execz .LBB23_651
; %bb.2:
	s_and_not1_b32 vcc_lo, exec_lo, s64
	s_cbranch_vccnz .LBB23_9
; %bb.3:
	s_and_not1_b32 vcc_lo, exec_lo, s13
	s_cbranch_vccnz .LBB23_10
; %bb.4:
	v_dual_mov_b32 v6, 0 :: v_dual_mov_b32 v1, v0
	v_dual_mov_b32 v4, 0 :: v_dual_mov_b32 v10, 0
	;; [unrolled: 1-line block ×3, first 2 shown]
	v_mov_b32_e32 v12, 0
	s_add_co_i32 s0, s74, 1
	s_mov_b64 s[4:5], 0xffffffffffffffd0
	s_mov_b64 s[76:77], s[88:89]
	;; [unrolled: 1-line block ×3, first 2 shown]
	s_mov_b32 s12, s68
	s_mov_b64 s[70:71], s[42:43]
	s_mov_b32 s68, s40
	s_mov_b64 s[42:43], s[30:31]
	s_mov_b64 s[78:79], s[90:91]
	s_mov_b64 s[80:81], s[92:93]
	s_mov_b64 s[82:83], s[94:95]
	s_mov_b64 s[40:41], s[28:29]
	s_and_b32 s0, s0, 30
	s_add_nc_u64 s[50:51], s[2:3], s[4:5]
	s_mov_b64 s[52:53], s[2:3]
.LBB23_5:                               ; =>This Inner Loop Header: Depth=1
	s_clause 0x1
	s_load_b128 s[4:7], s[52:53], 0x4
	s_load_b64 s[28:29], s[52:53], 0x14
	s_clause 0x1
	s_load_b256 s[88:95], s[50:51], 0xf4
	s_load_b128 s[8:11], s[50:51], 0x114
	s_add_co_i32 s0, s0, -2
	s_wait_xcnt 0x0
	s_add_nc_u64 s[52:53], s[52:53], 24
	s_cmp_lg_u32 s0, 0
	s_add_nc_u64 s[50:51], s[50:51], 48
	s_wait_kmcnt 0x0
	v_mul_hi_u32 v3, s5, v1
	s_delay_alu instid0(VALU_DEP_1) | instskip(NEXT) | instid1(VALU_DEP_1)
	v_add_nc_u32_e32 v3, v1, v3
	v_lshrrev_b32_e32 v3, s6, v3
	s_delay_alu instid0(VALU_DEP_1) | instskip(SKIP_1) | instid1(VALU_DEP_1)
	v_mul_hi_u32 v5, s28, v3
	v_mul_lo_u32 v7, v3, s4
	v_dual_add_nc_u32 v5, v3, v5 :: v_dual_sub_nc_u32 v7, v1, v7
	s_delay_alu instid0(VALU_DEP_1) | instskip(NEXT) | instid1(VALU_DEP_2)
	v_lshrrev_b32_e32 v1, s29, v5
	v_mad_u32 v5, v7, s89, v12
	v_mad_u32 v2, v7, s88, v2
	;; [unrolled: 1-line block ×4, first 2 shown]
	v_mul_lo_u32 v9, v1, s7
	v_mad_u32 v4, s93, v7, v4
	v_mad_u32 v6, s92, v7, v6
	s_delay_alu instid0(VALU_DEP_3) | instskip(NEXT) | instid1(VALU_DEP_1)
	v_sub_nc_u32_e32 v3, v3, v9
	v_mad_u32 v12, v3, s95, v5
	v_mad_u32 v2, v3, s94, v2
	;; [unrolled: 1-line block ×6, first 2 shown]
	s_cbranch_scc1 .LBB23_5
; %bb.6:
	s_bitcmp1_b32 s74, 0
	s_cselect_b32 s0, -1, 0
	s_delay_alu instid0(SALU_CYCLE_1)
	s_and_b32 vcc_lo, exec_lo, s0
	s_cbranch_vccnz .LBB23_8
; %bb.7:
	s_load_b96 s[8:10], s[52:53], 0x4
	s_wait_kmcnt 0x0
	v_mul_hi_u32 v3, s9, v1
	s_delay_alu instid0(VALU_DEP_1) | instskip(NEXT) | instid1(VALU_DEP_1)
	v_add_nc_u32_e32 v3, v1, v3
	v_lshrrev_b32_e32 v3, s10, v3
	s_clause 0x1
	s_load_b128 s[4:7], s[50:51], 0xf4
	s_load_b64 s[10:11], s[50:51], 0x104
	s_delay_alu instid0(VALU_DEP_1) | instskip(NEXT) | instid1(VALU_DEP_1)
	v_mul_lo_u32 v3, v3, s8
	v_sub_nc_u32_e32 v1, v1, v3
	s_wait_kmcnt 0x0
	s_delay_alu instid0(VALU_DEP_1)
	v_mad_u32 v2, v1, s4, v2
	v_mad_u32 v12, v1, s5, v12
	v_mad_u32 v10, v1, s6, v10
	v_mad_u32 v8, v1, s7, v8
	v_mad_u32 v6, s10, v1, v6
	v_mad_u32 v4, s11, v1, v4
.LBB23_8:
	s_mov_b64 s[94:95], s[82:83]
	s_mov_b64 s[28:29], s[40:41]
	;; [unrolled: 1-line block ×7, first 2 shown]
	s_mov_b32 s40, s68
	s_mov_b64 s[70:71], s[14:15]
	s_mov_b32 s68, s12
	s_cbranch_execz .LBB23_11
	s_branch .LBB23_13
.LBB23_9:
                                        ; implicit-def: $vgpr12
                                        ; implicit-def: $vgpr2
                                        ; implicit-def: $vgpr8
                                        ; implicit-def: $vgpr10
                                        ; implicit-def: $vgpr4
                                        ; implicit-def: $vgpr6
	s_branch .LBB23_11
.LBB23_10:
	v_dual_mov_b32 v12, 0 :: v_dual_mov_b32 v2, 0
	v_dual_mov_b32 v8, 0 :: v_dual_mov_b32 v10, 0
	v_dual_mov_b32 v4, 0 :: v_dual_mov_b32 v6, 0
	s_cbranch_execnz .LBB23_13
.LBB23_11:
	v_mov_b32_e32 v1, 0
	s_and_not1_b32 vcc_lo, exec_lo, s73
	s_delay_alu instid0(VALU_DEP_1) | instskip(NEXT) | instid1(VALU_DEP_1)
	v_mul_u64_e32 v[2:3], s[46:47], v[0:1]
	v_add_nc_u32_e32 v2, v0, v3
	s_delay_alu instid0(VALU_DEP_1) | instskip(NEXT) | instid1(VALU_DEP_1)
	v_lshrrev_b32_e32 v14, s42, v2
	v_mul_lo_u32 v2, v14, s40
	s_delay_alu instid0(VALU_DEP_1) | instskip(NEXT) | instid1(VALU_DEP_1)
	v_sub_nc_u32_e32 v3, v0, v2
	v_mul_lo_u32 v12, v3, s89
	v_mul_lo_u32 v2, v3, s88
	;; [unrolled: 1-line block ×6, first 2 shown]
	s_cbranch_vccnz .LBB23_13
; %bb.12:
	v_mov_b32_e32 v15, v1
	s_delay_alu instid0(VALU_DEP_1) | instskip(NEXT) | instid1(VALU_DEP_1)
	v_mul_u64_e32 v[16:17], s[48:49], v[14:15]
	v_add_nc_u32_e32 v1, v14, v17
	s_delay_alu instid0(VALU_DEP_1) | instskip(NEXT) | instid1(VALU_DEP_1)
	v_lshrrev_b32_e32 v1, s1, v1
	v_mul_lo_u32 v1, v1, s43
	s_delay_alu instid0(VALU_DEP_1) | instskip(NEXT) | instid1(VALU_DEP_1)
	v_sub_nc_u32_e32 v1, v14, v1
	v_mad_u32 v2, v1, s94, v2
	v_mad_u32 v12, v1, s95, v12
	;; [unrolled: 1-line block ×6, first 2 shown]
.LBB23_13:
	s_load_b256 s[4:11], s[2:3], 0x248
	v_mov_b32_e32 v13, 0
	s_and_b32 s0, s72, 0xff
	s_delay_alu instid0(SALU_CYCLE_1) | instskip(SKIP_1) | instid1(VALU_DEP_1)
	s_cmp_lt_i32 s0, 11
	s_wait_kmcnt 0x0
	v_add_nc_u64_e32 v[12:13], s[6:7], v[12:13]
	s_cbranch_scc1 .LBB23_20
; %bb.14:
	s_and_b32 s35, 0xffff, s0
	s_delay_alu instid0(SALU_CYCLE_1)
	s_cmp_gt_i32 s35, 25
	s_cbranch_scc0 .LBB23_29
; %bb.15:
	s_cmp_gt_i32 s35, 28
	s_cbranch_scc0 .LBB23_39
; %bb.16:
	;; [unrolled: 3-line block ×4, first 2 shown]
	s_cmp_eq_u32 s35, 46
	s_mov_b32 s51, 0
	s_cbranch_scc0 .LBB23_48
; %bb.19:
	global_load_b32 v1, v[12:13], off
	s_mov_b32 s50, -1
	s_mov_b32 s84, 0
	s_wait_loadcnt 0x0
	v_lshlrev_b32_e32 v1, 16, v1
	s_delay_alu instid0(VALU_DEP_1)
	v_cvt_i32_f32_e32 v1, v1
	s_branch .LBB23_50
.LBB23_20:
	s_mov_b32 s84, 0
	s_mov_b32 s50, 0
                                        ; implicit-def: $vgpr1
	s_cbranch_execnz .LBB23_112
.LBB23_21:
	s_and_not1_b32 vcc_lo, exec_lo, s50
	s_cbranch_vccnz .LBB23_159
.LBB23_22:
	s_load_b256 s[4:11], s[2:3], 0x248
	v_mov_b32_e32 v11, 0
	s_and_b32 s0, s24, 0xff
	s_delay_alu instid0(SALU_CYCLE_1) | instskip(SKIP_1) | instid1(VALU_DEP_1)
	s_cmp_lt_i32 s0, 11
	s_wait_kmcnt 0x0
	v_add_nc_u64_e32 v[10:11], s[8:9], v[10:11]
	s_cbranch_scc1 .LBB23_30
; %bb.23:
	s_and_b32 s35, 0xffff, s0
	s_delay_alu instid0(SALU_CYCLE_1)
	s_cmp_gt_i32 s35, 25
	s_cbranch_scc0 .LBB23_40
; %bb.24:
	s_cmp_gt_i32 s35, 28
	s_cbranch_scc0 .LBB23_43
; %bb.25:
	;; [unrolled: 3-line block ×4, first 2 shown]
	s_cmp_eq_u32 s35, 46
	s_mov_b32 s51, 0
	s_cbranch_scc0 .LBB23_160
; %bb.28:
	global_load_b32 v3, v[10:11], off
	s_mov_b32 s50, -1
	s_mov_b32 s83, 0
	s_wait_loadcnt 0x0
	v_lshlrev_b32_e32 v3, 16, v3
	s_delay_alu instid0(VALU_DEP_1)
	v_cvt_i32_f32_e32 v3, v3
	s_branch .LBB23_162
.LBB23_29:
	s_mov_b32 s84, 0
	s_mov_b32 s50, 0
                                        ; implicit-def: $vgpr1
	s_cbranch_execnz .LBB23_79
	s_branch .LBB23_111
.LBB23_30:
	s_mov_b32 s83, 0
	s_mov_b32 s50, 0
                                        ; implicit-def: $vgpr3
	s_cbranch_execnz .LBB23_224
.LBB23_31:
	s_and_not1_b32 vcc_lo, exec_lo, s50
	s_cbranch_vccnz .LBB23_272
.LBB23_32:
	s_load_b256 s[4:11], s[2:3], 0x248
	v_mov_b32_e32 v9, 0
	s_and_b32 s0, s44, 0xff
	s_delay_alu instid0(SALU_CYCLE_1) | instskip(SKIP_1) | instid1(VALU_DEP_1)
	s_cmp_lt_i32 s0, 11
	s_wait_kmcnt 0x0
	v_add_nc_u64_e32 v[10:11], s[10:11], v[8:9]
	s_cbranch_scc1 .LBB23_41
; %bb.33:
	s_and_b32 s35, 0xffff, s0
	s_delay_alu instid0(SALU_CYCLE_1)
	s_cmp_gt_i32 s35, 25
	s_cbranch_scc0 .LBB23_44
; %bb.34:
	s_cmp_gt_i32 s35, 28
	s_cbranch_scc0 .LBB23_47
; %bb.35:
	;; [unrolled: 3-line block ×4, first 2 shown]
	s_cmp_eq_u32 s35, 46
	s_mov_b32 s51, 0
	s_cbranch_scc0 .LBB23_273
; %bb.38:
	global_load_b32 v5, v[10:11], off
	s_mov_b32 s50, -1
	s_mov_b32 s82, 0
	s_wait_loadcnt 0x0
	v_lshlrev_b32_e32 v5, 16, v5
	s_delay_alu instid0(VALU_DEP_1)
	v_cvt_i32_f32_e32 v8, v5
	s_branch .LBB23_275
.LBB23_39:
	s_mov_b32 s51, -1
	s_mov_b32 s84, 0
	s_mov_b32 s50, 0
                                        ; implicit-def: $vgpr1
	s_branch .LBB23_62
.LBB23_40:
	s_mov_b32 s51, -1
	s_mov_b32 s83, 0
	s_mov_b32 s50, 0
                                        ; implicit-def: $vgpr3
	s_branch .LBB23_190
.LBB23_41:
	s_mov_b32 s35, -1
	s_mov_b32 s82, 0
	s_mov_b32 s50, 0
                                        ; implicit-def: $vgpr8
	s_branch .LBB23_336
.LBB23_42:
	s_mov_b32 s51, -1
	s_mov_b32 s84, 0
	s_mov_b32 s50, 0
                                        ; implicit-def: $vgpr1
	s_branch .LBB23_57
.LBB23_43:
	s_mov_b32 s51, -1
	s_mov_b32 s83, 0
	s_mov_b32 s50, 0
                                        ; implicit-def: $vgpr3
	s_branch .LBB23_173
.LBB23_44:
	s_mov_b32 s51, -1
	s_mov_b32 s82, 0
	s_mov_b32 s50, 0
                                        ; implicit-def: $vgpr8
	s_branch .LBB23_302
.LBB23_45:
	s_mov_b32 s51, -1
	s_mov_b32 s84, 0
	s_branch .LBB23_49
.LBB23_46:
	s_mov_b32 s51, -1
	s_mov_b32 s83, 0
	s_mov_b32 s50, 0
                                        ; implicit-def: $vgpr3
	s_branch .LBB23_168
.LBB23_47:
	s_mov_b32 s51, -1
	s_mov_b32 s82, 0
	s_mov_b32 s50, 0
                                        ; implicit-def: $vgpr8
	s_branch .LBB23_285
.LBB23_48:
	s_mov_b32 s84, -1
.LBB23_49:
	s_mov_b32 s50, 0
                                        ; implicit-def: $vgpr1
.LBB23_50:
	s_and_b32 vcc_lo, exec_lo, s51
	s_cbranch_vccz .LBB23_56
; %bb.51:
	s_cmp_eq_u32 s35, 44
	s_cbranch_scc0 .LBB23_55
; %bb.52:
	global_load_u8 v1, v[12:13], off
	s_mov_b32 s84, 0
	s_mov_b32 s50, -1
	s_wait_loadcnt 0x0
	v_lshlrev_b32_e32 v3, 23, v1
	v_cmp_ne_u32_e32 vcc_lo, 0, v1
	s_delay_alu instid0(VALU_DEP_2) | instskip(NEXT) | instid1(VALU_DEP_1)
	v_cvt_i32_f32_e32 v3, v3
	v_cndmask_b32_e32 v1, 0, v3, vcc_lo
	s_branch .LBB23_56
.LBB23_53:
	s_mov_b32 s51, -1
	s_mov_b32 s83, 0
	s_branch .LBB23_161
.LBB23_54:
	s_mov_b32 s51, -1
	s_mov_b32 s82, 0
	s_mov_b32 s50, 0
                                        ; implicit-def: $vgpr8
	s_branch .LBB23_280
.LBB23_55:
	s_mov_b32 s84, -1
                                        ; implicit-def: $vgpr1
.LBB23_56:
	s_mov_b32 s51, 0
.LBB23_57:
	s_delay_alu instid0(SALU_CYCLE_1)
	s_and_b32 vcc_lo, exec_lo, s51
	s_cbranch_vccz .LBB23_61
; %bb.58:
	s_cmp_eq_u32 s35, 29
	s_cbranch_scc0 .LBB23_60
; %bb.59:
	global_load_b32 v1, v[12:13], off
	s_mov_b32 s50, -1
	s_mov_b32 s84, 0
	s_branch .LBB23_61
.LBB23_60:
	s_mov_b32 s84, -1
                                        ; implicit-def: $vgpr1
.LBB23_61:
	s_mov_b32 s51, 0
.LBB23_62:
	s_delay_alu instid0(SALU_CYCLE_1)
	s_and_b32 vcc_lo, exec_lo, s51
	s_cbranch_vccz .LBB23_78
; %bb.63:
	s_cmp_lt_i32 s35, 27
	s_cbranch_scc1 .LBB23_66
; %bb.64:
	s_cmp_gt_i32 s35, 27
	s_cbranch_scc0 .LBB23_67
; %bb.65:
	s_wait_loadcnt 0x0
	global_load_b32 v1, v[12:13], off
	s_mov_b32 s50, 0
	s_branch .LBB23_68
.LBB23_66:
	s_mov_b32 s50, -1
                                        ; implicit-def: $vgpr1
	s_branch .LBB23_71
.LBB23_67:
	s_mov_b32 s50, -1
                                        ; implicit-def: $vgpr1
.LBB23_68:
	s_delay_alu instid0(SALU_CYCLE_1)
	s_and_not1_b32 vcc_lo, exec_lo, s50
	s_cbranch_vccnz .LBB23_70
; %bb.69:
	s_wait_loadcnt 0x0
	global_load_u16 v1, v[12:13], off
.LBB23_70:
	s_mov_b32 s50, 0
.LBB23_71:
	s_delay_alu instid0(SALU_CYCLE_1)
	s_and_not1_b32 vcc_lo, exec_lo, s50
	s_cbranch_vccnz .LBB23_77
; %bb.72:
	global_load_u8 v3, v[12:13], off
	s_mov_b32 s51, 0
	s_mov_b32 s4, exec_lo
	s_wait_loadcnt 0x0
	v_cmpx_lt_i16_e32 0x7f, v3
	s_xor_b32 s50, exec_lo, s4
	s_cbranch_execz .LBB23_88
; %bb.73:
	v_cmp_ne_u16_e32 vcc_lo, 0x80, v3
	s_and_b32 s51, vcc_lo, exec_lo
	s_and_not1_saveexec_b32 s50, s50
	s_cbranch_execnz .LBB23_89
.LBB23_74:
	s_or_b32 exec_lo, exec_lo, s50
	v_mov_b32_e32 v1, 0
	s_and_saveexec_b32 s50, s51
	s_cbranch_execz .LBB23_76
.LBB23_75:
	v_and_b32_e32 v1, 0xffff, v3
	s_delay_alu instid0(VALU_DEP_1) | instskip(SKIP_1) | instid1(VALU_DEP_2)
	v_and_b32_e32 v5, 7, v1
	v_bfe_u32 v11, v1, 3, 4
	v_clz_i32_u32_e32 v7, v5
	s_delay_alu instid0(VALU_DEP_2) | instskip(NEXT) | instid1(VALU_DEP_2)
	v_cmp_eq_u32_e32 vcc_lo, 0, v11
	v_min_u32_e32 v7, 32, v7
	s_delay_alu instid0(VALU_DEP_1) | instskip(NEXT) | instid1(VALU_DEP_1)
	v_subrev_nc_u32_e32 v9, 28, v7
	v_dual_lshlrev_b32 v1, v9, v1 :: v_dual_sub_nc_u32 v7, 29, v7
	s_delay_alu instid0(VALU_DEP_1) | instskip(NEXT) | instid1(VALU_DEP_1)
	v_dual_lshlrev_b32 v3, 24, v3 :: v_dual_bitop2_b32 v1, 7, v1 bitop3:0x40
	v_dual_cndmask_b32 v1, v5, v1, vcc_lo :: v_dual_cndmask_b32 v7, v11, v7, vcc_lo
	s_delay_alu instid0(VALU_DEP_2) | instskip(NEXT) | instid1(VALU_DEP_2)
	v_and_b32_e32 v3, 0x80000000, v3
	v_lshlrev_b32_e32 v1, 20, v1
	s_delay_alu instid0(VALU_DEP_3) | instskip(NEXT) | instid1(VALU_DEP_1)
	v_lshl_add_u32 v5, v7, 23, 0x3b800000
	v_or3_b32 v1, v3, v5, v1
	s_delay_alu instid0(VALU_DEP_1)
	v_cvt_i32_f32_e32 v1, v1
.LBB23_76:
	s_or_b32 exec_lo, exec_lo, s50
.LBB23_77:
	s_mov_b32 s50, -1
.LBB23_78:
	s_branch .LBB23_111
.LBB23_79:
	s_cmp_gt_i32 s35, 22
	s_cbranch_scc0 .LBB23_87
; %bb.80:
	s_cmp_lt_i32 s35, 24
	s_cbranch_scc1 .LBB23_90
; %bb.81:
	s_cmp_gt_i32 s35, 24
	s_cbranch_scc0 .LBB23_91
; %bb.82:
	global_load_u8 v3, v[12:13], off
	s_mov_b32 s51, 0
	s_mov_b32 s4, exec_lo
	s_wait_loadcnt 0x0
	v_cmpx_lt_i16_e32 0x7f, v3
	s_xor_b32 s50, exec_lo, s4
	s_cbranch_execz .LBB23_103
; %bb.83:
	v_cmp_ne_u16_e32 vcc_lo, 0x80, v3
	s_and_b32 s51, vcc_lo, exec_lo
	s_and_not1_saveexec_b32 s50, s50
	s_cbranch_execnz .LBB23_104
.LBB23_84:
	s_or_b32 exec_lo, exec_lo, s50
	v_mov_b32_e32 v1, 0
	s_and_saveexec_b32 s50, s51
	s_cbranch_execz .LBB23_86
.LBB23_85:
	v_and_b32_e32 v1, 0xffff, v3
	s_delay_alu instid0(VALU_DEP_1) | instskip(SKIP_1) | instid1(VALU_DEP_2)
	v_and_b32_e32 v5, 3, v1
	v_bfe_u32 v11, v1, 2, 5
	v_clz_i32_u32_e32 v7, v5
	s_delay_alu instid0(VALU_DEP_2) | instskip(NEXT) | instid1(VALU_DEP_2)
	v_cmp_eq_u32_e32 vcc_lo, 0, v11
	v_min_u32_e32 v7, 32, v7
	s_delay_alu instid0(VALU_DEP_1) | instskip(NEXT) | instid1(VALU_DEP_1)
	v_subrev_nc_u32_e32 v9, 29, v7
	v_dual_lshlrev_b32 v1, v9, v1 :: v_dual_sub_nc_u32 v7, 30, v7
	s_delay_alu instid0(VALU_DEP_1) | instskip(NEXT) | instid1(VALU_DEP_1)
	v_dual_lshlrev_b32 v3, 24, v3 :: v_dual_bitop2_b32 v1, 3, v1 bitop3:0x40
	v_dual_cndmask_b32 v1, v5, v1, vcc_lo :: v_dual_cndmask_b32 v7, v11, v7, vcc_lo
	s_delay_alu instid0(VALU_DEP_2) | instskip(NEXT) | instid1(VALU_DEP_2)
	v_and_b32_e32 v3, 0x80000000, v3
	v_lshlrev_b32_e32 v1, 21, v1
	s_delay_alu instid0(VALU_DEP_3) | instskip(NEXT) | instid1(VALU_DEP_1)
	v_lshl_add_u32 v5, v7, 23, 0x37800000
	v_or3_b32 v1, v3, v5, v1
	s_delay_alu instid0(VALU_DEP_1)
	v_cvt_i32_f32_e32 v1, v1
.LBB23_86:
	s_or_b32 exec_lo, exec_lo, s50
	s_mov_b32 s50, 0
	s_branch .LBB23_92
.LBB23_87:
	s_mov_b32 s51, -1
                                        ; implicit-def: $vgpr1
	s_branch .LBB23_98
.LBB23_88:
	s_and_not1_saveexec_b32 s50, s50
	s_cbranch_execz .LBB23_74
.LBB23_89:
	v_cmp_ne_u16_e32 vcc_lo, 0, v3
	s_and_not1_b32 s4, s51, exec_lo
	s_and_b32 s5, vcc_lo, exec_lo
	s_delay_alu instid0(SALU_CYCLE_1)
	s_or_b32 s51, s4, s5
	s_or_b32 exec_lo, exec_lo, s50
	v_mov_b32_e32 v1, 0
	s_and_saveexec_b32 s50, s51
	s_cbranch_execnz .LBB23_75
	s_branch .LBB23_76
.LBB23_90:
	s_mov_b32 s50, -1
                                        ; implicit-def: $vgpr1
	s_branch .LBB23_95
.LBB23_91:
	s_mov_b32 s50, -1
                                        ; implicit-def: $vgpr1
.LBB23_92:
	s_delay_alu instid0(SALU_CYCLE_1)
	s_and_b32 vcc_lo, exec_lo, s50
	s_cbranch_vccz .LBB23_94
; %bb.93:
	s_wait_loadcnt 0x0
	global_load_u8 v1, v[12:13], off
	s_wait_loadcnt 0x0
	v_lshlrev_b32_e32 v1, 24, v1
	s_delay_alu instid0(VALU_DEP_1) | instskip(NEXT) | instid1(VALU_DEP_1)
	v_and_b32_e32 v3, 0x7f000000, v1
	v_clz_i32_u32_e32 v5, v3
	v_add_nc_u32_e32 v9, 0x1000000, v3
	v_cmp_ne_u32_e32 vcc_lo, 0, v3
	s_delay_alu instid0(VALU_DEP_3) | instskip(NEXT) | instid1(VALU_DEP_1)
	v_min_u32_e32 v5, 32, v5
	v_sub_nc_u32_e64 v5, v5, 4 clamp
	s_delay_alu instid0(VALU_DEP_1) | instskip(NEXT) | instid1(VALU_DEP_1)
	v_dual_lshlrev_b32 v7, v5, v3 :: v_dual_lshlrev_b32 v5, 23, v5
	v_lshrrev_b32_e32 v7, 4, v7
	s_delay_alu instid0(VALU_DEP_1) | instskip(SKIP_1) | instid1(VALU_DEP_2)
	v_sub_nc_u32_e32 v5, v7, v5
	v_ashrrev_i32_e32 v7, 8, v9
	v_add_nc_u32_e32 v5, 0x3c000000, v5
	s_delay_alu instid0(VALU_DEP_1) | instskip(NEXT) | instid1(VALU_DEP_1)
	v_and_or_b32 v5, 0x7f800000, v7, v5
	v_cndmask_b32_e32 v3, 0, v5, vcc_lo
	s_delay_alu instid0(VALU_DEP_1) | instskip(NEXT) | instid1(VALU_DEP_1)
	v_and_or_b32 v1, 0x80000000, v1, v3
	v_cvt_i32_f32_e32 v1, v1
.LBB23_94:
	s_mov_b32 s50, 0
.LBB23_95:
	s_delay_alu instid0(SALU_CYCLE_1)
	s_and_not1_b32 vcc_lo, exec_lo, s50
	s_cbranch_vccnz .LBB23_97
; %bb.96:
	s_wait_loadcnt 0x0
	global_load_u8 v1, v[12:13], off
	s_wait_loadcnt 0x0
	v_lshlrev_b32_e32 v3, 25, v1
	v_lshlrev_b16 v1, 8, v1
	s_delay_alu instid0(VALU_DEP_1) | instskip(SKIP_1) | instid1(VALU_DEP_2)
	v_and_or_b32 v7, 0x7f00, v1, 0.5
	v_bfe_i32 v1, v1, 0, 16
	v_add_f32_e32 v7, -0.5, v7
	v_lshrrev_b32_e32 v5, 4, v3
	v_cmp_gt_u32_e32 vcc_lo, 0x8000000, v3
	s_delay_alu instid0(VALU_DEP_2) | instskip(NEXT) | instid1(VALU_DEP_1)
	v_or_b32_e32 v5, 0x70000000, v5
	v_mul_f32_e32 v5, 0x7800000, v5
	s_delay_alu instid0(VALU_DEP_1) | instskip(NEXT) | instid1(VALU_DEP_1)
	v_cndmask_b32_e32 v3, v5, v7, vcc_lo
	v_and_or_b32 v1, 0x80000000, v1, v3
	s_delay_alu instid0(VALU_DEP_1)
	v_cvt_i32_f32_e32 v1, v1
.LBB23_97:
	s_mov_b32 s51, 0
	s_mov_b32 s50, -1
.LBB23_98:
	s_and_not1_b32 vcc_lo, exec_lo, s51
	s_cbranch_vccnz .LBB23_111
; %bb.99:
	s_cmp_gt_i32 s35, 14
	s_cbranch_scc0 .LBB23_102
; %bb.100:
	s_cmp_eq_u32 s35, 15
	s_cbranch_scc0 .LBB23_105
; %bb.101:
	s_wait_loadcnt 0x0
	global_load_u16 v1, v[12:13], off
	s_mov_b32 s50, -1
	s_mov_b32 s84, 0
	s_wait_loadcnt 0x0
	v_lshlrev_b32_e32 v1, 16, v1
	s_delay_alu instid0(VALU_DEP_1)
	v_cvt_i32_f32_e32 v1, v1
	s_branch .LBB23_106
.LBB23_102:
	s_mov_b32 s51, -1
                                        ; implicit-def: $vgpr1
	s_branch .LBB23_107
.LBB23_103:
	s_and_not1_saveexec_b32 s50, s50
	s_cbranch_execz .LBB23_84
.LBB23_104:
	v_cmp_ne_u16_e32 vcc_lo, 0, v3
	s_and_not1_b32 s4, s51, exec_lo
	s_and_b32 s5, vcc_lo, exec_lo
	s_delay_alu instid0(SALU_CYCLE_1)
	s_or_b32 s51, s4, s5
	s_or_b32 exec_lo, exec_lo, s50
	v_mov_b32_e32 v1, 0
	s_and_saveexec_b32 s50, s51
	s_cbranch_execnz .LBB23_85
	s_branch .LBB23_86
.LBB23_105:
	s_mov_b32 s84, -1
                                        ; implicit-def: $vgpr1
.LBB23_106:
	s_mov_b32 s51, 0
.LBB23_107:
	s_delay_alu instid0(SALU_CYCLE_1)
	s_and_b32 vcc_lo, exec_lo, s51
	s_cbranch_vccz .LBB23_111
; %bb.108:
	s_cmp_eq_u32 s35, 11
	s_cbranch_scc0 .LBB23_110
; %bb.109:
	s_wait_loadcnt 0x0
	global_load_u8 v1, v[12:13], off
	s_mov_b32 s84, 0
	s_mov_b32 s50, -1
	s_wait_loadcnt 0x0
	v_cmp_ne_u16_e32 vcc_lo, 0, v1
	v_cndmask_b32_e64 v1, 0, 1, vcc_lo
	s_branch .LBB23_111
.LBB23_110:
	s_mov_b32 s84, -1
                                        ; implicit-def: $vgpr1
.LBB23_111:
	s_branch .LBB23_21
.LBB23_112:
	s_and_b32 s0, 0xffff, s0
	s_delay_alu instid0(SALU_CYCLE_1)
	s_cmp_lt_i32 s0, 5
	s_cbranch_scc1 .LBB23_117
; %bb.113:
	s_cmp_lt_i32 s0, 8
	s_cbranch_scc1 .LBB23_118
; %bb.114:
	;; [unrolled: 3-line block ×3, first 2 shown]
	s_cmp_gt_i32 s0, 9
	s_cbranch_scc0 .LBB23_120
; %bb.116:
	global_load_b64 v[14:15], v[12:13], off
	s_mov_b32 s35, 0
	s_wait_loadcnt 0x0
	v_cvt_i32_f64_e32 v1, v[14:15]
	s_branch .LBB23_121
.LBB23_117:
                                        ; implicit-def: $vgpr1
	s_branch .LBB23_139
.LBB23_118:
	s_mov_b32 s35, -1
                                        ; implicit-def: $vgpr1
	s_branch .LBB23_127
.LBB23_119:
	s_mov_b32 s35, -1
                                        ; implicit-def: $vgpr1
	s_branch .LBB23_124
.LBB23_120:
	s_mov_b32 s35, -1
                                        ; implicit-def: $vgpr1
.LBB23_121:
	s_delay_alu instid0(SALU_CYCLE_1)
	s_and_not1_b32 vcc_lo, exec_lo, s35
	s_cbranch_vccnz .LBB23_123
; %bb.122:
	s_wait_loadcnt 0x0
	global_load_b32 v1, v[12:13], off
	s_wait_loadcnt 0x0
	v_cvt_i32_f32_e32 v1, v1
.LBB23_123:
	s_mov_b32 s35, 0
.LBB23_124:
	s_delay_alu instid0(SALU_CYCLE_1)
	s_and_not1_b32 vcc_lo, exec_lo, s35
	s_cbranch_vccnz .LBB23_126
; %bb.125:
	s_wait_loadcnt 0x0
	global_load_b32 v1, v[12:13], off
	s_wait_loadcnt 0x0
	v_cvt_f32_f16_e32 v1, v1
	s_delay_alu instid0(VALU_DEP_1)
	v_cvt_i32_f32_e32 v1, v1
.LBB23_126:
	s_mov_b32 s35, 0
.LBB23_127:
	s_delay_alu instid0(SALU_CYCLE_1)
	s_and_not1_b32 vcc_lo, exec_lo, s35
	s_cbranch_vccnz .LBB23_138
; %bb.128:
	s_cmp_lt_i32 s0, 6
	s_cbranch_scc1 .LBB23_131
; %bb.129:
	s_cmp_gt_i32 s0, 6
	s_cbranch_scc0 .LBB23_132
; %bb.130:
	global_load_b64 v[14:15], v[12:13], off
	s_mov_b32 s35, 0
	s_wait_loadcnt 0x0
	v_cvt_i32_f64_e32 v1, v[14:15]
	s_branch .LBB23_133
.LBB23_131:
	s_mov_b32 s35, -1
                                        ; implicit-def: $vgpr1
	s_branch .LBB23_136
.LBB23_132:
	s_mov_b32 s35, -1
                                        ; implicit-def: $vgpr1
.LBB23_133:
	s_delay_alu instid0(SALU_CYCLE_1)
	s_and_not1_b32 vcc_lo, exec_lo, s35
	s_cbranch_vccnz .LBB23_135
; %bb.134:
	s_wait_loadcnt 0x0
	global_load_b32 v1, v[12:13], off
	s_wait_loadcnt 0x0
	v_cvt_i32_f32_e32 v1, v1
.LBB23_135:
	s_mov_b32 s35, 0
.LBB23_136:
	s_delay_alu instid0(SALU_CYCLE_1)
	s_and_not1_b32 vcc_lo, exec_lo, s35
	s_cbranch_vccnz .LBB23_138
; %bb.137:
	s_wait_loadcnt 0x0
	global_load_u16 v1, v[12:13], off
	s_wait_loadcnt 0x0
	v_cvt_f32_f16_e32 v1, v1
	s_delay_alu instid0(VALU_DEP_1)
	v_cvt_i32_f32_e32 v1, v1
.LBB23_138:
	s_cbranch_execnz .LBB23_158
.LBB23_139:
	s_cmp_lt_i32 s0, 2
	s_cbranch_scc1 .LBB23_143
; %bb.140:
	s_cmp_lt_i32 s0, 3
	s_cbranch_scc1 .LBB23_144
; %bb.141:
	s_cmp_gt_i32 s0, 3
	s_cbranch_scc0 .LBB23_145
; %bb.142:
	s_wait_loadcnt 0x0
	global_load_b32 v1, v[12:13], off
	s_mov_b32 s35, 0
	s_branch .LBB23_146
.LBB23_143:
	s_mov_b32 s35, -1
                                        ; implicit-def: $vgpr1
	s_branch .LBB23_152
.LBB23_144:
	s_mov_b32 s35, -1
                                        ; implicit-def: $vgpr1
	s_branch .LBB23_149
.LBB23_145:
	s_mov_b32 s35, -1
                                        ; implicit-def: $vgpr1
.LBB23_146:
	s_delay_alu instid0(SALU_CYCLE_1)
	s_and_not1_b32 vcc_lo, exec_lo, s35
	s_cbranch_vccnz .LBB23_148
; %bb.147:
	s_wait_loadcnt 0x0
	global_load_b32 v1, v[12:13], off
.LBB23_148:
	s_mov_b32 s35, 0
.LBB23_149:
	s_delay_alu instid0(SALU_CYCLE_1)
	s_and_not1_b32 vcc_lo, exec_lo, s35
	s_cbranch_vccnz .LBB23_151
; %bb.150:
	s_wait_loadcnt 0x0
	global_load_i16 v1, v[12:13], off
.LBB23_151:
	s_mov_b32 s35, 0
.LBB23_152:
	s_delay_alu instid0(SALU_CYCLE_1)
	s_and_not1_b32 vcc_lo, exec_lo, s35
	s_cbranch_vccnz .LBB23_158
; %bb.153:
	s_cmp_gt_i32 s0, 0
	s_mov_b32 s0, 0
	s_cbranch_scc0 .LBB23_155
; %bb.154:
	s_wait_loadcnt 0x0
	global_load_i8 v1, v[12:13], off
	s_branch .LBB23_156
.LBB23_155:
	s_mov_b32 s0, -1
                                        ; implicit-def: $vgpr1
.LBB23_156:
	s_delay_alu instid0(SALU_CYCLE_1)
	s_and_not1_b32 vcc_lo, exec_lo, s0
	s_cbranch_vccnz .LBB23_158
; %bb.157:
	s_wait_loadcnt 0x0
	global_load_u8 v1, v[12:13], off
.LBB23_158:
	s_branch .LBB23_22
.LBB23_159:
	s_mov_b32 s0, 0
	s_mov_b32 s35, 0
	s_mov_b32 s50, 0
	s_mov_b32 s51, 0
	s_mov_b32 s52, 0
	s_mov_b32 s53, 0
	s_mov_b32 s80, 0
	s_mov_b32 s81, 0
	s_mov_b32 s82, 0
	s_mov_b32 s83, 0
	s_branch .LBB23_649
.LBB23_160:
	s_mov_b32 s83, -1
.LBB23_161:
	s_mov_b32 s50, 0
                                        ; implicit-def: $vgpr3
.LBB23_162:
	s_and_b32 vcc_lo, exec_lo, s51
	s_cbranch_vccz .LBB23_167
; %bb.163:
	s_cmp_eq_u32 s35, 44
	s_cbranch_scc0 .LBB23_166
; %bb.164:
	global_load_u8 v3, v[10:11], off
	s_mov_b32 s83, 0
	s_mov_b32 s50, -1
	s_wait_loadcnt 0x0
	v_lshlrev_b32_e32 v5, 23, v3
	v_cmp_ne_u32_e32 vcc_lo, 0, v3
	s_delay_alu instid0(VALU_DEP_2) | instskip(NEXT) | instid1(VALU_DEP_1)
	v_cvt_i32_f32_e32 v5, v5
	v_cndmask_b32_e32 v3, 0, v5, vcc_lo
	s_branch .LBB23_167
.LBB23_165:
	s_mov_b32 s51, -1
	s_mov_b32 s82, 0
	s_branch .LBB23_274
.LBB23_166:
	s_mov_b32 s83, -1
                                        ; implicit-def: $vgpr3
.LBB23_167:
	s_mov_b32 s51, 0
.LBB23_168:
	s_delay_alu instid0(SALU_CYCLE_1)
	s_and_b32 vcc_lo, exec_lo, s51
	s_cbranch_vccz .LBB23_172
; %bb.169:
	s_cmp_eq_u32 s35, 29
	s_cbranch_scc0 .LBB23_171
; %bb.170:
	global_load_b32 v3, v[10:11], off
	s_mov_b32 s50, -1
	s_mov_b32 s83, 0
	s_branch .LBB23_172
.LBB23_171:
	s_mov_b32 s83, -1
                                        ; implicit-def: $vgpr3
.LBB23_172:
	s_mov_b32 s51, 0
.LBB23_173:
	s_delay_alu instid0(SALU_CYCLE_1)
	s_and_b32 vcc_lo, exec_lo, s51
	s_cbranch_vccz .LBB23_189
; %bb.174:
	s_cmp_lt_i32 s35, 27
	s_cbranch_scc1 .LBB23_177
; %bb.175:
	s_cmp_gt_i32 s35, 27
	s_cbranch_scc0 .LBB23_178
; %bb.176:
	s_wait_loadcnt 0x0
	global_load_b32 v3, v[10:11], off
	s_mov_b32 s50, 0
	s_branch .LBB23_179
.LBB23_177:
	s_mov_b32 s50, -1
                                        ; implicit-def: $vgpr3
	s_branch .LBB23_182
.LBB23_178:
	s_mov_b32 s50, -1
                                        ; implicit-def: $vgpr3
.LBB23_179:
	s_delay_alu instid0(SALU_CYCLE_1)
	s_and_not1_b32 vcc_lo, exec_lo, s50
	s_cbranch_vccnz .LBB23_181
; %bb.180:
	s_wait_loadcnt 0x0
	global_load_u16 v3, v[10:11], off
.LBB23_181:
	s_mov_b32 s50, 0
.LBB23_182:
	s_delay_alu instid0(SALU_CYCLE_1)
	s_and_not1_b32 vcc_lo, exec_lo, s50
	s_cbranch_vccnz .LBB23_188
; %bb.183:
	global_load_u8 v5, v[10:11], off
	s_mov_b32 s51, 0
	s_mov_b32 s4, exec_lo
	s_wait_loadcnt 0x0
	v_cmpx_lt_i16_e32 0x7f, v5
	s_xor_b32 s50, exec_lo, s4
	s_cbranch_execz .LBB23_200
; %bb.184:
	v_cmp_ne_u16_e32 vcc_lo, 0x80, v5
	s_and_b32 s51, vcc_lo, exec_lo
	s_and_not1_saveexec_b32 s50, s50
	s_cbranch_execnz .LBB23_201
.LBB23_185:
	s_or_b32 exec_lo, exec_lo, s50
	v_mov_b32_e32 v3, 0
	s_and_saveexec_b32 s50, s51
	s_cbranch_execz .LBB23_187
.LBB23_186:
	v_and_b32_e32 v3, 0xffff, v5
	s_delay_alu instid0(VALU_DEP_1) | instskip(SKIP_1) | instid1(VALU_DEP_2)
	v_and_b32_e32 v7, 7, v3
	v_bfe_u32 v13, v3, 3, 4
	v_clz_i32_u32_e32 v9, v7
	s_delay_alu instid0(VALU_DEP_2) | instskip(NEXT) | instid1(VALU_DEP_2)
	v_cmp_eq_u32_e32 vcc_lo, 0, v13
	v_min_u32_e32 v9, 32, v9
	s_delay_alu instid0(VALU_DEP_1) | instskip(NEXT) | instid1(VALU_DEP_1)
	v_subrev_nc_u32_e32 v12, 28, v9
	v_dual_lshlrev_b32 v3, v12, v3 :: v_dual_sub_nc_u32 v9, 29, v9
	s_delay_alu instid0(VALU_DEP_1) | instskip(NEXT) | instid1(VALU_DEP_1)
	v_dual_lshlrev_b32 v5, 24, v5 :: v_dual_bitop2_b32 v3, 7, v3 bitop3:0x40
	v_dual_cndmask_b32 v3, v7, v3, vcc_lo :: v_dual_cndmask_b32 v9, v13, v9, vcc_lo
	s_delay_alu instid0(VALU_DEP_2) | instskip(NEXT) | instid1(VALU_DEP_2)
	v_and_b32_e32 v5, 0x80000000, v5
	v_lshlrev_b32_e32 v3, 20, v3
	s_delay_alu instid0(VALU_DEP_3) | instskip(NEXT) | instid1(VALU_DEP_1)
	v_lshl_add_u32 v7, v9, 23, 0x3b800000
	v_or3_b32 v3, v5, v7, v3
	s_delay_alu instid0(VALU_DEP_1)
	v_cvt_i32_f32_e32 v3, v3
.LBB23_187:
	s_or_b32 exec_lo, exec_lo, s50
.LBB23_188:
	s_mov_b32 s50, -1
.LBB23_189:
	s_mov_b32 s51, 0
.LBB23_190:
	s_delay_alu instid0(SALU_CYCLE_1)
	s_and_b32 vcc_lo, exec_lo, s51
	s_cbranch_vccz .LBB23_223
; %bb.191:
	s_cmp_gt_i32 s35, 22
	s_cbranch_scc0 .LBB23_199
; %bb.192:
	s_cmp_lt_i32 s35, 24
	s_cbranch_scc1 .LBB23_202
; %bb.193:
	s_cmp_gt_i32 s35, 24
	s_cbranch_scc0 .LBB23_203
; %bb.194:
	global_load_u8 v5, v[10:11], off
	s_mov_b32 s51, 0
	s_mov_b32 s4, exec_lo
	s_wait_loadcnt 0x0
	v_cmpx_lt_i16_e32 0x7f, v5
	s_xor_b32 s50, exec_lo, s4
	s_cbranch_execz .LBB23_215
; %bb.195:
	v_cmp_ne_u16_e32 vcc_lo, 0x80, v5
	s_and_b32 s51, vcc_lo, exec_lo
	s_and_not1_saveexec_b32 s50, s50
	s_cbranch_execnz .LBB23_216
.LBB23_196:
	s_or_b32 exec_lo, exec_lo, s50
	v_mov_b32_e32 v3, 0
	s_and_saveexec_b32 s50, s51
	s_cbranch_execz .LBB23_198
.LBB23_197:
	v_and_b32_e32 v3, 0xffff, v5
	s_delay_alu instid0(VALU_DEP_1) | instskip(SKIP_1) | instid1(VALU_DEP_2)
	v_and_b32_e32 v7, 3, v3
	v_bfe_u32 v13, v3, 2, 5
	v_clz_i32_u32_e32 v9, v7
	s_delay_alu instid0(VALU_DEP_2) | instskip(NEXT) | instid1(VALU_DEP_2)
	v_cmp_eq_u32_e32 vcc_lo, 0, v13
	v_min_u32_e32 v9, 32, v9
	s_delay_alu instid0(VALU_DEP_1) | instskip(NEXT) | instid1(VALU_DEP_1)
	v_subrev_nc_u32_e32 v12, 29, v9
	v_dual_lshlrev_b32 v3, v12, v3 :: v_dual_sub_nc_u32 v9, 30, v9
	s_delay_alu instid0(VALU_DEP_1) | instskip(NEXT) | instid1(VALU_DEP_1)
	v_dual_lshlrev_b32 v5, 24, v5 :: v_dual_bitop2_b32 v3, 3, v3 bitop3:0x40
	v_dual_cndmask_b32 v3, v7, v3, vcc_lo :: v_dual_cndmask_b32 v9, v13, v9, vcc_lo
	s_delay_alu instid0(VALU_DEP_2) | instskip(NEXT) | instid1(VALU_DEP_2)
	v_and_b32_e32 v5, 0x80000000, v5
	v_lshlrev_b32_e32 v3, 21, v3
	s_delay_alu instid0(VALU_DEP_3) | instskip(NEXT) | instid1(VALU_DEP_1)
	v_lshl_add_u32 v7, v9, 23, 0x37800000
	v_or3_b32 v3, v5, v7, v3
	s_delay_alu instid0(VALU_DEP_1)
	v_cvt_i32_f32_e32 v3, v3
.LBB23_198:
	s_or_b32 exec_lo, exec_lo, s50
	s_mov_b32 s50, 0
	s_branch .LBB23_204
.LBB23_199:
	s_mov_b32 s51, -1
                                        ; implicit-def: $vgpr3
	s_branch .LBB23_210
.LBB23_200:
	s_and_not1_saveexec_b32 s50, s50
	s_cbranch_execz .LBB23_185
.LBB23_201:
	v_cmp_ne_u16_e32 vcc_lo, 0, v5
	s_and_not1_b32 s4, s51, exec_lo
	s_and_b32 s5, vcc_lo, exec_lo
	s_delay_alu instid0(SALU_CYCLE_1)
	s_or_b32 s51, s4, s5
	s_or_b32 exec_lo, exec_lo, s50
	v_mov_b32_e32 v3, 0
	s_and_saveexec_b32 s50, s51
	s_cbranch_execnz .LBB23_186
	s_branch .LBB23_187
.LBB23_202:
	s_mov_b32 s50, -1
                                        ; implicit-def: $vgpr3
	s_branch .LBB23_207
.LBB23_203:
	s_mov_b32 s50, -1
                                        ; implicit-def: $vgpr3
.LBB23_204:
	s_delay_alu instid0(SALU_CYCLE_1)
	s_and_b32 vcc_lo, exec_lo, s50
	s_cbranch_vccz .LBB23_206
; %bb.205:
	s_wait_loadcnt 0x0
	global_load_u8 v3, v[10:11], off
	s_wait_loadcnt 0x0
	v_lshlrev_b32_e32 v3, 24, v3
	s_delay_alu instid0(VALU_DEP_1) | instskip(NEXT) | instid1(VALU_DEP_1)
	v_and_b32_e32 v5, 0x7f000000, v3
	v_clz_i32_u32_e32 v7, v5
	v_cmp_ne_u32_e32 vcc_lo, 0, v5
	v_add_nc_u32_e32 v12, 0x1000000, v5
	s_delay_alu instid0(VALU_DEP_3) | instskip(NEXT) | instid1(VALU_DEP_1)
	v_min_u32_e32 v7, 32, v7
	v_sub_nc_u32_e64 v7, v7, 4 clamp
	s_delay_alu instid0(VALU_DEP_1) | instskip(NEXT) | instid1(VALU_DEP_1)
	v_dual_lshlrev_b32 v9, v7, v5 :: v_dual_lshlrev_b32 v7, 23, v7
	v_lshrrev_b32_e32 v9, 4, v9
	s_delay_alu instid0(VALU_DEP_1) | instskip(NEXT) | instid1(VALU_DEP_1)
	v_dual_sub_nc_u32 v7, v9, v7 :: v_dual_ashrrev_i32 v9, 8, v12
	v_add_nc_u32_e32 v7, 0x3c000000, v7
	s_delay_alu instid0(VALU_DEP_1) | instskip(NEXT) | instid1(VALU_DEP_1)
	v_and_or_b32 v7, 0x7f800000, v9, v7
	v_cndmask_b32_e32 v5, 0, v7, vcc_lo
	s_delay_alu instid0(VALU_DEP_1) | instskip(NEXT) | instid1(VALU_DEP_1)
	v_and_or_b32 v3, 0x80000000, v3, v5
	v_cvt_i32_f32_e32 v3, v3
.LBB23_206:
	s_mov_b32 s50, 0
.LBB23_207:
	s_delay_alu instid0(SALU_CYCLE_1)
	s_and_not1_b32 vcc_lo, exec_lo, s50
	s_cbranch_vccnz .LBB23_209
; %bb.208:
	s_wait_loadcnt 0x0
	global_load_u8 v3, v[10:11], off
	s_wait_loadcnt 0x0
	v_lshlrev_b32_e32 v5, 25, v3
	v_lshlrev_b16 v3, 8, v3
	s_delay_alu instid0(VALU_DEP_1) | instskip(SKIP_1) | instid1(VALU_DEP_2)
	v_and_or_b32 v9, 0x7f00, v3, 0.5
	v_bfe_i32 v3, v3, 0, 16
	v_add_f32_e32 v9, -0.5, v9
	v_lshrrev_b32_e32 v7, 4, v5
	v_cmp_gt_u32_e32 vcc_lo, 0x8000000, v5
	s_delay_alu instid0(VALU_DEP_2) | instskip(NEXT) | instid1(VALU_DEP_1)
	v_or_b32_e32 v7, 0x70000000, v7
	v_mul_f32_e32 v7, 0x7800000, v7
	s_delay_alu instid0(VALU_DEP_1) | instskip(NEXT) | instid1(VALU_DEP_1)
	v_cndmask_b32_e32 v5, v7, v9, vcc_lo
	v_and_or_b32 v3, 0x80000000, v3, v5
	s_delay_alu instid0(VALU_DEP_1)
	v_cvt_i32_f32_e32 v3, v3
.LBB23_209:
	s_mov_b32 s51, 0
	s_mov_b32 s50, -1
.LBB23_210:
	s_and_not1_b32 vcc_lo, exec_lo, s51
	s_cbranch_vccnz .LBB23_223
; %bb.211:
	s_cmp_gt_i32 s35, 14
	s_cbranch_scc0 .LBB23_214
; %bb.212:
	s_cmp_eq_u32 s35, 15
	s_cbranch_scc0 .LBB23_217
; %bb.213:
	s_wait_loadcnt 0x0
	global_load_u16 v3, v[10:11], off
	s_mov_b32 s50, -1
	s_mov_b32 s83, 0
	s_wait_loadcnt 0x0
	v_lshlrev_b32_e32 v3, 16, v3
	s_delay_alu instid0(VALU_DEP_1)
	v_cvt_i32_f32_e32 v3, v3
	s_branch .LBB23_218
.LBB23_214:
	s_mov_b32 s51, -1
                                        ; implicit-def: $vgpr3
	s_branch .LBB23_219
.LBB23_215:
	s_and_not1_saveexec_b32 s50, s50
	s_cbranch_execz .LBB23_196
.LBB23_216:
	v_cmp_ne_u16_e32 vcc_lo, 0, v5
	s_and_not1_b32 s4, s51, exec_lo
	s_and_b32 s5, vcc_lo, exec_lo
	s_delay_alu instid0(SALU_CYCLE_1)
	s_or_b32 s51, s4, s5
	s_or_b32 exec_lo, exec_lo, s50
	v_mov_b32_e32 v3, 0
	s_and_saveexec_b32 s50, s51
	s_cbranch_execnz .LBB23_197
	s_branch .LBB23_198
.LBB23_217:
	s_mov_b32 s83, -1
                                        ; implicit-def: $vgpr3
.LBB23_218:
	s_mov_b32 s51, 0
.LBB23_219:
	s_delay_alu instid0(SALU_CYCLE_1)
	s_and_b32 vcc_lo, exec_lo, s51
	s_cbranch_vccz .LBB23_223
; %bb.220:
	s_cmp_eq_u32 s35, 11
	s_cbranch_scc0 .LBB23_222
; %bb.221:
	s_wait_loadcnt 0x0
	global_load_u8 v3, v[10:11], off
	s_mov_b32 s83, 0
	s_mov_b32 s50, -1
	s_wait_loadcnt 0x0
	v_cmp_ne_u16_e32 vcc_lo, 0, v3
	v_cndmask_b32_e64 v3, 0, 1, vcc_lo
	s_branch .LBB23_223
.LBB23_222:
	s_mov_b32 s83, -1
                                        ; implicit-def: $vgpr3
.LBB23_223:
	s_branch .LBB23_31
.LBB23_224:
	s_and_b32 s0, 0xffff, s0
	s_delay_alu instid0(SALU_CYCLE_1)
	s_cmp_lt_i32 s0, 5
	s_cbranch_scc1 .LBB23_229
; %bb.225:
	s_cmp_lt_i32 s0, 8
	s_cbranch_scc1 .LBB23_230
; %bb.226:
	;; [unrolled: 3-line block ×3, first 2 shown]
	s_cmp_gt_i32 s0, 9
	s_cbranch_scc0 .LBB23_232
; %bb.228:
	global_load_b64 v[12:13], v[10:11], off
	s_mov_b32 s35, 0
	s_wait_loadcnt 0x0
	v_cvt_i32_f64_e32 v3, v[12:13]
	s_branch .LBB23_233
.LBB23_229:
	s_mov_b32 s35, -1
                                        ; implicit-def: $vgpr3
	s_branch .LBB23_251
.LBB23_230:
	s_mov_b32 s35, -1
                                        ; implicit-def: $vgpr3
	s_branch .LBB23_239
.LBB23_231:
	s_mov_b32 s35, -1
                                        ; implicit-def: $vgpr3
	s_branch .LBB23_236
.LBB23_232:
	s_mov_b32 s35, -1
                                        ; implicit-def: $vgpr3
.LBB23_233:
	s_delay_alu instid0(SALU_CYCLE_1)
	s_and_not1_b32 vcc_lo, exec_lo, s35
	s_cbranch_vccnz .LBB23_235
; %bb.234:
	s_wait_loadcnt 0x0
	global_load_b32 v3, v[10:11], off
	s_wait_loadcnt 0x0
	v_cvt_i32_f32_e32 v3, v3
.LBB23_235:
	s_mov_b32 s35, 0
.LBB23_236:
	s_delay_alu instid0(SALU_CYCLE_1)
	s_and_not1_b32 vcc_lo, exec_lo, s35
	s_cbranch_vccnz .LBB23_238
; %bb.237:
	s_wait_loadcnt 0x0
	global_load_b32 v3, v[10:11], off
	s_wait_loadcnt 0x0
	v_cvt_f32_f16_e32 v3, v3
	s_delay_alu instid0(VALU_DEP_1)
	v_cvt_i32_f32_e32 v3, v3
.LBB23_238:
	s_mov_b32 s35, 0
.LBB23_239:
	s_delay_alu instid0(SALU_CYCLE_1)
	s_and_not1_b32 vcc_lo, exec_lo, s35
	s_cbranch_vccnz .LBB23_250
; %bb.240:
	s_cmp_lt_i32 s0, 6
	s_cbranch_scc1 .LBB23_243
; %bb.241:
	s_cmp_gt_i32 s0, 6
	s_cbranch_scc0 .LBB23_244
; %bb.242:
	global_load_b64 v[12:13], v[10:11], off
	s_mov_b32 s35, 0
	s_wait_loadcnt 0x0
	v_cvt_i32_f64_e32 v3, v[12:13]
	s_branch .LBB23_245
.LBB23_243:
	s_mov_b32 s35, -1
                                        ; implicit-def: $vgpr3
	s_branch .LBB23_248
.LBB23_244:
	s_mov_b32 s35, -1
                                        ; implicit-def: $vgpr3
.LBB23_245:
	s_delay_alu instid0(SALU_CYCLE_1)
	s_and_not1_b32 vcc_lo, exec_lo, s35
	s_cbranch_vccnz .LBB23_247
; %bb.246:
	s_wait_loadcnt 0x0
	global_load_b32 v3, v[10:11], off
	s_wait_loadcnt 0x0
	v_cvt_i32_f32_e32 v3, v3
.LBB23_247:
	s_mov_b32 s35, 0
.LBB23_248:
	s_delay_alu instid0(SALU_CYCLE_1)
	s_and_not1_b32 vcc_lo, exec_lo, s35
	s_cbranch_vccnz .LBB23_250
; %bb.249:
	s_wait_loadcnt 0x0
	global_load_u16 v3, v[10:11], off
	s_wait_loadcnt 0x0
	v_cvt_f32_f16_e32 v3, v3
	s_delay_alu instid0(VALU_DEP_1)
	v_cvt_i32_f32_e32 v3, v3
.LBB23_250:
	s_mov_b32 s35, 0
.LBB23_251:
	s_delay_alu instid0(SALU_CYCLE_1)
	s_and_not1_b32 vcc_lo, exec_lo, s35
	s_cbranch_vccnz .LBB23_271
; %bb.252:
	s_cmp_lt_i32 s0, 2
	s_cbranch_scc1 .LBB23_256
; %bb.253:
	s_cmp_lt_i32 s0, 3
	s_cbranch_scc1 .LBB23_257
; %bb.254:
	s_cmp_gt_i32 s0, 3
	s_cbranch_scc0 .LBB23_258
; %bb.255:
	s_wait_loadcnt 0x0
	global_load_b32 v3, v[10:11], off
	s_mov_b32 s35, 0
	s_branch .LBB23_259
.LBB23_256:
	s_mov_b32 s35, -1
                                        ; implicit-def: $vgpr3
	s_branch .LBB23_265
.LBB23_257:
	s_mov_b32 s35, -1
                                        ; implicit-def: $vgpr3
	s_branch .LBB23_262
.LBB23_258:
	s_mov_b32 s35, -1
                                        ; implicit-def: $vgpr3
.LBB23_259:
	s_delay_alu instid0(SALU_CYCLE_1)
	s_and_not1_b32 vcc_lo, exec_lo, s35
	s_cbranch_vccnz .LBB23_261
; %bb.260:
	s_wait_loadcnt 0x0
	global_load_b32 v3, v[10:11], off
.LBB23_261:
	s_mov_b32 s35, 0
.LBB23_262:
	s_delay_alu instid0(SALU_CYCLE_1)
	s_and_not1_b32 vcc_lo, exec_lo, s35
	s_cbranch_vccnz .LBB23_264
; %bb.263:
	s_wait_loadcnt 0x0
	global_load_i16 v3, v[10:11], off
.LBB23_264:
	s_mov_b32 s35, 0
.LBB23_265:
	s_delay_alu instid0(SALU_CYCLE_1)
	s_and_not1_b32 vcc_lo, exec_lo, s35
	s_cbranch_vccnz .LBB23_271
; %bb.266:
	s_cmp_gt_i32 s0, 0
	s_mov_b32 s0, 0
	s_cbranch_scc0 .LBB23_268
; %bb.267:
	s_wait_loadcnt 0x0
	global_load_i8 v3, v[10:11], off
	s_branch .LBB23_269
.LBB23_268:
	s_mov_b32 s0, -1
                                        ; implicit-def: $vgpr3
.LBB23_269:
	s_delay_alu instid0(SALU_CYCLE_1)
	s_and_not1_b32 vcc_lo, exec_lo, s0
	s_cbranch_vccnz .LBB23_271
; %bb.270:
	s_wait_loadcnt 0x0
	global_load_u8 v3, v[10:11], off
.LBB23_271:
	s_branch .LBB23_32
.LBB23_272:
	s_mov_b32 s0, 0
	s_mov_b32 s35, 0
	;; [unrolled: 1-line block ×9, first 2 shown]
	s_branch .LBB23_649
.LBB23_273:
	s_mov_b32 s82, -1
.LBB23_274:
	s_mov_b32 s50, 0
                                        ; implicit-def: $vgpr8
.LBB23_275:
	s_and_b32 vcc_lo, exec_lo, s51
	s_cbranch_vccz .LBB23_279
; %bb.276:
	s_cmp_eq_u32 s35, 44
	s_cbranch_scc0 .LBB23_278
; %bb.277:
	global_load_u8 v5, v[10:11], off
	s_mov_b32 s82, 0
	s_mov_b32 s50, -1
	s_wait_loadcnt 0x0
	v_lshlrev_b32_e32 v7, 23, v5
	v_cmp_ne_u32_e32 vcc_lo, 0, v5
	s_delay_alu instid0(VALU_DEP_2) | instskip(NEXT) | instid1(VALU_DEP_1)
	v_cvt_i32_f32_e32 v7, v7
	v_cndmask_b32_e32 v8, 0, v7, vcc_lo
	s_branch .LBB23_279
.LBB23_278:
	s_mov_b32 s82, -1
                                        ; implicit-def: $vgpr8
.LBB23_279:
	s_mov_b32 s51, 0
.LBB23_280:
	s_delay_alu instid0(SALU_CYCLE_1)
	s_and_b32 vcc_lo, exec_lo, s51
	s_cbranch_vccz .LBB23_284
; %bb.281:
	s_cmp_eq_u32 s35, 29
	s_cbranch_scc0 .LBB23_283
; %bb.282:
	global_load_b32 v8, v[10:11], off
	s_mov_b32 s50, -1
	s_mov_b32 s82, 0
	s_branch .LBB23_284
.LBB23_283:
	s_mov_b32 s82, -1
                                        ; implicit-def: $vgpr8
.LBB23_284:
	s_mov_b32 s51, 0
.LBB23_285:
	s_delay_alu instid0(SALU_CYCLE_1)
	s_and_b32 vcc_lo, exec_lo, s51
	s_cbranch_vccz .LBB23_301
; %bb.286:
	s_cmp_lt_i32 s35, 27
	s_cbranch_scc1 .LBB23_289
; %bb.287:
	s_cmp_gt_i32 s35, 27
	s_cbranch_scc0 .LBB23_290
; %bb.288:
	s_wait_loadcnt 0x0
	global_load_b32 v8, v[10:11], off
	s_mov_b32 s50, 0
	s_branch .LBB23_291
.LBB23_289:
	s_mov_b32 s50, -1
                                        ; implicit-def: $vgpr8
	s_branch .LBB23_294
.LBB23_290:
	s_mov_b32 s50, -1
                                        ; implicit-def: $vgpr8
.LBB23_291:
	s_delay_alu instid0(SALU_CYCLE_1)
	s_and_not1_b32 vcc_lo, exec_lo, s50
	s_cbranch_vccnz .LBB23_293
; %bb.292:
	s_wait_loadcnt 0x0
	global_load_u16 v8, v[10:11], off
.LBB23_293:
	s_mov_b32 s50, 0
.LBB23_294:
	s_delay_alu instid0(SALU_CYCLE_1)
	s_and_not1_b32 vcc_lo, exec_lo, s50
	s_cbranch_vccnz .LBB23_300
; %bb.295:
	global_load_u8 v5, v[10:11], off
	s_mov_b32 s51, 0
	s_mov_b32 s4, exec_lo
	s_wait_loadcnt 0x0
	v_cmpx_lt_i16_e32 0x7f, v5
	s_xor_b32 s50, exec_lo, s4
	s_cbranch_execz .LBB23_312
; %bb.296:
	v_cmp_ne_u16_e32 vcc_lo, 0x80, v5
	s_and_b32 s51, vcc_lo, exec_lo
	s_and_not1_saveexec_b32 s50, s50
	s_cbranch_execnz .LBB23_313
.LBB23_297:
	s_or_b32 exec_lo, exec_lo, s50
	v_mov_b32_e32 v8, 0
	s_and_saveexec_b32 s50, s51
	s_cbranch_execz .LBB23_299
.LBB23_298:
	v_and_b32_e32 v7, 0xffff, v5
	s_delay_alu instid0(VALU_DEP_1) | instskip(SKIP_1) | instid1(VALU_DEP_2)
	v_and_b32_e32 v8, 7, v7
	v_bfe_u32 v13, v7, 3, 4
	v_clz_i32_u32_e32 v9, v8
	s_delay_alu instid0(VALU_DEP_2) | instskip(NEXT) | instid1(VALU_DEP_2)
	v_cmp_eq_u32_e32 vcc_lo, 0, v13
	v_min_u32_e32 v9, 32, v9
	s_delay_alu instid0(VALU_DEP_1) | instskip(NEXT) | instid1(VALU_DEP_1)
	v_subrev_nc_u32_e32 v12, 28, v9
	v_dual_lshlrev_b32 v7, v12, v7 :: v_dual_sub_nc_u32 v9, 29, v9
	s_delay_alu instid0(VALU_DEP_1) | instskip(NEXT) | instid1(VALU_DEP_1)
	v_dual_lshlrev_b32 v5, 24, v5 :: v_dual_bitop2_b32 v7, 7, v7 bitop3:0x40
	v_dual_cndmask_b32 v7, v8, v7, vcc_lo :: v_dual_cndmask_b32 v9, v13, v9, vcc_lo
	s_delay_alu instid0(VALU_DEP_2) | instskip(NEXT) | instid1(VALU_DEP_2)
	v_and_b32_e32 v5, 0x80000000, v5
	v_lshlrev_b32_e32 v7, 20, v7
	s_delay_alu instid0(VALU_DEP_3) | instskip(NEXT) | instid1(VALU_DEP_1)
	v_lshl_add_u32 v8, v9, 23, 0x3b800000
	v_or3_b32 v5, v5, v8, v7
	s_delay_alu instid0(VALU_DEP_1)
	v_cvt_i32_f32_e32 v8, v5
.LBB23_299:
	s_or_b32 exec_lo, exec_lo, s50
.LBB23_300:
	s_mov_b32 s50, -1
.LBB23_301:
	s_mov_b32 s51, 0
.LBB23_302:
	s_delay_alu instid0(SALU_CYCLE_1)
	s_and_b32 vcc_lo, exec_lo, s51
	s_cbranch_vccz .LBB23_335
; %bb.303:
	s_cmp_gt_i32 s35, 22
	s_cbranch_scc0 .LBB23_311
; %bb.304:
	s_cmp_lt_i32 s35, 24
	s_cbranch_scc1 .LBB23_314
; %bb.305:
	s_cmp_gt_i32 s35, 24
	s_cbranch_scc0 .LBB23_315
; %bb.306:
	global_load_u8 v5, v[10:11], off
	s_mov_b32 s51, 0
	s_mov_b32 s4, exec_lo
	s_wait_loadcnt 0x0
	v_cmpx_lt_i16_e32 0x7f, v5
	s_xor_b32 s50, exec_lo, s4
	s_cbranch_execz .LBB23_327
; %bb.307:
	v_cmp_ne_u16_e32 vcc_lo, 0x80, v5
	s_and_b32 s51, vcc_lo, exec_lo
	s_and_not1_saveexec_b32 s50, s50
	s_cbranch_execnz .LBB23_328
.LBB23_308:
	s_or_b32 exec_lo, exec_lo, s50
	v_mov_b32_e32 v8, 0
	s_and_saveexec_b32 s50, s51
	s_cbranch_execz .LBB23_310
.LBB23_309:
	v_and_b32_e32 v7, 0xffff, v5
	s_delay_alu instid0(VALU_DEP_1) | instskip(SKIP_1) | instid1(VALU_DEP_2)
	v_and_b32_e32 v8, 3, v7
	v_bfe_u32 v13, v7, 2, 5
	v_clz_i32_u32_e32 v9, v8
	s_delay_alu instid0(VALU_DEP_2) | instskip(NEXT) | instid1(VALU_DEP_2)
	v_cmp_eq_u32_e32 vcc_lo, 0, v13
	v_min_u32_e32 v9, 32, v9
	s_delay_alu instid0(VALU_DEP_1) | instskip(NEXT) | instid1(VALU_DEP_1)
	v_subrev_nc_u32_e32 v12, 29, v9
	v_dual_lshlrev_b32 v7, v12, v7 :: v_dual_sub_nc_u32 v9, 30, v9
	s_delay_alu instid0(VALU_DEP_1) | instskip(NEXT) | instid1(VALU_DEP_1)
	v_dual_lshlrev_b32 v5, 24, v5 :: v_dual_bitop2_b32 v7, 3, v7 bitop3:0x40
	v_dual_cndmask_b32 v7, v8, v7, vcc_lo :: v_dual_cndmask_b32 v9, v13, v9, vcc_lo
	s_delay_alu instid0(VALU_DEP_2) | instskip(NEXT) | instid1(VALU_DEP_2)
	v_and_b32_e32 v5, 0x80000000, v5
	v_lshlrev_b32_e32 v7, 21, v7
	s_delay_alu instid0(VALU_DEP_3) | instskip(NEXT) | instid1(VALU_DEP_1)
	v_lshl_add_u32 v8, v9, 23, 0x37800000
	v_or3_b32 v5, v5, v8, v7
	s_delay_alu instid0(VALU_DEP_1)
	v_cvt_i32_f32_e32 v8, v5
.LBB23_310:
	s_or_b32 exec_lo, exec_lo, s50
	s_mov_b32 s50, 0
	s_branch .LBB23_316
.LBB23_311:
	s_mov_b32 s51, -1
                                        ; implicit-def: $vgpr8
	s_branch .LBB23_322
.LBB23_312:
	s_and_not1_saveexec_b32 s50, s50
	s_cbranch_execz .LBB23_297
.LBB23_313:
	v_cmp_ne_u16_e32 vcc_lo, 0, v5
	s_and_not1_b32 s4, s51, exec_lo
	s_and_b32 s5, vcc_lo, exec_lo
	s_delay_alu instid0(SALU_CYCLE_1)
	s_or_b32 s51, s4, s5
	s_or_b32 exec_lo, exec_lo, s50
	v_mov_b32_e32 v8, 0
	s_and_saveexec_b32 s50, s51
	s_cbranch_execnz .LBB23_298
	s_branch .LBB23_299
.LBB23_314:
	s_mov_b32 s50, -1
                                        ; implicit-def: $vgpr8
	s_branch .LBB23_319
.LBB23_315:
	s_mov_b32 s50, -1
                                        ; implicit-def: $vgpr8
.LBB23_316:
	s_delay_alu instid0(SALU_CYCLE_1)
	s_and_b32 vcc_lo, exec_lo, s50
	s_cbranch_vccz .LBB23_318
; %bb.317:
	global_load_u8 v5, v[10:11], off
	s_wait_loadcnt 0x0
	v_lshlrev_b32_e32 v5, 24, v5
	s_delay_alu instid0(VALU_DEP_1) | instskip(NEXT) | instid1(VALU_DEP_1)
	v_and_b32_e32 v7, 0x7f000000, v5
	v_clz_i32_u32_e32 v8, v7
	v_cmp_ne_u32_e32 vcc_lo, 0, v7
	v_add_nc_u32_e32 v12, 0x1000000, v7
	s_delay_alu instid0(VALU_DEP_3) | instskip(NEXT) | instid1(VALU_DEP_1)
	v_min_u32_e32 v8, 32, v8
	v_sub_nc_u32_e64 v8, v8, 4 clamp
	s_delay_alu instid0(VALU_DEP_1) | instskip(NEXT) | instid1(VALU_DEP_1)
	v_dual_lshlrev_b32 v9, v8, v7 :: v_dual_lshlrev_b32 v8, 23, v8
	v_lshrrev_b32_e32 v9, 4, v9
	s_delay_alu instid0(VALU_DEP_1) | instskip(SKIP_1) | instid1(VALU_DEP_2)
	v_sub_nc_u32_e32 v8, v9, v8
	v_ashrrev_i32_e32 v9, 8, v12
	v_add_nc_u32_e32 v8, 0x3c000000, v8
	s_delay_alu instid0(VALU_DEP_1) | instskip(NEXT) | instid1(VALU_DEP_1)
	v_and_or_b32 v8, 0x7f800000, v9, v8
	v_cndmask_b32_e32 v7, 0, v8, vcc_lo
	s_delay_alu instid0(VALU_DEP_1) | instskip(NEXT) | instid1(VALU_DEP_1)
	v_and_or_b32 v5, 0x80000000, v5, v7
	v_cvt_i32_f32_e32 v8, v5
.LBB23_318:
	s_mov_b32 s50, 0
.LBB23_319:
	s_delay_alu instid0(SALU_CYCLE_1)
	s_and_not1_b32 vcc_lo, exec_lo, s50
	s_cbranch_vccnz .LBB23_321
; %bb.320:
	global_load_u8 v5, v[10:11], off
	s_wait_loadcnt 0x0
	v_lshlrev_b32_e32 v7, 25, v5
	v_lshlrev_b16 v5, 8, v5
	s_delay_alu instid0(VALU_DEP_1) | instskip(NEXT) | instid1(VALU_DEP_3)
	v_and_or_b32 v9, 0x7f00, v5, 0.5
	v_lshrrev_b32_e32 v8, 4, v7
	v_bfe_i32 v5, v5, 0, 16
	s_delay_alu instid0(VALU_DEP_3) | instskip(NEXT) | instid1(VALU_DEP_3)
	v_add_f32_e32 v9, -0.5, v9
	v_or_b32_e32 v8, 0x70000000, v8
	s_delay_alu instid0(VALU_DEP_1) | instskip(SKIP_1) | instid1(VALU_DEP_2)
	v_mul_f32_e32 v8, 0x7800000, v8
	v_cmp_gt_u32_e32 vcc_lo, 0x8000000, v7
	v_cndmask_b32_e32 v7, v8, v9, vcc_lo
	s_delay_alu instid0(VALU_DEP_1) | instskip(NEXT) | instid1(VALU_DEP_1)
	v_and_or_b32 v5, 0x80000000, v5, v7
	v_cvt_i32_f32_e32 v8, v5
.LBB23_321:
	s_mov_b32 s51, 0
	s_mov_b32 s50, -1
.LBB23_322:
	s_and_not1_b32 vcc_lo, exec_lo, s51
	s_cbranch_vccnz .LBB23_335
; %bb.323:
	s_cmp_gt_i32 s35, 14
	s_cbranch_scc0 .LBB23_326
; %bb.324:
	s_cmp_eq_u32 s35, 15
	s_cbranch_scc0 .LBB23_329
; %bb.325:
	global_load_u16 v5, v[10:11], off
	s_mov_b32 s50, -1
	s_mov_b32 s82, 0
	s_wait_loadcnt 0x0
	v_lshlrev_b32_e32 v5, 16, v5
	s_delay_alu instid0(VALU_DEP_1)
	v_cvt_i32_f32_e32 v8, v5
	s_branch .LBB23_330
.LBB23_326:
	s_mov_b32 s51, -1
                                        ; implicit-def: $vgpr8
	s_branch .LBB23_331
.LBB23_327:
	s_and_not1_saveexec_b32 s50, s50
	s_cbranch_execz .LBB23_308
.LBB23_328:
	v_cmp_ne_u16_e32 vcc_lo, 0, v5
	s_and_not1_b32 s4, s51, exec_lo
	s_and_b32 s5, vcc_lo, exec_lo
	s_delay_alu instid0(SALU_CYCLE_1)
	s_or_b32 s51, s4, s5
	s_or_b32 exec_lo, exec_lo, s50
	v_mov_b32_e32 v8, 0
	s_and_saveexec_b32 s50, s51
	s_cbranch_execnz .LBB23_309
	s_branch .LBB23_310
.LBB23_329:
	s_mov_b32 s82, -1
                                        ; implicit-def: $vgpr8
.LBB23_330:
	s_mov_b32 s51, 0
.LBB23_331:
	s_delay_alu instid0(SALU_CYCLE_1)
	s_and_b32 vcc_lo, exec_lo, s51
	s_cbranch_vccz .LBB23_335
; %bb.332:
	s_cmp_eq_u32 s35, 11
	s_cbranch_scc0 .LBB23_334
; %bb.333:
	global_load_u8 v5, v[10:11], off
	s_mov_b32 s82, 0
	s_mov_b32 s50, -1
	s_wait_loadcnt 0x0
	v_cmp_ne_u16_e32 vcc_lo, 0, v5
	v_cndmask_b32_e64 v8, 0, 1, vcc_lo
	s_branch .LBB23_335
.LBB23_334:
	s_mov_b32 s82, -1
                                        ; implicit-def: $vgpr8
.LBB23_335:
	s_mov_b32 s35, 0
.LBB23_336:
	s_delay_alu instid0(SALU_CYCLE_1)
	s_and_b32 vcc_lo, exec_lo, s35
	s_cbranch_vccz .LBB23_385
; %bb.337:
	s_and_b32 s0, 0xffff, s0
	s_delay_alu instid0(SALU_CYCLE_1)
	s_cmp_lt_i32 s0, 5
	s_cbranch_scc1 .LBB23_342
; %bb.338:
	s_cmp_lt_i32 s0, 8
	s_cbranch_scc1 .LBB23_343
; %bb.339:
	;; [unrolled: 3-line block ×3, first 2 shown]
	s_cmp_gt_i32 s0, 9
	s_cbranch_scc0 .LBB23_345
; %bb.341:
	s_wait_loadcnt 0x0
	global_load_b64 v[8:9], v[10:11], off
	s_mov_b32 s35, 0
	s_wait_loadcnt 0x0
	v_cvt_i32_f64_e32 v8, v[8:9]
	s_branch .LBB23_346
.LBB23_342:
	s_mov_b32 s35, -1
                                        ; implicit-def: $vgpr8
	s_branch .LBB23_364
.LBB23_343:
	s_mov_b32 s35, -1
                                        ; implicit-def: $vgpr8
	s_branch .LBB23_352
.LBB23_344:
	s_mov_b32 s35, -1
                                        ; implicit-def: $vgpr8
	s_branch .LBB23_349
.LBB23_345:
	s_mov_b32 s35, -1
                                        ; implicit-def: $vgpr8
.LBB23_346:
	s_delay_alu instid0(SALU_CYCLE_1)
	s_and_not1_b32 vcc_lo, exec_lo, s35
	s_cbranch_vccnz .LBB23_348
; %bb.347:
	global_load_b32 v5, v[10:11], off
	s_wait_loadcnt 0x0
	v_cvt_i32_f32_e32 v8, v5
.LBB23_348:
	s_mov_b32 s35, 0
.LBB23_349:
	s_delay_alu instid0(SALU_CYCLE_1)
	s_and_not1_b32 vcc_lo, exec_lo, s35
	s_cbranch_vccnz .LBB23_351
; %bb.350:
	global_load_b32 v5, v[10:11], off
	s_wait_loadcnt 0x0
	v_cvt_f32_f16_e32 v5, v5
	s_delay_alu instid0(VALU_DEP_1)
	v_cvt_i32_f32_e32 v8, v5
.LBB23_351:
	s_mov_b32 s35, 0
.LBB23_352:
	s_delay_alu instid0(SALU_CYCLE_1)
	s_and_not1_b32 vcc_lo, exec_lo, s35
	s_cbranch_vccnz .LBB23_363
; %bb.353:
	s_cmp_lt_i32 s0, 6
	s_cbranch_scc1 .LBB23_356
; %bb.354:
	s_cmp_gt_i32 s0, 6
	s_cbranch_scc0 .LBB23_357
; %bb.355:
	s_wait_loadcnt 0x0
	global_load_b64 v[8:9], v[10:11], off
	s_mov_b32 s35, 0
	s_wait_loadcnt 0x0
	v_cvt_i32_f64_e32 v8, v[8:9]
	s_branch .LBB23_358
.LBB23_356:
	s_mov_b32 s35, -1
                                        ; implicit-def: $vgpr8
	s_branch .LBB23_361
.LBB23_357:
	s_mov_b32 s35, -1
                                        ; implicit-def: $vgpr8
.LBB23_358:
	s_delay_alu instid0(SALU_CYCLE_1)
	s_and_not1_b32 vcc_lo, exec_lo, s35
	s_cbranch_vccnz .LBB23_360
; %bb.359:
	global_load_b32 v5, v[10:11], off
	s_wait_loadcnt 0x0
	v_cvt_i32_f32_e32 v8, v5
.LBB23_360:
	s_mov_b32 s35, 0
.LBB23_361:
	s_delay_alu instid0(SALU_CYCLE_1)
	s_and_not1_b32 vcc_lo, exec_lo, s35
	s_cbranch_vccnz .LBB23_363
; %bb.362:
	global_load_u16 v5, v[10:11], off
	s_wait_loadcnt 0x0
	v_cvt_f32_f16_e32 v5, v5
	s_delay_alu instid0(VALU_DEP_1)
	v_cvt_i32_f32_e32 v8, v5
.LBB23_363:
	s_mov_b32 s35, 0
.LBB23_364:
	s_delay_alu instid0(SALU_CYCLE_1)
	s_and_not1_b32 vcc_lo, exec_lo, s35
	s_cbranch_vccnz .LBB23_384
; %bb.365:
	s_cmp_lt_i32 s0, 2
	s_cbranch_scc1 .LBB23_369
; %bb.366:
	s_cmp_lt_i32 s0, 3
	s_cbranch_scc1 .LBB23_370
; %bb.367:
	s_cmp_gt_i32 s0, 3
	s_cbranch_scc0 .LBB23_371
; %bb.368:
	s_wait_loadcnt 0x0
	global_load_b32 v8, v[10:11], off
	s_mov_b32 s35, 0
	s_branch .LBB23_372
.LBB23_369:
	s_mov_b32 s35, -1
                                        ; implicit-def: $vgpr8
	s_branch .LBB23_378
.LBB23_370:
	s_mov_b32 s35, -1
                                        ; implicit-def: $vgpr8
	s_branch .LBB23_375
.LBB23_371:
	s_mov_b32 s35, -1
                                        ; implicit-def: $vgpr8
.LBB23_372:
	s_delay_alu instid0(SALU_CYCLE_1)
	s_and_not1_b32 vcc_lo, exec_lo, s35
	s_cbranch_vccnz .LBB23_374
; %bb.373:
	s_wait_loadcnt 0x0
	global_load_b32 v8, v[10:11], off
.LBB23_374:
	s_mov_b32 s35, 0
.LBB23_375:
	s_delay_alu instid0(SALU_CYCLE_1)
	s_and_not1_b32 vcc_lo, exec_lo, s35
	s_cbranch_vccnz .LBB23_377
; %bb.376:
	s_wait_loadcnt 0x0
	global_load_i16 v8, v[10:11], off
.LBB23_377:
	s_mov_b32 s35, 0
.LBB23_378:
	s_delay_alu instid0(SALU_CYCLE_1)
	s_and_not1_b32 vcc_lo, exec_lo, s35
	s_cbranch_vccnz .LBB23_384
; %bb.379:
	s_cmp_gt_i32 s0, 0
	s_mov_b32 s0, 0
	s_cbranch_scc0 .LBB23_381
; %bb.380:
	s_wait_loadcnt 0x0
	global_load_i8 v8, v[10:11], off
	s_branch .LBB23_382
.LBB23_381:
	s_mov_b32 s0, -1
                                        ; implicit-def: $vgpr8
.LBB23_382:
	s_delay_alu instid0(SALU_CYCLE_1)
	s_and_not1_b32 vcc_lo, exec_lo, s0
	s_cbranch_vccnz .LBB23_384
; %bb.383:
	s_wait_loadcnt 0x0
	global_load_u8 v8, v[10:11], off
.LBB23_384:
	s_mov_b32 s50, -1
.LBB23_385:
	s_delay_alu instid0(SALU_CYCLE_1)
	s_and_not1_b32 vcc_lo, exec_lo, s50
	s_cbranch_vccnz .LBB23_393
; %bb.386:
	v_mov_b32_e32 v7, 0
	s_and_b32 s0, s23, 0xff
	s_delay_alu instid0(SALU_CYCLE_1) | instskip(SKIP_1) | instid1(VALU_DEP_1)
	s_cmp_lt_i32 s0, 11
	s_wait_xcnt 0x0
	v_add_nc_u64_e32 v[10:11], s[28:29], v[6:7]
	s_cbranch_scc1 .LBB23_394
; %bb.387:
	s_and_b32 s35, 0xffff, s0
	s_delay_alu instid0(SALU_CYCLE_1)
	s_cmp_gt_i32 s35, 25
	s_cbranch_scc0 .LBB23_395
; %bb.388:
	s_cmp_gt_i32 s35, 28
	s_cbranch_scc0 .LBB23_396
; %bb.389:
	;; [unrolled: 3-line block ×4, first 2 shown]
	s_cmp_eq_u32 s35, 46
	s_mov_b32 s51, 0
	s_cbranch_scc0 .LBB23_399
; %bb.392:
	global_load_b32 v5, v[10:11], off
	s_mov_b32 s50, -1
	s_mov_b32 s81, 0
	s_wait_loadcnt 0x0
	v_lshlrev_b32_e32 v5, 16, v5
	s_delay_alu instid0(VALU_DEP_1)
	v_cvt_i32_f32_e32 v6, v5
	s_branch .LBB23_401
.LBB23_393:
	s_mov_b32 s0, 0
	s_mov_b32 s35, 0
	;; [unrolled: 1-line block ×8, first 2 shown]
	s_branch .LBB23_649
.LBB23_394:
	s_mov_b32 s35, -1
	s_mov_b32 s81, 0
	s_mov_b32 s50, 0
                                        ; implicit-def: $vgpr6
	s_branch .LBB23_462
.LBB23_395:
	s_mov_b32 s51, -1
	s_mov_b32 s81, 0
	s_mov_b32 s50, 0
                                        ; implicit-def: $vgpr6
	s_branch .LBB23_428
.LBB23_396:
	s_mov_b32 s51, -1
	s_mov_b32 s81, 0
	s_mov_b32 s50, 0
                                        ; implicit-def: $vgpr6
	s_branch .LBB23_411
.LBB23_397:
	s_mov_b32 s51, -1
	s_mov_b32 s81, 0
	s_mov_b32 s50, 0
                                        ; implicit-def: $vgpr6
	s_branch .LBB23_406
.LBB23_398:
	s_mov_b32 s51, -1
	s_mov_b32 s81, 0
	s_branch .LBB23_400
.LBB23_399:
	s_mov_b32 s81, -1
.LBB23_400:
	s_mov_b32 s50, 0
                                        ; implicit-def: $vgpr6
.LBB23_401:
	s_and_b32 vcc_lo, exec_lo, s51
	s_cbranch_vccz .LBB23_405
; %bb.402:
	s_cmp_eq_u32 s35, 44
	s_cbranch_scc0 .LBB23_404
; %bb.403:
	global_load_u8 v5, v[10:11], off
	s_mov_b32 s81, 0
	s_mov_b32 s50, -1
	s_wait_loadcnt 0x0
	v_lshlrev_b32_e32 v6, 23, v5
	v_cmp_ne_u32_e32 vcc_lo, 0, v5
	s_delay_alu instid0(VALU_DEP_2) | instskip(NEXT) | instid1(VALU_DEP_1)
	v_cvt_i32_f32_e32 v6, v6
	v_cndmask_b32_e32 v6, 0, v6, vcc_lo
	s_branch .LBB23_405
.LBB23_404:
	s_mov_b32 s81, -1
                                        ; implicit-def: $vgpr6
.LBB23_405:
	s_mov_b32 s51, 0
.LBB23_406:
	s_delay_alu instid0(SALU_CYCLE_1)
	s_and_b32 vcc_lo, exec_lo, s51
	s_cbranch_vccz .LBB23_410
; %bb.407:
	s_cmp_eq_u32 s35, 29
	s_cbranch_scc0 .LBB23_409
; %bb.408:
	global_load_b32 v6, v[10:11], off
	s_mov_b32 s50, -1
	s_mov_b32 s81, 0
	s_branch .LBB23_410
.LBB23_409:
	s_mov_b32 s81, -1
                                        ; implicit-def: $vgpr6
.LBB23_410:
	s_mov_b32 s51, 0
.LBB23_411:
	s_delay_alu instid0(SALU_CYCLE_1)
	s_and_b32 vcc_lo, exec_lo, s51
	s_cbranch_vccz .LBB23_427
; %bb.412:
	s_cmp_lt_i32 s35, 27
	s_cbranch_scc1 .LBB23_415
; %bb.413:
	s_cmp_gt_i32 s35, 27
	s_cbranch_scc0 .LBB23_416
; %bb.414:
	s_wait_loadcnt 0x0
	global_load_b32 v6, v[10:11], off
	s_mov_b32 s50, 0
	s_branch .LBB23_417
.LBB23_415:
	s_mov_b32 s50, -1
                                        ; implicit-def: $vgpr6
	s_branch .LBB23_420
.LBB23_416:
	s_mov_b32 s50, -1
                                        ; implicit-def: $vgpr6
.LBB23_417:
	s_delay_alu instid0(SALU_CYCLE_1)
	s_and_not1_b32 vcc_lo, exec_lo, s50
	s_cbranch_vccnz .LBB23_419
; %bb.418:
	s_wait_loadcnt 0x0
	global_load_u16 v6, v[10:11], off
.LBB23_419:
	s_mov_b32 s50, 0
.LBB23_420:
	s_delay_alu instid0(SALU_CYCLE_1)
	s_and_not1_b32 vcc_lo, exec_lo, s50
	s_cbranch_vccnz .LBB23_426
; %bb.421:
	global_load_u8 v5, v[10:11], off
	s_mov_b32 s51, 0
	s_mov_b32 s4, exec_lo
	s_wait_loadcnt 0x0
	v_cmpx_lt_i16_e32 0x7f, v5
	s_xor_b32 s50, exec_lo, s4
	s_cbranch_execz .LBB23_438
; %bb.422:
	v_cmp_ne_u16_e32 vcc_lo, 0x80, v5
	s_and_b32 s51, vcc_lo, exec_lo
	s_and_not1_saveexec_b32 s50, s50
	s_cbranch_execnz .LBB23_439
.LBB23_423:
	s_or_b32 exec_lo, exec_lo, s50
	v_mov_b32_e32 v6, 0
	s_and_saveexec_b32 s50, s51
	s_cbranch_execz .LBB23_425
.LBB23_424:
	v_and_b32_e32 v6, 0xffff, v5
	s_delay_alu instid0(VALU_DEP_1) | instskip(SKIP_1) | instid1(VALU_DEP_2)
	v_and_b32_e32 v7, 7, v6
	v_bfe_u32 v13, v6, 3, 4
	v_clz_i32_u32_e32 v9, v7
	s_delay_alu instid0(VALU_DEP_2) | instskip(NEXT) | instid1(VALU_DEP_2)
	v_cmp_eq_u32_e32 vcc_lo, 0, v13
	v_min_u32_e32 v9, 32, v9
	s_delay_alu instid0(VALU_DEP_1) | instskip(NEXT) | instid1(VALU_DEP_1)
	v_subrev_nc_u32_e32 v12, 28, v9
	v_dual_lshlrev_b32 v6, v12, v6 :: v_dual_sub_nc_u32 v9, 29, v9
	s_delay_alu instid0(VALU_DEP_1) | instskip(NEXT) | instid1(VALU_DEP_1)
	v_dual_lshlrev_b32 v5, 24, v5 :: v_dual_bitop2_b32 v6, 7, v6 bitop3:0x40
	v_dual_cndmask_b32 v6, v7, v6 :: v_dual_cndmask_b32 v9, v13, v9
	s_delay_alu instid0(VALU_DEP_2) | instskip(NEXT) | instid1(VALU_DEP_2)
	v_and_b32_e32 v5, 0x80000000, v5
	v_lshlrev_b32_e32 v6, 20, v6
	s_delay_alu instid0(VALU_DEP_3) | instskip(NEXT) | instid1(VALU_DEP_1)
	v_lshl_add_u32 v7, v9, 23, 0x3b800000
	v_or3_b32 v5, v5, v7, v6
	s_delay_alu instid0(VALU_DEP_1)
	v_cvt_i32_f32_e32 v6, v5
.LBB23_425:
	s_or_b32 exec_lo, exec_lo, s50
.LBB23_426:
	s_mov_b32 s50, -1
.LBB23_427:
	s_mov_b32 s51, 0
.LBB23_428:
	s_delay_alu instid0(SALU_CYCLE_1)
	s_and_b32 vcc_lo, exec_lo, s51
	s_cbranch_vccz .LBB23_461
; %bb.429:
	s_cmp_gt_i32 s35, 22
	s_cbranch_scc0 .LBB23_437
; %bb.430:
	s_cmp_lt_i32 s35, 24
	s_cbranch_scc1 .LBB23_440
; %bb.431:
	s_cmp_gt_i32 s35, 24
	s_cbranch_scc0 .LBB23_441
; %bb.432:
	global_load_u8 v5, v[10:11], off
	s_mov_b32 s51, 0
	s_mov_b32 s4, exec_lo
	s_wait_loadcnt 0x0
	v_cmpx_lt_i16_e32 0x7f, v5
	s_xor_b32 s50, exec_lo, s4
	s_cbranch_execz .LBB23_453
; %bb.433:
	v_cmp_ne_u16_e32 vcc_lo, 0x80, v5
	s_and_b32 s51, vcc_lo, exec_lo
	s_and_not1_saveexec_b32 s50, s50
	s_cbranch_execnz .LBB23_454
.LBB23_434:
	s_or_b32 exec_lo, exec_lo, s50
	v_mov_b32_e32 v6, 0
	s_and_saveexec_b32 s50, s51
	s_cbranch_execz .LBB23_436
.LBB23_435:
	v_and_b32_e32 v6, 0xffff, v5
	s_delay_alu instid0(VALU_DEP_1) | instskip(SKIP_1) | instid1(VALU_DEP_2)
	v_and_b32_e32 v7, 3, v6
	v_bfe_u32 v13, v6, 2, 5
	v_clz_i32_u32_e32 v9, v7
	s_delay_alu instid0(VALU_DEP_2) | instskip(NEXT) | instid1(VALU_DEP_2)
	v_cmp_eq_u32_e32 vcc_lo, 0, v13
	v_min_u32_e32 v9, 32, v9
	s_delay_alu instid0(VALU_DEP_1) | instskip(NEXT) | instid1(VALU_DEP_1)
	v_subrev_nc_u32_e32 v12, 29, v9
	v_dual_lshlrev_b32 v6, v12, v6 :: v_dual_sub_nc_u32 v9, 30, v9
	s_delay_alu instid0(VALU_DEP_1) | instskip(NEXT) | instid1(VALU_DEP_1)
	v_dual_lshlrev_b32 v5, 24, v5 :: v_dual_bitop2_b32 v6, 3, v6 bitop3:0x40
	v_dual_cndmask_b32 v6, v7, v6 :: v_dual_cndmask_b32 v9, v13, v9
	s_delay_alu instid0(VALU_DEP_2) | instskip(NEXT) | instid1(VALU_DEP_2)
	v_and_b32_e32 v5, 0x80000000, v5
	v_lshlrev_b32_e32 v6, 21, v6
	s_delay_alu instid0(VALU_DEP_3) | instskip(NEXT) | instid1(VALU_DEP_1)
	v_lshl_add_u32 v7, v9, 23, 0x37800000
	v_or3_b32 v5, v5, v7, v6
	s_delay_alu instid0(VALU_DEP_1)
	v_cvt_i32_f32_e32 v6, v5
.LBB23_436:
	s_or_b32 exec_lo, exec_lo, s50
	s_mov_b32 s50, 0
	s_branch .LBB23_442
.LBB23_437:
	s_mov_b32 s51, -1
                                        ; implicit-def: $vgpr6
	s_branch .LBB23_448
.LBB23_438:
	s_and_not1_saveexec_b32 s50, s50
	s_cbranch_execz .LBB23_423
.LBB23_439:
	v_cmp_ne_u16_e32 vcc_lo, 0, v5
	s_and_not1_b32 s4, s51, exec_lo
	s_and_b32 s5, vcc_lo, exec_lo
	s_delay_alu instid0(SALU_CYCLE_1)
	s_or_b32 s51, s4, s5
	s_or_b32 exec_lo, exec_lo, s50
	v_mov_b32_e32 v6, 0
	s_and_saveexec_b32 s50, s51
	s_cbranch_execnz .LBB23_424
	s_branch .LBB23_425
.LBB23_440:
	s_mov_b32 s50, -1
                                        ; implicit-def: $vgpr6
	s_branch .LBB23_445
.LBB23_441:
	s_mov_b32 s50, -1
                                        ; implicit-def: $vgpr6
.LBB23_442:
	s_delay_alu instid0(SALU_CYCLE_1)
	s_and_b32 vcc_lo, exec_lo, s50
	s_cbranch_vccz .LBB23_444
; %bb.443:
	global_load_u8 v5, v[10:11], off
	s_wait_loadcnt 0x0
	v_lshlrev_b32_e32 v5, 24, v5
	s_delay_alu instid0(VALU_DEP_1) | instskip(NEXT) | instid1(VALU_DEP_1)
	v_and_b32_e32 v6, 0x7f000000, v5
	v_clz_i32_u32_e32 v7, v6
	v_add_nc_u32_e32 v12, 0x1000000, v6
	v_cmp_ne_u32_e32 vcc_lo, 0, v6
	s_delay_alu instid0(VALU_DEP_3) | instskip(NEXT) | instid1(VALU_DEP_1)
	v_min_u32_e32 v7, 32, v7
	v_sub_nc_u32_e64 v7, v7, 4 clamp
	s_delay_alu instid0(VALU_DEP_1) | instskip(NEXT) | instid1(VALU_DEP_1)
	v_dual_lshlrev_b32 v9, v7, v6 :: v_dual_lshlrev_b32 v7, 23, v7
	v_lshrrev_b32_e32 v9, 4, v9
	s_delay_alu instid0(VALU_DEP_1) | instskip(NEXT) | instid1(VALU_DEP_1)
	v_dual_sub_nc_u32 v7, v9, v7 :: v_dual_ashrrev_i32 v9, 8, v12
	v_add_nc_u32_e32 v7, 0x3c000000, v7
	s_delay_alu instid0(VALU_DEP_1) | instskip(NEXT) | instid1(VALU_DEP_1)
	v_and_or_b32 v7, 0x7f800000, v9, v7
	v_cndmask_b32_e32 v6, 0, v7, vcc_lo
	s_delay_alu instid0(VALU_DEP_1) | instskip(NEXT) | instid1(VALU_DEP_1)
	v_and_or_b32 v5, 0x80000000, v5, v6
	v_cvt_i32_f32_e32 v6, v5
.LBB23_444:
	s_mov_b32 s50, 0
.LBB23_445:
	s_delay_alu instid0(SALU_CYCLE_1)
	s_and_not1_b32 vcc_lo, exec_lo, s50
	s_cbranch_vccnz .LBB23_447
; %bb.446:
	global_load_u8 v5, v[10:11], off
	s_wait_loadcnt 0x0
	v_lshlrev_b32_e32 v6, 25, v5
	v_lshlrev_b16 v5, 8, v5
	s_delay_alu instid0(VALU_DEP_1) | instskip(NEXT) | instid1(VALU_DEP_3)
	v_and_or_b32 v9, 0x7f00, v5, 0.5
	v_lshrrev_b32_e32 v7, 4, v6
	v_bfe_i32 v5, v5, 0, 16
	s_delay_alu instid0(VALU_DEP_3) | instskip(NEXT) | instid1(VALU_DEP_3)
	v_add_f32_e32 v9, -0.5, v9
	v_or_b32_e32 v7, 0x70000000, v7
	s_delay_alu instid0(VALU_DEP_1) | instskip(SKIP_1) | instid1(VALU_DEP_2)
	v_mul_f32_e32 v7, 0x7800000, v7
	v_cmp_gt_u32_e32 vcc_lo, 0x8000000, v6
	v_cndmask_b32_e32 v6, v7, v9, vcc_lo
	s_delay_alu instid0(VALU_DEP_1) | instskip(NEXT) | instid1(VALU_DEP_1)
	v_and_or_b32 v5, 0x80000000, v5, v6
	v_cvt_i32_f32_e32 v6, v5
.LBB23_447:
	s_mov_b32 s51, 0
	s_mov_b32 s50, -1
.LBB23_448:
	s_and_not1_b32 vcc_lo, exec_lo, s51
	s_cbranch_vccnz .LBB23_461
; %bb.449:
	s_cmp_gt_i32 s35, 14
	s_cbranch_scc0 .LBB23_452
; %bb.450:
	s_cmp_eq_u32 s35, 15
	s_cbranch_scc0 .LBB23_455
; %bb.451:
	global_load_u16 v5, v[10:11], off
	s_mov_b32 s50, -1
	s_mov_b32 s81, 0
	s_wait_loadcnt 0x0
	v_lshlrev_b32_e32 v5, 16, v5
	s_delay_alu instid0(VALU_DEP_1)
	v_cvt_i32_f32_e32 v6, v5
	s_branch .LBB23_456
.LBB23_452:
	s_mov_b32 s51, -1
                                        ; implicit-def: $vgpr6
	s_branch .LBB23_457
.LBB23_453:
	s_and_not1_saveexec_b32 s50, s50
	s_cbranch_execz .LBB23_434
.LBB23_454:
	v_cmp_ne_u16_e32 vcc_lo, 0, v5
	s_and_not1_b32 s4, s51, exec_lo
	s_and_b32 s5, vcc_lo, exec_lo
	s_delay_alu instid0(SALU_CYCLE_1)
	s_or_b32 s51, s4, s5
	s_or_b32 exec_lo, exec_lo, s50
	v_mov_b32_e32 v6, 0
	s_and_saveexec_b32 s50, s51
	s_cbranch_execnz .LBB23_435
	s_branch .LBB23_436
.LBB23_455:
	s_mov_b32 s81, -1
                                        ; implicit-def: $vgpr6
.LBB23_456:
	s_mov_b32 s51, 0
.LBB23_457:
	s_delay_alu instid0(SALU_CYCLE_1)
	s_and_b32 vcc_lo, exec_lo, s51
	s_cbranch_vccz .LBB23_461
; %bb.458:
	s_cmp_eq_u32 s35, 11
	s_cbranch_scc0 .LBB23_460
; %bb.459:
	global_load_u8 v5, v[10:11], off
	s_mov_b32 s81, 0
	s_mov_b32 s50, -1
	s_wait_loadcnt 0x0
	v_cmp_ne_u16_e32 vcc_lo, 0, v5
	v_cndmask_b32_e64 v6, 0, 1, vcc_lo
	s_branch .LBB23_461
.LBB23_460:
	s_mov_b32 s81, -1
                                        ; implicit-def: $vgpr6
.LBB23_461:
	s_mov_b32 s35, 0
.LBB23_462:
	s_delay_alu instid0(SALU_CYCLE_1)
	s_and_b32 vcc_lo, exec_lo, s35
	s_cbranch_vccz .LBB23_511
; %bb.463:
	s_and_b32 s0, 0xffff, s0
	s_delay_alu instid0(SALU_CYCLE_1)
	s_cmp_lt_i32 s0, 5
	s_cbranch_scc1 .LBB23_468
; %bb.464:
	s_cmp_lt_i32 s0, 8
	s_cbranch_scc1 .LBB23_469
; %bb.465:
	s_cmp_lt_i32 s0, 9
	s_cbranch_scc1 .LBB23_470
; %bb.466:
	s_cmp_gt_i32 s0, 9
	s_cbranch_scc0 .LBB23_471
; %bb.467:
	s_wait_loadcnt 0x0
	global_load_b64 v[6:7], v[10:11], off
	s_mov_b32 s35, 0
	s_wait_loadcnt 0x0
	v_cvt_i32_f64_e32 v6, v[6:7]
	s_branch .LBB23_472
.LBB23_468:
	s_mov_b32 s35, -1
                                        ; implicit-def: $vgpr6
	s_branch .LBB23_490
.LBB23_469:
	s_mov_b32 s35, -1
                                        ; implicit-def: $vgpr6
	s_branch .LBB23_478
.LBB23_470:
	s_mov_b32 s35, -1
                                        ; implicit-def: $vgpr6
	s_branch .LBB23_475
.LBB23_471:
	s_mov_b32 s35, -1
                                        ; implicit-def: $vgpr6
.LBB23_472:
	s_delay_alu instid0(SALU_CYCLE_1)
	s_and_not1_b32 vcc_lo, exec_lo, s35
	s_cbranch_vccnz .LBB23_474
; %bb.473:
	global_load_b32 v5, v[10:11], off
	s_wait_loadcnt 0x0
	v_cvt_i32_f32_e32 v6, v5
.LBB23_474:
	s_mov_b32 s35, 0
.LBB23_475:
	s_delay_alu instid0(SALU_CYCLE_1)
	s_and_not1_b32 vcc_lo, exec_lo, s35
	s_cbranch_vccnz .LBB23_477
; %bb.476:
	global_load_b32 v5, v[10:11], off
	s_wait_loadcnt 0x0
	v_cvt_f32_f16_e32 v5, v5
	s_delay_alu instid0(VALU_DEP_1)
	v_cvt_i32_f32_e32 v6, v5
.LBB23_477:
	s_mov_b32 s35, 0
.LBB23_478:
	s_delay_alu instid0(SALU_CYCLE_1)
	s_and_not1_b32 vcc_lo, exec_lo, s35
	s_cbranch_vccnz .LBB23_489
; %bb.479:
	s_cmp_lt_i32 s0, 6
	s_cbranch_scc1 .LBB23_482
; %bb.480:
	s_cmp_gt_i32 s0, 6
	s_cbranch_scc0 .LBB23_483
; %bb.481:
	s_wait_loadcnt 0x0
	global_load_b64 v[6:7], v[10:11], off
	s_mov_b32 s35, 0
	s_wait_loadcnt 0x0
	v_cvt_i32_f64_e32 v6, v[6:7]
	s_branch .LBB23_484
.LBB23_482:
	s_mov_b32 s35, -1
                                        ; implicit-def: $vgpr6
	s_branch .LBB23_487
.LBB23_483:
	s_mov_b32 s35, -1
                                        ; implicit-def: $vgpr6
.LBB23_484:
	s_delay_alu instid0(SALU_CYCLE_1)
	s_and_not1_b32 vcc_lo, exec_lo, s35
	s_cbranch_vccnz .LBB23_486
; %bb.485:
	global_load_b32 v5, v[10:11], off
	s_wait_loadcnt 0x0
	v_cvt_i32_f32_e32 v6, v5
.LBB23_486:
	s_mov_b32 s35, 0
.LBB23_487:
	s_delay_alu instid0(SALU_CYCLE_1)
	s_and_not1_b32 vcc_lo, exec_lo, s35
	s_cbranch_vccnz .LBB23_489
; %bb.488:
	global_load_u16 v5, v[10:11], off
	s_wait_loadcnt 0x0
	v_cvt_f32_f16_e32 v5, v5
	s_delay_alu instid0(VALU_DEP_1)
	v_cvt_i32_f32_e32 v6, v5
.LBB23_489:
	s_mov_b32 s35, 0
.LBB23_490:
	s_delay_alu instid0(SALU_CYCLE_1)
	s_and_not1_b32 vcc_lo, exec_lo, s35
	s_cbranch_vccnz .LBB23_510
; %bb.491:
	s_cmp_lt_i32 s0, 2
	s_cbranch_scc1 .LBB23_495
; %bb.492:
	s_cmp_lt_i32 s0, 3
	s_cbranch_scc1 .LBB23_496
; %bb.493:
	s_cmp_gt_i32 s0, 3
	s_cbranch_scc0 .LBB23_497
; %bb.494:
	s_wait_loadcnt 0x0
	global_load_b32 v6, v[10:11], off
	s_mov_b32 s35, 0
	s_branch .LBB23_498
.LBB23_495:
	s_mov_b32 s35, -1
                                        ; implicit-def: $vgpr6
	s_branch .LBB23_504
.LBB23_496:
	s_mov_b32 s35, -1
                                        ; implicit-def: $vgpr6
	s_branch .LBB23_501
.LBB23_497:
	s_mov_b32 s35, -1
                                        ; implicit-def: $vgpr6
.LBB23_498:
	s_delay_alu instid0(SALU_CYCLE_1)
	s_and_not1_b32 vcc_lo, exec_lo, s35
	s_cbranch_vccnz .LBB23_500
; %bb.499:
	s_wait_loadcnt 0x0
	global_load_b32 v6, v[10:11], off
.LBB23_500:
	s_mov_b32 s35, 0
.LBB23_501:
	s_delay_alu instid0(SALU_CYCLE_1)
	s_and_not1_b32 vcc_lo, exec_lo, s35
	s_cbranch_vccnz .LBB23_503
; %bb.502:
	s_wait_loadcnt 0x0
	global_load_i16 v6, v[10:11], off
.LBB23_503:
	s_mov_b32 s35, 0
.LBB23_504:
	s_delay_alu instid0(SALU_CYCLE_1)
	s_and_not1_b32 vcc_lo, exec_lo, s35
	s_cbranch_vccnz .LBB23_510
; %bb.505:
	s_cmp_gt_i32 s0, 0
	s_mov_b32 s0, 0
	s_cbranch_scc0 .LBB23_507
; %bb.506:
	s_wait_loadcnt 0x0
	global_load_i8 v6, v[10:11], off
	s_branch .LBB23_508
.LBB23_507:
	s_mov_b32 s0, -1
                                        ; implicit-def: $vgpr6
.LBB23_508:
	s_delay_alu instid0(SALU_CYCLE_1)
	s_and_not1_b32 vcc_lo, exec_lo, s0
	s_cbranch_vccnz .LBB23_510
; %bb.509:
	s_wait_loadcnt 0x0
	global_load_u8 v6, v[10:11], off
.LBB23_510:
	s_mov_b32 s50, -1
.LBB23_511:
	s_delay_alu instid0(SALU_CYCLE_1)
	s_and_not1_b32 vcc_lo, exec_lo, s50
	s_cbranch_vccnz .LBB23_519
; %bb.512:
	v_mov_b32_e32 v5, 0
	s_and_b32 s0, s18, 0xff
	s_delay_alu instid0(SALU_CYCLE_1) | instskip(NEXT) | instid1(VALU_DEP_1)
	s_cmp_lt_i32 s0, 11
	v_add_nc_u64_e32 v[4:5], s[30:31], v[4:5]
	s_cbranch_scc1 .LBB23_520
; %bb.513:
	s_and_b32 s35, 0xffff, s0
	s_delay_alu instid0(SALU_CYCLE_1)
	s_cmp_gt_i32 s35, 25
	s_cbranch_scc0 .LBB23_521
; %bb.514:
	s_cmp_gt_i32 s35, 28
	s_cbranch_scc0 .LBB23_522
; %bb.515:
	s_cmp_gt_i32 s35, 43
	s_cbranch_scc0 .LBB23_523
; %bb.516:
	s_cmp_gt_i32 s35, 45
	s_cbranch_scc0 .LBB23_524
; %bb.517:
	s_cmp_eq_u32 s35, 46
	s_mov_b32 s51, 0
	s_cbranch_scc0 .LBB23_525
; %bb.518:
	global_load_b32 v7, v[4:5], off
	s_mov_b32 s50, -1
	s_mov_b32 s80, 0
	s_wait_loadcnt 0x0
	v_lshlrev_b32_e32 v7, 16, v7
	s_delay_alu instid0(VALU_DEP_1)
	v_cvt_i32_f32_e32 v10, v7
	s_branch .LBB23_527
.LBB23_519:
	s_mov_b32 s0, 0
	s_mov_b32 s35, 0
	;; [unrolled: 1-line block ×7, first 2 shown]
	s_branch .LBB23_649
.LBB23_520:
	s_mov_b32 s35, -1
	s_mov_b32 s80, 0
	s_mov_b32 s50, 0
                                        ; implicit-def: $vgpr10
	s_branch .LBB23_588
.LBB23_521:
	s_mov_b32 s51, -1
	s_mov_b32 s80, 0
	s_mov_b32 s50, 0
                                        ; implicit-def: $vgpr10
	s_branch .LBB23_554
.LBB23_522:
	s_mov_b32 s51, -1
	s_mov_b32 s80, 0
	s_mov_b32 s50, 0
                                        ; implicit-def: $vgpr10
	s_branch .LBB23_537
.LBB23_523:
	s_mov_b32 s51, -1
	s_mov_b32 s80, 0
	s_mov_b32 s50, 0
                                        ; implicit-def: $vgpr10
	s_branch .LBB23_532
.LBB23_524:
	s_mov_b32 s51, -1
	s_mov_b32 s80, 0
	s_branch .LBB23_526
.LBB23_525:
	s_mov_b32 s80, -1
.LBB23_526:
	s_mov_b32 s50, 0
                                        ; implicit-def: $vgpr10
.LBB23_527:
	s_and_b32 vcc_lo, exec_lo, s51
	s_cbranch_vccz .LBB23_531
; %bb.528:
	s_cmp_eq_u32 s35, 44
	s_cbranch_scc0 .LBB23_530
; %bb.529:
	global_load_u8 v7, v[4:5], off
	s_mov_b32 s80, 0
	s_mov_b32 s50, -1
	s_wait_loadcnt 0x0
	v_lshlrev_b32_e32 v9, 23, v7
	v_cmp_ne_u32_e32 vcc_lo, 0, v7
	s_delay_alu instid0(VALU_DEP_2) | instskip(NEXT) | instid1(VALU_DEP_1)
	v_cvt_i32_f32_e32 v9, v9
	v_cndmask_b32_e32 v10, 0, v9, vcc_lo
	s_branch .LBB23_531
.LBB23_530:
	s_mov_b32 s80, -1
                                        ; implicit-def: $vgpr10
.LBB23_531:
	s_mov_b32 s51, 0
.LBB23_532:
	s_delay_alu instid0(SALU_CYCLE_1)
	s_and_b32 vcc_lo, exec_lo, s51
	s_cbranch_vccz .LBB23_536
; %bb.533:
	s_cmp_eq_u32 s35, 29
	s_cbranch_scc0 .LBB23_535
; %bb.534:
	global_load_b32 v10, v[4:5], off
	s_mov_b32 s50, -1
	s_mov_b32 s80, 0
	s_branch .LBB23_536
.LBB23_535:
	s_mov_b32 s80, -1
                                        ; implicit-def: $vgpr10
.LBB23_536:
	s_mov_b32 s51, 0
.LBB23_537:
	s_delay_alu instid0(SALU_CYCLE_1)
	s_and_b32 vcc_lo, exec_lo, s51
	s_cbranch_vccz .LBB23_553
; %bb.538:
	s_cmp_lt_i32 s35, 27
	s_cbranch_scc1 .LBB23_541
; %bb.539:
	s_cmp_gt_i32 s35, 27
	s_cbranch_scc0 .LBB23_542
; %bb.540:
	s_wait_loadcnt 0x0
	global_load_b32 v10, v[4:5], off
	s_mov_b32 s50, 0
	s_branch .LBB23_543
.LBB23_541:
	s_mov_b32 s50, -1
                                        ; implicit-def: $vgpr10
	s_branch .LBB23_546
.LBB23_542:
	s_mov_b32 s50, -1
                                        ; implicit-def: $vgpr10
.LBB23_543:
	s_delay_alu instid0(SALU_CYCLE_1)
	s_and_not1_b32 vcc_lo, exec_lo, s50
	s_cbranch_vccnz .LBB23_545
; %bb.544:
	s_wait_loadcnt 0x0
	global_load_u16 v10, v[4:5], off
.LBB23_545:
	s_mov_b32 s50, 0
.LBB23_546:
	s_delay_alu instid0(SALU_CYCLE_1)
	s_and_not1_b32 vcc_lo, exec_lo, s50
	s_cbranch_vccnz .LBB23_552
; %bb.547:
	global_load_u8 v7, v[4:5], off
	s_mov_b32 s51, 0
	s_mov_b32 s4, exec_lo
	s_wait_loadcnt 0x0
	v_cmpx_lt_i16_e32 0x7f, v7
	s_xor_b32 s50, exec_lo, s4
	s_cbranch_execz .LBB23_564
; %bb.548:
	v_cmp_ne_u16_e32 vcc_lo, 0x80, v7
	s_and_b32 s51, vcc_lo, exec_lo
	s_and_not1_saveexec_b32 s50, s50
	s_cbranch_execnz .LBB23_565
.LBB23_549:
	s_or_b32 exec_lo, exec_lo, s50
	v_mov_b32_e32 v10, 0
	s_and_saveexec_b32 s50, s51
	s_cbranch_execz .LBB23_551
.LBB23_550:
	v_and_b32_e32 v9, 0xffff, v7
	s_delay_alu instid0(VALU_DEP_1) | instskip(SKIP_1) | instid1(VALU_DEP_2)
	v_and_b32_e32 v10, 7, v9
	v_bfe_u32 v13, v9, 3, 4
	v_clz_i32_u32_e32 v11, v10
	s_delay_alu instid0(VALU_DEP_2) | instskip(NEXT) | instid1(VALU_DEP_2)
	v_cmp_eq_u32_e32 vcc_lo, 0, v13
	v_min_u32_e32 v11, 32, v11
	s_delay_alu instid0(VALU_DEP_1) | instskip(NEXT) | instid1(VALU_DEP_1)
	v_subrev_nc_u32_e32 v12, 28, v11
	v_dual_lshlrev_b32 v9, v12, v9 :: v_dual_sub_nc_u32 v11, 29, v11
	s_delay_alu instid0(VALU_DEP_1) | instskip(NEXT) | instid1(VALU_DEP_1)
	v_dual_lshlrev_b32 v7, 24, v7 :: v_dual_bitop2_b32 v9, 7, v9 bitop3:0x40
	v_dual_cndmask_b32 v9, v10, v9, vcc_lo :: v_dual_cndmask_b32 v11, v13, v11, vcc_lo
	s_delay_alu instid0(VALU_DEP_2) | instskip(NEXT) | instid1(VALU_DEP_2)
	v_and_b32_e32 v7, 0x80000000, v7
	v_lshlrev_b32_e32 v9, 20, v9
	s_delay_alu instid0(VALU_DEP_3) | instskip(NEXT) | instid1(VALU_DEP_1)
	v_lshl_add_u32 v10, v11, 23, 0x3b800000
	v_or3_b32 v7, v7, v10, v9
	s_delay_alu instid0(VALU_DEP_1)
	v_cvt_i32_f32_e32 v10, v7
.LBB23_551:
	s_or_b32 exec_lo, exec_lo, s50
.LBB23_552:
	s_mov_b32 s50, -1
.LBB23_553:
	s_mov_b32 s51, 0
.LBB23_554:
	s_delay_alu instid0(SALU_CYCLE_1)
	s_and_b32 vcc_lo, exec_lo, s51
	s_cbranch_vccz .LBB23_587
; %bb.555:
	s_cmp_gt_i32 s35, 22
	s_cbranch_scc0 .LBB23_563
; %bb.556:
	s_cmp_lt_i32 s35, 24
	s_cbranch_scc1 .LBB23_566
; %bb.557:
	s_cmp_gt_i32 s35, 24
	s_cbranch_scc0 .LBB23_567
; %bb.558:
	global_load_u8 v7, v[4:5], off
	s_mov_b32 s51, 0
	s_mov_b32 s4, exec_lo
	s_wait_loadcnt 0x0
	v_cmpx_lt_i16_e32 0x7f, v7
	s_xor_b32 s50, exec_lo, s4
	s_cbranch_execz .LBB23_579
; %bb.559:
	v_cmp_ne_u16_e32 vcc_lo, 0x80, v7
	s_and_b32 s51, vcc_lo, exec_lo
	s_and_not1_saveexec_b32 s50, s50
	s_cbranch_execnz .LBB23_580
.LBB23_560:
	s_or_b32 exec_lo, exec_lo, s50
	v_mov_b32_e32 v10, 0
	s_and_saveexec_b32 s50, s51
	s_cbranch_execz .LBB23_562
.LBB23_561:
	v_and_b32_e32 v9, 0xffff, v7
	s_delay_alu instid0(VALU_DEP_1) | instskip(SKIP_1) | instid1(VALU_DEP_2)
	v_and_b32_e32 v10, 3, v9
	v_bfe_u32 v13, v9, 2, 5
	v_clz_i32_u32_e32 v11, v10
	s_delay_alu instid0(VALU_DEP_2) | instskip(NEXT) | instid1(VALU_DEP_2)
	v_cmp_eq_u32_e32 vcc_lo, 0, v13
	v_min_u32_e32 v11, 32, v11
	s_delay_alu instid0(VALU_DEP_1) | instskip(NEXT) | instid1(VALU_DEP_1)
	v_subrev_nc_u32_e32 v12, 29, v11
	v_dual_lshlrev_b32 v9, v12, v9 :: v_dual_sub_nc_u32 v11, 30, v11
	s_delay_alu instid0(VALU_DEP_1) | instskip(NEXT) | instid1(VALU_DEP_1)
	v_dual_lshlrev_b32 v7, 24, v7 :: v_dual_bitop2_b32 v9, 3, v9 bitop3:0x40
	v_dual_cndmask_b32 v9, v10, v9, vcc_lo :: v_dual_cndmask_b32 v11, v13, v11, vcc_lo
	s_delay_alu instid0(VALU_DEP_2) | instskip(NEXT) | instid1(VALU_DEP_2)
	v_and_b32_e32 v7, 0x80000000, v7
	v_lshlrev_b32_e32 v9, 21, v9
	s_delay_alu instid0(VALU_DEP_3) | instskip(NEXT) | instid1(VALU_DEP_1)
	v_lshl_add_u32 v10, v11, 23, 0x37800000
	v_or3_b32 v7, v7, v10, v9
	s_delay_alu instid0(VALU_DEP_1)
	v_cvt_i32_f32_e32 v10, v7
.LBB23_562:
	s_or_b32 exec_lo, exec_lo, s50
	s_mov_b32 s50, 0
	s_branch .LBB23_568
.LBB23_563:
	s_mov_b32 s51, -1
                                        ; implicit-def: $vgpr10
	s_branch .LBB23_574
.LBB23_564:
	s_and_not1_saveexec_b32 s50, s50
	s_cbranch_execz .LBB23_549
.LBB23_565:
	v_cmp_ne_u16_e32 vcc_lo, 0, v7
	s_and_not1_b32 s4, s51, exec_lo
	s_and_b32 s5, vcc_lo, exec_lo
	s_delay_alu instid0(SALU_CYCLE_1)
	s_or_b32 s51, s4, s5
	s_or_b32 exec_lo, exec_lo, s50
	v_mov_b32_e32 v10, 0
	s_and_saveexec_b32 s50, s51
	s_cbranch_execnz .LBB23_550
	s_branch .LBB23_551
.LBB23_566:
	s_mov_b32 s50, -1
                                        ; implicit-def: $vgpr10
	s_branch .LBB23_571
.LBB23_567:
	s_mov_b32 s50, -1
                                        ; implicit-def: $vgpr10
.LBB23_568:
	s_delay_alu instid0(SALU_CYCLE_1)
	s_and_b32 vcc_lo, exec_lo, s50
	s_cbranch_vccz .LBB23_570
; %bb.569:
	global_load_u8 v7, v[4:5], off
	s_wait_loadcnt 0x0
	v_lshlrev_b32_e32 v7, 24, v7
	s_delay_alu instid0(VALU_DEP_1) | instskip(NEXT) | instid1(VALU_DEP_1)
	v_and_b32_e32 v9, 0x7f000000, v7
	v_clz_i32_u32_e32 v10, v9
	v_cmp_ne_u32_e32 vcc_lo, 0, v9
	v_add_nc_u32_e32 v12, 0x1000000, v9
	s_delay_alu instid0(VALU_DEP_3) | instskip(NEXT) | instid1(VALU_DEP_1)
	v_min_u32_e32 v10, 32, v10
	v_sub_nc_u32_e64 v10, v10, 4 clamp
	s_delay_alu instid0(VALU_DEP_1) | instskip(NEXT) | instid1(VALU_DEP_1)
	v_dual_lshlrev_b32 v11, v10, v9 :: v_dual_lshlrev_b32 v10, 23, v10
	v_lshrrev_b32_e32 v11, 4, v11
	s_delay_alu instid0(VALU_DEP_1) | instskip(NEXT) | instid1(VALU_DEP_1)
	v_dual_sub_nc_u32 v10, v11, v10 :: v_dual_ashrrev_i32 v11, 8, v12
	v_add_nc_u32_e32 v10, 0x3c000000, v10
	s_delay_alu instid0(VALU_DEP_1) | instskip(NEXT) | instid1(VALU_DEP_1)
	v_and_or_b32 v10, 0x7f800000, v11, v10
	v_cndmask_b32_e32 v9, 0, v10, vcc_lo
	s_delay_alu instid0(VALU_DEP_1) | instskip(NEXT) | instid1(VALU_DEP_1)
	v_and_or_b32 v7, 0x80000000, v7, v9
	v_cvt_i32_f32_e32 v10, v7
.LBB23_570:
	s_mov_b32 s50, 0
.LBB23_571:
	s_delay_alu instid0(SALU_CYCLE_1)
	s_and_not1_b32 vcc_lo, exec_lo, s50
	s_cbranch_vccnz .LBB23_573
; %bb.572:
	global_load_u8 v7, v[4:5], off
	s_wait_loadcnt 0x0
	v_lshlrev_b32_e32 v9, 25, v7
	v_lshlrev_b16 v7, 8, v7
	s_delay_alu instid0(VALU_DEP_1) | instskip(NEXT) | instid1(VALU_DEP_3)
	v_and_or_b32 v11, 0x7f00, v7, 0.5
	v_lshrrev_b32_e32 v10, 4, v9
	v_bfe_i32 v7, v7, 0, 16
	s_delay_alu instid0(VALU_DEP_3) | instskip(NEXT) | instid1(VALU_DEP_3)
	v_add_f32_e32 v11, -0.5, v11
	v_or_b32_e32 v10, 0x70000000, v10
	s_delay_alu instid0(VALU_DEP_1) | instskip(SKIP_1) | instid1(VALU_DEP_2)
	v_mul_f32_e32 v10, 0x7800000, v10
	v_cmp_gt_u32_e32 vcc_lo, 0x8000000, v9
	v_cndmask_b32_e32 v9, v10, v11, vcc_lo
	s_delay_alu instid0(VALU_DEP_1) | instskip(NEXT) | instid1(VALU_DEP_1)
	v_and_or_b32 v7, 0x80000000, v7, v9
	v_cvt_i32_f32_e32 v10, v7
.LBB23_573:
	s_mov_b32 s51, 0
	s_mov_b32 s50, -1
.LBB23_574:
	s_and_not1_b32 vcc_lo, exec_lo, s51
	s_cbranch_vccnz .LBB23_587
; %bb.575:
	s_cmp_gt_i32 s35, 14
	s_cbranch_scc0 .LBB23_578
; %bb.576:
	s_cmp_eq_u32 s35, 15
	s_cbranch_scc0 .LBB23_581
; %bb.577:
	global_load_u16 v7, v[4:5], off
	s_mov_b32 s50, -1
	s_mov_b32 s80, 0
	s_wait_loadcnt 0x0
	v_lshlrev_b32_e32 v7, 16, v7
	s_delay_alu instid0(VALU_DEP_1)
	v_cvt_i32_f32_e32 v10, v7
	s_branch .LBB23_582
.LBB23_578:
	s_mov_b32 s51, -1
                                        ; implicit-def: $vgpr10
	s_branch .LBB23_583
.LBB23_579:
	s_and_not1_saveexec_b32 s50, s50
	s_cbranch_execz .LBB23_560
.LBB23_580:
	v_cmp_ne_u16_e32 vcc_lo, 0, v7
	s_and_not1_b32 s4, s51, exec_lo
	s_and_b32 s5, vcc_lo, exec_lo
	s_delay_alu instid0(SALU_CYCLE_1)
	s_or_b32 s51, s4, s5
	s_or_b32 exec_lo, exec_lo, s50
	v_mov_b32_e32 v10, 0
	s_and_saveexec_b32 s50, s51
	s_cbranch_execnz .LBB23_561
	s_branch .LBB23_562
.LBB23_581:
	s_mov_b32 s80, -1
                                        ; implicit-def: $vgpr10
.LBB23_582:
	s_mov_b32 s51, 0
.LBB23_583:
	s_delay_alu instid0(SALU_CYCLE_1)
	s_and_b32 vcc_lo, exec_lo, s51
	s_cbranch_vccz .LBB23_587
; %bb.584:
	s_cmp_eq_u32 s35, 11
	s_cbranch_scc0 .LBB23_586
; %bb.585:
	global_load_u8 v7, v[4:5], off
	s_mov_b32 s80, 0
	s_mov_b32 s50, -1
	s_wait_loadcnt 0x0
	v_cmp_ne_u16_e32 vcc_lo, 0, v7
	v_cndmask_b32_e64 v10, 0, 1, vcc_lo
	s_branch .LBB23_587
.LBB23_586:
	s_mov_b32 s80, -1
                                        ; implicit-def: $vgpr10
.LBB23_587:
	s_mov_b32 s35, 0
.LBB23_588:
	s_delay_alu instid0(SALU_CYCLE_1)
	s_and_b32 vcc_lo, exec_lo, s35
	s_cbranch_vccz .LBB23_637
; %bb.589:
	s_and_b32 s0, 0xffff, s0
	s_delay_alu instid0(SALU_CYCLE_1)
	s_cmp_lt_i32 s0, 5
	s_cbranch_scc1 .LBB23_594
; %bb.590:
	s_cmp_lt_i32 s0, 8
	s_cbranch_scc1 .LBB23_595
; %bb.591:
	s_cmp_lt_i32 s0, 9
	s_cbranch_scc1 .LBB23_596
; %bb.592:
	s_cmp_gt_i32 s0, 9
	s_cbranch_scc0 .LBB23_597
; %bb.593:
	s_wait_loadcnt 0x0
	global_load_b64 v[10:11], v[4:5], off
	s_mov_b32 s35, 0
	s_wait_loadcnt 0x0
	v_cvt_i32_f64_e32 v10, v[10:11]
	s_branch .LBB23_598
.LBB23_594:
	s_mov_b32 s35, -1
                                        ; implicit-def: $vgpr10
	s_branch .LBB23_616
.LBB23_595:
	s_mov_b32 s35, -1
                                        ; implicit-def: $vgpr10
	s_branch .LBB23_604
.LBB23_596:
	s_mov_b32 s35, -1
                                        ; implicit-def: $vgpr10
	s_branch .LBB23_601
.LBB23_597:
	s_mov_b32 s35, -1
                                        ; implicit-def: $vgpr10
.LBB23_598:
	s_delay_alu instid0(SALU_CYCLE_1)
	s_and_not1_b32 vcc_lo, exec_lo, s35
	s_cbranch_vccnz .LBB23_600
; %bb.599:
	global_load_b32 v7, v[4:5], off
	s_wait_loadcnt 0x0
	v_cvt_i32_f32_e32 v10, v7
.LBB23_600:
	s_mov_b32 s35, 0
.LBB23_601:
	s_delay_alu instid0(SALU_CYCLE_1)
	s_and_not1_b32 vcc_lo, exec_lo, s35
	s_cbranch_vccnz .LBB23_603
; %bb.602:
	global_load_b32 v7, v[4:5], off
	s_wait_loadcnt 0x0
	v_cvt_f32_f16_e32 v7, v7
	s_delay_alu instid0(VALU_DEP_1)
	v_cvt_i32_f32_e32 v10, v7
.LBB23_603:
	s_mov_b32 s35, 0
.LBB23_604:
	s_delay_alu instid0(SALU_CYCLE_1)
	s_and_not1_b32 vcc_lo, exec_lo, s35
	s_cbranch_vccnz .LBB23_615
; %bb.605:
	s_cmp_lt_i32 s0, 6
	s_cbranch_scc1 .LBB23_608
; %bb.606:
	s_cmp_gt_i32 s0, 6
	s_cbranch_scc0 .LBB23_609
; %bb.607:
	s_wait_loadcnt 0x0
	global_load_b64 v[10:11], v[4:5], off
	s_mov_b32 s35, 0
	s_wait_loadcnt 0x0
	v_cvt_i32_f64_e32 v10, v[10:11]
	s_branch .LBB23_610
.LBB23_608:
	s_mov_b32 s35, -1
                                        ; implicit-def: $vgpr10
	s_branch .LBB23_613
.LBB23_609:
	s_mov_b32 s35, -1
                                        ; implicit-def: $vgpr10
.LBB23_610:
	s_delay_alu instid0(SALU_CYCLE_1)
	s_and_not1_b32 vcc_lo, exec_lo, s35
	s_cbranch_vccnz .LBB23_612
; %bb.611:
	global_load_b32 v7, v[4:5], off
	s_wait_loadcnt 0x0
	v_cvt_i32_f32_e32 v10, v7
.LBB23_612:
	s_mov_b32 s35, 0
.LBB23_613:
	s_delay_alu instid0(SALU_CYCLE_1)
	s_and_not1_b32 vcc_lo, exec_lo, s35
	s_cbranch_vccnz .LBB23_615
; %bb.614:
	global_load_u16 v7, v[4:5], off
	s_wait_loadcnt 0x0
	v_cvt_f32_f16_e32 v7, v7
	s_delay_alu instid0(VALU_DEP_1)
	v_cvt_i32_f32_e32 v10, v7
.LBB23_615:
	s_mov_b32 s35, 0
.LBB23_616:
	s_delay_alu instid0(SALU_CYCLE_1)
	s_and_not1_b32 vcc_lo, exec_lo, s35
	s_cbranch_vccnz .LBB23_636
; %bb.617:
	s_cmp_lt_i32 s0, 2
	s_cbranch_scc1 .LBB23_621
; %bb.618:
	s_cmp_lt_i32 s0, 3
	s_cbranch_scc1 .LBB23_622
; %bb.619:
	s_cmp_gt_i32 s0, 3
	s_cbranch_scc0 .LBB23_623
; %bb.620:
	s_wait_loadcnt 0x0
	global_load_b32 v10, v[4:5], off
	s_mov_b32 s35, 0
	s_branch .LBB23_624
.LBB23_621:
	s_mov_b32 s35, -1
                                        ; implicit-def: $vgpr10
	s_branch .LBB23_630
.LBB23_622:
	s_mov_b32 s35, -1
                                        ; implicit-def: $vgpr10
	s_branch .LBB23_627
.LBB23_623:
	s_mov_b32 s35, -1
                                        ; implicit-def: $vgpr10
.LBB23_624:
	s_delay_alu instid0(SALU_CYCLE_1)
	s_and_not1_b32 vcc_lo, exec_lo, s35
	s_cbranch_vccnz .LBB23_626
; %bb.625:
	s_wait_loadcnt 0x0
	global_load_b32 v10, v[4:5], off
.LBB23_626:
	s_mov_b32 s35, 0
.LBB23_627:
	s_delay_alu instid0(SALU_CYCLE_1)
	s_and_not1_b32 vcc_lo, exec_lo, s35
	s_cbranch_vccnz .LBB23_629
; %bb.628:
	s_wait_loadcnt 0x0
	global_load_i16 v10, v[4:5], off
.LBB23_629:
	s_mov_b32 s35, 0
.LBB23_630:
	s_delay_alu instid0(SALU_CYCLE_1)
	s_and_not1_b32 vcc_lo, exec_lo, s35
	s_cbranch_vccnz .LBB23_636
; %bb.631:
	s_cmp_gt_i32 s0, 0
	s_mov_b32 s0, 0
	s_cbranch_scc0 .LBB23_633
; %bb.632:
	s_wait_loadcnt 0x0
	global_load_i8 v10, v[4:5], off
	s_branch .LBB23_634
.LBB23_633:
	s_mov_b32 s0, -1
                                        ; implicit-def: $vgpr10
.LBB23_634:
	s_delay_alu instid0(SALU_CYCLE_1)
	s_and_not1_b32 vcc_lo, exec_lo, s0
	s_cbranch_vccnz .LBB23_636
; %bb.635:
	s_wait_loadcnt 0x0
	global_load_u8 v10, v[4:5], off
.LBB23_636:
	s_mov_b32 s50, -1
.LBB23_637:
	s_delay_alu instid0(SALU_CYCLE_1)
	s_and_not1_b32 vcc_lo, exec_lo, s50
	s_cbranch_vccnz .LBB23_648
; %bb.638:
	s_wait_loadcnt 0x0
	v_cmp_eq_u32_e32 vcc_lo, s38, v1
	s_mov_b32 s35, -1
	s_mov_b32 s0, 0
	s_mov_b32 s50, 0
	;; [unrolled: 1-line block ×3, first 2 shown]
	s_and_b32 s4, s66, vcc_lo
	s_mov_b32 s52, 0
	s_mov_b32 s53, 0
	s_and_saveexec_b32 s77, s4
	s_cbranch_execz .LBB23_4034
; %bb.639:
	v_cmp_eq_u32_e32 vcc_lo, s70, v3
	s_and_b32 s4, s45, vcc_lo
	s_delay_alu instid0(SALU_CYCLE_1)
	s_and_saveexec_b32 s78, s4
	s_cbranch_execz .LBB23_1959
; %bb.640:
	v_sub_nc_u32_e32 v1, v6, v8
	s_delay_alu instid0(VALU_DEP_1) | instskip(SKIP_4) | instid1(SALU_CYCLE_1)
	v_cmp_le_i32_e32 vcc_lo, s38, v1
	v_cmp_ge_i32_e64 s0, s68, v1
	s_and_b32 s4, vcc_lo, s0
	s_mov_b32 s0, 0
	s_and_b32 s4, s16, s4
	s_and_saveexec_b32 s79, s4
	s_cbranch_execz .LBB23_1958
; %bb.641:
	v_mov_b64_e32 v[4:5], 0
	s_and_not1_b32 vcc_lo, exec_lo, s17
	s_cbranch_vccnz .LBB23_689
; %bb.642:
	v_ashrrev_i32_e32 v11, 31, v10
	s_mov_b32 s35, s51
	v_mov_b64_e32 v[4:5], 0
	s_lshl_b64 s[4:5], s[34:35], 3
	s_mov_b64 s[52:53], 0xffffffff
	v_mul_u64_e32 v[12:13], s[70:71], v[10:11]
	v_mov_b32_e32 v10, 0
	s_add_nc_u64 s[4:5], s[2:3], s[4:5]
	s_mov_b32 s35, s25
	s_add_nc_u64 s[54:55], s[4:5], 0x298
	s_branch .LBB23_644
.LBB23_643:                             ;   in Loop: Header=BB23_644 Depth=1
	s_or_b32 exec_lo, exec_lo, s0
	s_delay_alu instid0(VALU_DEP_1)
	v_mul_u64_e32 v[16:17], s[56:57], v[14:15]
	s_load_b64 s[4:5], s[54:55], 0x40
	s_add_co_i32 s35, s35, -1
	s_wait_xcnt 0x0
	s_add_nc_u64 s[54:55], s[54:55], -8
	s_cmp_eq_u32 s35, 0
	s_delay_alu instid0(VALU_DEP_1) | instskip(SKIP_1) | instid1(VALU_DEP_1)
	v_sub_nc_u64_e32 v[12:13], v[12:13], v[16:17]
	s_wait_kmcnt 0x0
	v_mad_nc_u64_u32 v[4:5], v12, s4, v[4:5]
	s_delay_alu instid0(VALU_DEP_1) | instskip(NEXT) | instid1(VALU_DEP_1)
	v_mad_u32 v1, v13, s4, v5
	v_mad_u32 v5, v12, s5, v1
	v_mov_b64_e32 v[12:13], v[14:15]
	s_cbranch_scc1 .LBB23_689
.LBB23_644:                             ; =>This Inner Loop Header: Depth=1
	s_load_b64 s[56:57], s[54:55], 0x0
                                        ; implicit-def: $vgpr14_vgpr15
	s_mov_b32 s0, exec_lo
	s_wait_kmcnt 0x0
	s_delay_alu instid0(VALU_DEP_1) | instskip(NEXT) | instid1(VALU_DEP_1)
	v_or_b32_e32 v11, s57, v13
	v_cmpx_ne_u64_e32 0, v[10:11]
	s_xor_b32 s67, exec_lo, s0
	s_cbranch_execz .LBB23_646
; %bb.645:                              ;   in Loop: Header=BB23_644 Depth=1
	s_ashr_i32 s58, s57, 31
	s_mov_b64 s[14:15], s[70:71]
	s_mov_b32 s59, s58
	s_mov_b32 s12, s68
	s_add_nc_u64 s[4:5], s[56:57], s[58:59]
	s_mov_b64 s[70:71], s[42:43]
	s_xor_b64 s[60:61], s[4:5], s[58:59]
	s_mov_b32 s68, s40
	s_cvt_f32_u32 s0, s60
	s_cvt_f32_u32 s4, s61
	s_sub_nc_u64 s[6:7], 0, s[60:61]
	s_mov_b64 s[42:43], s[30:31]
	s_mov_b64 s[40:41], s[28:29]
	s_fmamk_f32 s0, s4, 0x4f800000, s0
	v_dual_mov_b32 v19, v10 :: v_dual_ashrrev_i32 v14, 31, v13
	v_mov_b32_e32 v27, v10
	s_delay_alu instid0(SALU_CYCLE_1) | instskip(NEXT) | instid1(VALU_DEP_2)
	v_s_rcp_f32 s0, s0
	v_mov_b32_e32 v15, v14
	s_delay_alu instid0(VALU_DEP_1) | instskip(NEXT) | instid1(TRANS32_DEP_1)
	v_add_nc_u64_e32 v[16:17], v[12:13], v[14:15]
	s_mul_f32 s0, s0, 0x5f7ffffc
	v_mov_b32_e32 v23, v10
	s_delay_alu instid0(SALU_CYCLE_2) | instskip(NEXT) | instid1(VALU_DEP_2)
	s_mul_f32 s4, s0, 0x2f800000
	v_xor_b32_e32 v18, v16, v14
	s_delay_alu instid0(VALU_DEP_3) | instskip(NEXT) | instid1(SALU_CYCLE_1)
	v_xor_b32_e32 v22, v17, v14
	s_trunc_f32 s4, s4
	s_delay_alu instid0(SALU_CYCLE_3) | instskip(SKIP_1) | instid1(SALU_CYCLE_2)
	s_fmamk_f32 s0, s4, 0xcf800000, s0
	s_cvt_u32_f32 s5, s4
	s_cvt_u32_f32 s4, s0
	s_delay_alu instid0(SALU_CYCLE_3) | instskip(NEXT) | instid1(SALU_CYCLE_1)
	s_mul_u64 s[8:9], s[6:7], s[4:5]
	s_mul_hi_u32 s11, s4, s9
	s_mul_i32 s10, s4, s9
	s_mul_hi_u32 s50, s4, s8
	s_mul_i32 s28, s5, s8
	s_add_nc_u64 s[10:11], s[50:51], s[10:11]
	s_mul_hi_u32 s0, s5, s8
	s_mul_hi_u32 s29, s5, s9
	s_mul_i32 s8, s5, s9
	s_add_co_u32 s9, s10, s28
	s_add_co_ci_u32 s50, s11, s0
	s_add_co_ci_u32 s9, s29, 0
	s_mov_b64 s[28:29], s[40:41]
	s_add_nc_u64 s[8:9], s[50:51], s[8:9]
	s_mov_b64 s[30:31], s[42:43]
	s_add_co_u32 s4, s4, s8
	s_cselect_b32 s0, -1, 0
	s_mov_b64 s[42:43], s[70:71]
	s_cmp_lg_u32 s0, 0
	s_mov_b32 s40, s68
	s_add_co_ci_u32 s5, s5, s9
	s_mov_b64 s[70:71], s[14:15]
	s_mul_u64 s[6:7], s[6:7], s[4:5]
	s_mov_b32 s68, s12
	s_mul_hi_u32 s9, s4, s7
	s_mul_i32 s8, s4, s7
	s_mul_hi_u32 s50, s4, s6
	s_mul_i32 s10, s5, s6
	s_add_nc_u64 s[8:9], s[50:51], s[8:9]
	s_mul_hi_u32 s0, s5, s6
	s_mul_hi_u32 s11, s5, s7
	s_mul_i32 s6, s5, s7
	s_add_co_u32 s7, s8, s10
	s_add_co_ci_u32 s50, s9, s0
	s_add_co_ci_u32 s7, s11, 0
	s_delay_alu instid0(SALU_CYCLE_1) | instskip(NEXT) | instid1(SALU_CYCLE_1)
	s_add_nc_u64 s[6:7], s[50:51], s[6:7]
	s_add_co_u32 s0, s4, s6
	s_cselect_b32 s4, -1, 0
	v_mul_hi_u32 v26, v18, s0
	s_cmp_lg_u32 s4, 0
	s_add_co_ci_u32 s50, s5, s7
	s_and_b64 s[4:5], s[0:1], s[52:53]
	v_mul_u64_e32 v[20:21], s[50:51], v[18:19]
	v_mul_u64_e32 v[16:17], s[4:5], v[22:23]
	;; [unrolled: 1-line block ×3, first 2 shown]
	s_delay_alu instid0(VALU_DEP_3) | instskip(NEXT) | instid1(VALU_DEP_1)
	v_add_nc_u64_e32 v[20:21], v[26:27], v[20:21]
	v_add_co_u32 v1, vcc_lo, v20, v16
	s_delay_alu instid0(VALU_DEP_2) | instskip(NEXT) | instid1(VALU_DEP_4)
	v_add_co_ci_u32_e32 v26, vcc_lo, v21, v17, vcc_lo
	v_add_co_ci_u32_e32 v25, vcc_lo, 0, v25, vcc_lo
	s_delay_alu instid0(VALU_DEP_1) | instskip(NEXT) | instid1(VALU_DEP_1)
	v_add_nc_u64_e32 v[16:17], v[26:27], v[24:25]
	v_mul_u64_e32 v[20:21], s[60:61], v[16:17]
	s_delay_alu instid0(VALU_DEP_1) | instskip(NEXT) | instid1(VALU_DEP_2)
	v_sub_nc_u32_e32 v1, v22, v21
	v_sub_co_u32 v3, vcc_lo, v18, v20
	s_delay_alu instid0(VALU_DEP_1) | instskip(NEXT) | instid1(VALU_DEP_3)
	v_sub_co_ci_u32_e64 v9, null, v22, v21, vcc_lo
	v_subrev_co_ci_u32_e64 v1, null, s61, v1, vcc_lo
	s_delay_alu instid0(VALU_DEP_3) | instskip(SKIP_1) | instid1(VALU_DEP_3)
	v_sub_co_u32 v7, s0, v3, s60
	v_add_nc_u64_e32 v[18:19], 2, v[16:17]
	v_subrev_co_ci_u32_e64 v1, null, 0, v1, s0
	s_delay_alu instid0(VALU_DEP_3) | instskip(SKIP_2) | instid1(VALU_DEP_4)
	v_cmp_le_u32_e32 vcc_lo, s60, v7
	v_add_nc_u64_e32 v[20:21], 1, v[16:17]
	v_cndmask_b32_e64 v7, 0, -1, vcc_lo
	v_cmp_le_u32_e32 vcc_lo, s61, v1
	v_cndmask_b32_e64 v11, 0, -1, vcc_lo
	v_cmp_le_u32_e32 vcc_lo, s60, v3
	;; [unrolled: 2-line block ×3, first 2 shown]
	v_cndmask_b32_e64 v15, 0, -1, vcc_lo
	v_cmp_eq_u32_e32 vcc_lo, s61, v1
	v_cndmask_b32_e32 v1, v11, v7, vcc_lo
	v_cmp_eq_u32_e32 vcc_lo, s61, v9
	s_delay_alu instid0(VALU_DEP_4) | instskip(NEXT) | instid1(VALU_DEP_3)
	v_cndmask_b32_e32 v3, v15, v3, vcc_lo
	v_cmp_ne_u32_e32 vcc_lo, 0, v1
	s_delay_alu instid0(VALU_DEP_2) | instskip(SKIP_1) | instid1(VALU_DEP_1)
	v_cmp_ne_u32_e64 s0, 0, v3
	v_dual_cndmask_b32 v1, v21, v19, vcc_lo :: v_dual_cndmask_b32 v3, v20, v18, vcc_lo
	v_dual_cndmask_b32 v1, v17, v1, s0 :: v_dual_bitop2_b32 v14, s58, v14 bitop3:0x14
	s_delay_alu instid0(VALU_DEP_1) | instskip(NEXT) | instid1(VALU_DEP_2)
	v_dual_cndmask_b32 v3, v16, v3, s0 :: v_dual_mov_b32 v15, v14
	v_xor_b32_e32 v17, v1, v14
	s_delay_alu instid0(VALU_DEP_2) | instskip(NEXT) | instid1(VALU_DEP_1)
	v_xor_b32_e32 v16, v3, v14
	v_sub_nc_u64_e32 v[14:15], v[16:17], v[14:15]
.LBB23_646:                             ;   in Loop: Header=BB23_644 Depth=1
	s_and_not1_saveexec_b32 s0, s67
	s_cbranch_execz .LBB23_643
; %bb.647:                              ;   in Loop: Header=BB23_644 Depth=1
	v_cvt_f32_u32_e32 v1, s56
	s_sub_co_i32 s4, 0, s56
	v_mov_b32_e32 v15, v10
	s_delay_alu instid0(VALU_DEP_2) | instskip(SKIP_1) | instid1(TRANS32_DEP_1)
	v_rcp_iflag_f32_e32 v1, v1
	v_nop
	v_mul_f32_e32 v1, 0x4f7ffffe, v1
	s_delay_alu instid0(VALU_DEP_1) | instskip(NEXT) | instid1(VALU_DEP_1)
	v_cvt_u32_f32_e32 v1, v1
	v_mul_lo_u32 v3, s4, v1
	s_delay_alu instid0(VALU_DEP_1) | instskip(NEXT) | instid1(VALU_DEP_1)
	v_mul_hi_u32 v3, v1, v3
	v_add_nc_u32_e32 v1, v1, v3
	s_delay_alu instid0(VALU_DEP_1) | instskip(NEXT) | instid1(VALU_DEP_1)
	v_mul_hi_u32 v1, v12, v1
	v_mul_lo_u32 v3, v1, s56
	s_delay_alu instid0(VALU_DEP_1) | instskip(NEXT) | instid1(VALU_DEP_1)
	v_dual_add_nc_u32 v7, 1, v1 :: v_dual_sub_nc_u32 v3, v12, v3
	v_subrev_nc_u32_e32 v9, s56, v3
	v_cmp_le_u32_e32 vcc_lo, s56, v3
	s_delay_alu instid0(VALU_DEP_2) | instskip(NEXT) | instid1(VALU_DEP_1)
	v_dual_cndmask_b32 v3, v3, v9, vcc_lo :: v_dual_cndmask_b32 v1, v1, v7, vcc_lo
	v_cmp_le_u32_e32 vcc_lo, s56, v3
	s_delay_alu instid0(VALU_DEP_2) | instskip(NEXT) | instid1(VALU_DEP_1)
	v_add_nc_u32_e32 v7, 1, v1
	v_cndmask_b32_e32 v14, v1, v7, vcc_lo
	s_branch .LBB23_643
.LBB23_648:
	s_mov_b32 s0, 0
	s_mov_b32 s35, 0
	;; [unrolled: 1-line block ×6, first 2 shown]
.LBB23_649:
                                        ; implicit-def: $vgpr0
.LBB23_650:
	s_delay_alu instid0(SALU_CYCLE_1)
	s_and_b32 s60, s53, exec_lo
	s_and_b32 s61, s52, exec_lo
	;; [unrolled: 1-line block ×10, first 2 shown]
	s_or_not1_b32 s50, s0, exec_lo
.LBB23_651:
	s_wait_xcnt 0x0
	s_or_b32 exec_lo, exec_lo, s85
	s_mov_b32 s51, 0
	s_mov_b32 s35, 0
                                        ; implicit-def: $sgpr0
                                        ; implicit-def: $vgpr12_vgpr13
                                        ; implicit-def: $vgpr2
                                        ; implicit-def: $vgpr8
                                        ; implicit-def: $vgpr10
                                        ; implicit-def: $vgpr4
                                        ; implicit-def: $vgpr6
                                        ; implicit-def: $vgpr3
	s_and_saveexec_b32 s85, s50
	s_cbranch_execz .LBB23_660
; %bb.652:
	s_mov_b32 s35, -1
	s_mov_b32 s86, s84
	s_mov_b32 s88, s83
	;; [unrolled: 1-line block ×10, first 2 shown]
	s_mov_b32 s96, exec_lo
	v_cmpx_gt_i32_e64 s75, v0
	s_cbranch_execz .LBB23_1326
; %bb.653:
	s_and_not1_b32 vcc_lo, exec_lo, s64
	s_cbranch_vccnz .LBB23_663
; %bb.654:
	s_and_not1_b32 vcc_lo, exec_lo, s13
	s_cbranch_vccnz .LBB23_664
; %bb.655:
	s_wait_loadcnt 0x0
	v_dual_mov_b32 v6, 0 :: v_dual_mov_b32 v1, v0
	v_dual_mov_b32 v4, 0 :: v_dual_mov_b32 v10, 0
	;; [unrolled: 1-line block ×3, first 2 shown]
	v_mov_b32_e32 v12, 0
	s_add_co_i32 s0, s74, 1
	s_mov_b64 s[4:5], 0xffffffffffffffd0
	s_mov_b64 s[58:59], s[42:43]
	s_mov_b32 s56, s40
	s_mov_b64 s[42:43], s[30:31]
	s_mov_b64 s[40:41], s[28:29]
	s_and_b32 s0, s0, 30
	s_add_nc_u64 s[50:51], s[2:3], s[4:5]
	s_mov_b64 s[52:53], s[2:3]
.LBB23_656:                             ; =>This Inner Loop Header: Depth=1
	s_clause 0x1
	s_load_b128 s[4:7], s[52:53], 0x4
	s_load_b64 s[28:29], s[52:53], 0x14
	s_clause 0x1
	s_load_b256 s[88:95], s[50:51], 0xf4
	s_load_b128 s[8:11], s[50:51], 0x114
	s_add_co_i32 s0, s0, -2
	s_wait_xcnt 0x0
	s_add_nc_u64 s[52:53], s[52:53], 24
	s_cmp_eq_u32 s0, 0
	s_add_nc_u64 s[50:51], s[50:51], 48
	s_wait_kmcnt 0x0
	v_mul_hi_u32 v3, s5, v1
	s_delay_alu instid0(VALU_DEP_1) | instskip(NEXT) | instid1(VALU_DEP_1)
	v_add_nc_u32_e32 v3, v1, v3
	v_lshrrev_b32_e32 v3, s6, v3
	s_delay_alu instid0(VALU_DEP_1) | instskip(SKIP_1) | instid1(VALU_DEP_1)
	v_mul_hi_u32 v5, s28, v3
	v_mul_lo_u32 v7, v3, s4
	v_dual_add_nc_u32 v5, v3, v5 :: v_dual_sub_nc_u32 v7, v1, v7
	s_delay_alu instid0(VALU_DEP_1) | instskip(NEXT) | instid1(VALU_DEP_2)
	v_lshrrev_b32_e32 v1, s29, v5
	v_mad_u32 v5, v7, s89, v12
	v_mad_u32 v2, v7, s88, v2
	;; [unrolled: 1-line block ×4, first 2 shown]
	v_mul_lo_u32 v9, v1, s7
	v_mad_u32 v4, s93, v7, v4
	v_mad_u32 v6, s92, v7, v6
	s_delay_alu instid0(VALU_DEP_3) | instskip(NEXT) | instid1(VALU_DEP_1)
	v_sub_nc_u32_e32 v3, v3, v9
	v_mad_u32 v12, v3, s95, v5
	v_mad_u32 v2, v3, s94, v2
	;; [unrolled: 1-line block ×6, first 2 shown]
	s_cbranch_scc0 .LBB23_656
; %bb.657:
	s_bitcmp1_b32 s74, 0
	s_cselect_b32 s0, -1, 0
	s_delay_alu instid0(SALU_CYCLE_1)
	s_and_b32 vcc_lo, exec_lo, s0
	s_cbranch_vccnz .LBB23_659
; %bb.658:
	s_load_b96 s[8:10], s[52:53], 0x4
	s_wait_kmcnt 0x0
	v_mul_hi_u32 v3, s9, v1
	s_delay_alu instid0(VALU_DEP_1) | instskip(NEXT) | instid1(VALU_DEP_1)
	v_add_nc_u32_e32 v3, v1, v3
	v_lshrrev_b32_e32 v3, s10, v3
	s_clause 0x1
	s_load_b128 s[4:7], s[50:51], 0xf4
	s_load_b64 s[10:11], s[50:51], 0x104
	s_delay_alu instid0(VALU_DEP_1) | instskip(NEXT) | instid1(VALU_DEP_1)
	v_mul_lo_u32 v3, v3, s8
	v_sub_nc_u32_e32 v1, v1, v3
	s_wait_kmcnt 0x0
	s_delay_alu instid0(VALU_DEP_1)
	v_mad_u32 v2, v1, s4, v2
	v_mad_u32 v12, v1, s5, v12
	;; [unrolled: 1-line block ×6, first 2 shown]
.LBB23_659:
	s_mov_b64 s[28:29], s[40:41]
	s_mov_b64 s[30:31], s[42:43]
	;; [unrolled: 1-line block ×3, first 2 shown]
	s_mov_b32 s40, s56
	s_cbranch_execnz .LBB23_667
	s_branch .LBB23_665
.LBB23_660:
	s_or_b32 exec_lo, exec_lo, s85
	s_mov_b32 s1, 0
	s_and_saveexec_b32 s6, s84
	s_cbranch_execnz .LBB23_2193
.LBB23_661:
	s_or_b32 exec_lo, exec_lo, s6
	s_and_saveexec_b32 s4, s47
	s_delay_alu instid0(SALU_CYCLE_1)
	s_xor_b32 s6, exec_lo, s4
	s_cbranch_execz .LBB23_2194
.LBB23_662:
	global_load_u8 v0, v[12:13], off
	s_or_b32 s35, s35, exec_lo
	s_wait_loadcnt 0x0
	v_cmp_ne_u16_e32 vcc_lo, 0, v0
	v_cndmask_b32_e64 v3, 0, 1, vcc_lo
	s_wait_xcnt 0x0
	s_or_b32 exec_lo, exec_lo, s6
	s_and_saveexec_b32 s6, s51
	s_cbranch_execz .LBB23_2240
	s_branch .LBB23_2195
.LBB23_663:
                                        ; implicit-def: $vgpr12
                                        ; implicit-def: $vgpr2
                                        ; implicit-def: $vgpr8
                                        ; implicit-def: $vgpr10
                                        ; implicit-def: $vgpr4
                                        ; implicit-def: $vgpr6
	s_branch .LBB23_665
.LBB23_664:
	v_dual_mov_b32 v12, 0 :: v_dual_mov_b32 v2, 0
	s_wait_loadcnt 0x0
	v_dual_mov_b32 v8, 0 :: v_dual_mov_b32 v10, 0
	v_dual_mov_b32 v4, 0 :: v_dual_mov_b32 v6, 0
	s_cbranch_execnz .LBB23_667
.LBB23_665:
	s_wait_loadcnt 0x0
	v_mov_b32_e32 v1, 0
	s_load_b256 s[4:11], s[2:3], 0xc4
	s_and_not1_b32 vcc_lo, exec_lo, s73
	s_delay_alu instid0(VALU_DEP_1) | instskip(NEXT) | instid1(VALU_DEP_1)
	v_mul_u64_e32 v[2:3], s[46:47], v[0:1]
	v_add_nc_u32_e32 v2, v0, v3
	s_delay_alu instid0(VALU_DEP_1) | instskip(NEXT) | instid1(VALU_DEP_1)
	v_lshrrev_b32_e32 v14, s42, v2
	v_mul_lo_u32 v2, v14, s40
	s_delay_alu instid0(VALU_DEP_1) | instskip(SKIP_1) | instid1(VALU_DEP_1)
	v_sub_nc_u32_e32 v3, v0, v2
	s_wait_kmcnt 0x0
	v_mul_lo_u32 v12, v3, s5
	v_mul_lo_u32 v2, v3, s4
	;; [unrolled: 1-line block ×6, first 2 shown]
	s_cbranch_vccnz .LBB23_667
; %bb.666:
	v_mov_b32_e32 v15, v1
	s_load_b128 s[4:7], s[2:3], 0xe4
	s_delay_alu instid0(VALU_DEP_1) | instskip(NEXT) | instid1(VALU_DEP_1)
	v_mul_u64_e32 v[16:17], s[48:49], v[14:15]
	v_add_nc_u32_e32 v1, v14, v17
	s_delay_alu instid0(VALU_DEP_1) | instskip(NEXT) | instid1(VALU_DEP_1)
	v_lshrrev_b32_e32 v1, s1, v1
	v_mul_lo_u32 v1, v1, s43
	s_delay_alu instid0(VALU_DEP_1) | instskip(NEXT) | instid1(VALU_DEP_1)
	v_sub_nc_u32_e32 v1, v14, v1
	v_mad_u32 v2, v1, s10, v2
	v_mad_u32 v12, v1, s11, v12
	s_wait_kmcnt 0x0
	v_mad_u32 v10, v1, s4, v10
	v_mad_u32 v8, v1, s5, v8
	;; [unrolled: 1-line block ×4, first 2 shown]
.LBB23_667:
	s_load_b256 s[4:11], s[2:3], 0x248
	v_mov_b32_e32 v13, 0
	s_and_b32 s0, s72, 0xff
	s_delay_alu instid0(SALU_CYCLE_1) | instskip(SKIP_1) | instid1(VALU_DEP_1)
	s_cmp_lt_i32 s0, 11
	s_wait_kmcnt 0x0
	v_add_nc_u64_e32 v[12:13], s[6:7], v[12:13]
	s_cbranch_scc1 .LBB23_674
; %bb.668:
	s_and_b32 s35, 0xffff, s0
	s_delay_alu instid0(SALU_CYCLE_1)
	s_cmp_gt_i32 s35, 25
	s_cbranch_scc0 .LBB23_683
; %bb.669:
	s_cmp_gt_i32 s35, 28
	s_cbranch_scc0 .LBB23_685
; %bb.670:
	;; [unrolled: 3-line block ×4, first 2 shown]
	s_cmp_eq_u32 s35, 46
	s_mov_b32 s51, 0
	s_cbranch_scc0 .LBB23_705
; %bb.673:
	s_wait_loadcnt 0x0
	global_load_b32 v1, v[12:13], off
	s_mov_b32 s50, -1
	s_mov_b32 s86, 0
	s_wait_loadcnt 0x0
	v_lshlrev_b32_e32 v1, 16, v1
	s_delay_alu instid0(VALU_DEP_1)
	v_cvt_i32_f32_e32 v1, v1
	s_branch .LBB23_707
.LBB23_674:
	s_mov_b32 s50, 0
	s_mov_b32 s86, s84
                                        ; implicit-def: $vgpr1
	s_cbranch_execnz .LBB23_769
.LBB23_675:
	s_and_not1_b32 vcc_lo, exec_lo, s50
	s_cbranch_vccnz .LBB23_817
.LBB23_676:
	s_load_b256 s[4:11], s[2:3], 0x248
	v_mov_b32_e32 v11, 0
	s_and_b32 s0, s24, 0xff
	s_delay_alu instid0(SALU_CYCLE_1)
	s_cmp_lt_i32 s0, 11
	s_wait_loadcnt 0x0
	s_wait_kmcnt 0x0
	v_add_nc_u64_e32 v[10:11], s[8:9], v[10:11]
	s_cbranch_scc1 .LBB23_684
; %bb.677:
	s_and_b32 s35, 0xffff, s0
	s_delay_alu instid0(SALU_CYCLE_1)
	s_cmp_gt_i32 s35, 25
	s_cbranch_scc0 .LBB23_686
; %bb.678:
	s_cmp_gt_i32 s35, 28
	s_cbranch_scc0 .LBB23_688
; %bb.679:
	;; [unrolled: 3-line block ×4, first 2 shown]
	s_cmp_eq_u32 s35, 46
	s_mov_b32 s51, 0
	s_cbranch_scc0 .LBB23_819
; %bb.682:
	global_load_b32 v3, v[10:11], off
	s_mov_b32 s50, -1
	s_mov_b32 s88, 0
	s_wait_loadcnt 0x0
	v_lshlrev_b32_e32 v3, 16, v3
	s_delay_alu instid0(VALU_DEP_1)
	v_cvt_i32_f32_e32 v3, v3
	s_branch .LBB23_821
.LBB23_683:
	s_mov_b32 s51, -1
	s_mov_b32 s50, 0
	s_mov_b32 s86, s84
                                        ; implicit-def: $vgpr1
	s_branch .LBB23_735
.LBB23_684:
	s_mov_b32 s35, -1
	s_mov_b32 s50, 0
	s_mov_b32 s88, s83
                                        ; implicit-def: $vgpr3
	s_branch .LBB23_882
.LBB23_685:
	s_mov_b32 s51, -1
	s_mov_b32 s50, 0
	s_mov_b32 s86, s84
                                        ; implicit-def: $vgpr1
	s_branch .LBB23_718
.LBB23_686:
	s_mov_b32 s51, -1
	s_mov_b32 s50, 0
	s_mov_b32 s88, s83
                                        ; implicit-def: $vgpr3
	s_branch .LBB23_848
.LBB23_687:
	s_mov_b32 s51, -1
	s_mov_b32 s50, 0
	s_mov_b32 s86, s84
                                        ; implicit-def: $vgpr1
	s_branch .LBB23_713
.LBB23_688:
	s_mov_b32 s51, -1
	s_mov_b32 s50, 0
	s_mov_b32 s88, s83
                                        ; implicit-def: $vgpr3
	s_branch .LBB23_831
.LBB23_689:
	s_mov_b32 s52, -1
	s_mov_b32 s50, 0
	s_mov_b32 s0, 0
	s_mov_b32 s35, exec_lo
	v_cmpx_gt_i32_e64 v6, v8
	s_cbranch_execz .LBB23_697
; %bb.690:
	s_delay_alu instid0(VALU_DEP_2) | instskip(SKIP_2) | instid1(VALU_DEP_1)
	v_lshlrev_b64_e32 v[4:5], 2, v[4:5]
	v_dual_ashrrev_i32 v9, 31, v8 :: v_dual_ashrrev_i32 v7, 31, v6
	s_xor_b32 s52, s39, -1
                                        ; implicit-def: $sgpr51
                                        ; implicit-def: $sgpr54
                                        ; implicit-def: $sgpr53
	v_lshl_add_u64 v[8:9], v[8:9], 2, v[4:5]
	v_add_nc_u64_e32 v[10:11], s[20:21], v[4:5]
	s_delay_alu instid0(VALU_DEP_2) | instskip(NEXT) | instid1(VALU_DEP_2)
	v_add_nc_u64_e32 v[8:9], s[20:21], v[8:9]
	v_lshl_add_u64 v[6:7], v[6:7], 2, v[10:11]
	s_delay_alu instid0(VALU_DEP_2)
	v_add_nc_u64_e32 v[4:5], 4, v[8:9]
	s_branch .LBB23_692
.LBB23_691:                             ;   in Loop: Header=BB23_692 Depth=1
	s_or_b32 exec_lo, exec_lo, s55
	s_delay_alu instid0(SALU_CYCLE_1) | instskip(NEXT) | instid1(SALU_CYCLE_1)
	s_and_b32 s4, exec_lo, s54
	s_or_b32 s0, s4, s0
	s_and_not1_b32 s4, s51, exec_lo
	s_and_b32 s5, s53, exec_lo
	s_delay_alu instid0(SALU_CYCLE_1)
	s_or_b32 s51, s4, s5
	s_and_not1_b32 exec_lo, exec_lo, s0
	s_cbranch_execz .LBB23_696
.LBB23_692:                             ; =>This Inner Loop Header: Depth=1
	s_or_b32 s53, s53, exec_lo
	s_or_b32 s54, s54, exec_lo
	s_mov_b32 s55, exec_lo
	s_delay_alu instid0(VALU_DEP_1)
	v_cmpx_lt_u64_e64 v[4:5], v[6:7]
	s_cbranch_execz .LBB23_691
; %bb.693:                              ;   in Loop: Header=BB23_692 Depth=1
	global_load_b64 v[8:9], v[4:5], off offset:-4
	s_wait_xcnt 0x0
	v_add_nc_u64_e32 v[4:5], 4, v[4:5]
	s_and_not1_b32 s5, s54, exec_lo
	s_and_not1_b32 s53, s53, exec_lo
	s_wait_loadcnt 0x0
	v_cmp_ge_i32_e32 vcc_lo, v8, v9
	s_or_b32 s4, s52, vcc_lo
	s_delay_alu instid0(SALU_CYCLE_1) | instskip(NEXT) | instid1(SALU_CYCLE_1)
	s_and_b32 s4, s4, exec_lo
	s_or_b32 s54, s5, s4
	s_branch .LBB23_691
.LBB23_694:
	s_mov_b32 s51, -1
	s_mov_b32 s50, 0
	s_mov_b32 s86, s84
	s_branch .LBB23_706
.LBB23_695:
	s_mov_b32 s51, -1
	s_mov_b32 s50, 0
	s_mov_b32 s88, s83
                                        ; implicit-def: $vgpr3
	s_branch .LBB23_826
.LBB23_696:
	s_or_b32 exec_lo, exec_lo, s0
	s_delay_alu instid0(SALU_CYCLE_1)
	s_mov_b32 s0, exec_lo
	s_or_not1_b32 s52, s51, exec_lo
.LBB23_697:
	s_or_b32 exec_lo, exec_lo, s35
	s_mov_b32 s51, 0
	s_and_saveexec_b32 s35, s52
	s_cbranch_execz .LBB23_1957
; %bb.698:
	s_load_b256 s[4:11], s[2:3], 0x248
	v_mov_b32_e32 v3, 0
	s_and_b32 s51, s22, 0xff
	s_delay_alu instid0(SALU_CYCLE_1) | instskip(SKIP_1) | instid1(VALU_DEP_1)
	s_cmp_lt_i32 s51, 11
	s_wait_kmcnt 0x0
	v_add_nc_u64_e32 v[2:3], s[4:5], v[2:3]
	s_cbranch_scc1 .LBB23_818
; %bb.699:
	s_and_b32 s52, 0xffff, s51
	s_delay_alu instid0(SALU_CYCLE_1)
	s_cmp_gt_i32 s52, 25
	s_cbranch_scc0 .LBB23_945
; %bb.700:
	s_cmp_gt_i32 s52, 28
	s_cbranch_scc0 .LBB23_1072
; %bb.701:
	;; [unrolled: 3-line block ×4, first 2 shown]
	s_mov_b32 s54, 0
	s_mov_b32 s50, -1
	s_cmp_eq_u32 s52, 46
	s_mov_b32 s53, 0
	s_cbranch_scc0 .LBB23_1875
; %bb.704:
	v_mov_b32_e32 v1, 0
	s_mov_b32 s53, -1
	s_mov_b32 s50, 0
	global_store_b32 v[2:3], v1, off
	s_branch .LBB23_1875
.LBB23_705:
	s_mov_b32 s86, -1
	s_mov_b32 s50, 0
.LBB23_706:
                                        ; implicit-def: $vgpr1
.LBB23_707:
	s_and_b32 vcc_lo, exec_lo, s51
	s_cbranch_vccz .LBB23_712
; %bb.708:
	s_cmp_eq_u32 s35, 44
	s_cbranch_scc0 .LBB23_711
; %bb.709:
	s_wait_loadcnt 0x0
	global_load_u8 v1, v[12:13], off
	s_mov_b32 s86, 0
	s_mov_b32 s50, -1
	s_wait_loadcnt 0x0
	v_lshlrev_b32_e32 v3, 23, v1
	v_cmp_ne_u32_e32 vcc_lo, 0, v1
	s_delay_alu instid0(VALU_DEP_2) | instskip(NEXT) | instid1(VALU_DEP_1)
	v_cvt_i32_f32_e32 v3, v3
	v_cndmask_b32_e32 v1, 0, v3, vcc_lo
	s_branch .LBB23_712
.LBB23_710:
	s_mov_b32 s51, -1
	s_mov_b32 s50, 0
	s_mov_b32 s88, s83
	s_branch .LBB23_820
.LBB23_711:
	s_mov_b32 s86, -1
                                        ; implicit-def: $vgpr1
.LBB23_712:
	s_mov_b32 s51, 0
.LBB23_713:
	s_delay_alu instid0(SALU_CYCLE_1)
	s_and_b32 vcc_lo, exec_lo, s51
	s_cbranch_vccz .LBB23_717
; %bb.714:
	s_cmp_eq_u32 s35, 29
	s_cbranch_scc0 .LBB23_716
; %bb.715:
	s_wait_loadcnt 0x0
	global_load_b32 v1, v[12:13], off
	s_mov_b32 s50, -1
	s_mov_b32 s86, 0
	s_branch .LBB23_717
.LBB23_716:
	s_mov_b32 s86, -1
                                        ; implicit-def: $vgpr1
.LBB23_717:
	s_mov_b32 s51, 0
.LBB23_718:
	s_delay_alu instid0(SALU_CYCLE_1)
	s_and_b32 vcc_lo, exec_lo, s51
	s_cbranch_vccz .LBB23_734
; %bb.719:
	s_cmp_lt_i32 s35, 27
	s_cbranch_scc1 .LBB23_722
; %bb.720:
	s_cmp_gt_i32 s35, 27
	s_cbranch_scc0 .LBB23_723
; %bb.721:
	s_wait_loadcnt 0x0
	global_load_b32 v1, v[12:13], off
	s_mov_b32 s50, 0
	s_branch .LBB23_724
.LBB23_722:
	s_mov_b32 s50, -1
                                        ; implicit-def: $vgpr1
	s_branch .LBB23_727
.LBB23_723:
	s_mov_b32 s50, -1
                                        ; implicit-def: $vgpr1
.LBB23_724:
	s_delay_alu instid0(SALU_CYCLE_1)
	s_and_not1_b32 vcc_lo, exec_lo, s50
	s_cbranch_vccnz .LBB23_726
; %bb.725:
	s_wait_loadcnt 0x0
	global_load_u16 v1, v[12:13], off
.LBB23_726:
	s_mov_b32 s50, 0
.LBB23_727:
	s_delay_alu instid0(SALU_CYCLE_1)
	s_and_not1_b32 vcc_lo, exec_lo, s50
	s_cbranch_vccnz .LBB23_733
; %bb.728:
	s_wait_loadcnt 0x0
	global_load_u8 v3, v[12:13], off
	s_mov_b32 s51, 0
	s_mov_b32 s4, exec_lo
	s_wait_loadcnt 0x0
	v_cmpx_lt_i16_e32 0x7f, v3
	s_xor_b32 s50, exec_lo, s4
	s_cbranch_execz .LBB23_745
; %bb.729:
	v_cmp_ne_u16_e32 vcc_lo, 0x80, v3
	s_and_b32 s51, vcc_lo, exec_lo
	s_and_not1_saveexec_b32 s50, s50
	s_cbranch_execnz .LBB23_746
.LBB23_730:
	s_or_b32 exec_lo, exec_lo, s50
	v_mov_b32_e32 v1, 0
	s_and_saveexec_b32 s50, s51
	s_cbranch_execz .LBB23_732
.LBB23_731:
	v_and_b32_e32 v1, 0xffff, v3
	s_delay_alu instid0(VALU_DEP_1) | instskip(SKIP_1) | instid1(VALU_DEP_2)
	v_and_b32_e32 v5, 7, v1
	v_bfe_u32 v11, v1, 3, 4
	v_clz_i32_u32_e32 v7, v5
	s_delay_alu instid0(VALU_DEP_2) | instskip(NEXT) | instid1(VALU_DEP_2)
	v_cmp_eq_u32_e32 vcc_lo, 0, v11
	v_min_u32_e32 v7, 32, v7
	s_delay_alu instid0(VALU_DEP_1) | instskip(NEXT) | instid1(VALU_DEP_1)
	v_subrev_nc_u32_e32 v9, 28, v7
	v_dual_lshlrev_b32 v1, v9, v1 :: v_dual_sub_nc_u32 v7, 29, v7
	s_delay_alu instid0(VALU_DEP_1) | instskip(NEXT) | instid1(VALU_DEP_1)
	v_dual_lshlrev_b32 v3, 24, v3 :: v_dual_bitop2_b32 v1, 7, v1 bitop3:0x40
	v_dual_cndmask_b32 v1, v5, v1, vcc_lo :: v_dual_cndmask_b32 v7, v11, v7, vcc_lo
	s_delay_alu instid0(VALU_DEP_2) | instskip(NEXT) | instid1(VALU_DEP_2)
	v_and_b32_e32 v3, 0x80000000, v3
	v_lshlrev_b32_e32 v1, 20, v1
	s_delay_alu instid0(VALU_DEP_3) | instskip(NEXT) | instid1(VALU_DEP_1)
	v_lshl_add_u32 v5, v7, 23, 0x3b800000
	v_or3_b32 v1, v3, v5, v1
	s_delay_alu instid0(VALU_DEP_1)
	v_cvt_i32_f32_e32 v1, v1
.LBB23_732:
	s_or_b32 exec_lo, exec_lo, s50
.LBB23_733:
	s_mov_b32 s50, -1
.LBB23_734:
	s_mov_b32 s51, 0
.LBB23_735:
	s_delay_alu instid0(SALU_CYCLE_1)
	s_and_b32 vcc_lo, exec_lo, s51
	s_cbranch_vccz .LBB23_768
; %bb.736:
	s_cmp_gt_i32 s35, 22
	s_cbranch_scc0 .LBB23_744
; %bb.737:
	s_cmp_lt_i32 s35, 24
	s_cbranch_scc1 .LBB23_747
; %bb.738:
	s_cmp_gt_i32 s35, 24
	s_cbranch_scc0 .LBB23_748
; %bb.739:
	s_wait_loadcnt 0x0
	global_load_u8 v3, v[12:13], off
	s_mov_b32 s51, 0
	s_mov_b32 s4, exec_lo
	s_wait_loadcnt 0x0
	v_cmpx_lt_i16_e32 0x7f, v3
	s_xor_b32 s50, exec_lo, s4
	s_cbranch_execz .LBB23_760
; %bb.740:
	v_cmp_ne_u16_e32 vcc_lo, 0x80, v3
	s_and_b32 s51, vcc_lo, exec_lo
	s_and_not1_saveexec_b32 s50, s50
	s_cbranch_execnz .LBB23_761
.LBB23_741:
	s_or_b32 exec_lo, exec_lo, s50
	v_mov_b32_e32 v1, 0
	s_and_saveexec_b32 s50, s51
	s_cbranch_execz .LBB23_743
.LBB23_742:
	v_and_b32_e32 v1, 0xffff, v3
	s_delay_alu instid0(VALU_DEP_1) | instskip(SKIP_1) | instid1(VALU_DEP_2)
	v_and_b32_e32 v5, 3, v1
	v_bfe_u32 v11, v1, 2, 5
	v_clz_i32_u32_e32 v7, v5
	s_delay_alu instid0(VALU_DEP_2) | instskip(NEXT) | instid1(VALU_DEP_2)
	v_cmp_eq_u32_e32 vcc_lo, 0, v11
	v_min_u32_e32 v7, 32, v7
	s_delay_alu instid0(VALU_DEP_1) | instskip(NEXT) | instid1(VALU_DEP_1)
	v_subrev_nc_u32_e32 v9, 29, v7
	v_dual_lshlrev_b32 v1, v9, v1 :: v_dual_sub_nc_u32 v7, 30, v7
	s_delay_alu instid0(VALU_DEP_1) | instskip(NEXT) | instid1(VALU_DEP_1)
	v_dual_lshlrev_b32 v3, 24, v3 :: v_dual_bitop2_b32 v1, 3, v1 bitop3:0x40
	v_dual_cndmask_b32 v1, v5, v1, vcc_lo :: v_dual_cndmask_b32 v7, v11, v7, vcc_lo
	s_delay_alu instid0(VALU_DEP_2) | instskip(NEXT) | instid1(VALU_DEP_2)
	v_and_b32_e32 v3, 0x80000000, v3
	v_lshlrev_b32_e32 v1, 21, v1
	s_delay_alu instid0(VALU_DEP_3) | instskip(NEXT) | instid1(VALU_DEP_1)
	v_lshl_add_u32 v5, v7, 23, 0x37800000
	v_or3_b32 v1, v3, v5, v1
	s_delay_alu instid0(VALU_DEP_1)
	v_cvt_i32_f32_e32 v1, v1
.LBB23_743:
	s_or_b32 exec_lo, exec_lo, s50
	s_mov_b32 s50, 0
	s_branch .LBB23_749
.LBB23_744:
	s_mov_b32 s51, -1
                                        ; implicit-def: $vgpr1
	s_branch .LBB23_755
.LBB23_745:
	s_and_not1_saveexec_b32 s50, s50
	s_cbranch_execz .LBB23_730
.LBB23_746:
	v_cmp_ne_u16_e32 vcc_lo, 0, v3
	s_and_not1_b32 s4, s51, exec_lo
	s_and_b32 s5, vcc_lo, exec_lo
	s_delay_alu instid0(SALU_CYCLE_1)
	s_or_b32 s51, s4, s5
	s_or_b32 exec_lo, exec_lo, s50
	v_mov_b32_e32 v1, 0
	s_and_saveexec_b32 s50, s51
	s_cbranch_execnz .LBB23_731
	s_branch .LBB23_732
.LBB23_747:
	s_mov_b32 s50, -1
                                        ; implicit-def: $vgpr1
	s_branch .LBB23_752
.LBB23_748:
	s_mov_b32 s50, -1
                                        ; implicit-def: $vgpr1
.LBB23_749:
	s_delay_alu instid0(SALU_CYCLE_1)
	s_and_b32 vcc_lo, exec_lo, s50
	s_cbranch_vccz .LBB23_751
; %bb.750:
	s_wait_loadcnt 0x0
	global_load_u8 v1, v[12:13], off
	s_wait_loadcnt 0x0
	v_lshlrev_b32_e32 v1, 24, v1
	s_delay_alu instid0(VALU_DEP_1) | instskip(NEXT) | instid1(VALU_DEP_1)
	v_and_b32_e32 v3, 0x7f000000, v1
	v_clz_i32_u32_e32 v5, v3
	v_add_nc_u32_e32 v9, 0x1000000, v3
	v_cmp_ne_u32_e32 vcc_lo, 0, v3
	s_delay_alu instid0(VALU_DEP_3) | instskip(NEXT) | instid1(VALU_DEP_1)
	v_min_u32_e32 v5, 32, v5
	v_sub_nc_u32_e64 v5, v5, 4 clamp
	s_delay_alu instid0(VALU_DEP_1) | instskip(NEXT) | instid1(VALU_DEP_1)
	v_dual_lshlrev_b32 v7, v5, v3 :: v_dual_lshlrev_b32 v5, 23, v5
	v_lshrrev_b32_e32 v7, 4, v7
	s_delay_alu instid0(VALU_DEP_1) | instskip(SKIP_1) | instid1(VALU_DEP_2)
	v_sub_nc_u32_e32 v5, v7, v5
	v_ashrrev_i32_e32 v7, 8, v9
	v_add_nc_u32_e32 v5, 0x3c000000, v5
	s_delay_alu instid0(VALU_DEP_1) | instskip(NEXT) | instid1(VALU_DEP_1)
	v_and_or_b32 v5, 0x7f800000, v7, v5
	v_cndmask_b32_e32 v3, 0, v5, vcc_lo
	s_delay_alu instid0(VALU_DEP_1) | instskip(NEXT) | instid1(VALU_DEP_1)
	v_and_or_b32 v1, 0x80000000, v1, v3
	v_cvt_i32_f32_e32 v1, v1
.LBB23_751:
	s_mov_b32 s50, 0
.LBB23_752:
	s_delay_alu instid0(SALU_CYCLE_1)
	s_and_not1_b32 vcc_lo, exec_lo, s50
	s_cbranch_vccnz .LBB23_754
; %bb.753:
	s_wait_loadcnt 0x0
	global_load_u8 v1, v[12:13], off
	s_wait_loadcnt 0x0
	v_lshlrev_b32_e32 v3, 25, v1
	v_lshlrev_b16 v1, 8, v1
	s_delay_alu instid0(VALU_DEP_1) | instskip(SKIP_1) | instid1(VALU_DEP_2)
	v_and_or_b32 v7, 0x7f00, v1, 0.5
	v_bfe_i32 v1, v1, 0, 16
	v_add_f32_e32 v7, -0.5, v7
	v_lshrrev_b32_e32 v5, 4, v3
	v_cmp_gt_u32_e32 vcc_lo, 0x8000000, v3
	s_delay_alu instid0(VALU_DEP_2) | instskip(NEXT) | instid1(VALU_DEP_1)
	v_or_b32_e32 v5, 0x70000000, v5
	v_mul_f32_e32 v5, 0x7800000, v5
	s_delay_alu instid0(VALU_DEP_1) | instskip(NEXT) | instid1(VALU_DEP_1)
	v_cndmask_b32_e32 v3, v5, v7, vcc_lo
	v_and_or_b32 v1, 0x80000000, v1, v3
	s_delay_alu instid0(VALU_DEP_1)
	v_cvt_i32_f32_e32 v1, v1
.LBB23_754:
	s_mov_b32 s51, 0
	s_mov_b32 s50, -1
.LBB23_755:
	s_and_not1_b32 vcc_lo, exec_lo, s51
	s_cbranch_vccnz .LBB23_768
; %bb.756:
	s_cmp_gt_i32 s35, 14
	s_cbranch_scc0 .LBB23_759
; %bb.757:
	s_cmp_eq_u32 s35, 15
	s_cbranch_scc0 .LBB23_762
; %bb.758:
	s_wait_loadcnt 0x0
	global_load_u16 v1, v[12:13], off
	s_mov_b32 s50, -1
	s_mov_b32 s86, 0
	s_wait_loadcnt 0x0
	v_lshlrev_b32_e32 v1, 16, v1
	s_delay_alu instid0(VALU_DEP_1)
	v_cvt_i32_f32_e32 v1, v1
	s_branch .LBB23_763
.LBB23_759:
	s_mov_b32 s51, -1
                                        ; implicit-def: $vgpr1
	s_branch .LBB23_764
.LBB23_760:
	s_and_not1_saveexec_b32 s50, s50
	s_cbranch_execz .LBB23_741
.LBB23_761:
	v_cmp_ne_u16_e32 vcc_lo, 0, v3
	s_and_not1_b32 s4, s51, exec_lo
	s_and_b32 s5, vcc_lo, exec_lo
	s_delay_alu instid0(SALU_CYCLE_1)
	s_or_b32 s51, s4, s5
	s_or_b32 exec_lo, exec_lo, s50
	v_mov_b32_e32 v1, 0
	s_and_saveexec_b32 s50, s51
	s_cbranch_execnz .LBB23_742
	s_branch .LBB23_743
.LBB23_762:
	s_mov_b32 s86, -1
                                        ; implicit-def: $vgpr1
.LBB23_763:
	s_mov_b32 s51, 0
.LBB23_764:
	s_delay_alu instid0(SALU_CYCLE_1)
	s_and_b32 vcc_lo, exec_lo, s51
	s_cbranch_vccz .LBB23_768
; %bb.765:
	s_cmp_eq_u32 s35, 11
	s_cbranch_scc0 .LBB23_767
; %bb.766:
	s_wait_loadcnt 0x0
	global_load_u8 v1, v[12:13], off
	s_mov_b32 s86, 0
	s_mov_b32 s50, -1
	s_wait_loadcnt 0x0
	v_cmp_ne_u16_e32 vcc_lo, 0, v1
	v_cndmask_b32_e64 v1, 0, 1, vcc_lo
	s_branch .LBB23_768
.LBB23_767:
	s_mov_b32 s86, -1
                                        ; implicit-def: $vgpr1
.LBB23_768:
	s_branch .LBB23_675
.LBB23_769:
	s_and_b32 s0, 0xffff, s0
	s_delay_alu instid0(SALU_CYCLE_1)
	s_cmp_lt_i32 s0, 5
	s_cbranch_scc1 .LBB23_774
; %bb.770:
	s_cmp_lt_i32 s0, 8
	s_cbranch_scc1 .LBB23_775
; %bb.771:
	;; [unrolled: 3-line block ×3, first 2 shown]
	s_cmp_gt_i32 s0, 9
	s_cbranch_scc0 .LBB23_777
; %bb.773:
	global_load_b64 v[14:15], v[12:13], off
	s_mov_b32 s35, 0
	s_wait_loadcnt 0x0
	v_cvt_i32_f64_e32 v1, v[14:15]
	s_branch .LBB23_778
.LBB23_774:
	s_mov_b32 s35, -1
                                        ; implicit-def: $vgpr1
	s_branch .LBB23_796
.LBB23_775:
	s_mov_b32 s35, -1
                                        ; implicit-def: $vgpr1
	s_branch .LBB23_784
.LBB23_776:
	s_mov_b32 s35, -1
                                        ; implicit-def: $vgpr1
	s_branch .LBB23_781
.LBB23_777:
	s_mov_b32 s35, -1
                                        ; implicit-def: $vgpr1
.LBB23_778:
	s_delay_alu instid0(SALU_CYCLE_1)
	s_and_not1_b32 vcc_lo, exec_lo, s35
	s_cbranch_vccnz .LBB23_780
; %bb.779:
	s_wait_loadcnt 0x0
	global_load_b32 v1, v[12:13], off
	s_wait_loadcnt 0x0
	v_cvt_i32_f32_e32 v1, v1
.LBB23_780:
	s_mov_b32 s35, 0
.LBB23_781:
	s_delay_alu instid0(SALU_CYCLE_1)
	s_and_not1_b32 vcc_lo, exec_lo, s35
	s_cbranch_vccnz .LBB23_783
; %bb.782:
	s_wait_loadcnt 0x0
	global_load_b32 v1, v[12:13], off
	s_wait_loadcnt 0x0
	v_cvt_f32_f16_e32 v1, v1
	s_delay_alu instid0(VALU_DEP_1)
	v_cvt_i32_f32_e32 v1, v1
.LBB23_783:
	s_mov_b32 s35, 0
.LBB23_784:
	s_delay_alu instid0(SALU_CYCLE_1)
	s_and_not1_b32 vcc_lo, exec_lo, s35
	s_cbranch_vccnz .LBB23_795
; %bb.785:
	s_cmp_lt_i32 s0, 6
	s_cbranch_scc1 .LBB23_788
; %bb.786:
	s_cmp_gt_i32 s0, 6
	s_cbranch_scc0 .LBB23_789
; %bb.787:
	global_load_b64 v[14:15], v[12:13], off
	s_mov_b32 s35, 0
	s_wait_loadcnt 0x0
	v_cvt_i32_f64_e32 v1, v[14:15]
	s_branch .LBB23_790
.LBB23_788:
	s_mov_b32 s35, -1
                                        ; implicit-def: $vgpr1
	s_branch .LBB23_793
.LBB23_789:
	s_mov_b32 s35, -1
                                        ; implicit-def: $vgpr1
.LBB23_790:
	s_delay_alu instid0(SALU_CYCLE_1)
	s_and_not1_b32 vcc_lo, exec_lo, s35
	s_cbranch_vccnz .LBB23_792
; %bb.791:
	s_wait_loadcnt 0x0
	global_load_b32 v1, v[12:13], off
	s_wait_loadcnt 0x0
	v_cvt_i32_f32_e32 v1, v1
.LBB23_792:
	s_mov_b32 s35, 0
.LBB23_793:
	s_delay_alu instid0(SALU_CYCLE_1)
	s_and_not1_b32 vcc_lo, exec_lo, s35
	s_cbranch_vccnz .LBB23_795
; %bb.794:
	s_wait_loadcnt 0x0
	global_load_u16 v1, v[12:13], off
	s_wait_loadcnt 0x0
	v_cvt_f32_f16_e32 v1, v1
	s_delay_alu instid0(VALU_DEP_1)
	v_cvt_i32_f32_e32 v1, v1
.LBB23_795:
	s_mov_b32 s35, 0
.LBB23_796:
	s_delay_alu instid0(SALU_CYCLE_1)
	s_and_not1_b32 vcc_lo, exec_lo, s35
	s_cbranch_vccnz .LBB23_816
; %bb.797:
	s_cmp_lt_i32 s0, 2
	s_cbranch_scc1 .LBB23_801
; %bb.798:
	s_cmp_lt_i32 s0, 3
	s_cbranch_scc1 .LBB23_802
; %bb.799:
	s_cmp_gt_i32 s0, 3
	s_cbranch_scc0 .LBB23_803
; %bb.800:
	s_wait_loadcnt 0x0
	global_load_b32 v1, v[12:13], off
	s_mov_b32 s35, 0
	s_branch .LBB23_804
.LBB23_801:
	s_mov_b32 s35, -1
                                        ; implicit-def: $vgpr1
	s_branch .LBB23_810
.LBB23_802:
	s_mov_b32 s35, -1
                                        ; implicit-def: $vgpr1
	s_branch .LBB23_807
.LBB23_803:
	s_mov_b32 s35, -1
                                        ; implicit-def: $vgpr1
.LBB23_804:
	s_delay_alu instid0(SALU_CYCLE_1)
	s_and_not1_b32 vcc_lo, exec_lo, s35
	s_cbranch_vccnz .LBB23_806
; %bb.805:
	s_wait_loadcnt 0x0
	global_load_b32 v1, v[12:13], off
.LBB23_806:
	s_mov_b32 s35, 0
.LBB23_807:
	s_delay_alu instid0(SALU_CYCLE_1)
	s_and_not1_b32 vcc_lo, exec_lo, s35
	s_cbranch_vccnz .LBB23_809
; %bb.808:
	s_wait_loadcnt 0x0
	global_load_i16 v1, v[12:13], off
.LBB23_809:
	s_mov_b32 s35, 0
.LBB23_810:
	s_delay_alu instid0(SALU_CYCLE_1)
	s_and_not1_b32 vcc_lo, exec_lo, s35
	s_cbranch_vccnz .LBB23_816
; %bb.811:
	s_cmp_gt_i32 s0, 0
	s_mov_b32 s0, 0
	s_cbranch_scc0 .LBB23_813
; %bb.812:
	s_wait_loadcnt 0x0
	global_load_i8 v1, v[12:13], off
	s_branch .LBB23_814
.LBB23_813:
	s_mov_b32 s0, -1
                                        ; implicit-def: $vgpr1
.LBB23_814:
	s_delay_alu instid0(SALU_CYCLE_1)
	s_and_not1_b32 vcc_lo, exec_lo, s0
	s_cbranch_vccnz .LBB23_816
; %bb.815:
	s_wait_loadcnt 0x0
	global_load_u8 v1, v[12:13], off
.LBB23_816:
	s_branch .LBB23_676
.LBB23_817:
	s_mov_b32 s0, 0
	s_mov_b32 s35, s60
	;; [unrolled: 1-line block ×10, first 2 shown]
	s_branch .LBB23_1324
.LBB23_818:
	s_mov_b32 s52, -1
	s_mov_b32 s50, 0
	s_mov_b32 s53, 0
	s_branch .LBB23_1914
.LBB23_819:
	s_mov_b32 s88, -1
	s_mov_b32 s50, 0
.LBB23_820:
                                        ; implicit-def: $vgpr3
.LBB23_821:
	s_and_b32 vcc_lo, exec_lo, s51
	s_cbranch_vccz .LBB23_825
; %bb.822:
	s_cmp_eq_u32 s35, 44
	s_cbranch_scc0 .LBB23_824
; %bb.823:
	global_load_u8 v3, v[10:11], off
	s_mov_b32 s88, 0
	s_mov_b32 s50, -1
	s_wait_loadcnt 0x0
	v_lshlrev_b32_e32 v5, 23, v3
	v_cmp_ne_u32_e32 vcc_lo, 0, v3
	s_delay_alu instid0(VALU_DEP_2) | instskip(NEXT) | instid1(VALU_DEP_1)
	v_cvt_i32_f32_e32 v5, v5
	v_cndmask_b32_e32 v3, 0, v5, vcc_lo
	s_branch .LBB23_825
.LBB23_824:
	s_mov_b32 s88, -1
                                        ; implicit-def: $vgpr3
.LBB23_825:
	s_mov_b32 s51, 0
.LBB23_826:
	s_delay_alu instid0(SALU_CYCLE_1)
	s_and_b32 vcc_lo, exec_lo, s51
	s_cbranch_vccz .LBB23_830
; %bb.827:
	s_cmp_eq_u32 s35, 29
	s_cbranch_scc0 .LBB23_829
; %bb.828:
	global_load_b32 v3, v[10:11], off
	s_mov_b32 s50, -1
	s_mov_b32 s88, 0
	s_branch .LBB23_830
.LBB23_829:
	s_mov_b32 s88, -1
                                        ; implicit-def: $vgpr3
.LBB23_830:
	s_mov_b32 s51, 0
.LBB23_831:
	s_delay_alu instid0(SALU_CYCLE_1)
	s_and_b32 vcc_lo, exec_lo, s51
	s_cbranch_vccz .LBB23_847
; %bb.832:
	s_cmp_lt_i32 s35, 27
	s_cbranch_scc1 .LBB23_835
; %bb.833:
	s_cmp_gt_i32 s35, 27
	s_cbranch_scc0 .LBB23_836
; %bb.834:
	s_wait_loadcnt 0x0
	global_load_b32 v3, v[10:11], off
	s_mov_b32 s50, 0
	s_branch .LBB23_837
.LBB23_835:
	s_mov_b32 s50, -1
                                        ; implicit-def: $vgpr3
	s_branch .LBB23_840
.LBB23_836:
	s_mov_b32 s50, -1
                                        ; implicit-def: $vgpr3
.LBB23_837:
	s_delay_alu instid0(SALU_CYCLE_1)
	s_and_not1_b32 vcc_lo, exec_lo, s50
	s_cbranch_vccnz .LBB23_839
; %bb.838:
	s_wait_loadcnt 0x0
	global_load_u16 v3, v[10:11], off
.LBB23_839:
	s_mov_b32 s50, 0
.LBB23_840:
	s_delay_alu instid0(SALU_CYCLE_1)
	s_and_not1_b32 vcc_lo, exec_lo, s50
	s_cbranch_vccnz .LBB23_846
; %bb.841:
	global_load_u8 v5, v[10:11], off
	s_mov_b32 s51, 0
	s_mov_b32 s4, exec_lo
	s_wait_loadcnt 0x0
	v_cmpx_lt_i16_e32 0x7f, v5
	s_xor_b32 s50, exec_lo, s4
	s_cbranch_execz .LBB23_858
; %bb.842:
	v_cmp_ne_u16_e32 vcc_lo, 0x80, v5
	s_and_b32 s51, vcc_lo, exec_lo
	s_and_not1_saveexec_b32 s50, s50
	s_cbranch_execnz .LBB23_859
.LBB23_843:
	s_or_b32 exec_lo, exec_lo, s50
	v_mov_b32_e32 v3, 0
	s_and_saveexec_b32 s50, s51
	s_cbranch_execz .LBB23_845
.LBB23_844:
	v_and_b32_e32 v3, 0xffff, v5
	s_delay_alu instid0(VALU_DEP_1) | instskip(SKIP_1) | instid1(VALU_DEP_2)
	v_and_b32_e32 v7, 7, v3
	v_bfe_u32 v13, v3, 3, 4
	v_clz_i32_u32_e32 v9, v7
	s_delay_alu instid0(VALU_DEP_2) | instskip(NEXT) | instid1(VALU_DEP_2)
	v_cmp_eq_u32_e32 vcc_lo, 0, v13
	v_min_u32_e32 v9, 32, v9
	s_delay_alu instid0(VALU_DEP_1) | instskip(NEXT) | instid1(VALU_DEP_1)
	v_subrev_nc_u32_e32 v12, 28, v9
	v_dual_lshlrev_b32 v3, v12, v3 :: v_dual_sub_nc_u32 v9, 29, v9
	s_delay_alu instid0(VALU_DEP_1) | instskip(NEXT) | instid1(VALU_DEP_1)
	v_dual_lshlrev_b32 v5, 24, v5 :: v_dual_bitop2_b32 v3, 7, v3 bitop3:0x40
	v_dual_cndmask_b32 v3, v7, v3, vcc_lo :: v_dual_cndmask_b32 v9, v13, v9, vcc_lo
	s_delay_alu instid0(VALU_DEP_2) | instskip(NEXT) | instid1(VALU_DEP_2)
	v_and_b32_e32 v5, 0x80000000, v5
	v_lshlrev_b32_e32 v3, 20, v3
	s_delay_alu instid0(VALU_DEP_3) | instskip(NEXT) | instid1(VALU_DEP_1)
	v_lshl_add_u32 v7, v9, 23, 0x3b800000
	v_or3_b32 v3, v5, v7, v3
	s_delay_alu instid0(VALU_DEP_1)
	v_cvt_i32_f32_e32 v3, v3
.LBB23_845:
	s_or_b32 exec_lo, exec_lo, s50
.LBB23_846:
	s_mov_b32 s50, -1
.LBB23_847:
	s_mov_b32 s51, 0
.LBB23_848:
	s_delay_alu instid0(SALU_CYCLE_1)
	s_and_b32 vcc_lo, exec_lo, s51
	s_cbranch_vccz .LBB23_881
; %bb.849:
	s_cmp_gt_i32 s35, 22
	s_cbranch_scc0 .LBB23_857
; %bb.850:
	s_cmp_lt_i32 s35, 24
	s_cbranch_scc1 .LBB23_860
; %bb.851:
	s_cmp_gt_i32 s35, 24
	s_cbranch_scc0 .LBB23_861
; %bb.852:
	global_load_u8 v5, v[10:11], off
	s_mov_b32 s51, 0
	s_mov_b32 s4, exec_lo
	s_wait_loadcnt 0x0
	v_cmpx_lt_i16_e32 0x7f, v5
	s_xor_b32 s50, exec_lo, s4
	s_cbranch_execz .LBB23_873
; %bb.853:
	v_cmp_ne_u16_e32 vcc_lo, 0x80, v5
	s_and_b32 s51, vcc_lo, exec_lo
	s_and_not1_saveexec_b32 s50, s50
	s_cbranch_execnz .LBB23_874
.LBB23_854:
	s_or_b32 exec_lo, exec_lo, s50
	v_mov_b32_e32 v3, 0
	s_and_saveexec_b32 s50, s51
	s_cbranch_execz .LBB23_856
.LBB23_855:
	v_and_b32_e32 v3, 0xffff, v5
	s_delay_alu instid0(VALU_DEP_1) | instskip(SKIP_1) | instid1(VALU_DEP_2)
	v_and_b32_e32 v7, 3, v3
	v_bfe_u32 v13, v3, 2, 5
	v_clz_i32_u32_e32 v9, v7
	s_delay_alu instid0(VALU_DEP_2) | instskip(NEXT) | instid1(VALU_DEP_2)
	v_cmp_eq_u32_e32 vcc_lo, 0, v13
	v_min_u32_e32 v9, 32, v9
	s_delay_alu instid0(VALU_DEP_1) | instskip(NEXT) | instid1(VALU_DEP_1)
	v_subrev_nc_u32_e32 v12, 29, v9
	v_dual_lshlrev_b32 v3, v12, v3 :: v_dual_sub_nc_u32 v9, 30, v9
	s_delay_alu instid0(VALU_DEP_1) | instskip(NEXT) | instid1(VALU_DEP_1)
	v_dual_lshlrev_b32 v5, 24, v5 :: v_dual_bitop2_b32 v3, 3, v3 bitop3:0x40
	v_dual_cndmask_b32 v3, v7, v3, vcc_lo :: v_dual_cndmask_b32 v9, v13, v9, vcc_lo
	s_delay_alu instid0(VALU_DEP_2) | instskip(NEXT) | instid1(VALU_DEP_2)
	v_and_b32_e32 v5, 0x80000000, v5
	v_lshlrev_b32_e32 v3, 21, v3
	s_delay_alu instid0(VALU_DEP_3) | instskip(NEXT) | instid1(VALU_DEP_1)
	v_lshl_add_u32 v7, v9, 23, 0x37800000
	v_or3_b32 v3, v5, v7, v3
	s_delay_alu instid0(VALU_DEP_1)
	v_cvt_i32_f32_e32 v3, v3
.LBB23_856:
	s_or_b32 exec_lo, exec_lo, s50
	s_mov_b32 s50, 0
	s_branch .LBB23_862
.LBB23_857:
	s_mov_b32 s51, -1
                                        ; implicit-def: $vgpr3
	s_branch .LBB23_868
.LBB23_858:
	s_and_not1_saveexec_b32 s50, s50
	s_cbranch_execz .LBB23_843
.LBB23_859:
	v_cmp_ne_u16_e32 vcc_lo, 0, v5
	s_and_not1_b32 s4, s51, exec_lo
	s_and_b32 s5, vcc_lo, exec_lo
	s_delay_alu instid0(SALU_CYCLE_1)
	s_or_b32 s51, s4, s5
	s_or_b32 exec_lo, exec_lo, s50
	v_mov_b32_e32 v3, 0
	s_and_saveexec_b32 s50, s51
	s_cbranch_execnz .LBB23_844
	s_branch .LBB23_845
.LBB23_860:
	s_mov_b32 s50, -1
                                        ; implicit-def: $vgpr3
	s_branch .LBB23_865
.LBB23_861:
	s_mov_b32 s50, -1
                                        ; implicit-def: $vgpr3
.LBB23_862:
	s_delay_alu instid0(SALU_CYCLE_1)
	s_and_b32 vcc_lo, exec_lo, s50
	s_cbranch_vccz .LBB23_864
; %bb.863:
	s_wait_loadcnt 0x0
	global_load_u8 v3, v[10:11], off
	s_wait_loadcnt 0x0
	v_lshlrev_b32_e32 v3, 24, v3
	s_delay_alu instid0(VALU_DEP_1) | instskip(NEXT) | instid1(VALU_DEP_1)
	v_and_b32_e32 v5, 0x7f000000, v3
	v_clz_i32_u32_e32 v7, v5
	v_cmp_ne_u32_e32 vcc_lo, 0, v5
	v_add_nc_u32_e32 v12, 0x1000000, v5
	s_delay_alu instid0(VALU_DEP_3) | instskip(NEXT) | instid1(VALU_DEP_1)
	v_min_u32_e32 v7, 32, v7
	v_sub_nc_u32_e64 v7, v7, 4 clamp
	s_delay_alu instid0(VALU_DEP_1) | instskip(NEXT) | instid1(VALU_DEP_1)
	v_dual_lshlrev_b32 v9, v7, v5 :: v_dual_lshlrev_b32 v7, 23, v7
	v_lshrrev_b32_e32 v9, 4, v9
	s_delay_alu instid0(VALU_DEP_1) | instskip(NEXT) | instid1(VALU_DEP_1)
	v_dual_sub_nc_u32 v7, v9, v7 :: v_dual_ashrrev_i32 v9, 8, v12
	v_add_nc_u32_e32 v7, 0x3c000000, v7
	s_delay_alu instid0(VALU_DEP_1) | instskip(NEXT) | instid1(VALU_DEP_1)
	v_and_or_b32 v7, 0x7f800000, v9, v7
	v_cndmask_b32_e32 v5, 0, v7, vcc_lo
	s_delay_alu instid0(VALU_DEP_1) | instskip(NEXT) | instid1(VALU_DEP_1)
	v_and_or_b32 v3, 0x80000000, v3, v5
	v_cvt_i32_f32_e32 v3, v3
.LBB23_864:
	s_mov_b32 s50, 0
.LBB23_865:
	s_delay_alu instid0(SALU_CYCLE_1)
	s_and_not1_b32 vcc_lo, exec_lo, s50
	s_cbranch_vccnz .LBB23_867
; %bb.866:
	s_wait_loadcnt 0x0
	global_load_u8 v3, v[10:11], off
	s_wait_loadcnt 0x0
	v_lshlrev_b32_e32 v5, 25, v3
	v_lshlrev_b16 v3, 8, v3
	s_delay_alu instid0(VALU_DEP_1) | instskip(SKIP_1) | instid1(VALU_DEP_2)
	v_and_or_b32 v9, 0x7f00, v3, 0.5
	v_bfe_i32 v3, v3, 0, 16
	v_add_f32_e32 v9, -0.5, v9
	v_lshrrev_b32_e32 v7, 4, v5
	v_cmp_gt_u32_e32 vcc_lo, 0x8000000, v5
	s_delay_alu instid0(VALU_DEP_2) | instskip(NEXT) | instid1(VALU_DEP_1)
	v_or_b32_e32 v7, 0x70000000, v7
	v_mul_f32_e32 v7, 0x7800000, v7
	s_delay_alu instid0(VALU_DEP_1) | instskip(NEXT) | instid1(VALU_DEP_1)
	v_cndmask_b32_e32 v5, v7, v9, vcc_lo
	v_and_or_b32 v3, 0x80000000, v3, v5
	s_delay_alu instid0(VALU_DEP_1)
	v_cvt_i32_f32_e32 v3, v3
.LBB23_867:
	s_mov_b32 s51, 0
	s_mov_b32 s50, -1
.LBB23_868:
	s_and_not1_b32 vcc_lo, exec_lo, s51
	s_cbranch_vccnz .LBB23_881
; %bb.869:
	s_cmp_gt_i32 s35, 14
	s_cbranch_scc0 .LBB23_872
; %bb.870:
	s_cmp_eq_u32 s35, 15
	s_cbranch_scc0 .LBB23_875
; %bb.871:
	s_wait_loadcnt 0x0
	global_load_u16 v3, v[10:11], off
	s_mov_b32 s50, -1
	s_mov_b32 s88, 0
	s_wait_loadcnt 0x0
	v_lshlrev_b32_e32 v3, 16, v3
	s_delay_alu instid0(VALU_DEP_1)
	v_cvt_i32_f32_e32 v3, v3
	s_branch .LBB23_876
.LBB23_872:
	s_mov_b32 s51, -1
                                        ; implicit-def: $vgpr3
	s_branch .LBB23_877
.LBB23_873:
	s_and_not1_saveexec_b32 s50, s50
	s_cbranch_execz .LBB23_854
.LBB23_874:
	v_cmp_ne_u16_e32 vcc_lo, 0, v5
	s_and_not1_b32 s4, s51, exec_lo
	s_and_b32 s5, vcc_lo, exec_lo
	s_delay_alu instid0(SALU_CYCLE_1)
	s_or_b32 s51, s4, s5
	s_or_b32 exec_lo, exec_lo, s50
	v_mov_b32_e32 v3, 0
	s_and_saveexec_b32 s50, s51
	s_cbranch_execnz .LBB23_855
	s_branch .LBB23_856
.LBB23_875:
	s_mov_b32 s88, -1
                                        ; implicit-def: $vgpr3
.LBB23_876:
	s_mov_b32 s51, 0
.LBB23_877:
	s_delay_alu instid0(SALU_CYCLE_1)
	s_and_b32 vcc_lo, exec_lo, s51
	s_cbranch_vccz .LBB23_881
; %bb.878:
	s_cmp_eq_u32 s35, 11
	s_cbranch_scc0 .LBB23_880
; %bb.879:
	s_wait_loadcnt 0x0
	global_load_u8 v3, v[10:11], off
	s_mov_b32 s88, 0
	s_mov_b32 s50, -1
	s_wait_loadcnt 0x0
	v_cmp_ne_u16_e32 vcc_lo, 0, v3
	v_cndmask_b32_e64 v3, 0, 1, vcc_lo
	s_branch .LBB23_881
.LBB23_880:
	s_mov_b32 s88, -1
                                        ; implicit-def: $vgpr3
.LBB23_881:
	s_mov_b32 s35, 0
.LBB23_882:
	s_delay_alu instid0(SALU_CYCLE_1)
	s_and_b32 vcc_lo, exec_lo, s35
	s_cbranch_vccz .LBB23_931
; %bb.883:
	s_and_b32 s0, 0xffff, s0
	s_delay_alu instid0(SALU_CYCLE_1)
	s_cmp_lt_i32 s0, 5
	s_cbranch_scc1 .LBB23_888
; %bb.884:
	s_cmp_lt_i32 s0, 8
	s_cbranch_scc1 .LBB23_889
; %bb.885:
	;; [unrolled: 3-line block ×3, first 2 shown]
	s_cmp_gt_i32 s0, 9
	s_cbranch_scc0 .LBB23_891
; %bb.887:
	global_load_b64 v[12:13], v[10:11], off
	s_mov_b32 s35, 0
	s_wait_loadcnt 0x0
	v_cvt_i32_f64_e32 v3, v[12:13]
	s_branch .LBB23_892
.LBB23_888:
	s_mov_b32 s35, -1
                                        ; implicit-def: $vgpr3
	s_branch .LBB23_910
.LBB23_889:
	s_mov_b32 s35, -1
                                        ; implicit-def: $vgpr3
	s_branch .LBB23_898
.LBB23_890:
	s_mov_b32 s35, -1
                                        ; implicit-def: $vgpr3
	s_branch .LBB23_895
.LBB23_891:
	s_mov_b32 s35, -1
                                        ; implicit-def: $vgpr3
.LBB23_892:
	s_delay_alu instid0(SALU_CYCLE_1)
	s_and_not1_b32 vcc_lo, exec_lo, s35
	s_cbranch_vccnz .LBB23_894
; %bb.893:
	s_wait_loadcnt 0x0
	global_load_b32 v3, v[10:11], off
	s_wait_loadcnt 0x0
	v_cvt_i32_f32_e32 v3, v3
.LBB23_894:
	s_mov_b32 s35, 0
.LBB23_895:
	s_delay_alu instid0(SALU_CYCLE_1)
	s_and_not1_b32 vcc_lo, exec_lo, s35
	s_cbranch_vccnz .LBB23_897
; %bb.896:
	s_wait_loadcnt 0x0
	global_load_b32 v3, v[10:11], off
	s_wait_loadcnt 0x0
	v_cvt_f32_f16_e32 v3, v3
	s_delay_alu instid0(VALU_DEP_1)
	v_cvt_i32_f32_e32 v3, v3
.LBB23_897:
	s_mov_b32 s35, 0
.LBB23_898:
	s_delay_alu instid0(SALU_CYCLE_1)
	s_and_not1_b32 vcc_lo, exec_lo, s35
	s_cbranch_vccnz .LBB23_909
; %bb.899:
	s_cmp_lt_i32 s0, 6
	s_cbranch_scc1 .LBB23_902
; %bb.900:
	s_cmp_gt_i32 s0, 6
	s_cbranch_scc0 .LBB23_903
; %bb.901:
	global_load_b64 v[12:13], v[10:11], off
	s_mov_b32 s35, 0
	s_wait_loadcnt 0x0
	v_cvt_i32_f64_e32 v3, v[12:13]
	s_branch .LBB23_904
.LBB23_902:
	s_mov_b32 s35, -1
                                        ; implicit-def: $vgpr3
	s_branch .LBB23_907
.LBB23_903:
	s_mov_b32 s35, -1
                                        ; implicit-def: $vgpr3
.LBB23_904:
	s_delay_alu instid0(SALU_CYCLE_1)
	s_and_not1_b32 vcc_lo, exec_lo, s35
	s_cbranch_vccnz .LBB23_906
; %bb.905:
	s_wait_loadcnt 0x0
	global_load_b32 v3, v[10:11], off
	s_wait_loadcnt 0x0
	v_cvt_i32_f32_e32 v3, v3
.LBB23_906:
	s_mov_b32 s35, 0
.LBB23_907:
	s_delay_alu instid0(SALU_CYCLE_1)
	s_and_not1_b32 vcc_lo, exec_lo, s35
	s_cbranch_vccnz .LBB23_909
; %bb.908:
	s_wait_loadcnt 0x0
	global_load_u16 v3, v[10:11], off
	s_wait_loadcnt 0x0
	v_cvt_f32_f16_e32 v3, v3
	s_delay_alu instid0(VALU_DEP_1)
	v_cvt_i32_f32_e32 v3, v3
.LBB23_909:
	s_mov_b32 s35, 0
.LBB23_910:
	s_delay_alu instid0(SALU_CYCLE_1)
	s_and_not1_b32 vcc_lo, exec_lo, s35
	s_cbranch_vccnz .LBB23_930
; %bb.911:
	s_cmp_lt_i32 s0, 2
	s_cbranch_scc1 .LBB23_915
; %bb.912:
	s_cmp_lt_i32 s0, 3
	s_cbranch_scc1 .LBB23_916
; %bb.913:
	s_cmp_gt_i32 s0, 3
	s_cbranch_scc0 .LBB23_917
; %bb.914:
	s_wait_loadcnt 0x0
	global_load_b32 v3, v[10:11], off
	s_mov_b32 s35, 0
	s_branch .LBB23_918
.LBB23_915:
	s_mov_b32 s35, -1
                                        ; implicit-def: $vgpr3
	s_branch .LBB23_924
.LBB23_916:
	s_mov_b32 s35, -1
                                        ; implicit-def: $vgpr3
	s_branch .LBB23_921
.LBB23_917:
	s_mov_b32 s35, -1
                                        ; implicit-def: $vgpr3
.LBB23_918:
	s_delay_alu instid0(SALU_CYCLE_1)
	s_and_not1_b32 vcc_lo, exec_lo, s35
	s_cbranch_vccnz .LBB23_920
; %bb.919:
	s_wait_loadcnt 0x0
	global_load_b32 v3, v[10:11], off
.LBB23_920:
	s_mov_b32 s35, 0
.LBB23_921:
	s_delay_alu instid0(SALU_CYCLE_1)
	s_and_not1_b32 vcc_lo, exec_lo, s35
	s_cbranch_vccnz .LBB23_923
; %bb.922:
	s_wait_loadcnt 0x0
	global_load_i16 v3, v[10:11], off
.LBB23_923:
	s_mov_b32 s35, 0
.LBB23_924:
	s_delay_alu instid0(SALU_CYCLE_1)
	s_and_not1_b32 vcc_lo, exec_lo, s35
	s_cbranch_vccnz .LBB23_930
; %bb.925:
	s_cmp_gt_i32 s0, 0
	s_mov_b32 s0, 0
	s_cbranch_scc0 .LBB23_927
; %bb.926:
	s_wait_loadcnt 0x0
	global_load_i8 v3, v[10:11], off
	s_branch .LBB23_928
.LBB23_927:
	s_mov_b32 s0, -1
                                        ; implicit-def: $vgpr3
.LBB23_928:
	s_delay_alu instid0(SALU_CYCLE_1)
	s_and_not1_b32 vcc_lo, exec_lo, s0
	s_cbranch_vccnz .LBB23_930
; %bb.929:
	s_wait_loadcnt 0x0
	global_load_u8 v3, v[10:11], off
.LBB23_930:
	s_mov_b32 s50, -1
.LBB23_931:
	s_delay_alu instid0(SALU_CYCLE_1)
	s_and_not1_b32 vcc_lo, exec_lo, s50
	s_cbranch_vccnz .LBB23_939
; %bb.932:
	s_load_b256 s[4:11], s[2:3], 0x248
	v_mov_b32_e32 v9, 0
	s_and_b32 s0, s44, 0xff
	s_delay_alu instid0(SALU_CYCLE_1) | instskip(SKIP_1) | instid1(VALU_DEP_1)
	s_cmp_lt_i32 s0, 11
	s_wait_kmcnt 0x0
	v_add_nc_u64_e32 v[10:11], s[10:11], v[8:9]
	s_cbranch_scc1 .LBB23_940
; %bb.933:
	s_and_b32 s35, 0xffff, s0
	s_delay_alu instid0(SALU_CYCLE_1)
	s_cmp_gt_i32 s35, 25
	s_cbranch_scc0 .LBB23_941
; %bb.934:
	s_cmp_gt_i32 s35, 28
	s_cbranch_scc0 .LBB23_942
; %bb.935:
	;; [unrolled: 3-line block ×4, first 2 shown]
	s_cmp_eq_u32 s35, 46
	s_mov_b32 s51, 0
	s_cbranch_scc0 .LBB23_946
; %bb.938:
	global_load_b32 v5, v[10:11], off
	s_mov_b32 s50, -1
	s_mov_b32 s87, 0
	s_wait_loadcnt 0x0
	v_lshlrev_b32_e32 v5, 16, v5
	s_delay_alu instid0(VALU_DEP_1)
	v_cvt_i32_f32_e32 v8, v5
	s_branch .LBB23_948
.LBB23_939:
	s_mov_b32 s0, 0
	s_mov_b32 s35, s60
	;; [unrolled: 1-line block ×9, first 2 shown]
	s_branch .LBB23_1324
.LBB23_940:
	s_mov_b32 s35, -1
	s_mov_b32 s50, 0
	s_mov_b32 s87, s82
                                        ; implicit-def: $vgpr8
	s_branch .LBB23_1009
.LBB23_941:
	s_mov_b32 s51, -1
	s_mov_b32 s50, 0
	s_mov_b32 s87, s82
                                        ; implicit-def: $vgpr8
	s_branch .LBB23_975
.LBB23_942:
	s_mov_b32 s51, -1
	s_mov_b32 s50, 0
	s_mov_b32 s87, s82
                                        ; implicit-def: $vgpr8
	s_branch .LBB23_958
.LBB23_943:
	s_mov_b32 s51, -1
	s_mov_b32 s50, 0
	s_mov_b32 s87, s82
                                        ; implicit-def: $vgpr8
	s_branch .LBB23_953
.LBB23_944:
	s_mov_b32 s51, -1
	s_mov_b32 s50, 0
	s_mov_b32 s87, s82
	s_branch .LBB23_947
.LBB23_945:
	s_mov_b32 s54, -1
	s_mov_b32 s50, 0
	s_mov_b32 s53, 0
	s_branch .LBB23_1894
.LBB23_946:
	s_mov_b32 s87, -1
	s_mov_b32 s50, 0
.LBB23_947:
                                        ; implicit-def: $vgpr8
.LBB23_948:
	s_and_b32 vcc_lo, exec_lo, s51
	s_cbranch_vccz .LBB23_952
; %bb.949:
	s_cmp_eq_u32 s35, 44
	s_cbranch_scc0 .LBB23_951
; %bb.950:
	global_load_u8 v5, v[10:11], off
	s_mov_b32 s87, 0
	s_mov_b32 s50, -1
	s_wait_loadcnt 0x0
	v_lshlrev_b32_e32 v7, 23, v5
	v_cmp_ne_u32_e32 vcc_lo, 0, v5
	s_delay_alu instid0(VALU_DEP_2) | instskip(NEXT) | instid1(VALU_DEP_1)
	v_cvt_i32_f32_e32 v7, v7
	v_cndmask_b32_e32 v8, 0, v7, vcc_lo
	s_branch .LBB23_952
.LBB23_951:
	s_mov_b32 s87, -1
                                        ; implicit-def: $vgpr8
.LBB23_952:
	s_mov_b32 s51, 0
.LBB23_953:
	s_delay_alu instid0(SALU_CYCLE_1)
	s_and_b32 vcc_lo, exec_lo, s51
	s_cbranch_vccz .LBB23_957
; %bb.954:
	s_cmp_eq_u32 s35, 29
	s_cbranch_scc0 .LBB23_956
; %bb.955:
	global_load_b32 v8, v[10:11], off
	s_mov_b32 s50, -1
	s_mov_b32 s87, 0
	s_branch .LBB23_957
.LBB23_956:
	s_mov_b32 s87, -1
                                        ; implicit-def: $vgpr8
.LBB23_957:
	s_mov_b32 s51, 0
.LBB23_958:
	s_delay_alu instid0(SALU_CYCLE_1)
	s_and_b32 vcc_lo, exec_lo, s51
	s_cbranch_vccz .LBB23_974
; %bb.959:
	s_cmp_lt_i32 s35, 27
	s_cbranch_scc1 .LBB23_962
; %bb.960:
	s_cmp_gt_i32 s35, 27
	s_cbranch_scc0 .LBB23_963
; %bb.961:
	s_wait_loadcnt 0x0
	global_load_b32 v8, v[10:11], off
	s_mov_b32 s50, 0
	s_branch .LBB23_964
.LBB23_962:
	s_mov_b32 s50, -1
                                        ; implicit-def: $vgpr8
	s_branch .LBB23_967
.LBB23_963:
	s_mov_b32 s50, -1
                                        ; implicit-def: $vgpr8
.LBB23_964:
	s_delay_alu instid0(SALU_CYCLE_1)
	s_and_not1_b32 vcc_lo, exec_lo, s50
	s_cbranch_vccnz .LBB23_966
; %bb.965:
	s_wait_loadcnt 0x0
	global_load_u16 v8, v[10:11], off
.LBB23_966:
	s_mov_b32 s50, 0
.LBB23_967:
	s_delay_alu instid0(SALU_CYCLE_1)
	s_and_not1_b32 vcc_lo, exec_lo, s50
	s_cbranch_vccnz .LBB23_973
; %bb.968:
	global_load_u8 v5, v[10:11], off
	s_mov_b32 s51, 0
	s_mov_b32 s4, exec_lo
	s_wait_loadcnt 0x0
	v_cmpx_lt_i16_e32 0x7f, v5
	s_xor_b32 s50, exec_lo, s4
	s_cbranch_execz .LBB23_985
; %bb.969:
	v_cmp_ne_u16_e32 vcc_lo, 0x80, v5
	s_and_b32 s51, vcc_lo, exec_lo
	s_and_not1_saveexec_b32 s50, s50
	s_cbranch_execnz .LBB23_986
.LBB23_970:
	s_or_b32 exec_lo, exec_lo, s50
	v_mov_b32_e32 v8, 0
	s_and_saveexec_b32 s50, s51
	s_cbranch_execz .LBB23_972
.LBB23_971:
	v_and_b32_e32 v7, 0xffff, v5
	s_delay_alu instid0(VALU_DEP_1) | instskip(SKIP_1) | instid1(VALU_DEP_2)
	v_and_b32_e32 v8, 7, v7
	v_bfe_u32 v13, v7, 3, 4
	v_clz_i32_u32_e32 v9, v8
	s_delay_alu instid0(VALU_DEP_2) | instskip(NEXT) | instid1(VALU_DEP_2)
	v_cmp_eq_u32_e32 vcc_lo, 0, v13
	v_min_u32_e32 v9, 32, v9
	s_delay_alu instid0(VALU_DEP_1) | instskip(NEXT) | instid1(VALU_DEP_1)
	v_subrev_nc_u32_e32 v12, 28, v9
	v_dual_lshlrev_b32 v7, v12, v7 :: v_dual_sub_nc_u32 v9, 29, v9
	s_delay_alu instid0(VALU_DEP_1) | instskip(NEXT) | instid1(VALU_DEP_1)
	v_dual_lshlrev_b32 v5, 24, v5 :: v_dual_bitop2_b32 v7, 7, v7 bitop3:0x40
	v_dual_cndmask_b32 v7, v8, v7, vcc_lo :: v_dual_cndmask_b32 v9, v13, v9, vcc_lo
	s_delay_alu instid0(VALU_DEP_2) | instskip(NEXT) | instid1(VALU_DEP_2)
	v_and_b32_e32 v5, 0x80000000, v5
	v_lshlrev_b32_e32 v7, 20, v7
	s_delay_alu instid0(VALU_DEP_3) | instskip(NEXT) | instid1(VALU_DEP_1)
	v_lshl_add_u32 v8, v9, 23, 0x3b800000
	v_or3_b32 v5, v5, v8, v7
	s_delay_alu instid0(VALU_DEP_1)
	v_cvt_i32_f32_e32 v8, v5
.LBB23_972:
	s_or_b32 exec_lo, exec_lo, s50
.LBB23_973:
	s_mov_b32 s50, -1
.LBB23_974:
	s_mov_b32 s51, 0
.LBB23_975:
	s_delay_alu instid0(SALU_CYCLE_1)
	s_and_b32 vcc_lo, exec_lo, s51
	s_cbranch_vccz .LBB23_1008
; %bb.976:
	s_cmp_gt_i32 s35, 22
	s_cbranch_scc0 .LBB23_984
; %bb.977:
	s_cmp_lt_i32 s35, 24
	s_cbranch_scc1 .LBB23_987
; %bb.978:
	s_cmp_gt_i32 s35, 24
	s_cbranch_scc0 .LBB23_988
; %bb.979:
	global_load_u8 v5, v[10:11], off
	s_mov_b32 s51, 0
	s_mov_b32 s4, exec_lo
	s_wait_loadcnt 0x0
	v_cmpx_lt_i16_e32 0x7f, v5
	s_xor_b32 s50, exec_lo, s4
	s_cbranch_execz .LBB23_1000
; %bb.980:
	v_cmp_ne_u16_e32 vcc_lo, 0x80, v5
	s_and_b32 s51, vcc_lo, exec_lo
	s_and_not1_saveexec_b32 s50, s50
	s_cbranch_execnz .LBB23_1001
.LBB23_981:
	s_or_b32 exec_lo, exec_lo, s50
	v_mov_b32_e32 v8, 0
	s_and_saveexec_b32 s50, s51
	s_cbranch_execz .LBB23_983
.LBB23_982:
	v_and_b32_e32 v7, 0xffff, v5
	s_delay_alu instid0(VALU_DEP_1) | instskip(SKIP_1) | instid1(VALU_DEP_2)
	v_and_b32_e32 v8, 3, v7
	v_bfe_u32 v13, v7, 2, 5
	v_clz_i32_u32_e32 v9, v8
	s_delay_alu instid0(VALU_DEP_2) | instskip(NEXT) | instid1(VALU_DEP_2)
	v_cmp_eq_u32_e32 vcc_lo, 0, v13
	v_min_u32_e32 v9, 32, v9
	s_delay_alu instid0(VALU_DEP_1) | instskip(NEXT) | instid1(VALU_DEP_1)
	v_subrev_nc_u32_e32 v12, 29, v9
	v_dual_lshlrev_b32 v7, v12, v7 :: v_dual_sub_nc_u32 v9, 30, v9
	s_delay_alu instid0(VALU_DEP_1) | instskip(NEXT) | instid1(VALU_DEP_1)
	v_dual_lshlrev_b32 v5, 24, v5 :: v_dual_bitop2_b32 v7, 3, v7 bitop3:0x40
	v_dual_cndmask_b32 v7, v8, v7, vcc_lo :: v_dual_cndmask_b32 v9, v13, v9, vcc_lo
	s_delay_alu instid0(VALU_DEP_2) | instskip(NEXT) | instid1(VALU_DEP_2)
	v_and_b32_e32 v5, 0x80000000, v5
	v_lshlrev_b32_e32 v7, 21, v7
	s_delay_alu instid0(VALU_DEP_3) | instskip(NEXT) | instid1(VALU_DEP_1)
	v_lshl_add_u32 v8, v9, 23, 0x37800000
	v_or3_b32 v5, v5, v8, v7
	s_delay_alu instid0(VALU_DEP_1)
	v_cvt_i32_f32_e32 v8, v5
.LBB23_983:
	s_or_b32 exec_lo, exec_lo, s50
	s_mov_b32 s50, 0
	s_branch .LBB23_989
.LBB23_984:
	s_mov_b32 s51, -1
                                        ; implicit-def: $vgpr8
	s_branch .LBB23_995
.LBB23_985:
	s_and_not1_saveexec_b32 s50, s50
	s_cbranch_execz .LBB23_970
.LBB23_986:
	v_cmp_ne_u16_e32 vcc_lo, 0, v5
	s_and_not1_b32 s4, s51, exec_lo
	s_and_b32 s5, vcc_lo, exec_lo
	s_delay_alu instid0(SALU_CYCLE_1)
	s_or_b32 s51, s4, s5
	s_or_b32 exec_lo, exec_lo, s50
	v_mov_b32_e32 v8, 0
	s_and_saveexec_b32 s50, s51
	s_cbranch_execnz .LBB23_971
	s_branch .LBB23_972
.LBB23_987:
	s_mov_b32 s50, -1
                                        ; implicit-def: $vgpr8
	s_branch .LBB23_992
.LBB23_988:
	s_mov_b32 s50, -1
                                        ; implicit-def: $vgpr8
.LBB23_989:
	s_delay_alu instid0(SALU_CYCLE_1)
	s_and_b32 vcc_lo, exec_lo, s50
	s_cbranch_vccz .LBB23_991
; %bb.990:
	global_load_u8 v5, v[10:11], off
	s_wait_loadcnt 0x0
	v_lshlrev_b32_e32 v5, 24, v5
	s_delay_alu instid0(VALU_DEP_1) | instskip(NEXT) | instid1(VALU_DEP_1)
	v_and_b32_e32 v7, 0x7f000000, v5
	v_clz_i32_u32_e32 v8, v7
	v_cmp_ne_u32_e32 vcc_lo, 0, v7
	v_add_nc_u32_e32 v12, 0x1000000, v7
	s_delay_alu instid0(VALU_DEP_3) | instskip(NEXT) | instid1(VALU_DEP_1)
	v_min_u32_e32 v8, 32, v8
	v_sub_nc_u32_e64 v8, v8, 4 clamp
	s_delay_alu instid0(VALU_DEP_1) | instskip(NEXT) | instid1(VALU_DEP_1)
	v_dual_lshlrev_b32 v9, v8, v7 :: v_dual_lshlrev_b32 v8, 23, v8
	v_lshrrev_b32_e32 v9, 4, v9
	s_delay_alu instid0(VALU_DEP_1) | instskip(SKIP_1) | instid1(VALU_DEP_2)
	v_sub_nc_u32_e32 v8, v9, v8
	v_ashrrev_i32_e32 v9, 8, v12
	v_add_nc_u32_e32 v8, 0x3c000000, v8
	s_delay_alu instid0(VALU_DEP_1) | instskip(NEXT) | instid1(VALU_DEP_1)
	v_and_or_b32 v8, 0x7f800000, v9, v8
	v_cndmask_b32_e32 v7, 0, v8, vcc_lo
	s_delay_alu instid0(VALU_DEP_1) | instskip(NEXT) | instid1(VALU_DEP_1)
	v_and_or_b32 v5, 0x80000000, v5, v7
	v_cvt_i32_f32_e32 v8, v5
.LBB23_991:
	s_mov_b32 s50, 0
.LBB23_992:
	s_delay_alu instid0(SALU_CYCLE_1)
	s_and_not1_b32 vcc_lo, exec_lo, s50
	s_cbranch_vccnz .LBB23_994
; %bb.993:
	global_load_u8 v5, v[10:11], off
	s_wait_loadcnt 0x0
	v_lshlrev_b32_e32 v7, 25, v5
	v_lshlrev_b16 v5, 8, v5
	s_delay_alu instid0(VALU_DEP_1) | instskip(NEXT) | instid1(VALU_DEP_3)
	v_and_or_b32 v9, 0x7f00, v5, 0.5
	v_lshrrev_b32_e32 v8, 4, v7
	v_bfe_i32 v5, v5, 0, 16
	s_delay_alu instid0(VALU_DEP_3) | instskip(NEXT) | instid1(VALU_DEP_3)
	v_add_f32_e32 v9, -0.5, v9
	v_or_b32_e32 v8, 0x70000000, v8
	s_delay_alu instid0(VALU_DEP_1) | instskip(SKIP_1) | instid1(VALU_DEP_2)
	v_mul_f32_e32 v8, 0x7800000, v8
	v_cmp_gt_u32_e32 vcc_lo, 0x8000000, v7
	v_cndmask_b32_e32 v7, v8, v9, vcc_lo
	s_delay_alu instid0(VALU_DEP_1) | instskip(NEXT) | instid1(VALU_DEP_1)
	v_and_or_b32 v5, 0x80000000, v5, v7
	v_cvt_i32_f32_e32 v8, v5
.LBB23_994:
	s_mov_b32 s51, 0
	s_mov_b32 s50, -1
.LBB23_995:
	s_and_not1_b32 vcc_lo, exec_lo, s51
	s_cbranch_vccnz .LBB23_1008
; %bb.996:
	s_cmp_gt_i32 s35, 14
	s_cbranch_scc0 .LBB23_999
; %bb.997:
	s_cmp_eq_u32 s35, 15
	s_cbranch_scc0 .LBB23_1002
; %bb.998:
	global_load_u16 v5, v[10:11], off
	s_mov_b32 s50, -1
	s_mov_b32 s87, 0
	s_wait_loadcnt 0x0
	v_lshlrev_b32_e32 v5, 16, v5
	s_delay_alu instid0(VALU_DEP_1)
	v_cvt_i32_f32_e32 v8, v5
	s_branch .LBB23_1003
.LBB23_999:
	s_mov_b32 s51, -1
                                        ; implicit-def: $vgpr8
	s_branch .LBB23_1004
.LBB23_1000:
	s_and_not1_saveexec_b32 s50, s50
	s_cbranch_execz .LBB23_981
.LBB23_1001:
	v_cmp_ne_u16_e32 vcc_lo, 0, v5
	s_and_not1_b32 s4, s51, exec_lo
	s_and_b32 s5, vcc_lo, exec_lo
	s_delay_alu instid0(SALU_CYCLE_1)
	s_or_b32 s51, s4, s5
	s_or_b32 exec_lo, exec_lo, s50
	v_mov_b32_e32 v8, 0
	s_and_saveexec_b32 s50, s51
	s_cbranch_execnz .LBB23_982
	s_branch .LBB23_983
.LBB23_1002:
	s_mov_b32 s87, -1
                                        ; implicit-def: $vgpr8
.LBB23_1003:
	s_mov_b32 s51, 0
.LBB23_1004:
	s_delay_alu instid0(SALU_CYCLE_1)
	s_and_b32 vcc_lo, exec_lo, s51
	s_cbranch_vccz .LBB23_1008
; %bb.1005:
	s_cmp_eq_u32 s35, 11
	s_cbranch_scc0 .LBB23_1007
; %bb.1006:
	global_load_u8 v5, v[10:11], off
	s_mov_b32 s87, 0
	s_mov_b32 s50, -1
	s_wait_loadcnt 0x0
	v_cmp_ne_u16_e32 vcc_lo, 0, v5
	v_cndmask_b32_e64 v8, 0, 1, vcc_lo
	s_branch .LBB23_1008
.LBB23_1007:
	s_mov_b32 s87, -1
                                        ; implicit-def: $vgpr8
.LBB23_1008:
	s_mov_b32 s35, 0
.LBB23_1009:
	s_delay_alu instid0(SALU_CYCLE_1)
	s_and_b32 vcc_lo, exec_lo, s35
	s_cbranch_vccz .LBB23_1058
; %bb.1010:
	s_and_b32 s0, 0xffff, s0
	s_delay_alu instid0(SALU_CYCLE_1)
	s_cmp_lt_i32 s0, 5
	s_cbranch_scc1 .LBB23_1015
; %bb.1011:
	s_cmp_lt_i32 s0, 8
	s_cbranch_scc1 .LBB23_1016
; %bb.1012:
	;; [unrolled: 3-line block ×3, first 2 shown]
	s_cmp_gt_i32 s0, 9
	s_cbranch_scc0 .LBB23_1018
; %bb.1014:
	s_wait_loadcnt 0x0
	global_load_b64 v[8:9], v[10:11], off
	s_mov_b32 s35, 0
	s_wait_loadcnt 0x0
	v_cvt_i32_f64_e32 v8, v[8:9]
	s_branch .LBB23_1019
.LBB23_1015:
	s_mov_b32 s35, -1
                                        ; implicit-def: $vgpr8
	s_branch .LBB23_1037
.LBB23_1016:
	s_mov_b32 s35, -1
                                        ; implicit-def: $vgpr8
	s_branch .LBB23_1025
.LBB23_1017:
	s_mov_b32 s35, -1
                                        ; implicit-def: $vgpr8
	s_branch .LBB23_1022
.LBB23_1018:
	s_mov_b32 s35, -1
                                        ; implicit-def: $vgpr8
.LBB23_1019:
	s_delay_alu instid0(SALU_CYCLE_1)
	s_and_not1_b32 vcc_lo, exec_lo, s35
	s_cbranch_vccnz .LBB23_1021
; %bb.1020:
	global_load_b32 v5, v[10:11], off
	s_wait_loadcnt 0x0
	v_cvt_i32_f32_e32 v8, v5
.LBB23_1021:
	s_mov_b32 s35, 0
.LBB23_1022:
	s_delay_alu instid0(SALU_CYCLE_1)
	s_and_not1_b32 vcc_lo, exec_lo, s35
	s_cbranch_vccnz .LBB23_1024
; %bb.1023:
	global_load_b32 v5, v[10:11], off
	s_wait_loadcnt 0x0
	v_cvt_f32_f16_e32 v5, v5
	s_delay_alu instid0(VALU_DEP_1)
	v_cvt_i32_f32_e32 v8, v5
.LBB23_1024:
	s_mov_b32 s35, 0
.LBB23_1025:
	s_delay_alu instid0(SALU_CYCLE_1)
	s_and_not1_b32 vcc_lo, exec_lo, s35
	s_cbranch_vccnz .LBB23_1036
; %bb.1026:
	s_cmp_lt_i32 s0, 6
	s_cbranch_scc1 .LBB23_1029
; %bb.1027:
	s_cmp_gt_i32 s0, 6
	s_cbranch_scc0 .LBB23_1030
; %bb.1028:
	s_wait_loadcnt 0x0
	global_load_b64 v[8:9], v[10:11], off
	s_mov_b32 s35, 0
	s_wait_loadcnt 0x0
	v_cvt_i32_f64_e32 v8, v[8:9]
	s_branch .LBB23_1031
.LBB23_1029:
	s_mov_b32 s35, -1
                                        ; implicit-def: $vgpr8
	s_branch .LBB23_1034
.LBB23_1030:
	s_mov_b32 s35, -1
                                        ; implicit-def: $vgpr8
.LBB23_1031:
	s_delay_alu instid0(SALU_CYCLE_1)
	s_and_not1_b32 vcc_lo, exec_lo, s35
	s_cbranch_vccnz .LBB23_1033
; %bb.1032:
	global_load_b32 v5, v[10:11], off
	s_wait_loadcnt 0x0
	v_cvt_i32_f32_e32 v8, v5
.LBB23_1033:
	s_mov_b32 s35, 0
.LBB23_1034:
	s_delay_alu instid0(SALU_CYCLE_1)
	s_and_not1_b32 vcc_lo, exec_lo, s35
	s_cbranch_vccnz .LBB23_1036
; %bb.1035:
	global_load_u16 v5, v[10:11], off
	s_wait_loadcnt 0x0
	v_cvt_f32_f16_e32 v5, v5
	s_delay_alu instid0(VALU_DEP_1)
	v_cvt_i32_f32_e32 v8, v5
.LBB23_1036:
	s_mov_b32 s35, 0
.LBB23_1037:
	s_delay_alu instid0(SALU_CYCLE_1)
	s_and_not1_b32 vcc_lo, exec_lo, s35
	s_cbranch_vccnz .LBB23_1057
; %bb.1038:
	s_cmp_lt_i32 s0, 2
	s_cbranch_scc1 .LBB23_1042
; %bb.1039:
	s_cmp_lt_i32 s0, 3
	s_cbranch_scc1 .LBB23_1043
; %bb.1040:
	s_cmp_gt_i32 s0, 3
	s_cbranch_scc0 .LBB23_1044
; %bb.1041:
	s_wait_loadcnt 0x0
	global_load_b32 v8, v[10:11], off
	s_mov_b32 s35, 0
	s_branch .LBB23_1045
.LBB23_1042:
	s_mov_b32 s35, -1
                                        ; implicit-def: $vgpr8
	s_branch .LBB23_1051
.LBB23_1043:
	s_mov_b32 s35, -1
                                        ; implicit-def: $vgpr8
	s_branch .LBB23_1048
.LBB23_1044:
	s_mov_b32 s35, -1
                                        ; implicit-def: $vgpr8
.LBB23_1045:
	s_delay_alu instid0(SALU_CYCLE_1)
	s_and_not1_b32 vcc_lo, exec_lo, s35
	s_cbranch_vccnz .LBB23_1047
; %bb.1046:
	s_wait_loadcnt 0x0
	global_load_b32 v8, v[10:11], off
.LBB23_1047:
	s_mov_b32 s35, 0
.LBB23_1048:
	s_delay_alu instid0(SALU_CYCLE_1)
	s_and_not1_b32 vcc_lo, exec_lo, s35
	s_cbranch_vccnz .LBB23_1050
; %bb.1049:
	s_wait_loadcnt 0x0
	global_load_i16 v8, v[10:11], off
.LBB23_1050:
	s_mov_b32 s35, 0
.LBB23_1051:
	s_delay_alu instid0(SALU_CYCLE_1)
	s_and_not1_b32 vcc_lo, exec_lo, s35
	s_cbranch_vccnz .LBB23_1057
; %bb.1052:
	s_cmp_gt_i32 s0, 0
	s_mov_b32 s0, 0
	s_cbranch_scc0 .LBB23_1054
; %bb.1053:
	s_wait_loadcnt 0x0
	global_load_i8 v8, v[10:11], off
	s_branch .LBB23_1055
.LBB23_1054:
	s_mov_b32 s0, -1
                                        ; implicit-def: $vgpr8
.LBB23_1055:
	s_delay_alu instid0(SALU_CYCLE_1)
	s_and_not1_b32 vcc_lo, exec_lo, s0
	s_cbranch_vccnz .LBB23_1057
; %bb.1056:
	s_wait_loadcnt 0x0
	global_load_u8 v8, v[10:11], off
.LBB23_1057:
	s_mov_b32 s50, -1
.LBB23_1058:
	s_delay_alu instid0(SALU_CYCLE_1)
	s_and_not1_b32 vcc_lo, exec_lo, s50
	s_cbranch_vccnz .LBB23_1066
; %bb.1059:
	v_mov_b32_e32 v7, 0
	s_and_b32 s0, s23, 0xff
	s_delay_alu instid0(SALU_CYCLE_1) | instskip(SKIP_1) | instid1(VALU_DEP_1)
	s_cmp_lt_i32 s0, 11
	s_wait_xcnt 0x0
	v_add_nc_u64_e32 v[10:11], s[28:29], v[6:7]
	s_cbranch_scc1 .LBB23_1067
; %bb.1060:
	s_and_b32 s35, 0xffff, s0
	s_delay_alu instid0(SALU_CYCLE_1)
	s_cmp_gt_i32 s35, 25
	s_cbranch_scc0 .LBB23_1068
; %bb.1061:
	s_cmp_gt_i32 s35, 28
	s_cbranch_scc0 .LBB23_1069
; %bb.1062:
	;; [unrolled: 3-line block ×4, first 2 shown]
	s_cmp_eq_u32 s35, 46
	s_mov_b32 s51, 0
	s_cbranch_scc0 .LBB23_1073
; %bb.1065:
	global_load_b32 v5, v[10:11], off
	s_mov_b32 s50, -1
	s_mov_b32 s90, 0
	s_wait_loadcnt 0x0
	v_lshlrev_b32_e32 v5, 16, v5
	s_delay_alu instid0(VALU_DEP_1)
	v_cvt_i32_f32_e32 v6, v5
	s_branch .LBB23_1075
.LBB23_1066:
	s_mov_b32 s0, 0
	s_mov_b32 s35, s60
	;; [unrolled: 1-line block ×8, first 2 shown]
	s_branch .LBB23_1324
.LBB23_1067:
	s_mov_b32 s35, -1
	s_mov_b32 s50, 0
	s_mov_b32 s90, s81
                                        ; implicit-def: $vgpr6
	s_branch .LBB23_1136
.LBB23_1068:
	s_mov_b32 s51, -1
	s_mov_b32 s50, 0
	s_mov_b32 s90, s81
                                        ; implicit-def: $vgpr6
	s_branch .LBB23_1102
.LBB23_1069:
	s_mov_b32 s51, -1
	s_mov_b32 s50, 0
	s_mov_b32 s90, s81
                                        ; implicit-def: $vgpr6
	s_branch .LBB23_1085
.LBB23_1070:
	s_mov_b32 s51, -1
	s_mov_b32 s50, 0
	s_mov_b32 s90, s81
                                        ; implicit-def: $vgpr6
	s_branch .LBB23_1080
.LBB23_1071:
	s_mov_b32 s51, -1
	s_mov_b32 s50, 0
	s_mov_b32 s90, s81
	s_branch .LBB23_1074
.LBB23_1072:
	s_mov_b32 s54, -1
	s_mov_b32 s50, 0
	s_mov_b32 s53, 0
	s_branch .LBB23_1883
.LBB23_1073:
	s_mov_b32 s90, -1
	s_mov_b32 s50, 0
.LBB23_1074:
                                        ; implicit-def: $vgpr6
.LBB23_1075:
	s_and_b32 vcc_lo, exec_lo, s51
	s_cbranch_vccz .LBB23_1079
; %bb.1076:
	s_cmp_eq_u32 s35, 44
	s_cbranch_scc0 .LBB23_1078
; %bb.1077:
	global_load_u8 v5, v[10:11], off
	s_mov_b32 s90, 0
	s_mov_b32 s50, -1
	s_wait_loadcnt 0x0
	v_lshlrev_b32_e32 v6, 23, v5
	v_cmp_ne_u32_e32 vcc_lo, 0, v5
	s_delay_alu instid0(VALU_DEP_2) | instskip(NEXT) | instid1(VALU_DEP_1)
	v_cvt_i32_f32_e32 v6, v6
	v_cndmask_b32_e32 v6, 0, v6, vcc_lo
	s_branch .LBB23_1079
.LBB23_1078:
	s_mov_b32 s90, -1
                                        ; implicit-def: $vgpr6
.LBB23_1079:
	s_mov_b32 s51, 0
.LBB23_1080:
	s_delay_alu instid0(SALU_CYCLE_1)
	s_and_b32 vcc_lo, exec_lo, s51
	s_cbranch_vccz .LBB23_1084
; %bb.1081:
	s_cmp_eq_u32 s35, 29
	s_cbranch_scc0 .LBB23_1083
; %bb.1082:
	global_load_b32 v6, v[10:11], off
	s_mov_b32 s50, -1
	s_mov_b32 s90, 0
	s_branch .LBB23_1084
.LBB23_1083:
	s_mov_b32 s90, -1
                                        ; implicit-def: $vgpr6
.LBB23_1084:
	s_mov_b32 s51, 0
.LBB23_1085:
	s_delay_alu instid0(SALU_CYCLE_1)
	s_and_b32 vcc_lo, exec_lo, s51
	s_cbranch_vccz .LBB23_1101
; %bb.1086:
	s_cmp_lt_i32 s35, 27
	s_cbranch_scc1 .LBB23_1089
; %bb.1087:
	s_cmp_gt_i32 s35, 27
	s_cbranch_scc0 .LBB23_1090
; %bb.1088:
	s_wait_loadcnt 0x0
	global_load_b32 v6, v[10:11], off
	s_mov_b32 s50, 0
	s_branch .LBB23_1091
.LBB23_1089:
	s_mov_b32 s50, -1
                                        ; implicit-def: $vgpr6
	s_branch .LBB23_1094
.LBB23_1090:
	s_mov_b32 s50, -1
                                        ; implicit-def: $vgpr6
.LBB23_1091:
	s_delay_alu instid0(SALU_CYCLE_1)
	s_and_not1_b32 vcc_lo, exec_lo, s50
	s_cbranch_vccnz .LBB23_1093
; %bb.1092:
	s_wait_loadcnt 0x0
	global_load_u16 v6, v[10:11], off
.LBB23_1093:
	s_mov_b32 s50, 0
.LBB23_1094:
	s_delay_alu instid0(SALU_CYCLE_1)
	s_and_not1_b32 vcc_lo, exec_lo, s50
	s_cbranch_vccnz .LBB23_1100
; %bb.1095:
	global_load_u8 v5, v[10:11], off
	s_mov_b32 s51, 0
	s_mov_b32 s4, exec_lo
	s_wait_loadcnt 0x0
	v_cmpx_lt_i16_e32 0x7f, v5
	s_xor_b32 s50, exec_lo, s4
	s_cbranch_execz .LBB23_1112
; %bb.1096:
	v_cmp_ne_u16_e32 vcc_lo, 0x80, v5
	s_and_b32 s51, vcc_lo, exec_lo
	s_and_not1_saveexec_b32 s50, s50
	s_cbranch_execnz .LBB23_1113
.LBB23_1097:
	s_or_b32 exec_lo, exec_lo, s50
	v_mov_b32_e32 v6, 0
	s_and_saveexec_b32 s50, s51
	s_cbranch_execz .LBB23_1099
.LBB23_1098:
	v_and_b32_e32 v6, 0xffff, v5
	s_delay_alu instid0(VALU_DEP_1) | instskip(SKIP_1) | instid1(VALU_DEP_2)
	v_and_b32_e32 v7, 7, v6
	v_bfe_u32 v13, v6, 3, 4
	v_clz_i32_u32_e32 v9, v7
	s_delay_alu instid0(VALU_DEP_2) | instskip(NEXT) | instid1(VALU_DEP_2)
	v_cmp_eq_u32_e32 vcc_lo, 0, v13
	v_min_u32_e32 v9, 32, v9
	s_delay_alu instid0(VALU_DEP_1) | instskip(NEXT) | instid1(VALU_DEP_1)
	v_subrev_nc_u32_e32 v12, 28, v9
	v_dual_lshlrev_b32 v6, v12, v6 :: v_dual_sub_nc_u32 v9, 29, v9
	s_delay_alu instid0(VALU_DEP_1) | instskip(NEXT) | instid1(VALU_DEP_1)
	v_dual_lshlrev_b32 v5, 24, v5 :: v_dual_bitop2_b32 v6, 7, v6 bitop3:0x40
	v_dual_cndmask_b32 v6, v7, v6 :: v_dual_cndmask_b32 v9, v13, v9
	s_delay_alu instid0(VALU_DEP_2) | instskip(NEXT) | instid1(VALU_DEP_2)
	v_and_b32_e32 v5, 0x80000000, v5
	v_lshlrev_b32_e32 v6, 20, v6
	s_delay_alu instid0(VALU_DEP_3) | instskip(NEXT) | instid1(VALU_DEP_1)
	v_lshl_add_u32 v7, v9, 23, 0x3b800000
	v_or3_b32 v5, v5, v7, v6
	s_delay_alu instid0(VALU_DEP_1)
	v_cvt_i32_f32_e32 v6, v5
.LBB23_1099:
	s_or_b32 exec_lo, exec_lo, s50
.LBB23_1100:
	s_mov_b32 s50, -1
.LBB23_1101:
	s_mov_b32 s51, 0
.LBB23_1102:
	s_delay_alu instid0(SALU_CYCLE_1)
	s_and_b32 vcc_lo, exec_lo, s51
	s_cbranch_vccz .LBB23_1135
; %bb.1103:
	s_cmp_gt_i32 s35, 22
	s_cbranch_scc0 .LBB23_1111
; %bb.1104:
	s_cmp_lt_i32 s35, 24
	s_cbranch_scc1 .LBB23_1114
; %bb.1105:
	s_cmp_gt_i32 s35, 24
	s_cbranch_scc0 .LBB23_1115
; %bb.1106:
	global_load_u8 v5, v[10:11], off
	s_mov_b32 s51, 0
	s_mov_b32 s4, exec_lo
	s_wait_loadcnt 0x0
	v_cmpx_lt_i16_e32 0x7f, v5
	s_xor_b32 s50, exec_lo, s4
	s_cbranch_execz .LBB23_1127
; %bb.1107:
	v_cmp_ne_u16_e32 vcc_lo, 0x80, v5
	s_and_b32 s51, vcc_lo, exec_lo
	s_and_not1_saveexec_b32 s50, s50
	s_cbranch_execnz .LBB23_1128
.LBB23_1108:
	s_or_b32 exec_lo, exec_lo, s50
	v_mov_b32_e32 v6, 0
	s_and_saveexec_b32 s50, s51
	s_cbranch_execz .LBB23_1110
.LBB23_1109:
	v_and_b32_e32 v6, 0xffff, v5
	s_delay_alu instid0(VALU_DEP_1) | instskip(SKIP_1) | instid1(VALU_DEP_2)
	v_and_b32_e32 v7, 3, v6
	v_bfe_u32 v13, v6, 2, 5
	v_clz_i32_u32_e32 v9, v7
	s_delay_alu instid0(VALU_DEP_2) | instskip(NEXT) | instid1(VALU_DEP_2)
	v_cmp_eq_u32_e32 vcc_lo, 0, v13
	v_min_u32_e32 v9, 32, v9
	s_delay_alu instid0(VALU_DEP_1) | instskip(NEXT) | instid1(VALU_DEP_1)
	v_subrev_nc_u32_e32 v12, 29, v9
	v_dual_lshlrev_b32 v6, v12, v6 :: v_dual_sub_nc_u32 v9, 30, v9
	s_delay_alu instid0(VALU_DEP_1) | instskip(NEXT) | instid1(VALU_DEP_1)
	v_dual_lshlrev_b32 v5, 24, v5 :: v_dual_bitop2_b32 v6, 3, v6 bitop3:0x40
	v_dual_cndmask_b32 v6, v7, v6 :: v_dual_cndmask_b32 v9, v13, v9
	s_delay_alu instid0(VALU_DEP_2) | instskip(NEXT) | instid1(VALU_DEP_2)
	v_and_b32_e32 v5, 0x80000000, v5
	v_lshlrev_b32_e32 v6, 21, v6
	s_delay_alu instid0(VALU_DEP_3) | instskip(NEXT) | instid1(VALU_DEP_1)
	v_lshl_add_u32 v7, v9, 23, 0x37800000
	v_or3_b32 v5, v5, v7, v6
	s_delay_alu instid0(VALU_DEP_1)
	v_cvt_i32_f32_e32 v6, v5
.LBB23_1110:
	s_or_b32 exec_lo, exec_lo, s50
	s_mov_b32 s50, 0
	s_branch .LBB23_1116
.LBB23_1111:
	s_mov_b32 s51, -1
                                        ; implicit-def: $vgpr6
	s_branch .LBB23_1122
.LBB23_1112:
	s_and_not1_saveexec_b32 s50, s50
	s_cbranch_execz .LBB23_1097
.LBB23_1113:
	v_cmp_ne_u16_e32 vcc_lo, 0, v5
	s_and_not1_b32 s4, s51, exec_lo
	s_and_b32 s5, vcc_lo, exec_lo
	s_delay_alu instid0(SALU_CYCLE_1)
	s_or_b32 s51, s4, s5
	s_or_b32 exec_lo, exec_lo, s50
	v_mov_b32_e32 v6, 0
	s_and_saveexec_b32 s50, s51
	s_cbranch_execnz .LBB23_1098
	s_branch .LBB23_1099
.LBB23_1114:
	s_mov_b32 s50, -1
                                        ; implicit-def: $vgpr6
	s_branch .LBB23_1119
.LBB23_1115:
	s_mov_b32 s50, -1
                                        ; implicit-def: $vgpr6
.LBB23_1116:
	s_delay_alu instid0(SALU_CYCLE_1)
	s_and_b32 vcc_lo, exec_lo, s50
	s_cbranch_vccz .LBB23_1118
; %bb.1117:
	global_load_u8 v5, v[10:11], off
	s_wait_loadcnt 0x0
	v_lshlrev_b32_e32 v5, 24, v5
	s_delay_alu instid0(VALU_DEP_1) | instskip(NEXT) | instid1(VALU_DEP_1)
	v_and_b32_e32 v6, 0x7f000000, v5
	v_clz_i32_u32_e32 v7, v6
	v_add_nc_u32_e32 v12, 0x1000000, v6
	v_cmp_ne_u32_e32 vcc_lo, 0, v6
	s_delay_alu instid0(VALU_DEP_3) | instskip(NEXT) | instid1(VALU_DEP_1)
	v_min_u32_e32 v7, 32, v7
	v_sub_nc_u32_e64 v7, v7, 4 clamp
	s_delay_alu instid0(VALU_DEP_1) | instskip(NEXT) | instid1(VALU_DEP_1)
	v_dual_lshlrev_b32 v9, v7, v6 :: v_dual_lshlrev_b32 v7, 23, v7
	v_lshrrev_b32_e32 v9, 4, v9
	s_delay_alu instid0(VALU_DEP_1) | instskip(NEXT) | instid1(VALU_DEP_1)
	v_dual_sub_nc_u32 v7, v9, v7 :: v_dual_ashrrev_i32 v9, 8, v12
	v_add_nc_u32_e32 v7, 0x3c000000, v7
	s_delay_alu instid0(VALU_DEP_1) | instskip(NEXT) | instid1(VALU_DEP_1)
	v_and_or_b32 v7, 0x7f800000, v9, v7
	v_cndmask_b32_e32 v6, 0, v7, vcc_lo
	s_delay_alu instid0(VALU_DEP_1) | instskip(NEXT) | instid1(VALU_DEP_1)
	v_and_or_b32 v5, 0x80000000, v5, v6
	v_cvt_i32_f32_e32 v6, v5
.LBB23_1118:
	s_mov_b32 s50, 0
.LBB23_1119:
	s_delay_alu instid0(SALU_CYCLE_1)
	s_and_not1_b32 vcc_lo, exec_lo, s50
	s_cbranch_vccnz .LBB23_1121
; %bb.1120:
	global_load_u8 v5, v[10:11], off
	s_wait_loadcnt 0x0
	v_lshlrev_b32_e32 v6, 25, v5
	v_lshlrev_b16 v5, 8, v5
	s_delay_alu instid0(VALU_DEP_1) | instskip(NEXT) | instid1(VALU_DEP_3)
	v_and_or_b32 v9, 0x7f00, v5, 0.5
	v_lshrrev_b32_e32 v7, 4, v6
	v_bfe_i32 v5, v5, 0, 16
	s_delay_alu instid0(VALU_DEP_3) | instskip(NEXT) | instid1(VALU_DEP_3)
	v_add_f32_e32 v9, -0.5, v9
	v_or_b32_e32 v7, 0x70000000, v7
	s_delay_alu instid0(VALU_DEP_1) | instskip(SKIP_1) | instid1(VALU_DEP_2)
	v_mul_f32_e32 v7, 0x7800000, v7
	v_cmp_gt_u32_e32 vcc_lo, 0x8000000, v6
	v_cndmask_b32_e32 v6, v7, v9, vcc_lo
	s_delay_alu instid0(VALU_DEP_1) | instskip(NEXT) | instid1(VALU_DEP_1)
	v_and_or_b32 v5, 0x80000000, v5, v6
	v_cvt_i32_f32_e32 v6, v5
.LBB23_1121:
	s_mov_b32 s51, 0
	s_mov_b32 s50, -1
.LBB23_1122:
	s_and_not1_b32 vcc_lo, exec_lo, s51
	s_cbranch_vccnz .LBB23_1135
; %bb.1123:
	s_cmp_gt_i32 s35, 14
	s_cbranch_scc0 .LBB23_1126
; %bb.1124:
	s_cmp_eq_u32 s35, 15
	s_cbranch_scc0 .LBB23_1129
; %bb.1125:
	global_load_u16 v5, v[10:11], off
	s_mov_b32 s50, -1
	s_mov_b32 s90, 0
	s_wait_loadcnt 0x0
	v_lshlrev_b32_e32 v5, 16, v5
	s_delay_alu instid0(VALU_DEP_1)
	v_cvt_i32_f32_e32 v6, v5
	s_branch .LBB23_1130
.LBB23_1126:
	s_mov_b32 s51, -1
                                        ; implicit-def: $vgpr6
	s_branch .LBB23_1131
.LBB23_1127:
	s_and_not1_saveexec_b32 s50, s50
	s_cbranch_execz .LBB23_1108
.LBB23_1128:
	v_cmp_ne_u16_e32 vcc_lo, 0, v5
	s_and_not1_b32 s4, s51, exec_lo
	s_and_b32 s5, vcc_lo, exec_lo
	s_delay_alu instid0(SALU_CYCLE_1)
	s_or_b32 s51, s4, s5
	s_or_b32 exec_lo, exec_lo, s50
	v_mov_b32_e32 v6, 0
	s_and_saveexec_b32 s50, s51
	s_cbranch_execnz .LBB23_1109
	s_branch .LBB23_1110
.LBB23_1129:
	s_mov_b32 s90, -1
                                        ; implicit-def: $vgpr6
.LBB23_1130:
	s_mov_b32 s51, 0
.LBB23_1131:
	s_delay_alu instid0(SALU_CYCLE_1)
	s_and_b32 vcc_lo, exec_lo, s51
	s_cbranch_vccz .LBB23_1135
; %bb.1132:
	s_cmp_eq_u32 s35, 11
	s_cbranch_scc0 .LBB23_1134
; %bb.1133:
	global_load_u8 v5, v[10:11], off
	s_mov_b32 s90, 0
	s_mov_b32 s50, -1
	s_wait_loadcnt 0x0
	v_cmp_ne_u16_e32 vcc_lo, 0, v5
	v_cndmask_b32_e64 v6, 0, 1, vcc_lo
	s_branch .LBB23_1135
.LBB23_1134:
	s_mov_b32 s90, -1
                                        ; implicit-def: $vgpr6
.LBB23_1135:
	s_mov_b32 s35, 0
.LBB23_1136:
	s_delay_alu instid0(SALU_CYCLE_1)
	s_and_b32 vcc_lo, exec_lo, s35
	s_cbranch_vccz .LBB23_1185
; %bb.1137:
	s_and_b32 s0, 0xffff, s0
	s_delay_alu instid0(SALU_CYCLE_1)
	s_cmp_lt_i32 s0, 5
	s_cbranch_scc1 .LBB23_1142
; %bb.1138:
	s_cmp_lt_i32 s0, 8
	s_cbranch_scc1 .LBB23_1143
; %bb.1139:
	;; [unrolled: 3-line block ×3, first 2 shown]
	s_cmp_gt_i32 s0, 9
	s_cbranch_scc0 .LBB23_1145
; %bb.1141:
	s_wait_loadcnt 0x0
	global_load_b64 v[6:7], v[10:11], off
	s_mov_b32 s35, 0
	s_wait_loadcnt 0x0
	v_cvt_i32_f64_e32 v6, v[6:7]
	s_branch .LBB23_1146
.LBB23_1142:
	s_mov_b32 s35, -1
                                        ; implicit-def: $vgpr6
	s_branch .LBB23_1164
.LBB23_1143:
	s_mov_b32 s35, -1
                                        ; implicit-def: $vgpr6
	s_branch .LBB23_1152
.LBB23_1144:
	s_mov_b32 s35, -1
                                        ; implicit-def: $vgpr6
	s_branch .LBB23_1149
.LBB23_1145:
	s_mov_b32 s35, -1
                                        ; implicit-def: $vgpr6
.LBB23_1146:
	s_delay_alu instid0(SALU_CYCLE_1)
	s_and_not1_b32 vcc_lo, exec_lo, s35
	s_cbranch_vccnz .LBB23_1148
; %bb.1147:
	global_load_b32 v5, v[10:11], off
	s_wait_loadcnt 0x0
	v_cvt_i32_f32_e32 v6, v5
.LBB23_1148:
	s_mov_b32 s35, 0
.LBB23_1149:
	s_delay_alu instid0(SALU_CYCLE_1)
	s_and_not1_b32 vcc_lo, exec_lo, s35
	s_cbranch_vccnz .LBB23_1151
; %bb.1150:
	global_load_b32 v5, v[10:11], off
	s_wait_loadcnt 0x0
	v_cvt_f32_f16_e32 v5, v5
	s_delay_alu instid0(VALU_DEP_1)
	v_cvt_i32_f32_e32 v6, v5
.LBB23_1151:
	s_mov_b32 s35, 0
.LBB23_1152:
	s_delay_alu instid0(SALU_CYCLE_1)
	s_and_not1_b32 vcc_lo, exec_lo, s35
	s_cbranch_vccnz .LBB23_1163
; %bb.1153:
	s_cmp_lt_i32 s0, 6
	s_cbranch_scc1 .LBB23_1156
; %bb.1154:
	s_cmp_gt_i32 s0, 6
	s_cbranch_scc0 .LBB23_1157
; %bb.1155:
	s_wait_loadcnt 0x0
	global_load_b64 v[6:7], v[10:11], off
	s_mov_b32 s35, 0
	s_wait_loadcnt 0x0
	v_cvt_i32_f64_e32 v6, v[6:7]
	s_branch .LBB23_1158
.LBB23_1156:
	s_mov_b32 s35, -1
                                        ; implicit-def: $vgpr6
	s_branch .LBB23_1161
.LBB23_1157:
	s_mov_b32 s35, -1
                                        ; implicit-def: $vgpr6
.LBB23_1158:
	s_delay_alu instid0(SALU_CYCLE_1)
	s_and_not1_b32 vcc_lo, exec_lo, s35
	s_cbranch_vccnz .LBB23_1160
; %bb.1159:
	global_load_b32 v5, v[10:11], off
	s_wait_loadcnt 0x0
	v_cvt_i32_f32_e32 v6, v5
.LBB23_1160:
	s_mov_b32 s35, 0
.LBB23_1161:
	s_delay_alu instid0(SALU_CYCLE_1)
	s_and_not1_b32 vcc_lo, exec_lo, s35
	s_cbranch_vccnz .LBB23_1163
; %bb.1162:
	global_load_u16 v5, v[10:11], off
	s_wait_loadcnt 0x0
	v_cvt_f32_f16_e32 v5, v5
	s_delay_alu instid0(VALU_DEP_1)
	v_cvt_i32_f32_e32 v6, v5
.LBB23_1163:
	s_mov_b32 s35, 0
.LBB23_1164:
	s_delay_alu instid0(SALU_CYCLE_1)
	s_and_not1_b32 vcc_lo, exec_lo, s35
	s_cbranch_vccnz .LBB23_1184
; %bb.1165:
	s_cmp_lt_i32 s0, 2
	s_cbranch_scc1 .LBB23_1169
; %bb.1166:
	s_cmp_lt_i32 s0, 3
	s_cbranch_scc1 .LBB23_1170
; %bb.1167:
	s_cmp_gt_i32 s0, 3
	s_cbranch_scc0 .LBB23_1171
; %bb.1168:
	s_wait_loadcnt 0x0
	global_load_b32 v6, v[10:11], off
	s_mov_b32 s35, 0
	s_branch .LBB23_1172
.LBB23_1169:
	s_mov_b32 s35, -1
                                        ; implicit-def: $vgpr6
	s_branch .LBB23_1178
.LBB23_1170:
	s_mov_b32 s35, -1
                                        ; implicit-def: $vgpr6
	s_branch .LBB23_1175
.LBB23_1171:
	s_mov_b32 s35, -1
                                        ; implicit-def: $vgpr6
.LBB23_1172:
	s_delay_alu instid0(SALU_CYCLE_1)
	s_and_not1_b32 vcc_lo, exec_lo, s35
	s_cbranch_vccnz .LBB23_1174
; %bb.1173:
	s_wait_loadcnt 0x0
	global_load_b32 v6, v[10:11], off
.LBB23_1174:
	s_mov_b32 s35, 0
.LBB23_1175:
	s_delay_alu instid0(SALU_CYCLE_1)
	s_and_not1_b32 vcc_lo, exec_lo, s35
	s_cbranch_vccnz .LBB23_1177
; %bb.1176:
	s_wait_loadcnt 0x0
	global_load_i16 v6, v[10:11], off
.LBB23_1177:
	s_mov_b32 s35, 0
.LBB23_1178:
	s_delay_alu instid0(SALU_CYCLE_1)
	s_and_not1_b32 vcc_lo, exec_lo, s35
	s_cbranch_vccnz .LBB23_1184
; %bb.1179:
	s_cmp_gt_i32 s0, 0
	s_mov_b32 s0, 0
	s_cbranch_scc0 .LBB23_1181
; %bb.1180:
	s_wait_loadcnt 0x0
	global_load_i8 v6, v[10:11], off
	s_branch .LBB23_1182
.LBB23_1181:
	s_mov_b32 s0, -1
                                        ; implicit-def: $vgpr6
.LBB23_1182:
	s_delay_alu instid0(SALU_CYCLE_1)
	s_and_not1_b32 vcc_lo, exec_lo, s0
	s_cbranch_vccnz .LBB23_1184
; %bb.1183:
	s_wait_loadcnt 0x0
	global_load_u8 v6, v[10:11], off
.LBB23_1184:
	s_mov_b32 s50, -1
.LBB23_1185:
	s_delay_alu instid0(SALU_CYCLE_1)
	s_and_not1_b32 vcc_lo, exec_lo, s50
	s_cbranch_vccnz .LBB23_1193
; %bb.1186:
	v_mov_b32_e32 v5, 0
	s_and_b32 s0, s18, 0xff
	s_delay_alu instid0(SALU_CYCLE_1) | instskip(NEXT) | instid1(VALU_DEP_1)
	s_cmp_lt_i32 s0, 11
	v_add_nc_u64_e32 v[4:5], s[30:31], v[4:5]
	s_cbranch_scc1 .LBB23_1194
; %bb.1187:
	s_and_b32 s35, 0xffff, s0
	s_delay_alu instid0(SALU_CYCLE_1)
	s_cmp_gt_i32 s35, 25
	s_cbranch_scc0 .LBB23_1195
; %bb.1188:
	s_cmp_gt_i32 s35, 28
	s_cbranch_scc0 .LBB23_1196
; %bb.1189:
	;; [unrolled: 3-line block ×4, first 2 shown]
	s_cmp_eq_u32 s35, 46
	s_mov_b32 s51, 0
	s_cbranch_scc0 .LBB23_1200
; %bb.1192:
	global_load_b32 v7, v[4:5], off
	s_mov_b32 s50, -1
	s_mov_b32 s89, 0
	s_wait_loadcnt 0x0
	v_lshlrev_b32_e32 v7, 16, v7
	s_wait_xcnt 0x1
	s_delay_alu instid0(VALU_DEP_1)
	v_cvt_i32_f32_e32 v10, v7
	s_branch .LBB23_1202
.LBB23_1193:
	s_mov_b32 s0, 0
	s_mov_b32 s35, s60
	;; [unrolled: 1-line block ×7, first 2 shown]
	s_branch .LBB23_1324
.LBB23_1194:
	s_mov_b32 s35, -1
	s_mov_b32 s50, 0
	s_mov_b32 s89, s80
                                        ; implicit-def: $vgpr10
	s_branch .LBB23_1263
.LBB23_1195:
	s_mov_b32 s51, -1
	s_mov_b32 s50, 0
	s_mov_b32 s89, s80
                                        ; implicit-def: $vgpr10
	s_branch .LBB23_1229
.LBB23_1196:
	s_mov_b32 s51, -1
	s_mov_b32 s50, 0
	s_mov_b32 s89, s80
                                        ; implicit-def: $vgpr10
	s_branch .LBB23_1212
.LBB23_1197:
	s_mov_b32 s51, -1
	s_mov_b32 s50, 0
	s_mov_b32 s89, s80
                                        ; implicit-def: $vgpr10
	s_branch .LBB23_1207
.LBB23_1198:
	s_mov_b32 s51, -1
	s_mov_b32 s50, 0
	s_mov_b32 s89, s80
	s_branch .LBB23_1201
.LBB23_1199:
	s_mov_b32 s54, -1
	s_mov_b32 s50, 0
	s_mov_b32 s53, 0
	s_branch .LBB23_1879
.LBB23_1200:
	s_mov_b32 s89, -1
	s_mov_b32 s50, 0
.LBB23_1201:
                                        ; implicit-def: $vgpr10
.LBB23_1202:
	s_and_b32 vcc_lo, exec_lo, s51
	s_cbranch_vccz .LBB23_1206
; %bb.1203:
	s_cmp_eq_u32 s35, 44
	s_cbranch_scc0 .LBB23_1205
; %bb.1204:
	global_load_u8 v7, v[4:5], off
	s_mov_b32 s89, 0
	s_mov_b32 s50, -1
	s_wait_loadcnt 0x0
	v_lshlrev_b32_e32 v9, 23, v7
	v_cmp_ne_u32_e32 vcc_lo, 0, v7
	s_delay_alu instid0(VALU_DEP_2) | instskip(SKIP_1) | instid1(VALU_DEP_1)
	v_cvt_i32_f32_e32 v9, v9
	s_wait_xcnt 0x1
	v_cndmask_b32_e32 v10, 0, v9, vcc_lo
	s_branch .LBB23_1206
.LBB23_1205:
	s_mov_b32 s89, -1
                                        ; implicit-def: $vgpr10
.LBB23_1206:
	s_mov_b32 s51, 0
.LBB23_1207:
	s_delay_alu instid0(SALU_CYCLE_1)
	s_and_b32 vcc_lo, exec_lo, s51
	s_cbranch_vccz .LBB23_1211
; %bb.1208:
	s_cmp_eq_u32 s35, 29
	s_cbranch_scc0 .LBB23_1210
; %bb.1209:
	global_load_b32 v10, v[4:5], off
	s_mov_b32 s50, -1
	s_mov_b32 s89, 0
	s_branch .LBB23_1211
.LBB23_1210:
	s_mov_b32 s89, -1
                                        ; implicit-def: $vgpr10
.LBB23_1211:
	s_mov_b32 s51, 0
.LBB23_1212:
	s_delay_alu instid0(SALU_CYCLE_1)
	s_and_b32 vcc_lo, exec_lo, s51
	s_cbranch_vccz .LBB23_1228
; %bb.1213:
	s_cmp_lt_i32 s35, 27
	s_cbranch_scc1 .LBB23_1216
; %bb.1214:
	s_cmp_gt_i32 s35, 27
	s_cbranch_scc0 .LBB23_1217
; %bb.1215:
	s_wait_loadcnt 0x0
	global_load_b32 v10, v[4:5], off
	s_mov_b32 s50, 0
	s_branch .LBB23_1218
.LBB23_1216:
	s_mov_b32 s50, -1
                                        ; implicit-def: $vgpr10
	s_branch .LBB23_1221
.LBB23_1217:
	s_mov_b32 s50, -1
                                        ; implicit-def: $vgpr10
.LBB23_1218:
	s_delay_alu instid0(SALU_CYCLE_1)
	s_and_not1_b32 vcc_lo, exec_lo, s50
	s_cbranch_vccnz .LBB23_1220
; %bb.1219:
	s_wait_loadcnt 0x0
	global_load_u16 v10, v[4:5], off
.LBB23_1220:
	s_mov_b32 s50, 0
.LBB23_1221:
	s_delay_alu instid0(SALU_CYCLE_1)
	s_and_not1_b32 vcc_lo, exec_lo, s50
	s_cbranch_vccnz .LBB23_1227
; %bb.1222:
	global_load_u8 v7, v[4:5], off
	s_mov_b32 s51, 0
	s_mov_b32 s4, exec_lo
	s_wait_loadcnt 0x0
	v_cmpx_lt_i16_e32 0x7f, v7
	s_xor_b32 s50, exec_lo, s4
	s_cbranch_execz .LBB23_1239
; %bb.1223:
	v_cmp_ne_u16_e32 vcc_lo, 0x80, v7
	s_and_b32 s51, vcc_lo, exec_lo
	s_and_not1_saveexec_b32 s50, s50
	s_cbranch_execnz .LBB23_1240
.LBB23_1224:
	s_or_b32 exec_lo, exec_lo, s50
	v_mov_b32_e32 v10, 0
	s_and_saveexec_b32 s50, s51
	s_cbranch_execz .LBB23_1226
.LBB23_1225:
	v_and_b32_e32 v9, 0xffff, v7
	s_delay_alu instid0(VALU_DEP_1) | instskip(SKIP_1) | instid1(VALU_DEP_2)
	v_and_b32_e32 v10, 7, v9
	v_bfe_u32 v13, v9, 3, 4
	v_clz_i32_u32_e32 v11, v10
	s_delay_alu instid0(VALU_DEP_2) | instskip(NEXT) | instid1(VALU_DEP_2)
	v_cmp_eq_u32_e32 vcc_lo, 0, v13
	v_min_u32_e32 v11, 32, v11
	s_delay_alu instid0(VALU_DEP_1) | instskip(NEXT) | instid1(VALU_DEP_1)
	v_subrev_nc_u32_e32 v12, 28, v11
	v_dual_lshlrev_b32 v9, v12, v9 :: v_dual_sub_nc_u32 v11, 29, v11
	s_delay_alu instid0(VALU_DEP_1) | instskip(NEXT) | instid1(VALU_DEP_1)
	v_dual_lshlrev_b32 v7, 24, v7 :: v_dual_bitop2_b32 v9, 7, v9 bitop3:0x40
	v_dual_cndmask_b32 v9, v10, v9, vcc_lo :: v_dual_cndmask_b32 v11, v13, v11, vcc_lo
	s_delay_alu instid0(VALU_DEP_2) | instskip(NEXT) | instid1(VALU_DEP_2)
	v_and_b32_e32 v7, 0x80000000, v7
	v_lshlrev_b32_e32 v9, 20, v9
	s_delay_alu instid0(VALU_DEP_3) | instskip(NEXT) | instid1(VALU_DEP_1)
	v_lshl_add_u32 v10, v11, 23, 0x3b800000
	v_or3_b32 v7, v7, v10, v9
	s_delay_alu instid0(VALU_DEP_1)
	v_cvt_i32_f32_e32 v10, v7
.LBB23_1226:
	s_or_b32 exec_lo, exec_lo, s50
.LBB23_1227:
	s_mov_b32 s50, -1
.LBB23_1228:
	s_mov_b32 s51, 0
.LBB23_1229:
	s_delay_alu instid0(SALU_CYCLE_1)
	s_and_b32 vcc_lo, exec_lo, s51
	s_cbranch_vccz .LBB23_1262
; %bb.1230:
	s_cmp_gt_i32 s35, 22
	s_cbranch_scc0 .LBB23_1238
; %bb.1231:
	s_cmp_lt_i32 s35, 24
	s_cbranch_scc1 .LBB23_1241
; %bb.1232:
	s_cmp_gt_i32 s35, 24
	s_cbranch_scc0 .LBB23_1242
; %bb.1233:
	global_load_u8 v7, v[4:5], off
	s_mov_b32 s51, 0
	s_mov_b32 s4, exec_lo
	s_wait_loadcnt 0x0
	v_cmpx_lt_i16_e32 0x7f, v7
	s_xor_b32 s50, exec_lo, s4
	s_cbranch_execz .LBB23_1254
; %bb.1234:
	v_cmp_ne_u16_e32 vcc_lo, 0x80, v7
	s_and_b32 s51, vcc_lo, exec_lo
	s_and_not1_saveexec_b32 s50, s50
	s_cbranch_execnz .LBB23_1255
.LBB23_1235:
	s_or_b32 exec_lo, exec_lo, s50
	v_mov_b32_e32 v10, 0
	s_and_saveexec_b32 s50, s51
	s_cbranch_execz .LBB23_1237
.LBB23_1236:
	v_and_b32_e32 v9, 0xffff, v7
	s_delay_alu instid0(VALU_DEP_1) | instskip(SKIP_1) | instid1(VALU_DEP_2)
	v_and_b32_e32 v10, 3, v9
	v_bfe_u32 v13, v9, 2, 5
	v_clz_i32_u32_e32 v11, v10
	s_delay_alu instid0(VALU_DEP_2) | instskip(NEXT) | instid1(VALU_DEP_2)
	v_cmp_eq_u32_e32 vcc_lo, 0, v13
	v_min_u32_e32 v11, 32, v11
	s_delay_alu instid0(VALU_DEP_1) | instskip(NEXT) | instid1(VALU_DEP_1)
	v_subrev_nc_u32_e32 v12, 29, v11
	v_dual_lshlrev_b32 v9, v12, v9 :: v_dual_sub_nc_u32 v11, 30, v11
	s_delay_alu instid0(VALU_DEP_1) | instskip(NEXT) | instid1(VALU_DEP_1)
	v_dual_lshlrev_b32 v7, 24, v7 :: v_dual_bitop2_b32 v9, 3, v9 bitop3:0x40
	v_dual_cndmask_b32 v9, v10, v9, vcc_lo :: v_dual_cndmask_b32 v11, v13, v11, vcc_lo
	s_delay_alu instid0(VALU_DEP_2) | instskip(NEXT) | instid1(VALU_DEP_2)
	v_and_b32_e32 v7, 0x80000000, v7
	v_lshlrev_b32_e32 v9, 21, v9
	s_delay_alu instid0(VALU_DEP_3) | instskip(NEXT) | instid1(VALU_DEP_1)
	v_lshl_add_u32 v10, v11, 23, 0x37800000
	v_or3_b32 v7, v7, v10, v9
	s_delay_alu instid0(VALU_DEP_1)
	v_cvt_i32_f32_e32 v10, v7
.LBB23_1237:
	s_or_b32 exec_lo, exec_lo, s50
	s_mov_b32 s50, 0
	s_branch .LBB23_1243
.LBB23_1238:
	s_mov_b32 s51, -1
                                        ; implicit-def: $vgpr10
	s_branch .LBB23_1249
.LBB23_1239:
	s_and_not1_saveexec_b32 s50, s50
	s_cbranch_execz .LBB23_1224
.LBB23_1240:
	v_cmp_ne_u16_e32 vcc_lo, 0, v7
	s_and_not1_b32 s4, s51, exec_lo
	s_and_b32 s5, vcc_lo, exec_lo
	s_delay_alu instid0(SALU_CYCLE_1)
	s_or_b32 s51, s4, s5
	s_or_b32 exec_lo, exec_lo, s50
	v_mov_b32_e32 v10, 0
	s_and_saveexec_b32 s50, s51
	s_cbranch_execnz .LBB23_1225
	s_branch .LBB23_1226
.LBB23_1241:
	s_mov_b32 s50, -1
                                        ; implicit-def: $vgpr10
	s_branch .LBB23_1246
.LBB23_1242:
	s_mov_b32 s50, -1
                                        ; implicit-def: $vgpr10
.LBB23_1243:
	s_delay_alu instid0(SALU_CYCLE_1)
	s_and_b32 vcc_lo, exec_lo, s50
	s_cbranch_vccz .LBB23_1245
; %bb.1244:
	global_load_u8 v7, v[4:5], off
	s_wait_loadcnt 0x0
	v_lshlrev_b32_e32 v7, 24, v7
	s_delay_alu instid0(VALU_DEP_1) | instskip(SKIP_1) | instid1(VALU_DEP_1)
	v_and_b32_e32 v9, 0x7f000000, v7
	s_wait_xcnt 0x1
	v_clz_i32_u32_e32 v10, v9
	v_cmp_ne_u32_e32 vcc_lo, 0, v9
	v_add_nc_u32_e32 v12, 0x1000000, v9
	s_delay_alu instid0(VALU_DEP_3) | instskip(NEXT) | instid1(VALU_DEP_1)
	v_min_u32_e32 v10, 32, v10
	v_sub_nc_u32_e64 v10, v10, 4 clamp
	s_delay_alu instid0(VALU_DEP_1) | instskip(NEXT) | instid1(VALU_DEP_1)
	v_dual_lshlrev_b32 v11, v10, v9 :: v_dual_lshlrev_b32 v10, 23, v10
	v_lshrrev_b32_e32 v11, 4, v11
	s_delay_alu instid0(VALU_DEP_1) | instskip(NEXT) | instid1(VALU_DEP_1)
	v_dual_sub_nc_u32 v10, v11, v10 :: v_dual_ashrrev_i32 v11, 8, v12
	v_add_nc_u32_e32 v10, 0x3c000000, v10
	s_delay_alu instid0(VALU_DEP_1) | instskip(NEXT) | instid1(VALU_DEP_1)
	v_and_or_b32 v10, 0x7f800000, v11, v10
	v_cndmask_b32_e32 v9, 0, v10, vcc_lo
	s_delay_alu instid0(VALU_DEP_1) | instskip(NEXT) | instid1(VALU_DEP_1)
	v_and_or_b32 v7, 0x80000000, v7, v9
	v_cvt_i32_f32_e32 v10, v7
.LBB23_1245:
	s_mov_b32 s50, 0
.LBB23_1246:
	s_delay_alu instid0(SALU_CYCLE_1)
	s_and_not1_b32 vcc_lo, exec_lo, s50
	s_cbranch_vccnz .LBB23_1248
; %bb.1247:
	global_load_u8 v7, v[4:5], off
	s_wait_loadcnt 0x0
	v_lshlrev_b32_e32 v9, 25, v7
	v_lshlrev_b16 v7, 8, v7
	s_wait_xcnt 0x1
	s_delay_alu instid0(VALU_DEP_1) | instskip(NEXT) | instid1(VALU_DEP_3)
	v_and_or_b32 v11, 0x7f00, v7, 0.5
	v_lshrrev_b32_e32 v10, 4, v9
	v_bfe_i32 v7, v7, 0, 16
	s_delay_alu instid0(VALU_DEP_3) | instskip(NEXT) | instid1(VALU_DEP_3)
	v_add_f32_e32 v11, -0.5, v11
	v_or_b32_e32 v10, 0x70000000, v10
	s_delay_alu instid0(VALU_DEP_1) | instskip(SKIP_1) | instid1(VALU_DEP_2)
	v_mul_f32_e32 v10, 0x7800000, v10
	v_cmp_gt_u32_e32 vcc_lo, 0x8000000, v9
	v_cndmask_b32_e32 v9, v10, v11, vcc_lo
	s_delay_alu instid0(VALU_DEP_1) | instskip(NEXT) | instid1(VALU_DEP_1)
	v_and_or_b32 v7, 0x80000000, v7, v9
	v_cvt_i32_f32_e32 v10, v7
.LBB23_1248:
	s_mov_b32 s51, 0
	s_mov_b32 s50, -1
.LBB23_1249:
	s_and_not1_b32 vcc_lo, exec_lo, s51
	s_cbranch_vccnz .LBB23_1262
; %bb.1250:
	s_cmp_gt_i32 s35, 14
	s_cbranch_scc0 .LBB23_1253
; %bb.1251:
	s_cmp_eq_u32 s35, 15
	s_cbranch_scc0 .LBB23_1256
; %bb.1252:
	global_load_u16 v7, v[4:5], off
	s_mov_b32 s50, -1
	s_mov_b32 s89, 0
	s_wait_loadcnt 0x0
	v_lshlrev_b32_e32 v7, 16, v7
	s_wait_xcnt 0x1
	s_delay_alu instid0(VALU_DEP_1)
	v_cvt_i32_f32_e32 v10, v7
	s_branch .LBB23_1257
.LBB23_1253:
	s_mov_b32 s51, -1
                                        ; implicit-def: $vgpr10
	s_branch .LBB23_1258
.LBB23_1254:
	s_and_not1_saveexec_b32 s50, s50
	s_cbranch_execz .LBB23_1235
.LBB23_1255:
	v_cmp_ne_u16_e32 vcc_lo, 0, v7
	s_and_not1_b32 s4, s51, exec_lo
	s_and_b32 s5, vcc_lo, exec_lo
	s_delay_alu instid0(SALU_CYCLE_1)
	s_or_b32 s51, s4, s5
	s_or_b32 exec_lo, exec_lo, s50
	v_mov_b32_e32 v10, 0
	s_and_saveexec_b32 s50, s51
	s_cbranch_execnz .LBB23_1236
	s_branch .LBB23_1237
.LBB23_1256:
	s_mov_b32 s89, -1
                                        ; implicit-def: $vgpr10
.LBB23_1257:
	s_mov_b32 s51, 0
.LBB23_1258:
	s_delay_alu instid0(SALU_CYCLE_1)
	s_and_b32 vcc_lo, exec_lo, s51
	s_cbranch_vccz .LBB23_1262
; %bb.1259:
	s_cmp_eq_u32 s35, 11
	s_cbranch_scc0 .LBB23_1261
; %bb.1260:
	global_load_u8 v7, v[4:5], off
	s_mov_b32 s89, 0
	s_mov_b32 s50, -1
	s_wait_loadcnt 0x0
	v_cmp_ne_u16_e32 vcc_lo, 0, v7
	s_wait_xcnt 0x1
	v_cndmask_b32_e64 v10, 0, 1, vcc_lo
	s_branch .LBB23_1262
.LBB23_1261:
	s_mov_b32 s89, -1
                                        ; implicit-def: $vgpr10
.LBB23_1262:
	s_mov_b32 s35, 0
.LBB23_1263:
	s_delay_alu instid0(SALU_CYCLE_1)
	s_and_b32 vcc_lo, exec_lo, s35
	s_cbranch_vccz .LBB23_1312
; %bb.1264:
	s_and_b32 s0, 0xffff, s0
	s_delay_alu instid0(SALU_CYCLE_1)
	s_cmp_lt_i32 s0, 5
	s_cbranch_scc1 .LBB23_1269
; %bb.1265:
	s_cmp_lt_i32 s0, 8
	s_cbranch_scc1 .LBB23_1270
; %bb.1266:
	;; [unrolled: 3-line block ×3, first 2 shown]
	s_cmp_gt_i32 s0, 9
	s_cbranch_scc0 .LBB23_1272
; %bb.1268:
	s_wait_loadcnt 0x0
	global_load_b64 v[10:11], v[4:5], off
	s_mov_b32 s35, 0
	s_wait_loadcnt 0x0
	v_cvt_i32_f64_e32 v10, v[10:11]
	s_branch .LBB23_1273
.LBB23_1269:
	s_mov_b32 s35, -1
                                        ; implicit-def: $vgpr10
	s_branch .LBB23_1291
.LBB23_1270:
	s_mov_b32 s35, -1
                                        ; implicit-def: $vgpr10
	s_branch .LBB23_1279
.LBB23_1271:
	s_mov_b32 s35, -1
                                        ; implicit-def: $vgpr10
	s_branch .LBB23_1276
.LBB23_1272:
	s_mov_b32 s35, -1
                                        ; implicit-def: $vgpr10
.LBB23_1273:
	s_delay_alu instid0(SALU_CYCLE_1)
	s_and_not1_b32 vcc_lo, exec_lo, s35
	s_cbranch_vccnz .LBB23_1275
; %bb.1274:
	global_load_b32 v7, v[4:5], off
	s_wait_loadcnt 0x0
	s_wait_xcnt 0x1
	v_cvt_i32_f32_e32 v10, v7
.LBB23_1275:
	s_mov_b32 s35, 0
.LBB23_1276:
	s_delay_alu instid0(SALU_CYCLE_1)
	s_and_not1_b32 vcc_lo, exec_lo, s35
	s_cbranch_vccnz .LBB23_1278
; %bb.1277:
	global_load_b32 v7, v[4:5], off
	s_wait_loadcnt 0x0
	v_cvt_f32_f16_e32 v7, v7
	s_wait_xcnt 0x1
	s_delay_alu instid0(VALU_DEP_1)
	v_cvt_i32_f32_e32 v10, v7
.LBB23_1278:
	s_mov_b32 s35, 0
.LBB23_1279:
	s_delay_alu instid0(SALU_CYCLE_1)
	s_and_not1_b32 vcc_lo, exec_lo, s35
	s_cbranch_vccnz .LBB23_1290
; %bb.1280:
	s_cmp_lt_i32 s0, 6
	s_cbranch_scc1 .LBB23_1283
; %bb.1281:
	s_cmp_gt_i32 s0, 6
	s_cbranch_scc0 .LBB23_1284
; %bb.1282:
	s_wait_loadcnt 0x0
	global_load_b64 v[10:11], v[4:5], off
	s_mov_b32 s35, 0
	s_wait_loadcnt 0x0
	v_cvt_i32_f64_e32 v10, v[10:11]
	s_branch .LBB23_1285
.LBB23_1283:
	s_mov_b32 s35, -1
                                        ; implicit-def: $vgpr10
	s_branch .LBB23_1288
.LBB23_1284:
	s_mov_b32 s35, -1
                                        ; implicit-def: $vgpr10
.LBB23_1285:
	s_delay_alu instid0(SALU_CYCLE_1)
	s_and_not1_b32 vcc_lo, exec_lo, s35
	s_cbranch_vccnz .LBB23_1287
; %bb.1286:
	global_load_b32 v7, v[4:5], off
	s_wait_loadcnt 0x0
	s_wait_xcnt 0x1
	v_cvt_i32_f32_e32 v10, v7
.LBB23_1287:
	s_mov_b32 s35, 0
.LBB23_1288:
	s_delay_alu instid0(SALU_CYCLE_1)
	s_and_not1_b32 vcc_lo, exec_lo, s35
	s_cbranch_vccnz .LBB23_1290
; %bb.1289:
	global_load_u16 v7, v[4:5], off
	s_wait_loadcnt 0x0
	v_cvt_f32_f16_e32 v7, v7
	s_wait_xcnt 0x1
	s_delay_alu instid0(VALU_DEP_1)
	v_cvt_i32_f32_e32 v10, v7
.LBB23_1290:
	s_mov_b32 s35, 0
.LBB23_1291:
	s_delay_alu instid0(SALU_CYCLE_1)
	s_and_not1_b32 vcc_lo, exec_lo, s35
	s_cbranch_vccnz .LBB23_1311
; %bb.1292:
	s_cmp_lt_i32 s0, 2
	s_cbranch_scc1 .LBB23_1296
; %bb.1293:
	s_cmp_lt_i32 s0, 3
	s_cbranch_scc1 .LBB23_1297
; %bb.1294:
	s_cmp_gt_i32 s0, 3
	s_cbranch_scc0 .LBB23_1298
; %bb.1295:
	s_wait_loadcnt 0x0
	global_load_b32 v10, v[4:5], off
	s_mov_b32 s35, 0
	s_branch .LBB23_1299
.LBB23_1296:
	s_mov_b32 s35, -1
                                        ; implicit-def: $vgpr10
	s_branch .LBB23_1305
.LBB23_1297:
	s_mov_b32 s35, -1
                                        ; implicit-def: $vgpr10
	s_branch .LBB23_1302
.LBB23_1298:
	s_mov_b32 s35, -1
                                        ; implicit-def: $vgpr10
.LBB23_1299:
	s_delay_alu instid0(SALU_CYCLE_1)
	s_and_not1_b32 vcc_lo, exec_lo, s35
	s_cbranch_vccnz .LBB23_1301
; %bb.1300:
	s_wait_loadcnt 0x0
	global_load_b32 v10, v[4:5], off
.LBB23_1301:
	s_mov_b32 s35, 0
.LBB23_1302:
	s_delay_alu instid0(SALU_CYCLE_1)
	s_and_not1_b32 vcc_lo, exec_lo, s35
	s_cbranch_vccnz .LBB23_1304
; %bb.1303:
	s_wait_loadcnt 0x0
	global_load_i16 v10, v[4:5], off
.LBB23_1304:
	s_mov_b32 s35, 0
.LBB23_1305:
	s_delay_alu instid0(SALU_CYCLE_1)
	s_and_not1_b32 vcc_lo, exec_lo, s35
	s_cbranch_vccnz .LBB23_1311
; %bb.1306:
	s_cmp_gt_i32 s0, 0
	s_mov_b32 s0, 0
	s_cbranch_scc0 .LBB23_1308
; %bb.1307:
	s_wait_loadcnt 0x0
	global_load_i8 v10, v[4:5], off
	s_branch .LBB23_1309
.LBB23_1308:
	s_mov_b32 s0, -1
                                        ; implicit-def: $vgpr10
.LBB23_1309:
	s_delay_alu instid0(SALU_CYCLE_1)
	s_and_not1_b32 vcc_lo, exec_lo, s0
	s_cbranch_vccnz .LBB23_1311
; %bb.1310:
	s_wait_loadcnt 0x0
	global_load_u8 v10, v[4:5], off
.LBB23_1311:
	s_mov_b32 s50, -1
.LBB23_1312:
	s_delay_alu instid0(SALU_CYCLE_1)
	s_and_not1_b32 vcc_lo, exec_lo, s50
	s_cbranch_vccnz .LBB23_1323
; %bb.1313:
	v_cmp_eq_u32_e32 vcc_lo, s38, v1
	s_mov_b32 s0, 0
	s_mov_b32 s52, -1
	s_mov_b32 s53, s78
	s_mov_b32 s51, s77
	s_and_b32 s4, s66, vcc_lo
	s_mov_b32 s50, s61
	s_mov_b32 s35, s60
	s_wait_xcnt 0x0
	s_and_saveexec_b32 s91, s4
	s_cbranch_execz .LBB23_4163
; %bb.1314:
	s_wait_loadcnt 0x0
	v_cmp_eq_u32_e32 vcc_lo, s70, v3
	s_mov_b32 s51, -1
	s_mov_b32 s52, s77
	s_mov_b32 s50, s61
	;; [unrolled: 1-line block ×3, first 2 shown]
	s_and_b32 s4, s45, vcc_lo
	s_delay_alu instid0(SALU_CYCLE_1)
	s_and_saveexec_b32 s92, s4
	s_cbranch_execz .LBB23_3689
; %bb.1315:
	v_sub_nc_u32_e32 v1, v6, v8
	s_mov_b32 s35, 0
	s_mov_b32 s50, -1
	s_mov_b32 s52, s60
	s_delay_alu instid0(VALU_DEP_1) | instskip(SKIP_4) | instid1(SALU_CYCLE_1)
	v_cmp_le_i32_e32 vcc_lo, s38, v1
	v_cmp_ge_i32_e64 s0, s68, v1
	s_and_b32 s4, vcc_lo, s0
	s_mov_b32 s0, s61
	s_and_b32 s4, s16, s4
	s_and_saveexec_b32 s93, s4
	s_cbranch_execz .LBB23_3688
; %bb.1316:
	v_mov_b64_e32 v[4:5], 0
	s_and_not1_b32 vcc_lo, exec_lo, s17
	s_cbranch_vccnz .LBB23_1352
; %bb.1317:
	v_ashrrev_i32_e32 v11, 31, v10
	s_mov_b32 s51, 0
	v_mov_b64_e32 v[4:5], 0
	s_mov_b32 s35, s51
	s_delay_alu instid0(SALU_CYCLE_1)
	s_lshl_b64 s[4:5], s[34:35], 3
	v_mul_u64_e32 v[12:13], s[70:71], v[10:11]
	v_mov_b32_e32 v10, 0
	s_add_nc_u64 s[4:5], s[2:3], s[4:5]
	s_mov_b32 s35, s25
	s_add_nc_u64 s[52:53], s[4:5], 0x298
	s_branch .LBB23_1319
.LBB23_1318:                            ;   in Loop: Header=BB23_1319 Depth=1
	s_or_b32 exec_lo, exec_lo, s0
	s_delay_alu instid0(VALU_DEP_1)
	v_mul_u64_e32 v[16:17], s[54:55], v[14:15]
	s_load_b64 s[4:5], s[52:53], 0x40
	s_add_co_i32 s35, s35, -1
	s_wait_xcnt 0x0
	s_add_nc_u64 s[52:53], s[52:53], -8
	s_cmp_lg_u32 s35, 0
	s_delay_alu instid0(VALU_DEP_1) | instskip(SKIP_1) | instid1(VALU_DEP_1)
	v_sub_nc_u64_e32 v[12:13], v[12:13], v[16:17]
	s_wait_kmcnt 0x0
	v_mad_nc_u64_u32 v[4:5], v12, s4, v[4:5]
	s_delay_alu instid0(VALU_DEP_1) | instskip(NEXT) | instid1(VALU_DEP_1)
	v_mad_u32 v1, v13, s4, v5
	v_mad_u32 v5, v12, s5, v1
	v_mov_b64_e32 v[12:13], v[14:15]
	s_cbranch_scc0 .LBB23_1352
.LBB23_1319:                            ; =>This Inner Loop Header: Depth=1
	s_load_b64 s[54:55], s[52:53], 0x0
                                        ; implicit-def: $vgpr14_vgpr15
	s_mov_b32 s0, exec_lo
	s_wait_kmcnt 0x0
	s_delay_alu instid0(VALU_DEP_1) | instskip(NEXT) | instid1(VALU_DEP_1)
	v_or_b32_e32 v11, s55, v13
	v_cmpx_ne_u64_e32 0, v[10:11]
	s_xor_b32 s67, exec_lo, s0
	s_cbranch_execz .LBB23_1321
; %bb.1320:                             ;   in Loop: Header=BB23_1319 Depth=1
	s_ashr_i32 s56, s55, 31
	s_mov_b64 s[14:15], s[70:71]
	s_mov_b32 s57, s56
	s_mov_b32 s12, s68
	s_add_nc_u64 s[4:5], s[54:55], s[56:57]
	s_mov_b64 s[70:71], s[42:43]
	s_xor_b64 s[58:59], s[4:5], s[56:57]
	s_mov_b32 s68, s40
	s_cvt_f32_u32 s0, s58
	s_cvt_f32_u32 s4, s59
	s_sub_nc_u64 s[6:7], 0, s[58:59]
	s_mov_b64 s[42:43], s[30:31]
	s_mov_b64 s[40:41], s[28:29]
	s_fmamk_f32 s0, s4, 0x4f800000, s0
	v_dual_mov_b32 v19, v10 :: v_dual_ashrrev_i32 v14, 31, v13
	s_delay_alu instid0(SALU_CYCLE_2) | instskip(NEXT) | instid1(VALU_DEP_1)
	v_s_rcp_f32 s0, s0
	v_mov_b32_e32 v15, v14
	s_delay_alu instid0(VALU_DEP_1) | instskip(NEXT) | instid1(TRANS32_DEP_1)
	v_add_nc_u64_e32 v[16:17], v[12:13], v[14:15]
	s_mul_f32 s0, s0, 0x5f7ffffc
	v_mov_b32_e32 v21, v10
	s_delay_alu instid0(SALU_CYCLE_2) | instskip(NEXT) | instid1(VALU_DEP_2)
	s_mul_f32 s4, s0, 0x2f800000
	v_xor_b32_e32 v18, v16, v14
	s_delay_alu instid0(VALU_DEP_3) | instskip(NEXT) | instid1(SALU_CYCLE_1)
	v_xor_b32_e32 v20, v17, v14
	s_trunc_f32 s4, s4
	v_dual_mov_b32 v27, v10 :: v_dual_bitop2_b32 v14, s56, v14 bitop3:0x14
	s_delay_alu instid0(SALU_CYCLE_2) | instskip(SKIP_1) | instid1(SALU_CYCLE_2)
	s_fmamk_f32 s0, s4, 0xcf800000, s0
	s_cvt_u32_f32 s5, s4
	s_cvt_u32_f32 s4, s0
	s_delay_alu instid0(SALU_CYCLE_3) | instskip(NEXT) | instid1(SALU_CYCLE_1)
	s_mul_u64 s[8:9], s[6:7], s[4:5]
	s_mul_hi_u32 s11, s4, s9
	s_mul_i32 s10, s4, s9
	s_mul_hi_u32 s50, s4, s8
	s_mul_i32 s28, s5, s8
	s_add_nc_u64 s[10:11], s[50:51], s[10:11]
	s_mul_hi_u32 s0, s5, s8
	s_mul_hi_u32 s29, s5, s9
	s_mul_i32 s8, s5, s9
	s_add_co_u32 s9, s10, s28
	s_add_co_ci_u32 s50, s11, s0
	s_add_co_ci_u32 s9, s29, 0
	s_mov_b64 s[28:29], s[40:41]
	s_add_nc_u64 s[8:9], s[50:51], s[8:9]
	s_mov_b64 s[30:31], s[42:43]
	s_add_co_u32 s4, s4, s8
	s_cselect_b32 s0, -1, 0
	s_mov_b64 s[42:43], s[70:71]
	s_cmp_lg_u32 s0, 0
	s_mov_b32 s40, s68
	s_add_co_ci_u32 s5, s5, s9
	s_mov_b64 s[70:71], s[14:15]
	s_mul_u64 s[6:7], s[6:7], s[4:5]
	s_mov_b32 s68, s12
	s_mul_hi_u32 s9, s4, s7
	s_mul_i32 s8, s4, s7
	s_mul_hi_u32 s50, s4, s6
	s_mul_i32 s10, s5, s6
	s_add_nc_u64 s[8:9], s[50:51], s[8:9]
	s_mul_hi_u32 s0, s5, s6
	s_mul_hi_u32 s11, s5, s7
	s_mul_i32 s6, s5, s7
	s_add_co_u32 s7, s8, s10
	s_add_co_ci_u32 s50, s9, s0
	s_add_co_ci_u32 s7, s11, 0
	s_delay_alu instid0(SALU_CYCLE_1) | instskip(NEXT) | instid1(SALU_CYCLE_1)
	s_add_nc_u64 s[6:7], s[50:51], s[6:7]
	s_add_co_u32 s0, s4, s6
	s_cselect_b32 s4, -1, 0
	v_mul_hi_u32 v26, v18, s0
	s_cmp_lg_u32 s4, 0
	s_add_co_ci_u32 s50, s5, s7
	s_mov_b64 s[4:5], 0xffffffff
	v_mul_u64_e32 v[22:23], s[50:51], v[18:19]
	s_and_b64 s[4:5], s[0:1], s[4:5]
	v_mul_u64_e32 v[24:25], s[50:51], v[20:21]
	v_mul_u64_e32 v[16:17], s[4:5], v[20:21]
	s_delay_alu instid0(VALU_DEP_3) | instskip(NEXT) | instid1(VALU_DEP_1)
	v_add_nc_u64_e32 v[22:23], v[26:27], v[22:23]
	v_add_co_u32 v1, vcc_lo, v22, v16
	s_delay_alu instid0(VALU_DEP_2) | instskip(SKIP_1) | instid1(VALU_DEP_1)
	v_add_co_ci_u32_e32 v26, vcc_lo, v23, v17, vcc_lo
	v_add_co_ci_u32_e32 v25, vcc_lo, 0, v25, vcc_lo
	v_add_nc_u64_e32 v[16:17], v[26:27], v[24:25]
	s_delay_alu instid0(VALU_DEP_1) | instskip(NEXT) | instid1(VALU_DEP_1)
	v_mul_u64_e32 v[22:23], s[58:59], v[16:17]
	v_sub_nc_u32_e32 v1, v20, v23
	s_delay_alu instid0(VALU_DEP_2) | instskip(NEXT) | instid1(VALU_DEP_1)
	v_sub_co_u32 v3, vcc_lo, v18, v22
	v_sub_co_ci_u32_e64 v9, null, v20, v23, vcc_lo
	s_delay_alu instid0(VALU_DEP_3) | instskip(NEXT) | instid1(VALU_DEP_3)
	v_subrev_co_ci_u32_e64 v1, null, s59, v1, vcc_lo
	v_sub_co_u32 v7, s0, v3, s58
	v_add_nc_u64_e32 v[18:19], 2, v[16:17]
	s_delay_alu instid0(VALU_DEP_3) | instskip(NEXT) | instid1(VALU_DEP_3)
	v_subrev_co_ci_u32_e64 v1, null, 0, v1, s0
	v_cmp_le_u32_e32 vcc_lo, s58, v7
	v_add_nc_u64_e32 v[20:21], 1, v[16:17]
	v_cndmask_b32_e64 v7, 0, -1, vcc_lo
	s_delay_alu instid0(VALU_DEP_4)
	v_cmp_le_u32_e32 vcc_lo, s59, v1
	v_cndmask_b32_e64 v11, 0, -1, vcc_lo
	v_cmp_le_u32_e32 vcc_lo, s58, v3
	v_cndmask_b32_e64 v3, 0, -1, vcc_lo
	;; [unrolled: 2-line block ×3, first 2 shown]
	v_cmp_eq_u32_e32 vcc_lo, s59, v1
	v_cndmask_b32_e32 v1, v11, v7, vcc_lo
	v_cmp_eq_u32_e32 vcc_lo, s59, v9
	s_delay_alu instid0(VALU_DEP_4) | instskip(NEXT) | instid1(VALU_DEP_3)
	v_cndmask_b32_e32 v3, v15, v3, vcc_lo
	v_cmp_ne_u32_e32 vcc_lo, 0, v1
	v_mov_b32_e32 v15, v14
	s_delay_alu instid0(VALU_DEP_3) | instskip(SKIP_1) | instid1(VALU_DEP_1)
	v_cmp_ne_u32_e64 s0, 0, v3
	v_dual_cndmask_b32 v1, v21, v19, vcc_lo :: v_dual_cndmask_b32 v3, v20, v18, vcc_lo
	v_dual_cndmask_b32 v1, v17, v1, s0 :: v_dual_cndmask_b32 v3, v16, v3, s0
	s_delay_alu instid0(VALU_DEP_1) | instskip(NEXT) | instid1(VALU_DEP_2)
	v_xor_b32_e32 v17, v1, v14
	v_xor_b32_e32 v16, v3, v14
	s_delay_alu instid0(VALU_DEP_1)
	v_sub_nc_u64_e32 v[14:15], v[16:17], v[14:15]
.LBB23_1321:                            ;   in Loop: Header=BB23_1319 Depth=1
	s_and_not1_saveexec_b32 s0, s67
	s_cbranch_execz .LBB23_1318
; %bb.1322:                             ;   in Loop: Header=BB23_1319 Depth=1
	v_cvt_f32_u32_e32 v1, s54
	s_sub_co_i32 s4, 0, s54
	v_mov_b32_e32 v15, v10
	s_delay_alu instid0(VALU_DEP_2) | instskip(SKIP_1) | instid1(TRANS32_DEP_1)
	v_rcp_iflag_f32_e32 v1, v1
	v_nop
	v_mul_f32_e32 v1, 0x4f7ffffe, v1
	s_delay_alu instid0(VALU_DEP_1) | instskip(NEXT) | instid1(VALU_DEP_1)
	v_cvt_u32_f32_e32 v1, v1
	v_mul_lo_u32 v3, s4, v1
	s_delay_alu instid0(VALU_DEP_1) | instskip(NEXT) | instid1(VALU_DEP_1)
	v_mul_hi_u32 v3, v1, v3
	v_add_nc_u32_e32 v1, v1, v3
	s_delay_alu instid0(VALU_DEP_1) | instskip(NEXT) | instid1(VALU_DEP_1)
	v_mul_hi_u32 v1, v12, v1
	v_mul_lo_u32 v3, v1, s54
	s_delay_alu instid0(VALU_DEP_1) | instskip(NEXT) | instid1(VALU_DEP_1)
	v_dual_add_nc_u32 v7, 1, v1 :: v_dual_sub_nc_u32 v3, v12, v3
	v_subrev_nc_u32_e32 v9, s54, v3
	v_cmp_le_u32_e32 vcc_lo, s54, v3
	s_delay_alu instid0(VALU_DEP_2) | instskip(NEXT) | instid1(VALU_DEP_1)
	v_dual_cndmask_b32 v3, v3, v9, vcc_lo :: v_dual_cndmask_b32 v1, v1, v7, vcc_lo
	v_cmp_le_u32_e32 vcc_lo, s54, v3
	s_delay_alu instid0(VALU_DEP_2) | instskip(NEXT) | instid1(VALU_DEP_1)
	v_add_nc_u32_e32 v7, 1, v1
	v_cndmask_b32_e32 v14, v1, v7, vcc_lo
	s_branch .LBB23_1318
.LBB23_1323:
	s_mov_b32 s0, 0
	s_mov_b32 s35, s60
	;; [unrolled: 1-line block ×6, first 2 shown]
.LBB23_1324:
                                        ; implicit-def: $vgpr0
.LBB23_1325:
	s_and_not1_b32 s4, s60, exec_lo
	s_and_b32 s5, s35, exec_lo
	s_and_not1_b32 s6, s61, exec_lo
	s_and_b32 s7, s50, exec_lo
	s_or_b32 s67, s4, s5
	s_or_b32 s94, s6, s7
	s_and_not1_b32 s4, s77, exec_lo
	s_and_b32 s5, s51, exec_lo
	s_and_not1_b32 s6, s78, exec_lo
	s_and_b32 s7, s53, exec_lo
	s_or_b32 s95, s4, s5
	s_or_b32 s91, s6, s7
	s_and_not1_b32 s4, s79, exec_lo
	s_and_b32 s5, s52, exec_lo
	s_and_not1_b32 s6, s80, exec_lo
	s_and_b32 s7, s89, exec_lo
	s_or_b32 s92, s4, s5
	s_or_b32 s89, s6, s7
	s_and_not1_b32 s4, s81, exec_lo
	s_and_b32 s5, s90, exec_lo
	s_and_not1_b32 s6, s82, exec_lo
	s_and_b32 s7, s87, exec_lo
	s_or_b32 s90, s4, s5
	s_or_b32 s87, s6, s7
	s_and_not1_b32 s4, s83, exec_lo
	s_and_b32 s5, s88, exec_lo
	s_and_not1_b32 s6, s84, exec_lo
	s_and_b32 s7, s86, exec_lo
	s_or_b32 s88, s4, s5
	s_or_b32 s86, s6, s7
	s_or_not1_b32 s35, s0, exec_lo
.LBB23_1326:
	s_wait_xcnt 0x0
	s_or_b32 exec_lo, exec_lo, s96
	s_mov_b32 s50, 0
	s_mov_b32 s51, 0
	s_mov_b32 s52, 0
                                        ; implicit-def: $sgpr0
                                        ; implicit-def: $vgpr12_vgpr13
                                        ; implicit-def: $vgpr2
                                        ; implicit-def: $vgpr8
                                        ; implicit-def: $vgpr10
                                        ; implicit-def: $vgpr4
                                        ; implicit-def: $vgpr6
                                        ; implicit-def: $vgpr3
	s_and_saveexec_b32 s96, s35
	s_cbranch_execz .LBB23_2192
; %bb.1327:
	s_mov_b32 s53, -1
	s_mov_b32 s35, s86
	s_mov_b32 s56, s88
	;; [unrolled: 1-line block ×7, first 2 shown]
	s_mov_b32 vcc_hi, s95
	s_mov_b32 s59, s94
	s_mov_b32 s93, s67
	s_mov_b32 s97, exec_lo
	v_cmpx_gt_i32_e64 s75, v0
	s_cbranch_execz .LBB23_2087
; %bb.1328:
	s_and_not1_b32 vcc_lo, exec_lo, s64
	s_cbranch_vccnz .LBB23_1335
; %bb.1329:
	s_and_not1_b32 vcc_lo, exec_lo, s13
	s_cbranch_vccnz .LBB23_1336
; %bb.1330:
	s_wait_loadcnt 0x0
	v_dual_mov_b32 v6, 0 :: v_dual_mov_b32 v1, v0
	v_dual_mov_b32 v4, 0 :: v_dual_mov_b32 v10, 0
	;; [unrolled: 1-line block ×3, first 2 shown]
	v_mov_b32_e32 v12, 0
	s_add_co_i32 s0, s74, 1
	s_mov_b64 s[4:5], 0xffffffffffffffd0
	s_mov_b64 s[14:15], s[70:71]
	s_mov_b32 s12, s68
	s_mov_b64 s[70:71], s[42:43]
	s_mov_b32 s68, s40
	s_mov_b64 s[42:43], s[30:31]
	s_mov_b64 s[40:41], s[28:29]
	s_and_b32 s0, s0, 30
	s_add_nc_u64 s[50:51], s[2:3], s[4:5]
	s_mov_b64 s[52:53], s[2:3]
.LBB23_1331:                            ; =>This Inner Loop Header: Depth=1
	s_clause 0x1
	s_load_b128 s[56:59], s[52:53], 0x4
	s_load_b64 s[36:37], s[52:53], 0x14
	s_clause 0x1
	s_load_b256 s[4:11], s[50:51], 0xf4
	s_load_b128 s[28:31], s[50:51], 0x114
	s_add_co_i32 s0, s0, -2
	s_wait_xcnt 0x0
	s_add_nc_u64 s[52:53], s[52:53], 24
	s_cmp_eq_u32 s0, 0
	s_add_nc_u64 s[50:51], s[50:51], 48
	s_wait_kmcnt 0x0
	v_mul_hi_u32 v3, s57, v1
	s_delay_alu instid0(VALU_DEP_1) | instskip(NEXT) | instid1(VALU_DEP_1)
	v_add_nc_u32_e32 v3, v1, v3
	v_lshrrev_b32_e32 v3, s58, v3
	s_delay_alu instid0(VALU_DEP_1) | instskip(SKIP_1) | instid1(VALU_DEP_1)
	v_mul_hi_u32 v5, s36, v3
	v_mul_lo_u32 v7, v3, s56
	v_dual_add_nc_u32 v5, v3, v5 :: v_dual_sub_nc_u32 v7, v1, v7
	s_delay_alu instid0(VALU_DEP_1) | instskip(NEXT) | instid1(VALU_DEP_2)
	v_lshrrev_b32_e32 v1, s37, v5
	v_mad_u32 v5, v7, s5, v12
	v_mad_u32 v2, v7, s4, v2
	v_mad_u32 v8, v7, s7, v8
	v_mad_u32 v10, v7, s6, v10
	v_mul_lo_u32 v9, v1, s59
	v_mad_u32 v4, s9, v7, v4
	v_mad_u32 v6, s8, v7, v6
	s_delay_alu instid0(VALU_DEP_3) | instskip(NEXT) | instid1(VALU_DEP_1)
	v_sub_nc_u32_e32 v3, v3, v9
	v_mad_u32 v12, v3, s11, v5
	v_mad_u32 v2, v3, s10, v2
	;; [unrolled: 1-line block ×6, first 2 shown]
	s_cbranch_scc0 .LBB23_1331
; %bb.1332:
	s_bitcmp1_b32 s74, 0
	s_cselect_b32 s0, -1, 0
	s_delay_alu instid0(SALU_CYCLE_1)
	s_and_b32 vcc_lo, exec_lo, s0
	s_cbranch_vccnz .LBB23_1334
; %bb.1333:
	s_load_b96 s[8:10], s[52:53], 0x4
	s_wait_kmcnt 0x0
	v_mul_hi_u32 v3, s9, v1
	s_delay_alu instid0(VALU_DEP_1) | instskip(NEXT) | instid1(VALU_DEP_1)
	v_add_nc_u32_e32 v3, v1, v3
	v_lshrrev_b32_e32 v3, s10, v3
	s_clause 0x1
	s_load_b128 s[4:7], s[50:51], 0xf4
	s_load_b64 s[10:11], s[50:51], 0x104
	s_delay_alu instid0(VALU_DEP_1) | instskip(NEXT) | instid1(VALU_DEP_1)
	v_mul_lo_u32 v3, v3, s8
	v_sub_nc_u32_e32 v1, v1, v3
	s_wait_kmcnt 0x0
	s_delay_alu instid0(VALU_DEP_1)
	v_mad_u32 v2, v1, s4, v2
	v_mad_u32 v12, v1, s5, v12
	;; [unrolled: 1-line block ×6, first 2 shown]
.LBB23_1334:
	s_mov_b64 s[28:29], s[40:41]
	s_mov_b64 s[30:31], s[42:43]
	;; [unrolled: 1-line block ×3, first 2 shown]
	s_mov_b32 s40, s68
	s_mov_b64 s[70:71], s[14:15]
	s_mov_b32 s68, s12
	s_branch .LBB23_1337
.LBB23_1335:
	s_mov_b32 s0, -1
                                        ; implicit-def: $vgpr12
                                        ; implicit-def: $vgpr2
                                        ; implicit-def: $vgpr8
                                        ; implicit-def: $vgpr10
                                        ; implicit-def: $vgpr4
                                        ; implicit-def: $vgpr6
	s_branch .LBB23_1338
.LBB23_1336:
	v_dual_mov_b32 v12, 0 :: v_dual_mov_b32 v2, 0
	s_wait_loadcnt 0x0
	v_dual_mov_b32 v8, 0 :: v_dual_mov_b32 v10, 0
	v_dual_mov_b32 v4, 0 :: v_dual_mov_b32 v6, 0
.LBB23_1337:
	s_mov_b32 s0, 0
.LBB23_1338:
	s_delay_alu instid0(SALU_CYCLE_1)
	s_and_not1_b32 vcc_lo, exec_lo, s0
	s_cbranch_vccnz .LBB23_1341
; %bb.1339:
	s_wait_loadcnt 0x0
	v_mov_b32_e32 v1, 0
	s_load_b256 s[4:11], s[2:3], 0xc4
	s_and_not1_b32 vcc_lo, exec_lo, s73
	s_delay_alu instid0(VALU_DEP_1) | instskip(NEXT) | instid1(VALU_DEP_1)
	v_mul_u64_e32 v[2:3], s[46:47], v[0:1]
	v_add_nc_u32_e32 v2, v0, v3
	s_delay_alu instid0(VALU_DEP_1) | instskip(NEXT) | instid1(VALU_DEP_1)
	v_lshrrev_b32_e32 v14, s42, v2
	v_mul_lo_u32 v2, v14, s40
	s_delay_alu instid0(VALU_DEP_1) | instskip(SKIP_1) | instid1(VALU_DEP_1)
	v_sub_nc_u32_e32 v3, v0, v2
	s_wait_kmcnt 0x0
	v_mul_lo_u32 v12, v3, s5
	v_mul_lo_u32 v2, v3, s4
	v_mul_lo_u32 v8, v3, s7
	v_mul_lo_u32 v10, v3, s6
	v_mul_lo_u32 v4, s9, v3
	v_mul_lo_u32 v6, s8, v3
	s_cbranch_vccnz .LBB23_1341
; %bb.1340:
	v_mov_b32_e32 v15, v1
	s_load_b128 s[4:7], s[2:3], 0xe4
	s_delay_alu instid0(VALU_DEP_1) | instskip(NEXT) | instid1(VALU_DEP_1)
	v_mul_u64_e32 v[16:17], s[48:49], v[14:15]
	v_add_nc_u32_e32 v1, v14, v17
	s_delay_alu instid0(VALU_DEP_1) | instskip(NEXT) | instid1(VALU_DEP_1)
	v_lshrrev_b32_e32 v1, s1, v1
	v_mul_lo_u32 v1, v1, s43
	s_delay_alu instid0(VALU_DEP_1) | instskip(NEXT) | instid1(VALU_DEP_1)
	v_sub_nc_u32_e32 v1, v14, v1
	v_mad_u32 v2, v1, s10, v2
	v_mad_u32 v12, v1, s11, v12
	s_wait_kmcnt 0x0
	v_mad_u32 v10, v1, s4, v10
	v_mad_u32 v8, v1, s5, v8
	;; [unrolled: 1-line block ×4, first 2 shown]
.LBB23_1341:
	s_load_b256 s[4:11], s[2:3], 0x248
	v_mov_b32_e32 v13, 0
	s_and_b32 s0, s72, 0xff
	s_delay_alu instid0(SALU_CYCLE_1) | instskip(SKIP_1) | instid1(VALU_DEP_1)
	s_cmp_lt_i32 s0, 11
	s_wait_kmcnt 0x0
	v_add_nc_u64_e32 v[12:13], s[6:7], v[12:13]
	s_cbranch_scc1 .LBB23_1348
; %bb.1342:
	s_and_b32 s35, 0xffff, s0
	s_delay_alu instid0(SALU_CYCLE_1)
	s_cmp_gt_i32 s35, 25
	s_cbranch_scc0 .LBB23_1349
; %bb.1343:
	s_cmp_gt_i32 s35, 28
	s_cbranch_scc0 .LBB23_1350
; %bb.1344:
	;; [unrolled: 3-line block ×4, first 2 shown]
	s_cmp_eq_u32 s35, 46
	s_mov_b32 s51, 0
	s_cbranch_scc0 .LBB23_1367
; %bb.1347:
	s_wait_loadcnt 0x0
	global_load_b32 v1, v[12:13], off
	s_mov_b32 s50, -1
	s_mov_b32 s98, 0
	s_wait_loadcnt 0x0
	v_lshlrev_b32_e32 v1, 16, v1
	s_delay_alu instid0(VALU_DEP_1)
	v_cvt_i32_f32_e32 v1, v1
	s_branch .LBB23_1369
.LBB23_1348:
	s_mov_b32 s35, -1
	s_mov_b32 s50, 0
	s_mov_b32 s98, s86
                                        ; implicit-def: $vgpr1
	s_branch .LBB23_1430
.LBB23_1349:
	s_mov_b32 s51, -1
	s_mov_b32 s50, 0
	s_mov_b32 s98, s86
                                        ; implicit-def: $vgpr1
	s_branch .LBB23_1396
.LBB23_1350:
	s_mov_b32 s51, -1
	s_mov_b32 s50, 0
	s_mov_b32 s98, s86
                                        ; implicit-def: $vgpr1
	s_branch .LBB23_1379
.LBB23_1351:
	s_mov_b32 s51, -1
	s_mov_b32 s50, 0
	s_mov_b32 s98, s86
                                        ; implicit-def: $vgpr1
	s_branch .LBB23_1374
.LBB23_1352:
	s_mov_b32 s52, -1
	s_mov_b32 s0, s61
	s_mov_b32 s35, exec_lo
	v_cmpx_gt_i32_e64 v6, v8
	s_cbranch_execz .LBB23_1359
; %bb.1353:
	s_delay_alu instid0(VALU_DEP_2) | instskip(SKIP_3) | instid1(VALU_DEP_1)
	v_lshlrev_b64_e32 v[4:5], 2, v[4:5]
	v_dual_ashrrev_i32 v9, 31, v8 :: v_dual_ashrrev_i32 v7, 31, v6
	s_mov_b32 s0, 0
	s_xor_b32 s51, s39, -1
                                        ; implicit-def: $sgpr50
                                        ; implicit-def: $sgpr53
                                        ; implicit-def: $sgpr52
	v_lshl_add_u64 v[8:9], v[8:9], 2, v[4:5]
	v_add_nc_u64_e32 v[10:11], s[20:21], v[4:5]
	s_delay_alu instid0(VALU_DEP_2) | instskip(NEXT) | instid1(VALU_DEP_2)
	v_add_nc_u64_e32 v[8:9], s[20:21], v[8:9]
	v_lshl_add_u64 v[6:7], v[6:7], 2, v[10:11]
	s_delay_alu instid0(VALU_DEP_2)
	v_add_nc_u64_e32 v[4:5], 4, v[8:9]
	s_branch .LBB23_1355
.LBB23_1354:                            ;   in Loop: Header=BB23_1355 Depth=1
	s_or_b32 exec_lo, exec_lo, s54
	s_delay_alu instid0(SALU_CYCLE_1) | instskip(NEXT) | instid1(SALU_CYCLE_1)
	s_and_b32 s4, exec_lo, s53
	s_or_b32 s0, s4, s0
	s_and_not1_b32 s4, s50, exec_lo
	s_and_b32 s5, s52, exec_lo
	s_delay_alu instid0(SALU_CYCLE_1)
	s_or_b32 s50, s4, s5
	s_and_not1_b32 exec_lo, exec_lo, s0
	s_cbranch_execz .LBB23_1358
.LBB23_1355:                            ; =>This Inner Loop Header: Depth=1
	s_or_b32 s52, s52, exec_lo
	s_or_b32 s53, s53, exec_lo
	s_mov_b32 s54, exec_lo
	s_delay_alu instid0(VALU_DEP_1)
	v_cmpx_lt_u64_e64 v[4:5], v[6:7]
	s_cbranch_execz .LBB23_1354
; %bb.1356:                             ;   in Loop: Header=BB23_1355 Depth=1
	global_load_b64 v[8:9], v[4:5], off offset:-4
	s_wait_xcnt 0x0
	v_add_nc_u64_e32 v[4:5], 4, v[4:5]
	s_and_not1_b32 s5, s53, exec_lo
	s_and_not1_b32 s52, s52, exec_lo
	s_wait_loadcnt 0x0
	v_cmp_ge_i32_e32 vcc_lo, v8, v9
	s_or_b32 s4, s51, vcc_lo
	s_delay_alu instid0(SALU_CYCLE_1) | instskip(NEXT) | instid1(SALU_CYCLE_1)
	s_and_b32 s4, s4, exec_lo
	s_or_b32 s53, s5, s4
	s_branch .LBB23_1354
.LBB23_1357:
	s_mov_b32 s51, -1
	s_mov_b32 s50, 0
	s_mov_b32 s98, s86
	s_branch .LBB23_1368
.LBB23_1358:
	s_or_b32 exec_lo, exec_lo, s0
	s_delay_alu instid0(SALU_CYCLE_1)
	s_or_b32 s0, s61, exec_lo
	s_or_not1_b32 s52, s50, exec_lo
.LBB23_1359:
	s_or_b32 exec_lo, exec_lo, s35
	s_mov_b32 s51, 0
	s_mov_b32 s50, s60
	s_and_saveexec_b32 s35, s52
	s_cbranch_execz .LBB23_3687
; %bb.1360:
	s_load_b256 s[4:11], s[2:3], 0x248
	v_mov_b32_e32 v3, 0
	s_and_b32 s51, s22, 0xff
	s_delay_alu instid0(SALU_CYCLE_1) | instskip(SKIP_1) | instid1(VALU_DEP_1)
	s_cmp_lt_i32 s51, 11
	s_wait_kmcnt 0x0
	v_add_nc_u64_e32 v[2:3], s[4:5], v[2:3]
	s_cbranch_scc1 .LBB23_1493
; %bb.1361:
	s_and_b32 s52, 0xffff, s51
	s_delay_alu instid0(SALU_CYCLE_1)
	s_cmp_gt_i32 s52, 25
	s_cbranch_scc0 .LBB23_1620
; %bb.1362:
	s_cmp_gt_i32 s52, 28
	s_cbranch_scc0 .LBB23_1747
; %bb.1363:
	;; [unrolled: 3-line block ×4, first 2 shown]
	s_mov_b32 s54, 0
	s_mov_b32 s50, -1
	s_cmp_eq_u32 s52, 46
	s_mov_b32 s53, 0
	s_cbranch_scc0 .LBB23_3605
; %bb.1366:
	v_mov_b32_e32 v1, 0
	s_mov_b32 s53, -1
	s_mov_b32 s50, 0
	global_store_b32 v[2:3], v1, off
	s_branch .LBB23_3605
.LBB23_1367:
	s_mov_b32 s98, -1
	s_mov_b32 s50, 0
.LBB23_1368:
                                        ; implicit-def: $vgpr1
.LBB23_1369:
	s_and_b32 vcc_lo, exec_lo, s51
	s_cbranch_vccz .LBB23_1373
; %bb.1370:
	s_cmp_eq_u32 s35, 44
	s_cbranch_scc0 .LBB23_1372
; %bb.1371:
	s_wait_loadcnt 0x0
	global_load_u8 v1, v[12:13], off
	s_mov_b32 s98, 0
	s_mov_b32 s50, -1
	s_wait_loadcnt 0x0
	v_lshlrev_b32_e32 v3, 23, v1
	v_cmp_ne_u32_e32 vcc_lo, 0, v1
	s_delay_alu instid0(VALU_DEP_2) | instskip(NEXT) | instid1(VALU_DEP_1)
	v_cvt_i32_f32_e32 v3, v3
	v_cndmask_b32_e32 v1, 0, v3, vcc_lo
	s_branch .LBB23_1373
.LBB23_1372:
	s_mov_b32 s98, -1
                                        ; implicit-def: $vgpr1
.LBB23_1373:
	s_mov_b32 s51, 0
.LBB23_1374:
	s_delay_alu instid0(SALU_CYCLE_1)
	s_and_b32 vcc_lo, exec_lo, s51
	s_cbranch_vccz .LBB23_1378
; %bb.1375:
	s_cmp_eq_u32 s35, 29
	s_cbranch_scc0 .LBB23_1377
; %bb.1376:
	s_wait_loadcnt 0x0
	global_load_b32 v1, v[12:13], off
	s_mov_b32 s50, -1
	s_mov_b32 s98, 0
	s_branch .LBB23_1378
.LBB23_1377:
	s_mov_b32 s98, -1
                                        ; implicit-def: $vgpr1
.LBB23_1378:
	s_mov_b32 s51, 0
.LBB23_1379:
	s_delay_alu instid0(SALU_CYCLE_1)
	s_and_b32 vcc_lo, exec_lo, s51
	s_cbranch_vccz .LBB23_1395
; %bb.1380:
	s_cmp_lt_i32 s35, 27
	s_cbranch_scc1 .LBB23_1383
; %bb.1381:
	s_cmp_gt_i32 s35, 27
	s_cbranch_scc0 .LBB23_1384
; %bb.1382:
	s_wait_loadcnt 0x0
	global_load_b32 v1, v[12:13], off
	s_mov_b32 s50, 0
	s_branch .LBB23_1385
.LBB23_1383:
	s_mov_b32 s50, -1
                                        ; implicit-def: $vgpr1
	s_branch .LBB23_1388
.LBB23_1384:
	s_mov_b32 s50, -1
                                        ; implicit-def: $vgpr1
.LBB23_1385:
	s_delay_alu instid0(SALU_CYCLE_1)
	s_and_not1_b32 vcc_lo, exec_lo, s50
	s_cbranch_vccnz .LBB23_1387
; %bb.1386:
	s_wait_loadcnt 0x0
	global_load_u16 v1, v[12:13], off
.LBB23_1387:
	s_mov_b32 s50, 0
.LBB23_1388:
	s_delay_alu instid0(SALU_CYCLE_1)
	s_and_not1_b32 vcc_lo, exec_lo, s50
	s_cbranch_vccnz .LBB23_1394
; %bb.1389:
	s_wait_loadcnt 0x0
	global_load_u8 v3, v[12:13], off
	s_mov_b32 s51, 0
	s_mov_b32 s4, exec_lo
	s_wait_loadcnt 0x0
	v_cmpx_lt_i16_e32 0x7f, v3
	s_xor_b32 s50, exec_lo, s4
	s_cbranch_execz .LBB23_1406
; %bb.1390:
	v_cmp_ne_u16_e32 vcc_lo, 0x80, v3
	s_and_b32 s51, vcc_lo, exec_lo
	s_and_not1_saveexec_b32 s50, s50
	s_cbranch_execnz .LBB23_1407
.LBB23_1391:
	s_or_b32 exec_lo, exec_lo, s50
	v_mov_b32_e32 v1, 0
	s_and_saveexec_b32 s50, s51
	s_cbranch_execz .LBB23_1393
.LBB23_1392:
	v_and_b32_e32 v1, 0xffff, v3
	s_delay_alu instid0(VALU_DEP_1) | instskip(SKIP_1) | instid1(VALU_DEP_2)
	v_and_b32_e32 v5, 7, v1
	v_bfe_u32 v11, v1, 3, 4
	v_clz_i32_u32_e32 v7, v5
	s_delay_alu instid0(VALU_DEP_2) | instskip(NEXT) | instid1(VALU_DEP_2)
	v_cmp_eq_u32_e32 vcc_lo, 0, v11
	v_min_u32_e32 v7, 32, v7
	s_delay_alu instid0(VALU_DEP_1) | instskip(NEXT) | instid1(VALU_DEP_1)
	v_subrev_nc_u32_e32 v9, 28, v7
	v_dual_lshlrev_b32 v1, v9, v1 :: v_dual_sub_nc_u32 v7, 29, v7
	s_delay_alu instid0(VALU_DEP_1) | instskip(NEXT) | instid1(VALU_DEP_1)
	v_dual_lshlrev_b32 v3, 24, v3 :: v_dual_bitop2_b32 v1, 7, v1 bitop3:0x40
	v_dual_cndmask_b32 v1, v5, v1, vcc_lo :: v_dual_cndmask_b32 v7, v11, v7, vcc_lo
	s_delay_alu instid0(VALU_DEP_2) | instskip(NEXT) | instid1(VALU_DEP_2)
	v_and_b32_e32 v3, 0x80000000, v3
	v_lshlrev_b32_e32 v1, 20, v1
	s_delay_alu instid0(VALU_DEP_3) | instskip(NEXT) | instid1(VALU_DEP_1)
	v_lshl_add_u32 v5, v7, 23, 0x3b800000
	v_or3_b32 v1, v3, v5, v1
	s_delay_alu instid0(VALU_DEP_1)
	v_cvt_i32_f32_e32 v1, v1
.LBB23_1393:
	s_or_b32 exec_lo, exec_lo, s50
.LBB23_1394:
	s_mov_b32 s50, -1
.LBB23_1395:
	s_mov_b32 s51, 0
.LBB23_1396:
	s_delay_alu instid0(SALU_CYCLE_1)
	s_and_b32 vcc_lo, exec_lo, s51
	s_cbranch_vccz .LBB23_1429
; %bb.1397:
	s_cmp_gt_i32 s35, 22
	s_cbranch_scc0 .LBB23_1405
; %bb.1398:
	s_cmp_lt_i32 s35, 24
	s_cbranch_scc1 .LBB23_1408
; %bb.1399:
	s_cmp_gt_i32 s35, 24
	s_cbranch_scc0 .LBB23_1409
; %bb.1400:
	s_wait_loadcnt 0x0
	global_load_u8 v3, v[12:13], off
	s_mov_b32 s51, 0
	s_mov_b32 s4, exec_lo
	s_wait_loadcnt 0x0
	v_cmpx_lt_i16_e32 0x7f, v3
	s_xor_b32 s50, exec_lo, s4
	s_cbranch_execz .LBB23_1421
; %bb.1401:
	v_cmp_ne_u16_e32 vcc_lo, 0x80, v3
	s_and_b32 s51, vcc_lo, exec_lo
	s_and_not1_saveexec_b32 s50, s50
	s_cbranch_execnz .LBB23_1422
.LBB23_1402:
	s_or_b32 exec_lo, exec_lo, s50
	v_mov_b32_e32 v1, 0
	s_and_saveexec_b32 s50, s51
	s_cbranch_execz .LBB23_1404
.LBB23_1403:
	v_and_b32_e32 v1, 0xffff, v3
	s_delay_alu instid0(VALU_DEP_1) | instskip(SKIP_1) | instid1(VALU_DEP_2)
	v_and_b32_e32 v5, 3, v1
	v_bfe_u32 v11, v1, 2, 5
	v_clz_i32_u32_e32 v7, v5
	s_delay_alu instid0(VALU_DEP_2) | instskip(NEXT) | instid1(VALU_DEP_2)
	v_cmp_eq_u32_e32 vcc_lo, 0, v11
	v_min_u32_e32 v7, 32, v7
	s_delay_alu instid0(VALU_DEP_1) | instskip(NEXT) | instid1(VALU_DEP_1)
	v_subrev_nc_u32_e32 v9, 29, v7
	v_dual_lshlrev_b32 v1, v9, v1 :: v_dual_sub_nc_u32 v7, 30, v7
	s_delay_alu instid0(VALU_DEP_1) | instskip(NEXT) | instid1(VALU_DEP_1)
	v_dual_lshlrev_b32 v3, 24, v3 :: v_dual_bitop2_b32 v1, 3, v1 bitop3:0x40
	v_dual_cndmask_b32 v1, v5, v1, vcc_lo :: v_dual_cndmask_b32 v7, v11, v7, vcc_lo
	s_delay_alu instid0(VALU_DEP_2) | instskip(NEXT) | instid1(VALU_DEP_2)
	v_and_b32_e32 v3, 0x80000000, v3
	v_lshlrev_b32_e32 v1, 21, v1
	s_delay_alu instid0(VALU_DEP_3) | instskip(NEXT) | instid1(VALU_DEP_1)
	v_lshl_add_u32 v5, v7, 23, 0x37800000
	v_or3_b32 v1, v3, v5, v1
	s_delay_alu instid0(VALU_DEP_1)
	v_cvt_i32_f32_e32 v1, v1
.LBB23_1404:
	s_or_b32 exec_lo, exec_lo, s50
	s_mov_b32 s50, 0
	s_branch .LBB23_1410
.LBB23_1405:
	s_mov_b32 s51, -1
                                        ; implicit-def: $vgpr1
	s_branch .LBB23_1416
.LBB23_1406:
	s_and_not1_saveexec_b32 s50, s50
	s_cbranch_execz .LBB23_1391
.LBB23_1407:
	v_cmp_ne_u16_e32 vcc_lo, 0, v3
	s_and_not1_b32 s4, s51, exec_lo
	s_and_b32 s5, vcc_lo, exec_lo
	s_delay_alu instid0(SALU_CYCLE_1)
	s_or_b32 s51, s4, s5
	s_or_b32 exec_lo, exec_lo, s50
	v_mov_b32_e32 v1, 0
	s_and_saveexec_b32 s50, s51
	s_cbranch_execnz .LBB23_1392
	s_branch .LBB23_1393
.LBB23_1408:
	s_mov_b32 s50, -1
                                        ; implicit-def: $vgpr1
	s_branch .LBB23_1413
.LBB23_1409:
	s_mov_b32 s50, -1
                                        ; implicit-def: $vgpr1
.LBB23_1410:
	s_delay_alu instid0(SALU_CYCLE_1)
	s_and_b32 vcc_lo, exec_lo, s50
	s_cbranch_vccz .LBB23_1412
; %bb.1411:
	s_wait_loadcnt 0x0
	global_load_u8 v1, v[12:13], off
	s_wait_loadcnt 0x0
	v_lshlrev_b32_e32 v1, 24, v1
	s_delay_alu instid0(VALU_DEP_1) | instskip(NEXT) | instid1(VALU_DEP_1)
	v_and_b32_e32 v3, 0x7f000000, v1
	v_clz_i32_u32_e32 v5, v3
	v_add_nc_u32_e32 v9, 0x1000000, v3
	v_cmp_ne_u32_e32 vcc_lo, 0, v3
	s_delay_alu instid0(VALU_DEP_3) | instskip(NEXT) | instid1(VALU_DEP_1)
	v_min_u32_e32 v5, 32, v5
	v_sub_nc_u32_e64 v5, v5, 4 clamp
	s_delay_alu instid0(VALU_DEP_1) | instskip(NEXT) | instid1(VALU_DEP_1)
	v_dual_lshlrev_b32 v7, v5, v3 :: v_dual_lshlrev_b32 v5, 23, v5
	v_lshrrev_b32_e32 v7, 4, v7
	s_delay_alu instid0(VALU_DEP_1) | instskip(SKIP_1) | instid1(VALU_DEP_2)
	v_sub_nc_u32_e32 v5, v7, v5
	v_ashrrev_i32_e32 v7, 8, v9
	v_add_nc_u32_e32 v5, 0x3c000000, v5
	s_delay_alu instid0(VALU_DEP_1) | instskip(NEXT) | instid1(VALU_DEP_1)
	v_and_or_b32 v5, 0x7f800000, v7, v5
	v_cndmask_b32_e32 v3, 0, v5, vcc_lo
	s_delay_alu instid0(VALU_DEP_1) | instskip(NEXT) | instid1(VALU_DEP_1)
	v_and_or_b32 v1, 0x80000000, v1, v3
	v_cvt_i32_f32_e32 v1, v1
.LBB23_1412:
	s_mov_b32 s50, 0
.LBB23_1413:
	s_delay_alu instid0(SALU_CYCLE_1)
	s_and_not1_b32 vcc_lo, exec_lo, s50
	s_cbranch_vccnz .LBB23_1415
; %bb.1414:
	s_wait_loadcnt 0x0
	global_load_u8 v1, v[12:13], off
	s_wait_loadcnt 0x0
	v_lshlrev_b32_e32 v3, 25, v1
	v_lshlrev_b16 v1, 8, v1
	s_delay_alu instid0(VALU_DEP_1) | instskip(SKIP_1) | instid1(VALU_DEP_2)
	v_and_or_b32 v7, 0x7f00, v1, 0.5
	v_bfe_i32 v1, v1, 0, 16
	v_add_f32_e32 v7, -0.5, v7
	v_lshrrev_b32_e32 v5, 4, v3
	v_cmp_gt_u32_e32 vcc_lo, 0x8000000, v3
	s_delay_alu instid0(VALU_DEP_2) | instskip(NEXT) | instid1(VALU_DEP_1)
	v_or_b32_e32 v5, 0x70000000, v5
	v_mul_f32_e32 v5, 0x7800000, v5
	s_delay_alu instid0(VALU_DEP_1) | instskip(NEXT) | instid1(VALU_DEP_1)
	v_cndmask_b32_e32 v3, v5, v7, vcc_lo
	v_and_or_b32 v1, 0x80000000, v1, v3
	s_delay_alu instid0(VALU_DEP_1)
	v_cvt_i32_f32_e32 v1, v1
.LBB23_1415:
	s_mov_b32 s51, 0
	s_mov_b32 s50, -1
.LBB23_1416:
	s_and_not1_b32 vcc_lo, exec_lo, s51
	s_cbranch_vccnz .LBB23_1429
; %bb.1417:
	s_cmp_gt_i32 s35, 14
	s_cbranch_scc0 .LBB23_1420
; %bb.1418:
	s_cmp_eq_u32 s35, 15
	s_cbranch_scc0 .LBB23_1423
; %bb.1419:
	s_wait_loadcnt 0x0
	global_load_u16 v1, v[12:13], off
	s_mov_b32 s50, -1
	s_mov_b32 s98, 0
	s_wait_loadcnt 0x0
	v_lshlrev_b32_e32 v1, 16, v1
	s_delay_alu instid0(VALU_DEP_1)
	v_cvt_i32_f32_e32 v1, v1
	s_branch .LBB23_1424
.LBB23_1420:
	s_mov_b32 s51, -1
                                        ; implicit-def: $vgpr1
	s_branch .LBB23_1425
.LBB23_1421:
	s_and_not1_saveexec_b32 s50, s50
	s_cbranch_execz .LBB23_1402
.LBB23_1422:
	v_cmp_ne_u16_e32 vcc_lo, 0, v3
	s_and_not1_b32 s4, s51, exec_lo
	s_and_b32 s5, vcc_lo, exec_lo
	s_delay_alu instid0(SALU_CYCLE_1)
	s_or_b32 s51, s4, s5
	s_or_b32 exec_lo, exec_lo, s50
	v_mov_b32_e32 v1, 0
	s_and_saveexec_b32 s50, s51
	s_cbranch_execnz .LBB23_1403
	s_branch .LBB23_1404
.LBB23_1423:
	s_mov_b32 s98, -1
                                        ; implicit-def: $vgpr1
.LBB23_1424:
	s_mov_b32 s51, 0
.LBB23_1425:
	s_delay_alu instid0(SALU_CYCLE_1)
	s_and_b32 vcc_lo, exec_lo, s51
	s_cbranch_vccz .LBB23_1429
; %bb.1426:
	s_cmp_eq_u32 s35, 11
	s_cbranch_scc0 .LBB23_1428
; %bb.1427:
	s_wait_loadcnt 0x0
	global_load_u8 v1, v[12:13], off
	s_mov_b32 s98, 0
	s_mov_b32 s50, -1
	s_wait_loadcnt 0x0
	v_cmp_ne_u16_e32 vcc_lo, 0, v1
	v_cndmask_b32_e64 v1, 0, 1, vcc_lo
	s_branch .LBB23_1429
.LBB23_1428:
	s_mov_b32 s98, -1
                                        ; implicit-def: $vgpr1
.LBB23_1429:
	s_mov_b32 s35, 0
.LBB23_1430:
	s_delay_alu instid0(SALU_CYCLE_1)
	s_and_b32 vcc_lo, exec_lo, s35
	s_cbranch_vccz .LBB23_1479
; %bb.1431:
	s_and_b32 s0, 0xffff, s0
	s_delay_alu instid0(SALU_CYCLE_1)
	s_cmp_lt_i32 s0, 5
	s_cbranch_scc1 .LBB23_1436
; %bb.1432:
	s_cmp_lt_i32 s0, 8
	s_cbranch_scc1 .LBB23_1437
; %bb.1433:
	;; [unrolled: 3-line block ×3, first 2 shown]
	s_cmp_gt_i32 s0, 9
	s_cbranch_scc0 .LBB23_1439
; %bb.1435:
	global_load_b64 v[14:15], v[12:13], off
	s_mov_b32 s35, 0
	s_wait_loadcnt 0x0
	v_cvt_i32_f64_e32 v1, v[14:15]
	s_branch .LBB23_1440
.LBB23_1436:
	s_mov_b32 s35, -1
                                        ; implicit-def: $vgpr1
	s_branch .LBB23_1458
.LBB23_1437:
	s_mov_b32 s35, -1
                                        ; implicit-def: $vgpr1
	s_branch .LBB23_1446
.LBB23_1438:
	s_mov_b32 s35, -1
                                        ; implicit-def: $vgpr1
	s_branch .LBB23_1443
.LBB23_1439:
	s_mov_b32 s35, -1
                                        ; implicit-def: $vgpr1
.LBB23_1440:
	s_delay_alu instid0(SALU_CYCLE_1)
	s_and_not1_b32 vcc_lo, exec_lo, s35
	s_cbranch_vccnz .LBB23_1442
; %bb.1441:
	s_wait_loadcnt 0x0
	global_load_b32 v1, v[12:13], off
	s_wait_loadcnt 0x0
	v_cvt_i32_f32_e32 v1, v1
.LBB23_1442:
	s_mov_b32 s35, 0
.LBB23_1443:
	s_delay_alu instid0(SALU_CYCLE_1)
	s_and_not1_b32 vcc_lo, exec_lo, s35
	s_cbranch_vccnz .LBB23_1445
; %bb.1444:
	s_wait_loadcnt 0x0
	global_load_b32 v1, v[12:13], off
	s_wait_loadcnt 0x0
	v_cvt_f32_f16_e32 v1, v1
	s_delay_alu instid0(VALU_DEP_1)
	v_cvt_i32_f32_e32 v1, v1
.LBB23_1445:
	s_mov_b32 s35, 0
.LBB23_1446:
	s_delay_alu instid0(SALU_CYCLE_1)
	s_and_not1_b32 vcc_lo, exec_lo, s35
	s_cbranch_vccnz .LBB23_1457
; %bb.1447:
	s_cmp_lt_i32 s0, 6
	s_cbranch_scc1 .LBB23_1450
; %bb.1448:
	s_cmp_gt_i32 s0, 6
	s_cbranch_scc0 .LBB23_1451
; %bb.1449:
	global_load_b64 v[14:15], v[12:13], off
	s_mov_b32 s35, 0
	s_wait_loadcnt 0x0
	v_cvt_i32_f64_e32 v1, v[14:15]
	s_branch .LBB23_1452
.LBB23_1450:
	s_mov_b32 s35, -1
                                        ; implicit-def: $vgpr1
	s_branch .LBB23_1455
.LBB23_1451:
	s_mov_b32 s35, -1
                                        ; implicit-def: $vgpr1
.LBB23_1452:
	s_delay_alu instid0(SALU_CYCLE_1)
	s_and_not1_b32 vcc_lo, exec_lo, s35
	s_cbranch_vccnz .LBB23_1454
; %bb.1453:
	s_wait_loadcnt 0x0
	global_load_b32 v1, v[12:13], off
	s_wait_loadcnt 0x0
	v_cvt_i32_f32_e32 v1, v1
.LBB23_1454:
	s_mov_b32 s35, 0
.LBB23_1455:
	s_delay_alu instid0(SALU_CYCLE_1)
	s_and_not1_b32 vcc_lo, exec_lo, s35
	s_cbranch_vccnz .LBB23_1457
; %bb.1456:
	s_wait_loadcnt 0x0
	global_load_u16 v1, v[12:13], off
	s_wait_loadcnt 0x0
	v_cvt_f32_f16_e32 v1, v1
	s_delay_alu instid0(VALU_DEP_1)
	v_cvt_i32_f32_e32 v1, v1
.LBB23_1457:
	s_mov_b32 s35, 0
.LBB23_1458:
	s_delay_alu instid0(SALU_CYCLE_1)
	s_and_not1_b32 vcc_lo, exec_lo, s35
	s_cbranch_vccnz .LBB23_1478
; %bb.1459:
	s_cmp_lt_i32 s0, 2
	s_cbranch_scc1 .LBB23_1463
; %bb.1460:
	s_cmp_lt_i32 s0, 3
	s_cbranch_scc1 .LBB23_1464
; %bb.1461:
	s_cmp_gt_i32 s0, 3
	s_cbranch_scc0 .LBB23_1465
; %bb.1462:
	s_wait_loadcnt 0x0
	global_load_b32 v1, v[12:13], off
	s_mov_b32 s35, 0
	s_branch .LBB23_1466
.LBB23_1463:
	s_mov_b32 s35, -1
                                        ; implicit-def: $vgpr1
	s_branch .LBB23_1472
.LBB23_1464:
	s_mov_b32 s35, -1
                                        ; implicit-def: $vgpr1
	s_branch .LBB23_1469
.LBB23_1465:
	s_mov_b32 s35, -1
                                        ; implicit-def: $vgpr1
.LBB23_1466:
	s_delay_alu instid0(SALU_CYCLE_1)
	s_and_not1_b32 vcc_lo, exec_lo, s35
	s_cbranch_vccnz .LBB23_1468
; %bb.1467:
	s_wait_loadcnt 0x0
	global_load_b32 v1, v[12:13], off
.LBB23_1468:
	s_mov_b32 s35, 0
.LBB23_1469:
	s_delay_alu instid0(SALU_CYCLE_1)
	s_and_not1_b32 vcc_lo, exec_lo, s35
	s_cbranch_vccnz .LBB23_1471
; %bb.1470:
	s_wait_loadcnt 0x0
	global_load_i16 v1, v[12:13], off
.LBB23_1471:
	s_mov_b32 s35, 0
.LBB23_1472:
	s_delay_alu instid0(SALU_CYCLE_1)
	s_and_not1_b32 vcc_lo, exec_lo, s35
	s_cbranch_vccnz .LBB23_1478
; %bb.1473:
	s_cmp_gt_i32 s0, 0
	s_mov_b32 s0, 0
	s_cbranch_scc0 .LBB23_1475
; %bb.1474:
	s_wait_loadcnt 0x0
	global_load_i8 v1, v[12:13], off
	s_branch .LBB23_1476
.LBB23_1475:
	s_mov_b32 s0, -1
                                        ; implicit-def: $vgpr1
.LBB23_1476:
	s_delay_alu instid0(SALU_CYCLE_1)
	s_and_not1_b32 vcc_lo, exec_lo, s0
	s_cbranch_vccnz .LBB23_1478
; %bb.1477:
	s_wait_loadcnt 0x0
	global_load_u8 v1, v[12:13], off
.LBB23_1478:
	s_mov_b32 s50, -1
.LBB23_1479:
	s_delay_alu instid0(SALU_CYCLE_1)
	s_and_not1_b32 vcc_lo, exec_lo, s50
	s_cbranch_vccnz .LBB23_1487
; %bb.1480:
	s_load_b256 s[4:11], s[2:3], 0x248
	v_mov_b32_e32 v11, 0
	s_and_b32 s0, s24, 0xff
	s_delay_alu instid0(SALU_CYCLE_1)
	s_cmp_lt_i32 s0, 11
	s_wait_loadcnt 0x0
	s_wait_kmcnt 0x0
	v_add_nc_u64_e32 v[10:11], s[8:9], v[10:11]
	s_cbranch_scc1 .LBB23_1488
; %bb.1481:
	s_and_b32 s35, 0xffff, s0
	s_delay_alu instid0(SALU_CYCLE_1)
	s_cmp_gt_i32 s35, 25
	s_cbranch_scc0 .LBB23_1489
; %bb.1482:
	s_cmp_gt_i32 s35, 28
	s_cbranch_scc0 .LBB23_1490
; %bb.1483:
	;; [unrolled: 3-line block ×4, first 2 shown]
	s_cmp_eq_u32 s35, 46
	s_mov_b32 s51, 0
	s_cbranch_scc0 .LBB23_1494
; %bb.1486:
	global_load_b32 v3, v[10:11], off
	s_mov_b32 s50, -1
	s_mov_b32 s99, 0
	s_wait_loadcnt 0x0
	v_lshlrev_b32_e32 v3, 16, v3
	s_delay_alu instid0(VALU_DEP_1)
	v_cvt_i32_f32_e32 v3, v3
	s_branch .LBB23_1496
.LBB23_1487:
	s_mov_b32 s0, 0
	s_mov_b32 s35, s67
	;; [unrolled: 1-line block ×10, first 2 shown]
	s_branch .LBB23_2085
.LBB23_1488:
	s_mov_b32 s35, -1
	s_mov_b32 s50, 0
	s_mov_b32 s99, s88
                                        ; implicit-def: $vgpr3
	s_branch .LBB23_1557
.LBB23_1489:
	s_mov_b32 s51, -1
	s_mov_b32 s50, 0
	s_mov_b32 s99, s88
                                        ; implicit-def: $vgpr3
	s_branch .LBB23_1523
.LBB23_1490:
	s_mov_b32 s51, -1
	s_mov_b32 s50, 0
	s_mov_b32 s99, s88
                                        ; implicit-def: $vgpr3
	s_branch .LBB23_1506
.LBB23_1491:
	s_mov_b32 s51, -1
	s_mov_b32 s50, 0
	s_mov_b32 s99, s88
                                        ; implicit-def: $vgpr3
	s_branch .LBB23_1501
.LBB23_1492:
	s_mov_b32 s51, -1
	s_mov_b32 s50, 0
	s_mov_b32 s99, s88
	s_branch .LBB23_1495
.LBB23_1493:
	s_mov_b32 s52, -1
	s_mov_b32 s53, 0
	s_mov_b32 s50, s60
	s_branch .LBB23_3644
.LBB23_1494:
	s_mov_b32 s99, -1
	s_mov_b32 s50, 0
.LBB23_1495:
                                        ; implicit-def: $vgpr3
.LBB23_1496:
	s_and_b32 vcc_lo, exec_lo, s51
	s_cbranch_vccz .LBB23_1500
; %bb.1497:
	s_cmp_eq_u32 s35, 44
	s_cbranch_scc0 .LBB23_1499
; %bb.1498:
	global_load_u8 v3, v[10:11], off
	s_mov_b32 s99, 0
	s_mov_b32 s50, -1
	s_wait_loadcnt 0x0
	v_lshlrev_b32_e32 v5, 23, v3
	v_cmp_ne_u32_e32 vcc_lo, 0, v3
	s_delay_alu instid0(VALU_DEP_2) | instskip(NEXT) | instid1(VALU_DEP_1)
	v_cvt_i32_f32_e32 v5, v5
	v_cndmask_b32_e32 v3, 0, v5, vcc_lo
	s_branch .LBB23_1500
.LBB23_1499:
	s_mov_b32 s99, -1
                                        ; implicit-def: $vgpr3
.LBB23_1500:
	s_mov_b32 s51, 0
.LBB23_1501:
	s_delay_alu instid0(SALU_CYCLE_1)
	s_and_b32 vcc_lo, exec_lo, s51
	s_cbranch_vccz .LBB23_1505
; %bb.1502:
	s_cmp_eq_u32 s35, 29
	s_cbranch_scc0 .LBB23_1504
; %bb.1503:
	global_load_b32 v3, v[10:11], off
	s_mov_b32 s50, -1
	s_mov_b32 s99, 0
	s_branch .LBB23_1505
.LBB23_1504:
	s_mov_b32 s99, -1
                                        ; implicit-def: $vgpr3
.LBB23_1505:
	s_mov_b32 s51, 0
.LBB23_1506:
	s_delay_alu instid0(SALU_CYCLE_1)
	s_and_b32 vcc_lo, exec_lo, s51
	s_cbranch_vccz .LBB23_1522
; %bb.1507:
	s_cmp_lt_i32 s35, 27
	s_cbranch_scc1 .LBB23_1510
; %bb.1508:
	s_cmp_gt_i32 s35, 27
	s_cbranch_scc0 .LBB23_1511
; %bb.1509:
	s_wait_loadcnt 0x0
	global_load_b32 v3, v[10:11], off
	s_mov_b32 s50, 0
	s_branch .LBB23_1512
.LBB23_1510:
	s_mov_b32 s50, -1
                                        ; implicit-def: $vgpr3
	s_branch .LBB23_1515
.LBB23_1511:
	s_mov_b32 s50, -1
                                        ; implicit-def: $vgpr3
.LBB23_1512:
	s_delay_alu instid0(SALU_CYCLE_1)
	s_and_not1_b32 vcc_lo, exec_lo, s50
	s_cbranch_vccnz .LBB23_1514
; %bb.1513:
	s_wait_loadcnt 0x0
	global_load_u16 v3, v[10:11], off
.LBB23_1514:
	s_mov_b32 s50, 0
.LBB23_1515:
	s_delay_alu instid0(SALU_CYCLE_1)
	s_and_not1_b32 vcc_lo, exec_lo, s50
	s_cbranch_vccnz .LBB23_1521
; %bb.1516:
	global_load_u8 v5, v[10:11], off
	s_mov_b32 s51, 0
	s_mov_b32 s4, exec_lo
	s_wait_loadcnt 0x0
	v_cmpx_lt_i16_e32 0x7f, v5
	s_xor_b32 s50, exec_lo, s4
	s_cbranch_execz .LBB23_1533
; %bb.1517:
	v_cmp_ne_u16_e32 vcc_lo, 0x80, v5
	s_and_b32 s51, vcc_lo, exec_lo
	s_and_not1_saveexec_b32 s50, s50
	s_cbranch_execnz .LBB23_1534
.LBB23_1518:
	s_or_b32 exec_lo, exec_lo, s50
	v_mov_b32_e32 v3, 0
	s_and_saveexec_b32 s50, s51
	s_cbranch_execz .LBB23_1520
.LBB23_1519:
	v_and_b32_e32 v3, 0xffff, v5
	s_delay_alu instid0(VALU_DEP_1) | instskip(SKIP_1) | instid1(VALU_DEP_2)
	v_and_b32_e32 v7, 7, v3
	v_bfe_u32 v13, v3, 3, 4
	v_clz_i32_u32_e32 v9, v7
	s_delay_alu instid0(VALU_DEP_2) | instskip(NEXT) | instid1(VALU_DEP_2)
	v_cmp_eq_u32_e32 vcc_lo, 0, v13
	v_min_u32_e32 v9, 32, v9
	s_delay_alu instid0(VALU_DEP_1) | instskip(NEXT) | instid1(VALU_DEP_1)
	v_subrev_nc_u32_e32 v12, 28, v9
	v_dual_lshlrev_b32 v3, v12, v3 :: v_dual_sub_nc_u32 v9, 29, v9
	s_delay_alu instid0(VALU_DEP_1) | instskip(NEXT) | instid1(VALU_DEP_1)
	v_dual_lshlrev_b32 v5, 24, v5 :: v_dual_bitop2_b32 v3, 7, v3 bitop3:0x40
	v_dual_cndmask_b32 v3, v7, v3, vcc_lo :: v_dual_cndmask_b32 v9, v13, v9, vcc_lo
	s_delay_alu instid0(VALU_DEP_2) | instskip(NEXT) | instid1(VALU_DEP_2)
	v_and_b32_e32 v5, 0x80000000, v5
	v_lshlrev_b32_e32 v3, 20, v3
	s_delay_alu instid0(VALU_DEP_3) | instskip(NEXT) | instid1(VALU_DEP_1)
	v_lshl_add_u32 v7, v9, 23, 0x3b800000
	v_or3_b32 v3, v5, v7, v3
	s_delay_alu instid0(VALU_DEP_1)
	v_cvt_i32_f32_e32 v3, v3
.LBB23_1520:
	s_or_b32 exec_lo, exec_lo, s50
.LBB23_1521:
	s_mov_b32 s50, -1
.LBB23_1522:
	s_mov_b32 s51, 0
.LBB23_1523:
	s_delay_alu instid0(SALU_CYCLE_1)
	s_and_b32 vcc_lo, exec_lo, s51
	s_cbranch_vccz .LBB23_1556
; %bb.1524:
	s_cmp_gt_i32 s35, 22
	s_cbranch_scc0 .LBB23_1532
; %bb.1525:
	s_cmp_lt_i32 s35, 24
	s_cbranch_scc1 .LBB23_1535
; %bb.1526:
	s_cmp_gt_i32 s35, 24
	s_cbranch_scc0 .LBB23_1536
; %bb.1527:
	global_load_u8 v5, v[10:11], off
	s_mov_b32 s51, 0
	s_mov_b32 s4, exec_lo
	s_wait_loadcnt 0x0
	v_cmpx_lt_i16_e32 0x7f, v5
	s_xor_b32 s50, exec_lo, s4
	s_cbranch_execz .LBB23_1548
; %bb.1528:
	v_cmp_ne_u16_e32 vcc_lo, 0x80, v5
	s_and_b32 s51, vcc_lo, exec_lo
	s_and_not1_saveexec_b32 s50, s50
	s_cbranch_execnz .LBB23_1549
.LBB23_1529:
	s_or_b32 exec_lo, exec_lo, s50
	v_mov_b32_e32 v3, 0
	s_and_saveexec_b32 s50, s51
	s_cbranch_execz .LBB23_1531
.LBB23_1530:
	v_and_b32_e32 v3, 0xffff, v5
	s_delay_alu instid0(VALU_DEP_1) | instskip(SKIP_1) | instid1(VALU_DEP_2)
	v_and_b32_e32 v7, 3, v3
	v_bfe_u32 v13, v3, 2, 5
	v_clz_i32_u32_e32 v9, v7
	s_delay_alu instid0(VALU_DEP_2) | instskip(NEXT) | instid1(VALU_DEP_2)
	v_cmp_eq_u32_e32 vcc_lo, 0, v13
	v_min_u32_e32 v9, 32, v9
	s_delay_alu instid0(VALU_DEP_1) | instskip(NEXT) | instid1(VALU_DEP_1)
	v_subrev_nc_u32_e32 v12, 29, v9
	v_dual_lshlrev_b32 v3, v12, v3 :: v_dual_sub_nc_u32 v9, 30, v9
	s_delay_alu instid0(VALU_DEP_1) | instskip(NEXT) | instid1(VALU_DEP_1)
	v_dual_lshlrev_b32 v5, 24, v5 :: v_dual_bitop2_b32 v3, 3, v3 bitop3:0x40
	v_dual_cndmask_b32 v3, v7, v3, vcc_lo :: v_dual_cndmask_b32 v9, v13, v9, vcc_lo
	s_delay_alu instid0(VALU_DEP_2) | instskip(NEXT) | instid1(VALU_DEP_2)
	v_and_b32_e32 v5, 0x80000000, v5
	v_lshlrev_b32_e32 v3, 21, v3
	s_delay_alu instid0(VALU_DEP_3) | instskip(NEXT) | instid1(VALU_DEP_1)
	v_lshl_add_u32 v7, v9, 23, 0x37800000
	v_or3_b32 v3, v5, v7, v3
	s_delay_alu instid0(VALU_DEP_1)
	v_cvt_i32_f32_e32 v3, v3
.LBB23_1531:
	s_or_b32 exec_lo, exec_lo, s50
	s_mov_b32 s50, 0
	s_branch .LBB23_1537
.LBB23_1532:
	s_mov_b32 s51, -1
                                        ; implicit-def: $vgpr3
	s_branch .LBB23_1543
.LBB23_1533:
	s_and_not1_saveexec_b32 s50, s50
	s_cbranch_execz .LBB23_1518
.LBB23_1534:
	v_cmp_ne_u16_e32 vcc_lo, 0, v5
	s_and_not1_b32 s4, s51, exec_lo
	s_and_b32 s5, vcc_lo, exec_lo
	s_delay_alu instid0(SALU_CYCLE_1)
	s_or_b32 s51, s4, s5
	s_or_b32 exec_lo, exec_lo, s50
	v_mov_b32_e32 v3, 0
	s_and_saveexec_b32 s50, s51
	s_cbranch_execnz .LBB23_1519
	s_branch .LBB23_1520
.LBB23_1535:
	s_mov_b32 s50, -1
                                        ; implicit-def: $vgpr3
	s_branch .LBB23_1540
.LBB23_1536:
	s_mov_b32 s50, -1
                                        ; implicit-def: $vgpr3
.LBB23_1537:
	s_delay_alu instid0(SALU_CYCLE_1)
	s_and_b32 vcc_lo, exec_lo, s50
	s_cbranch_vccz .LBB23_1539
; %bb.1538:
	s_wait_loadcnt 0x0
	global_load_u8 v3, v[10:11], off
	s_wait_loadcnt 0x0
	v_lshlrev_b32_e32 v3, 24, v3
	s_delay_alu instid0(VALU_DEP_1) | instskip(NEXT) | instid1(VALU_DEP_1)
	v_and_b32_e32 v5, 0x7f000000, v3
	v_clz_i32_u32_e32 v7, v5
	v_cmp_ne_u32_e32 vcc_lo, 0, v5
	v_add_nc_u32_e32 v12, 0x1000000, v5
	s_delay_alu instid0(VALU_DEP_3) | instskip(NEXT) | instid1(VALU_DEP_1)
	v_min_u32_e32 v7, 32, v7
	v_sub_nc_u32_e64 v7, v7, 4 clamp
	s_delay_alu instid0(VALU_DEP_1) | instskip(NEXT) | instid1(VALU_DEP_1)
	v_dual_lshlrev_b32 v9, v7, v5 :: v_dual_lshlrev_b32 v7, 23, v7
	v_lshrrev_b32_e32 v9, 4, v9
	s_delay_alu instid0(VALU_DEP_1) | instskip(NEXT) | instid1(VALU_DEP_1)
	v_dual_sub_nc_u32 v7, v9, v7 :: v_dual_ashrrev_i32 v9, 8, v12
	v_add_nc_u32_e32 v7, 0x3c000000, v7
	s_delay_alu instid0(VALU_DEP_1) | instskip(NEXT) | instid1(VALU_DEP_1)
	v_and_or_b32 v7, 0x7f800000, v9, v7
	v_cndmask_b32_e32 v5, 0, v7, vcc_lo
	s_delay_alu instid0(VALU_DEP_1) | instskip(NEXT) | instid1(VALU_DEP_1)
	v_and_or_b32 v3, 0x80000000, v3, v5
	v_cvt_i32_f32_e32 v3, v3
.LBB23_1539:
	s_mov_b32 s50, 0
.LBB23_1540:
	s_delay_alu instid0(SALU_CYCLE_1)
	s_and_not1_b32 vcc_lo, exec_lo, s50
	s_cbranch_vccnz .LBB23_1542
; %bb.1541:
	s_wait_loadcnt 0x0
	global_load_u8 v3, v[10:11], off
	s_wait_loadcnt 0x0
	v_lshlrev_b32_e32 v5, 25, v3
	v_lshlrev_b16 v3, 8, v3
	s_delay_alu instid0(VALU_DEP_1) | instskip(SKIP_1) | instid1(VALU_DEP_2)
	v_and_or_b32 v9, 0x7f00, v3, 0.5
	v_bfe_i32 v3, v3, 0, 16
	v_add_f32_e32 v9, -0.5, v9
	v_lshrrev_b32_e32 v7, 4, v5
	v_cmp_gt_u32_e32 vcc_lo, 0x8000000, v5
	s_delay_alu instid0(VALU_DEP_2) | instskip(NEXT) | instid1(VALU_DEP_1)
	v_or_b32_e32 v7, 0x70000000, v7
	v_mul_f32_e32 v7, 0x7800000, v7
	s_delay_alu instid0(VALU_DEP_1) | instskip(NEXT) | instid1(VALU_DEP_1)
	v_cndmask_b32_e32 v5, v7, v9, vcc_lo
	v_and_or_b32 v3, 0x80000000, v3, v5
	s_delay_alu instid0(VALU_DEP_1)
	v_cvt_i32_f32_e32 v3, v3
.LBB23_1542:
	s_mov_b32 s51, 0
	s_mov_b32 s50, -1
.LBB23_1543:
	s_and_not1_b32 vcc_lo, exec_lo, s51
	s_cbranch_vccnz .LBB23_1556
; %bb.1544:
	s_cmp_gt_i32 s35, 14
	s_cbranch_scc0 .LBB23_1547
; %bb.1545:
	s_cmp_eq_u32 s35, 15
	s_cbranch_scc0 .LBB23_1550
; %bb.1546:
	s_wait_loadcnt 0x0
	global_load_u16 v3, v[10:11], off
	s_mov_b32 s50, -1
	s_mov_b32 s99, 0
	s_wait_loadcnt 0x0
	v_lshlrev_b32_e32 v3, 16, v3
	s_delay_alu instid0(VALU_DEP_1)
	v_cvt_i32_f32_e32 v3, v3
	s_branch .LBB23_1551
.LBB23_1547:
	s_mov_b32 s51, -1
                                        ; implicit-def: $vgpr3
	s_branch .LBB23_1552
.LBB23_1548:
	s_and_not1_saveexec_b32 s50, s50
	s_cbranch_execz .LBB23_1529
.LBB23_1549:
	v_cmp_ne_u16_e32 vcc_lo, 0, v5
	s_and_not1_b32 s4, s51, exec_lo
	s_and_b32 s5, vcc_lo, exec_lo
	s_delay_alu instid0(SALU_CYCLE_1)
	s_or_b32 s51, s4, s5
	s_or_b32 exec_lo, exec_lo, s50
	v_mov_b32_e32 v3, 0
	s_and_saveexec_b32 s50, s51
	s_cbranch_execnz .LBB23_1530
	s_branch .LBB23_1531
.LBB23_1550:
	s_mov_b32 s99, -1
                                        ; implicit-def: $vgpr3
.LBB23_1551:
	s_mov_b32 s51, 0
.LBB23_1552:
	s_delay_alu instid0(SALU_CYCLE_1)
	s_and_b32 vcc_lo, exec_lo, s51
	s_cbranch_vccz .LBB23_1556
; %bb.1553:
	s_cmp_eq_u32 s35, 11
	s_cbranch_scc0 .LBB23_1555
; %bb.1554:
	s_wait_loadcnt 0x0
	global_load_u8 v3, v[10:11], off
	s_mov_b32 s99, 0
	s_mov_b32 s50, -1
	s_wait_loadcnt 0x0
	v_cmp_ne_u16_e32 vcc_lo, 0, v3
	v_cndmask_b32_e64 v3, 0, 1, vcc_lo
	s_branch .LBB23_1556
.LBB23_1555:
	s_mov_b32 s99, -1
                                        ; implicit-def: $vgpr3
.LBB23_1556:
	s_mov_b32 s35, 0
.LBB23_1557:
	s_delay_alu instid0(SALU_CYCLE_1)
	s_and_b32 vcc_lo, exec_lo, s35
	s_cbranch_vccz .LBB23_1606
; %bb.1558:
	s_and_b32 s0, 0xffff, s0
	s_delay_alu instid0(SALU_CYCLE_1)
	s_cmp_lt_i32 s0, 5
	s_cbranch_scc1 .LBB23_1563
; %bb.1559:
	s_cmp_lt_i32 s0, 8
	s_cbranch_scc1 .LBB23_1564
; %bb.1560:
	;; [unrolled: 3-line block ×3, first 2 shown]
	s_cmp_gt_i32 s0, 9
	s_cbranch_scc0 .LBB23_1566
; %bb.1562:
	global_load_b64 v[12:13], v[10:11], off
	s_mov_b32 s35, 0
	s_wait_loadcnt 0x0
	v_cvt_i32_f64_e32 v3, v[12:13]
	s_branch .LBB23_1567
.LBB23_1563:
	s_mov_b32 s35, -1
                                        ; implicit-def: $vgpr3
	s_branch .LBB23_1585
.LBB23_1564:
	s_mov_b32 s35, -1
                                        ; implicit-def: $vgpr3
	s_branch .LBB23_1573
.LBB23_1565:
	s_mov_b32 s35, -1
                                        ; implicit-def: $vgpr3
	s_branch .LBB23_1570
.LBB23_1566:
	s_mov_b32 s35, -1
                                        ; implicit-def: $vgpr3
.LBB23_1567:
	s_delay_alu instid0(SALU_CYCLE_1)
	s_and_not1_b32 vcc_lo, exec_lo, s35
	s_cbranch_vccnz .LBB23_1569
; %bb.1568:
	s_wait_loadcnt 0x0
	global_load_b32 v3, v[10:11], off
	s_wait_loadcnt 0x0
	v_cvt_i32_f32_e32 v3, v3
.LBB23_1569:
	s_mov_b32 s35, 0
.LBB23_1570:
	s_delay_alu instid0(SALU_CYCLE_1)
	s_and_not1_b32 vcc_lo, exec_lo, s35
	s_cbranch_vccnz .LBB23_1572
; %bb.1571:
	s_wait_loadcnt 0x0
	global_load_b32 v3, v[10:11], off
	s_wait_loadcnt 0x0
	v_cvt_f32_f16_e32 v3, v3
	s_delay_alu instid0(VALU_DEP_1)
	v_cvt_i32_f32_e32 v3, v3
.LBB23_1572:
	s_mov_b32 s35, 0
.LBB23_1573:
	s_delay_alu instid0(SALU_CYCLE_1)
	s_and_not1_b32 vcc_lo, exec_lo, s35
	s_cbranch_vccnz .LBB23_1584
; %bb.1574:
	s_cmp_lt_i32 s0, 6
	s_cbranch_scc1 .LBB23_1577
; %bb.1575:
	s_cmp_gt_i32 s0, 6
	s_cbranch_scc0 .LBB23_1578
; %bb.1576:
	global_load_b64 v[12:13], v[10:11], off
	s_mov_b32 s35, 0
	s_wait_loadcnt 0x0
	v_cvt_i32_f64_e32 v3, v[12:13]
	s_branch .LBB23_1579
.LBB23_1577:
	s_mov_b32 s35, -1
                                        ; implicit-def: $vgpr3
	s_branch .LBB23_1582
.LBB23_1578:
	s_mov_b32 s35, -1
                                        ; implicit-def: $vgpr3
.LBB23_1579:
	s_delay_alu instid0(SALU_CYCLE_1)
	s_and_not1_b32 vcc_lo, exec_lo, s35
	s_cbranch_vccnz .LBB23_1581
; %bb.1580:
	s_wait_loadcnt 0x0
	global_load_b32 v3, v[10:11], off
	s_wait_loadcnt 0x0
	v_cvt_i32_f32_e32 v3, v3
.LBB23_1581:
	s_mov_b32 s35, 0
.LBB23_1582:
	s_delay_alu instid0(SALU_CYCLE_1)
	s_and_not1_b32 vcc_lo, exec_lo, s35
	s_cbranch_vccnz .LBB23_1584
; %bb.1583:
	s_wait_loadcnt 0x0
	global_load_u16 v3, v[10:11], off
	s_wait_loadcnt 0x0
	v_cvt_f32_f16_e32 v3, v3
	s_delay_alu instid0(VALU_DEP_1)
	v_cvt_i32_f32_e32 v3, v3
.LBB23_1584:
	s_mov_b32 s35, 0
.LBB23_1585:
	s_delay_alu instid0(SALU_CYCLE_1)
	s_and_not1_b32 vcc_lo, exec_lo, s35
	s_cbranch_vccnz .LBB23_1605
; %bb.1586:
	s_cmp_lt_i32 s0, 2
	s_cbranch_scc1 .LBB23_1590
; %bb.1587:
	s_cmp_lt_i32 s0, 3
	s_cbranch_scc1 .LBB23_1591
; %bb.1588:
	s_cmp_gt_i32 s0, 3
	s_cbranch_scc0 .LBB23_1592
; %bb.1589:
	s_wait_loadcnt 0x0
	global_load_b32 v3, v[10:11], off
	s_mov_b32 s35, 0
	s_branch .LBB23_1593
.LBB23_1590:
	s_mov_b32 s35, -1
                                        ; implicit-def: $vgpr3
	s_branch .LBB23_1599
.LBB23_1591:
	s_mov_b32 s35, -1
                                        ; implicit-def: $vgpr3
	s_branch .LBB23_1596
.LBB23_1592:
	s_mov_b32 s35, -1
                                        ; implicit-def: $vgpr3
.LBB23_1593:
	s_delay_alu instid0(SALU_CYCLE_1)
	s_and_not1_b32 vcc_lo, exec_lo, s35
	s_cbranch_vccnz .LBB23_1595
; %bb.1594:
	s_wait_loadcnt 0x0
	global_load_b32 v3, v[10:11], off
.LBB23_1595:
	s_mov_b32 s35, 0
.LBB23_1596:
	s_delay_alu instid0(SALU_CYCLE_1)
	s_and_not1_b32 vcc_lo, exec_lo, s35
	s_cbranch_vccnz .LBB23_1598
; %bb.1597:
	s_wait_loadcnt 0x0
	global_load_i16 v3, v[10:11], off
.LBB23_1598:
	s_mov_b32 s35, 0
.LBB23_1599:
	s_delay_alu instid0(SALU_CYCLE_1)
	s_and_not1_b32 vcc_lo, exec_lo, s35
	s_cbranch_vccnz .LBB23_1605
; %bb.1600:
	s_cmp_gt_i32 s0, 0
	s_mov_b32 s0, 0
	s_cbranch_scc0 .LBB23_1602
; %bb.1601:
	s_wait_loadcnt 0x0
	global_load_i8 v3, v[10:11], off
	s_branch .LBB23_1603
.LBB23_1602:
	s_mov_b32 s0, -1
                                        ; implicit-def: $vgpr3
.LBB23_1603:
	s_delay_alu instid0(SALU_CYCLE_1)
	s_and_not1_b32 vcc_lo, exec_lo, s0
	s_cbranch_vccnz .LBB23_1605
; %bb.1604:
	s_wait_loadcnt 0x0
	global_load_u8 v3, v[10:11], off
.LBB23_1605:
	s_mov_b32 s50, -1
.LBB23_1606:
	s_delay_alu instid0(SALU_CYCLE_1)
	s_and_not1_b32 vcc_lo, exec_lo, s50
	s_cbranch_vccnz .LBB23_1614
; %bb.1607:
	s_load_b256 s[4:11], s[2:3], 0x248
	v_mov_b32_e32 v9, 0
	s_and_b32 s0, s44, 0xff
	s_delay_alu instid0(SALU_CYCLE_1) | instskip(SKIP_1) | instid1(VALU_DEP_1)
	s_cmp_lt_i32 s0, 11
	s_wait_kmcnt 0x0
	v_add_nc_u64_e32 v[10:11], s[10:11], v[8:9]
	s_cbranch_scc1 .LBB23_1615
; %bb.1608:
	s_and_b32 s35, 0xffff, s0
	s_delay_alu instid0(SALU_CYCLE_1)
	s_cmp_gt_i32 s35, 25
	s_cbranch_scc0 .LBB23_1616
; %bb.1609:
	s_cmp_gt_i32 s35, 28
	s_cbranch_scc0 .LBB23_1617
; %bb.1610:
	;; [unrolled: 3-line block ×4, first 2 shown]
	s_cmp_eq_u32 s35, 46
	s_mov_b32 s51, 0
	s_cbranch_scc0 .LBB23_1621
; %bb.1613:
	global_load_b32 v5, v[10:11], off
	s_mov_b32 s50, -1
	s_mov_b32 s100, 0
	s_wait_loadcnt 0x0
	v_lshlrev_b32_e32 v5, 16, v5
	s_delay_alu instid0(VALU_DEP_1)
	v_cvt_i32_f32_e32 v8, v5
	s_branch .LBB23_1623
.LBB23_1614:
	s_mov_b32 s0, 0
	s_mov_b32 s35, s67
	;; [unrolled: 1-line block ×9, first 2 shown]
	s_branch .LBB23_2085
.LBB23_1615:
	s_mov_b32 s35, -1
	s_mov_b32 s50, 0
	s_mov_b32 s100, s87
                                        ; implicit-def: $vgpr8
	s_branch .LBB23_1684
.LBB23_1616:
	s_mov_b32 s51, -1
	s_mov_b32 s50, 0
	s_mov_b32 s100, s87
                                        ; implicit-def: $vgpr8
	s_branch .LBB23_1650
.LBB23_1617:
	s_mov_b32 s51, -1
	s_mov_b32 s50, 0
	s_mov_b32 s100, s87
                                        ; implicit-def: $vgpr8
	s_branch .LBB23_1633
.LBB23_1618:
	s_mov_b32 s51, -1
	s_mov_b32 s50, 0
	s_mov_b32 s100, s87
                                        ; implicit-def: $vgpr8
	s_branch .LBB23_1628
.LBB23_1619:
	s_mov_b32 s51, -1
	s_mov_b32 s50, 0
	s_mov_b32 s100, s87
	s_branch .LBB23_1622
.LBB23_1620:
	s_mov_b32 s54, -1
	s_mov_b32 s53, 0
	s_mov_b32 s50, s60
	s_branch .LBB23_3624
.LBB23_1621:
	s_mov_b32 s100, -1
	s_mov_b32 s50, 0
.LBB23_1622:
                                        ; implicit-def: $vgpr8
.LBB23_1623:
	s_and_b32 vcc_lo, exec_lo, s51
	s_cbranch_vccz .LBB23_1627
; %bb.1624:
	s_cmp_eq_u32 s35, 44
	s_cbranch_scc0 .LBB23_1626
; %bb.1625:
	global_load_u8 v5, v[10:11], off
	s_mov_b32 s100, 0
	s_mov_b32 s50, -1
	s_wait_loadcnt 0x0
	v_lshlrev_b32_e32 v7, 23, v5
	v_cmp_ne_u32_e32 vcc_lo, 0, v5
	s_delay_alu instid0(VALU_DEP_2) | instskip(NEXT) | instid1(VALU_DEP_1)
	v_cvt_i32_f32_e32 v7, v7
	v_cndmask_b32_e32 v8, 0, v7, vcc_lo
	s_branch .LBB23_1627
.LBB23_1626:
	s_mov_b32 s100, -1
                                        ; implicit-def: $vgpr8
.LBB23_1627:
	s_mov_b32 s51, 0
.LBB23_1628:
	s_delay_alu instid0(SALU_CYCLE_1)
	s_and_b32 vcc_lo, exec_lo, s51
	s_cbranch_vccz .LBB23_1632
; %bb.1629:
	s_cmp_eq_u32 s35, 29
	s_cbranch_scc0 .LBB23_1631
; %bb.1630:
	global_load_b32 v8, v[10:11], off
	s_mov_b32 s50, -1
	s_mov_b32 s100, 0
	s_branch .LBB23_1632
.LBB23_1631:
	s_mov_b32 s100, -1
                                        ; implicit-def: $vgpr8
.LBB23_1632:
	s_mov_b32 s51, 0
.LBB23_1633:
	s_delay_alu instid0(SALU_CYCLE_1)
	s_and_b32 vcc_lo, exec_lo, s51
	s_cbranch_vccz .LBB23_1649
; %bb.1634:
	s_cmp_lt_i32 s35, 27
	s_cbranch_scc1 .LBB23_1637
; %bb.1635:
	s_cmp_gt_i32 s35, 27
	s_cbranch_scc0 .LBB23_1638
; %bb.1636:
	s_wait_loadcnt 0x0
	global_load_b32 v8, v[10:11], off
	s_mov_b32 s50, 0
	s_branch .LBB23_1639
.LBB23_1637:
	s_mov_b32 s50, -1
                                        ; implicit-def: $vgpr8
	s_branch .LBB23_1642
.LBB23_1638:
	s_mov_b32 s50, -1
                                        ; implicit-def: $vgpr8
.LBB23_1639:
	s_delay_alu instid0(SALU_CYCLE_1)
	s_and_not1_b32 vcc_lo, exec_lo, s50
	s_cbranch_vccnz .LBB23_1641
; %bb.1640:
	s_wait_loadcnt 0x0
	global_load_u16 v8, v[10:11], off
.LBB23_1641:
	s_mov_b32 s50, 0
.LBB23_1642:
	s_delay_alu instid0(SALU_CYCLE_1)
	s_and_not1_b32 vcc_lo, exec_lo, s50
	s_cbranch_vccnz .LBB23_1648
; %bb.1643:
	global_load_u8 v5, v[10:11], off
	s_mov_b32 s51, 0
	s_mov_b32 s4, exec_lo
	s_wait_loadcnt 0x0
	v_cmpx_lt_i16_e32 0x7f, v5
	s_xor_b32 s50, exec_lo, s4
	s_cbranch_execz .LBB23_1660
; %bb.1644:
	v_cmp_ne_u16_e32 vcc_lo, 0x80, v5
	s_and_b32 s51, vcc_lo, exec_lo
	s_and_not1_saveexec_b32 s50, s50
	s_cbranch_execnz .LBB23_1661
.LBB23_1645:
	s_or_b32 exec_lo, exec_lo, s50
	v_mov_b32_e32 v8, 0
	s_and_saveexec_b32 s50, s51
	s_cbranch_execz .LBB23_1647
.LBB23_1646:
	v_and_b32_e32 v7, 0xffff, v5
	s_delay_alu instid0(VALU_DEP_1) | instskip(SKIP_1) | instid1(VALU_DEP_2)
	v_and_b32_e32 v8, 7, v7
	v_bfe_u32 v13, v7, 3, 4
	v_clz_i32_u32_e32 v9, v8
	s_delay_alu instid0(VALU_DEP_2) | instskip(NEXT) | instid1(VALU_DEP_2)
	v_cmp_eq_u32_e32 vcc_lo, 0, v13
	v_min_u32_e32 v9, 32, v9
	s_delay_alu instid0(VALU_DEP_1) | instskip(NEXT) | instid1(VALU_DEP_1)
	v_subrev_nc_u32_e32 v12, 28, v9
	v_dual_lshlrev_b32 v7, v12, v7 :: v_dual_sub_nc_u32 v9, 29, v9
	s_delay_alu instid0(VALU_DEP_1) | instskip(NEXT) | instid1(VALU_DEP_1)
	v_dual_lshlrev_b32 v5, 24, v5 :: v_dual_bitop2_b32 v7, 7, v7 bitop3:0x40
	v_dual_cndmask_b32 v7, v8, v7, vcc_lo :: v_dual_cndmask_b32 v9, v13, v9, vcc_lo
	s_delay_alu instid0(VALU_DEP_2) | instskip(NEXT) | instid1(VALU_DEP_2)
	v_and_b32_e32 v5, 0x80000000, v5
	v_lshlrev_b32_e32 v7, 20, v7
	s_delay_alu instid0(VALU_DEP_3) | instskip(NEXT) | instid1(VALU_DEP_1)
	v_lshl_add_u32 v8, v9, 23, 0x3b800000
	v_or3_b32 v5, v5, v8, v7
	s_delay_alu instid0(VALU_DEP_1)
	v_cvt_i32_f32_e32 v8, v5
.LBB23_1647:
	s_or_b32 exec_lo, exec_lo, s50
.LBB23_1648:
	s_mov_b32 s50, -1
.LBB23_1649:
	s_mov_b32 s51, 0
.LBB23_1650:
	s_delay_alu instid0(SALU_CYCLE_1)
	s_and_b32 vcc_lo, exec_lo, s51
	s_cbranch_vccz .LBB23_1683
; %bb.1651:
	s_cmp_gt_i32 s35, 22
	s_cbranch_scc0 .LBB23_1659
; %bb.1652:
	s_cmp_lt_i32 s35, 24
	s_cbranch_scc1 .LBB23_1662
; %bb.1653:
	s_cmp_gt_i32 s35, 24
	s_cbranch_scc0 .LBB23_1663
; %bb.1654:
	global_load_u8 v5, v[10:11], off
	s_mov_b32 s51, 0
	s_mov_b32 s4, exec_lo
	s_wait_loadcnt 0x0
	v_cmpx_lt_i16_e32 0x7f, v5
	s_xor_b32 s50, exec_lo, s4
	s_cbranch_execz .LBB23_1675
; %bb.1655:
	v_cmp_ne_u16_e32 vcc_lo, 0x80, v5
	s_and_b32 s51, vcc_lo, exec_lo
	s_and_not1_saveexec_b32 s50, s50
	s_cbranch_execnz .LBB23_1676
.LBB23_1656:
	s_or_b32 exec_lo, exec_lo, s50
	v_mov_b32_e32 v8, 0
	s_and_saveexec_b32 s50, s51
	s_cbranch_execz .LBB23_1658
.LBB23_1657:
	v_and_b32_e32 v7, 0xffff, v5
	s_delay_alu instid0(VALU_DEP_1) | instskip(SKIP_1) | instid1(VALU_DEP_2)
	v_and_b32_e32 v8, 3, v7
	v_bfe_u32 v13, v7, 2, 5
	v_clz_i32_u32_e32 v9, v8
	s_delay_alu instid0(VALU_DEP_2) | instskip(NEXT) | instid1(VALU_DEP_2)
	v_cmp_eq_u32_e32 vcc_lo, 0, v13
	v_min_u32_e32 v9, 32, v9
	s_delay_alu instid0(VALU_DEP_1) | instskip(NEXT) | instid1(VALU_DEP_1)
	v_subrev_nc_u32_e32 v12, 29, v9
	v_dual_lshlrev_b32 v7, v12, v7 :: v_dual_sub_nc_u32 v9, 30, v9
	s_delay_alu instid0(VALU_DEP_1) | instskip(NEXT) | instid1(VALU_DEP_1)
	v_dual_lshlrev_b32 v5, 24, v5 :: v_dual_bitop2_b32 v7, 3, v7 bitop3:0x40
	v_dual_cndmask_b32 v7, v8, v7, vcc_lo :: v_dual_cndmask_b32 v9, v13, v9, vcc_lo
	s_delay_alu instid0(VALU_DEP_2) | instskip(NEXT) | instid1(VALU_DEP_2)
	v_and_b32_e32 v5, 0x80000000, v5
	v_lshlrev_b32_e32 v7, 21, v7
	s_delay_alu instid0(VALU_DEP_3) | instskip(NEXT) | instid1(VALU_DEP_1)
	v_lshl_add_u32 v8, v9, 23, 0x37800000
	v_or3_b32 v5, v5, v8, v7
	s_delay_alu instid0(VALU_DEP_1)
	v_cvt_i32_f32_e32 v8, v5
.LBB23_1658:
	s_or_b32 exec_lo, exec_lo, s50
	s_mov_b32 s50, 0
	s_branch .LBB23_1664
.LBB23_1659:
	s_mov_b32 s51, -1
                                        ; implicit-def: $vgpr8
	s_branch .LBB23_1670
.LBB23_1660:
	s_and_not1_saveexec_b32 s50, s50
	s_cbranch_execz .LBB23_1645
.LBB23_1661:
	v_cmp_ne_u16_e32 vcc_lo, 0, v5
	s_and_not1_b32 s4, s51, exec_lo
	s_and_b32 s5, vcc_lo, exec_lo
	s_delay_alu instid0(SALU_CYCLE_1)
	s_or_b32 s51, s4, s5
	s_or_b32 exec_lo, exec_lo, s50
	v_mov_b32_e32 v8, 0
	s_and_saveexec_b32 s50, s51
	s_cbranch_execnz .LBB23_1646
	s_branch .LBB23_1647
.LBB23_1662:
	s_mov_b32 s50, -1
                                        ; implicit-def: $vgpr8
	s_branch .LBB23_1667
.LBB23_1663:
	s_mov_b32 s50, -1
                                        ; implicit-def: $vgpr8
.LBB23_1664:
	s_delay_alu instid0(SALU_CYCLE_1)
	s_and_b32 vcc_lo, exec_lo, s50
	s_cbranch_vccz .LBB23_1666
; %bb.1665:
	global_load_u8 v5, v[10:11], off
	s_wait_loadcnt 0x0
	v_lshlrev_b32_e32 v5, 24, v5
	s_delay_alu instid0(VALU_DEP_1) | instskip(NEXT) | instid1(VALU_DEP_1)
	v_and_b32_e32 v7, 0x7f000000, v5
	v_clz_i32_u32_e32 v8, v7
	v_cmp_ne_u32_e32 vcc_lo, 0, v7
	v_add_nc_u32_e32 v12, 0x1000000, v7
	s_delay_alu instid0(VALU_DEP_3) | instskip(NEXT) | instid1(VALU_DEP_1)
	v_min_u32_e32 v8, 32, v8
	v_sub_nc_u32_e64 v8, v8, 4 clamp
	s_delay_alu instid0(VALU_DEP_1) | instskip(NEXT) | instid1(VALU_DEP_1)
	v_dual_lshlrev_b32 v9, v8, v7 :: v_dual_lshlrev_b32 v8, 23, v8
	v_lshrrev_b32_e32 v9, 4, v9
	s_delay_alu instid0(VALU_DEP_1) | instskip(SKIP_1) | instid1(VALU_DEP_2)
	v_sub_nc_u32_e32 v8, v9, v8
	v_ashrrev_i32_e32 v9, 8, v12
	v_add_nc_u32_e32 v8, 0x3c000000, v8
	s_delay_alu instid0(VALU_DEP_1) | instskip(NEXT) | instid1(VALU_DEP_1)
	v_and_or_b32 v8, 0x7f800000, v9, v8
	v_cndmask_b32_e32 v7, 0, v8, vcc_lo
	s_delay_alu instid0(VALU_DEP_1) | instskip(NEXT) | instid1(VALU_DEP_1)
	v_and_or_b32 v5, 0x80000000, v5, v7
	v_cvt_i32_f32_e32 v8, v5
.LBB23_1666:
	s_mov_b32 s50, 0
.LBB23_1667:
	s_delay_alu instid0(SALU_CYCLE_1)
	s_and_not1_b32 vcc_lo, exec_lo, s50
	s_cbranch_vccnz .LBB23_1669
; %bb.1668:
	global_load_u8 v5, v[10:11], off
	s_wait_loadcnt 0x0
	v_lshlrev_b32_e32 v7, 25, v5
	v_lshlrev_b16 v5, 8, v5
	s_delay_alu instid0(VALU_DEP_1) | instskip(NEXT) | instid1(VALU_DEP_3)
	v_and_or_b32 v9, 0x7f00, v5, 0.5
	v_lshrrev_b32_e32 v8, 4, v7
	v_bfe_i32 v5, v5, 0, 16
	s_delay_alu instid0(VALU_DEP_3) | instskip(NEXT) | instid1(VALU_DEP_3)
	v_add_f32_e32 v9, -0.5, v9
	v_or_b32_e32 v8, 0x70000000, v8
	s_delay_alu instid0(VALU_DEP_1) | instskip(SKIP_1) | instid1(VALU_DEP_2)
	v_mul_f32_e32 v8, 0x7800000, v8
	v_cmp_gt_u32_e32 vcc_lo, 0x8000000, v7
	v_cndmask_b32_e32 v7, v8, v9, vcc_lo
	s_delay_alu instid0(VALU_DEP_1) | instskip(NEXT) | instid1(VALU_DEP_1)
	v_and_or_b32 v5, 0x80000000, v5, v7
	v_cvt_i32_f32_e32 v8, v5
.LBB23_1669:
	s_mov_b32 s51, 0
	s_mov_b32 s50, -1
.LBB23_1670:
	s_and_not1_b32 vcc_lo, exec_lo, s51
	s_cbranch_vccnz .LBB23_1683
; %bb.1671:
	s_cmp_gt_i32 s35, 14
	s_cbranch_scc0 .LBB23_1674
; %bb.1672:
	s_cmp_eq_u32 s35, 15
	s_cbranch_scc0 .LBB23_1677
; %bb.1673:
	global_load_u16 v5, v[10:11], off
	s_mov_b32 s50, -1
	s_mov_b32 s100, 0
	s_wait_loadcnt 0x0
	v_lshlrev_b32_e32 v5, 16, v5
	s_delay_alu instid0(VALU_DEP_1)
	v_cvt_i32_f32_e32 v8, v5
	s_branch .LBB23_1678
.LBB23_1674:
	s_mov_b32 s51, -1
                                        ; implicit-def: $vgpr8
	s_branch .LBB23_1679
.LBB23_1675:
	s_and_not1_saveexec_b32 s50, s50
	s_cbranch_execz .LBB23_1656
.LBB23_1676:
	v_cmp_ne_u16_e32 vcc_lo, 0, v5
	s_and_not1_b32 s4, s51, exec_lo
	s_and_b32 s5, vcc_lo, exec_lo
	s_delay_alu instid0(SALU_CYCLE_1)
	s_or_b32 s51, s4, s5
	s_or_b32 exec_lo, exec_lo, s50
	v_mov_b32_e32 v8, 0
	s_and_saveexec_b32 s50, s51
	s_cbranch_execnz .LBB23_1657
	s_branch .LBB23_1658
.LBB23_1677:
	s_mov_b32 s100, -1
                                        ; implicit-def: $vgpr8
.LBB23_1678:
	s_mov_b32 s51, 0
.LBB23_1679:
	s_delay_alu instid0(SALU_CYCLE_1)
	s_and_b32 vcc_lo, exec_lo, s51
	s_cbranch_vccz .LBB23_1683
; %bb.1680:
	s_cmp_eq_u32 s35, 11
	s_cbranch_scc0 .LBB23_1682
; %bb.1681:
	global_load_u8 v5, v[10:11], off
	s_mov_b32 s100, 0
	s_mov_b32 s50, -1
	s_wait_loadcnt 0x0
	v_cmp_ne_u16_e32 vcc_lo, 0, v5
	v_cndmask_b32_e64 v8, 0, 1, vcc_lo
	s_branch .LBB23_1683
.LBB23_1682:
	s_mov_b32 s100, -1
                                        ; implicit-def: $vgpr8
.LBB23_1683:
	s_mov_b32 s35, 0
.LBB23_1684:
	s_delay_alu instid0(SALU_CYCLE_1)
	s_and_b32 vcc_lo, exec_lo, s35
	s_cbranch_vccz .LBB23_1733
; %bb.1685:
	s_and_b32 s0, 0xffff, s0
	s_delay_alu instid0(SALU_CYCLE_1)
	s_cmp_lt_i32 s0, 5
	s_cbranch_scc1 .LBB23_1690
; %bb.1686:
	s_cmp_lt_i32 s0, 8
	s_cbranch_scc1 .LBB23_1691
; %bb.1687:
	;; [unrolled: 3-line block ×3, first 2 shown]
	s_cmp_gt_i32 s0, 9
	s_cbranch_scc0 .LBB23_1693
; %bb.1689:
	s_wait_loadcnt 0x0
	global_load_b64 v[8:9], v[10:11], off
	s_mov_b32 s35, 0
	s_wait_loadcnt 0x0
	v_cvt_i32_f64_e32 v8, v[8:9]
	s_branch .LBB23_1694
.LBB23_1690:
	s_mov_b32 s35, -1
                                        ; implicit-def: $vgpr8
	s_branch .LBB23_1712
.LBB23_1691:
	s_mov_b32 s35, -1
                                        ; implicit-def: $vgpr8
	s_branch .LBB23_1700
.LBB23_1692:
	s_mov_b32 s35, -1
                                        ; implicit-def: $vgpr8
	s_branch .LBB23_1697
.LBB23_1693:
	s_mov_b32 s35, -1
                                        ; implicit-def: $vgpr8
.LBB23_1694:
	s_delay_alu instid0(SALU_CYCLE_1)
	s_and_not1_b32 vcc_lo, exec_lo, s35
	s_cbranch_vccnz .LBB23_1696
; %bb.1695:
	global_load_b32 v5, v[10:11], off
	s_wait_loadcnt 0x0
	v_cvt_i32_f32_e32 v8, v5
.LBB23_1696:
	s_mov_b32 s35, 0
.LBB23_1697:
	s_delay_alu instid0(SALU_CYCLE_1)
	s_and_not1_b32 vcc_lo, exec_lo, s35
	s_cbranch_vccnz .LBB23_1699
; %bb.1698:
	global_load_b32 v5, v[10:11], off
	s_wait_loadcnt 0x0
	v_cvt_f32_f16_e32 v5, v5
	s_delay_alu instid0(VALU_DEP_1)
	v_cvt_i32_f32_e32 v8, v5
.LBB23_1699:
	s_mov_b32 s35, 0
.LBB23_1700:
	s_delay_alu instid0(SALU_CYCLE_1)
	s_and_not1_b32 vcc_lo, exec_lo, s35
	s_cbranch_vccnz .LBB23_1711
; %bb.1701:
	s_cmp_lt_i32 s0, 6
	s_cbranch_scc1 .LBB23_1704
; %bb.1702:
	s_cmp_gt_i32 s0, 6
	s_cbranch_scc0 .LBB23_1705
; %bb.1703:
	s_wait_loadcnt 0x0
	global_load_b64 v[8:9], v[10:11], off
	s_mov_b32 s35, 0
	s_wait_loadcnt 0x0
	v_cvt_i32_f64_e32 v8, v[8:9]
	s_branch .LBB23_1706
.LBB23_1704:
	s_mov_b32 s35, -1
                                        ; implicit-def: $vgpr8
	s_branch .LBB23_1709
.LBB23_1705:
	s_mov_b32 s35, -1
                                        ; implicit-def: $vgpr8
.LBB23_1706:
	s_delay_alu instid0(SALU_CYCLE_1)
	s_and_not1_b32 vcc_lo, exec_lo, s35
	s_cbranch_vccnz .LBB23_1708
; %bb.1707:
	global_load_b32 v5, v[10:11], off
	s_wait_loadcnt 0x0
	v_cvt_i32_f32_e32 v8, v5
.LBB23_1708:
	s_mov_b32 s35, 0
.LBB23_1709:
	s_delay_alu instid0(SALU_CYCLE_1)
	s_and_not1_b32 vcc_lo, exec_lo, s35
	s_cbranch_vccnz .LBB23_1711
; %bb.1710:
	global_load_u16 v5, v[10:11], off
	s_wait_loadcnt 0x0
	v_cvt_f32_f16_e32 v5, v5
	s_delay_alu instid0(VALU_DEP_1)
	v_cvt_i32_f32_e32 v8, v5
.LBB23_1711:
	s_mov_b32 s35, 0
.LBB23_1712:
	s_delay_alu instid0(SALU_CYCLE_1)
	s_and_not1_b32 vcc_lo, exec_lo, s35
	s_cbranch_vccnz .LBB23_1732
; %bb.1713:
	s_cmp_lt_i32 s0, 2
	s_cbranch_scc1 .LBB23_1717
; %bb.1714:
	s_cmp_lt_i32 s0, 3
	s_cbranch_scc1 .LBB23_1718
; %bb.1715:
	s_cmp_gt_i32 s0, 3
	s_cbranch_scc0 .LBB23_1719
; %bb.1716:
	s_wait_loadcnt 0x0
	global_load_b32 v8, v[10:11], off
	s_mov_b32 s35, 0
	s_branch .LBB23_1720
.LBB23_1717:
	s_mov_b32 s35, -1
                                        ; implicit-def: $vgpr8
	s_branch .LBB23_1726
.LBB23_1718:
	s_mov_b32 s35, -1
                                        ; implicit-def: $vgpr8
	s_branch .LBB23_1723
.LBB23_1719:
	s_mov_b32 s35, -1
                                        ; implicit-def: $vgpr8
.LBB23_1720:
	s_delay_alu instid0(SALU_CYCLE_1)
	s_and_not1_b32 vcc_lo, exec_lo, s35
	s_cbranch_vccnz .LBB23_1722
; %bb.1721:
	s_wait_loadcnt 0x0
	global_load_b32 v8, v[10:11], off
.LBB23_1722:
	s_mov_b32 s35, 0
.LBB23_1723:
	s_delay_alu instid0(SALU_CYCLE_1)
	s_and_not1_b32 vcc_lo, exec_lo, s35
	s_cbranch_vccnz .LBB23_1725
; %bb.1724:
	s_wait_loadcnt 0x0
	global_load_i16 v8, v[10:11], off
.LBB23_1725:
	s_mov_b32 s35, 0
.LBB23_1726:
	s_delay_alu instid0(SALU_CYCLE_1)
	s_and_not1_b32 vcc_lo, exec_lo, s35
	s_cbranch_vccnz .LBB23_1732
; %bb.1727:
	s_cmp_gt_i32 s0, 0
	s_mov_b32 s0, 0
	s_cbranch_scc0 .LBB23_1729
; %bb.1728:
	s_wait_loadcnt 0x0
	global_load_i8 v8, v[10:11], off
	s_branch .LBB23_1730
.LBB23_1729:
	s_mov_b32 s0, -1
                                        ; implicit-def: $vgpr8
.LBB23_1730:
	s_delay_alu instid0(SALU_CYCLE_1)
	s_and_not1_b32 vcc_lo, exec_lo, s0
	s_cbranch_vccnz .LBB23_1732
; %bb.1731:
	s_wait_loadcnt 0x0
	global_load_u8 v8, v[10:11], off
.LBB23_1732:
	s_mov_b32 s50, -1
.LBB23_1733:
	s_delay_alu instid0(SALU_CYCLE_1)
	s_and_not1_b32 vcc_lo, exec_lo, s50
	s_cbranch_vccnz .LBB23_1741
; %bb.1734:
	v_mov_b32_e32 v7, 0
	s_and_b32 s0, s23, 0xff
	s_delay_alu instid0(SALU_CYCLE_1) | instskip(SKIP_1) | instid1(VALU_DEP_1)
	s_cmp_lt_i32 s0, 11
	s_wait_xcnt 0x0
	v_add_nc_u64_e32 v[10:11], s[28:29], v[6:7]
	s_cbranch_scc1 .LBB23_1742
; %bb.1735:
	s_and_b32 s35, 0xffff, s0
	s_delay_alu instid0(SALU_CYCLE_1)
	s_cmp_gt_i32 s35, 25
	s_cbranch_scc0 .LBB23_1743
; %bb.1736:
	s_cmp_gt_i32 s35, 28
	s_cbranch_scc0 .LBB23_1744
; %bb.1737:
	;; [unrolled: 3-line block ×4, first 2 shown]
	s_cmp_eq_u32 s35, 46
	s_mov_b32 s51, 0
	s_cbranch_scc0 .LBB23_1748
; %bb.1740:
	global_load_b32 v5, v[10:11], off
	s_mov_b32 s50, -1
	s_mov_b32 s101, 0
	s_wait_loadcnt 0x0
	v_lshlrev_b32_e32 v5, 16, v5
	s_delay_alu instid0(VALU_DEP_1)
	v_cvt_i32_f32_e32 v6, v5
	s_branch .LBB23_1750
.LBB23_1741:
	s_mov_b32 s0, 0
	s_mov_b32 s35, s67
	;; [unrolled: 1-line block ×8, first 2 shown]
	s_branch .LBB23_2085
.LBB23_1742:
	s_mov_b32 s35, -1
	s_mov_b32 s50, 0
	s_mov_b32 s101, s90
                                        ; implicit-def: $vgpr6
	s_branch .LBB23_1811
.LBB23_1743:
	s_mov_b32 s51, -1
	s_mov_b32 s50, 0
	s_mov_b32 s101, s90
                                        ; implicit-def: $vgpr6
	s_branch .LBB23_1777
.LBB23_1744:
	s_mov_b32 s51, -1
	s_mov_b32 s50, 0
	s_mov_b32 s101, s90
                                        ; implicit-def: $vgpr6
	s_branch .LBB23_1760
.LBB23_1745:
	s_mov_b32 s51, -1
	s_mov_b32 s50, 0
	s_mov_b32 s101, s90
                                        ; implicit-def: $vgpr6
	s_branch .LBB23_1755
.LBB23_1746:
	s_mov_b32 s51, -1
	s_mov_b32 s50, 0
	s_mov_b32 s101, s90
	s_branch .LBB23_1749
.LBB23_1747:
	s_mov_b32 s54, -1
	s_mov_b32 s53, 0
	s_mov_b32 s50, s60
	s_branch .LBB23_3613
.LBB23_1748:
	s_mov_b32 s101, -1
	s_mov_b32 s50, 0
.LBB23_1749:
                                        ; implicit-def: $vgpr6
.LBB23_1750:
	s_and_b32 vcc_lo, exec_lo, s51
	s_cbranch_vccz .LBB23_1754
; %bb.1751:
	s_cmp_eq_u32 s35, 44
	s_cbranch_scc0 .LBB23_1753
; %bb.1752:
	global_load_u8 v5, v[10:11], off
	s_mov_b32 s101, 0
	s_mov_b32 s50, -1
	s_wait_loadcnt 0x0
	v_lshlrev_b32_e32 v6, 23, v5
	v_cmp_ne_u32_e32 vcc_lo, 0, v5
	s_delay_alu instid0(VALU_DEP_2) | instskip(NEXT) | instid1(VALU_DEP_1)
	v_cvt_i32_f32_e32 v6, v6
	v_cndmask_b32_e32 v6, 0, v6, vcc_lo
	s_branch .LBB23_1754
.LBB23_1753:
	s_mov_b32 s101, -1
                                        ; implicit-def: $vgpr6
.LBB23_1754:
	s_mov_b32 s51, 0
.LBB23_1755:
	s_delay_alu instid0(SALU_CYCLE_1)
	s_and_b32 vcc_lo, exec_lo, s51
	s_cbranch_vccz .LBB23_1759
; %bb.1756:
	s_cmp_eq_u32 s35, 29
	s_cbranch_scc0 .LBB23_1758
; %bb.1757:
	global_load_b32 v6, v[10:11], off
	s_mov_b32 s50, -1
	s_mov_b32 s101, 0
	s_branch .LBB23_1759
.LBB23_1758:
	s_mov_b32 s101, -1
                                        ; implicit-def: $vgpr6
.LBB23_1759:
	s_mov_b32 s51, 0
.LBB23_1760:
	s_delay_alu instid0(SALU_CYCLE_1)
	s_and_b32 vcc_lo, exec_lo, s51
	s_cbranch_vccz .LBB23_1776
; %bb.1761:
	s_cmp_lt_i32 s35, 27
	s_cbranch_scc1 .LBB23_1764
; %bb.1762:
	s_cmp_gt_i32 s35, 27
	s_cbranch_scc0 .LBB23_1765
; %bb.1763:
	s_wait_loadcnt 0x0
	global_load_b32 v6, v[10:11], off
	s_mov_b32 s50, 0
	s_branch .LBB23_1766
.LBB23_1764:
	s_mov_b32 s50, -1
                                        ; implicit-def: $vgpr6
	s_branch .LBB23_1769
.LBB23_1765:
	s_mov_b32 s50, -1
                                        ; implicit-def: $vgpr6
.LBB23_1766:
	s_delay_alu instid0(SALU_CYCLE_1)
	s_and_not1_b32 vcc_lo, exec_lo, s50
	s_cbranch_vccnz .LBB23_1768
; %bb.1767:
	s_wait_loadcnt 0x0
	global_load_u16 v6, v[10:11], off
.LBB23_1768:
	s_mov_b32 s50, 0
.LBB23_1769:
	s_delay_alu instid0(SALU_CYCLE_1)
	s_and_not1_b32 vcc_lo, exec_lo, s50
	s_cbranch_vccnz .LBB23_1775
; %bb.1770:
	global_load_u8 v5, v[10:11], off
	s_mov_b32 s51, 0
	s_mov_b32 s4, exec_lo
	s_wait_loadcnt 0x0
	v_cmpx_lt_i16_e32 0x7f, v5
	s_xor_b32 s50, exec_lo, s4
	s_cbranch_execz .LBB23_1787
; %bb.1771:
	v_cmp_ne_u16_e32 vcc_lo, 0x80, v5
	s_and_b32 s51, vcc_lo, exec_lo
	s_and_not1_saveexec_b32 s50, s50
	s_cbranch_execnz .LBB23_1788
.LBB23_1772:
	s_or_b32 exec_lo, exec_lo, s50
	v_mov_b32_e32 v6, 0
	s_and_saveexec_b32 s50, s51
	s_cbranch_execz .LBB23_1774
.LBB23_1773:
	v_and_b32_e32 v6, 0xffff, v5
	s_delay_alu instid0(VALU_DEP_1) | instskip(SKIP_1) | instid1(VALU_DEP_2)
	v_and_b32_e32 v7, 7, v6
	v_bfe_u32 v13, v6, 3, 4
	v_clz_i32_u32_e32 v9, v7
	s_delay_alu instid0(VALU_DEP_2) | instskip(NEXT) | instid1(VALU_DEP_2)
	v_cmp_eq_u32_e32 vcc_lo, 0, v13
	v_min_u32_e32 v9, 32, v9
	s_delay_alu instid0(VALU_DEP_1) | instskip(NEXT) | instid1(VALU_DEP_1)
	v_subrev_nc_u32_e32 v12, 28, v9
	v_dual_lshlrev_b32 v6, v12, v6 :: v_dual_sub_nc_u32 v9, 29, v9
	s_delay_alu instid0(VALU_DEP_1) | instskip(NEXT) | instid1(VALU_DEP_1)
	v_dual_lshlrev_b32 v5, 24, v5 :: v_dual_bitop2_b32 v6, 7, v6 bitop3:0x40
	v_dual_cndmask_b32 v6, v7, v6 :: v_dual_cndmask_b32 v9, v13, v9
	s_delay_alu instid0(VALU_DEP_2) | instskip(NEXT) | instid1(VALU_DEP_2)
	v_and_b32_e32 v5, 0x80000000, v5
	v_lshlrev_b32_e32 v6, 20, v6
	s_delay_alu instid0(VALU_DEP_3) | instskip(NEXT) | instid1(VALU_DEP_1)
	v_lshl_add_u32 v7, v9, 23, 0x3b800000
	v_or3_b32 v5, v5, v7, v6
	s_delay_alu instid0(VALU_DEP_1)
	v_cvt_i32_f32_e32 v6, v5
.LBB23_1774:
	s_or_b32 exec_lo, exec_lo, s50
.LBB23_1775:
	s_mov_b32 s50, -1
.LBB23_1776:
	s_mov_b32 s51, 0
.LBB23_1777:
	s_delay_alu instid0(SALU_CYCLE_1)
	s_and_b32 vcc_lo, exec_lo, s51
	s_cbranch_vccz .LBB23_1810
; %bb.1778:
	s_cmp_gt_i32 s35, 22
	s_cbranch_scc0 .LBB23_1786
; %bb.1779:
	s_cmp_lt_i32 s35, 24
	s_cbranch_scc1 .LBB23_1789
; %bb.1780:
	s_cmp_gt_i32 s35, 24
	s_cbranch_scc0 .LBB23_1790
; %bb.1781:
	global_load_u8 v5, v[10:11], off
	s_mov_b32 s51, 0
	s_mov_b32 s4, exec_lo
	s_wait_loadcnt 0x0
	v_cmpx_lt_i16_e32 0x7f, v5
	s_xor_b32 s50, exec_lo, s4
	s_cbranch_execz .LBB23_1802
; %bb.1782:
	v_cmp_ne_u16_e32 vcc_lo, 0x80, v5
	s_and_b32 s51, vcc_lo, exec_lo
	s_and_not1_saveexec_b32 s50, s50
	s_cbranch_execnz .LBB23_1803
.LBB23_1783:
	s_or_b32 exec_lo, exec_lo, s50
	v_mov_b32_e32 v6, 0
	s_and_saveexec_b32 s50, s51
	s_cbranch_execz .LBB23_1785
.LBB23_1784:
	v_and_b32_e32 v6, 0xffff, v5
	s_delay_alu instid0(VALU_DEP_1) | instskip(SKIP_1) | instid1(VALU_DEP_2)
	v_and_b32_e32 v7, 3, v6
	v_bfe_u32 v13, v6, 2, 5
	v_clz_i32_u32_e32 v9, v7
	s_delay_alu instid0(VALU_DEP_2) | instskip(NEXT) | instid1(VALU_DEP_2)
	v_cmp_eq_u32_e32 vcc_lo, 0, v13
	v_min_u32_e32 v9, 32, v9
	s_delay_alu instid0(VALU_DEP_1) | instskip(NEXT) | instid1(VALU_DEP_1)
	v_subrev_nc_u32_e32 v12, 29, v9
	v_dual_lshlrev_b32 v6, v12, v6 :: v_dual_sub_nc_u32 v9, 30, v9
	s_delay_alu instid0(VALU_DEP_1) | instskip(NEXT) | instid1(VALU_DEP_1)
	v_dual_lshlrev_b32 v5, 24, v5 :: v_dual_bitop2_b32 v6, 3, v6 bitop3:0x40
	v_dual_cndmask_b32 v6, v7, v6 :: v_dual_cndmask_b32 v9, v13, v9
	s_delay_alu instid0(VALU_DEP_2) | instskip(NEXT) | instid1(VALU_DEP_2)
	v_and_b32_e32 v5, 0x80000000, v5
	v_lshlrev_b32_e32 v6, 21, v6
	s_delay_alu instid0(VALU_DEP_3) | instskip(NEXT) | instid1(VALU_DEP_1)
	v_lshl_add_u32 v7, v9, 23, 0x37800000
	v_or3_b32 v5, v5, v7, v6
	s_delay_alu instid0(VALU_DEP_1)
	v_cvt_i32_f32_e32 v6, v5
.LBB23_1785:
	s_or_b32 exec_lo, exec_lo, s50
	s_mov_b32 s50, 0
	s_branch .LBB23_1791
.LBB23_1786:
	s_mov_b32 s51, -1
                                        ; implicit-def: $vgpr6
	s_branch .LBB23_1797
.LBB23_1787:
	s_and_not1_saveexec_b32 s50, s50
	s_cbranch_execz .LBB23_1772
.LBB23_1788:
	v_cmp_ne_u16_e32 vcc_lo, 0, v5
	s_and_not1_b32 s4, s51, exec_lo
	s_and_b32 s5, vcc_lo, exec_lo
	s_delay_alu instid0(SALU_CYCLE_1)
	s_or_b32 s51, s4, s5
	s_or_b32 exec_lo, exec_lo, s50
	v_mov_b32_e32 v6, 0
	s_and_saveexec_b32 s50, s51
	s_cbranch_execnz .LBB23_1773
	s_branch .LBB23_1774
.LBB23_1789:
	s_mov_b32 s50, -1
                                        ; implicit-def: $vgpr6
	s_branch .LBB23_1794
.LBB23_1790:
	s_mov_b32 s50, -1
                                        ; implicit-def: $vgpr6
.LBB23_1791:
	s_delay_alu instid0(SALU_CYCLE_1)
	s_and_b32 vcc_lo, exec_lo, s50
	s_cbranch_vccz .LBB23_1793
; %bb.1792:
	global_load_u8 v5, v[10:11], off
	s_wait_loadcnt 0x0
	v_lshlrev_b32_e32 v5, 24, v5
	s_delay_alu instid0(VALU_DEP_1) | instskip(NEXT) | instid1(VALU_DEP_1)
	v_and_b32_e32 v6, 0x7f000000, v5
	v_clz_i32_u32_e32 v7, v6
	v_add_nc_u32_e32 v12, 0x1000000, v6
	v_cmp_ne_u32_e32 vcc_lo, 0, v6
	s_delay_alu instid0(VALU_DEP_3) | instskip(NEXT) | instid1(VALU_DEP_1)
	v_min_u32_e32 v7, 32, v7
	v_sub_nc_u32_e64 v7, v7, 4 clamp
	s_delay_alu instid0(VALU_DEP_1) | instskip(NEXT) | instid1(VALU_DEP_1)
	v_dual_lshlrev_b32 v9, v7, v6 :: v_dual_lshlrev_b32 v7, 23, v7
	v_lshrrev_b32_e32 v9, 4, v9
	s_delay_alu instid0(VALU_DEP_1) | instskip(NEXT) | instid1(VALU_DEP_1)
	v_dual_sub_nc_u32 v7, v9, v7 :: v_dual_ashrrev_i32 v9, 8, v12
	v_add_nc_u32_e32 v7, 0x3c000000, v7
	s_delay_alu instid0(VALU_DEP_1) | instskip(NEXT) | instid1(VALU_DEP_1)
	v_and_or_b32 v7, 0x7f800000, v9, v7
	v_cndmask_b32_e32 v6, 0, v7, vcc_lo
	s_delay_alu instid0(VALU_DEP_1) | instskip(NEXT) | instid1(VALU_DEP_1)
	v_and_or_b32 v5, 0x80000000, v5, v6
	v_cvt_i32_f32_e32 v6, v5
.LBB23_1793:
	s_mov_b32 s50, 0
.LBB23_1794:
	s_delay_alu instid0(SALU_CYCLE_1)
	s_and_not1_b32 vcc_lo, exec_lo, s50
	s_cbranch_vccnz .LBB23_1796
; %bb.1795:
	global_load_u8 v5, v[10:11], off
	s_wait_loadcnt 0x0
	v_lshlrev_b32_e32 v6, 25, v5
	v_lshlrev_b16 v5, 8, v5
	s_delay_alu instid0(VALU_DEP_1) | instskip(NEXT) | instid1(VALU_DEP_3)
	v_and_or_b32 v9, 0x7f00, v5, 0.5
	v_lshrrev_b32_e32 v7, 4, v6
	v_bfe_i32 v5, v5, 0, 16
	s_delay_alu instid0(VALU_DEP_3) | instskip(NEXT) | instid1(VALU_DEP_3)
	v_add_f32_e32 v9, -0.5, v9
	v_or_b32_e32 v7, 0x70000000, v7
	s_delay_alu instid0(VALU_DEP_1) | instskip(SKIP_1) | instid1(VALU_DEP_2)
	v_mul_f32_e32 v7, 0x7800000, v7
	v_cmp_gt_u32_e32 vcc_lo, 0x8000000, v6
	v_cndmask_b32_e32 v6, v7, v9, vcc_lo
	s_delay_alu instid0(VALU_DEP_1) | instskip(NEXT) | instid1(VALU_DEP_1)
	v_and_or_b32 v5, 0x80000000, v5, v6
	v_cvt_i32_f32_e32 v6, v5
.LBB23_1796:
	s_mov_b32 s51, 0
	s_mov_b32 s50, -1
.LBB23_1797:
	s_and_not1_b32 vcc_lo, exec_lo, s51
	s_cbranch_vccnz .LBB23_1810
; %bb.1798:
	s_cmp_gt_i32 s35, 14
	s_cbranch_scc0 .LBB23_1801
; %bb.1799:
	s_cmp_eq_u32 s35, 15
	s_cbranch_scc0 .LBB23_1804
; %bb.1800:
	global_load_u16 v5, v[10:11], off
	s_mov_b32 s50, -1
	s_mov_b32 s101, 0
	s_wait_loadcnt 0x0
	v_lshlrev_b32_e32 v5, 16, v5
	s_delay_alu instid0(VALU_DEP_1)
	v_cvt_i32_f32_e32 v6, v5
	s_branch .LBB23_1805
.LBB23_1801:
	s_mov_b32 s51, -1
                                        ; implicit-def: $vgpr6
	s_branch .LBB23_1806
.LBB23_1802:
	s_and_not1_saveexec_b32 s50, s50
	s_cbranch_execz .LBB23_1783
.LBB23_1803:
	v_cmp_ne_u16_e32 vcc_lo, 0, v5
	s_and_not1_b32 s4, s51, exec_lo
	s_and_b32 s5, vcc_lo, exec_lo
	s_delay_alu instid0(SALU_CYCLE_1)
	s_or_b32 s51, s4, s5
	s_or_b32 exec_lo, exec_lo, s50
	v_mov_b32_e32 v6, 0
	s_and_saveexec_b32 s50, s51
	s_cbranch_execnz .LBB23_1784
	s_branch .LBB23_1785
.LBB23_1804:
	s_mov_b32 s101, -1
                                        ; implicit-def: $vgpr6
.LBB23_1805:
	s_mov_b32 s51, 0
.LBB23_1806:
	s_delay_alu instid0(SALU_CYCLE_1)
	s_and_b32 vcc_lo, exec_lo, s51
	s_cbranch_vccz .LBB23_1810
; %bb.1807:
	s_cmp_eq_u32 s35, 11
	s_cbranch_scc0 .LBB23_1809
; %bb.1808:
	global_load_u8 v5, v[10:11], off
	s_mov_b32 s101, 0
	s_mov_b32 s50, -1
	s_wait_loadcnt 0x0
	v_cmp_ne_u16_e32 vcc_lo, 0, v5
	v_cndmask_b32_e64 v6, 0, 1, vcc_lo
	s_branch .LBB23_1810
.LBB23_1809:
	s_mov_b32 s101, -1
                                        ; implicit-def: $vgpr6
.LBB23_1810:
	s_mov_b32 s35, 0
.LBB23_1811:
	s_delay_alu instid0(SALU_CYCLE_1)
	s_and_b32 vcc_lo, exec_lo, s35
	s_cbranch_vccz .LBB23_1860
; %bb.1812:
	s_and_b32 s0, 0xffff, s0
	s_delay_alu instid0(SALU_CYCLE_1)
	s_cmp_lt_i32 s0, 5
	s_cbranch_scc1 .LBB23_1817
; %bb.1813:
	s_cmp_lt_i32 s0, 8
	s_cbranch_scc1 .LBB23_1818
; %bb.1814:
	;; [unrolled: 3-line block ×3, first 2 shown]
	s_cmp_gt_i32 s0, 9
	s_cbranch_scc0 .LBB23_1820
; %bb.1816:
	s_wait_loadcnt 0x0
	global_load_b64 v[6:7], v[10:11], off
	s_mov_b32 s35, 0
	s_wait_loadcnt 0x0
	v_cvt_i32_f64_e32 v6, v[6:7]
	s_branch .LBB23_1821
.LBB23_1817:
	s_mov_b32 s35, -1
                                        ; implicit-def: $vgpr6
	s_branch .LBB23_1839
.LBB23_1818:
	s_mov_b32 s35, -1
                                        ; implicit-def: $vgpr6
	s_branch .LBB23_1827
.LBB23_1819:
	s_mov_b32 s35, -1
                                        ; implicit-def: $vgpr6
	s_branch .LBB23_1824
.LBB23_1820:
	s_mov_b32 s35, -1
                                        ; implicit-def: $vgpr6
.LBB23_1821:
	s_delay_alu instid0(SALU_CYCLE_1)
	s_and_not1_b32 vcc_lo, exec_lo, s35
	s_cbranch_vccnz .LBB23_1823
; %bb.1822:
	global_load_b32 v5, v[10:11], off
	s_wait_loadcnt 0x0
	v_cvt_i32_f32_e32 v6, v5
.LBB23_1823:
	s_mov_b32 s35, 0
.LBB23_1824:
	s_delay_alu instid0(SALU_CYCLE_1)
	s_and_not1_b32 vcc_lo, exec_lo, s35
	s_cbranch_vccnz .LBB23_1826
; %bb.1825:
	global_load_b32 v5, v[10:11], off
	s_wait_loadcnt 0x0
	v_cvt_f32_f16_e32 v5, v5
	s_delay_alu instid0(VALU_DEP_1)
	v_cvt_i32_f32_e32 v6, v5
.LBB23_1826:
	s_mov_b32 s35, 0
.LBB23_1827:
	s_delay_alu instid0(SALU_CYCLE_1)
	s_and_not1_b32 vcc_lo, exec_lo, s35
	s_cbranch_vccnz .LBB23_1838
; %bb.1828:
	s_cmp_lt_i32 s0, 6
	s_cbranch_scc1 .LBB23_1831
; %bb.1829:
	s_cmp_gt_i32 s0, 6
	s_cbranch_scc0 .LBB23_1832
; %bb.1830:
	s_wait_loadcnt 0x0
	global_load_b64 v[6:7], v[10:11], off
	s_mov_b32 s35, 0
	s_wait_loadcnt 0x0
	v_cvt_i32_f64_e32 v6, v[6:7]
	s_branch .LBB23_1833
.LBB23_1831:
	s_mov_b32 s35, -1
                                        ; implicit-def: $vgpr6
	s_branch .LBB23_1836
.LBB23_1832:
	s_mov_b32 s35, -1
                                        ; implicit-def: $vgpr6
.LBB23_1833:
	s_delay_alu instid0(SALU_CYCLE_1)
	s_and_not1_b32 vcc_lo, exec_lo, s35
	s_cbranch_vccnz .LBB23_1835
; %bb.1834:
	global_load_b32 v5, v[10:11], off
	s_wait_loadcnt 0x0
	v_cvt_i32_f32_e32 v6, v5
.LBB23_1835:
	s_mov_b32 s35, 0
.LBB23_1836:
	s_delay_alu instid0(SALU_CYCLE_1)
	s_and_not1_b32 vcc_lo, exec_lo, s35
	s_cbranch_vccnz .LBB23_1838
; %bb.1837:
	global_load_u16 v5, v[10:11], off
	s_wait_loadcnt 0x0
	v_cvt_f32_f16_e32 v5, v5
	s_delay_alu instid0(VALU_DEP_1)
	v_cvt_i32_f32_e32 v6, v5
.LBB23_1838:
	s_mov_b32 s35, 0
.LBB23_1839:
	s_delay_alu instid0(SALU_CYCLE_1)
	s_and_not1_b32 vcc_lo, exec_lo, s35
	s_cbranch_vccnz .LBB23_1859
; %bb.1840:
	s_cmp_lt_i32 s0, 2
	s_cbranch_scc1 .LBB23_1844
; %bb.1841:
	s_cmp_lt_i32 s0, 3
	s_cbranch_scc1 .LBB23_1845
; %bb.1842:
	s_cmp_gt_i32 s0, 3
	s_cbranch_scc0 .LBB23_1846
; %bb.1843:
	s_wait_loadcnt 0x0
	global_load_b32 v6, v[10:11], off
	s_mov_b32 s35, 0
	s_branch .LBB23_1847
.LBB23_1844:
	s_mov_b32 s35, -1
                                        ; implicit-def: $vgpr6
	s_branch .LBB23_1853
.LBB23_1845:
	s_mov_b32 s35, -1
                                        ; implicit-def: $vgpr6
	s_branch .LBB23_1850
.LBB23_1846:
	s_mov_b32 s35, -1
                                        ; implicit-def: $vgpr6
.LBB23_1847:
	s_delay_alu instid0(SALU_CYCLE_1)
	s_and_not1_b32 vcc_lo, exec_lo, s35
	s_cbranch_vccnz .LBB23_1849
; %bb.1848:
	s_wait_loadcnt 0x0
	global_load_b32 v6, v[10:11], off
.LBB23_1849:
	s_mov_b32 s35, 0
.LBB23_1850:
	s_delay_alu instid0(SALU_CYCLE_1)
	s_and_not1_b32 vcc_lo, exec_lo, s35
	s_cbranch_vccnz .LBB23_1852
; %bb.1851:
	s_wait_loadcnt 0x0
	global_load_i16 v6, v[10:11], off
.LBB23_1852:
	s_mov_b32 s35, 0
.LBB23_1853:
	s_delay_alu instid0(SALU_CYCLE_1)
	s_and_not1_b32 vcc_lo, exec_lo, s35
	s_cbranch_vccnz .LBB23_1859
; %bb.1854:
	s_cmp_gt_i32 s0, 0
	s_mov_b32 s0, 0
	s_cbranch_scc0 .LBB23_1856
; %bb.1855:
	s_wait_loadcnt 0x0
	global_load_i8 v6, v[10:11], off
	s_branch .LBB23_1857
.LBB23_1856:
	s_mov_b32 s0, -1
                                        ; implicit-def: $vgpr6
.LBB23_1857:
	s_delay_alu instid0(SALU_CYCLE_1)
	s_and_not1_b32 vcc_lo, exec_lo, s0
	s_cbranch_vccnz .LBB23_1859
; %bb.1858:
	s_wait_loadcnt 0x0
	global_load_u8 v6, v[10:11], off
.LBB23_1859:
	s_mov_b32 s50, -1
.LBB23_1860:
	s_delay_alu instid0(SALU_CYCLE_1)
	s_and_not1_b32 vcc_lo, exec_lo, s50
	s_cbranch_vccnz .LBB23_1868
; %bb.1861:
	v_mov_b32_e32 v5, 0
	s_and_b32 s0, s18, 0xff
	s_delay_alu instid0(SALU_CYCLE_1) | instskip(NEXT) | instid1(VALU_DEP_1)
	s_cmp_lt_i32 s0, 11
	v_add_nc_u64_e32 v[4:5], s[30:31], v[4:5]
	s_cbranch_scc1 .LBB23_1869
; %bb.1862:
	s_and_b32 s35, 0xffff, s0
	s_delay_alu instid0(SALU_CYCLE_1)
	s_cmp_gt_i32 s35, 25
	s_cbranch_scc0 .LBB23_1870
; %bb.1863:
	s_cmp_gt_i32 s35, 28
	s_cbranch_scc0 .LBB23_1871
; %bb.1864:
	;; [unrolled: 3-line block ×4, first 2 shown]
	s_cmp_eq_u32 s35, 46
	s_mov_b32 s51, 0
	s_cbranch_scc0 .LBB23_1961
; %bb.1867:
	global_load_b32 v7, v[4:5], off
	s_mov_b32 s50, -1
	s_mov_b32 s104, 0
	s_wait_loadcnt 0x0
	v_lshlrev_b32_e32 v7, 16, v7
	s_wait_xcnt 0x1
	s_delay_alu instid0(VALU_DEP_1)
	v_cvt_i32_f32_e32 v10, v7
	s_branch .LBB23_1963
.LBB23_1868:
	s_mov_b32 s0, 0
	s_mov_b32 s35, s67
	;; [unrolled: 1-line block ×7, first 2 shown]
	s_branch .LBB23_2085
.LBB23_1869:
	s_mov_b32 s35, -1
	s_mov_b32 s50, 0
	s_mov_b32 s104, s89
                                        ; implicit-def: $vgpr10
	s_branch .LBB23_2024
.LBB23_1870:
	s_mov_b32 s51, -1
	s_mov_b32 s50, 0
	s_mov_b32 s104, s89
                                        ; implicit-def: $vgpr10
	s_branch .LBB23_1990
.LBB23_1871:
	s_mov_b32 s51, -1
	s_mov_b32 s50, 0
	s_mov_b32 s104, s89
                                        ; implicit-def: $vgpr10
	s_branch .LBB23_1973
.LBB23_1872:
	s_mov_b32 s51, -1
	s_mov_b32 s50, 0
	s_mov_b32 s104, s89
                                        ; implicit-def: $vgpr10
	s_branch .LBB23_1968
.LBB23_1873:
	s_mov_b32 s51, -1
	s_mov_b32 s50, 0
	s_mov_b32 s104, s89
	s_branch .LBB23_1962
.LBB23_1874:
	s_mov_b32 s54, -1
	s_mov_b32 s50, 0
	s_mov_b32 s53, 0
.LBB23_1875:
	s_and_b32 vcc_lo, exec_lo, s54
	s_cbranch_vccz .LBB23_1878
; %bb.1876:
	s_cmp_eq_u32 s52, 44
	s_mov_b32 s50, -1
	s_cbranch_scc0 .LBB23_1878
; %bb.1877:
	s_wait_xcnt 0x0
	v_mov_b32_e32 v1, 0
	s_mov_b32 s53, -1
	s_mov_b32 s50, 0
	s_mov_b32 s54, 0
	global_store_b8 v[2:3], v1, off
	s_branch .LBB23_1879
.LBB23_1878:
	s_mov_b32 s54, 0
.LBB23_1879:
	s_delay_alu instid0(SALU_CYCLE_1)
	s_and_b32 vcc_lo, exec_lo, s54
	s_cbranch_vccz .LBB23_1882
; %bb.1880:
	s_cmp_eq_u32 s52, 29
	s_mov_b32 s50, -1
	s_cbranch_scc0 .LBB23_1882
; %bb.1881:
	v_mov_b64_e32 v[4:5], 0
	s_mov_b32 s53, -1
	s_mov_b32 s50, 0
	s_mov_b32 s54, 0
	global_store_b64 v[2:3], v[4:5], off
	s_branch .LBB23_1883
.LBB23_1882:
	s_mov_b32 s54, 0
.LBB23_1883:
	s_delay_alu instid0(SALU_CYCLE_1)
	s_and_b32 vcc_lo, exec_lo, s54
	s_cbranch_vccz .LBB23_1893
; %bb.1884:
	s_cmp_lt_i32 s52, 27
	s_mov_b32 s53, -1
	s_cbranch_scc1 .LBB23_1890
; %bb.1885:
	s_cmp_gt_i32 s52, 27
	s_cbranch_scc0 .LBB23_1887
; %bb.1886:
	s_wait_xcnt 0x0
	v_mov_b32_e32 v1, 0
	s_mov_b32 s53, 0
	global_store_b32 v[2:3], v1, off
.LBB23_1887:
	s_and_not1_b32 vcc_lo, exec_lo, s53
	s_cbranch_vccnz .LBB23_1889
; %bb.1888:
	s_wait_xcnt 0x0
	v_mov_b32_e32 v1, 0
	global_store_b16 v[2:3], v1, off
.LBB23_1889:
	s_mov_b32 s53, 0
.LBB23_1890:
	s_delay_alu instid0(SALU_CYCLE_1)
	s_and_not1_b32 vcc_lo, exec_lo, s53
	s_cbranch_vccnz .LBB23_1892
; %bb.1891:
	s_wait_xcnt 0x0
	v_mov_b32_e32 v1, 0
	global_store_b8 v[2:3], v1, off
.LBB23_1892:
	s_mov_b32 s53, -1
.LBB23_1893:
	s_mov_b32 s54, 0
.LBB23_1894:
	s_delay_alu instid0(SALU_CYCLE_1)
	s_and_b32 vcc_lo, exec_lo, s54
	s_cbranch_vccz .LBB23_1913
; %bb.1895:
	s_cmp_gt_i32 s52, 22
	s_mov_b32 s54, -1
	s_cbranch_scc0 .LBB23_1905
; %bb.1896:
	s_cmp_lt_i32 s52, 24
	s_mov_b32 s53, -1
	s_cbranch_scc1 .LBB23_1902
; %bb.1897:
	s_cmp_gt_i32 s52, 24
	s_cbranch_scc0 .LBB23_1899
; %bb.1898:
	s_wait_xcnt 0x0
	v_mov_b32_e32 v1, 0
	s_mov_b32 s53, 0
	global_store_b8 v[2:3], v1, off
.LBB23_1899:
	s_and_not1_b32 vcc_lo, exec_lo, s53
	s_cbranch_vccnz .LBB23_1901
; %bb.1900:
	s_wait_xcnt 0x0
	v_mov_b32_e32 v1, 0
	global_store_b8 v[2:3], v1, off
.LBB23_1901:
	s_mov_b32 s53, 0
.LBB23_1902:
	s_delay_alu instid0(SALU_CYCLE_1)
	s_and_not1_b32 vcc_lo, exec_lo, s53
	s_cbranch_vccnz .LBB23_1904
; %bb.1903:
	s_wait_xcnt 0x0
	v_mov_b32_e32 v1, 0
	global_store_b8 v[2:3], v1, off
.LBB23_1904:
	s_mov_b32 s54, 0
	s_mov_b32 s53, -1
.LBB23_1905:
	s_and_not1_b32 vcc_lo, exec_lo, s54
	s_cbranch_vccnz .LBB23_1913
; %bb.1906:
	s_cmp_gt_i32 s52, 14
	s_mov_b32 s54, -1
	s_cbranch_scc0 .LBB23_1910
; %bb.1907:
	s_cmp_eq_u32 s52, 15
	s_mov_b32 s50, -1
	s_cbranch_scc0 .LBB23_1909
; %bb.1908:
	s_wait_xcnt 0x0
	v_mov_b32_e32 v1, 0
	s_mov_b32 s53, -1
	s_mov_b32 s50, 0
	global_store_b16 v[2:3], v1, off
.LBB23_1909:
	s_mov_b32 s54, 0
.LBB23_1910:
	s_delay_alu instid0(SALU_CYCLE_1)
	s_and_b32 vcc_lo, exec_lo, s54
	s_cbranch_vccz .LBB23_1913
; %bb.1911:
	s_cmp_eq_u32 s52, 11
	s_mov_b32 s50, -1
	s_cbranch_scc0 .LBB23_1913
; %bb.1912:
	s_wait_xcnt 0x0
	v_mov_b32_e32 v1, 0
	s_mov_b32 s53, -1
	s_mov_b32 s50, 0
	global_store_b8 v[2:3], v1, off
.LBB23_1913:
	s_mov_b32 s52, 0
.LBB23_1914:
	s_delay_alu instid0(SALU_CYCLE_1)
	s_and_b32 vcc_lo, exec_lo, s52
	s_cbranch_vccz .LBB23_1953
; %bb.1915:
	s_and_b32 s51, 0xffff, s51
	s_mov_b32 s52, -1
	s_cmp_lt_i32 s51, 5
	s_cbranch_scc1 .LBB23_1936
; %bb.1916:
	s_cmp_lt_i32 s51, 8
	s_cbranch_scc1 .LBB23_1926
; %bb.1917:
	;; [unrolled: 3-line block ×3, first 2 shown]
	s_cmp_gt_i32 s51, 9
	s_cbranch_scc0 .LBB23_1920
; %bb.1919:
	s_wait_xcnt 0x0
	v_mov_b32_e32 v4, 0
	s_mov_b32 s52, 0
	s_delay_alu instid0(VALU_DEP_1)
	v_dual_mov_b32 v5, v4 :: v_dual_mov_b32 v6, v4
	v_mov_b32_e32 v7, v4
	global_store_b128 v[2:3], v[4:7], off
.LBB23_1920:
	s_and_not1_b32 vcc_lo, exec_lo, s52
	s_cbranch_vccnz .LBB23_1922
; %bb.1921:
	s_wait_xcnt 0x0
	v_mov_b64_e32 v[4:5], 0
	global_store_b64 v[2:3], v[4:5], off
.LBB23_1922:
	s_mov_b32 s52, 0
.LBB23_1923:
	s_delay_alu instid0(SALU_CYCLE_1)
	s_and_not1_b32 vcc_lo, exec_lo, s52
	s_cbranch_vccnz .LBB23_1925
; %bb.1924:
	s_wait_xcnt 0x0
	v_mov_b32_e32 v1, 0
	global_store_b32 v[2:3], v1, off
.LBB23_1925:
	s_mov_b32 s52, 0
.LBB23_1926:
	s_delay_alu instid0(SALU_CYCLE_1)
	s_and_not1_b32 vcc_lo, exec_lo, s52
	s_cbranch_vccnz .LBB23_1935
; %bb.1927:
	s_cmp_lt_i32 s51, 6
	s_mov_b32 s52, -1
	s_cbranch_scc1 .LBB23_1933
; %bb.1928:
	s_cmp_gt_i32 s51, 6
	s_cbranch_scc0 .LBB23_1930
; %bb.1929:
	s_wait_xcnt 0x0
	v_mov_b64_e32 v[4:5], 0
	s_mov_b32 s52, 0
	global_store_b64 v[2:3], v[4:5], off
.LBB23_1930:
	s_and_not1_b32 vcc_lo, exec_lo, s52
	s_cbranch_vccnz .LBB23_1932
; %bb.1931:
	s_wait_xcnt 0x0
	v_mov_b32_e32 v1, 0
	global_store_b32 v[2:3], v1, off
.LBB23_1932:
	s_mov_b32 s52, 0
.LBB23_1933:
	s_delay_alu instid0(SALU_CYCLE_1)
	s_and_not1_b32 vcc_lo, exec_lo, s52
	s_cbranch_vccnz .LBB23_1935
; %bb.1934:
	s_wait_xcnt 0x0
	v_mov_b32_e32 v1, 0
	global_store_b16 v[2:3], v1, off
.LBB23_1935:
	s_mov_b32 s52, 0
.LBB23_1936:
	s_delay_alu instid0(SALU_CYCLE_1)
	s_and_not1_b32 vcc_lo, exec_lo, s52
	s_cbranch_vccnz .LBB23_1952
; %bb.1937:
	s_cmp_lt_i32 s51, 2
	s_mov_b32 s52, -1
	s_cbranch_scc1 .LBB23_1947
; %bb.1938:
	s_cmp_lt_i32 s51, 3
	s_cbranch_scc1 .LBB23_1944
; %bb.1939:
	s_cmp_gt_i32 s51, 3
	s_cbranch_scc0 .LBB23_1941
; %bb.1940:
	s_wait_xcnt 0x0
	v_mov_b64_e32 v[4:5], 0
	s_mov_b32 s52, 0
	global_store_b64 v[2:3], v[4:5], off
.LBB23_1941:
	s_and_not1_b32 vcc_lo, exec_lo, s52
	s_cbranch_vccnz .LBB23_1943
; %bb.1942:
	s_wait_xcnt 0x0
	v_mov_b32_e32 v1, 0
	global_store_b32 v[2:3], v1, off
.LBB23_1943:
	s_mov_b32 s52, 0
.LBB23_1944:
	s_delay_alu instid0(SALU_CYCLE_1)
	s_and_not1_b32 vcc_lo, exec_lo, s52
	s_cbranch_vccnz .LBB23_1946
; %bb.1945:
	s_wait_xcnt 0x0
	v_mov_b32_e32 v1, 0
	global_store_b16 v[2:3], v1, off
.LBB23_1946:
	s_mov_b32 s52, 0
.LBB23_1947:
	s_delay_alu instid0(SALU_CYCLE_1)
	s_and_not1_b32 vcc_lo, exec_lo, s52
	s_cbranch_vccnz .LBB23_1952
; %bb.1948:
	s_cmp_gt_i32 s51, 0
	s_mov_b32 s51, -1
	s_cbranch_scc0 .LBB23_1950
; %bb.1949:
	s_wait_xcnt 0x0
	v_mov_b32_e32 v1, 0
	s_mov_b32 s51, 0
	global_store_b8 v[2:3], v1, off
.LBB23_1950:
	s_and_not1_b32 vcc_lo, exec_lo, s51
	s_cbranch_vccnz .LBB23_1952
; %bb.1951:
	s_wait_xcnt 0x0
	v_mov_b32_e32 v1, 0
	global_store_b8 v[2:3], v1, off
.LBB23_1952:
	s_mov_b32 s53, -1
.LBB23_1953:
	s_delay_alu instid0(SALU_CYCLE_1)
	s_and_not1_b32 vcc_lo, exec_lo, s53
	s_cbranch_vccnz .LBB23_1955
; %bb.1954:
	v_add_nc_u32_e32 v0, 0x80, v0
	s_mov_b32 s52, -1
	s_branch .LBB23_1956
.LBB23_1955:
	s_mov_b32 s52, 0
                                        ; implicit-def: $vgpr0
.LBB23_1956:
	s_and_b32 s51, s50, exec_lo
	s_and_not1_b32 s0, s0, exec_lo
	s_and_b32 s50, s52, exec_lo
.LBB23_1957:
	s_wait_xcnt 0x0
	s_or_b32 exec_lo, exec_lo, s35
	s_delay_alu instid0(SALU_CYCLE_1)
	s_and_b32 s51, s51, exec_lo
	s_and_b32 s0, s0, exec_lo
	s_xor_b32 s35, exec_lo, -1
	s_and_b32 s50, s50, exec_lo
.LBB23_1958:
	s_or_b32 exec_lo, exec_lo, s79
	s_delay_alu instid0(SALU_CYCLE_1)
	s_and_b32 s53, s51, exec_lo
	s_and_b32 s52, s0, exec_lo
	s_and_b32 s51, s35, exec_lo
	s_xor_b32 s35, exec_lo, -1
	s_and_b32 s0, s50, exec_lo
.LBB23_1959:
	s_or_b32 exec_lo, exec_lo, s78
	s_delay_alu instid0(SALU_CYCLE_1)
	s_and_b32 s53, s53, exec_lo
	s_and_b32 s52, s52, exec_lo
	;; [unrolled: 1-line block ×4, first 2 shown]
	s_xor_b32 s35, exec_lo, -1
	s_and_b32 s0, s0, exec_lo
	s_or_b32 exec_lo, exec_lo, s77
	s_branch .LBB23_650
.LBB23_1960:
	s_mov_b32 s54, -1
	s_mov_b32 s53, 0
	s_mov_b32 s50, s60
	s_branch .LBB23_3609
.LBB23_1961:
	s_mov_b32 s104, -1
	s_mov_b32 s50, 0
.LBB23_1962:
                                        ; implicit-def: $vgpr10
.LBB23_1963:
	s_and_b32 vcc_lo, exec_lo, s51
	s_cbranch_vccz .LBB23_1967
; %bb.1964:
	s_cmp_eq_u32 s35, 44
	s_cbranch_scc0 .LBB23_1966
; %bb.1965:
	global_load_u8 v7, v[4:5], off
	s_mov_b32 s104, 0
	s_mov_b32 s50, -1
	s_wait_loadcnt 0x0
	v_lshlrev_b32_e32 v9, 23, v7
	v_cmp_ne_u32_e32 vcc_lo, 0, v7
	s_delay_alu instid0(VALU_DEP_2) | instskip(SKIP_1) | instid1(VALU_DEP_1)
	v_cvt_i32_f32_e32 v9, v9
	s_wait_xcnt 0x1
	v_cndmask_b32_e32 v10, 0, v9, vcc_lo
	s_branch .LBB23_1967
.LBB23_1966:
	s_mov_b32 s104, -1
                                        ; implicit-def: $vgpr10
.LBB23_1967:
	s_mov_b32 s51, 0
.LBB23_1968:
	s_delay_alu instid0(SALU_CYCLE_1)
	s_and_b32 vcc_lo, exec_lo, s51
	s_cbranch_vccz .LBB23_1972
; %bb.1969:
	s_cmp_eq_u32 s35, 29
	s_cbranch_scc0 .LBB23_1971
; %bb.1970:
	global_load_b32 v10, v[4:5], off
	s_mov_b32 s50, -1
	s_mov_b32 s104, 0
	s_branch .LBB23_1972
.LBB23_1971:
	s_mov_b32 s104, -1
                                        ; implicit-def: $vgpr10
.LBB23_1972:
	s_mov_b32 s51, 0
.LBB23_1973:
	s_delay_alu instid0(SALU_CYCLE_1)
	s_and_b32 vcc_lo, exec_lo, s51
	s_cbranch_vccz .LBB23_1989
; %bb.1974:
	s_cmp_lt_i32 s35, 27
	s_cbranch_scc1 .LBB23_1977
; %bb.1975:
	s_cmp_gt_i32 s35, 27
	s_cbranch_scc0 .LBB23_1978
; %bb.1976:
	s_wait_loadcnt 0x0
	global_load_b32 v10, v[4:5], off
	s_mov_b32 s50, 0
	s_branch .LBB23_1979
.LBB23_1977:
	s_mov_b32 s50, -1
                                        ; implicit-def: $vgpr10
	s_branch .LBB23_1982
.LBB23_1978:
	s_mov_b32 s50, -1
                                        ; implicit-def: $vgpr10
.LBB23_1979:
	s_delay_alu instid0(SALU_CYCLE_1)
	s_and_not1_b32 vcc_lo, exec_lo, s50
	s_cbranch_vccnz .LBB23_1981
; %bb.1980:
	s_wait_loadcnt 0x0
	global_load_u16 v10, v[4:5], off
.LBB23_1981:
	s_mov_b32 s50, 0
.LBB23_1982:
	s_delay_alu instid0(SALU_CYCLE_1)
	s_and_not1_b32 vcc_lo, exec_lo, s50
	s_cbranch_vccnz .LBB23_1988
; %bb.1983:
	global_load_u8 v7, v[4:5], off
	s_mov_b32 s51, 0
	s_mov_b32 s4, exec_lo
	s_wait_loadcnt 0x0
	v_cmpx_lt_i16_e32 0x7f, v7
	s_xor_b32 s50, exec_lo, s4
	s_cbranch_execz .LBB23_2000
; %bb.1984:
	v_cmp_ne_u16_e32 vcc_lo, 0x80, v7
	s_and_b32 s51, vcc_lo, exec_lo
	s_and_not1_saveexec_b32 s50, s50
	s_cbranch_execnz .LBB23_2001
.LBB23_1985:
	s_or_b32 exec_lo, exec_lo, s50
	v_mov_b32_e32 v10, 0
	s_and_saveexec_b32 s50, s51
	s_cbranch_execz .LBB23_1987
.LBB23_1986:
	v_and_b32_e32 v9, 0xffff, v7
	s_delay_alu instid0(VALU_DEP_1) | instskip(SKIP_1) | instid1(VALU_DEP_2)
	v_and_b32_e32 v10, 7, v9
	v_bfe_u32 v13, v9, 3, 4
	v_clz_i32_u32_e32 v11, v10
	s_delay_alu instid0(VALU_DEP_2) | instskip(NEXT) | instid1(VALU_DEP_2)
	v_cmp_eq_u32_e32 vcc_lo, 0, v13
	v_min_u32_e32 v11, 32, v11
	s_delay_alu instid0(VALU_DEP_1) | instskip(NEXT) | instid1(VALU_DEP_1)
	v_subrev_nc_u32_e32 v12, 28, v11
	v_dual_lshlrev_b32 v9, v12, v9 :: v_dual_sub_nc_u32 v11, 29, v11
	s_delay_alu instid0(VALU_DEP_1) | instskip(NEXT) | instid1(VALU_DEP_1)
	v_dual_lshlrev_b32 v7, 24, v7 :: v_dual_bitop2_b32 v9, 7, v9 bitop3:0x40
	v_dual_cndmask_b32 v9, v10, v9, vcc_lo :: v_dual_cndmask_b32 v11, v13, v11, vcc_lo
	s_delay_alu instid0(VALU_DEP_2) | instskip(NEXT) | instid1(VALU_DEP_2)
	v_and_b32_e32 v7, 0x80000000, v7
	v_lshlrev_b32_e32 v9, 20, v9
	s_delay_alu instid0(VALU_DEP_3) | instskip(NEXT) | instid1(VALU_DEP_1)
	v_lshl_add_u32 v10, v11, 23, 0x3b800000
	v_or3_b32 v7, v7, v10, v9
	s_delay_alu instid0(VALU_DEP_1)
	v_cvt_i32_f32_e32 v10, v7
.LBB23_1987:
	s_or_b32 exec_lo, exec_lo, s50
.LBB23_1988:
	s_mov_b32 s50, -1
.LBB23_1989:
	s_mov_b32 s51, 0
.LBB23_1990:
	s_delay_alu instid0(SALU_CYCLE_1)
	s_and_b32 vcc_lo, exec_lo, s51
	s_cbranch_vccz .LBB23_2023
; %bb.1991:
	s_cmp_gt_i32 s35, 22
	s_cbranch_scc0 .LBB23_1999
; %bb.1992:
	s_cmp_lt_i32 s35, 24
	s_cbranch_scc1 .LBB23_2002
; %bb.1993:
	s_cmp_gt_i32 s35, 24
	s_cbranch_scc0 .LBB23_2003
; %bb.1994:
	global_load_u8 v7, v[4:5], off
	s_mov_b32 s51, 0
	s_mov_b32 s4, exec_lo
	s_wait_loadcnt 0x0
	v_cmpx_lt_i16_e32 0x7f, v7
	s_xor_b32 s50, exec_lo, s4
	s_cbranch_execz .LBB23_2015
; %bb.1995:
	v_cmp_ne_u16_e32 vcc_lo, 0x80, v7
	s_and_b32 s51, vcc_lo, exec_lo
	s_and_not1_saveexec_b32 s50, s50
	s_cbranch_execnz .LBB23_2016
.LBB23_1996:
	s_or_b32 exec_lo, exec_lo, s50
	v_mov_b32_e32 v10, 0
	s_and_saveexec_b32 s50, s51
	s_cbranch_execz .LBB23_1998
.LBB23_1997:
	v_and_b32_e32 v9, 0xffff, v7
	s_delay_alu instid0(VALU_DEP_1) | instskip(SKIP_1) | instid1(VALU_DEP_2)
	v_and_b32_e32 v10, 3, v9
	v_bfe_u32 v13, v9, 2, 5
	v_clz_i32_u32_e32 v11, v10
	s_delay_alu instid0(VALU_DEP_2) | instskip(NEXT) | instid1(VALU_DEP_2)
	v_cmp_eq_u32_e32 vcc_lo, 0, v13
	v_min_u32_e32 v11, 32, v11
	s_delay_alu instid0(VALU_DEP_1) | instskip(NEXT) | instid1(VALU_DEP_1)
	v_subrev_nc_u32_e32 v12, 29, v11
	v_dual_lshlrev_b32 v9, v12, v9 :: v_dual_sub_nc_u32 v11, 30, v11
	s_delay_alu instid0(VALU_DEP_1) | instskip(NEXT) | instid1(VALU_DEP_1)
	v_dual_lshlrev_b32 v7, 24, v7 :: v_dual_bitop2_b32 v9, 3, v9 bitop3:0x40
	v_dual_cndmask_b32 v9, v10, v9, vcc_lo :: v_dual_cndmask_b32 v11, v13, v11, vcc_lo
	s_delay_alu instid0(VALU_DEP_2) | instskip(NEXT) | instid1(VALU_DEP_2)
	v_and_b32_e32 v7, 0x80000000, v7
	v_lshlrev_b32_e32 v9, 21, v9
	s_delay_alu instid0(VALU_DEP_3) | instskip(NEXT) | instid1(VALU_DEP_1)
	v_lshl_add_u32 v10, v11, 23, 0x37800000
	v_or3_b32 v7, v7, v10, v9
	s_delay_alu instid0(VALU_DEP_1)
	v_cvt_i32_f32_e32 v10, v7
.LBB23_1998:
	s_or_b32 exec_lo, exec_lo, s50
	s_mov_b32 s50, 0
	s_branch .LBB23_2004
.LBB23_1999:
	s_mov_b32 s51, -1
                                        ; implicit-def: $vgpr10
	s_branch .LBB23_2010
.LBB23_2000:
	s_and_not1_saveexec_b32 s50, s50
	s_cbranch_execz .LBB23_1985
.LBB23_2001:
	v_cmp_ne_u16_e32 vcc_lo, 0, v7
	s_and_not1_b32 s4, s51, exec_lo
	s_and_b32 s5, vcc_lo, exec_lo
	s_delay_alu instid0(SALU_CYCLE_1)
	s_or_b32 s51, s4, s5
	s_or_b32 exec_lo, exec_lo, s50
	v_mov_b32_e32 v10, 0
	s_and_saveexec_b32 s50, s51
	s_cbranch_execnz .LBB23_1986
	s_branch .LBB23_1987
.LBB23_2002:
	s_mov_b32 s50, -1
                                        ; implicit-def: $vgpr10
	s_branch .LBB23_2007
.LBB23_2003:
	s_mov_b32 s50, -1
                                        ; implicit-def: $vgpr10
.LBB23_2004:
	s_delay_alu instid0(SALU_CYCLE_1)
	s_and_b32 vcc_lo, exec_lo, s50
	s_cbranch_vccz .LBB23_2006
; %bb.2005:
	global_load_u8 v7, v[4:5], off
	s_wait_loadcnt 0x0
	v_lshlrev_b32_e32 v7, 24, v7
	s_delay_alu instid0(VALU_DEP_1) | instskip(SKIP_1) | instid1(VALU_DEP_1)
	v_and_b32_e32 v9, 0x7f000000, v7
	s_wait_xcnt 0x1
	v_clz_i32_u32_e32 v10, v9
	v_cmp_ne_u32_e32 vcc_lo, 0, v9
	v_add_nc_u32_e32 v12, 0x1000000, v9
	s_delay_alu instid0(VALU_DEP_3) | instskip(NEXT) | instid1(VALU_DEP_1)
	v_min_u32_e32 v10, 32, v10
	v_sub_nc_u32_e64 v10, v10, 4 clamp
	s_delay_alu instid0(VALU_DEP_1) | instskip(NEXT) | instid1(VALU_DEP_1)
	v_dual_lshlrev_b32 v11, v10, v9 :: v_dual_lshlrev_b32 v10, 23, v10
	v_lshrrev_b32_e32 v11, 4, v11
	s_delay_alu instid0(VALU_DEP_1) | instskip(NEXT) | instid1(VALU_DEP_1)
	v_dual_sub_nc_u32 v10, v11, v10 :: v_dual_ashrrev_i32 v11, 8, v12
	v_add_nc_u32_e32 v10, 0x3c000000, v10
	s_delay_alu instid0(VALU_DEP_1) | instskip(NEXT) | instid1(VALU_DEP_1)
	v_and_or_b32 v10, 0x7f800000, v11, v10
	v_cndmask_b32_e32 v9, 0, v10, vcc_lo
	s_delay_alu instid0(VALU_DEP_1) | instskip(NEXT) | instid1(VALU_DEP_1)
	v_and_or_b32 v7, 0x80000000, v7, v9
	v_cvt_i32_f32_e32 v10, v7
.LBB23_2006:
	s_mov_b32 s50, 0
.LBB23_2007:
	s_delay_alu instid0(SALU_CYCLE_1)
	s_and_not1_b32 vcc_lo, exec_lo, s50
	s_cbranch_vccnz .LBB23_2009
; %bb.2008:
	global_load_u8 v7, v[4:5], off
	s_wait_loadcnt 0x0
	v_lshlrev_b32_e32 v9, 25, v7
	v_lshlrev_b16 v7, 8, v7
	s_wait_xcnt 0x1
	s_delay_alu instid0(VALU_DEP_1) | instskip(NEXT) | instid1(VALU_DEP_3)
	v_and_or_b32 v11, 0x7f00, v7, 0.5
	v_lshrrev_b32_e32 v10, 4, v9
	v_bfe_i32 v7, v7, 0, 16
	s_delay_alu instid0(VALU_DEP_3) | instskip(NEXT) | instid1(VALU_DEP_3)
	v_add_f32_e32 v11, -0.5, v11
	v_or_b32_e32 v10, 0x70000000, v10
	s_delay_alu instid0(VALU_DEP_1) | instskip(SKIP_1) | instid1(VALU_DEP_2)
	v_mul_f32_e32 v10, 0x7800000, v10
	v_cmp_gt_u32_e32 vcc_lo, 0x8000000, v9
	v_cndmask_b32_e32 v9, v10, v11, vcc_lo
	s_delay_alu instid0(VALU_DEP_1) | instskip(NEXT) | instid1(VALU_DEP_1)
	v_and_or_b32 v7, 0x80000000, v7, v9
	v_cvt_i32_f32_e32 v10, v7
.LBB23_2009:
	s_mov_b32 s51, 0
	s_mov_b32 s50, -1
.LBB23_2010:
	s_and_not1_b32 vcc_lo, exec_lo, s51
	s_cbranch_vccnz .LBB23_2023
; %bb.2011:
	s_cmp_gt_i32 s35, 14
	s_cbranch_scc0 .LBB23_2014
; %bb.2012:
	s_cmp_eq_u32 s35, 15
	s_cbranch_scc0 .LBB23_2017
; %bb.2013:
	global_load_u16 v7, v[4:5], off
	s_mov_b32 s50, -1
	s_mov_b32 s104, 0
	s_wait_loadcnt 0x0
	v_lshlrev_b32_e32 v7, 16, v7
	s_wait_xcnt 0x1
	s_delay_alu instid0(VALU_DEP_1)
	v_cvt_i32_f32_e32 v10, v7
	s_branch .LBB23_2018
.LBB23_2014:
	s_mov_b32 s51, -1
                                        ; implicit-def: $vgpr10
	s_branch .LBB23_2019
.LBB23_2015:
	s_and_not1_saveexec_b32 s50, s50
	s_cbranch_execz .LBB23_1996
.LBB23_2016:
	v_cmp_ne_u16_e32 vcc_lo, 0, v7
	s_and_not1_b32 s4, s51, exec_lo
	s_and_b32 s5, vcc_lo, exec_lo
	s_delay_alu instid0(SALU_CYCLE_1)
	s_or_b32 s51, s4, s5
	s_or_b32 exec_lo, exec_lo, s50
	v_mov_b32_e32 v10, 0
	s_and_saveexec_b32 s50, s51
	s_cbranch_execnz .LBB23_1997
	s_branch .LBB23_1998
.LBB23_2017:
	s_mov_b32 s104, -1
                                        ; implicit-def: $vgpr10
.LBB23_2018:
	s_mov_b32 s51, 0
.LBB23_2019:
	s_delay_alu instid0(SALU_CYCLE_1)
	s_and_b32 vcc_lo, exec_lo, s51
	s_cbranch_vccz .LBB23_2023
; %bb.2020:
	s_cmp_eq_u32 s35, 11
	s_cbranch_scc0 .LBB23_2022
; %bb.2021:
	global_load_u8 v7, v[4:5], off
	s_mov_b32 s104, 0
	s_mov_b32 s50, -1
	s_wait_loadcnt 0x0
	v_cmp_ne_u16_e32 vcc_lo, 0, v7
	s_wait_xcnt 0x1
	v_cndmask_b32_e64 v10, 0, 1, vcc_lo
	s_branch .LBB23_2023
.LBB23_2022:
	s_mov_b32 s104, -1
                                        ; implicit-def: $vgpr10
.LBB23_2023:
	s_mov_b32 s35, 0
.LBB23_2024:
	s_delay_alu instid0(SALU_CYCLE_1)
	s_and_b32 vcc_lo, exec_lo, s35
	s_cbranch_vccz .LBB23_2073
; %bb.2025:
	s_and_b32 s0, 0xffff, s0
	s_delay_alu instid0(SALU_CYCLE_1)
	s_cmp_lt_i32 s0, 5
	s_cbranch_scc1 .LBB23_2030
; %bb.2026:
	s_cmp_lt_i32 s0, 8
	s_cbranch_scc1 .LBB23_2031
; %bb.2027:
	;; [unrolled: 3-line block ×3, first 2 shown]
	s_cmp_gt_i32 s0, 9
	s_cbranch_scc0 .LBB23_2033
; %bb.2029:
	s_wait_loadcnt 0x0
	global_load_b64 v[10:11], v[4:5], off
	s_mov_b32 s35, 0
	s_wait_loadcnt 0x0
	v_cvt_i32_f64_e32 v10, v[10:11]
	s_branch .LBB23_2034
.LBB23_2030:
	s_mov_b32 s35, -1
                                        ; implicit-def: $vgpr10
	s_branch .LBB23_2052
.LBB23_2031:
	s_mov_b32 s35, -1
                                        ; implicit-def: $vgpr10
	s_branch .LBB23_2040
.LBB23_2032:
	s_mov_b32 s35, -1
                                        ; implicit-def: $vgpr10
	s_branch .LBB23_2037
.LBB23_2033:
	s_mov_b32 s35, -1
                                        ; implicit-def: $vgpr10
.LBB23_2034:
	s_delay_alu instid0(SALU_CYCLE_1)
	s_and_not1_b32 vcc_lo, exec_lo, s35
	s_cbranch_vccnz .LBB23_2036
; %bb.2035:
	global_load_b32 v7, v[4:5], off
	s_wait_loadcnt 0x0
	s_wait_xcnt 0x1
	v_cvt_i32_f32_e32 v10, v7
.LBB23_2036:
	s_mov_b32 s35, 0
.LBB23_2037:
	s_delay_alu instid0(SALU_CYCLE_1)
	s_and_not1_b32 vcc_lo, exec_lo, s35
	s_cbranch_vccnz .LBB23_2039
; %bb.2038:
	global_load_b32 v7, v[4:5], off
	s_wait_loadcnt 0x0
	v_cvt_f32_f16_e32 v7, v7
	s_wait_xcnt 0x1
	s_delay_alu instid0(VALU_DEP_1)
	v_cvt_i32_f32_e32 v10, v7
.LBB23_2039:
	s_mov_b32 s35, 0
.LBB23_2040:
	s_delay_alu instid0(SALU_CYCLE_1)
	s_and_not1_b32 vcc_lo, exec_lo, s35
	s_cbranch_vccnz .LBB23_2051
; %bb.2041:
	s_cmp_lt_i32 s0, 6
	s_cbranch_scc1 .LBB23_2044
; %bb.2042:
	s_cmp_gt_i32 s0, 6
	s_cbranch_scc0 .LBB23_2045
; %bb.2043:
	s_wait_loadcnt 0x0
	global_load_b64 v[10:11], v[4:5], off
	s_mov_b32 s35, 0
	s_wait_loadcnt 0x0
	v_cvt_i32_f64_e32 v10, v[10:11]
	s_branch .LBB23_2046
.LBB23_2044:
	s_mov_b32 s35, -1
                                        ; implicit-def: $vgpr10
	s_branch .LBB23_2049
.LBB23_2045:
	s_mov_b32 s35, -1
                                        ; implicit-def: $vgpr10
.LBB23_2046:
	s_delay_alu instid0(SALU_CYCLE_1)
	s_and_not1_b32 vcc_lo, exec_lo, s35
	s_cbranch_vccnz .LBB23_2048
; %bb.2047:
	global_load_b32 v7, v[4:5], off
	s_wait_loadcnt 0x0
	s_wait_xcnt 0x1
	v_cvt_i32_f32_e32 v10, v7
.LBB23_2048:
	s_mov_b32 s35, 0
.LBB23_2049:
	s_delay_alu instid0(SALU_CYCLE_1)
	s_and_not1_b32 vcc_lo, exec_lo, s35
	s_cbranch_vccnz .LBB23_2051
; %bb.2050:
	global_load_u16 v7, v[4:5], off
	s_wait_loadcnt 0x0
	v_cvt_f32_f16_e32 v7, v7
	s_wait_xcnt 0x1
	s_delay_alu instid0(VALU_DEP_1)
	v_cvt_i32_f32_e32 v10, v7
.LBB23_2051:
	s_mov_b32 s35, 0
.LBB23_2052:
	s_delay_alu instid0(SALU_CYCLE_1)
	s_and_not1_b32 vcc_lo, exec_lo, s35
	s_cbranch_vccnz .LBB23_2072
; %bb.2053:
	s_cmp_lt_i32 s0, 2
	s_cbranch_scc1 .LBB23_2057
; %bb.2054:
	s_cmp_lt_i32 s0, 3
	s_cbranch_scc1 .LBB23_2058
; %bb.2055:
	s_cmp_gt_i32 s0, 3
	s_cbranch_scc0 .LBB23_2059
; %bb.2056:
	s_wait_loadcnt 0x0
	global_load_b32 v10, v[4:5], off
	s_mov_b32 s35, 0
	s_branch .LBB23_2060
.LBB23_2057:
	s_mov_b32 s35, -1
                                        ; implicit-def: $vgpr10
	s_branch .LBB23_2066
.LBB23_2058:
	s_mov_b32 s35, -1
                                        ; implicit-def: $vgpr10
	s_branch .LBB23_2063
.LBB23_2059:
	s_mov_b32 s35, -1
                                        ; implicit-def: $vgpr10
.LBB23_2060:
	s_delay_alu instid0(SALU_CYCLE_1)
	s_and_not1_b32 vcc_lo, exec_lo, s35
	s_cbranch_vccnz .LBB23_2062
; %bb.2061:
	s_wait_loadcnt 0x0
	global_load_b32 v10, v[4:5], off
.LBB23_2062:
	s_mov_b32 s35, 0
.LBB23_2063:
	s_delay_alu instid0(SALU_CYCLE_1)
	s_and_not1_b32 vcc_lo, exec_lo, s35
	s_cbranch_vccnz .LBB23_2065
; %bb.2064:
	s_wait_loadcnt 0x0
	global_load_i16 v10, v[4:5], off
.LBB23_2065:
	s_mov_b32 s35, 0
.LBB23_2066:
	s_delay_alu instid0(SALU_CYCLE_1)
	s_and_not1_b32 vcc_lo, exec_lo, s35
	s_cbranch_vccnz .LBB23_2072
; %bb.2067:
	s_cmp_gt_i32 s0, 0
	s_mov_b32 s0, 0
	s_cbranch_scc0 .LBB23_2069
; %bb.2068:
	s_wait_loadcnt 0x0
	global_load_i8 v10, v[4:5], off
	s_branch .LBB23_2070
.LBB23_2069:
	s_mov_b32 s0, -1
                                        ; implicit-def: $vgpr10
.LBB23_2070:
	s_delay_alu instid0(SALU_CYCLE_1)
	s_and_not1_b32 vcc_lo, exec_lo, s0
	s_cbranch_vccnz .LBB23_2072
; %bb.2071:
	s_wait_loadcnt 0x0
	global_load_u8 v10, v[4:5], off
.LBB23_2072:
	s_mov_b32 s50, -1
.LBB23_2073:
	s_delay_alu instid0(SALU_CYCLE_1)
	s_and_not1_b32 vcc_lo, exec_lo, s50
	s_cbranch_vccnz .LBB23_2084
; %bb.2074:
	v_cmp_eq_u32_e32 vcc_lo, s38, v1
	s_mov_b32 s0, 0
	s_mov_b32 s52, -1
	s_mov_b32 s53, s91
	s_mov_b32 s51, s95
	s_and_b32 s4, s66, vcc_lo
	s_mov_b32 s50, s94
	s_mov_b32 s35, s67
	s_wait_xcnt 0x0
	s_and_saveexec_b32 s19, s4
	s_cbranch_execz .LBB23_4292
; %bb.2075:
	s_wait_loadcnt 0x0
	v_cmp_eq_u32_e32 vcc_lo, s70, v3
	s_mov_b32 s51, -1
	s_mov_b32 s52, s95
	s_mov_b32 s50, s94
	;; [unrolled: 1-line block ×3, first 2 shown]
	s_and_b32 s4, s45, vcc_lo
	s_delay_alu instid0(SALU_CYCLE_1)
	s_and_saveexec_b32 s26, s4
	s_cbranch_execz .LBB23_3778
; %bb.2076:
	v_sub_nc_u32_e32 v1, v6, v8
	s_mov_b32 s35, 0
	s_mov_b32 s50, -1
	s_mov_b32 s52, s67
	s_delay_alu instid0(VALU_DEP_1) | instskip(SKIP_4) | instid1(SALU_CYCLE_1)
	v_cmp_le_i32_e32 vcc_lo, s38, v1
	v_cmp_ge_i32_e64 s0, s68, v1
	s_and_b32 s4, vcc_lo, s0
	s_mov_b32 s0, s94
	s_and_b32 s4, s16, s4
	s_and_saveexec_b32 vcc_hi, s4
	s_cbranch_execz .LBB23_3777
; %bb.2077:
	v_mov_b64_e32 v[4:5], 0
	s_and_not1_b32 vcc_lo, exec_lo, s17
	s_cbranch_vccnz .LBB23_2113
; %bb.2078:
	v_ashrrev_i32_e32 v11, 31, v10
	s_mov_b32 s51, 0
	v_mov_b64_e32 v[4:5], 0
	s_mov_b32 s35, s51
	s_delay_alu instid0(SALU_CYCLE_1)
	s_lshl_b64 s[4:5], s[34:35], 3
	v_mul_u64_e32 v[12:13], s[70:71], v[10:11]
	v_mov_b32_e32 v10, 0
	s_add_nc_u64 s[4:5], s[2:3], s[4:5]
	s_mov_b32 s35, s25
	s_add_nc_u64 s[52:53], s[4:5], 0x298
	s_branch .LBB23_2080
.LBB23_2079:                            ;   in Loop: Header=BB23_2080 Depth=1
	s_or_b32 exec_lo, exec_lo, s0
	s_delay_alu instid0(VALU_DEP_1)
	v_mul_u64_e32 v[16:17], s[54:55], v[14:15]
	s_load_b64 s[4:5], s[52:53], 0x40
	s_add_co_i32 s35, s35, -1
	s_wait_xcnt 0x0
	s_add_nc_u64 s[52:53], s[52:53], -8
	s_cmp_lg_u32 s35, 0
	s_delay_alu instid0(VALU_DEP_1) | instskip(SKIP_1) | instid1(VALU_DEP_1)
	v_sub_nc_u64_e32 v[12:13], v[12:13], v[16:17]
	s_wait_kmcnt 0x0
	v_mad_nc_u64_u32 v[4:5], v12, s4, v[4:5]
	s_delay_alu instid0(VALU_DEP_1) | instskip(NEXT) | instid1(VALU_DEP_1)
	v_mad_u32 v1, v13, s4, v5
	v_mad_u32 v5, v12, s5, v1
	v_mov_b64_e32 v[12:13], v[14:15]
	s_cbranch_scc0 .LBB23_2113
.LBB23_2080:                            ; =>This Inner Loop Header: Depth=1
	s_load_b64 s[54:55], s[52:53], 0x0
                                        ; implicit-def: $vgpr14_vgpr15
	s_mov_b32 s0, exec_lo
	s_wait_kmcnt 0x0
	s_delay_alu instid0(VALU_DEP_1) | instskip(NEXT) | instid1(VALU_DEP_1)
	v_or_b32_e32 v11, s55, v13
	v_cmpx_ne_u64_e32 0, v[10:11]
	s_xor_b32 s93, exec_lo, s0
	s_cbranch_execz .LBB23_2082
; %bb.2081:                             ;   in Loop: Header=BB23_2080 Depth=1
	s_ashr_i32 s56, s55, 31
	s_mov_b64 s[14:15], s[70:71]
	s_mov_b32 s57, s56
	s_mov_b32 s12, s68
	s_add_nc_u64 s[4:5], s[54:55], s[56:57]
	s_mov_b64 s[70:71], s[42:43]
	s_xor_b64 s[58:59], s[4:5], s[56:57]
	s_mov_b32 s68, s40
	s_cvt_f32_u32 s0, s58
	s_cvt_f32_u32 s4, s59
	s_sub_nc_u64 s[6:7], 0, s[58:59]
	s_mov_b64 s[42:43], s[30:31]
	s_mov_b64 s[40:41], s[28:29]
	s_fmamk_f32 s0, s4, 0x4f800000, s0
	v_dual_mov_b32 v19, v10 :: v_dual_ashrrev_i32 v14, 31, v13
	s_delay_alu instid0(SALU_CYCLE_2) | instskip(NEXT) | instid1(VALU_DEP_1)
	v_s_rcp_f32 s0, s0
	v_mov_b32_e32 v15, v14
	s_delay_alu instid0(VALU_DEP_1) | instskip(NEXT) | instid1(TRANS32_DEP_1)
	v_add_nc_u64_e32 v[16:17], v[12:13], v[14:15]
	s_mul_f32 s0, s0, 0x5f7ffffc
	v_mov_b32_e32 v21, v10
	s_delay_alu instid0(SALU_CYCLE_2) | instskip(NEXT) | instid1(VALU_DEP_2)
	s_mul_f32 s4, s0, 0x2f800000
	v_xor_b32_e32 v18, v16, v14
	s_delay_alu instid0(VALU_DEP_3) | instskip(NEXT) | instid1(SALU_CYCLE_1)
	v_xor_b32_e32 v20, v17, v14
	s_trunc_f32 s4, s4
	v_dual_mov_b32 v27, v10 :: v_dual_bitop2_b32 v14, s56, v14 bitop3:0x14
	s_delay_alu instid0(SALU_CYCLE_2) | instskip(SKIP_1) | instid1(SALU_CYCLE_2)
	s_fmamk_f32 s0, s4, 0xcf800000, s0
	s_cvt_u32_f32 s5, s4
	s_cvt_u32_f32 s4, s0
	s_delay_alu instid0(SALU_CYCLE_3) | instskip(NEXT) | instid1(SALU_CYCLE_1)
	s_mul_u64 s[8:9], s[6:7], s[4:5]
	s_mul_hi_u32 s11, s4, s9
	s_mul_i32 s10, s4, s9
	s_mul_hi_u32 s50, s4, s8
	s_mul_i32 s28, s5, s8
	s_add_nc_u64 s[10:11], s[50:51], s[10:11]
	s_mul_hi_u32 s0, s5, s8
	s_mul_hi_u32 s29, s5, s9
	s_mul_i32 s8, s5, s9
	s_add_co_u32 s9, s10, s28
	s_add_co_ci_u32 s50, s11, s0
	s_add_co_ci_u32 s9, s29, 0
	s_mov_b64 s[28:29], s[40:41]
	s_add_nc_u64 s[8:9], s[50:51], s[8:9]
	s_mov_b64 s[30:31], s[42:43]
	s_add_co_u32 s4, s4, s8
	s_cselect_b32 s0, -1, 0
	s_mov_b64 s[42:43], s[70:71]
	s_cmp_lg_u32 s0, 0
	s_mov_b32 s40, s68
	s_add_co_ci_u32 s5, s5, s9
	s_mov_b64 s[70:71], s[14:15]
	s_mul_u64 s[6:7], s[6:7], s[4:5]
	s_mov_b32 s68, s12
	s_mul_hi_u32 s9, s4, s7
	s_mul_i32 s8, s4, s7
	s_mul_hi_u32 s50, s4, s6
	s_mul_i32 s10, s5, s6
	s_add_nc_u64 s[8:9], s[50:51], s[8:9]
	s_mul_hi_u32 s0, s5, s6
	s_mul_hi_u32 s11, s5, s7
	s_mul_i32 s6, s5, s7
	s_add_co_u32 s7, s8, s10
	s_add_co_ci_u32 s50, s9, s0
	s_add_co_ci_u32 s7, s11, 0
	s_delay_alu instid0(SALU_CYCLE_1) | instskip(NEXT) | instid1(SALU_CYCLE_1)
	s_add_nc_u64 s[6:7], s[50:51], s[6:7]
	s_add_co_u32 s0, s4, s6
	s_cselect_b32 s4, -1, 0
	v_mul_hi_u32 v26, v18, s0
	s_cmp_lg_u32 s4, 0
	s_add_co_ci_u32 s50, s5, s7
	s_mov_b64 s[4:5], 0xffffffff
	v_mul_u64_e32 v[22:23], s[50:51], v[18:19]
	s_and_b64 s[4:5], s[0:1], s[4:5]
	v_mul_u64_e32 v[24:25], s[50:51], v[20:21]
	v_mul_u64_e32 v[16:17], s[4:5], v[20:21]
	s_delay_alu instid0(VALU_DEP_3) | instskip(NEXT) | instid1(VALU_DEP_1)
	v_add_nc_u64_e32 v[22:23], v[26:27], v[22:23]
	v_add_co_u32 v1, vcc_lo, v22, v16
	s_delay_alu instid0(VALU_DEP_2) | instskip(SKIP_1) | instid1(VALU_DEP_1)
	v_add_co_ci_u32_e32 v26, vcc_lo, v23, v17, vcc_lo
	v_add_co_ci_u32_e32 v25, vcc_lo, 0, v25, vcc_lo
	v_add_nc_u64_e32 v[16:17], v[26:27], v[24:25]
	s_delay_alu instid0(VALU_DEP_1) | instskip(NEXT) | instid1(VALU_DEP_1)
	v_mul_u64_e32 v[22:23], s[58:59], v[16:17]
	v_sub_nc_u32_e32 v1, v20, v23
	s_delay_alu instid0(VALU_DEP_2) | instskip(NEXT) | instid1(VALU_DEP_1)
	v_sub_co_u32 v3, vcc_lo, v18, v22
	v_sub_co_ci_u32_e64 v9, null, v20, v23, vcc_lo
	s_delay_alu instid0(VALU_DEP_3) | instskip(NEXT) | instid1(VALU_DEP_3)
	v_subrev_co_ci_u32_e64 v1, null, s59, v1, vcc_lo
	v_sub_co_u32 v7, s0, v3, s58
	v_add_nc_u64_e32 v[18:19], 2, v[16:17]
	s_delay_alu instid0(VALU_DEP_3) | instskip(NEXT) | instid1(VALU_DEP_3)
	v_subrev_co_ci_u32_e64 v1, null, 0, v1, s0
	v_cmp_le_u32_e32 vcc_lo, s58, v7
	v_add_nc_u64_e32 v[20:21], 1, v[16:17]
	v_cndmask_b32_e64 v7, 0, -1, vcc_lo
	s_delay_alu instid0(VALU_DEP_4)
	v_cmp_le_u32_e32 vcc_lo, s59, v1
	v_cndmask_b32_e64 v11, 0, -1, vcc_lo
	v_cmp_le_u32_e32 vcc_lo, s58, v3
	v_cndmask_b32_e64 v3, 0, -1, vcc_lo
	;; [unrolled: 2-line block ×3, first 2 shown]
	v_cmp_eq_u32_e32 vcc_lo, s59, v1
	v_cndmask_b32_e32 v1, v11, v7, vcc_lo
	v_cmp_eq_u32_e32 vcc_lo, s59, v9
	s_delay_alu instid0(VALU_DEP_4) | instskip(NEXT) | instid1(VALU_DEP_3)
	v_cndmask_b32_e32 v3, v15, v3, vcc_lo
	v_cmp_ne_u32_e32 vcc_lo, 0, v1
	v_mov_b32_e32 v15, v14
	s_delay_alu instid0(VALU_DEP_3) | instskip(SKIP_1) | instid1(VALU_DEP_1)
	v_cmp_ne_u32_e64 s0, 0, v3
	v_dual_cndmask_b32 v1, v21, v19, vcc_lo :: v_dual_cndmask_b32 v3, v20, v18, vcc_lo
	v_dual_cndmask_b32 v1, v17, v1, s0 :: v_dual_cndmask_b32 v3, v16, v3, s0
	s_delay_alu instid0(VALU_DEP_1) | instskip(NEXT) | instid1(VALU_DEP_2)
	v_xor_b32_e32 v17, v1, v14
	v_xor_b32_e32 v16, v3, v14
	s_delay_alu instid0(VALU_DEP_1)
	v_sub_nc_u64_e32 v[14:15], v[16:17], v[14:15]
.LBB23_2082:                            ;   in Loop: Header=BB23_2080 Depth=1
	s_and_not1_saveexec_b32 s0, s93
	s_cbranch_execz .LBB23_2079
; %bb.2083:                             ;   in Loop: Header=BB23_2080 Depth=1
	v_cvt_f32_u32_e32 v1, s54
	s_sub_co_i32 s4, 0, s54
	v_mov_b32_e32 v15, v10
	s_delay_alu instid0(VALU_DEP_2) | instskip(SKIP_1) | instid1(TRANS32_DEP_1)
	v_rcp_iflag_f32_e32 v1, v1
	v_nop
	v_mul_f32_e32 v1, 0x4f7ffffe, v1
	s_delay_alu instid0(VALU_DEP_1) | instskip(NEXT) | instid1(VALU_DEP_1)
	v_cvt_u32_f32_e32 v1, v1
	v_mul_lo_u32 v3, s4, v1
	s_delay_alu instid0(VALU_DEP_1) | instskip(NEXT) | instid1(VALU_DEP_1)
	v_mul_hi_u32 v3, v1, v3
	v_add_nc_u32_e32 v1, v1, v3
	s_delay_alu instid0(VALU_DEP_1) | instskip(NEXT) | instid1(VALU_DEP_1)
	v_mul_hi_u32 v1, v12, v1
	v_mul_lo_u32 v3, v1, s54
	s_delay_alu instid0(VALU_DEP_1) | instskip(NEXT) | instid1(VALU_DEP_1)
	v_dual_add_nc_u32 v7, 1, v1 :: v_dual_sub_nc_u32 v3, v12, v3
	v_subrev_nc_u32_e32 v9, s54, v3
	v_cmp_le_u32_e32 vcc_lo, s54, v3
	s_delay_alu instid0(VALU_DEP_2) | instskip(NEXT) | instid1(VALU_DEP_1)
	v_dual_cndmask_b32 v3, v3, v9, vcc_lo :: v_dual_cndmask_b32 v1, v1, v7, vcc_lo
	v_cmp_le_u32_e32 vcc_lo, s54, v3
	s_delay_alu instid0(VALU_DEP_2) | instskip(NEXT) | instid1(VALU_DEP_1)
	v_add_nc_u32_e32 v7, 1, v1
	v_cndmask_b32_e32 v14, v1, v7, vcc_lo
	s_branch .LBB23_2079
.LBB23_2084:
	s_mov_b32 s0, 0
	s_mov_b32 s35, s67
	;; [unrolled: 1-line block ×6, first 2 shown]
.LBB23_2085:
                                        ; implicit-def: $vgpr0
.LBB23_2086:
	s_and_not1_b32 s4, s67, exec_lo
	s_and_b32 s5, s35, exec_lo
	s_and_not1_b32 s6, s94, exec_lo
	s_and_b32 s7, s50, exec_lo
	s_or_b32 s93, s4, s5
	s_or_b32 s59, s6, s7
	s_and_not1_b32 s4, s95, exec_lo
	s_and_b32 s5, s51, exec_lo
	s_and_not1_b32 s6, s91, exec_lo
	s_and_b32 s7, s53, exec_lo
	s_or_b32 vcc_hi, s4, s5
	s_or_b32 s57, s6, s7
	s_and_not1_b32 s4, s92, exec_lo
	s_and_b32 s5, s52, exec_lo
	s_and_not1_b32 s6, s89, exec_lo
	s_and_b32 s7, s104, exec_lo
	s_or_b32 s104, s4, s5
	s_or_b32 s55, s6, s7
	s_and_not1_b32 s4, s90, exec_lo
	s_and_b32 s5, s101, exec_lo
	s_and_not1_b32 s6, s87, exec_lo
	s_and_b32 s7, s100, exec_lo
	s_or_b32 s58, s4, s5
	;; [unrolled: 6-line block ×3, first 2 shown]
	s_or_b32 s35, s6, s7
	s_or_not1_b32 s53, s0, exec_lo
.LBB23_2087:
	s_wait_xcnt 0x0
	s_or_b32 exec_lo, exec_lo, s97
	s_mov_b32 s50, 0
	s_mov_b32 s51, 0
	;; [unrolled: 1-line block ×3, first 2 shown]
                                        ; implicit-def: $sgpr0
                                        ; implicit-def: $vgpr12_vgpr13
                                        ; implicit-def: $vgpr2
                                        ; implicit-def: $vgpr8
                                        ; implicit-def: $vgpr10
                                        ; implicit-def: $vgpr4
                                        ; implicit-def: $vgpr6
                                        ; implicit-def: $vgpr3
	s_and_saveexec_b32 s97, s53
	s_cbranch_execz .LBB23_2191
; %bb.2088:
	v_cmp_gt_i32_e32 vcc_lo, s75, v0
	s_mov_b32 s53, s35
                                        ; implicit-def: $sgpr0
                                        ; implicit-def: $vgpr12_vgpr13
                                        ; implicit-def: $vgpr2
                                        ; implicit-def: $vgpr8
                                        ; implicit-def: $vgpr10
                                        ; implicit-def: $vgpr4
                                        ; implicit-def: $vgpr6
                                        ; implicit-def: $vgpr3
	s_and_saveexec_b32 s75, vcc_lo
	s_cbranch_execz .LBB23_2190
; %bb.2089:
	s_and_not1_b32 vcc_lo, exec_lo, s64
	s_cbranch_vccnz .LBB23_2096
; %bb.2090:
	s_and_not1_b32 vcc_lo, exec_lo, s13
	s_cbranch_vccnz .LBB23_2097
; %bb.2091:
	s_wait_loadcnt 0x0
	v_dual_mov_b32 v6, 0 :: v_dual_mov_b32 v1, v0
	v_dual_mov_b32 v4, 0 :: v_dual_mov_b32 v10, 0
	;; [unrolled: 1-line block ×3, first 2 shown]
	v_mov_b32_e32 v12, 0
	s_add_co_i32 s0, s74, 1
	s_mov_b64 s[4:5], 0xffffffffffffffd0
	s_mov_b64 s[12:13], s[28:29]
	s_mov_b32 s100, s39
	s_mov_b64 s[14:15], s[30:31]
	s_mov_b32 s76, s38
	s_and_b32 s0, s0, 30
	s_add_nc_u64 s[50:51], s[2:3], s[4:5]
	s_mov_b64 s[52:53], s[2:3]
.LBB23_2092:                            ; =>This Inner Loop Header: Depth=1
	s_clause 0x1
	s_load_b128 s[28:31], s[52:53], 0x4
	s_load_b64 s[98:99], s[52:53], 0x14
	s_clause 0x1
	s_load_b256 s[4:11], s[50:51], 0xf4
	s_load_b128 s[36:39], s[50:51], 0x114
	s_add_co_i32 s0, s0, -2
	s_wait_xcnt 0x0
	s_add_nc_u64 s[52:53], s[52:53], 24
	s_cmp_eq_u32 s0, 0
	s_add_nc_u64 s[50:51], s[50:51], 48
	s_wait_kmcnt 0x0
	v_mul_hi_u32 v3, s29, v1
	s_delay_alu instid0(VALU_DEP_1) | instskip(NEXT) | instid1(VALU_DEP_1)
	v_add_nc_u32_e32 v3, v1, v3
	v_lshrrev_b32_e32 v3, s30, v3
	s_delay_alu instid0(VALU_DEP_1) | instskip(SKIP_1) | instid1(VALU_DEP_1)
	v_mul_hi_u32 v5, s98, v3
	v_mul_lo_u32 v7, v3, s28
	v_dual_add_nc_u32 v5, v3, v5 :: v_dual_sub_nc_u32 v7, v1, v7
	s_delay_alu instid0(VALU_DEP_1) | instskip(NEXT) | instid1(VALU_DEP_2)
	v_lshrrev_b32_e32 v1, s99, v5
	v_mad_u32 v5, v7, s5, v12
	v_mad_u32 v2, v7, s4, v2
	;; [unrolled: 1-line block ×4, first 2 shown]
	v_mul_lo_u32 v9, v1, s31
	v_mad_u32 v4, s9, v7, v4
	v_mad_u32 v6, s8, v7, v6
	s_delay_alu instid0(VALU_DEP_3) | instskip(NEXT) | instid1(VALU_DEP_1)
	v_sub_nc_u32_e32 v3, v3, v9
	v_mad_u32 v12, v3, s11, v5
	v_mad_u32 v2, v3, s10, v2
	;; [unrolled: 1-line block ×6, first 2 shown]
	s_cbranch_scc0 .LBB23_2092
; %bb.2093:
	s_bitcmp1_b32 s74, 0
	s_cselect_b32 s0, -1, 0
	s_delay_alu instid0(SALU_CYCLE_1)
	s_and_b32 vcc_lo, exec_lo, s0
	s_cbranch_vccnz .LBB23_2095
; %bb.2094:
	s_load_b96 s[8:10], s[52:53], 0x4
	s_wait_kmcnt 0x0
	v_mul_hi_u32 v3, s9, v1
	s_delay_alu instid0(VALU_DEP_1) | instskip(NEXT) | instid1(VALU_DEP_1)
	v_add_nc_u32_e32 v3, v1, v3
	v_lshrrev_b32_e32 v3, s10, v3
	s_clause 0x1
	s_load_b128 s[4:7], s[50:51], 0xf4
	s_load_b64 s[10:11], s[50:51], 0x104
	s_delay_alu instid0(VALU_DEP_1) | instskip(NEXT) | instid1(VALU_DEP_1)
	v_mul_lo_u32 v3, v3, s8
	v_sub_nc_u32_e32 v1, v1, v3
	s_wait_kmcnt 0x0
	s_delay_alu instid0(VALU_DEP_1)
	v_mad_u32 v2, v1, s4, v2
	v_mad_u32 v12, v1, s5, v12
	;; [unrolled: 1-line block ×6, first 2 shown]
.LBB23_2095:
	s_mov_b64 s[30:31], s[14:15]
	s_mov_b32 s38, s76
	s_mov_b64 s[28:29], s[12:13]
	s_mov_b32 s39, s100
	s_branch .LBB23_2098
.LBB23_2096:
	s_mov_b32 s0, -1
                                        ; implicit-def: $vgpr12
                                        ; implicit-def: $vgpr2
                                        ; implicit-def: $vgpr8
                                        ; implicit-def: $vgpr10
                                        ; implicit-def: $vgpr4
                                        ; implicit-def: $vgpr6
	s_branch .LBB23_2099
.LBB23_2097:
	v_dual_mov_b32 v12, 0 :: v_dual_mov_b32 v2, 0
	s_wait_loadcnt 0x0
	v_dual_mov_b32 v8, 0 :: v_dual_mov_b32 v10, 0
	v_dual_mov_b32 v4, 0 :: v_dual_mov_b32 v6, 0
.LBB23_2098:
	s_mov_b32 s0, 0
.LBB23_2099:
	s_delay_alu instid0(SALU_CYCLE_1)
	s_and_not1_b32 vcc_lo, exec_lo, s0
	s_cbranch_vccnz .LBB23_2102
; %bb.2100:
	s_wait_loadcnt 0x0
	v_mov_b32_e32 v1, 0
	s_load_b256 s[4:11], s[2:3], 0xc4
	s_and_not1_b32 vcc_lo, exec_lo, s73
	s_delay_alu instid0(VALU_DEP_1) | instskip(NEXT) | instid1(VALU_DEP_1)
	v_mul_u64_e32 v[2:3], s[46:47], v[0:1]
	v_add_nc_u32_e32 v2, v0, v3
	s_delay_alu instid0(VALU_DEP_1) | instskip(NEXT) | instid1(VALU_DEP_1)
	v_lshrrev_b32_e32 v14, s42, v2
	v_mul_lo_u32 v2, v14, s40
	s_delay_alu instid0(VALU_DEP_1) | instskip(SKIP_1) | instid1(VALU_DEP_1)
	v_sub_nc_u32_e32 v0, v0, v2
	s_wait_kmcnt 0x0
	v_mul_lo_u32 v12, v0, s5
	v_mul_lo_u32 v2, v0, s4
	v_mul_lo_u32 v8, v0, s7
	v_mul_lo_u32 v10, v0, s6
	v_mul_lo_u32 v4, s9, v0
	v_mul_lo_u32 v6, s8, v0
	s_cbranch_vccnz .LBB23_2102
; %bb.2101:
	v_mov_b32_e32 v15, v1
	s_load_b128 s[4:7], s[2:3], 0xe4
	s_delay_alu instid0(VALU_DEP_1) | instskip(NEXT) | instid1(VALU_DEP_1)
	v_mul_u64_e32 v[0:1], s[48:49], v[14:15]
	v_add_nc_u32_e32 v0, v14, v1
	s_delay_alu instid0(VALU_DEP_1) | instskip(NEXT) | instid1(VALU_DEP_1)
	v_lshrrev_b32_e32 v0, s1, v0
	v_mul_lo_u32 v0, v0, s43
	s_delay_alu instid0(VALU_DEP_1) | instskip(NEXT) | instid1(VALU_DEP_1)
	v_sub_nc_u32_e32 v0, v14, v0
	v_mad_u32 v2, v0, s10, v2
	v_mad_u32 v12, v0, s11, v12
	s_wait_kmcnt 0x0
	v_mad_u32 v10, v0, s4, v10
	v_mad_u32 v8, v0, s5, v8
	;; [unrolled: 1-line block ×4, first 2 shown]
.LBB23_2102:
	s_load_b256 s[4:11], s[2:3], 0x248
	v_mov_b32_e32 v13, 0
	s_and_b32 s0, s72, 0xff
	s_delay_alu instid0(SALU_CYCLE_1) | instskip(SKIP_1) | instid1(VALU_DEP_1)
	s_cmp_lt_i32 s0, 11
	s_wait_kmcnt 0x0
	v_add_nc_u64_e32 v[12:13], s[6:7], v[12:13]
	s_cbranch_scc1 .LBB23_2109
; %bb.2103:
	s_and_b32 s6, 0xffff, s0
	s_mov_b32 s7, 0
	s_cmp_gt_i32 s6, 25
	s_cbranch_scc0 .LBB23_2110
; %bb.2104:
	s_cmp_gt_i32 s6, 28
	s_cbranch_scc0 .LBB23_2111
; %bb.2105:
	;; [unrolled: 3-line block ×4, first 2 shown]
	s_cmp_eq_u32 s6, 46
	s_mov_b32 s13, 0
	s_cbranch_scc0 .LBB23_2128
; %bb.2108:
	global_load_b32 v0, v[12:13], off
	s_mov_b32 s1, 0
	s_mov_b32 s12, -1
	s_wait_loadcnt 0x0
	v_lshlrev_b32_e32 v0, 16, v0
	s_delay_alu instid0(VALU_DEP_1)
	v_cvt_i32_f32_e32 v3, v0
	s_branch .LBB23_2130
.LBB23_2109:
	s_mov_b32 s6, -1
	s_mov_b32 s12, 0
	s_mov_b32 s7, 0
	s_mov_b32 s1, s35
                                        ; implicit-def: $vgpr3
	s_branch .LBB23_2189
.LBB23_2110:
	s_mov_b32 s13, -1
	s_mov_b32 s12, 0
	s_mov_b32 s1, s35
                                        ; implicit-def: $vgpr3
	s_branch .LBB23_2157
.LBB23_2111:
	s_mov_b32 s13, -1
	s_mov_b32 s12, 0
	s_mov_b32 s1, s35
                                        ; implicit-def: $vgpr3
	s_branch .LBB23_2140
.LBB23_2112:
	s_mov_b32 s13, -1
	s_mov_b32 s12, 0
	s_mov_b32 s1, s35
                                        ; implicit-def: $vgpr3
	s_branch .LBB23_2135
.LBB23_2113:
	s_mov_b32 s52, -1
	s_mov_b32 s0, s94
	s_mov_b32 s35, exec_lo
	v_cmpx_gt_i32_e64 v6, v8
	s_cbranch_execz .LBB23_2120
; %bb.2114:
	s_delay_alu instid0(VALU_DEP_2) | instskip(SKIP_3) | instid1(VALU_DEP_1)
	v_lshlrev_b64_e32 v[4:5], 2, v[4:5]
	v_dual_ashrrev_i32 v9, 31, v8 :: v_dual_ashrrev_i32 v7, 31, v6
	s_mov_b32 s0, 0
	s_xor_b32 s51, s39, -1
                                        ; implicit-def: $sgpr50
                                        ; implicit-def: $sgpr53
                                        ; implicit-def: $sgpr52
	v_lshl_add_u64 v[8:9], v[8:9], 2, v[4:5]
	v_add_nc_u64_e32 v[10:11], s[20:21], v[4:5]
	s_delay_alu instid0(VALU_DEP_2) | instskip(NEXT) | instid1(VALU_DEP_2)
	v_add_nc_u64_e32 v[8:9], s[20:21], v[8:9]
	v_lshl_add_u64 v[6:7], v[6:7], 2, v[10:11]
	s_delay_alu instid0(VALU_DEP_2)
	v_add_nc_u64_e32 v[4:5], 4, v[8:9]
	s_branch .LBB23_2116
.LBB23_2115:                            ;   in Loop: Header=BB23_2116 Depth=1
	s_or_b32 exec_lo, exec_lo, s54
	s_delay_alu instid0(SALU_CYCLE_1) | instskip(NEXT) | instid1(SALU_CYCLE_1)
	s_and_b32 s4, exec_lo, s53
	s_or_b32 s0, s4, s0
	s_and_not1_b32 s4, s50, exec_lo
	s_and_b32 s5, s52, exec_lo
	s_delay_alu instid0(SALU_CYCLE_1)
	s_or_b32 s50, s4, s5
	s_and_not1_b32 exec_lo, exec_lo, s0
	s_cbranch_execz .LBB23_2119
.LBB23_2116:                            ; =>This Inner Loop Header: Depth=1
	s_or_b32 s52, s52, exec_lo
	s_or_b32 s53, s53, exec_lo
	s_mov_b32 s54, exec_lo
	s_delay_alu instid0(VALU_DEP_1)
	v_cmpx_lt_u64_e64 v[4:5], v[6:7]
	s_cbranch_execz .LBB23_2115
; %bb.2117:                             ;   in Loop: Header=BB23_2116 Depth=1
	global_load_b64 v[8:9], v[4:5], off offset:-4
	s_wait_xcnt 0x0
	v_add_nc_u64_e32 v[4:5], 4, v[4:5]
	s_and_not1_b32 s5, s53, exec_lo
	s_and_not1_b32 s52, s52, exec_lo
	s_wait_loadcnt 0x0
	v_cmp_ge_i32_e32 vcc_lo, v8, v9
	s_or_b32 s4, s51, vcc_lo
	s_delay_alu instid0(SALU_CYCLE_1) | instskip(NEXT) | instid1(SALU_CYCLE_1)
	s_and_b32 s4, s4, exec_lo
	s_or_b32 s53, s5, s4
	s_branch .LBB23_2115
.LBB23_2118:
	s_mov_b32 s13, -1
	s_mov_b32 s12, 0
	s_mov_b32 s1, s35
	s_branch .LBB23_2129
.LBB23_2119:
	s_or_b32 exec_lo, exec_lo, s0
	s_delay_alu instid0(SALU_CYCLE_1)
	s_or_b32 s0, s94, exec_lo
	s_or_not1_b32 s52, s50, exec_lo
.LBB23_2120:
	s_or_b32 exec_lo, exec_lo, s35
	s_mov_b32 s51, 0
	s_mov_b32 s50, s67
	s_and_saveexec_b32 s35, s52
	s_cbranch_execz .LBB23_3776
; %bb.2121:
	s_load_b256 s[4:11], s[2:3], 0x248
	v_mov_b32_e32 v3, 0
	s_and_b32 s51, s22, 0xff
	s_delay_alu instid0(SALU_CYCLE_1) | instskip(SKIP_1) | instid1(VALU_DEP_1)
	s_cmp_lt_i32 s51, 11
	s_wait_kmcnt 0x0
	v_add_nc_u64_e32 v[2:3], s[4:5], v[2:3]
	s_cbranch_scc1 .LBB23_3598
; %bb.2122:
	s_and_b32 s52, 0xffff, s51
	s_delay_alu instid0(SALU_CYCLE_1)
	s_cmp_gt_i32 s52, 25
	s_cbranch_scc0 .LBB23_3600
; %bb.2123:
	s_cmp_gt_i32 s52, 28
	s_cbranch_scc0 .LBB23_3602
; %bb.2124:
	;; [unrolled: 3-line block ×4, first 2 shown]
	s_mov_b32 s54, 0
	s_mov_b32 s50, -1
	s_cmp_eq_u32 s52, 46
	s_mov_b32 s53, 0
	s_cbranch_scc0 .LBB23_3694
; %bb.2127:
	v_mov_b32_e32 v1, 0
	s_mov_b32 s53, -1
	s_mov_b32 s50, 0
	global_store_b32 v[2:3], v1, off
	s_branch .LBB23_3694
.LBB23_2128:
	s_mov_b32 s1, -1
	s_mov_b32 s12, 0
.LBB23_2129:
                                        ; implicit-def: $vgpr3
.LBB23_2130:
	s_and_b32 vcc_lo, exec_lo, s13
	s_cbranch_vccz .LBB23_2134
; %bb.2131:
	s_cmp_eq_u32 s6, 44
	s_cbranch_scc0 .LBB23_2133
; %bb.2132:
	global_load_u8 v0, v[12:13], off
	s_mov_b32 s1, 0
	s_mov_b32 s12, -1
	s_wait_loadcnt 0x0
	v_lshlrev_b32_e32 v1, 23, v0
	v_cmp_ne_u32_e32 vcc_lo, 0, v0
	s_delay_alu instid0(VALU_DEP_2) | instskip(NEXT) | instid1(VALU_DEP_1)
	v_cvt_i32_f32_e32 v1, v1
	v_cndmask_b32_e32 v3, 0, v1, vcc_lo
	s_branch .LBB23_2134
.LBB23_2133:
	s_mov_b32 s1, -1
                                        ; implicit-def: $vgpr3
.LBB23_2134:
	s_mov_b32 s13, 0
.LBB23_2135:
	s_delay_alu instid0(SALU_CYCLE_1)
	s_and_b32 vcc_lo, exec_lo, s13
	s_cbranch_vccz .LBB23_2139
; %bb.2136:
	s_cmp_eq_u32 s6, 29
	s_cbranch_scc0 .LBB23_2138
; %bb.2137:
	s_wait_loadcnt 0x0
	global_load_b32 v3, v[12:13], off
	s_mov_b32 s1, 0
	s_mov_b32 s12, -1
	s_branch .LBB23_2139
.LBB23_2138:
	s_mov_b32 s1, -1
                                        ; implicit-def: $vgpr3
.LBB23_2139:
	s_mov_b32 s13, 0
.LBB23_2140:
	s_delay_alu instid0(SALU_CYCLE_1)
	s_and_b32 vcc_lo, exec_lo, s13
	s_cbranch_vccz .LBB23_2156
; %bb.2141:
	s_cmp_lt_i32 s6, 27
	s_cbranch_scc1 .LBB23_2144
; %bb.2142:
	s_cmp_gt_i32 s6, 27
	s_cbranch_scc0 .LBB23_2145
; %bb.2143:
	s_wait_loadcnt 0x0
	global_load_b32 v3, v[12:13], off
	s_mov_b32 s12, 0
	s_branch .LBB23_2146
.LBB23_2144:
	s_mov_b32 s12, -1
                                        ; implicit-def: $vgpr3
	s_branch .LBB23_2149
.LBB23_2145:
	s_mov_b32 s12, -1
                                        ; implicit-def: $vgpr3
.LBB23_2146:
	s_delay_alu instid0(SALU_CYCLE_1)
	s_and_not1_b32 vcc_lo, exec_lo, s12
	s_cbranch_vccnz .LBB23_2148
; %bb.2147:
	s_wait_loadcnt 0x0
	global_load_u16 v3, v[12:13], off
.LBB23_2148:
	s_mov_b32 s12, 0
.LBB23_2149:
	s_delay_alu instid0(SALU_CYCLE_1)
	s_and_not1_b32 vcc_lo, exec_lo, s12
	s_cbranch_vccnz .LBB23_2155
; %bb.2150:
	global_load_u8 v0, v[12:13], off
	s_mov_b32 s13, 0
	s_mov_b32 s4, exec_lo
	s_wait_loadcnt 0x0
	v_cmpx_lt_i16_e32 0x7f, v0
	s_xor_b32 s12, exec_lo, s4
	s_cbranch_execz .LBB23_2167
; %bb.2151:
	v_cmp_ne_u16_e32 vcc_lo, 0x80, v0
	s_and_b32 s13, vcc_lo, exec_lo
	s_and_not1_saveexec_b32 s12, s12
	s_cbranch_execnz .LBB23_2168
.LBB23_2152:
	s_or_b32 exec_lo, exec_lo, s12
	v_mov_b32_e32 v3, 0
	s_and_saveexec_b32 s12, s13
	s_cbranch_execz .LBB23_2154
.LBB23_2153:
	v_and_b32_e32 v1, 0xffff, v0
	s_delay_alu instid0(VALU_DEP_1) | instskip(SKIP_1) | instid1(VALU_DEP_2)
	v_dual_lshlrev_b32 v0, 24, v0 :: v_dual_bitop2_b32 v3, 7, v1 bitop3:0x40
	v_bfe_u32 v9, v1, 3, 4
	v_and_b32_e32 v0, 0x80000000, v0
	s_delay_alu instid0(VALU_DEP_3) | instskip(NEXT) | instid1(VALU_DEP_3)
	v_clz_i32_u32_e32 v5, v3
	v_cmp_eq_u32_e32 vcc_lo, 0, v9
	s_delay_alu instid0(VALU_DEP_2) | instskip(NEXT) | instid1(VALU_DEP_1)
	v_min_u32_e32 v5, 32, v5
	v_subrev_nc_u32_e32 v7, 28, v5
	v_sub_nc_u32_e32 v5, 29, v5
	s_delay_alu instid0(VALU_DEP_2) | instskip(NEXT) | instid1(VALU_DEP_2)
	v_lshlrev_b32_e32 v1, v7, v1
	v_cndmask_b32_e32 v5, v9, v5, vcc_lo
	s_delay_alu instid0(VALU_DEP_2) | instskip(NEXT) | instid1(VALU_DEP_1)
	v_and_b32_e32 v1, 7, v1
	v_cndmask_b32_e32 v1, v3, v1, vcc_lo
	s_delay_alu instid0(VALU_DEP_3) | instskip(NEXT) | instid1(VALU_DEP_2)
	v_lshl_add_u32 v3, v5, 23, 0x3b800000
	v_lshlrev_b32_e32 v1, 20, v1
	s_delay_alu instid0(VALU_DEP_1) | instskip(NEXT) | instid1(VALU_DEP_1)
	v_or3_b32 v0, v0, v3, v1
	v_cvt_i32_f32_e32 v3, v0
.LBB23_2154:
	s_or_b32 exec_lo, exec_lo, s12
.LBB23_2155:
	s_mov_b32 s12, -1
.LBB23_2156:
	s_mov_b32 s13, 0
.LBB23_2157:
	s_delay_alu instid0(SALU_CYCLE_1)
	s_and_b32 vcc_lo, exec_lo, s13
	s_cbranch_vccz .LBB23_2188
; %bb.2158:
	s_cmp_gt_i32 s6, 22
	s_cbranch_scc0 .LBB23_2166
; %bb.2159:
	s_cmp_lt_i32 s6, 24
	s_cbranch_scc1 .LBB23_2169
; %bb.2160:
	s_cmp_gt_i32 s6, 24
	s_cbranch_scc0 .LBB23_2170
; %bb.2161:
	global_load_u8 v0, v[12:13], off
	s_mov_b32 s12, 0
	s_mov_b32 s4, exec_lo
	s_wait_loadcnt 0x0
	v_cmpx_lt_i16_e32 0x7f, v0
	s_xor_b32 s7, exec_lo, s4
	s_cbranch_execz .LBB23_2182
; %bb.2162:
	v_cmp_ne_u16_e32 vcc_lo, 0x80, v0
	s_and_b32 s12, vcc_lo, exec_lo
	s_and_not1_saveexec_b32 s7, s7
	s_cbranch_execnz .LBB23_2183
.LBB23_2163:
	s_or_b32 exec_lo, exec_lo, s7
	v_mov_b32_e32 v3, 0
	s_and_saveexec_b32 s7, s12
	s_cbranch_execz .LBB23_2165
.LBB23_2164:
	v_and_b32_e32 v1, 0xffff, v0
	s_delay_alu instid0(VALU_DEP_1) | instskip(SKIP_1) | instid1(VALU_DEP_2)
	v_dual_lshlrev_b32 v0, 24, v0 :: v_dual_bitop2_b32 v3, 3, v1 bitop3:0x40
	v_bfe_u32 v9, v1, 2, 5
	v_and_b32_e32 v0, 0x80000000, v0
	s_delay_alu instid0(VALU_DEP_3) | instskip(NEXT) | instid1(VALU_DEP_3)
	v_clz_i32_u32_e32 v5, v3
	v_cmp_eq_u32_e32 vcc_lo, 0, v9
	s_delay_alu instid0(VALU_DEP_2) | instskip(NEXT) | instid1(VALU_DEP_1)
	v_min_u32_e32 v5, 32, v5
	v_subrev_nc_u32_e32 v7, 29, v5
	v_sub_nc_u32_e32 v5, 30, v5
	s_delay_alu instid0(VALU_DEP_2) | instskip(NEXT) | instid1(VALU_DEP_2)
	v_lshlrev_b32_e32 v1, v7, v1
	v_cndmask_b32_e32 v5, v9, v5, vcc_lo
	s_delay_alu instid0(VALU_DEP_2) | instskip(NEXT) | instid1(VALU_DEP_1)
	v_and_b32_e32 v1, 3, v1
	v_cndmask_b32_e32 v1, v3, v1, vcc_lo
	s_delay_alu instid0(VALU_DEP_3) | instskip(NEXT) | instid1(VALU_DEP_2)
	v_lshl_add_u32 v3, v5, 23, 0x37800000
	v_lshlrev_b32_e32 v1, 21, v1
	s_delay_alu instid0(VALU_DEP_1) | instskip(NEXT) | instid1(VALU_DEP_1)
	v_or3_b32 v0, v0, v3, v1
	v_cvt_i32_f32_e32 v3, v0
.LBB23_2165:
	s_or_b32 exec_lo, exec_lo, s7
	s_mov_b32 s7, 0
	s_branch .LBB23_2171
.LBB23_2166:
	s_mov_b32 s7, -1
                                        ; implicit-def: $vgpr3
	s_branch .LBB23_2177
.LBB23_2167:
	s_and_not1_saveexec_b32 s12, s12
	s_cbranch_execz .LBB23_2152
.LBB23_2168:
	v_cmp_ne_u16_e32 vcc_lo, 0, v0
	s_and_not1_b32 s4, s13, exec_lo
	s_and_b32 s5, vcc_lo, exec_lo
	s_delay_alu instid0(SALU_CYCLE_1)
	s_or_b32 s13, s4, s5
	s_or_b32 exec_lo, exec_lo, s12
	v_mov_b32_e32 v3, 0
	s_and_saveexec_b32 s12, s13
	s_cbranch_execnz .LBB23_2153
	s_branch .LBB23_2154
.LBB23_2169:
	s_mov_b32 s7, -1
                                        ; implicit-def: $vgpr3
	s_branch .LBB23_2174
.LBB23_2170:
	s_mov_b32 s7, -1
                                        ; implicit-def: $vgpr3
.LBB23_2171:
	s_delay_alu instid0(SALU_CYCLE_1)
	s_and_b32 vcc_lo, exec_lo, s7
	s_cbranch_vccz .LBB23_2173
; %bb.2172:
	global_load_u8 v0, v[12:13], off
	s_wait_loadcnt 0x0
	v_lshlrev_b32_e32 v0, 24, v0
	s_delay_alu instid0(VALU_DEP_1) | instskip(NEXT) | instid1(VALU_DEP_1)
	v_and_b32_e32 v1, 0x7f000000, v0
	v_clz_i32_u32_e32 v3, v1
	v_add_nc_u32_e32 v7, 0x1000000, v1
	v_cmp_ne_u32_e32 vcc_lo, 0, v1
	s_delay_alu instid0(VALU_DEP_3) | instskip(NEXT) | instid1(VALU_DEP_1)
	v_min_u32_e32 v3, 32, v3
	v_sub_nc_u32_e64 v3, v3, 4 clamp
	s_delay_alu instid0(VALU_DEP_1) | instskip(NEXT) | instid1(VALU_DEP_1)
	v_dual_lshlrev_b32 v5, v3, v1 :: v_dual_lshlrev_b32 v3, 23, v3
	v_lshrrev_b32_e32 v5, 4, v5
	s_delay_alu instid0(VALU_DEP_1) | instskip(SKIP_1) | instid1(VALU_DEP_2)
	v_sub_nc_u32_e32 v3, v5, v3
	v_ashrrev_i32_e32 v5, 8, v7
	v_add_nc_u32_e32 v3, 0x3c000000, v3
	s_delay_alu instid0(VALU_DEP_1) | instskip(NEXT) | instid1(VALU_DEP_1)
	v_and_or_b32 v3, 0x7f800000, v5, v3
	v_cndmask_b32_e32 v1, 0, v3, vcc_lo
	s_delay_alu instid0(VALU_DEP_1) | instskip(NEXT) | instid1(VALU_DEP_1)
	v_and_or_b32 v0, 0x80000000, v0, v1
	v_cvt_i32_f32_e32 v3, v0
.LBB23_2173:
	s_mov_b32 s7, 0
.LBB23_2174:
	s_delay_alu instid0(SALU_CYCLE_1)
	s_and_not1_b32 vcc_lo, exec_lo, s7
	s_cbranch_vccnz .LBB23_2176
; %bb.2175:
	global_load_u8 v0, v[12:13], off
	s_wait_loadcnt 0x0
	v_lshlrev_b32_e32 v1, 25, v0
	v_lshlrev_b16 v0, 8, v0
	s_delay_alu instid0(VALU_DEP_1) | instskip(SKIP_1) | instid1(VALU_DEP_2)
	v_and_or_b32 v5, 0x7f00, v0, 0.5
	v_bfe_i32 v0, v0, 0, 16
	v_add_f32_e32 v5, -0.5, v5
	v_lshrrev_b32_e32 v3, 4, v1
	v_cmp_gt_u32_e32 vcc_lo, 0x8000000, v1
	s_delay_alu instid0(VALU_DEP_2) | instskip(NEXT) | instid1(VALU_DEP_1)
	v_or_b32_e32 v3, 0x70000000, v3
	v_mul_f32_e32 v3, 0x7800000, v3
	s_delay_alu instid0(VALU_DEP_1) | instskip(NEXT) | instid1(VALU_DEP_1)
	v_cndmask_b32_e32 v1, v3, v5, vcc_lo
	v_and_or_b32 v0, 0x80000000, v0, v1
	s_delay_alu instid0(VALU_DEP_1)
	v_cvt_i32_f32_e32 v3, v0
.LBB23_2176:
	s_mov_b32 s7, 0
	s_mov_b32 s12, -1
.LBB23_2177:
	s_and_not1_b32 vcc_lo, exec_lo, s7
	s_mov_b32 s7, 0
	s_cbranch_vccnz .LBB23_2188
; %bb.2178:
	s_cmp_gt_i32 s6, 14
	s_cbranch_scc0 .LBB23_2181
; %bb.2179:
	s_cmp_eq_u32 s6, 15
	s_cbranch_scc0 .LBB23_2184
; %bb.2180:
	global_load_u16 v0, v[12:13], off
	s_mov_b32 s1, 0
	s_mov_b32 s12, -1
	s_wait_loadcnt 0x0
	v_lshlrev_b32_e32 v0, 16, v0
	s_delay_alu instid0(VALU_DEP_1)
	v_cvt_i32_f32_e32 v3, v0
	s_branch .LBB23_2186
.LBB23_2181:
	s_mov_b32 s7, -1
	s_branch .LBB23_2185
.LBB23_2182:
	s_and_not1_saveexec_b32 s7, s7
	s_cbranch_execz .LBB23_2163
.LBB23_2183:
	v_cmp_ne_u16_e32 vcc_lo, 0, v0
	s_and_not1_b32 s4, s12, exec_lo
	s_and_b32 s5, vcc_lo, exec_lo
	s_delay_alu instid0(SALU_CYCLE_1)
	s_or_b32 s12, s4, s5
	s_or_b32 exec_lo, exec_lo, s7
	v_mov_b32_e32 v3, 0
	s_and_saveexec_b32 s7, s12
	s_cbranch_execnz .LBB23_2164
	s_branch .LBB23_2165
.LBB23_2184:
	s_mov_b32 s1, -1
.LBB23_2185:
                                        ; implicit-def: $vgpr3
.LBB23_2186:
	s_and_b32 vcc_lo, exec_lo, s7
	s_mov_b32 s7, 0
	s_cbranch_vccz .LBB23_2188
; %bb.2187:
	s_cmp_lg_u32 s6, 11
	s_mov_b32 s7, -1
	s_cselect_b32 s4, -1, 0
	s_and_not1_b32 s1, s1, exec_lo
	s_and_b32 s4, s4, exec_lo
	s_delay_alu instid0(SALU_CYCLE_1)
	s_or_b32 s1, s1, s4
.LBB23_2188:
	s_mov_b32 s6, 0
.LBB23_2189:
	s_and_not1_b32 s4, s35, exec_lo
	s_and_b32 s1, s1, exec_lo
	s_and_b32 s52, s12, exec_lo
	s_and_b32 s51, s6, exec_lo
	s_and_b32 s50, s7, exec_lo
	s_or_b32 s53, s4, s1
.LBB23_2190:
	s_wait_xcnt 0x0
	s_or_b32 exec_lo, exec_lo, s75
	s_delay_alu instid0(SALU_CYCLE_1)
	s_and_not1_b32 s1, s35, exec_lo
	s_and_b32 s4, s53, exec_lo
	s_and_b32 s52, s52, exec_lo
	s_and_b32 s51, s51, exec_lo
	s_and_b32 s50, s50, exec_lo
	s_or_b32 s35, s1, s4
.LBB23_2191:
	s_or_b32 exec_lo, exec_lo, s97
	s_delay_alu instid0(SALU_CYCLE_1)
	s_and_not1_b32 s1, s67, exec_lo
	s_and_b32 s4, s93, exec_lo
	s_and_not1_b32 s5, s95, exec_lo
	s_or_b32 s67, s1, s4
	s_and_not1_b32 s1, s94, exec_lo
	s_and_b32 s4, s59, exec_lo
	s_and_b32 s6, vcc_hi, exec_lo
	s_or_b32 s94, s1, s4
	s_and_not1_b32 s1, s91, exec_lo
	s_and_b32 s4, s57, exec_lo
	s_or_b32 s95, s5, s6
	s_and_not1_b32 s5, s92, exec_lo
	s_and_b32 s6, s104, exec_lo
	s_or_b32 s91, s1, s4
	s_and_not1_b32 s1, s89, exec_lo
	s_and_b32 s4, s55, exec_lo
	s_or_b32 s92, s5, s6
	s_and_not1_b32 s5, s90, exec_lo
	s_and_b32 s6, s58, exec_lo
	s_or_b32 s89, s1, s4
	s_and_not1_b32 s1, s87, exec_lo
	s_and_b32 s4, s54, exec_lo
	s_or_b32 s90, s5, s6
	s_and_not1_b32 s5, s88, exec_lo
	s_and_b32 s6, s56, exec_lo
	s_or_b32 s87, s1, s4
	s_and_not1_b32 s1, s86, exec_lo
	s_and_b32 s4, s35, exec_lo
	s_or_b32 s88, s5, s6
	s_and_b32 s52, s52, exec_lo
	s_and_b32 s51, s51, exec_lo
	;; [unrolled: 1-line block ×3, first 2 shown]
	s_or_b32 s86, s1, s4
.LBB23_2192:
	s_or_b32 exec_lo, exec_lo, s96
	s_delay_alu instid0(SALU_CYCLE_1)
	s_and_not1_b32 s1, s60, exec_lo
	s_and_b32 s4, s67, exec_lo
	s_and_not1_b32 s5, s77, exec_lo
	s_or_b32 s60, s1, s4
	s_and_not1_b32 s1, s61, exec_lo
	s_and_b32 s4, s94, exec_lo
	s_and_b32 s6, s95, exec_lo
	s_or_b32 s61, s1, s4
	s_and_not1_b32 s1, s78, exec_lo
	s_and_b32 s4, s91, exec_lo
	s_or_b32 s77, s5, s6
	s_and_not1_b32 s5, s79, exec_lo
	s_and_b32 s6, s92, exec_lo
	s_or_b32 s78, s1, s4
	s_and_not1_b32 s1, s80, exec_lo
	s_and_b32 s4, s89, exec_lo
	s_or_b32 s79, s5, s6
	s_and_not1_b32 s5, s81, exec_lo
	s_and_b32 s6, s90, exec_lo
	s_or_b32 s80, s1, s4
	s_and_not1_b32 s1, s82, exec_lo
	s_and_b32 s4, s87, exec_lo
	s_or_b32 s81, s5, s6
	s_and_not1_b32 s5, s83, exec_lo
	s_and_b32 s6, s88, exec_lo
	s_or_b32 s82, s1, s4
	s_and_not1_b32 s1, s84, exec_lo
	s_and_b32 s4, s86, exec_lo
	s_or_b32 s83, s5, s6
	s_and_b32 s35, s52, exec_lo
	s_and_b32 s51, s51, exec_lo
	;; [unrolled: 1-line block ×3, first 2 shown]
	s_or_b32 s84, s1, s4
	s_or_b32 exec_lo, exec_lo, s85
	s_mov_b32 s1, 0
	s_and_saveexec_b32 s6, s84
	s_cbranch_execz .LBB23_661
.LBB23_2193:
	s_mov_b32 s1, exec_lo
	s_and_not1_b32 s47, s47, exec_lo
	s_trap 2
	s_or_b32 exec_lo, exec_lo, s6
	s_and_saveexec_b32 s4, s47
	s_delay_alu instid0(SALU_CYCLE_1)
	s_xor_b32 s6, exec_lo, s4
	s_cbranch_execnz .LBB23_662
.LBB23_2194:
	s_or_b32 exec_lo, exec_lo, s6
	s_and_saveexec_b32 s6, s51
	s_cbranch_execz .LBB23_2240
.LBB23_2195:
	s_sext_i32_i16 s7, s0
	s_delay_alu instid0(SALU_CYCLE_1)
	s_cmp_lt_i32 s7, 5
	s_cbranch_scc1 .LBB23_2200
; %bb.2196:
	s_cmp_lt_i32 s7, 8
	s_cbranch_scc1 .LBB23_2201
; %bb.2197:
	;; [unrolled: 3-line block ×3, first 2 shown]
	s_cmp_gt_i32 s7, 9
	s_cbranch_scc0 .LBB23_2203
; %bb.2199:
	s_wait_loadcnt 0x0
	global_load_b64 v[0:1], v[12:13], off
	s_mov_b32 s7, 0
	s_wait_loadcnt 0x0
	v_cvt_i32_f64_e32 v3, v[0:1]
	s_branch .LBB23_2204
.LBB23_2200:
                                        ; implicit-def: $vgpr3
	s_branch .LBB23_2221
.LBB23_2201:
                                        ; implicit-def: $vgpr3
	s_branch .LBB23_2210
.LBB23_2202:
	s_mov_b32 s7, -1
                                        ; implicit-def: $vgpr3
	s_branch .LBB23_2207
.LBB23_2203:
	s_mov_b32 s7, -1
                                        ; implicit-def: $vgpr3
.LBB23_2204:
	s_delay_alu instid0(SALU_CYCLE_1)
	s_and_not1_b32 vcc_lo, exec_lo, s7
	s_cbranch_vccnz .LBB23_2206
; %bb.2205:
	global_load_b32 v0, v[12:13], off
	s_wait_loadcnt 0x0
	v_cvt_i32_f32_e32 v3, v0
.LBB23_2206:
	s_mov_b32 s7, 0
.LBB23_2207:
	s_delay_alu instid0(SALU_CYCLE_1)
	s_and_not1_b32 vcc_lo, exec_lo, s7
	s_cbranch_vccnz .LBB23_2209
; %bb.2208:
	global_load_b32 v0, v[12:13], off
	s_wait_loadcnt 0x0
	v_cvt_f32_f16_e32 v0, v0
	s_delay_alu instid0(VALU_DEP_1)
	v_cvt_i32_f32_e32 v3, v0
.LBB23_2209:
	s_cbranch_execnz .LBB23_2220
.LBB23_2210:
	s_sext_i32_i16 s7, s0
	s_delay_alu instid0(SALU_CYCLE_1)
	s_cmp_lt_i32 s7, 6
	s_cbranch_scc1 .LBB23_2213
; %bb.2211:
	s_cmp_gt_i32 s7, 6
	s_cbranch_scc0 .LBB23_2214
; %bb.2212:
	s_wait_loadcnt 0x0
	global_load_b64 v[0:1], v[12:13], off
	s_mov_b32 s7, 0
	s_wait_loadcnt 0x0
	v_cvt_i32_f64_e32 v3, v[0:1]
	s_branch .LBB23_2215
.LBB23_2213:
	s_mov_b32 s7, -1
                                        ; implicit-def: $vgpr3
	s_branch .LBB23_2218
.LBB23_2214:
	s_mov_b32 s7, -1
                                        ; implicit-def: $vgpr3
.LBB23_2215:
	s_delay_alu instid0(SALU_CYCLE_1)
	s_and_not1_b32 vcc_lo, exec_lo, s7
	s_cbranch_vccnz .LBB23_2217
; %bb.2216:
	global_load_b32 v0, v[12:13], off
	s_wait_loadcnt 0x0
	v_cvt_i32_f32_e32 v3, v0
.LBB23_2217:
	s_mov_b32 s7, 0
.LBB23_2218:
	s_delay_alu instid0(SALU_CYCLE_1)
	s_and_not1_b32 vcc_lo, exec_lo, s7
	s_cbranch_vccnz .LBB23_2220
; %bb.2219:
	global_load_u16 v0, v[12:13], off
	s_wait_loadcnt 0x0
	v_cvt_f32_f16_e32 v0, v0
	s_delay_alu instid0(VALU_DEP_1)
	v_cvt_i32_f32_e32 v3, v0
.LBB23_2220:
	s_cbranch_execnz .LBB23_2239
.LBB23_2221:
	s_sext_i32_i16 s7, s0
	s_delay_alu instid0(SALU_CYCLE_1)
	s_cmp_lt_i32 s7, 2
	s_cbranch_scc1 .LBB23_2225
; %bb.2222:
	s_cmp_lt_i32 s7, 3
	s_cbranch_scc1 .LBB23_2226
; %bb.2223:
	s_cmp_gt_i32 s7, 3
	s_cbranch_scc0 .LBB23_2227
; %bb.2224:
	s_wait_loadcnt 0x0
	global_load_b32 v3, v[12:13], off
	s_mov_b32 s7, 0
	s_branch .LBB23_2228
.LBB23_2225:
                                        ; implicit-def: $vgpr3
	s_branch .LBB23_2234
.LBB23_2226:
	s_mov_b32 s7, -1
                                        ; implicit-def: $vgpr3
	s_branch .LBB23_2231
.LBB23_2227:
	s_mov_b32 s7, -1
                                        ; implicit-def: $vgpr3
.LBB23_2228:
	s_delay_alu instid0(SALU_CYCLE_1)
	s_and_not1_b32 vcc_lo, exec_lo, s7
	s_cbranch_vccnz .LBB23_2230
; %bb.2229:
	s_wait_loadcnt 0x0
	global_load_b32 v3, v[12:13], off
.LBB23_2230:
	s_mov_b32 s7, 0
.LBB23_2231:
	s_delay_alu instid0(SALU_CYCLE_1)
	s_and_not1_b32 vcc_lo, exec_lo, s7
	s_cbranch_vccnz .LBB23_2233
; %bb.2232:
	s_wait_loadcnt 0x0
	global_load_i16 v3, v[12:13], off
.LBB23_2233:
	s_cbranch_execnz .LBB23_2239
.LBB23_2234:
	s_sext_i32_i16 s0, s0
	s_delay_alu instid0(SALU_CYCLE_1)
	s_cmp_gt_i32 s0, 0
	s_mov_b32 s0, 0
	s_cbranch_scc0 .LBB23_2236
; %bb.2235:
	s_wait_loadcnt 0x0
	global_load_i8 v3, v[12:13], off
	s_branch .LBB23_2237
.LBB23_2236:
	s_mov_b32 s0, -1
                                        ; implicit-def: $vgpr3
.LBB23_2237:
	s_delay_alu instid0(SALU_CYCLE_1)
	s_and_not1_b32 vcc_lo, exec_lo, s0
	s_cbranch_vccnz .LBB23_2239
; %bb.2238:
	s_wait_loadcnt 0x0
	global_load_u8 v3, v[12:13], off
.LBB23_2239:
	s_or_b32 s35, s35, exec_lo
.LBB23_2240:
	s_wait_xcnt 0x0
	s_or_b32 exec_lo, exec_lo, s6
	s_mov_b32 s7, 0
	s_mov_b32 s13, 0
	;; [unrolled: 1-line block ×3, first 2 shown]
                                        ; implicit-def: $sgpr0
                                        ; implicit-def: $vgpr0_vgpr1
                                        ; implicit-def: $vgpr12
	s_and_saveexec_b32 s6, s35
	s_cbranch_execz .LBB23_2248
; %bb.2241:
	s_load_b256 s[8:15], s[2:3], 0x248
	v_mov_b32_e32 v11, 0
	s_and_b32 s0, s24, 0xff
	s_delay_alu instid0(SALU_CYCLE_1)
	s_cmp_lt_i32 s0, 11
	s_wait_loadcnt 0x0
	s_wait_kmcnt 0x0
	v_add_nc_u64_e32 v[0:1], s[12:13], v[10:11]
	s_cbranch_scc1 .LBB23_2251
; %bb.2242:
	s_and_b32 s8, 0xffff, s0
	s_mov_b32 s9, 0
	s_cmp_gt_i32 s8, 25
	s_cbranch_scc0 .LBB23_2252
; %bb.2243:
	s_cmp_gt_i32 s8, 28
	s_cbranch_scc0 .LBB23_2253
; %bb.2244:
	;; [unrolled: 3-line block ×4, first 2 shown]
	s_cmp_eq_u32 s8, 46
	s_mov_b32 s13, 0
	s_cbranch_scc0 .LBB23_2256
; %bb.2247:
	global_load_b32 v5, v[0:1], off
	s_mov_b32 s12, -1
	s_wait_loadcnt 0x0
	v_lshlrev_b32_e32 v5, 16, v5
	s_delay_alu instid0(VALU_DEP_1)
	v_cvt_i32_f32_e32 v12, v5
	s_branch .LBB23_2258
.LBB23_2248:
	s_or_b32 exec_lo, exec_lo, s6
	s_and_saveexec_b32 s6, s83
	s_cbranch_execnz .LBB23_2317
.LBB23_2249:
	s_or_b32 exec_lo, exec_lo, s6
	s_and_saveexec_b32 s4, s7
	s_delay_alu instid0(SALU_CYCLE_1)
	s_xor_b32 s6, exec_lo, s4
	s_cbranch_execz .LBB23_2318
.LBB23_2250:
	s_wait_loadcnt 0x0
	global_load_u8 v5, v[0:1], off
	s_or_b32 s12, s12, exec_lo
	s_wait_loadcnt 0x0
	v_cmp_ne_u16_e32 vcc_lo, 0, v5
	v_cndmask_b32_e64 v12, 0, 1, vcc_lo
	s_wait_xcnt 0x0
	s_or_b32 exec_lo, exec_lo, s6
	s_and_saveexec_b32 s6, s13
	s_cbranch_execz .LBB23_2364
	s_branch .LBB23_2319
.LBB23_2251:
	s_mov_b32 s8, -1
	s_mov_b32 s12, 0
	s_mov_b32 s9, 0
	;; [unrolled: 1-line block ×3, first 2 shown]
                                        ; implicit-def: $vgpr12
	s_branch .LBB23_2316
.LBB23_2252:
	s_mov_b32 s12, 0
	s_mov_b32 s7, s83
                                        ; implicit-def: $vgpr12
	s_cbranch_execnz .LBB23_2285
	s_branch .LBB23_2315
.LBB23_2253:
	s_mov_b32 s13, -1
	s_mov_b32 s12, 0
	s_mov_b32 s7, s83
                                        ; implicit-def: $vgpr12
	s_branch .LBB23_2268
.LBB23_2254:
	s_mov_b32 s13, -1
	s_mov_b32 s12, 0
	s_mov_b32 s7, s83
                                        ; implicit-def: $vgpr12
	s_branch .LBB23_2263
.LBB23_2255:
	s_mov_b32 s13, -1
	s_mov_b32 s12, 0
	s_mov_b32 s7, s83
	s_branch .LBB23_2257
.LBB23_2256:
	s_mov_b32 s7, -1
	s_mov_b32 s12, 0
.LBB23_2257:
                                        ; implicit-def: $vgpr12
.LBB23_2258:
	s_and_b32 vcc_lo, exec_lo, s13
	s_cbranch_vccz .LBB23_2262
; %bb.2259:
	s_cmp_eq_u32 s8, 44
	s_cbranch_scc0 .LBB23_2261
; %bb.2260:
	global_load_u8 v5, v[0:1], off
	s_mov_b32 s7, 0
	s_mov_b32 s12, -1
	s_wait_loadcnt 0x0
	v_lshlrev_b32_e32 v7, 23, v5
	v_cmp_ne_u32_e32 vcc_lo, 0, v5
	s_delay_alu instid0(VALU_DEP_2) | instskip(NEXT) | instid1(VALU_DEP_1)
	v_cvt_i32_f32_e32 v7, v7
	v_cndmask_b32_e32 v12, 0, v7, vcc_lo
	s_branch .LBB23_2262
.LBB23_2261:
	s_mov_b32 s7, -1
                                        ; implicit-def: $vgpr12
.LBB23_2262:
	s_mov_b32 s13, 0
.LBB23_2263:
	s_delay_alu instid0(SALU_CYCLE_1)
	s_and_b32 vcc_lo, exec_lo, s13
	s_cbranch_vccz .LBB23_2267
; %bb.2264:
	s_cmp_eq_u32 s8, 29
	s_cbranch_scc0 .LBB23_2266
; %bb.2265:
	global_load_b32 v12, v[0:1], off
	s_mov_b32 s7, 0
	s_mov_b32 s12, -1
	s_branch .LBB23_2267
.LBB23_2266:
	s_mov_b32 s7, -1
                                        ; implicit-def: $vgpr12
.LBB23_2267:
	s_mov_b32 s13, 0
.LBB23_2268:
	s_delay_alu instid0(SALU_CYCLE_1)
	s_and_b32 vcc_lo, exec_lo, s13
	s_cbranch_vccz .LBB23_2284
; %bb.2269:
	s_cmp_lt_i32 s8, 27
	s_cbranch_scc1 .LBB23_2272
; %bb.2270:
	s_cmp_gt_i32 s8, 27
	s_cbranch_scc0 .LBB23_2273
; %bb.2271:
	s_wait_loadcnt 0x0
	global_load_b32 v12, v[0:1], off
	s_mov_b32 s12, 0
	s_branch .LBB23_2274
.LBB23_2272:
	s_mov_b32 s12, -1
                                        ; implicit-def: $vgpr12
	s_branch .LBB23_2277
.LBB23_2273:
	s_mov_b32 s12, -1
                                        ; implicit-def: $vgpr12
.LBB23_2274:
	s_delay_alu instid0(SALU_CYCLE_1)
	s_and_not1_b32 vcc_lo, exec_lo, s12
	s_cbranch_vccnz .LBB23_2276
; %bb.2275:
	s_wait_loadcnt 0x0
	global_load_u16 v12, v[0:1], off
.LBB23_2276:
	s_mov_b32 s12, 0
.LBB23_2277:
	s_delay_alu instid0(SALU_CYCLE_1)
	s_and_not1_b32 vcc_lo, exec_lo, s12
	s_cbranch_vccnz .LBB23_2283
; %bb.2278:
	global_load_u8 v5, v[0:1], off
	s_mov_b32 s13, 0
	s_mov_b32 s4, exec_lo
	s_wait_loadcnt 0x0
	v_cmpx_lt_i16_e32 0x7f, v5
	s_xor_b32 s12, exec_lo, s4
	s_cbranch_execz .LBB23_2294
; %bb.2279:
	v_cmp_ne_u16_e32 vcc_lo, 0x80, v5
	s_and_b32 s13, vcc_lo, exec_lo
	s_and_not1_saveexec_b32 s12, s12
	s_cbranch_execnz .LBB23_2295
.LBB23_2280:
	s_or_b32 exec_lo, exec_lo, s12
	v_mov_b32_e32 v12, 0
	s_and_saveexec_b32 s12, s13
	s_cbranch_execz .LBB23_2282
.LBB23_2281:
	v_and_b32_e32 v7, 0xffff, v5
	s_delay_alu instid0(VALU_DEP_1) | instskip(SKIP_1) | instid1(VALU_DEP_2)
	v_and_b32_e32 v9, 7, v7
	v_bfe_u32 v12, v7, 3, 4
	v_clz_i32_u32_e32 v10, v9
	s_delay_alu instid0(VALU_DEP_2) | instskip(NEXT) | instid1(VALU_DEP_2)
	v_cmp_eq_u32_e32 vcc_lo, 0, v12
	v_min_u32_e32 v10, 32, v10
	s_delay_alu instid0(VALU_DEP_1) | instskip(NEXT) | instid1(VALU_DEP_1)
	v_subrev_nc_u32_e32 v11, 28, v10
	v_dual_lshlrev_b32 v7, v11, v7 :: v_dual_sub_nc_u32 v10, 29, v10
	s_delay_alu instid0(VALU_DEP_1) | instskip(NEXT) | instid1(VALU_DEP_1)
	v_dual_lshlrev_b32 v5, 24, v5 :: v_dual_bitop2_b32 v7, 7, v7 bitop3:0x40
	v_dual_cndmask_b32 v10, v12, v10 :: v_dual_cndmask_b32 v7, v9, v7
	s_delay_alu instid0(VALU_DEP_2) | instskip(NEXT) | instid1(VALU_DEP_2)
	v_and_b32_e32 v5, 0x80000000, v5
	v_lshl_add_u32 v9, v10, 23, 0x3b800000
	s_delay_alu instid0(VALU_DEP_3) | instskip(NEXT) | instid1(VALU_DEP_1)
	v_lshlrev_b32_e32 v7, 20, v7
	v_or3_b32 v5, v5, v9, v7
	s_delay_alu instid0(VALU_DEP_1)
	v_cvt_i32_f32_e32 v12, v5
.LBB23_2282:
	s_or_b32 exec_lo, exec_lo, s12
.LBB23_2283:
	s_mov_b32 s12, -1
.LBB23_2284:
	s_branch .LBB23_2315
.LBB23_2285:
	s_cmp_gt_i32 s8, 22
	s_cbranch_scc0 .LBB23_2293
; %bb.2286:
	s_cmp_lt_i32 s8, 24
	s_cbranch_scc1 .LBB23_2296
; %bb.2287:
	s_cmp_gt_i32 s8, 24
	s_cbranch_scc0 .LBB23_2297
; %bb.2288:
	global_load_u8 v5, v[0:1], off
	s_mov_b32 s12, 0
	s_mov_b32 s4, exec_lo
	s_wait_loadcnt 0x0
	v_cmpx_lt_i16_e32 0x7f, v5
	s_xor_b32 s9, exec_lo, s4
	s_cbranch_execz .LBB23_2309
; %bb.2289:
	v_cmp_ne_u16_e32 vcc_lo, 0x80, v5
	s_and_b32 s12, vcc_lo, exec_lo
	s_and_not1_saveexec_b32 s9, s9
	s_cbranch_execnz .LBB23_2310
.LBB23_2290:
	s_or_b32 exec_lo, exec_lo, s9
	v_mov_b32_e32 v12, 0
	s_and_saveexec_b32 s9, s12
	s_cbranch_execz .LBB23_2292
.LBB23_2291:
	v_and_b32_e32 v7, 0xffff, v5
	s_delay_alu instid0(VALU_DEP_1) | instskip(SKIP_1) | instid1(VALU_DEP_2)
	v_and_b32_e32 v9, 3, v7
	v_bfe_u32 v12, v7, 2, 5
	v_clz_i32_u32_e32 v10, v9
	s_delay_alu instid0(VALU_DEP_2) | instskip(NEXT) | instid1(VALU_DEP_2)
	v_cmp_eq_u32_e32 vcc_lo, 0, v12
	v_min_u32_e32 v10, 32, v10
	s_delay_alu instid0(VALU_DEP_1) | instskip(NEXT) | instid1(VALU_DEP_1)
	v_subrev_nc_u32_e32 v11, 29, v10
	v_dual_lshlrev_b32 v7, v11, v7 :: v_dual_sub_nc_u32 v10, 30, v10
	s_delay_alu instid0(VALU_DEP_1) | instskip(NEXT) | instid1(VALU_DEP_1)
	v_dual_lshlrev_b32 v5, 24, v5 :: v_dual_bitop2_b32 v7, 3, v7 bitop3:0x40
	v_dual_cndmask_b32 v10, v12, v10 :: v_dual_cndmask_b32 v7, v9, v7
	s_delay_alu instid0(VALU_DEP_2) | instskip(NEXT) | instid1(VALU_DEP_2)
	v_and_b32_e32 v5, 0x80000000, v5
	v_lshl_add_u32 v9, v10, 23, 0x37800000
	s_delay_alu instid0(VALU_DEP_3) | instskip(NEXT) | instid1(VALU_DEP_1)
	v_lshlrev_b32_e32 v7, 21, v7
	v_or3_b32 v5, v5, v9, v7
	s_delay_alu instid0(VALU_DEP_1)
	v_cvt_i32_f32_e32 v12, v5
.LBB23_2292:
	s_or_b32 exec_lo, exec_lo, s9
	s_mov_b32 s9, 0
	s_branch .LBB23_2298
.LBB23_2293:
	s_mov_b32 s9, -1
                                        ; implicit-def: $vgpr12
	s_branch .LBB23_2304
.LBB23_2294:
	s_and_not1_saveexec_b32 s12, s12
	s_cbranch_execz .LBB23_2280
.LBB23_2295:
	v_cmp_ne_u16_e32 vcc_lo, 0, v5
	s_and_not1_b32 s4, s13, exec_lo
	s_and_b32 s5, vcc_lo, exec_lo
	s_delay_alu instid0(SALU_CYCLE_1)
	s_or_b32 s13, s4, s5
	s_or_b32 exec_lo, exec_lo, s12
	v_mov_b32_e32 v12, 0
	s_and_saveexec_b32 s12, s13
	s_cbranch_execnz .LBB23_2281
	s_branch .LBB23_2282
.LBB23_2296:
	s_mov_b32 s9, -1
                                        ; implicit-def: $vgpr12
	s_branch .LBB23_2301
.LBB23_2297:
	s_mov_b32 s9, -1
                                        ; implicit-def: $vgpr12
.LBB23_2298:
	s_delay_alu instid0(SALU_CYCLE_1)
	s_and_b32 vcc_lo, exec_lo, s9
	s_cbranch_vccz .LBB23_2300
; %bb.2299:
	global_load_u8 v5, v[0:1], off
	s_wait_loadcnt 0x0
	v_lshlrev_b32_e32 v5, 24, v5
	s_delay_alu instid0(VALU_DEP_1) | instskip(NEXT) | instid1(VALU_DEP_1)
	v_and_b32_e32 v7, 0x7f000000, v5
	v_clz_i32_u32_e32 v9, v7
	v_add_nc_u32_e32 v11, 0x1000000, v7
	v_cmp_ne_u32_e32 vcc_lo, 0, v7
	s_delay_alu instid0(VALU_DEP_3) | instskip(NEXT) | instid1(VALU_DEP_1)
	v_min_u32_e32 v9, 32, v9
	v_sub_nc_u32_e64 v9, v9, 4 clamp
	s_delay_alu instid0(VALU_DEP_1) | instskip(NEXT) | instid1(VALU_DEP_1)
	v_dual_lshlrev_b32 v10, v9, v7 :: v_dual_lshlrev_b32 v9, 23, v9
	v_lshrrev_b32_e32 v10, 4, v10
	s_delay_alu instid0(VALU_DEP_1) | instskip(NEXT) | instid1(VALU_DEP_1)
	v_dual_sub_nc_u32 v9, v10, v9 :: v_dual_ashrrev_i32 v10, 8, v11
	v_add_nc_u32_e32 v9, 0x3c000000, v9
	s_delay_alu instid0(VALU_DEP_1) | instskip(NEXT) | instid1(VALU_DEP_1)
	v_and_or_b32 v9, 0x7f800000, v10, v9
	v_cndmask_b32_e32 v7, 0, v9, vcc_lo
	s_delay_alu instid0(VALU_DEP_1) | instskip(NEXT) | instid1(VALU_DEP_1)
	v_and_or_b32 v5, 0x80000000, v5, v7
	v_cvt_i32_f32_e32 v12, v5
.LBB23_2300:
	s_mov_b32 s9, 0
.LBB23_2301:
	s_delay_alu instid0(SALU_CYCLE_1)
	s_and_not1_b32 vcc_lo, exec_lo, s9
	s_cbranch_vccnz .LBB23_2303
; %bb.2302:
	global_load_u8 v5, v[0:1], off
	s_wait_loadcnt 0x0
	v_lshlrev_b32_e32 v7, 25, v5
	v_lshlrev_b16 v5, 8, v5
	s_delay_alu instid0(VALU_DEP_1) | instskip(SKIP_1) | instid1(VALU_DEP_2)
	v_and_or_b32 v10, 0x7f00, v5, 0.5
	v_bfe_i32 v5, v5, 0, 16
	v_dual_add_f32 v10, -0.5, v10 :: v_dual_lshrrev_b32 v9, 4, v7
	v_cmp_gt_u32_e32 vcc_lo, 0x8000000, v7
	s_delay_alu instid0(VALU_DEP_2) | instskip(NEXT) | instid1(VALU_DEP_1)
	v_or_b32_e32 v9, 0x70000000, v9
	v_mul_f32_e32 v9, 0x7800000, v9
	s_delay_alu instid0(VALU_DEP_1) | instskip(NEXT) | instid1(VALU_DEP_1)
	v_cndmask_b32_e32 v7, v9, v10, vcc_lo
	v_and_or_b32 v5, 0x80000000, v5, v7
	s_delay_alu instid0(VALU_DEP_1)
	v_cvt_i32_f32_e32 v12, v5
.LBB23_2303:
	s_mov_b32 s9, 0
	s_mov_b32 s12, -1
.LBB23_2304:
	s_and_not1_b32 vcc_lo, exec_lo, s9
	s_mov_b32 s9, 0
	s_cbranch_vccnz .LBB23_2315
; %bb.2305:
	s_cmp_gt_i32 s8, 14
	s_cbranch_scc0 .LBB23_2308
; %bb.2306:
	s_cmp_eq_u32 s8, 15
	s_cbranch_scc0 .LBB23_2311
; %bb.2307:
	global_load_u16 v5, v[0:1], off
	s_mov_b32 s7, 0
	s_mov_b32 s12, -1
	s_wait_loadcnt 0x0
	v_lshlrev_b32_e32 v5, 16, v5
	s_delay_alu instid0(VALU_DEP_1)
	v_cvt_i32_f32_e32 v12, v5
	s_branch .LBB23_2313
.LBB23_2308:
	s_mov_b32 s9, -1
	s_branch .LBB23_2312
.LBB23_2309:
	s_and_not1_saveexec_b32 s9, s9
	s_cbranch_execz .LBB23_2290
.LBB23_2310:
	v_cmp_ne_u16_e32 vcc_lo, 0, v5
	s_and_not1_b32 s4, s12, exec_lo
	s_and_b32 s5, vcc_lo, exec_lo
	s_delay_alu instid0(SALU_CYCLE_1)
	s_or_b32 s12, s4, s5
	s_or_b32 exec_lo, exec_lo, s9
	v_mov_b32_e32 v12, 0
	s_and_saveexec_b32 s9, s12
	s_cbranch_execnz .LBB23_2291
	s_branch .LBB23_2292
.LBB23_2311:
	s_mov_b32 s7, -1
.LBB23_2312:
                                        ; implicit-def: $vgpr12
.LBB23_2313:
	s_and_b32 vcc_lo, exec_lo, s9
	s_mov_b32 s9, 0
	s_cbranch_vccz .LBB23_2315
; %bb.2314:
	s_cmp_lg_u32 s8, 11
	s_mov_b32 s9, -1
	s_cselect_b32 s4, -1, 0
	s_and_not1_b32 s5, s7, exec_lo
	s_and_b32 s4, s4, exec_lo
	s_delay_alu instid0(SALU_CYCLE_1)
	s_or_b32 s7, s5, s4
.LBB23_2315:
	s_mov_b32 s8, 0
.LBB23_2316:
	s_and_not1_b32 s4, s83, exec_lo
	s_and_b32 s5, s7, exec_lo
	s_and_b32 s12, s12, exec_lo
	;; [unrolled: 1-line block ×4, first 2 shown]
	s_or_b32 s83, s4, s5
	s_wait_xcnt 0x0
	s_or_b32 exec_lo, exec_lo, s6
	s_and_saveexec_b32 s6, s83
	s_cbranch_execz .LBB23_2249
.LBB23_2317:
	s_or_b32 s1, s1, exec_lo
	s_and_not1_b32 s7, s7, exec_lo
	s_trap 2
	s_or_b32 exec_lo, exec_lo, s6
	s_and_saveexec_b32 s4, s7
	s_delay_alu instid0(SALU_CYCLE_1)
	s_xor_b32 s6, exec_lo, s4
	s_cbranch_execnz .LBB23_2250
.LBB23_2318:
	s_or_b32 exec_lo, exec_lo, s6
	s_and_saveexec_b32 s6, s13
	s_cbranch_execz .LBB23_2364
.LBB23_2319:
	s_sext_i32_i16 s7, s0
	s_delay_alu instid0(SALU_CYCLE_1)
	s_cmp_lt_i32 s7, 5
	s_cbranch_scc1 .LBB23_2324
; %bb.2320:
	s_cmp_lt_i32 s7, 8
	s_cbranch_scc1 .LBB23_2325
; %bb.2321:
	;; [unrolled: 3-line block ×3, first 2 shown]
	s_cmp_gt_i32 s7, 9
	s_cbranch_scc0 .LBB23_2327
; %bb.2323:
	s_wait_loadcnt 0x0
	global_load_b64 v[10:11], v[0:1], off
	s_mov_b32 s7, 0
	s_wait_loadcnt 0x0
	v_cvt_i32_f64_e32 v12, v[10:11]
	s_branch .LBB23_2328
.LBB23_2324:
                                        ; implicit-def: $vgpr12
	s_branch .LBB23_2345
.LBB23_2325:
                                        ; implicit-def: $vgpr12
	s_branch .LBB23_2334
.LBB23_2326:
	s_mov_b32 s7, -1
                                        ; implicit-def: $vgpr12
	s_branch .LBB23_2331
.LBB23_2327:
	s_mov_b32 s7, -1
                                        ; implicit-def: $vgpr12
.LBB23_2328:
	s_delay_alu instid0(SALU_CYCLE_1)
	s_and_not1_b32 vcc_lo, exec_lo, s7
	s_cbranch_vccnz .LBB23_2330
; %bb.2329:
	s_wait_loadcnt 0x0
	global_load_b32 v5, v[0:1], off
	s_wait_loadcnt 0x0
	v_cvt_i32_f32_e32 v12, v5
.LBB23_2330:
	s_mov_b32 s7, 0
.LBB23_2331:
	s_delay_alu instid0(SALU_CYCLE_1)
	s_and_not1_b32 vcc_lo, exec_lo, s7
	s_cbranch_vccnz .LBB23_2333
; %bb.2332:
	s_wait_loadcnt 0x0
	global_load_b32 v5, v[0:1], off
	s_wait_loadcnt 0x0
	v_cvt_f32_f16_e32 v5, v5
	s_delay_alu instid0(VALU_DEP_1)
	v_cvt_i32_f32_e32 v12, v5
.LBB23_2333:
	s_cbranch_execnz .LBB23_2344
.LBB23_2334:
	s_sext_i32_i16 s7, s0
	s_delay_alu instid0(SALU_CYCLE_1)
	s_cmp_lt_i32 s7, 6
	s_cbranch_scc1 .LBB23_2337
; %bb.2335:
	s_cmp_gt_i32 s7, 6
	s_cbranch_scc0 .LBB23_2338
; %bb.2336:
	s_wait_loadcnt 0x0
	global_load_b64 v[10:11], v[0:1], off
	s_mov_b32 s7, 0
	s_wait_loadcnt 0x0
	v_cvt_i32_f64_e32 v12, v[10:11]
	s_branch .LBB23_2339
.LBB23_2337:
	s_mov_b32 s7, -1
                                        ; implicit-def: $vgpr12
	s_branch .LBB23_2342
.LBB23_2338:
	s_mov_b32 s7, -1
                                        ; implicit-def: $vgpr12
.LBB23_2339:
	s_delay_alu instid0(SALU_CYCLE_1)
	s_and_not1_b32 vcc_lo, exec_lo, s7
	s_cbranch_vccnz .LBB23_2341
; %bb.2340:
	s_wait_loadcnt 0x0
	global_load_b32 v5, v[0:1], off
	s_wait_loadcnt 0x0
	v_cvt_i32_f32_e32 v12, v5
.LBB23_2341:
	s_mov_b32 s7, 0
.LBB23_2342:
	s_delay_alu instid0(SALU_CYCLE_1)
	s_and_not1_b32 vcc_lo, exec_lo, s7
	s_cbranch_vccnz .LBB23_2344
; %bb.2343:
	s_wait_loadcnt 0x0
	global_load_u16 v5, v[0:1], off
	s_wait_loadcnt 0x0
	v_cvt_f32_f16_e32 v5, v5
	s_delay_alu instid0(VALU_DEP_1)
	v_cvt_i32_f32_e32 v12, v5
.LBB23_2344:
	s_cbranch_execnz .LBB23_2363
.LBB23_2345:
	s_sext_i32_i16 s7, s0
	s_delay_alu instid0(SALU_CYCLE_1)
	s_cmp_lt_i32 s7, 2
	s_cbranch_scc1 .LBB23_2349
; %bb.2346:
	s_cmp_lt_i32 s7, 3
	s_cbranch_scc1 .LBB23_2350
; %bb.2347:
	s_cmp_gt_i32 s7, 3
	s_cbranch_scc0 .LBB23_2351
; %bb.2348:
	s_wait_loadcnt 0x0
	global_load_b32 v12, v[0:1], off
	s_mov_b32 s7, 0
	s_branch .LBB23_2352
.LBB23_2349:
                                        ; implicit-def: $vgpr12
	s_branch .LBB23_2358
.LBB23_2350:
	s_mov_b32 s7, -1
                                        ; implicit-def: $vgpr12
	s_branch .LBB23_2355
.LBB23_2351:
	s_mov_b32 s7, -1
                                        ; implicit-def: $vgpr12
.LBB23_2352:
	s_delay_alu instid0(SALU_CYCLE_1)
	s_and_not1_b32 vcc_lo, exec_lo, s7
	s_cbranch_vccnz .LBB23_2354
; %bb.2353:
	s_wait_loadcnt 0x0
	global_load_b32 v12, v[0:1], off
.LBB23_2354:
	s_mov_b32 s7, 0
.LBB23_2355:
	s_delay_alu instid0(SALU_CYCLE_1)
	s_and_not1_b32 vcc_lo, exec_lo, s7
	s_cbranch_vccnz .LBB23_2357
; %bb.2356:
	s_wait_loadcnt 0x0
	global_load_i16 v12, v[0:1], off
.LBB23_2357:
	s_cbranch_execnz .LBB23_2363
.LBB23_2358:
	s_sext_i32_i16 s0, s0
	s_delay_alu instid0(SALU_CYCLE_1)
	s_cmp_gt_i32 s0, 0
	s_mov_b32 s0, 0
	s_cbranch_scc0 .LBB23_2360
; %bb.2359:
	s_wait_loadcnt 0x0
	global_load_i8 v12, v[0:1], off
	s_branch .LBB23_2361
.LBB23_2360:
	s_mov_b32 s0, -1
                                        ; implicit-def: $vgpr12
.LBB23_2361:
	s_delay_alu instid0(SALU_CYCLE_1)
	s_and_not1_b32 vcc_lo, exec_lo, s0
	s_cbranch_vccnz .LBB23_2363
; %bb.2362:
	s_wait_loadcnt 0x0
	global_load_u8 v12, v[0:1], off
.LBB23_2363:
	s_or_b32 s12, s12, exec_lo
.LBB23_2364:
	s_wait_xcnt 0x0
	s_or_b32 exec_lo, exec_lo, s6
	s_mov_b32 s7, 0
	s_mov_b32 s13, 0
	;; [unrolled: 1-line block ×3, first 2 shown]
                                        ; implicit-def: $sgpr0
                                        ; implicit-def: $vgpr10_vgpr11
                                        ; implicit-def: $vgpr0
	s_and_saveexec_b32 s6, s12
	s_cbranch_execz .LBB23_2372
; %bb.2365:
	s_load_b256 s[8:15], s[2:3], 0x248
	v_mov_b32_e32 v9, 0
	s_and_b32 s0, s44, 0xff
	s_delay_alu instid0(SALU_CYCLE_1)
	s_cmp_lt_i32 s0, 11
	s_wait_loadcnt 0x0
	s_wait_kmcnt 0x0
	v_add_nc_u64_e32 v[10:11], s[14:15], v[8:9]
	s_cbranch_scc1 .LBB23_2375
; %bb.2366:
	s_and_b32 s8, 0xffff, s0
	s_mov_b32 s9, 0
	s_cmp_gt_i32 s8, 25
	s_cbranch_scc0 .LBB23_2376
; %bb.2367:
	s_cmp_gt_i32 s8, 28
	s_cbranch_scc0 .LBB23_2377
; %bb.2368:
	;; [unrolled: 3-line block ×4, first 2 shown]
	s_cmp_eq_u32 s8, 46
	s_mov_b32 s11, 0
	s_cbranch_scc0 .LBB23_2380
; %bb.2371:
	global_load_b32 v0, v[10:11], off
	s_mov_b32 s10, -1
	s_wait_loadcnt 0x0
	v_lshlrev_b32_e32 v0, 16, v0
	s_delay_alu instid0(VALU_DEP_1)
	v_cvt_i32_f32_e32 v0, v0
	s_branch .LBB23_2382
.LBB23_2372:
	s_or_b32 exec_lo, exec_lo, s6
	s_and_saveexec_b32 s6, s82
	s_cbranch_execnz .LBB23_2441
.LBB23_2373:
	s_or_b32 exec_lo, exec_lo, s6
	s_and_saveexec_b32 s4, s7
	s_delay_alu instid0(SALU_CYCLE_1)
	s_xor_b32 s6, exec_lo, s4
	s_cbranch_execz .LBB23_2442
.LBB23_2374:
	s_wait_loadcnt 0x0
	global_load_u8 v0, v[10:11], off
	s_or_b32 s8, s8, exec_lo
	s_wait_loadcnt 0x0
	v_cmp_ne_u16_e32 vcc_lo, 0, v0
	v_cndmask_b32_e64 v0, 0, 1, vcc_lo
	s_wait_xcnt 0x0
	s_or_b32 exec_lo, exec_lo, s6
	s_and_saveexec_b32 s6, s13
	s_cbranch_execz .LBB23_2488
	s_branch .LBB23_2443
.LBB23_2375:
	s_mov_b32 s11, -1
	s_mov_b32 s10, 0
	s_mov_b32 s9, 0
	;; [unrolled: 1-line block ×3, first 2 shown]
                                        ; implicit-def: $vgpr0
	s_branch .LBB23_2440
.LBB23_2376:
	s_mov_b32 s10, 0
	s_mov_b32 s7, s82
                                        ; implicit-def: $vgpr0
	s_cbranch_execnz .LBB23_2409
	s_branch .LBB23_2439
.LBB23_2377:
	s_mov_b32 s11, -1
	s_mov_b32 s10, 0
	s_mov_b32 s7, s82
                                        ; implicit-def: $vgpr0
	s_branch .LBB23_2392
.LBB23_2378:
	s_mov_b32 s11, -1
	s_mov_b32 s10, 0
	s_mov_b32 s7, s82
                                        ; implicit-def: $vgpr0
	s_branch .LBB23_2387
.LBB23_2379:
	s_mov_b32 s11, -1
	s_mov_b32 s10, 0
	s_mov_b32 s7, s82
	s_branch .LBB23_2381
.LBB23_2380:
	s_mov_b32 s7, -1
	s_mov_b32 s10, 0
.LBB23_2381:
                                        ; implicit-def: $vgpr0
.LBB23_2382:
	s_and_b32 vcc_lo, exec_lo, s11
	s_cbranch_vccz .LBB23_2386
; %bb.2383:
	s_cmp_eq_u32 s8, 44
	s_cbranch_scc0 .LBB23_2385
; %bb.2384:
	global_load_u8 v0, v[10:11], off
	s_mov_b32 s7, 0
	s_mov_b32 s10, -1
	s_wait_loadcnt 0x0
	v_lshlrev_b32_e32 v1, 23, v0
	v_cmp_ne_u32_e32 vcc_lo, 0, v0
	s_delay_alu instid0(VALU_DEP_2) | instskip(NEXT) | instid1(VALU_DEP_1)
	v_cvt_i32_f32_e32 v1, v1
	v_cndmask_b32_e32 v0, 0, v1, vcc_lo
	s_branch .LBB23_2386
.LBB23_2385:
	s_mov_b32 s7, -1
                                        ; implicit-def: $vgpr0
.LBB23_2386:
	s_mov_b32 s11, 0
.LBB23_2387:
	s_delay_alu instid0(SALU_CYCLE_1)
	s_and_b32 vcc_lo, exec_lo, s11
	s_cbranch_vccz .LBB23_2391
; %bb.2388:
	s_cmp_eq_u32 s8, 29
	s_cbranch_scc0 .LBB23_2390
; %bb.2389:
	global_load_b32 v0, v[10:11], off
	s_mov_b32 s7, 0
	s_mov_b32 s10, -1
	s_branch .LBB23_2391
.LBB23_2390:
	s_mov_b32 s7, -1
                                        ; implicit-def: $vgpr0
.LBB23_2391:
	s_mov_b32 s11, 0
.LBB23_2392:
	s_delay_alu instid0(SALU_CYCLE_1)
	s_and_b32 vcc_lo, exec_lo, s11
	s_cbranch_vccz .LBB23_2408
; %bb.2393:
	s_cmp_lt_i32 s8, 27
	s_cbranch_scc1 .LBB23_2396
; %bb.2394:
	s_cmp_gt_i32 s8, 27
	s_cbranch_scc0 .LBB23_2397
; %bb.2395:
	s_wait_loadcnt 0x0
	global_load_b32 v0, v[10:11], off
	s_mov_b32 s10, 0
	s_branch .LBB23_2398
.LBB23_2396:
	s_mov_b32 s10, -1
                                        ; implicit-def: $vgpr0
	s_branch .LBB23_2401
.LBB23_2397:
	s_mov_b32 s10, -1
                                        ; implicit-def: $vgpr0
.LBB23_2398:
	s_delay_alu instid0(SALU_CYCLE_1)
	s_and_not1_b32 vcc_lo, exec_lo, s10
	s_cbranch_vccnz .LBB23_2400
; %bb.2399:
	s_wait_loadcnt 0x0
	global_load_u16 v0, v[10:11], off
.LBB23_2400:
	s_mov_b32 s10, 0
.LBB23_2401:
	s_delay_alu instid0(SALU_CYCLE_1)
	s_and_not1_b32 vcc_lo, exec_lo, s10
	s_cbranch_vccnz .LBB23_2407
; %bb.2402:
	global_load_u8 v1, v[10:11], off
	s_mov_b32 s11, 0
	s_mov_b32 s4, exec_lo
	s_wait_loadcnt 0x0
	v_cmpx_lt_i16_e32 0x7f, v1
	s_xor_b32 s10, exec_lo, s4
	s_cbranch_execz .LBB23_2418
; %bb.2403:
	v_cmp_ne_u16_e32 vcc_lo, 0x80, v1
	s_and_b32 s11, vcc_lo, exec_lo
	s_and_not1_saveexec_b32 s10, s10
	s_cbranch_execnz .LBB23_2419
.LBB23_2404:
	s_or_b32 exec_lo, exec_lo, s10
	v_mov_b32_e32 v0, 0
	s_and_saveexec_b32 s10, s11
	s_cbranch_execz .LBB23_2406
.LBB23_2405:
	v_and_b32_e32 v0, 0xffff, v1
	s_delay_alu instid0(VALU_DEP_1) | instskip(SKIP_1) | instid1(VALU_DEP_2)
	v_and_b32_e32 v5, 7, v0
	v_bfe_u32 v9, v0, 3, 4
	v_clz_i32_u32_e32 v7, v5
	s_delay_alu instid0(VALU_DEP_2) | instskip(NEXT) | instid1(VALU_DEP_2)
	v_cmp_eq_u32_e32 vcc_lo, 0, v9
	v_min_u32_e32 v7, 32, v7
	s_delay_alu instid0(VALU_DEP_1) | instskip(NEXT) | instid1(VALU_DEP_1)
	v_subrev_nc_u32_e32 v8, 28, v7
	v_dual_lshlrev_b32 v0, v8, v0 :: v_dual_sub_nc_u32 v7, 29, v7
	s_delay_alu instid0(VALU_DEP_1) | instskip(NEXT) | instid1(VALU_DEP_2)
	v_dual_lshlrev_b32 v1, 24, v1 :: v_dual_bitop2_b32 v0, 7, v0 bitop3:0x40
	v_cndmask_b32_e32 v7, v9, v7, vcc_lo
	s_delay_alu instid0(VALU_DEP_2) | instskip(NEXT) | instid1(VALU_DEP_3)
	v_cndmask_b32_e32 v0, v5, v0, vcc_lo
	v_and_b32_e32 v1, 0x80000000, v1
	s_delay_alu instid0(VALU_DEP_3) | instskip(NEXT) | instid1(VALU_DEP_3)
	v_lshl_add_u32 v5, v7, 23, 0x3b800000
	v_lshlrev_b32_e32 v0, 20, v0
	s_delay_alu instid0(VALU_DEP_1) | instskip(NEXT) | instid1(VALU_DEP_1)
	v_or3_b32 v0, v1, v5, v0
	v_cvt_i32_f32_e32 v0, v0
.LBB23_2406:
	s_or_b32 exec_lo, exec_lo, s10
.LBB23_2407:
	s_mov_b32 s10, -1
.LBB23_2408:
	s_branch .LBB23_2439
.LBB23_2409:
	s_cmp_gt_i32 s8, 22
	s_cbranch_scc0 .LBB23_2417
; %bb.2410:
	s_cmp_lt_i32 s8, 24
	s_cbranch_scc1 .LBB23_2420
; %bb.2411:
	s_cmp_gt_i32 s8, 24
	s_cbranch_scc0 .LBB23_2421
; %bb.2412:
	global_load_u8 v1, v[10:11], off
	s_mov_b32 s10, 0
	s_mov_b32 s4, exec_lo
	s_wait_loadcnt 0x0
	v_cmpx_lt_i16_e32 0x7f, v1
	s_xor_b32 s9, exec_lo, s4
	s_cbranch_execz .LBB23_2433
; %bb.2413:
	v_cmp_ne_u16_e32 vcc_lo, 0x80, v1
	s_and_b32 s10, vcc_lo, exec_lo
	s_and_not1_saveexec_b32 s9, s9
	s_cbranch_execnz .LBB23_2434
.LBB23_2414:
	s_or_b32 exec_lo, exec_lo, s9
	v_mov_b32_e32 v0, 0
	s_and_saveexec_b32 s9, s10
	s_cbranch_execz .LBB23_2416
.LBB23_2415:
	v_and_b32_e32 v0, 0xffff, v1
	s_delay_alu instid0(VALU_DEP_1) | instskip(SKIP_1) | instid1(VALU_DEP_2)
	v_and_b32_e32 v5, 3, v0
	v_bfe_u32 v9, v0, 2, 5
	v_clz_i32_u32_e32 v7, v5
	s_delay_alu instid0(VALU_DEP_2) | instskip(NEXT) | instid1(VALU_DEP_2)
	v_cmp_eq_u32_e32 vcc_lo, 0, v9
	v_min_u32_e32 v7, 32, v7
	s_delay_alu instid0(VALU_DEP_1) | instskip(NEXT) | instid1(VALU_DEP_1)
	v_subrev_nc_u32_e32 v8, 29, v7
	v_dual_lshlrev_b32 v0, v8, v0 :: v_dual_sub_nc_u32 v7, 30, v7
	s_delay_alu instid0(VALU_DEP_1) | instskip(NEXT) | instid1(VALU_DEP_2)
	v_dual_lshlrev_b32 v1, 24, v1 :: v_dual_bitop2_b32 v0, 3, v0 bitop3:0x40
	v_cndmask_b32_e32 v7, v9, v7, vcc_lo
	s_delay_alu instid0(VALU_DEP_2) | instskip(NEXT) | instid1(VALU_DEP_3)
	v_cndmask_b32_e32 v0, v5, v0, vcc_lo
	v_and_b32_e32 v1, 0x80000000, v1
	s_delay_alu instid0(VALU_DEP_3) | instskip(NEXT) | instid1(VALU_DEP_3)
	v_lshl_add_u32 v5, v7, 23, 0x37800000
	v_lshlrev_b32_e32 v0, 21, v0
	s_delay_alu instid0(VALU_DEP_1) | instskip(NEXT) | instid1(VALU_DEP_1)
	v_or3_b32 v0, v1, v5, v0
	v_cvt_i32_f32_e32 v0, v0
.LBB23_2416:
	s_or_b32 exec_lo, exec_lo, s9
	s_mov_b32 s9, 0
	s_branch .LBB23_2422
.LBB23_2417:
	s_mov_b32 s9, -1
                                        ; implicit-def: $vgpr0
	s_branch .LBB23_2428
.LBB23_2418:
	s_and_not1_saveexec_b32 s10, s10
	s_cbranch_execz .LBB23_2404
.LBB23_2419:
	v_cmp_ne_u16_e32 vcc_lo, 0, v1
	s_and_not1_b32 s4, s11, exec_lo
	s_and_b32 s5, vcc_lo, exec_lo
	s_delay_alu instid0(SALU_CYCLE_1)
	s_or_b32 s11, s4, s5
	s_or_b32 exec_lo, exec_lo, s10
	v_mov_b32_e32 v0, 0
	s_and_saveexec_b32 s10, s11
	s_cbranch_execnz .LBB23_2405
	s_branch .LBB23_2406
.LBB23_2420:
	s_mov_b32 s9, -1
                                        ; implicit-def: $vgpr0
	s_branch .LBB23_2425
.LBB23_2421:
	s_mov_b32 s9, -1
                                        ; implicit-def: $vgpr0
.LBB23_2422:
	s_delay_alu instid0(SALU_CYCLE_1)
	s_and_b32 vcc_lo, exec_lo, s9
	s_cbranch_vccz .LBB23_2424
; %bb.2423:
	s_wait_loadcnt 0x0
	global_load_u8 v0, v[10:11], off
	s_wait_loadcnt 0x0
	v_lshlrev_b32_e32 v0, 24, v0
	s_delay_alu instid0(VALU_DEP_1) | instskip(NEXT) | instid1(VALU_DEP_1)
	v_and_b32_e32 v1, 0x7f000000, v0
	v_clz_i32_u32_e32 v5, v1
	v_add_nc_u32_e32 v8, 0x1000000, v1
	v_cmp_ne_u32_e32 vcc_lo, 0, v1
	s_delay_alu instid0(VALU_DEP_3) | instskip(NEXT) | instid1(VALU_DEP_1)
	v_min_u32_e32 v5, 32, v5
	v_sub_nc_u32_e64 v5, v5, 4 clamp
	s_delay_alu instid0(VALU_DEP_1) | instskip(NEXT) | instid1(VALU_DEP_1)
	v_lshlrev_b32_e32 v7, v5, v1
	v_dual_lshlrev_b32 v5, 23, v5 :: v_dual_lshrrev_b32 v7, 4, v7
	s_delay_alu instid0(VALU_DEP_1) | instskip(NEXT) | instid1(VALU_DEP_1)
	v_dual_sub_nc_u32 v5, v7, v5 :: v_dual_ashrrev_i32 v7, 8, v8
	v_add_nc_u32_e32 v5, 0x3c000000, v5
	s_delay_alu instid0(VALU_DEP_1) | instskip(NEXT) | instid1(VALU_DEP_1)
	v_and_or_b32 v5, 0x7f800000, v7, v5
	v_cndmask_b32_e32 v1, 0, v5, vcc_lo
	s_delay_alu instid0(VALU_DEP_1) | instskip(NEXT) | instid1(VALU_DEP_1)
	v_and_or_b32 v0, 0x80000000, v0, v1
	v_cvt_i32_f32_e32 v0, v0
.LBB23_2424:
	s_mov_b32 s9, 0
.LBB23_2425:
	s_delay_alu instid0(SALU_CYCLE_1)
	s_and_not1_b32 vcc_lo, exec_lo, s9
	s_cbranch_vccnz .LBB23_2427
; %bb.2426:
	s_wait_loadcnt 0x0
	global_load_u8 v0, v[10:11], off
	s_wait_loadcnt 0x0
	v_lshlrev_b32_e32 v1, 25, v0
	v_lshlrev_b16 v0, 8, v0
	s_delay_alu instid0(VALU_DEP_1) | instskip(SKIP_1) | instid1(VALU_DEP_2)
	v_and_or_b32 v7, 0x7f00, v0, 0.5
	v_bfe_i32 v0, v0, 0, 16
	v_dual_add_f32 v7, -0.5, v7 :: v_dual_lshrrev_b32 v5, 4, v1
	v_cmp_gt_u32_e32 vcc_lo, 0x8000000, v1
	s_delay_alu instid0(VALU_DEP_2) | instskip(NEXT) | instid1(VALU_DEP_1)
	v_or_b32_e32 v5, 0x70000000, v5
	v_mul_f32_e32 v5, 0x7800000, v5
	s_delay_alu instid0(VALU_DEP_1) | instskip(NEXT) | instid1(VALU_DEP_1)
	v_cndmask_b32_e32 v1, v5, v7, vcc_lo
	v_and_or_b32 v0, 0x80000000, v0, v1
	s_delay_alu instid0(VALU_DEP_1)
	v_cvt_i32_f32_e32 v0, v0
.LBB23_2427:
	s_mov_b32 s9, 0
	s_mov_b32 s10, -1
.LBB23_2428:
	s_and_not1_b32 vcc_lo, exec_lo, s9
	s_mov_b32 s9, 0
	s_cbranch_vccnz .LBB23_2439
; %bb.2429:
	s_cmp_gt_i32 s8, 14
	s_cbranch_scc0 .LBB23_2432
; %bb.2430:
	s_cmp_eq_u32 s8, 15
	s_cbranch_scc0 .LBB23_2435
; %bb.2431:
	s_wait_loadcnt 0x0
	global_load_u16 v0, v[10:11], off
	s_mov_b32 s7, 0
	s_mov_b32 s10, -1
	s_wait_loadcnt 0x0
	v_lshlrev_b32_e32 v0, 16, v0
	s_delay_alu instid0(VALU_DEP_1)
	v_cvt_i32_f32_e32 v0, v0
	s_branch .LBB23_2437
.LBB23_2432:
	s_mov_b32 s9, -1
	s_branch .LBB23_2436
.LBB23_2433:
	s_and_not1_saveexec_b32 s9, s9
	s_cbranch_execz .LBB23_2414
.LBB23_2434:
	v_cmp_ne_u16_e32 vcc_lo, 0, v1
	s_and_not1_b32 s4, s10, exec_lo
	s_and_b32 s5, vcc_lo, exec_lo
	s_delay_alu instid0(SALU_CYCLE_1)
	s_or_b32 s10, s4, s5
	s_or_b32 exec_lo, exec_lo, s9
	v_mov_b32_e32 v0, 0
	s_and_saveexec_b32 s9, s10
	s_cbranch_execnz .LBB23_2415
	s_branch .LBB23_2416
.LBB23_2435:
	s_mov_b32 s7, -1
.LBB23_2436:
                                        ; implicit-def: $vgpr0
.LBB23_2437:
	s_and_b32 vcc_lo, exec_lo, s9
	s_mov_b32 s9, 0
	s_cbranch_vccz .LBB23_2439
; %bb.2438:
	s_cmp_lg_u32 s8, 11
	s_mov_b32 s9, -1
	s_cselect_b32 s4, -1, 0
	s_and_not1_b32 s5, s7, exec_lo
	s_and_b32 s4, s4, exec_lo
	s_delay_alu instid0(SALU_CYCLE_1)
	s_or_b32 s7, s5, s4
.LBB23_2439:
	s_mov_b32 s11, 0
.LBB23_2440:
	s_and_not1_b32 s4, s82, exec_lo
	s_and_b32 s5, s7, exec_lo
	s_and_b32 s8, s10, exec_lo
	;; [unrolled: 1-line block ×4, first 2 shown]
	s_or_b32 s82, s4, s5
	s_wait_xcnt 0x0
	s_or_b32 exec_lo, exec_lo, s6
	s_and_saveexec_b32 s6, s82
	s_cbranch_execz .LBB23_2373
.LBB23_2441:
	s_or_b32 s1, s1, exec_lo
	s_and_not1_b32 s7, s7, exec_lo
	s_trap 2
	s_or_b32 exec_lo, exec_lo, s6
	s_and_saveexec_b32 s4, s7
	s_delay_alu instid0(SALU_CYCLE_1)
	s_xor_b32 s6, exec_lo, s4
	s_cbranch_execnz .LBB23_2374
.LBB23_2442:
	s_or_b32 exec_lo, exec_lo, s6
	s_and_saveexec_b32 s6, s13
	s_cbranch_execz .LBB23_2488
.LBB23_2443:
	s_sext_i32_i16 s7, s0
	s_delay_alu instid0(SALU_CYCLE_1)
	s_cmp_lt_i32 s7, 5
	s_cbranch_scc1 .LBB23_2448
; %bb.2444:
	s_cmp_lt_i32 s7, 8
	s_cbranch_scc1 .LBB23_2449
; %bb.2445:
	;; [unrolled: 3-line block ×3, first 2 shown]
	s_cmp_gt_i32 s7, 9
	s_cbranch_scc0 .LBB23_2451
; %bb.2447:
	s_wait_loadcnt 0x0
	global_load_b64 v[0:1], v[10:11], off
	s_mov_b32 s7, 0
	s_wait_loadcnt 0x0
	v_cvt_i32_f64_e32 v0, v[0:1]
	s_branch .LBB23_2452
.LBB23_2448:
                                        ; implicit-def: $vgpr0
	s_branch .LBB23_2469
.LBB23_2449:
                                        ; implicit-def: $vgpr0
	s_branch .LBB23_2458
.LBB23_2450:
	s_mov_b32 s7, -1
                                        ; implicit-def: $vgpr0
	s_branch .LBB23_2455
.LBB23_2451:
	s_mov_b32 s7, -1
                                        ; implicit-def: $vgpr0
.LBB23_2452:
	s_delay_alu instid0(SALU_CYCLE_1)
	s_and_not1_b32 vcc_lo, exec_lo, s7
	s_cbranch_vccnz .LBB23_2454
; %bb.2453:
	s_wait_loadcnt 0x0
	global_load_b32 v0, v[10:11], off
	s_wait_loadcnt 0x0
	v_cvt_i32_f32_e32 v0, v0
.LBB23_2454:
	s_mov_b32 s7, 0
.LBB23_2455:
	s_delay_alu instid0(SALU_CYCLE_1)
	s_and_not1_b32 vcc_lo, exec_lo, s7
	s_cbranch_vccnz .LBB23_2457
; %bb.2456:
	s_wait_loadcnt 0x0
	global_load_b32 v0, v[10:11], off
	s_wait_loadcnt 0x0
	v_cvt_f32_f16_e32 v0, v0
	s_delay_alu instid0(VALU_DEP_1)
	v_cvt_i32_f32_e32 v0, v0
.LBB23_2457:
	s_cbranch_execnz .LBB23_2468
.LBB23_2458:
	s_sext_i32_i16 s7, s0
	s_delay_alu instid0(SALU_CYCLE_1)
	s_cmp_lt_i32 s7, 6
	s_cbranch_scc1 .LBB23_2461
; %bb.2459:
	s_cmp_gt_i32 s7, 6
	s_cbranch_scc0 .LBB23_2462
; %bb.2460:
	s_wait_loadcnt 0x0
	global_load_b64 v[0:1], v[10:11], off
	s_mov_b32 s7, 0
	s_wait_loadcnt 0x0
	v_cvt_i32_f64_e32 v0, v[0:1]
	s_branch .LBB23_2463
.LBB23_2461:
	s_mov_b32 s7, -1
                                        ; implicit-def: $vgpr0
	s_branch .LBB23_2466
.LBB23_2462:
	s_mov_b32 s7, -1
                                        ; implicit-def: $vgpr0
.LBB23_2463:
	s_delay_alu instid0(SALU_CYCLE_1)
	s_and_not1_b32 vcc_lo, exec_lo, s7
	s_cbranch_vccnz .LBB23_2465
; %bb.2464:
	s_wait_loadcnt 0x0
	global_load_b32 v0, v[10:11], off
	s_wait_loadcnt 0x0
	v_cvt_i32_f32_e32 v0, v0
.LBB23_2465:
	s_mov_b32 s7, 0
.LBB23_2466:
	s_delay_alu instid0(SALU_CYCLE_1)
	s_and_not1_b32 vcc_lo, exec_lo, s7
	s_cbranch_vccnz .LBB23_2468
; %bb.2467:
	s_wait_loadcnt 0x0
	global_load_u16 v0, v[10:11], off
	s_wait_loadcnt 0x0
	v_cvt_f32_f16_e32 v0, v0
	s_delay_alu instid0(VALU_DEP_1)
	v_cvt_i32_f32_e32 v0, v0
.LBB23_2468:
	s_cbranch_execnz .LBB23_2487
.LBB23_2469:
	s_sext_i32_i16 s7, s0
	s_delay_alu instid0(SALU_CYCLE_1)
	s_cmp_lt_i32 s7, 2
	s_cbranch_scc1 .LBB23_2473
; %bb.2470:
	s_cmp_lt_i32 s7, 3
	s_cbranch_scc1 .LBB23_2474
; %bb.2471:
	s_cmp_gt_i32 s7, 3
	s_cbranch_scc0 .LBB23_2475
; %bb.2472:
	s_wait_loadcnt 0x0
	global_load_b32 v0, v[10:11], off
	s_mov_b32 s7, 0
	s_branch .LBB23_2476
.LBB23_2473:
                                        ; implicit-def: $vgpr0
	s_branch .LBB23_2482
.LBB23_2474:
	s_mov_b32 s7, -1
                                        ; implicit-def: $vgpr0
	s_branch .LBB23_2479
.LBB23_2475:
	s_mov_b32 s7, -1
                                        ; implicit-def: $vgpr0
.LBB23_2476:
	s_delay_alu instid0(SALU_CYCLE_1)
	s_and_not1_b32 vcc_lo, exec_lo, s7
	s_cbranch_vccnz .LBB23_2478
; %bb.2477:
	s_wait_loadcnt 0x0
	global_load_b32 v0, v[10:11], off
.LBB23_2478:
	s_mov_b32 s7, 0
.LBB23_2479:
	s_delay_alu instid0(SALU_CYCLE_1)
	s_and_not1_b32 vcc_lo, exec_lo, s7
	s_cbranch_vccnz .LBB23_2481
; %bb.2480:
	s_wait_loadcnt 0x0
	global_load_i16 v0, v[10:11], off
.LBB23_2481:
	s_cbranch_execnz .LBB23_2487
.LBB23_2482:
	s_sext_i32_i16 s0, s0
	s_delay_alu instid0(SALU_CYCLE_1)
	s_cmp_gt_i32 s0, 0
	s_mov_b32 s0, 0
	s_cbranch_scc0 .LBB23_2484
; %bb.2483:
	s_wait_loadcnt 0x0
	global_load_i8 v0, v[10:11], off
	s_branch .LBB23_2485
.LBB23_2484:
	s_mov_b32 s0, -1
                                        ; implicit-def: $vgpr0
.LBB23_2485:
	s_delay_alu instid0(SALU_CYCLE_1)
	s_and_not1_b32 vcc_lo, exec_lo, s0
	s_cbranch_vccnz .LBB23_2487
; %bb.2486:
	s_wait_loadcnt 0x0
	global_load_u8 v0, v[10:11], off
.LBB23_2487:
	s_or_b32 s8, s8, exec_lo
.LBB23_2488:
	s_wait_xcnt 0x0
	s_or_b32 exec_lo, exec_lo, s6
	s_mov_b32 s7, 0
	s_mov_b32 s11, 0
	;; [unrolled: 1-line block ×3, first 2 shown]
                                        ; implicit-def: $sgpr0
                                        ; implicit-def: $vgpr10_vgpr11
                                        ; implicit-def: $vgpr8
	s_and_saveexec_b32 s6, s8
	s_cbranch_execz .LBB23_2496
; %bb.2489:
	v_mov_b32_e32 v7, 0
	s_and_b32 s0, s23, 0xff
	s_delay_alu instid0(SALU_CYCLE_1) | instskip(SKIP_1) | instid1(VALU_DEP_1)
	s_cmp_lt_i32 s0, 11
	s_wait_loadcnt 0x0
	v_add_nc_u64_e32 v[10:11], s[28:29], v[6:7]
	s_cbranch_scc1 .LBB23_2499
; %bb.2490:
	s_and_b32 s8, 0xffff, s0
	s_mov_b32 s10, 0
	s_cmp_gt_i32 s8, 25
	s_cbranch_scc0 .LBB23_2500
; %bb.2491:
	s_cmp_gt_i32 s8, 28
	s_cbranch_scc0 .LBB23_2501
; %bb.2492:
	s_cmp_gt_i32 s8, 43
	s_cbranch_scc0 .LBB23_2502
; %bb.2493:
	s_cmp_gt_i32 s8, 45
	s_cbranch_scc0 .LBB23_2503
; %bb.2494:
	s_cmp_eq_u32 s8, 46
	s_cbranch_scc0 .LBB23_2504
; %bb.2495:
	global_load_b32 v1, v[10:11], off
	s_mov_b32 s9, -1
	s_wait_loadcnt 0x0
	v_lshlrev_b32_e32 v1, 16, v1
	s_delay_alu instid0(VALU_DEP_1)
	v_cvt_i32_f32_e32 v8, v1
	s_branch .LBB23_2506
.LBB23_2496:
	s_or_b32 exec_lo, exec_lo, s6
	s_and_saveexec_b32 s6, s81
	s_cbranch_execnz .LBB23_2565
.LBB23_2497:
	s_or_b32 exec_lo, exec_lo, s6
	s_and_saveexec_b32 s4, s7
	s_delay_alu instid0(SALU_CYCLE_1)
	s_xor_b32 s6, exec_lo, s4
	s_cbranch_execz .LBB23_2566
.LBB23_2498:
	s_wait_loadcnt 0x0
	global_load_u8 v1, v[10:11], off
	s_or_b32 s9, s9, exec_lo
	s_wait_loadcnt 0x0
	v_cmp_ne_u16_e32 vcc_lo, 0, v1
	v_cndmask_b32_e64 v8, 0, 1, vcc_lo
	s_wait_xcnt 0x0
	s_or_b32 exec_lo, exec_lo, s6
	s_and_saveexec_b32 s6, s11
	s_cbranch_execz .LBB23_2612
	s_branch .LBB23_2567
.LBB23_2499:
	s_mov_b32 s8, -1
	s_mov_b32 s10, 0
	s_mov_b32 s7, s81
                                        ; implicit-def: $vgpr8
	s_branch .LBB23_2564
.LBB23_2500:
	s_mov_b32 s7, s81
                                        ; implicit-def: $vgpr8
	s_cbranch_execnz .LBB23_2533
	s_branch .LBB23_2563
.LBB23_2501:
	s_mov_b32 s11, -1
	s_mov_b32 s7, s81
                                        ; implicit-def: $vgpr8
	s_branch .LBB23_2516
.LBB23_2502:
	s_mov_b32 s11, -1
	s_mov_b32 s7, s81
                                        ; implicit-def: $vgpr8
	s_branch .LBB23_2511
.LBB23_2503:
	s_mov_b32 s11, -1
	s_mov_b32 s7, s81
	s_branch .LBB23_2505
.LBB23_2504:
	s_mov_b32 s7, -1
.LBB23_2505:
                                        ; implicit-def: $vgpr8
.LBB23_2506:
	s_and_b32 vcc_lo, exec_lo, s11
	s_cbranch_vccz .LBB23_2510
; %bb.2507:
	s_cmp_eq_u32 s8, 44
	s_cbranch_scc0 .LBB23_2509
; %bb.2508:
	global_load_u8 v1, v[10:11], off
	s_mov_b32 s7, 0
	s_mov_b32 s9, -1
	s_wait_loadcnt 0x0
	v_lshlrev_b32_e32 v5, 23, v1
	v_cmp_ne_u32_e32 vcc_lo, 0, v1
	s_delay_alu instid0(VALU_DEP_2) | instskip(NEXT) | instid1(VALU_DEP_1)
	v_cvt_i32_f32_e32 v5, v5
	v_cndmask_b32_e32 v8, 0, v5, vcc_lo
	s_branch .LBB23_2510
.LBB23_2509:
	s_mov_b32 s7, -1
                                        ; implicit-def: $vgpr8
.LBB23_2510:
	s_mov_b32 s11, 0
.LBB23_2511:
	s_delay_alu instid0(SALU_CYCLE_1)
	s_and_b32 vcc_lo, exec_lo, s11
	s_cbranch_vccz .LBB23_2515
; %bb.2512:
	s_cmp_eq_u32 s8, 29
	s_cbranch_scc0 .LBB23_2514
; %bb.2513:
	global_load_b32 v8, v[10:11], off
	s_mov_b32 s7, 0
	s_mov_b32 s9, -1
	s_branch .LBB23_2515
.LBB23_2514:
	s_mov_b32 s7, -1
                                        ; implicit-def: $vgpr8
.LBB23_2515:
	s_mov_b32 s11, 0
.LBB23_2516:
	s_delay_alu instid0(SALU_CYCLE_1)
	s_and_b32 vcc_lo, exec_lo, s11
	s_cbranch_vccz .LBB23_2532
; %bb.2517:
	s_cmp_lt_i32 s8, 27
	s_cbranch_scc1 .LBB23_2520
; %bb.2518:
	s_cmp_gt_i32 s8, 27
	s_cbranch_scc0 .LBB23_2521
; %bb.2519:
	s_wait_loadcnt 0x0
	global_load_b32 v8, v[10:11], off
	s_mov_b32 s9, 0
	s_branch .LBB23_2522
.LBB23_2520:
	s_mov_b32 s9, -1
                                        ; implicit-def: $vgpr8
	s_branch .LBB23_2525
.LBB23_2521:
	s_mov_b32 s9, -1
                                        ; implicit-def: $vgpr8
.LBB23_2522:
	s_delay_alu instid0(SALU_CYCLE_1)
	s_and_not1_b32 vcc_lo, exec_lo, s9
	s_cbranch_vccnz .LBB23_2524
; %bb.2523:
	s_wait_loadcnt 0x0
	global_load_u16 v8, v[10:11], off
.LBB23_2524:
	s_mov_b32 s9, 0
.LBB23_2525:
	s_delay_alu instid0(SALU_CYCLE_1)
	s_and_not1_b32 vcc_lo, exec_lo, s9
	s_cbranch_vccnz .LBB23_2531
; %bb.2526:
	global_load_u8 v1, v[10:11], off
	s_mov_b32 s11, 0
	s_mov_b32 s4, exec_lo
	s_wait_loadcnt 0x0
	v_cmpx_lt_i16_e32 0x7f, v1
	s_xor_b32 s9, exec_lo, s4
	s_cbranch_execz .LBB23_2542
; %bb.2527:
	v_cmp_ne_u16_e32 vcc_lo, 0x80, v1
	s_and_b32 s11, vcc_lo, exec_lo
	s_and_not1_saveexec_b32 s9, s9
	s_cbranch_execnz .LBB23_2543
.LBB23_2528:
	s_or_b32 exec_lo, exec_lo, s9
	v_mov_b32_e32 v8, 0
	s_and_saveexec_b32 s9, s11
	s_cbranch_execz .LBB23_2530
.LBB23_2529:
	v_and_b32_e32 v5, 0xffff, v1
	s_delay_alu instid0(VALU_DEP_1) | instskip(SKIP_1) | instid1(VALU_DEP_2)
	v_and_b32_e32 v6, 7, v5
	v_bfe_u32 v9, v5, 3, 4
	v_clz_i32_u32_e32 v7, v6
	s_delay_alu instid0(VALU_DEP_2) | instskip(NEXT) | instid1(VALU_DEP_2)
	v_cmp_eq_u32_e32 vcc_lo, 0, v9
	v_min_u32_e32 v7, 32, v7
	s_delay_alu instid0(VALU_DEP_1) | instskip(NEXT) | instid1(VALU_DEP_1)
	v_subrev_nc_u32_e32 v8, 28, v7
	v_dual_lshlrev_b32 v5, v8, v5 :: v_dual_sub_nc_u32 v7, 29, v7
	s_delay_alu instid0(VALU_DEP_1) | instskip(NEXT) | instid1(VALU_DEP_2)
	v_and_b32_e32 v5, 7, v5
	v_dual_lshlrev_b32 v1, 24, v1 :: v_dual_cndmask_b32 v7, v9, v7, vcc_lo
	s_delay_alu instid0(VALU_DEP_2) | instskip(NEXT) | instid1(VALU_DEP_2)
	v_cndmask_b32_e32 v5, v6, v5, vcc_lo
	v_and_b32_e32 v1, 0x80000000, v1
	s_delay_alu instid0(VALU_DEP_3) | instskip(NEXT) | instid1(VALU_DEP_3)
	v_lshl_add_u32 v6, v7, 23, 0x3b800000
	v_lshlrev_b32_e32 v5, 20, v5
	s_delay_alu instid0(VALU_DEP_1) | instskip(NEXT) | instid1(VALU_DEP_1)
	v_or3_b32 v1, v1, v6, v5
	v_cvt_i32_f32_e32 v8, v1
.LBB23_2530:
	s_or_b32 exec_lo, exec_lo, s9
.LBB23_2531:
	s_mov_b32 s9, -1
.LBB23_2532:
	s_branch .LBB23_2563
.LBB23_2533:
	s_cmp_gt_i32 s8, 22
	s_cbranch_scc0 .LBB23_2541
; %bb.2534:
	s_cmp_lt_i32 s8, 24
	s_cbranch_scc1 .LBB23_2544
; %bb.2535:
	s_cmp_gt_i32 s8, 24
	s_cbranch_scc0 .LBB23_2545
; %bb.2536:
	global_load_u8 v1, v[10:11], off
	s_mov_b32 s4, exec_lo
	s_wait_loadcnt 0x0
	v_cmpx_lt_i16_e32 0x7f, v1
	s_xor_b32 s9, exec_lo, s4
	s_cbranch_execz .LBB23_2557
; %bb.2537:
	v_cmp_ne_u16_e32 vcc_lo, 0x80, v1
	s_and_b32 s10, vcc_lo, exec_lo
	s_and_not1_saveexec_b32 s9, s9
	s_cbranch_execnz .LBB23_2558
.LBB23_2538:
	s_or_b32 exec_lo, exec_lo, s9
	v_mov_b32_e32 v8, 0
	s_and_saveexec_b32 s9, s10
	s_cbranch_execz .LBB23_2540
.LBB23_2539:
	v_and_b32_e32 v5, 0xffff, v1
	s_delay_alu instid0(VALU_DEP_1) | instskip(SKIP_1) | instid1(VALU_DEP_2)
	v_and_b32_e32 v6, 3, v5
	v_bfe_u32 v9, v5, 2, 5
	v_clz_i32_u32_e32 v7, v6
	s_delay_alu instid0(VALU_DEP_2) | instskip(NEXT) | instid1(VALU_DEP_2)
	v_cmp_eq_u32_e32 vcc_lo, 0, v9
	v_min_u32_e32 v7, 32, v7
	s_delay_alu instid0(VALU_DEP_1) | instskip(NEXT) | instid1(VALU_DEP_1)
	v_subrev_nc_u32_e32 v8, 29, v7
	v_dual_lshlrev_b32 v5, v8, v5 :: v_dual_sub_nc_u32 v7, 30, v7
	s_delay_alu instid0(VALU_DEP_1) | instskip(NEXT) | instid1(VALU_DEP_2)
	v_and_b32_e32 v5, 3, v5
	v_dual_lshlrev_b32 v1, 24, v1 :: v_dual_cndmask_b32 v7, v9, v7, vcc_lo
	s_delay_alu instid0(VALU_DEP_2) | instskip(NEXT) | instid1(VALU_DEP_2)
	v_cndmask_b32_e32 v5, v6, v5, vcc_lo
	v_and_b32_e32 v1, 0x80000000, v1
	s_delay_alu instid0(VALU_DEP_3) | instskip(NEXT) | instid1(VALU_DEP_3)
	v_lshl_add_u32 v6, v7, 23, 0x37800000
	v_lshlrev_b32_e32 v5, 21, v5
	s_delay_alu instid0(VALU_DEP_1) | instskip(NEXT) | instid1(VALU_DEP_1)
	v_or3_b32 v1, v1, v6, v5
	v_cvt_i32_f32_e32 v8, v1
.LBB23_2540:
	s_or_b32 exec_lo, exec_lo, s9
	s_mov_b32 s9, 0
	s_branch .LBB23_2546
.LBB23_2541:
	s_mov_b32 s10, -1
                                        ; implicit-def: $vgpr8
	s_branch .LBB23_2552
.LBB23_2542:
	s_and_not1_saveexec_b32 s9, s9
	s_cbranch_execz .LBB23_2528
.LBB23_2543:
	v_cmp_ne_u16_e32 vcc_lo, 0, v1
	s_and_not1_b32 s4, s11, exec_lo
	s_and_b32 s5, vcc_lo, exec_lo
	s_delay_alu instid0(SALU_CYCLE_1)
	s_or_b32 s11, s4, s5
	s_or_b32 exec_lo, exec_lo, s9
	v_mov_b32_e32 v8, 0
	s_and_saveexec_b32 s9, s11
	s_cbranch_execnz .LBB23_2529
	s_branch .LBB23_2530
.LBB23_2544:
	s_mov_b32 s9, -1
                                        ; implicit-def: $vgpr8
	s_branch .LBB23_2549
.LBB23_2545:
	s_mov_b32 s9, -1
                                        ; implicit-def: $vgpr8
.LBB23_2546:
	s_delay_alu instid0(SALU_CYCLE_1)
	s_and_b32 vcc_lo, exec_lo, s9
	s_cbranch_vccz .LBB23_2548
; %bb.2547:
	global_load_u8 v1, v[10:11], off
	s_wait_loadcnt 0x0
	v_lshlrev_b32_e32 v1, 24, v1
	s_delay_alu instid0(VALU_DEP_1) | instskip(NEXT) | instid1(VALU_DEP_1)
	v_and_b32_e32 v5, 0x7f000000, v1
	v_clz_i32_u32_e32 v6, v5
	v_cmp_ne_u32_e32 vcc_lo, 0, v5
	v_add_nc_u32_e32 v8, 0x1000000, v5
	s_delay_alu instid0(VALU_DEP_3) | instskip(NEXT) | instid1(VALU_DEP_1)
	v_min_u32_e32 v6, 32, v6
	v_sub_nc_u32_e64 v6, v6, 4 clamp
	s_delay_alu instid0(VALU_DEP_1) | instskip(NEXT) | instid1(VALU_DEP_1)
	v_dual_lshlrev_b32 v7, v6, v5 :: v_dual_lshlrev_b32 v6, 23, v6
	v_lshrrev_b32_e32 v7, 4, v7
	s_delay_alu instid0(VALU_DEP_1) | instskip(NEXT) | instid1(VALU_DEP_1)
	v_dual_sub_nc_u32 v6, v7, v6 :: v_dual_ashrrev_i32 v7, 8, v8
	v_add_nc_u32_e32 v6, 0x3c000000, v6
	s_delay_alu instid0(VALU_DEP_1) | instskip(NEXT) | instid1(VALU_DEP_1)
	v_and_or_b32 v6, 0x7f800000, v7, v6
	v_cndmask_b32_e32 v5, 0, v6, vcc_lo
	s_delay_alu instid0(VALU_DEP_1) | instskip(NEXT) | instid1(VALU_DEP_1)
	v_and_or_b32 v1, 0x80000000, v1, v5
	v_cvt_i32_f32_e32 v8, v1
.LBB23_2548:
	s_mov_b32 s9, 0
.LBB23_2549:
	s_delay_alu instid0(SALU_CYCLE_1)
	s_and_not1_b32 vcc_lo, exec_lo, s9
	s_cbranch_vccnz .LBB23_2551
; %bb.2550:
	global_load_u8 v1, v[10:11], off
	s_wait_loadcnt 0x0
	v_lshlrev_b32_e32 v5, 25, v1
	v_lshlrev_b16 v1, 8, v1
	s_delay_alu instid0(VALU_DEP_1) | instskip(SKIP_1) | instid1(VALU_DEP_2)
	v_and_or_b32 v7, 0x7f00, v1, 0.5
	v_bfe_i32 v1, v1, 0, 16
	v_dual_add_f32 v7, -0.5, v7 :: v_dual_lshrrev_b32 v6, 4, v5
	v_cmp_gt_u32_e32 vcc_lo, 0x8000000, v5
	s_delay_alu instid0(VALU_DEP_2) | instskip(NEXT) | instid1(VALU_DEP_1)
	v_or_b32_e32 v6, 0x70000000, v6
	v_mul_f32_e32 v6, 0x7800000, v6
	s_delay_alu instid0(VALU_DEP_1) | instskip(NEXT) | instid1(VALU_DEP_1)
	v_cndmask_b32_e32 v5, v6, v7, vcc_lo
	v_and_or_b32 v1, 0x80000000, v1, v5
	s_delay_alu instid0(VALU_DEP_1)
	v_cvt_i32_f32_e32 v8, v1
.LBB23_2551:
	s_mov_b32 s10, 0
	s_mov_b32 s9, -1
.LBB23_2552:
	s_and_not1_b32 vcc_lo, exec_lo, s10
	s_mov_b32 s10, 0
	s_cbranch_vccnz .LBB23_2563
; %bb.2553:
	s_cmp_gt_i32 s8, 14
	s_cbranch_scc0 .LBB23_2556
; %bb.2554:
	s_cmp_eq_u32 s8, 15
	s_cbranch_scc0 .LBB23_2559
; %bb.2555:
	global_load_u16 v1, v[10:11], off
	s_mov_b32 s7, 0
	s_mov_b32 s9, -1
	s_wait_loadcnt 0x0
	v_lshlrev_b32_e32 v1, 16, v1
	s_delay_alu instid0(VALU_DEP_1)
	v_cvt_i32_f32_e32 v8, v1
	s_branch .LBB23_2561
.LBB23_2556:
	s_mov_b32 s10, -1
	s_branch .LBB23_2560
.LBB23_2557:
	s_and_not1_saveexec_b32 s9, s9
	s_cbranch_execz .LBB23_2538
.LBB23_2558:
	v_cmp_ne_u16_e32 vcc_lo, 0, v1
	s_and_not1_b32 s4, s10, exec_lo
	s_and_b32 s5, vcc_lo, exec_lo
	s_delay_alu instid0(SALU_CYCLE_1)
	s_or_b32 s10, s4, s5
	s_or_b32 exec_lo, exec_lo, s9
	v_mov_b32_e32 v8, 0
	s_and_saveexec_b32 s9, s10
	s_cbranch_execnz .LBB23_2539
	s_branch .LBB23_2540
.LBB23_2559:
	s_mov_b32 s7, -1
.LBB23_2560:
                                        ; implicit-def: $vgpr8
.LBB23_2561:
	s_and_b32 vcc_lo, exec_lo, s10
	s_mov_b32 s10, 0
	s_cbranch_vccz .LBB23_2563
; %bb.2562:
	s_cmp_lg_u32 s8, 11
	s_mov_b32 s10, -1
	s_cselect_b32 s4, -1, 0
	s_and_not1_b32 s5, s7, exec_lo
	s_and_b32 s4, s4, exec_lo
	s_delay_alu instid0(SALU_CYCLE_1)
	s_or_b32 s7, s5, s4
.LBB23_2563:
	s_mov_b32 s8, 0
.LBB23_2564:
	s_and_not1_b32 s4, s81, exec_lo
	s_and_b32 s5, s7, exec_lo
	s_and_b32 s9, s9, exec_lo
	;; [unrolled: 1-line block ×4, first 2 shown]
	s_or_b32 s81, s4, s5
	s_wait_xcnt 0x0
	s_or_b32 exec_lo, exec_lo, s6
	s_and_saveexec_b32 s6, s81
	s_cbranch_execz .LBB23_2497
.LBB23_2565:
	s_or_b32 s1, s1, exec_lo
	s_and_not1_b32 s7, s7, exec_lo
	s_trap 2
	s_or_b32 exec_lo, exec_lo, s6
	s_and_saveexec_b32 s4, s7
	s_delay_alu instid0(SALU_CYCLE_1)
	s_xor_b32 s6, exec_lo, s4
	s_cbranch_execnz .LBB23_2498
.LBB23_2566:
	s_or_b32 exec_lo, exec_lo, s6
	s_and_saveexec_b32 s6, s11
	s_cbranch_execz .LBB23_2612
.LBB23_2567:
	s_sext_i32_i16 s7, s0
	s_delay_alu instid0(SALU_CYCLE_1)
	s_cmp_lt_i32 s7, 5
	s_cbranch_scc1 .LBB23_2572
; %bb.2568:
	s_cmp_lt_i32 s7, 8
	s_cbranch_scc1 .LBB23_2573
; %bb.2569:
	;; [unrolled: 3-line block ×3, first 2 shown]
	s_cmp_gt_i32 s7, 9
	s_cbranch_scc0 .LBB23_2575
; %bb.2571:
	s_wait_loadcnt 0x0
	global_load_b64 v[6:7], v[10:11], off
	s_mov_b32 s7, 0
	s_wait_loadcnt 0x0
	v_cvt_i32_f64_e32 v8, v[6:7]
	s_branch .LBB23_2576
.LBB23_2572:
                                        ; implicit-def: $vgpr8
	s_branch .LBB23_2593
.LBB23_2573:
                                        ; implicit-def: $vgpr8
	s_branch .LBB23_2582
.LBB23_2574:
	s_mov_b32 s7, -1
                                        ; implicit-def: $vgpr8
	s_branch .LBB23_2579
.LBB23_2575:
	s_mov_b32 s7, -1
                                        ; implicit-def: $vgpr8
.LBB23_2576:
	s_delay_alu instid0(SALU_CYCLE_1)
	s_and_not1_b32 vcc_lo, exec_lo, s7
	s_cbranch_vccnz .LBB23_2578
; %bb.2577:
	s_wait_loadcnt 0x0
	global_load_b32 v1, v[10:11], off
	s_wait_loadcnt 0x0
	v_cvt_i32_f32_e32 v8, v1
.LBB23_2578:
	s_mov_b32 s7, 0
.LBB23_2579:
	s_delay_alu instid0(SALU_CYCLE_1)
	s_and_not1_b32 vcc_lo, exec_lo, s7
	s_cbranch_vccnz .LBB23_2581
; %bb.2580:
	s_wait_loadcnt 0x0
	global_load_b32 v1, v[10:11], off
	s_wait_loadcnt 0x0
	v_cvt_f32_f16_e32 v1, v1
	s_delay_alu instid0(VALU_DEP_1)
	v_cvt_i32_f32_e32 v8, v1
.LBB23_2581:
	s_cbranch_execnz .LBB23_2592
.LBB23_2582:
	s_sext_i32_i16 s7, s0
	s_delay_alu instid0(SALU_CYCLE_1)
	s_cmp_lt_i32 s7, 6
	s_cbranch_scc1 .LBB23_2585
; %bb.2583:
	s_cmp_gt_i32 s7, 6
	s_cbranch_scc0 .LBB23_2586
; %bb.2584:
	s_wait_loadcnt 0x0
	global_load_b64 v[6:7], v[10:11], off
	s_mov_b32 s7, 0
	s_wait_loadcnt 0x0
	v_cvt_i32_f64_e32 v8, v[6:7]
	s_branch .LBB23_2587
.LBB23_2585:
	s_mov_b32 s7, -1
                                        ; implicit-def: $vgpr8
	s_branch .LBB23_2590
.LBB23_2586:
	s_mov_b32 s7, -1
                                        ; implicit-def: $vgpr8
.LBB23_2587:
	s_delay_alu instid0(SALU_CYCLE_1)
	s_and_not1_b32 vcc_lo, exec_lo, s7
	s_cbranch_vccnz .LBB23_2589
; %bb.2588:
	s_wait_loadcnt 0x0
	global_load_b32 v1, v[10:11], off
	s_wait_loadcnt 0x0
	v_cvt_i32_f32_e32 v8, v1
.LBB23_2589:
	s_mov_b32 s7, 0
.LBB23_2590:
	s_delay_alu instid0(SALU_CYCLE_1)
	s_and_not1_b32 vcc_lo, exec_lo, s7
	s_cbranch_vccnz .LBB23_2592
; %bb.2591:
	s_wait_loadcnt 0x0
	global_load_u16 v1, v[10:11], off
	s_wait_loadcnt 0x0
	v_cvt_f32_f16_e32 v1, v1
	s_delay_alu instid0(VALU_DEP_1)
	v_cvt_i32_f32_e32 v8, v1
.LBB23_2592:
	s_cbranch_execnz .LBB23_2611
.LBB23_2593:
	s_sext_i32_i16 s7, s0
	s_delay_alu instid0(SALU_CYCLE_1)
	s_cmp_lt_i32 s7, 2
	s_cbranch_scc1 .LBB23_2597
; %bb.2594:
	s_cmp_lt_i32 s7, 3
	s_cbranch_scc1 .LBB23_2598
; %bb.2595:
	s_cmp_gt_i32 s7, 3
	s_cbranch_scc0 .LBB23_2599
; %bb.2596:
	s_wait_loadcnt 0x0
	global_load_b32 v8, v[10:11], off
	s_mov_b32 s7, 0
	s_branch .LBB23_2600
.LBB23_2597:
                                        ; implicit-def: $vgpr8
	s_branch .LBB23_2606
.LBB23_2598:
	s_mov_b32 s7, -1
                                        ; implicit-def: $vgpr8
	s_branch .LBB23_2603
.LBB23_2599:
	s_mov_b32 s7, -1
                                        ; implicit-def: $vgpr8
.LBB23_2600:
	s_delay_alu instid0(SALU_CYCLE_1)
	s_and_not1_b32 vcc_lo, exec_lo, s7
	s_cbranch_vccnz .LBB23_2602
; %bb.2601:
	s_wait_loadcnt 0x0
	global_load_b32 v8, v[10:11], off
.LBB23_2602:
	s_mov_b32 s7, 0
.LBB23_2603:
	s_delay_alu instid0(SALU_CYCLE_1)
	s_and_not1_b32 vcc_lo, exec_lo, s7
	s_cbranch_vccnz .LBB23_2605
; %bb.2604:
	s_wait_loadcnt 0x0
	global_load_i16 v8, v[10:11], off
.LBB23_2605:
	s_cbranch_execnz .LBB23_2611
.LBB23_2606:
	s_sext_i32_i16 s0, s0
	s_delay_alu instid0(SALU_CYCLE_1)
	s_cmp_gt_i32 s0, 0
	s_mov_b32 s0, 0
	s_cbranch_scc0 .LBB23_2608
; %bb.2607:
	s_wait_loadcnt 0x0
	global_load_i8 v8, v[10:11], off
	s_branch .LBB23_2609
.LBB23_2608:
	s_mov_b32 s0, -1
                                        ; implicit-def: $vgpr8
.LBB23_2609:
	s_delay_alu instid0(SALU_CYCLE_1)
	s_and_not1_b32 vcc_lo, exec_lo, s0
	s_cbranch_vccnz .LBB23_2611
; %bb.2610:
	s_wait_loadcnt 0x0
	global_load_u8 v8, v[10:11], off
.LBB23_2611:
	s_or_b32 s9, s9, exec_lo
.LBB23_2612:
	s_wait_xcnt 0x0
	s_or_b32 exec_lo, exec_lo, s6
	s_mov_b32 s7, 0
	s_mov_b32 s10, 0
	;; [unrolled: 1-line block ×3, first 2 shown]
                                        ; implicit-def: $sgpr0
                                        ; implicit-def: $vgpr6_vgpr7
                                        ; implicit-def: $vgpr10
	s_and_saveexec_b32 s6, s9
	s_cbranch_execz .LBB23_2620
; %bb.2613:
	v_mov_b32_e32 v5, 0
	s_and_b32 s0, s18, 0xff
	s_delay_alu instid0(SALU_CYCLE_1) | instskip(SKIP_1) | instid1(VALU_DEP_1)
	s_cmp_lt_i32 s0, 11
	s_wait_loadcnt 0x0
	v_add_nc_u64_e32 v[6:7], s[30:31], v[4:5]
	s_cbranch_scc1 .LBB23_2623
; %bb.2614:
	s_and_b32 s8, 0xffff, s0
	s_mov_b32 s9, 0
	s_cmp_gt_i32 s8, 25
	s_cbranch_scc0 .LBB23_2624
; %bb.2615:
	s_cmp_gt_i32 s8, 28
	s_cbranch_scc0 .LBB23_2625
; %bb.2616:
	;; [unrolled: 3-line block ×4, first 2 shown]
	s_cmp_eq_u32 s8, 46
	s_mov_b32 s11, 0
	s_cbranch_scc0 .LBB23_2628
; %bb.2619:
	global_load_b32 v1, v[6:7], off
	s_mov_b32 s10, -1
	s_wait_loadcnt 0x0
	v_lshlrev_b32_e32 v1, 16, v1
	s_delay_alu instid0(VALU_DEP_1)
	v_cvt_i32_f32_e32 v10, v1
	s_branch .LBB23_2630
.LBB23_2620:
	s_or_b32 exec_lo, exec_lo, s6
	s_and_saveexec_b32 s6, s80
	s_cbranch_execnz .LBB23_2689
.LBB23_2621:
	s_or_b32 exec_lo, exec_lo, s6
	s_and_saveexec_b32 s4, s7
	s_delay_alu instid0(SALU_CYCLE_1)
	s_xor_b32 s6, exec_lo, s4
	s_cbranch_execz .LBB23_2690
.LBB23_2622:
	s_wait_loadcnt 0x0
	global_load_u8 v1, v[6:7], off
	s_or_b32 s8, s8, exec_lo
	s_wait_loadcnt 0x0
	v_cmp_ne_u16_e32 vcc_lo, 0, v1
	v_cndmask_b32_e64 v10, 0, 1, vcc_lo
	s_wait_xcnt 0x0
	s_or_b32 exec_lo, exec_lo, s6
	s_and_saveexec_b32 s6, s10
	s_cbranch_execz .LBB23_2736
	s_branch .LBB23_2691
.LBB23_2623:
	s_mov_b32 s11, -1
	s_mov_b32 s9, 0
	s_mov_b32 s7, s80
                                        ; implicit-def: $vgpr10
	s_branch .LBB23_2688
.LBB23_2624:
	s_mov_b32 s7, s80
                                        ; implicit-def: $vgpr10
	s_cbranch_execnz .LBB23_2657
	s_branch .LBB23_2687
.LBB23_2625:
	s_mov_b32 s11, -1
	s_mov_b32 s7, s80
                                        ; implicit-def: $vgpr10
	s_branch .LBB23_2640
.LBB23_2626:
	s_mov_b32 s11, -1
	s_mov_b32 s7, s80
                                        ; implicit-def: $vgpr10
	s_branch .LBB23_2635
.LBB23_2627:
	s_mov_b32 s11, -1
	s_mov_b32 s7, s80
	s_branch .LBB23_2629
.LBB23_2628:
	s_mov_b32 s7, -1
.LBB23_2629:
                                        ; implicit-def: $vgpr10
.LBB23_2630:
	s_and_b32 vcc_lo, exec_lo, s11
	s_cbranch_vccz .LBB23_2634
; %bb.2631:
	s_cmp_eq_u32 s8, 44
	s_cbranch_scc0 .LBB23_2633
; %bb.2632:
	global_load_u8 v1, v[6:7], off
	s_mov_b32 s7, 0
	s_mov_b32 s10, -1
	s_wait_loadcnt 0x0
	v_lshlrev_b32_e32 v4, 23, v1
	v_cmp_ne_u32_e32 vcc_lo, 0, v1
	s_delay_alu instid0(VALU_DEP_2) | instskip(NEXT) | instid1(VALU_DEP_1)
	v_cvt_i32_f32_e32 v4, v4
	v_cndmask_b32_e32 v10, 0, v4, vcc_lo
	s_branch .LBB23_2634
.LBB23_2633:
	s_mov_b32 s7, -1
                                        ; implicit-def: $vgpr10
.LBB23_2634:
	s_mov_b32 s11, 0
.LBB23_2635:
	s_delay_alu instid0(SALU_CYCLE_1)
	s_and_b32 vcc_lo, exec_lo, s11
	s_cbranch_vccz .LBB23_2639
; %bb.2636:
	s_cmp_eq_u32 s8, 29
	s_cbranch_scc0 .LBB23_2638
; %bb.2637:
	global_load_b32 v10, v[6:7], off
	s_mov_b32 s7, 0
	s_mov_b32 s10, -1
	s_branch .LBB23_2639
.LBB23_2638:
	s_mov_b32 s7, -1
                                        ; implicit-def: $vgpr10
.LBB23_2639:
	s_mov_b32 s11, 0
.LBB23_2640:
	s_delay_alu instid0(SALU_CYCLE_1)
	s_and_b32 vcc_lo, exec_lo, s11
	s_cbranch_vccz .LBB23_2656
; %bb.2641:
	s_cmp_lt_i32 s8, 27
	s_cbranch_scc1 .LBB23_2644
; %bb.2642:
	s_cmp_gt_i32 s8, 27
	s_cbranch_scc0 .LBB23_2645
; %bb.2643:
	s_wait_loadcnt 0x0
	global_load_b32 v10, v[6:7], off
	s_mov_b32 s10, 0
	s_branch .LBB23_2646
.LBB23_2644:
	s_mov_b32 s10, -1
                                        ; implicit-def: $vgpr10
	s_branch .LBB23_2649
.LBB23_2645:
	s_mov_b32 s10, -1
                                        ; implicit-def: $vgpr10
.LBB23_2646:
	s_delay_alu instid0(SALU_CYCLE_1)
	s_and_not1_b32 vcc_lo, exec_lo, s10
	s_cbranch_vccnz .LBB23_2648
; %bb.2647:
	s_wait_loadcnt 0x0
	global_load_u16 v10, v[6:7], off
.LBB23_2648:
	s_mov_b32 s10, 0
.LBB23_2649:
	s_delay_alu instid0(SALU_CYCLE_1)
	s_and_not1_b32 vcc_lo, exec_lo, s10
	s_cbranch_vccnz .LBB23_2655
; %bb.2650:
	global_load_u8 v1, v[6:7], off
	s_mov_b32 s11, 0
	s_mov_b32 s4, exec_lo
	s_wait_loadcnt 0x0
	v_cmpx_lt_i16_e32 0x7f, v1
	s_xor_b32 s10, exec_lo, s4
	s_cbranch_execz .LBB23_2666
; %bb.2651:
	v_cmp_ne_u16_e32 vcc_lo, 0x80, v1
	s_and_b32 s11, vcc_lo, exec_lo
	s_and_not1_saveexec_b32 s10, s10
	s_cbranch_execnz .LBB23_2667
.LBB23_2652:
	s_or_b32 exec_lo, exec_lo, s10
	v_mov_b32_e32 v10, 0
	s_and_saveexec_b32 s10, s11
	s_cbranch_execz .LBB23_2654
.LBB23_2653:
	v_and_b32_e32 v4, 0xffff, v1
	s_delay_alu instid0(VALU_DEP_1) | instskip(SKIP_1) | instid1(VALU_DEP_2)
	v_and_b32_e32 v5, 7, v4
	v_bfe_u32 v11, v4, 3, 4
	v_clz_i32_u32_e32 v9, v5
	s_delay_alu instid0(VALU_DEP_2) | instskip(NEXT) | instid1(VALU_DEP_2)
	v_cmp_eq_u32_e32 vcc_lo, 0, v11
	v_min_u32_e32 v9, 32, v9
	s_delay_alu instid0(VALU_DEP_1) | instskip(NEXT) | instid1(VALU_DEP_1)
	v_subrev_nc_u32_e32 v10, 28, v9
	v_dual_lshlrev_b32 v4, v10, v4 :: v_dual_sub_nc_u32 v9, 29, v9
	s_delay_alu instid0(VALU_DEP_1) | instskip(NEXT) | instid1(VALU_DEP_1)
	v_dual_lshlrev_b32 v1, 24, v1 :: v_dual_bitop2_b32 v4, 7, v4 bitop3:0x40
	v_dual_cndmask_b32 v4, v5, v4 :: v_dual_cndmask_b32 v9, v11, v9
	s_delay_alu instid0(VALU_DEP_2) | instskip(NEXT) | instid1(VALU_DEP_2)
	v_and_b32_e32 v1, 0x80000000, v1
	v_lshlrev_b32_e32 v4, 20, v4
	s_delay_alu instid0(VALU_DEP_3) | instskip(NEXT) | instid1(VALU_DEP_1)
	v_lshl_add_u32 v5, v9, 23, 0x3b800000
	v_or3_b32 v1, v1, v5, v4
	s_delay_alu instid0(VALU_DEP_1)
	v_cvt_i32_f32_e32 v10, v1
.LBB23_2654:
	s_or_b32 exec_lo, exec_lo, s10
.LBB23_2655:
	s_mov_b32 s10, -1
.LBB23_2656:
	s_branch .LBB23_2687
.LBB23_2657:
	s_cmp_gt_i32 s8, 22
	s_cbranch_scc0 .LBB23_2665
; %bb.2658:
	s_cmp_lt_i32 s8, 24
	s_cbranch_scc1 .LBB23_2668
; %bb.2659:
	s_cmp_gt_i32 s8, 24
	s_cbranch_scc0 .LBB23_2669
; %bb.2660:
	global_load_u8 v1, v[6:7], off
	s_mov_b32 s10, 0
	s_mov_b32 s4, exec_lo
	s_wait_loadcnt 0x0
	v_cmpx_lt_i16_e32 0x7f, v1
	s_xor_b32 s9, exec_lo, s4
	s_cbranch_execz .LBB23_2681
; %bb.2661:
	v_cmp_ne_u16_e32 vcc_lo, 0x80, v1
	s_and_b32 s10, vcc_lo, exec_lo
	s_and_not1_saveexec_b32 s9, s9
	s_cbranch_execnz .LBB23_2682
.LBB23_2662:
	s_or_b32 exec_lo, exec_lo, s9
	v_mov_b32_e32 v10, 0
	s_and_saveexec_b32 s9, s10
	s_cbranch_execz .LBB23_2664
.LBB23_2663:
	v_and_b32_e32 v4, 0xffff, v1
	s_delay_alu instid0(VALU_DEP_1) | instskip(SKIP_1) | instid1(VALU_DEP_2)
	v_and_b32_e32 v5, 3, v4
	v_bfe_u32 v11, v4, 2, 5
	v_clz_i32_u32_e32 v9, v5
	s_delay_alu instid0(VALU_DEP_2) | instskip(NEXT) | instid1(VALU_DEP_2)
	v_cmp_eq_u32_e32 vcc_lo, 0, v11
	v_min_u32_e32 v9, 32, v9
	s_delay_alu instid0(VALU_DEP_1) | instskip(NEXT) | instid1(VALU_DEP_1)
	v_subrev_nc_u32_e32 v10, 29, v9
	v_dual_lshlrev_b32 v4, v10, v4 :: v_dual_sub_nc_u32 v9, 30, v9
	s_delay_alu instid0(VALU_DEP_1) | instskip(NEXT) | instid1(VALU_DEP_1)
	v_dual_lshlrev_b32 v1, 24, v1 :: v_dual_bitop2_b32 v4, 3, v4 bitop3:0x40
	v_dual_cndmask_b32 v4, v5, v4 :: v_dual_cndmask_b32 v9, v11, v9
	s_delay_alu instid0(VALU_DEP_2) | instskip(NEXT) | instid1(VALU_DEP_2)
	v_and_b32_e32 v1, 0x80000000, v1
	v_lshlrev_b32_e32 v4, 21, v4
	s_delay_alu instid0(VALU_DEP_3) | instskip(NEXT) | instid1(VALU_DEP_1)
	v_lshl_add_u32 v5, v9, 23, 0x37800000
	v_or3_b32 v1, v1, v5, v4
	s_delay_alu instid0(VALU_DEP_1)
	v_cvt_i32_f32_e32 v10, v1
.LBB23_2664:
	s_or_b32 exec_lo, exec_lo, s9
	s_mov_b32 s9, 0
	s_branch .LBB23_2670
.LBB23_2665:
	s_mov_b32 s9, -1
                                        ; implicit-def: $vgpr10
	s_branch .LBB23_2676
.LBB23_2666:
	s_and_not1_saveexec_b32 s10, s10
	s_cbranch_execz .LBB23_2652
.LBB23_2667:
	v_cmp_ne_u16_e32 vcc_lo, 0, v1
	s_and_not1_b32 s4, s11, exec_lo
	s_and_b32 s5, vcc_lo, exec_lo
	s_delay_alu instid0(SALU_CYCLE_1)
	s_or_b32 s11, s4, s5
	s_or_b32 exec_lo, exec_lo, s10
	v_mov_b32_e32 v10, 0
	s_and_saveexec_b32 s10, s11
	s_cbranch_execnz .LBB23_2653
	s_branch .LBB23_2654
.LBB23_2668:
	s_mov_b32 s9, -1
                                        ; implicit-def: $vgpr10
	s_branch .LBB23_2673
.LBB23_2669:
	s_mov_b32 s9, -1
                                        ; implicit-def: $vgpr10
.LBB23_2670:
	s_delay_alu instid0(SALU_CYCLE_1)
	s_and_b32 vcc_lo, exec_lo, s9
	s_cbranch_vccz .LBB23_2672
; %bb.2671:
	global_load_u8 v1, v[6:7], off
	s_wait_loadcnt 0x0
	v_lshlrev_b32_e32 v1, 24, v1
	s_delay_alu instid0(VALU_DEP_1) | instskip(NEXT) | instid1(VALU_DEP_1)
	v_and_b32_e32 v4, 0x7f000000, v1
	v_clz_i32_u32_e32 v5, v4
	v_add_nc_u32_e32 v10, 0x1000000, v4
	v_cmp_ne_u32_e32 vcc_lo, 0, v4
	s_delay_alu instid0(VALU_DEP_3) | instskip(NEXT) | instid1(VALU_DEP_1)
	v_min_u32_e32 v5, 32, v5
	v_sub_nc_u32_e64 v5, v5, 4 clamp
	s_delay_alu instid0(VALU_DEP_1) | instskip(NEXT) | instid1(VALU_DEP_1)
	v_dual_lshlrev_b32 v9, v5, v4 :: v_dual_lshlrev_b32 v5, 23, v5
	v_lshrrev_b32_e32 v9, 4, v9
	s_delay_alu instid0(VALU_DEP_1) | instskip(NEXT) | instid1(VALU_DEP_1)
	v_dual_sub_nc_u32 v5, v9, v5 :: v_dual_ashrrev_i32 v9, 8, v10
	v_add_nc_u32_e32 v5, 0x3c000000, v5
	s_delay_alu instid0(VALU_DEP_1) | instskip(NEXT) | instid1(VALU_DEP_1)
	v_and_or_b32 v5, 0x7f800000, v9, v5
	v_cndmask_b32_e32 v4, 0, v5, vcc_lo
	s_delay_alu instid0(VALU_DEP_1) | instskip(NEXT) | instid1(VALU_DEP_1)
	v_and_or_b32 v1, 0x80000000, v1, v4
	v_cvt_i32_f32_e32 v10, v1
.LBB23_2672:
	s_mov_b32 s9, 0
.LBB23_2673:
	s_delay_alu instid0(SALU_CYCLE_1)
	s_and_not1_b32 vcc_lo, exec_lo, s9
	s_cbranch_vccnz .LBB23_2675
; %bb.2674:
	global_load_u8 v1, v[6:7], off
	s_wait_loadcnt 0x0
	v_lshlrev_b32_e32 v4, 25, v1
	v_lshlrev_b16 v1, 8, v1
	s_delay_alu instid0(VALU_DEP_2) | instskip(NEXT) | instid1(VALU_DEP_2)
	v_cmp_gt_u32_e32 vcc_lo, 0x8000000, v4
	v_and_or_b32 v9, 0x7f00, v1, 0.5
	v_lshrrev_b32_e32 v5, 4, v4
	v_bfe_i32 v1, v1, 0, 16
	s_delay_alu instid0(VALU_DEP_3) | instskip(NEXT) | instid1(VALU_DEP_3)
	v_add_f32_e32 v9, -0.5, v9
	v_or_b32_e32 v5, 0x70000000, v5
	s_delay_alu instid0(VALU_DEP_1) | instskip(NEXT) | instid1(VALU_DEP_1)
	v_mul_f32_e32 v5, 0x7800000, v5
	v_cndmask_b32_e32 v4, v5, v9, vcc_lo
	s_delay_alu instid0(VALU_DEP_1) | instskip(NEXT) | instid1(VALU_DEP_1)
	v_and_or_b32 v1, 0x80000000, v1, v4
	v_cvt_i32_f32_e32 v10, v1
.LBB23_2675:
	s_mov_b32 s9, 0
	s_mov_b32 s10, -1
.LBB23_2676:
	s_and_not1_b32 vcc_lo, exec_lo, s9
	s_mov_b32 s9, 0
	s_cbranch_vccnz .LBB23_2687
; %bb.2677:
	s_cmp_gt_i32 s8, 14
	s_cbranch_scc0 .LBB23_2680
; %bb.2678:
	s_cmp_eq_u32 s8, 15
	s_cbranch_scc0 .LBB23_2683
; %bb.2679:
	global_load_u16 v1, v[6:7], off
	s_mov_b32 s7, 0
	s_mov_b32 s10, -1
	s_wait_loadcnt 0x0
	v_lshlrev_b32_e32 v1, 16, v1
	s_delay_alu instid0(VALU_DEP_1)
	v_cvt_i32_f32_e32 v10, v1
	s_branch .LBB23_2685
.LBB23_2680:
	s_mov_b32 s9, -1
	s_branch .LBB23_2684
.LBB23_2681:
	s_and_not1_saveexec_b32 s9, s9
	s_cbranch_execz .LBB23_2662
.LBB23_2682:
	v_cmp_ne_u16_e32 vcc_lo, 0, v1
	s_and_not1_b32 s4, s10, exec_lo
	s_and_b32 s5, vcc_lo, exec_lo
	s_delay_alu instid0(SALU_CYCLE_1)
	s_or_b32 s10, s4, s5
	s_or_b32 exec_lo, exec_lo, s9
	v_mov_b32_e32 v10, 0
	s_and_saveexec_b32 s9, s10
	s_cbranch_execnz .LBB23_2663
	s_branch .LBB23_2664
.LBB23_2683:
	s_mov_b32 s7, -1
.LBB23_2684:
                                        ; implicit-def: $vgpr10
.LBB23_2685:
	s_and_b32 vcc_lo, exec_lo, s9
	s_mov_b32 s9, 0
	s_cbranch_vccz .LBB23_2687
; %bb.2686:
	s_cmp_lg_u32 s8, 11
	s_mov_b32 s9, -1
	s_cselect_b32 s4, -1, 0
	s_and_not1_b32 s5, s7, exec_lo
	s_and_b32 s4, s4, exec_lo
	s_delay_alu instid0(SALU_CYCLE_1)
	s_or_b32 s7, s5, s4
.LBB23_2687:
	s_mov_b32 s11, 0
.LBB23_2688:
	s_and_not1_b32 s4, s80, exec_lo
	s_and_b32 s5, s7, exec_lo
	s_and_b32 s8, s10, exec_lo
	;; [unrolled: 1-line block ×4, first 2 shown]
	s_or_b32 s80, s4, s5
	s_wait_xcnt 0x0
	s_or_b32 exec_lo, exec_lo, s6
	s_and_saveexec_b32 s6, s80
	s_cbranch_execz .LBB23_2621
.LBB23_2689:
	s_or_b32 s1, s1, exec_lo
	s_and_not1_b32 s7, s7, exec_lo
	s_trap 2
	s_or_b32 exec_lo, exec_lo, s6
	s_and_saveexec_b32 s4, s7
	s_delay_alu instid0(SALU_CYCLE_1)
	s_xor_b32 s6, exec_lo, s4
	s_cbranch_execnz .LBB23_2622
.LBB23_2690:
	s_or_b32 exec_lo, exec_lo, s6
	s_and_saveexec_b32 s6, s10
	s_cbranch_execz .LBB23_2736
.LBB23_2691:
	s_sext_i32_i16 s7, s0
	s_delay_alu instid0(SALU_CYCLE_1)
	s_cmp_lt_i32 s7, 5
	s_cbranch_scc1 .LBB23_2696
; %bb.2692:
	s_cmp_lt_i32 s7, 8
	s_cbranch_scc1 .LBB23_2697
; %bb.2693:
	;; [unrolled: 3-line block ×3, first 2 shown]
	s_cmp_gt_i32 s7, 9
	s_cbranch_scc0 .LBB23_2699
; %bb.2695:
	s_wait_loadcnt 0x0
	global_load_b64 v[4:5], v[6:7], off
	s_mov_b32 s7, 0
	s_wait_loadcnt 0x0
	v_cvt_i32_f64_e32 v10, v[4:5]
	s_branch .LBB23_2700
.LBB23_2696:
                                        ; implicit-def: $vgpr10
	s_branch .LBB23_2717
.LBB23_2697:
                                        ; implicit-def: $vgpr10
	s_branch .LBB23_2706
.LBB23_2698:
	s_mov_b32 s7, -1
                                        ; implicit-def: $vgpr10
	s_branch .LBB23_2703
.LBB23_2699:
	s_mov_b32 s7, -1
                                        ; implicit-def: $vgpr10
.LBB23_2700:
	s_delay_alu instid0(SALU_CYCLE_1)
	s_and_not1_b32 vcc_lo, exec_lo, s7
	s_cbranch_vccnz .LBB23_2702
; %bb.2701:
	s_wait_loadcnt 0x0
	global_load_b32 v1, v[6:7], off
	s_wait_loadcnt 0x0
	v_cvt_i32_f32_e32 v10, v1
.LBB23_2702:
	s_mov_b32 s7, 0
.LBB23_2703:
	s_delay_alu instid0(SALU_CYCLE_1)
	s_and_not1_b32 vcc_lo, exec_lo, s7
	s_cbranch_vccnz .LBB23_2705
; %bb.2704:
	s_wait_loadcnt 0x0
	global_load_b32 v1, v[6:7], off
	s_wait_loadcnt 0x0
	v_cvt_f32_f16_e32 v1, v1
	s_delay_alu instid0(VALU_DEP_1)
	v_cvt_i32_f32_e32 v10, v1
.LBB23_2705:
	s_cbranch_execnz .LBB23_2716
.LBB23_2706:
	s_sext_i32_i16 s7, s0
	s_delay_alu instid0(SALU_CYCLE_1)
	s_cmp_lt_i32 s7, 6
	s_cbranch_scc1 .LBB23_2709
; %bb.2707:
	s_cmp_gt_i32 s7, 6
	s_cbranch_scc0 .LBB23_2710
; %bb.2708:
	s_wait_loadcnt 0x0
	global_load_b64 v[4:5], v[6:7], off
	s_mov_b32 s7, 0
	s_wait_loadcnt 0x0
	v_cvt_i32_f64_e32 v10, v[4:5]
	s_branch .LBB23_2711
.LBB23_2709:
	s_mov_b32 s7, -1
                                        ; implicit-def: $vgpr10
	s_branch .LBB23_2714
.LBB23_2710:
	s_mov_b32 s7, -1
                                        ; implicit-def: $vgpr10
.LBB23_2711:
	s_delay_alu instid0(SALU_CYCLE_1)
	s_and_not1_b32 vcc_lo, exec_lo, s7
	s_cbranch_vccnz .LBB23_2713
; %bb.2712:
	s_wait_loadcnt 0x0
	global_load_b32 v1, v[6:7], off
	s_wait_loadcnt 0x0
	v_cvt_i32_f32_e32 v10, v1
.LBB23_2713:
	s_mov_b32 s7, 0
.LBB23_2714:
	s_delay_alu instid0(SALU_CYCLE_1)
	s_and_not1_b32 vcc_lo, exec_lo, s7
	s_cbranch_vccnz .LBB23_2716
; %bb.2715:
	s_wait_loadcnt 0x0
	global_load_u16 v1, v[6:7], off
	s_wait_loadcnt 0x0
	v_cvt_f32_f16_e32 v1, v1
	s_delay_alu instid0(VALU_DEP_1)
	v_cvt_i32_f32_e32 v10, v1
.LBB23_2716:
	s_cbranch_execnz .LBB23_2735
.LBB23_2717:
	s_sext_i32_i16 s7, s0
	s_delay_alu instid0(SALU_CYCLE_1)
	s_cmp_lt_i32 s7, 2
	s_cbranch_scc1 .LBB23_2721
; %bb.2718:
	s_cmp_lt_i32 s7, 3
	s_cbranch_scc1 .LBB23_2722
; %bb.2719:
	s_cmp_gt_i32 s7, 3
	s_cbranch_scc0 .LBB23_2723
; %bb.2720:
	s_wait_loadcnt 0x0
	global_load_b32 v10, v[6:7], off
	s_mov_b32 s7, 0
	s_branch .LBB23_2724
.LBB23_2721:
                                        ; implicit-def: $vgpr10
	s_branch .LBB23_2730
.LBB23_2722:
	s_mov_b32 s7, -1
                                        ; implicit-def: $vgpr10
	s_branch .LBB23_2727
.LBB23_2723:
	s_mov_b32 s7, -1
                                        ; implicit-def: $vgpr10
.LBB23_2724:
	s_delay_alu instid0(SALU_CYCLE_1)
	s_and_not1_b32 vcc_lo, exec_lo, s7
	s_cbranch_vccnz .LBB23_2726
; %bb.2725:
	s_wait_loadcnt 0x0
	global_load_b32 v10, v[6:7], off
.LBB23_2726:
	s_mov_b32 s7, 0
.LBB23_2727:
	s_delay_alu instid0(SALU_CYCLE_1)
	s_and_not1_b32 vcc_lo, exec_lo, s7
	s_cbranch_vccnz .LBB23_2729
; %bb.2728:
	s_wait_loadcnt 0x0
	global_load_i16 v10, v[6:7], off
.LBB23_2729:
	s_cbranch_execnz .LBB23_2735
.LBB23_2730:
	s_sext_i32_i16 s0, s0
	s_delay_alu instid0(SALU_CYCLE_1)
	s_cmp_gt_i32 s0, 0
	s_mov_b32 s0, 0
	s_cbranch_scc0 .LBB23_2732
; %bb.2731:
	s_wait_loadcnt 0x0
	global_load_i8 v10, v[6:7], off
	s_branch .LBB23_2733
.LBB23_2732:
	s_mov_b32 s0, -1
                                        ; implicit-def: $vgpr10
.LBB23_2733:
	s_delay_alu instid0(SALU_CYCLE_1)
	s_and_not1_b32 vcc_lo, exec_lo, s0
	s_cbranch_vccnz .LBB23_2735
; %bb.2734:
	s_wait_loadcnt 0x0
	global_load_u8 v10, v[6:7], off
.LBB23_2735:
	s_or_b32 s8, s8, exec_lo
.LBB23_2736:
	s_wait_xcnt 0x0
	s_or_b32 exec_lo, exec_lo, s6
	s_mov_b32 s0, 0
	s_and_saveexec_b32 s4, s8
	s_delay_alu instid0(SALU_CYCLE_1)
	s_xor_b32 s6, exec_lo, s4
	s_cbranch_execz .LBB23_2738
; %bb.2737:
	s_wait_loadcnt 0x0
	v_cmp_ne_u32_e32 vcc_lo, s38, v3
	s_xor_b32 s4, s66, -1
	s_and_not1_b32 s5, s79, exec_lo
	s_mov_b32 s0, exec_lo
	s_or_b32 s4, s4, vcc_lo
	s_delay_alu instid0(SALU_CYCLE_1) | instskip(NEXT) | instid1(SALU_CYCLE_1)
	s_and_b32 s4, s4, exec_lo
	s_or_b32 s79, s5, s4
.LBB23_2738:
	s_or_b32 exec_lo, exec_lo, s6
	s_and_saveexec_b32 s6, s79
	s_cbranch_execnz .LBB23_2775
.LBB23_2739:
	s_or_b32 exec_lo, exec_lo, s6
	s_mov_b32 s7, 0
	s_and_saveexec_b32 s4, s0
	s_delay_alu instid0(SALU_CYCLE_1)
	s_xor_b32 s0, exec_lo, s4
	s_cbranch_execz .LBB23_2741
; %bb.2740:
	s_wait_loadcnt 0x0
	v_cmp_ne_u32_e32 vcc_lo, s70, v12
	s_xor_b32 s4, s45, -1
	s_and_not1_b32 s5, s78, exec_lo
	s_mov_b32 s7, exec_lo
	s_or_b32 s4, s4, vcc_lo
	s_delay_alu instid0(SALU_CYCLE_1) | instskip(NEXT) | instid1(SALU_CYCLE_1)
	s_and_b32 s4, s4, exec_lo
	s_or_b32 s78, s5, s4
.LBB23_2741:
	s_or_b32 exec_lo, exec_lo, s0
	s_and_saveexec_b32 s0, s78
	s_cbranch_execnz .LBB23_2776
.LBB23_2742:
	s_or_b32 exec_lo, exec_lo, s0
	s_mov_b32 s6, 0
	s_and_saveexec_b32 s0, s7
	s_delay_alu instid0(SALU_CYCLE_1)
	s_xor_b32 s7, exec_lo, s0
	s_cbranch_execz .LBB23_2754
; %bb.2743:
	s_wait_loadcnt 0x0
	v_sub_nc_u32_e32 v1, v8, v0
	s_and_not1_b32 s4, s77, exec_lo
	s_mov_b32 s6, exec_lo
	s_delay_alu instid0(VALU_DEP_1) | instskip(SKIP_2) | instid1(SALU_CYCLE_1)
	v_cmp_le_i32_e32 vcc_lo, s38, v1
	v_cmp_ge_i32_e64 s0, s68, v1
	s_and_b32 s0, vcc_lo, s0
	s_and_b32 s0, s16, s0
	s_delay_alu instid0(SALU_CYCLE_1) | instskip(NEXT) | instid1(SALU_CYCLE_1)
	s_xor_b32 s0, s0, -1
	s_and_b32 s0, s0, exec_lo
	s_delay_alu instid0(SALU_CYCLE_1)
	s_or_b32 s77, s4, s0
	s_or_b32 exec_lo, exec_lo, s7
	s_and_saveexec_b32 s0, s77
	s_cbranch_execz .LBB23_2755
.LBB23_2744:
	s_or_b32 s1, s1, exec_lo
	s_and_not1_b32 s6, s6, exec_lo
	s_trap 2
	s_or_b32 exec_lo, exec_lo, s0
	s_mov_b32 s8, 0
	s_and_saveexec_b32 s16, s6
	s_cbranch_execnz .LBB23_2756
.LBB23_2745:
	s_or_b32 exec_lo, exec_lo, s16
	s_and_saveexec_b32 s0, s61
	s_cbranch_execnz .LBB23_2774
.LBB23_2746:
	s_or_b32 exec_lo, exec_lo, s0
	s_mov_b32 s9, 0
	s_mov_b32 s7, 0
                                        ; implicit-def: $sgpr0
                                        ; implicit-def: $vgpr0_vgpr1
	s_and_saveexec_b32 s6, s8
	s_cbranch_execz .LBB23_2763
; %bb.2747:
	s_load_b256 s[8:15], s[2:3], 0x248
	s_wait_loadcnt 0x0
	v_mov_b32_e32 v3, 0
	s_and_b32 s0, s22, 0xff
	s_delay_alu instid0(SALU_CYCLE_1) | instskip(SKIP_1) | instid1(VALU_DEP_1)
	s_cmp_lt_i32 s0, 11
	s_wait_kmcnt 0x0
	v_add_nc_u64_e32 v[0:1], s[8:9], v[2:3]
	s_cbranch_scc1 .LBB23_2771
; %bb.2748:
	s_and_b32 s5, 0xffff, s0
	s_mov_b32 s7, -1
	s_cmp_gt_i32 s5, 25
	s_mov_b32 s4, s60
	s_cbranch_scc0 .LBB23_2796
; %bb.2749:
	s_cmp_gt_i32 s5, 28
	s_mov_b32 s4, s60
	s_cbranch_scc0 .LBB23_2786
; %bb.2750:
	;; [unrolled: 4-line block ×4, first 2 shown]
	s_cmp_eq_u32 s5, 46
	s_mov_b32 s4, -1
	s_cbranch_scc0 .LBB23_2777
; %bb.2753:
	v_mov_b32_e32 v2, 0
	s_mov_b32 s4, 0
	s_mov_b32 s7, 0
	global_store_b32 v[0:1], v2, off
	s_branch .LBB23_2778
.LBB23_2754:
	s_or_b32 exec_lo, exec_lo, s7
	s_and_saveexec_b32 s0, s77
	s_cbranch_execnz .LBB23_2744
.LBB23_2755:
	s_or_b32 exec_lo, exec_lo, s0
	s_mov_b32 s8, 0
	s_and_saveexec_b32 s16, s6
	s_cbranch_execz .LBB23_2745
.LBB23_2756:
	v_mov_b64_e32 v[4:5], 0
	s_and_not1_b32 vcc_lo, exec_lo, s17
	s_cbranch_vccnz .LBB23_2766
; %bb.2757:
	s_wait_loadcnt 0x0
	v_dual_mov_b32 v6, 0 :: v_dual_ashrrev_i32 v11, 31, v10
	s_mov_b32 s35, 0
	v_mov_b64_e32 v[4:5], 0
	s_lshl_b64 s[4:5], s[34:35], 3
	s_delay_alu instid0(VALU_DEP_2)
	v_mul_u64_e32 v[10:11], s[70:71], v[10:11]
	s_add_nc_u64 s[4:5], s[2:3], s[4:5]
	s_mov_b64 s[6:7], 0xffffffff
	s_add_nc_u64 s[8:9], s[4:5], 0x298
	s_branch .LBB23_2759
.LBB23_2758:                            ;   in Loop: Header=BB23_2759 Depth=1
	s_or_b32 exec_lo, exec_lo, s0
	s_delay_alu instid0(VALU_DEP_1)
	v_mul_u64_e32 v[14:15], s[10:11], v[12:13]
	s_load_b64 s[4:5], s[8:9], 0x40
	s_add_co_i32 s25, s25, -1
	s_wait_xcnt 0x0
	s_add_nc_u64 s[8:9], s[8:9], -8
	s_cmp_lg_u32 s25, 0
	s_delay_alu instid0(VALU_DEP_1) | instskip(SKIP_1) | instid1(VALU_DEP_1)
	v_sub_nc_u64_e32 v[10:11], v[10:11], v[14:15]
	s_wait_kmcnt 0x0
	v_mad_nc_u64_u32 v[4:5], v10, s4, v[4:5]
	s_delay_alu instid0(VALU_DEP_1) | instskip(NEXT) | instid1(VALU_DEP_1)
	v_mad_u32 v1, v11, s4, v5
	v_mad_u32 v5, v10, s5, v1
	v_mov_b64_e32 v[10:11], v[12:13]
	s_cbranch_scc0 .LBB23_2766
.LBB23_2759:                            ; =>This Inner Loop Header: Depth=1
	s_load_b64 s[10:11], s[8:9], 0x0
                                        ; implicit-def: $vgpr12_vgpr13
	s_mov_b32 s0, exec_lo
	s_wait_kmcnt 0x0
	s_delay_alu instid0(VALU_DEP_1) | instskip(NEXT) | instid1(VALU_DEP_1)
	v_or_b32_e32 v7, s11, v11
	v_cmpx_ne_u64_e32 0, v[6:7]
	s_xor_b32 s17, exec_lo, s0
	s_cbranch_execz .LBB23_2761
; %bb.2760:                             ;   in Loop: Header=BB23_2759 Depth=1
	s_ashr_i32 s12, s11, 31
	v_dual_mov_b32 v17, v6 :: v_dual_ashrrev_i32 v12, 31, v11
	s_mov_b32 s13, s12
	s_delay_alu instid0(SALU_CYCLE_1) | instskip(NEXT) | instid1(VALU_DEP_1)
	s_add_nc_u64 s[4:5], s[10:11], s[12:13]
	v_mov_b32_e32 v13, v12
	s_xor_b64 s[14:15], s[4:5], s[12:13]
	s_delay_alu instid0(SALU_CYCLE_1)
	s_cvt_f32_u32 s0, s14
	s_cvt_f32_u32 s4, s15
	s_sub_nc_u64 s[18:19], 0, s[14:15]
	v_add_nc_u64_e32 v[14:15], v[10:11], v[12:13]
	v_mov_b32_e32 v21, v6
	s_fmamk_f32 s0, s4, 0x4f800000, s0
	s_delay_alu instid0(SALU_CYCLE_3) | instskip(NEXT) | instid1(VALU_DEP_2)
	v_s_rcp_f32 s0, s0
	v_xor_b32_e32 v16, v14, v12
	s_delay_alu instid0(VALU_DEP_3) | instskip(NEXT) | instid1(TRANS32_DEP_1)
	v_dual_mov_b32 v25, v6 :: v_dual_bitop2_b32 v20, v15, v12 bitop3:0x14
	s_mul_f32 s0, s0, 0x5f7ffffc
	s_delay_alu instid0(SALU_CYCLE_3) | instskip(NEXT) | instid1(SALU_CYCLE_3)
	s_mul_f32 s4, s0, 0x2f800000
	s_trunc_f32 s4, s4
	s_delay_alu instid0(SALU_CYCLE_3) | instskip(SKIP_1) | instid1(SALU_CYCLE_2)
	s_fmamk_f32 s0, s4, 0xcf800000, s0
	s_cvt_u32_f32 s5, s4
	s_cvt_u32_f32 s4, s0
	s_delay_alu instid0(SALU_CYCLE_3) | instskip(NEXT) | instid1(SALU_CYCLE_1)
	s_mul_u64 s[26:27], s[18:19], s[4:5]
	s_mul_hi_u32 s29, s4, s27
	s_mul_i32 s28, s4, s27
	s_mul_hi_u32 s34, s4, s26
	s_mul_i32 s13, s5, s26
	s_add_nc_u64 s[28:29], s[34:35], s[28:29]
	s_mul_hi_u32 s0, s5, s26
	s_mul_hi_u32 s23, s5, s27
	s_add_co_u32 s13, s28, s13
	s_add_co_ci_u32 s34, s29, s0
	s_mul_i32 s26, s5, s27
	s_add_co_ci_u32 s27, s23, 0
	s_delay_alu instid0(SALU_CYCLE_1) | instskip(NEXT) | instid1(SALU_CYCLE_1)
	s_add_nc_u64 s[26:27], s[34:35], s[26:27]
	s_add_co_u32 s4, s4, s26
	s_cselect_b32 s0, -1, 0
	s_delay_alu instid0(SALU_CYCLE_1) | instskip(SKIP_1) | instid1(SALU_CYCLE_1)
	s_cmp_lg_u32 s0, 0
	s_add_co_ci_u32 s5, s5, s27
	s_mul_u64 s[18:19], s[18:19], s[4:5]
	s_delay_alu instid0(SALU_CYCLE_1)
	s_mul_hi_u32 s27, s4, s19
	s_mul_i32 s26, s4, s19
	s_mul_hi_u32 s34, s4, s18
	s_mul_i32 s13, s5, s18
	s_add_nc_u64 s[26:27], s[34:35], s[26:27]
	s_mul_hi_u32 s0, s5, s18
	s_mul_hi_u32 s23, s5, s19
	s_add_co_u32 s13, s26, s13
	s_add_co_ci_u32 s34, s27, s0
	s_mul_i32 s18, s5, s19
	s_add_co_ci_u32 s19, s23, 0
	s_delay_alu instid0(SALU_CYCLE_1) | instskip(NEXT) | instid1(SALU_CYCLE_1)
	s_add_nc_u64 s[18:19], s[34:35], s[18:19]
	s_add_co_u32 s0, s4, s18
	s_cselect_b32 s4, -1, 0
	v_mul_hi_u32 v24, v16, s0
	s_cmp_lg_u32 s4, 0
	s_add_co_ci_u32 s34, s5, s19
	s_and_b64 s[4:5], s[0:1], s[6:7]
	v_mul_u64_e32 v[18:19], s[34:35], v[16:17]
	v_mul_u64_e32 v[14:15], s[4:5], v[20:21]
	;; [unrolled: 1-line block ×3, first 2 shown]
	s_delay_alu instid0(VALU_DEP_3) | instskip(NEXT) | instid1(VALU_DEP_1)
	v_add_nc_u64_e32 v[18:19], v[24:25], v[18:19]
	v_add_co_u32 v1, vcc_lo, v18, v14
	s_delay_alu instid0(VALU_DEP_2) | instskip(NEXT) | instid1(VALU_DEP_4)
	v_add_co_ci_u32_e32 v24, vcc_lo, v19, v15, vcc_lo
	v_add_co_ci_u32_e32 v23, vcc_lo, 0, v23, vcc_lo
	s_delay_alu instid0(VALU_DEP_1) | instskip(NEXT) | instid1(VALU_DEP_1)
	v_add_nc_u64_e32 v[14:15], v[24:25], v[22:23]
	v_mul_u64_e32 v[18:19], s[14:15], v[14:15]
	s_delay_alu instid0(VALU_DEP_1) | instskip(NEXT) | instid1(VALU_DEP_2)
	v_sub_nc_u32_e32 v1, v20, v19
	v_sub_co_u32 v3, vcc_lo, v16, v18
	s_delay_alu instid0(VALU_DEP_1) | instskip(NEXT) | instid1(VALU_DEP_3)
	v_sub_co_ci_u32_e64 v9, null, v20, v19, vcc_lo
	v_subrev_co_ci_u32_e64 v1, null, s15, v1, vcc_lo
	s_delay_alu instid0(VALU_DEP_3) | instskip(SKIP_1) | instid1(VALU_DEP_3)
	v_sub_co_u32 v7, s0, v3, s14
	v_add_nc_u64_e32 v[16:17], 2, v[14:15]
	v_subrev_co_ci_u32_e64 v1, null, 0, v1, s0
	s_delay_alu instid0(VALU_DEP_3) | instskip(SKIP_2) | instid1(VALU_DEP_4)
	v_cmp_le_u32_e32 vcc_lo, s14, v7
	v_add_nc_u64_e32 v[18:19], 1, v[14:15]
	v_cndmask_b32_e64 v7, 0, -1, vcc_lo
	v_cmp_le_u32_e32 vcc_lo, s15, v1
	v_cndmask_b32_e64 v13, 0, -1, vcc_lo
	v_cmp_le_u32_e32 vcc_lo, s14, v3
	;; [unrolled: 2-line block ×3, first 2 shown]
	v_cndmask_b32_e64 v20, 0, -1, vcc_lo
	v_cmp_eq_u32_e32 vcc_lo, s15, v1
	v_cndmask_b32_e32 v1, v13, v7, vcc_lo
	v_cmp_eq_u32_e32 vcc_lo, s15, v9
	s_delay_alu instid0(VALU_DEP_4) | instskip(NEXT) | instid1(VALU_DEP_3)
	v_cndmask_b32_e32 v3, v20, v3, vcc_lo
	v_cmp_ne_u32_e32 vcc_lo, 0, v1
	v_cndmask_b32_e32 v1, v19, v17, vcc_lo
	s_delay_alu instid0(VALU_DEP_3) | instskip(SKIP_1) | instid1(VALU_DEP_2)
	v_cmp_ne_u32_e64 s0, 0, v3
	v_cndmask_b32_e32 v3, v18, v16, vcc_lo
	v_dual_cndmask_b32 v1, v15, v1, s0 :: v_dual_bitop2_b32 v12, s12, v12 bitop3:0x14
	s_delay_alu instid0(VALU_DEP_1) | instskip(NEXT) | instid1(VALU_DEP_2)
	v_dual_cndmask_b32 v3, v14, v3, s0 :: v_dual_mov_b32 v13, v12
	v_xor_b32_e32 v15, v1, v12
	s_delay_alu instid0(VALU_DEP_2) | instskip(NEXT) | instid1(VALU_DEP_1)
	v_xor_b32_e32 v14, v3, v12
	v_sub_nc_u64_e32 v[12:13], v[14:15], v[12:13]
.LBB23_2761:                            ;   in Loop: Header=BB23_2759 Depth=1
	s_and_not1_saveexec_b32 s0, s17
	s_cbranch_execz .LBB23_2758
; %bb.2762:                             ;   in Loop: Header=BB23_2759 Depth=1
	v_cvt_f32_u32_e32 v1, s10
	s_sub_co_i32 s4, 0, s10
	v_mov_b32_e32 v13, v6
	s_delay_alu instid0(VALU_DEP_2) | instskip(SKIP_1) | instid1(TRANS32_DEP_1)
	v_rcp_iflag_f32_e32 v1, v1
	v_nop
	v_mul_f32_e32 v1, 0x4f7ffffe, v1
	s_delay_alu instid0(VALU_DEP_1) | instskip(NEXT) | instid1(VALU_DEP_1)
	v_cvt_u32_f32_e32 v1, v1
	v_mul_lo_u32 v3, s4, v1
	s_delay_alu instid0(VALU_DEP_1) | instskip(NEXT) | instid1(VALU_DEP_1)
	v_mul_hi_u32 v3, v1, v3
	v_add_nc_u32_e32 v1, v1, v3
	s_delay_alu instid0(VALU_DEP_1) | instskip(NEXT) | instid1(VALU_DEP_1)
	v_mul_hi_u32 v1, v10, v1
	v_mul_lo_u32 v3, v1, s10
	s_delay_alu instid0(VALU_DEP_1) | instskip(NEXT) | instid1(VALU_DEP_1)
	v_dual_add_nc_u32 v7, 1, v1 :: v_dual_sub_nc_u32 v3, v10, v3
	v_subrev_nc_u32_e32 v9, s10, v3
	v_cmp_le_u32_e32 vcc_lo, s10, v3
	s_delay_alu instid0(VALU_DEP_2) | instskip(NEXT) | instid1(VALU_DEP_1)
	v_dual_cndmask_b32 v3, v3, v9, vcc_lo :: v_dual_cndmask_b32 v1, v1, v7, vcc_lo
	v_cmp_le_u32_e32 vcc_lo, s10, v3
	s_delay_alu instid0(VALU_DEP_2) | instskip(NEXT) | instid1(VALU_DEP_1)
	v_add_nc_u32_e32 v7, 1, v1
	v_cndmask_b32_e32 v12, v1, v7, vcc_lo
	s_branch .LBB23_2758
.LBB23_2763:
	s_or_b32 exec_lo, exec_lo, s6
	s_and_saveexec_b32 s4, s60
	s_cbranch_execnz .LBB23_2816
.LBB23_2764:
	s_or_b32 exec_lo, exec_lo, s4
	s_and_saveexec_b32 s4, s9
	s_delay_alu instid0(SALU_CYCLE_1)
	s_xor_b32 s4, exec_lo, s4
	s_cbranch_execz .LBB23_2817
.LBB23_2765:
	v_mov_b32_e32 v2, 0
	s_wait_loadcnt 0x0
	global_store_b8 v[0:1], v2, off
	s_wait_xcnt 0x0
	s_or_b32 exec_lo, exec_lo, s4
	s_and_saveexec_b32 s4, s7
	s_delay_alu instid0(SALU_CYCLE_1)
	s_xor_b32 s4, exec_lo, s4
	s_cbranch_execz .LBB23_2855
	s_branch .LBB23_2818
.LBB23_2766:
	s_mov_b32 s6, s61
	s_mov_b32 s0, exec_lo
	s_wait_loadcnt 0x0
	v_cmpx_gt_i32_e64 v8, v0
	s_cbranch_execz .LBB23_2773
; %bb.2767:
	s_delay_alu instid0(VALU_DEP_2) | instskip(SKIP_4) | instid1(VALU_DEP_2)
	v_lshlrev_b64_e32 v[4:5], 2, v[4:5]
	v_ashrrev_i32_e32 v1, 31, v0
	v_ashrrev_i32_e32 v9, 31, v8
	s_mov_b32 s6, 0
	s_xor_b32 s8, s39, -1
                                        ; implicit-def: $sgpr7
                                        ; implicit-def: $sgpr10
                                        ; implicit-def: $sgpr9
	v_lshl_add_u64 v[0:1], v[0:1], 2, v[4:5]
	v_add_nc_u64_e32 v[4:5], s[20:21], v[4:5]
	s_delay_alu instid0(VALU_DEP_2) | instskip(NEXT) | instid1(VALU_DEP_2)
	v_add_nc_u64_e32 v[0:1], s[20:21], v[0:1]
	v_lshl_add_u64 v[4:5], v[8:9], 2, v[4:5]
	s_delay_alu instid0(VALU_DEP_2)
	v_add_nc_u64_e32 v[0:1], 4, v[0:1]
	s_branch .LBB23_2769
.LBB23_2768:                            ;   in Loop: Header=BB23_2769 Depth=1
	s_or_b32 exec_lo, exec_lo, s11
	s_xor_b32 s4, s9, -1
	s_and_b32 s5, exec_lo, s10
	s_delay_alu instid0(SALU_CYCLE_1) | instskip(SKIP_2) | instid1(SALU_CYCLE_1)
	s_or_b32 s6, s5, s6
	s_and_not1_b32 s5, s7, exec_lo
	s_and_b32 s4, s4, exec_lo
	s_or_b32 s7, s5, s4
	s_and_not1_b32 exec_lo, exec_lo, s6
	s_cbranch_execz .LBB23_2772
.LBB23_2769:                            ; =>This Inner Loop Header: Depth=1
	s_or_b32 s9, s9, exec_lo
	s_or_b32 s10, s10, exec_lo
	s_mov_b32 s11, exec_lo
	s_delay_alu instid0(VALU_DEP_1)
	v_cmpx_lt_u64_e64 v[0:1], v[4:5]
	s_cbranch_execz .LBB23_2768
; %bb.2770:                             ;   in Loop: Header=BB23_2769 Depth=1
	global_load_b64 v[6:7], v[0:1], off offset:-4
	s_wait_xcnt 0x0
	v_add_nc_u64_e32 v[0:1], 4, v[0:1]
	s_and_not1_b32 s5, s10, exec_lo
	s_and_not1_b32 s9, s9, exec_lo
	s_wait_loadcnt 0x0
	v_cmp_ge_i32_e32 vcc_lo, v6, v7
	s_or_b32 s4, s8, vcc_lo
	s_delay_alu instid0(SALU_CYCLE_1) | instskip(NEXT) | instid1(SALU_CYCLE_1)
	s_and_b32 s4, s4, exec_lo
	s_or_b32 s10, s5, s4
	s_branch .LBB23_2768
.LBB23_2771:
	s_mov_b32 s8, 0
	s_mov_b32 s7, -1
	s_mov_b32 s4, s60
	s_branch .LBB23_2815
.LBB23_2772:
	s_or_b32 exec_lo, exec_lo, s6
	s_delay_alu instid0(SALU_CYCLE_1) | instskip(SKIP_1) | instid1(SALU_CYCLE_1)
	s_and_not1_b32 s4, s61, exec_lo
	s_and_b32 s5, s7, exec_lo
	s_or_b32 s6, s4, s5
.LBB23_2773:
	s_or_b32 exec_lo, exec_lo, s0
	s_delay_alu instid0(SALU_CYCLE_1)
	s_and_not1_b32 s0, s61, exec_lo
	s_and_b32 s4, s6, exec_lo
	s_mov_b32 s8, exec_lo
	s_or_b32 s61, s0, s4
	s_or_b32 exec_lo, exec_lo, s16
	s_and_saveexec_b32 s0, s61
	s_cbranch_execz .LBB23_2746
.LBB23_2774:
	s_or_b32 s1, s1, exec_lo
	s_and_not1_b32 s8, s8, exec_lo
	s_trap 2
	s_branch .LBB23_2746
.LBB23_2775:
	s_or_b32 s1, s1, exec_lo
	s_and_not1_b32 s0, s0, exec_lo
	s_trap 2
	s_branch .LBB23_2739
.LBB23_2776:
	s_or_b32 s1, s1, exec_lo
	s_and_not1_b32 s7, s7, exec_lo
	s_trap 2
	s_branch .LBB23_2742
.LBB23_2777:
	s_mov_b32 s7, 0
.LBB23_2778:
	s_delay_alu instid0(SALU_CYCLE_1)
	s_and_b32 vcc_lo, exec_lo, s7
	s_cbranch_vccz .LBB23_2781
; %bb.2779:
	s_cmp_eq_u32 s5, 44
	s_mov_b32 s4, -1
	s_cbranch_scc0 .LBB23_2781
; %bb.2780:
	s_wait_xcnt 0x0
	v_mov_b32_e32 v2, 0
	s_mov_b32 s4, 0
	s_mov_b32 s7, 0
	global_store_b8 v[0:1], v2, off
	s_branch .LBB23_2782
.LBB23_2781:
	s_mov_b32 s7, 0
.LBB23_2782:
	s_delay_alu instid0(SALU_CYCLE_1)
	s_and_b32 vcc_lo, exec_lo, s7
	s_cbranch_vccz .LBB23_2785
; %bb.2783:
	s_cmp_eq_u32 s5, 29
	s_mov_b32 s4, -1
	s_cbranch_scc0 .LBB23_2785
; %bb.2784:
	s_wait_xcnt 0x0
	v_mov_b64_e32 v[2:3], 0
	s_mov_b32 s4, 0
	s_mov_b32 s7, 0
	global_store_b64 v[0:1], v[2:3], off
	s_branch .LBB23_2786
.LBB23_2785:
	s_mov_b32 s7, 0
.LBB23_2786:
	s_delay_alu instid0(SALU_CYCLE_1)
	s_and_b32 vcc_lo, exec_lo, s7
	s_cbranch_vccz .LBB23_2795
; %bb.2787:
	s_cmp_lt_i32 s5, 27
	s_mov_b32 s7, -1
	s_cbranch_scc1 .LBB23_2793
; %bb.2788:
	s_cmp_gt_i32 s5, 27
	s_cbranch_scc0 .LBB23_2790
; %bb.2789:
	s_wait_xcnt 0x0
	v_mov_b32_e32 v2, 0
	s_mov_b32 s7, 0
	global_store_b32 v[0:1], v2, off
.LBB23_2790:
	s_and_not1_b32 vcc_lo, exec_lo, s7
	s_cbranch_vccnz .LBB23_2792
; %bb.2791:
	s_wait_xcnt 0x0
	v_mov_b32_e32 v2, 0
	global_store_b16 v[0:1], v2, off
.LBB23_2792:
	s_mov_b32 s7, 0
.LBB23_2793:
	s_delay_alu instid0(SALU_CYCLE_1)
	s_and_not1_b32 vcc_lo, exec_lo, s7
	s_cbranch_vccnz .LBB23_2795
; %bb.2794:
	s_wait_xcnt 0x0
	v_mov_b32_e32 v2, 0
	global_store_b8 v[0:1], v2, off
.LBB23_2795:
	s_mov_b32 s7, 0
.LBB23_2796:
	s_delay_alu instid0(SALU_CYCLE_1)
	s_and_b32 vcc_lo, exec_lo, s7
	s_mov_b32 s7, 0
	s_cbranch_vccz .LBB23_2814
; %bb.2797:
	s_cmp_gt_i32 s5, 22
	s_mov_b32 s8, -1
	s_cbranch_scc0 .LBB23_2807
; %bb.2798:
	s_cmp_lt_i32 s5, 24
	s_cbranch_scc1 .LBB23_2804
; %bb.2799:
	s_cmp_gt_i32 s5, 24
	s_cbranch_scc0 .LBB23_2801
; %bb.2800:
	s_wait_xcnt 0x0
	v_mov_b32_e32 v2, 0
	s_mov_b32 s8, 0
	global_store_b8 v[0:1], v2, off
.LBB23_2801:
	s_and_not1_b32 vcc_lo, exec_lo, s8
	s_cbranch_vccnz .LBB23_2803
; %bb.2802:
	s_wait_xcnt 0x0
	v_mov_b32_e32 v2, 0
	global_store_b8 v[0:1], v2, off
.LBB23_2803:
	s_mov_b32 s8, 0
.LBB23_2804:
	s_delay_alu instid0(SALU_CYCLE_1)
	s_and_not1_b32 vcc_lo, exec_lo, s8
	s_cbranch_vccnz .LBB23_2806
; %bb.2805:
	s_wait_xcnt 0x0
	v_mov_b32_e32 v2, 0
	global_store_b8 v[0:1], v2, off
.LBB23_2806:
	s_mov_b32 s8, 0
.LBB23_2807:
	s_delay_alu instid0(SALU_CYCLE_1)
	s_and_not1_b32 vcc_lo, exec_lo, s8
	s_mov_b32 s8, 0
	s_cbranch_vccnz .LBB23_2815
; %bb.2808:
	s_cmp_gt_i32 s5, 14
	s_mov_b32 s8, -1
	s_cbranch_scc0 .LBB23_2812
; %bb.2809:
	s_cmp_eq_u32 s5, 15
	s_mov_b32 s4, -1
	s_cbranch_scc0 .LBB23_2811
; %bb.2810:
	s_wait_xcnt 0x0
	v_mov_b32_e32 v2, 0
	s_mov_b32 s4, 0
	global_store_b16 v[0:1], v2, off
.LBB23_2811:
	s_mov_b32 s8, 0
.LBB23_2812:
	s_delay_alu instid0(SALU_CYCLE_1)
	s_and_b32 vcc_lo, exec_lo, s8
	s_mov_b32 s8, 0
	s_cbranch_vccz .LBB23_2815
; %bb.2813:
	s_cmp_lg_u32 s5, 11
	s_mov_b32 s8, -1
	s_cselect_b32 s5, -1, 0
	s_and_not1_b32 s4, s4, exec_lo
	s_and_b32 s5, s5, exec_lo
	s_delay_alu instid0(SALU_CYCLE_1)
	s_or_b32 s4, s4, s5
	s_branch .LBB23_2815
.LBB23_2814:
	s_mov_b32 s8, 0
.LBB23_2815:
	s_and_not1_b32 s5, s60, exec_lo
	s_and_b32 s4, s4, exec_lo
	s_and_b32 s7, s7, exec_lo
	;; [unrolled: 1-line block ×3, first 2 shown]
	s_or_b32 s60, s5, s4
	s_wait_xcnt 0x0
	s_or_b32 exec_lo, exec_lo, s6
	s_and_saveexec_b32 s4, s60
	s_cbranch_execz .LBB23_2764
.LBB23_2816:
	s_or_b32 s1, s1, exec_lo
	s_and_not1_b32 s9, s9, exec_lo
	s_trap 2
	s_or_b32 exec_lo, exec_lo, s4
	s_and_saveexec_b32 s4, s9
	s_delay_alu instid0(SALU_CYCLE_1)
	s_xor_b32 s4, exec_lo, s4
	s_cbranch_execnz .LBB23_2765
.LBB23_2817:
	s_or_b32 exec_lo, exec_lo, s4
	s_and_saveexec_b32 s4, s7
	s_delay_alu instid0(SALU_CYCLE_1)
	s_xor_b32 s4, exec_lo, s4
	s_cbranch_execz .LBB23_2855
.LBB23_2818:
	s_sext_i32_i16 s6, s0
	s_mov_b32 s5, -1
	s_cmp_lt_i32 s6, 5
	s_cbranch_scc1 .LBB23_2839
; %bb.2819:
	s_cmp_lt_i32 s6, 8
	s_cbranch_scc1 .LBB23_2829
; %bb.2820:
	;; [unrolled: 3-line block ×3, first 2 shown]
	s_cmp_gt_i32 s6, 9
	s_cbranch_scc0 .LBB23_2823
; %bb.2822:
	v_mov_b32_e32 v2, 0
	s_mov_b32 s5, 0
	s_wait_loadcnt 0x0
	s_delay_alu instid0(VALU_DEP_1)
	v_dual_mov_b32 v3, v2 :: v_dual_mov_b32 v4, v2
	v_mov_b32_e32 v5, v2
	global_store_b128 v[0:1], v[2:5], off
.LBB23_2823:
	s_and_not1_b32 vcc_lo, exec_lo, s5
	s_cbranch_vccnz .LBB23_2825
; %bb.2824:
	s_wait_loadcnt 0x0
	v_mov_b64_e32 v[2:3], 0
	global_store_b64 v[0:1], v[2:3], off
.LBB23_2825:
	s_mov_b32 s5, 0
.LBB23_2826:
	s_delay_alu instid0(SALU_CYCLE_1)
	s_and_not1_b32 vcc_lo, exec_lo, s5
	s_cbranch_vccnz .LBB23_2828
; %bb.2827:
	s_wait_xcnt 0x0
	v_mov_b32_e32 v2, 0
	s_wait_loadcnt 0x0
	global_store_b32 v[0:1], v2, off
.LBB23_2828:
	s_mov_b32 s5, 0
.LBB23_2829:
	s_delay_alu instid0(SALU_CYCLE_1)
	s_and_not1_b32 vcc_lo, exec_lo, s5
	s_cbranch_vccnz .LBB23_2838
; %bb.2830:
	s_sext_i32_i16 s6, s0
	s_mov_b32 s5, -1
	s_cmp_lt_i32 s6, 6
	s_cbranch_scc1 .LBB23_2836
; %bb.2831:
	s_cmp_gt_i32 s6, 6
	s_cbranch_scc0 .LBB23_2833
; %bb.2832:
	s_wait_loadcnt 0x0
	v_mov_b64_e32 v[2:3], 0
	s_mov_b32 s5, 0
	global_store_b64 v[0:1], v[2:3], off
.LBB23_2833:
	s_and_not1_b32 vcc_lo, exec_lo, s5
	s_cbranch_vccnz .LBB23_2835
; %bb.2834:
	s_wait_xcnt 0x0
	v_mov_b32_e32 v2, 0
	s_wait_loadcnt 0x0
	global_store_b32 v[0:1], v2, off
.LBB23_2835:
	s_mov_b32 s5, 0
.LBB23_2836:
	s_delay_alu instid0(SALU_CYCLE_1)
	s_and_not1_b32 vcc_lo, exec_lo, s5
	s_cbranch_vccnz .LBB23_2838
; %bb.2837:
	s_wait_xcnt 0x0
	v_mov_b32_e32 v2, 0
	s_wait_loadcnt 0x0
	global_store_b16 v[0:1], v2, off
.LBB23_2838:
	s_mov_b32 s5, 0
.LBB23_2839:
	s_delay_alu instid0(SALU_CYCLE_1)
	s_and_not1_b32 vcc_lo, exec_lo, s5
	s_cbranch_vccnz .LBB23_2855
; %bb.2840:
	s_sext_i32_i16 s6, s0
	s_mov_b32 s5, -1
	s_cmp_lt_i32 s6, 2
	s_cbranch_scc1 .LBB23_2850
; %bb.2841:
	s_cmp_lt_i32 s6, 3
	s_cbranch_scc1 .LBB23_2847
; %bb.2842:
	s_cmp_gt_i32 s6, 3
	s_cbranch_scc0 .LBB23_2844
; %bb.2843:
	s_wait_loadcnt 0x0
	v_mov_b64_e32 v[2:3], 0
	s_mov_b32 s5, 0
	global_store_b64 v[0:1], v[2:3], off
.LBB23_2844:
	s_and_not1_b32 vcc_lo, exec_lo, s5
	s_cbranch_vccnz .LBB23_2846
; %bb.2845:
	s_wait_xcnt 0x0
	v_mov_b32_e32 v2, 0
	s_wait_loadcnt 0x0
	global_store_b32 v[0:1], v2, off
.LBB23_2846:
	s_mov_b32 s5, 0
.LBB23_2847:
	s_delay_alu instid0(SALU_CYCLE_1)
	s_and_not1_b32 vcc_lo, exec_lo, s5
	s_cbranch_vccnz .LBB23_2849
; %bb.2848:
	s_wait_xcnt 0x0
	v_mov_b32_e32 v2, 0
	s_wait_loadcnt 0x0
	global_store_b16 v[0:1], v2, off
.LBB23_2849:
	s_mov_b32 s5, 0
.LBB23_2850:
	s_delay_alu instid0(SALU_CYCLE_1)
	s_and_not1_b32 vcc_lo, exec_lo, s5
	s_cbranch_vccnz .LBB23_2855
; %bb.2851:
	s_sext_i32_i16 s0, s0
	s_delay_alu instid0(SALU_CYCLE_1)
	s_cmp_gt_i32 s0, 0
	s_mov_b32 s0, -1
	s_cbranch_scc0 .LBB23_2853
; %bb.2852:
	s_wait_xcnt 0x0
	v_mov_b32_e32 v2, 0
	s_mov_b32 s0, 0
	s_wait_loadcnt 0x0
	global_store_b8 v[0:1], v2, off
.LBB23_2853:
	s_and_not1_b32 vcc_lo, exec_lo, s0
	s_cbranch_vccnz .LBB23_2855
; %bb.2854:
	s_wait_xcnt 0x0
	v_mov_b32_e32 v2, 0
	s_wait_loadcnt 0x0
	global_store_b8 v[0:1], v2, off
.LBB23_2855:
	s_wait_xcnt 0x0
	s_or_b32 exec_lo, exec_lo, s4
	s_delay_alu instid0(SALU_CYCLE_1)
	s_and_b32 s36, s1, exec_lo
                                        ; implicit-def: $vgpr1
                                        ; implicit-def: $vgpr0
.LBB23_2856:
	s_or_saveexec_b32 s37, s65
	s_mov_b32 s4, 0
                                        ; implicit-def: $vgpr38_vgpr39
                                        ; implicit-def: $sgpr0
	s_xor_b32 exec_lo, exec_lo, s37
	s_cbranch_execz .LBB23_3533
; %bb.2857:
	s_wait_loadcnt 0x0
	v_cndmask_b32_e64 v3, 0, 1, s64
	s_and_not1_b32 vcc_lo, exec_lo, s64
	s_cbranch_vccnz .LBB23_2863
; %bb.2858:
	s_cmp_lg_u32 s33, 0
	s_mov_b32 s6, 0
	s_cbranch_scc0 .LBB23_2867
; %bb.2859:
	s_min_u32 s7, s62, 15
	v_dual_mov_b32 v40, 0 :: v_dual_mov_b32 v2, v0
	v_dual_mov_b32 v38, 0 :: v_dual_mov_b32 v44, 0
	;; [unrolled: 1-line block ×3, first 2 shown]
	v_mov_b32_e32 v46, 0
	s_add_co_i32 s4, s7, 1
	s_mov_b64 s[0:1], 0xffffffffffffffd0
	s_and_b32 s8, s4, 30
	s_add_nc_u64 s[0:1], s[2:3], s[0:1]
	s_mov_b64 s[4:5], s[2:3]
.LBB23_2860:                            ; =>This Inner Loop Header: Depth=1
	s_clause 0x1
	s_load_b128 s[20:23], s[4:5], 0x4
	s_load_b64 s[10:11], s[4:5], 0x14
	s_clause 0x1
	s_load_b256 s[12:19], s[0:1], 0xf4
	s_load_b128 s[24:27], s[0:1], 0x114
	s_add_co_i32 s8, s8, -2
	s_wait_xcnt 0x0
	s_add_nc_u64 s[4:5], s[4:5], 24
	s_cmp_lg_u32 s8, 0
	s_add_nc_u64 s[0:1], s[0:1], 48
	s_wait_kmcnt 0x0
	v_mul_hi_u32 v4, s21, v2
	s_delay_alu instid0(VALU_DEP_1) | instskip(NEXT) | instid1(VALU_DEP_1)
	v_add_nc_u32_e32 v4, v2, v4
	v_lshrrev_b32_e32 v4, s22, v4
	s_delay_alu instid0(VALU_DEP_1) | instskip(SKIP_1) | instid1(VALU_DEP_1)
	v_mul_hi_u32 v5, s10, v4
	v_mul_lo_u32 v7, v4, s20
	v_dual_add_nc_u32 v5, v4, v5 :: v_dual_sub_nc_u32 v7, v2, v7
	s_delay_alu instid0(VALU_DEP_1) | instskip(NEXT) | instid1(VALU_DEP_2)
	v_lshrrev_b32_e32 v2, s11, v5
	v_mad_u32 v5, v7, s13, v46
	v_mad_u32 v6, v7, s12, v6
	v_mad_u32 v9, v7, s15, v42
	v_mad_u32 v10, v7, s14, v44
	v_mul_lo_u32 v8, v2, s23
	v_mad_u32 v11, s17, v7, v38
	v_mad_u32 v7, s16, v7, v40
	s_delay_alu instid0(VALU_DEP_3) | instskip(NEXT) | instid1(VALU_DEP_1)
	v_sub_nc_u32_e32 v4, v4, v8
	v_mad_u32 v46, v4, s19, v5
	v_mad_u32 v6, v4, s18, v6
	;; [unrolled: 1-line block ×6, first 2 shown]
	s_cbranch_scc1 .LBB23_2860
; %bb.2861:
	s_bitcmp1_b32 s7, 0
	s_cselect_b32 s7, -1, 0
	s_delay_alu instid0(SALU_CYCLE_1)
	s_and_b32 vcc_lo, exec_lo, s7
	s_cbranch_vccnz .LBB23_2864
; %bb.2862:
	s_load_b96 s[12:14], s[4:5], 0x4
	s_load_b128 s[8:11], s[0:1], 0xf4
	s_wait_xcnt 0x0
	s_load_b64 s[4:5], s[0:1], 0x104
	s_wait_kmcnt 0x0
	v_mul_hi_u32 v4, s13, v2
	s_delay_alu instid0(VALU_DEP_1) | instskip(NEXT) | instid1(VALU_DEP_1)
	v_add_nc_u32_e32 v4, v2, v4
	v_lshrrev_b32_e32 v4, s14, v4
	s_delay_alu instid0(VALU_DEP_1) | instskip(NEXT) | instid1(VALU_DEP_1)
	v_mul_lo_u32 v4, v4, s12
	v_sub_nc_u32_e32 v2, v2, v4
	s_delay_alu instid0(VALU_DEP_1)
	v_mad_u32 v6, v2, s8, v6
	v_mad_u32 v46, v2, s9, v46
	;; [unrolled: 1-line block ×6, first 2 shown]
	s_and_not1_b32 vcc_lo, exec_lo, s6
	s_cbranch_vccz .LBB23_2865
	s_branch .LBB23_2868
.LBB23_2863:
	s_mov_b32 s6, -1
                                        ; implicit-def: $vgpr46
                                        ; implicit-def: $vgpr6
                                        ; implicit-def: $vgpr42
                                        ; implicit-def: $vgpr44
                                        ; implicit-def: $vgpr38
                                        ; implicit-def: $vgpr40
.LBB23_2864:
	s_delay_alu instid0(SALU_CYCLE_1)
	s_and_not1_b32 vcc_lo, exec_lo, s6
	s_cbranch_vccnz .LBB23_2868
.LBB23_2865:
	s_clause 0x2
	s_load_b96 s[8:10], s[2:3], 0x4
	s_load_b128 s[4:7], s[2:3], 0xc4
	s_load_b64 s[0:1], s[2:3], 0xd4
	s_cmp_lt_u32 s33, 2
	s_wait_kmcnt 0x0
	v_mul_hi_u32 v2, s9, v0
	s_delay_alu instid0(VALU_DEP_1) | instskip(NEXT) | instid1(VALU_DEP_1)
	v_add_nc_u32_e32 v2, v0, v2
	v_lshrrev_b32_e32 v2, s10, v2
	s_delay_alu instid0(VALU_DEP_1) | instskip(NEXT) | instid1(VALU_DEP_1)
	v_mul_lo_u32 v4, v2, s8
	v_sub_nc_u32_e32 v4, v0, v4
	s_delay_alu instid0(VALU_DEP_1)
	v_mul_lo_u32 v46, v4, s5
	v_mul_lo_u32 v6, v4, s4
	;; [unrolled: 1-line block ×6, first 2 shown]
	s_cbranch_scc1 .LBB23_2868
; %bb.2866:
	s_clause 0x2
	s_load_b96 s[8:10], s[2:3], 0x10
	s_load_b128 s[4:7], s[2:3], 0xdc
	s_load_b64 s[0:1], s[2:3], 0xec
	s_wait_kmcnt 0x0
	v_mul_hi_u32 v4, s9, v2
	s_delay_alu instid0(VALU_DEP_1) | instskip(NEXT) | instid1(VALU_DEP_1)
	v_add_nc_u32_e32 v4, v2, v4
	v_lshrrev_b32_e32 v4, s10, v4
	s_delay_alu instid0(VALU_DEP_1) | instskip(NEXT) | instid1(VALU_DEP_1)
	v_mul_lo_u32 v4, v4, s8
	v_sub_nc_u32_e32 v2, v2, v4
	s_delay_alu instid0(VALU_DEP_1)
	v_mad_u32 v6, v2, s4, v6
	v_mad_u32 v46, v2, s5, v46
	;; [unrolled: 1-line block ×6, first 2 shown]
	s_branch .LBB23_2868
.LBB23_2867:
	v_dual_mov_b32 v46, 0 :: v_dual_mov_b32 v6, 0
	v_dual_mov_b32 v42, 0 :: v_dual_mov_b32 v44, 0
	;; [unrolled: 1-line block ×3, first 2 shown]
	s_and_not1_b32 vcc_lo, exec_lo, s6
	s_cbranch_vccz .LBB23_2865
.LBB23_2868:
	v_cmp_ne_u32_e32 vcc_lo, 1, v3
	v_add_nc_u32_e32 v2, 0x80, v0
	s_cbranch_vccnz .LBB23_2874
; %bb.2869:
	s_cmp_lg_u32 s33, 0
	s_mov_b32 s6, 0
	s_cbranch_scc0 .LBB23_2878
; %bb.2870:
	s_min_u32 s7, s62, 15
	v_dual_mov_b32 v30, 0 :: v_dual_mov_b32 v5, v2
	v_dual_mov_b32 v28, 0 :: v_dual_mov_b32 v34, 0
	;; [unrolled: 1-line block ×3, first 2 shown]
	v_mov_b32_e32 v36, 0
	s_add_co_i32 s4, s7, 1
	s_mov_b64 s[0:1], 0xffffffffffffffd0
	s_and_b32 s8, s4, 30
	s_add_nc_u64 s[0:1], s[2:3], s[0:1]
	s_mov_b64 s[4:5], s[2:3]
.LBB23_2871:                            ; =>This Inner Loop Header: Depth=1
	s_clause 0x1
	s_load_b128 s[20:23], s[4:5], 0x4
	s_load_b64 s[10:11], s[4:5], 0x14
	s_clause 0x1
	s_load_b256 s[12:19], s[0:1], 0xf4
	s_load_b128 s[24:27], s[0:1], 0x114
	s_add_co_i32 s8, s8, -2
	s_wait_xcnt 0x0
	s_add_nc_u64 s[4:5], s[4:5], 24
	s_cmp_lg_u32 s8, 0
	s_add_nc_u64 s[0:1], s[0:1], 48
	s_wait_kmcnt 0x0
	v_mul_hi_u32 v7, s21, v5
	s_delay_alu instid0(VALU_DEP_1) | instskip(NEXT) | instid1(VALU_DEP_1)
	v_add_nc_u32_e32 v7, v5, v7
	v_lshrrev_b32_e32 v7, s22, v7
	s_delay_alu instid0(VALU_DEP_1) | instskip(SKIP_1) | instid1(VALU_DEP_1)
	v_mul_hi_u32 v8, s10, v7
	v_mul_lo_u32 v9, v7, s20
	v_dual_add_nc_u32 v8, v7, v8 :: v_dual_sub_nc_u32 v9, v5, v9
	s_delay_alu instid0(VALU_DEP_1) | instskip(NEXT) | instid1(VALU_DEP_2)
	v_lshrrev_b32_e32 v5, s11, v8
	v_mad_u32 v8, v9, s13, v36
	v_mad_u32 v4, v9, s12, v4
	;; [unrolled: 1-line block ×4, first 2 shown]
	v_mul_lo_u32 v10, v5, s23
	v_mad_u32 v13, s17, v9, v28
	v_mad_u32 v9, s16, v9, v30
	s_delay_alu instid0(VALU_DEP_3) | instskip(NEXT) | instid1(VALU_DEP_1)
	v_sub_nc_u32_e32 v7, v7, v10
	v_mad_u32 v36, v7, s19, v8
	v_mad_u32 v4, v7, s18, v4
	;; [unrolled: 1-line block ×6, first 2 shown]
	s_cbranch_scc1 .LBB23_2871
; %bb.2872:
	s_bitcmp1_b32 s7, 0
	s_cselect_b32 s7, -1, 0
	s_delay_alu instid0(SALU_CYCLE_1)
	s_and_b32 vcc_lo, exec_lo, s7
	s_cbranch_vccnz .LBB23_2875
; %bb.2873:
	s_load_b96 s[12:14], s[4:5], 0x4
	s_load_b128 s[8:11], s[0:1], 0xf4
	s_wait_xcnt 0x0
	s_load_b64 s[4:5], s[0:1], 0x104
	s_wait_kmcnt 0x0
	v_mul_hi_u32 v7, s13, v5
	s_delay_alu instid0(VALU_DEP_1) | instskip(NEXT) | instid1(VALU_DEP_1)
	v_add_nc_u32_e32 v7, v5, v7
	v_lshrrev_b32_e32 v7, s14, v7
	s_delay_alu instid0(VALU_DEP_1) | instskip(NEXT) | instid1(VALU_DEP_1)
	v_mul_lo_u32 v7, v7, s12
	v_sub_nc_u32_e32 v5, v5, v7
	s_delay_alu instid0(VALU_DEP_1)
	v_mad_u32 v4, v5, s8, v4
	v_mad_u32 v36, v5, s9, v36
	;; [unrolled: 1-line block ×6, first 2 shown]
	s_and_not1_b32 vcc_lo, exec_lo, s6
	s_cbranch_vccz .LBB23_2876
	s_branch .LBB23_2879
.LBB23_2874:
	s_mov_b32 s6, -1
                                        ; implicit-def: $vgpr36
                                        ; implicit-def: $vgpr4
                                        ; implicit-def: $vgpr32
                                        ; implicit-def: $vgpr34
                                        ; implicit-def: $vgpr28
                                        ; implicit-def: $vgpr30
.LBB23_2875:
	s_delay_alu instid0(SALU_CYCLE_1)
	s_and_not1_b32 vcc_lo, exec_lo, s6
	s_cbranch_vccnz .LBB23_2879
.LBB23_2876:
	s_clause 0x2
	s_load_b96 s[8:10], s[2:3], 0x4
	s_load_b128 s[4:7], s[2:3], 0xc4
	s_load_b64 s[0:1], s[2:3], 0xd4
	s_cmp_lt_u32 s33, 2
	s_wait_kmcnt 0x0
	v_mul_hi_u32 v4, s9, v2
	s_delay_alu instid0(VALU_DEP_1) | instskip(NEXT) | instid1(VALU_DEP_1)
	v_add_nc_u32_e32 v4, v2, v4
	v_lshrrev_b32_e32 v5, s10, v4
	s_delay_alu instid0(VALU_DEP_1) | instskip(NEXT) | instid1(VALU_DEP_1)
	v_mul_lo_u32 v4, v5, s8
	v_sub_nc_u32_e32 v2, v2, v4
	s_delay_alu instid0(VALU_DEP_1)
	v_mul_lo_u32 v36, v2, s5
	v_mul_lo_u32 v4, v2, s4
	v_mul_lo_u32 v32, v2, s7
	v_mul_lo_u32 v34, v2, s6
	v_mul_lo_u32 v28, s1, v2
	v_mul_lo_u32 v30, s0, v2
	s_cbranch_scc1 .LBB23_2879
; %bb.2877:
	s_clause 0x2
	s_load_b96 s[8:10], s[2:3], 0x10
	s_load_b128 s[4:7], s[2:3], 0xdc
	s_load_b64 s[0:1], s[2:3], 0xec
	s_wait_kmcnt 0x0
	v_mul_hi_u32 v2, s9, v5
	s_delay_alu instid0(VALU_DEP_1) | instskip(NEXT) | instid1(VALU_DEP_1)
	v_add_nc_u32_e32 v2, v5, v2
	v_lshrrev_b32_e32 v2, s10, v2
	s_delay_alu instid0(VALU_DEP_1) | instskip(NEXT) | instid1(VALU_DEP_1)
	v_mul_lo_u32 v2, v2, s8
	v_sub_nc_u32_e32 v2, v5, v2
	s_delay_alu instid0(VALU_DEP_1)
	v_mad_u32 v4, v2, s4, v4
	v_mad_u32 v36, v2, s5, v36
	v_mad_u32 v34, v2, s6, v34
	v_mad_u32 v32, v2, s7, v32
	v_mad_u32 v30, s0, v2, v30
	v_mad_u32 v28, s1, v2, v28
	s_branch .LBB23_2879
.LBB23_2878:
	v_dual_mov_b32 v36, 0 :: v_dual_mov_b32 v4, 0
	v_dual_mov_b32 v32, 0 :: v_dual_mov_b32 v34, 0
	;; [unrolled: 1-line block ×3, first 2 shown]
	s_and_not1_b32 vcc_lo, exec_lo, s6
	s_cbranch_vccz .LBB23_2876
.LBB23_2879:
	v_cmp_ne_u32_e32 vcc_lo, 1, v3
	v_add_nc_u32_e32 v0, 0x100, v0
	s_cbranch_vccnz .LBB23_2885
; %bb.2880:
	s_cmp_lg_u32 s33, 0
	s_mov_b32 s6, 0
	s_cbranch_scc0 .LBB23_2889
; %bb.2881:
	s_min_u32 s7, s62, 15
	v_dual_mov_b32 v20, 0 :: v_dual_mov_b32 v5, v0
	v_dual_mov_b32 v18, 0 :: v_dual_mov_b32 v24, 0
	;; [unrolled: 1-line block ×3, first 2 shown]
	v_mov_b32_e32 v26, 0
	s_add_co_i32 s4, s7, 1
	s_mov_b64 s[0:1], 0xffffffffffffffd0
	s_and_b32 s8, s4, 30
	s_add_nc_u64 s[0:1], s[2:3], s[0:1]
	s_mov_b64 s[4:5], s[2:3]
.LBB23_2882:                            ; =>This Inner Loop Header: Depth=1
	s_clause 0x1
	s_load_b128 s[20:23], s[4:5], 0x4
	s_load_b64 s[10:11], s[4:5], 0x14
	s_clause 0x1
	s_load_b256 s[12:19], s[0:1], 0xf4
	s_load_b128 s[24:27], s[0:1], 0x114
	s_add_co_i32 s8, s8, -2
	s_wait_xcnt 0x0
	s_add_nc_u64 s[4:5], s[4:5], 24
	s_cmp_lg_u32 s8, 0
	s_add_nc_u64 s[0:1], s[0:1], 48
	s_wait_kmcnt 0x0
	v_mul_hi_u32 v7, s21, v5
	s_delay_alu instid0(VALU_DEP_1) | instskip(NEXT) | instid1(VALU_DEP_1)
	v_add_nc_u32_e32 v7, v5, v7
	v_lshrrev_b32_e32 v7, s22, v7
	s_delay_alu instid0(VALU_DEP_1) | instskip(SKIP_1) | instid1(VALU_DEP_1)
	v_mul_hi_u32 v8, s10, v7
	v_mul_lo_u32 v9, v7, s20
	v_dual_add_nc_u32 v8, v7, v8 :: v_dual_sub_nc_u32 v9, v5, v9
	s_delay_alu instid0(VALU_DEP_1) | instskip(NEXT) | instid1(VALU_DEP_2)
	v_lshrrev_b32_e32 v5, s11, v8
	v_mad_u32 v8, v9, s13, v26
	v_mad_u32 v2, v9, s12, v2
	;; [unrolled: 1-line block ×4, first 2 shown]
	v_mul_lo_u32 v10, v5, s23
	v_mad_u32 v13, s17, v9, v18
	v_mad_u32 v9, s16, v9, v20
	s_delay_alu instid0(VALU_DEP_3) | instskip(NEXT) | instid1(VALU_DEP_1)
	v_sub_nc_u32_e32 v7, v7, v10
	v_mad_u32 v26, v7, s19, v8
	v_mad_u32 v2, v7, s18, v2
	;; [unrolled: 1-line block ×6, first 2 shown]
	s_cbranch_scc1 .LBB23_2882
; %bb.2883:
	s_bitcmp1_b32 s7, 0
	s_cselect_b32 s7, -1, 0
	s_delay_alu instid0(SALU_CYCLE_1)
	s_and_b32 vcc_lo, exec_lo, s7
	s_cbranch_vccnz .LBB23_2886
; %bb.2884:
	s_load_b96 s[12:14], s[4:5], 0x4
	s_load_b128 s[8:11], s[0:1], 0xf4
	s_wait_xcnt 0x0
	s_load_b64 s[4:5], s[0:1], 0x104
	s_wait_kmcnt 0x0
	v_mul_hi_u32 v7, s13, v5
	s_delay_alu instid0(VALU_DEP_1) | instskip(NEXT) | instid1(VALU_DEP_1)
	v_add_nc_u32_e32 v7, v5, v7
	v_lshrrev_b32_e32 v7, s14, v7
	s_delay_alu instid0(VALU_DEP_1) | instskip(NEXT) | instid1(VALU_DEP_1)
	v_mul_lo_u32 v7, v7, s12
	v_sub_nc_u32_e32 v5, v5, v7
	s_delay_alu instid0(VALU_DEP_1)
	v_mad_u32 v2, v5, s8, v2
	v_mad_u32 v26, v5, s9, v26
	;; [unrolled: 1-line block ×6, first 2 shown]
	s_and_not1_b32 vcc_lo, exec_lo, s6
	s_cbranch_vccz .LBB23_2887
	s_branch .LBB23_2890
.LBB23_2885:
	s_mov_b32 s6, -1
                                        ; implicit-def: $vgpr26
                                        ; implicit-def: $vgpr2
                                        ; implicit-def: $vgpr22
                                        ; implicit-def: $vgpr24
                                        ; implicit-def: $vgpr18
                                        ; implicit-def: $vgpr20
.LBB23_2886:
	s_delay_alu instid0(SALU_CYCLE_1)
	s_and_not1_b32 vcc_lo, exec_lo, s6
	s_cbranch_vccnz .LBB23_2890
.LBB23_2887:
	s_clause 0x2
	s_load_b96 s[8:10], s[2:3], 0x4
	s_load_b128 s[4:7], s[2:3], 0xc4
	s_load_b64 s[0:1], s[2:3], 0xd4
	s_cmp_lt_u32 s33, 2
	s_wait_kmcnt 0x0
	v_mul_hi_u32 v2, s9, v0
	s_delay_alu instid0(VALU_DEP_1) | instskip(NEXT) | instid1(VALU_DEP_1)
	v_add_nc_u32_e32 v2, v0, v2
	v_lshrrev_b32_e32 v5, s10, v2
	s_delay_alu instid0(VALU_DEP_1) | instskip(NEXT) | instid1(VALU_DEP_1)
	v_mul_lo_u32 v2, v5, s8
	v_sub_nc_u32_e32 v0, v0, v2
	s_delay_alu instid0(VALU_DEP_1)
	v_mul_lo_u32 v26, v0, s5
	v_mul_lo_u32 v2, v0, s4
	;; [unrolled: 1-line block ×6, first 2 shown]
	s_cbranch_scc1 .LBB23_2890
; %bb.2888:
	s_clause 0x2
	s_load_b96 s[8:10], s[2:3], 0x10
	s_load_b128 s[4:7], s[2:3], 0xdc
	s_load_b64 s[0:1], s[2:3], 0xec
	s_wait_kmcnt 0x0
	v_mul_hi_u32 v0, s9, v5
	s_delay_alu instid0(VALU_DEP_1) | instskip(NEXT) | instid1(VALU_DEP_1)
	v_add_nc_u32_e32 v0, v5, v0
	v_lshrrev_b32_e32 v0, s10, v0
	s_delay_alu instid0(VALU_DEP_1) | instskip(NEXT) | instid1(VALU_DEP_1)
	v_mul_lo_u32 v0, v0, s8
	v_sub_nc_u32_e32 v0, v5, v0
	s_delay_alu instid0(VALU_DEP_1)
	v_mad_u32 v2, v0, s4, v2
	v_mad_u32 v26, v0, s5, v26
	;; [unrolled: 1-line block ×6, first 2 shown]
	s_branch .LBB23_2890
.LBB23_2889:
	v_dual_mov_b32 v26, 0 :: v_dual_mov_b32 v2, 0
	v_dual_mov_b32 v22, 0 :: v_dual_mov_b32 v24, 0
	;; [unrolled: 1-line block ×3, first 2 shown]
	s_and_not1_b32 vcc_lo, exec_lo, s6
	s_cbranch_vccz .LBB23_2887
.LBB23_2890:
	v_cmp_ne_u32_e32 vcc_lo, 1, v3
	s_cbranch_vccnz .LBB23_2896
; %bb.2891:
	s_cmp_lg_u32 s33, 0
	s_mov_b32 s6, 0
	s_cbranch_scc0 .LBB23_2900
; %bb.2892:
	s_min_u32 s7, s62, 15
	v_dual_mov_b32 v10, 0 :: v_dual_mov_b32 v3, v1
	v_dual_mov_b32 v8, 0 :: v_dual_mov_b32 v14, 0
	;; [unrolled: 1-line block ×3, first 2 shown]
	v_mov_b32_e32 v16, 0
	s_add_co_i32 s4, s7, 1
	s_mov_b64 s[0:1], 0xffffffffffffffd0
	s_and_b32 s8, s4, 30
	s_add_nc_u64 s[0:1], s[2:3], s[0:1]
	s_mov_b64 s[4:5], s[2:3]
.LBB23_2893:                            ; =>This Inner Loop Header: Depth=1
	s_clause 0x1
	s_load_b128 s[20:23], s[4:5], 0x4
	s_load_b64 s[10:11], s[4:5], 0x14
	s_clause 0x1
	s_load_b256 s[12:19], s[0:1], 0xf4
	s_load_b128 s[24:27], s[0:1], 0x114
	s_add_co_i32 s8, s8, -2
	s_wait_xcnt 0x0
	s_add_nc_u64 s[4:5], s[4:5], 24
	s_cmp_lg_u32 s8, 0
	s_add_nc_u64 s[0:1], s[0:1], 48
	s_wait_kmcnt 0x0
	v_mul_hi_u32 v5, s21, v3
	s_delay_alu instid0(VALU_DEP_1) | instskip(NEXT) | instid1(VALU_DEP_1)
	v_add_nc_u32_e32 v5, v3, v5
	v_lshrrev_b32_e32 v5, s22, v5
	s_delay_alu instid0(VALU_DEP_1) | instskip(SKIP_1) | instid1(VALU_DEP_1)
	v_mul_hi_u32 v7, s10, v5
	v_mul_lo_u32 v9, v5, s20
	v_dual_add_nc_u32 v7, v5, v7 :: v_dual_sub_nc_u32 v9, v3, v9
	s_delay_alu instid0(VALU_DEP_1) | instskip(NEXT) | instid1(VALU_DEP_2)
	v_lshrrev_b32_e32 v3, s11, v7
	v_mad_u32 v7, v9, s13, v16
	v_mad_u32 v0, v9, s12, v0
	;; [unrolled: 1-line block ×4, first 2 shown]
	v_mul_lo_u32 v11, v3, s23
	v_mad_u32 v8, s17, v9, v8
	v_mad_u32 v9, s16, v9, v10
	s_delay_alu instid0(VALU_DEP_3) | instskip(NEXT) | instid1(VALU_DEP_1)
	v_sub_nc_u32_e32 v5, v5, v11
	v_mad_u32 v16, v5, s19, v7
	v_mad_u32 v0, v5, s18, v0
	;; [unrolled: 1-line block ×6, first 2 shown]
	s_cbranch_scc1 .LBB23_2893
; %bb.2894:
	s_bitcmp1_b32 s7, 0
	s_cselect_b32 s7, -1, 0
	s_delay_alu instid0(SALU_CYCLE_1)
	s_and_b32 vcc_lo, exec_lo, s7
	s_cbranch_vccnz .LBB23_2897
; %bb.2895:
	s_load_b96 s[12:14], s[4:5], 0x4
	s_load_b128 s[8:11], s[0:1], 0xf4
	s_wait_xcnt 0x0
	s_load_b64 s[4:5], s[0:1], 0x104
	s_wait_kmcnt 0x0
	v_mul_hi_u32 v5, s13, v3
	s_delay_alu instid0(VALU_DEP_1) | instskip(NEXT) | instid1(VALU_DEP_1)
	v_add_nc_u32_e32 v5, v3, v5
	v_lshrrev_b32_e32 v5, s14, v5
	s_delay_alu instid0(VALU_DEP_1) | instskip(NEXT) | instid1(VALU_DEP_1)
	v_mul_lo_u32 v5, v5, s12
	v_sub_nc_u32_e32 v3, v3, v5
	s_delay_alu instid0(VALU_DEP_1)
	v_mad_u32 v0, v3, s8, v0
	v_mad_u32 v16, v3, s9, v16
	v_mad_u32 v14, v3, s10, v14
	v_mad_u32 v12, v3, s11, v12
	v_mad_u32 v10, s4, v3, v10
	v_mad_u32 v8, s5, v3, v8
	s_and_not1_b32 vcc_lo, exec_lo, s6
	s_cbranch_vccz .LBB23_2898
	s_branch .LBB23_2901
.LBB23_2896:
	s_mov_b32 s6, -1
                                        ; implicit-def: $vgpr16
                                        ; implicit-def: $vgpr0
                                        ; implicit-def: $vgpr12
                                        ; implicit-def: $vgpr14
                                        ; implicit-def: $vgpr8
                                        ; implicit-def: $vgpr10
.LBB23_2897:
	s_delay_alu instid0(SALU_CYCLE_1)
	s_and_not1_b32 vcc_lo, exec_lo, s6
	s_cbranch_vccnz .LBB23_2901
.LBB23_2898:
	s_clause 0x2
	s_load_b96 s[8:10], s[2:3], 0x4
	s_load_b128 s[4:7], s[2:3], 0xc4
	s_load_b64 s[0:1], s[2:3], 0xd4
	s_cmp_lt_u32 s33, 2
	s_wait_kmcnt 0x0
	v_mul_hi_u32 v0, s9, v1
	s_delay_alu instid0(VALU_DEP_1) | instskip(NEXT) | instid1(VALU_DEP_1)
	v_add_nc_u32_e32 v0, v1, v0
	v_lshrrev_b32_e32 v3, s10, v0
	s_delay_alu instid0(VALU_DEP_1) | instskip(NEXT) | instid1(VALU_DEP_1)
	v_mul_lo_u32 v0, v3, s8
	v_sub_nc_u32_e32 v1, v1, v0
	s_delay_alu instid0(VALU_DEP_1)
	v_mul_lo_u32 v16, v1, s5
	v_mul_lo_u32 v0, v1, s4
	;; [unrolled: 1-line block ×6, first 2 shown]
	s_cbranch_scc1 .LBB23_2901
; %bb.2899:
	s_clause 0x2
	s_load_b96 s[8:10], s[2:3], 0x10
	s_load_b128 s[4:7], s[2:3], 0xdc
	s_load_b64 s[0:1], s[2:3], 0xec
	s_wait_kmcnt 0x0
	v_mul_hi_u32 v1, s9, v3
	s_delay_alu instid0(VALU_DEP_1) | instskip(NEXT) | instid1(VALU_DEP_1)
	v_add_nc_u32_e32 v1, v3, v1
	v_lshrrev_b32_e32 v1, s10, v1
	s_delay_alu instid0(VALU_DEP_1) | instskip(NEXT) | instid1(VALU_DEP_1)
	v_mul_lo_u32 v1, v1, s8
	v_sub_nc_u32_e32 v1, v3, v1
	s_delay_alu instid0(VALU_DEP_1)
	v_mad_u32 v0, v1, s4, v0
	v_mad_u32 v16, v1, s5, v16
	;; [unrolled: 1-line block ×6, first 2 shown]
	s_branch .LBB23_2901
.LBB23_2900:
	v_dual_mov_b32 v16, 0 :: v_dual_mov_b32 v0, 0
	v_dual_mov_b32 v12, 0 :: v_dual_mov_b32 v14, 0
	;; [unrolled: 1-line block ×3, first 2 shown]
	s_and_not1_b32 vcc_lo, exec_lo, s6
	s_cbranch_vccz .LBB23_2898
.LBB23_2901:
	v_mov_b32_e32 v47, 0
	s_load_b128 s[4:7], s[2:3], 0x248
	global_load_u8 v1, v47, s[2:3] offset:801
	s_wait_kmcnt 0x0
	v_add_nc_u64_e32 v[46:47], s[6:7], v[46:47]
	s_wait_loadcnt 0x0
	v_and_b32_e32 v3, 0xffff, v1
	v_readfirstlane_b32 s34, v1
	s_delay_alu instid0(VALU_DEP_2)
	v_cmp_gt_i32_e32 vcc_lo, 11, v3
	s_cbranch_vccnz .LBB23_2908
; %bb.2902:
	s_and_b32 s0, 0xffff, s34
	s_mov_b32 s8, 0
	s_cmp_gt_i32 s0, 25
	s_cbranch_scc0 .LBB23_2910
; %bb.2903:
	s_cmp_gt_i32 s0, 28
	s_cbranch_scc0 .LBB23_2911
; %bb.2904:
	;; [unrolled: 3-line block ×4, first 2 shown]
	s_cmp_eq_u32 s0, 46
	s_mov_b32 s10, 0
	s_cbranch_scc0 .LBB23_2914
; %bb.2907:
	global_load_b32 v1, v[46:47], off
	s_mov_b32 s1, 0
	s_mov_b32 s9, -1
	s_wait_loadcnt 0x0
	v_lshlrev_b32_e32 v1, 16, v1
	s_delay_alu instid0(VALU_DEP_1)
	v_cvt_i32_f32_e32 v1, v1
	s_branch .LBB23_2916
.LBB23_2908:
	s_mov_b32 s9, 0
	s_mov_b32 s33, s36
                                        ; implicit-def: $vgpr1
	s_cbranch_execnz .LBB23_2974
.LBB23_2909:
	s_and_not1_b32 vcc_lo, exec_lo, s9
	s_cbranch_vccz .LBB23_3019
	s_branch .LBB23_3531
.LBB23_2910:
	s_mov_b32 s9, 0
	s_mov_b32 s1, 0
                                        ; implicit-def: $vgpr1
	s_cbranch_execnz .LBB23_2941
	s_branch .LBB23_2970
.LBB23_2911:
	s_mov_b32 s9, 0
	s_mov_b32 s1, 0
                                        ; implicit-def: $vgpr1
	s_cbranch_execz .LBB23_2940
	s_branch .LBB23_2925
.LBB23_2912:
	s_mov_b32 s9, 0
	s_mov_b32 s1, 0
                                        ; implicit-def: $vgpr1
	s_cbranch_execnz .LBB23_2921
	s_branch .LBB23_2924
.LBB23_2913:
	s_mov_b32 s10, -1
	s_mov_b32 s9, 0
	s_mov_b32 s1, 0
	s_branch .LBB23_2915
.LBB23_2914:
	s_mov_b32 s1, -1
	s_mov_b32 s9, 0
.LBB23_2915:
                                        ; implicit-def: $vgpr1
.LBB23_2916:
	s_and_b32 vcc_lo, exec_lo, s10
	s_cbranch_vccz .LBB23_2919
; %bb.2917:
	s_cmp_eq_u32 s0, 44
	s_cbranch_scc0 .LBB23_2920
; %bb.2918:
	global_load_u8 v1, v[46:47], off
	s_mov_b32 s1, 0
	s_mov_b32 s9, -1
	s_wait_loadcnt 0x0
	v_lshlrev_b32_e32 v3, 23, v1
	v_cmp_ne_u32_e32 vcc_lo, 0, v1
	s_delay_alu instid0(VALU_DEP_2) | instskip(NEXT) | instid1(VALU_DEP_1)
	v_cvt_i32_f32_e32 v3, v3
	v_cndmask_b32_e32 v1, 0, v3, vcc_lo
.LBB23_2919:
	s_branch .LBB23_2924
.LBB23_2920:
	s_mov_b32 s1, -1
                                        ; implicit-def: $vgpr1
	s_branch .LBB23_2924
.LBB23_2921:
	s_cmp_eq_u32 s0, 29
	s_cbranch_scc0 .LBB23_2923
; %bb.2922:
	global_load_b32 v1, v[46:47], off
	s_mov_b32 s1, 0
	s_mov_b32 s9, -1
	s_branch .LBB23_2924
.LBB23_2923:
	s_mov_b32 s1, -1
                                        ; implicit-def: $vgpr1
.LBB23_2924:
	s_branch .LBB23_2940
.LBB23_2925:
	s_cmp_lt_i32 s0, 27
	s_cbranch_scc1 .LBB23_2928
; %bb.2926:
	s_cmp_gt_i32 s0, 27
	s_cbranch_scc0 .LBB23_2929
; %bb.2927:
	s_wait_loadcnt 0x0
	global_load_b32 v1, v[46:47], off
	s_mov_b32 s9, 0
	s_branch .LBB23_2930
.LBB23_2928:
	s_mov_b32 s9, -1
                                        ; implicit-def: $vgpr1
	s_branch .LBB23_2933
.LBB23_2929:
	s_mov_b32 s9, -1
                                        ; implicit-def: $vgpr1
.LBB23_2930:
	s_delay_alu instid0(SALU_CYCLE_1)
	s_and_not1_b32 vcc_lo, exec_lo, s9
	s_cbranch_vccnz .LBB23_2932
; %bb.2931:
	s_wait_loadcnt 0x0
	global_load_u16 v1, v[46:47], off
.LBB23_2932:
	s_mov_b32 s9, 0
.LBB23_2933:
	s_delay_alu instid0(SALU_CYCLE_1)
	s_and_not1_b32 vcc_lo, exec_lo, s9
	s_cbranch_vccnz .LBB23_2939
; %bb.2934:
	global_load_u8 v3, v[46:47], off
	s_mov_b32 s10, 0
	s_mov_b32 s9, exec_lo
	s_wait_loadcnt 0x0
	v_cmpx_lt_i16_e32 0x7f, v3
	s_xor_b32 s9, exec_lo, s9
	s_cbranch_execz .LBB23_2950
; %bb.2935:
	v_cmp_ne_u16_e32 vcc_lo, 0x80, v3
	s_and_b32 s10, vcc_lo, exec_lo
	s_and_not1_saveexec_b32 s9, s9
	s_cbranch_execnz .LBB23_2951
.LBB23_2936:
	s_or_b32 exec_lo, exec_lo, s9
	v_mov_b32_e32 v1, 0
	s_and_saveexec_b32 s9, s10
	s_cbranch_execz .LBB23_2938
.LBB23_2937:
	v_and_b32_e32 v1, 0xffff, v3
	s_delay_alu instid0(VALU_DEP_1) | instskip(SKIP_1) | instid1(VALU_DEP_2)
	v_and_b32_e32 v5, 7, v1
	v_bfe_u32 v11, v1, 3, 4
	v_clz_i32_u32_e32 v7, v5
	s_delay_alu instid0(VALU_DEP_2) | instskip(NEXT) | instid1(VALU_DEP_2)
	v_cmp_eq_u32_e32 vcc_lo, 0, v11
	v_min_u32_e32 v7, 32, v7
	s_delay_alu instid0(VALU_DEP_1) | instskip(NEXT) | instid1(VALU_DEP_1)
	v_subrev_nc_u32_e32 v9, 28, v7
	v_dual_lshlrev_b32 v1, v9, v1 :: v_dual_sub_nc_u32 v7, 29, v7
	s_delay_alu instid0(VALU_DEP_1) | instskip(NEXT) | instid1(VALU_DEP_1)
	v_dual_lshlrev_b32 v3, 24, v3 :: v_dual_bitop2_b32 v1, 7, v1 bitop3:0x40
	v_dual_cndmask_b32 v1, v5, v1, vcc_lo :: v_dual_cndmask_b32 v7, v11, v7, vcc_lo
	s_delay_alu instid0(VALU_DEP_2) | instskip(NEXT) | instid1(VALU_DEP_2)
	v_and_b32_e32 v3, 0x80000000, v3
	v_lshlrev_b32_e32 v1, 20, v1
	s_delay_alu instid0(VALU_DEP_3) | instskip(NEXT) | instid1(VALU_DEP_1)
	v_lshl_add_u32 v5, v7, 23, 0x3b800000
	v_or3_b32 v1, v3, v5, v1
	s_delay_alu instid0(VALU_DEP_1)
	v_cvt_i32_f32_e32 v1, v1
.LBB23_2938:
	s_or_b32 exec_lo, exec_lo, s9
.LBB23_2939:
	s_mov_b32 s9, -1
.LBB23_2940:
	s_branch .LBB23_2970
.LBB23_2941:
	s_cmp_gt_i32 s0, 22
	s_cbranch_scc0 .LBB23_2949
; %bb.2942:
	s_cmp_lt_i32 s0, 24
	s_cbranch_scc1 .LBB23_2952
; %bb.2943:
	s_cmp_gt_i32 s0, 24
	s_cbranch_scc0 .LBB23_2953
; %bb.2944:
	global_load_u8 v3, v[46:47], off
	s_mov_b32 s9, 0
	s_mov_b32 s8, exec_lo
	s_wait_loadcnt 0x0
	v_cmpx_lt_i16_e32 0x7f, v3
	s_xor_b32 s8, exec_lo, s8
	s_cbranch_execz .LBB23_2964
; %bb.2945:
	v_cmp_ne_u16_e32 vcc_lo, 0x80, v3
	s_and_b32 s9, vcc_lo, exec_lo
	s_and_not1_saveexec_b32 s8, s8
	s_cbranch_execnz .LBB23_2965
.LBB23_2946:
	s_or_b32 exec_lo, exec_lo, s8
	v_mov_b32_e32 v1, 0
	s_and_saveexec_b32 s8, s9
	s_cbranch_execz .LBB23_2948
.LBB23_2947:
	v_and_b32_e32 v1, 0xffff, v3
	s_delay_alu instid0(VALU_DEP_1) | instskip(SKIP_1) | instid1(VALU_DEP_2)
	v_and_b32_e32 v5, 3, v1
	v_bfe_u32 v11, v1, 2, 5
	v_clz_i32_u32_e32 v7, v5
	s_delay_alu instid0(VALU_DEP_2) | instskip(NEXT) | instid1(VALU_DEP_2)
	v_cmp_eq_u32_e32 vcc_lo, 0, v11
	v_min_u32_e32 v7, 32, v7
	s_delay_alu instid0(VALU_DEP_1) | instskip(NEXT) | instid1(VALU_DEP_1)
	v_subrev_nc_u32_e32 v9, 29, v7
	v_dual_lshlrev_b32 v1, v9, v1 :: v_dual_sub_nc_u32 v7, 30, v7
	s_delay_alu instid0(VALU_DEP_1) | instskip(NEXT) | instid1(VALU_DEP_1)
	v_dual_lshlrev_b32 v3, 24, v3 :: v_dual_bitop2_b32 v1, 3, v1 bitop3:0x40
	v_dual_cndmask_b32 v1, v5, v1, vcc_lo :: v_dual_cndmask_b32 v7, v11, v7, vcc_lo
	s_delay_alu instid0(VALU_DEP_2) | instskip(NEXT) | instid1(VALU_DEP_2)
	v_and_b32_e32 v3, 0x80000000, v3
	v_lshlrev_b32_e32 v1, 21, v1
	s_delay_alu instid0(VALU_DEP_3) | instskip(NEXT) | instid1(VALU_DEP_1)
	v_lshl_add_u32 v5, v7, 23, 0x37800000
	v_or3_b32 v1, v3, v5, v1
	s_delay_alu instid0(VALU_DEP_1)
	v_cvt_i32_f32_e32 v1, v1
.LBB23_2948:
	s_or_b32 exec_lo, exec_lo, s8
	s_mov_b32 s8, 0
	s_branch .LBB23_2954
.LBB23_2949:
                                        ; implicit-def: $vgpr1
	s_mov_b32 s8, 0
	s_branch .LBB23_2960
.LBB23_2950:
	s_and_not1_saveexec_b32 s9, s9
	s_cbranch_execz .LBB23_2936
.LBB23_2951:
	v_cmp_ne_u16_e32 vcc_lo, 0, v3
	s_and_not1_b32 s10, s10, exec_lo
	s_and_b32 s11, vcc_lo, exec_lo
	s_delay_alu instid0(SALU_CYCLE_1)
	s_or_b32 s10, s10, s11
	s_or_b32 exec_lo, exec_lo, s9
	v_mov_b32_e32 v1, 0
	s_and_saveexec_b32 s9, s10
	s_cbranch_execnz .LBB23_2937
	s_branch .LBB23_2938
.LBB23_2952:
	s_mov_b32 s8, -1
                                        ; implicit-def: $vgpr1
	s_branch .LBB23_2957
.LBB23_2953:
	s_mov_b32 s8, -1
                                        ; implicit-def: $vgpr1
.LBB23_2954:
	s_delay_alu instid0(SALU_CYCLE_1)
	s_and_b32 vcc_lo, exec_lo, s8
	s_cbranch_vccz .LBB23_2956
; %bb.2955:
	s_wait_loadcnt 0x0
	global_load_u8 v1, v[46:47], off
	s_wait_loadcnt 0x0
	v_lshlrev_b32_e32 v1, 24, v1
	s_delay_alu instid0(VALU_DEP_1) | instskip(NEXT) | instid1(VALU_DEP_1)
	v_and_b32_e32 v3, 0x7f000000, v1
	v_clz_i32_u32_e32 v5, v3
	v_add_nc_u32_e32 v9, 0x1000000, v3
	v_cmp_ne_u32_e32 vcc_lo, 0, v3
	s_delay_alu instid0(VALU_DEP_3) | instskip(NEXT) | instid1(VALU_DEP_1)
	v_min_u32_e32 v5, 32, v5
	v_sub_nc_u32_e64 v5, v5, 4 clamp
	s_delay_alu instid0(VALU_DEP_1) | instskip(NEXT) | instid1(VALU_DEP_1)
	v_dual_lshlrev_b32 v7, v5, v3 :: v_dual_lshlrev_b32 v5, 23, v5
	v_lshrrev_b32_e32 v7, 4, v7
	s_delay_alu instid0(VALU_DEP_1) | instskip(SKIP_1) | instid1(VALU_DEP_2)
	v_sub_nc_u32_e32 v5, v7, v5
	v_ashrrev_i32_e32 v7, 8, v9
	v_add_nc_u32_e32 v5, 0x3c000000, v5
	s_delay_alu instid0(VALU_DEP_1) | instskip(NEXT) | instid1(VALU_DEP_1)
	v_and_or_b32 v5, 0x7f800000, v7, v5
	v_cndmask_b32_e32 v3, 0, v5, vcc_lo
	s_delay_alu instid0(VALU_DEP_1) | instskip(NEXT) | instid1(VALU_DEP_1)
	v_and_or_b32 v1, 0x80000000, v1, v3
	v_cvt_i32_f32_e32 v1, v1
.LBB23_2956:
	s_mov_b32 s8, 0
.LBB23_2957:
	s_delay_alu instid0(SALU_CYCLE_1)
	s_and_not1_b32 vcc_lo, exec_lo, s8
	s_cbranch_vccnz .LBB23_2959
; %bb.2958:
	s_wait_loadcnt 0x0
	global_load_u8 v1, v[46:47], off
	s_wait_loadcnt 0x0
	v_lshlrev_b32_e32 v3, 25, v1
	v_lshlrev_b16 v1, 8, v1
	s_delay_alu instid0(VALU_DEP_1) | instskip(SKIP_1) | instid1(VALU_DEP_2)
	v_and_or_b32 v7, 0x7f00, v1, 0.5
	v_bfe_i32 v1, v1, 0, 16
	v_add_f32_e32 v7, -0.5, v7
	v_lshrrev_b32_e32 v5, 4, v3
	v_cmp_gt_u32_e32 vcc_lo, 0x8000000, v3
	s_delay_alu instid0(VALU_DEP_2) | instskip(NEXT) | instid1(VALU_DEP_1)
	v_or_b32_e32 v5, 0x70000000, v5
	v_mul_f32_e32 v5, 0x7800000, v5
	s_delay_alu instid0(VALU_DEP_1) | instskip(NEXT) | instid1(VALU_DEP_1)
	v_cndmask_b32_e32 v3, v5, v7, vcc_lo
	v_and_or_b32 v1, 0x80000000, v1, v3
	s_delay_alu instid0(VALU_DEP_1)
	v_cvt_i32_f32_e32 v1, v1
.LBB23_2959:
	s_mov_b32 s9, -1
	s_mov_b32 s8, 0
	s_cbranch_execnz .LBB23_2970
.LBB23_2960:
	s_cmp_gt_i32 s0, 14
	s_cbranch_scc0 .LBB23_2963
; %bb.2961:
	s_cmp_eq_u32 s0, 15
	s_cbranch_scc0 .LBB23_2966
; %bb.2962:
	s_wait_loadcnt 0x0
	global_load_u16 v1, v[46:47], off
	s_mov_b32 s1, 0
	s_mov_b32 s9, -1
	s_wait_loadcnt 0x0
	v_lshlrev_b32_e32 v1, 16, v1
	s_delay_alu instid0(VALU_DEP_1)
	v_cvt_i32_f32_e32 v1, v1
	s_branch .LBB23_2968
.LBB23_2963:
	s_mov_b32 s8, -1
	s_branch .LBB23_2967
.LBB23_2964:
	s_and_not1_saveexec_b32 s8, s8
	s_cbranch_execz .LBB23_2946
.LBB23_2965:
	v_cmp_ne_u16_e32 vcc_lo, 0, v3
	s_and_not1_b32 s9, s9, exec_lo
	s_and_b32 s10, vcc_lo, exec_lo
	s_delay_alu instid0(SALU_CYCLE_1)
	s_or_b32 s9, s9, s10
	s_or_b32 exec_lo, exec_lo, s8
	v_mov_b32_e32 v1, 0
	s_and_saveexec_b32 s8, s9
	s_cbranch_execnz .LBB23_2947
	s_branch .LBB23_2948
.LBB23_2966:
	s_mov_b32 s1, -1
.LBB23_2967:
                                        ; implicit-def: $vgpr1
.LBB23_2968:
	s_and_b32 vcc_lo, exec_lo, s8
	s_mov_b32 s8, 0
	s_cbranch_vccz .LBB23_2970
; %bb.2969:
	s_cmp_lg_u32 s0, 11
	s_mov_b32 s8, -1
	s_cselect_b32 s1, -1, 0
.LBB23_2970:
	s_delay_alu instid0(SALU_CYCLE_1)
	s_and_b32 vcc_lo, exec_lo, s1
	s_mov_b32 s33, s36
	s_cbranch_vccnz .LBB23_3031
; %bb.2971:
	s_and_not1_b32 vcc_lo, exec_lo, s8
	s_cbranch_vccnz .LBB23_2973
.LBB23_2972:
	s_wait_loadcnt 0x0
	global_load_u8 v1, v[46:47], off
	s_mov_b32 s9, -1
	s_wait_loadcnt 0x0
	v_cmp_ne_u16_e32 vcc_lo, 0, v1
	v_cndmask_b32_e64 v1, 0, 1, vcc_lo
.LBB23_2973:
	s_branch .LBB23_2909
.LBB23_2974:
	s_and_b32 s0, 0xffff, s34
	s_delay_alu instid0(SALU_CYCLE_1)
	s_cmp_lt_i32 s0, 5
	s_cbranch_scc1 .LBB23_2979
; %bb.2975:
	s_cmp_lt_i32 s0, 8
	s_cbranch_scc1 .LBB23_2980
; %bb.2976:
	;; [unrolled: 3-line block ×3, first 2 shown]
	s_cmp_gt_i32 s0, 9
	s_cbranch_scc0 .LBB23_2982
; %bb.2978:
	global_load_b64 v[48:49], v[46:47], off
	s_mov_b32 s1, 0
	s_wait_loadcnt 0x0
	v_cvt_i32_f64_e32 v1, v[48:49]
	s_branch .LBB23_2983
.LBB23_2979:
                                        ; implicit-def: $vgpr1
	s_branch .LBB23_3000
.LBB23_2980:
                                        ; implicit-def: $vgpr1
	s_branch .LBB23_2989
.LBB23_2981:
	s_mov_b32 s1, -1
                                        ; implicit-def: $vgpr1
	s_branch .LBB23_2986
.LBB23_2982:
	s_mov_b32 s1, -1
                                        ; implicit-def: $vgpr1
.LBB23_2983:
	s_delay_alu instid0(SALU_CYCLE_1)
	s_and_not1_b32 vcc_lo, exec_lo, s1
	s_cbranch_vccnz .LBB23_2985
; %bb.2984:
	s_wait_loadcnt 0x0
	global_load_b32 v1, v[46:47], off
	s_wait_loadcnt 0x0
	v_cvt_i32_f32_e32 v1, v1
.LBB23_2985:
	s_mov_b32 s1, 0
.LBB23_2986:
	s_delay_alu instid0(SALU_CYCLE_1)
	s_and_not1_b32 vcc_lo, exec_lo, s1
	s_cbranch_vccnz .LBB23_2988
; %bb.2987:
	s_wait_loadcnt 0x0
	global_load_b32 v1, v[46:47], off
	s_wait_loadcnt 0x0
	v_cvt_f32_f16_e32 v1, v1
	s_delay_alu instid0(VALU_DEP_1)
	v_cvt_i32_f32_e32 v1, v1
.LBB23_2988:
	s_cbranch_execnz .LBB23_2999
.LBB23_2989:
	s_cmp_lt_i32 s0, 6
	s_cbranch_scc1 .LBB23_2992
; %bb.2990:
	s_cmp_gt_i32 s0, 6
	s_cbranch_scc0 .LBB23_2993
; %bb.2991:
	global_load_b64 v[48:49], v[46:47], off
	s_mov_b32 s1, 0
	s_wait_loadcnt 0x0
	v_cvt_i32_f64_e32 v1, v[48:49]
	s_branch .LBB23_2994
.LBB23_2992:
	s_mov_b32 s1, -1
                                        ; implicit-def: $vgpr1
	s_branch .LBB23_2997
.LBB23_2993:
	s_mov_b32 s1, -1
                                        ; implicit-def: $vgpr1
.LBB23_2994:
	s_delay_alu instid0(SALU_CYCLE_1)
	s_and_not1_b32 vcc_lo, exec_lo, s1
	s_cbranch_vccnz .LBB23_2996
; %bb.2995:
	s_wait_loadcnt 0x0
	global_load_b32 v1, v[46:47], off
	s_wait_loadcnt 0x0
	v_cvt_i32_f32_e32 v1, v1
.LBB23_2996:
	s_mov_b32 s1, 0
.LBB23_2997:
	s_delay_alu instid0(SALU_CYCLE_1)
	s_and_not1_b32 vcc_lo, exec_lo, s1
	s_cbranch_vccnz .LBB23_2999
; %bb.2998:
	s_wait_loadcnt 0x0
	global_load_u16 v1, v[46:47], off
	s_wait_loadcnt 0x0
	v_cvt_f32_f16_e32 v1, v1
	s_delay_alu instid0(VALU_DEP_1)
	v_cvt_i32_f32_e32 v1, v1
.LBB23_2999:
	s_cbranch_execnz .LBB23_3018
.LBB23_3000:
	s_cmp_lt_i32 s0, 2
	s_cbranch_scc1 .LBB23_3004
; %bb.3001:
	s_cmp_lt_i32 s0, 3
	s_cbranch_scc1 .LBB23_3005
; %bb.3002:
	s_cmp_gt_i32 s0, 3
	s_cbranch_scc0 .LBB23_3006
; %bb.3003:
	s_wait_loadcnt 0x0
	global_load_b32 v1, v[46:47], off
	s_mov_b32 s1, 0
	s_branch .LBB23_3007
.LBB23_3004:
                                        ; implicit-def: $vgpr1
	s_branch .LBB23_3013
.LBB23_3005:
	s_mov_b32 s1, -1
                                        ; implicit-def: $vgpr1
	s_branch .LBB23_3010
.LBB23_3006:
	s_mov_b32 s1, -1
                                        ; implicit-def: $vgpr1
.LBB23_3007:
	s_delay_alu instid0(SALU_CYCLE_1)
	s_and_not1_b32 vcc_lo, exec_lo, s1
	s_cbranch_vccnz .LBB23_3009
; %bb.3008:
	s_wait_loadcnt 0x0
	global_load_b32 v1, v[46:47], off
.LBB23_3009:
	s_mov_b32 s1, 0
.LBB23_3010:
	s_delay_alu instid0(SALU_CYCLE_1)
	s_and_not1_b32 vcc_lo, exec_lo, s1
	s_cbranch_vccnz .LBB23_3012
; %bb.3011:
	s_wait_loadcnt 0x0
	global_load_i16 v1, v[46:47], off
.LBB23_3012:
	s_cbranch_execnz .LBB23_3018
.LBB23_3013:
	s_cmp_gt_i32 s0, 0
	s_mov_b32 s0, 0
	s_cbranch_scc0 .LBB23_3015
; %bb.3014:
	s_wait_loadcnt 0x0
	global_load_i8 v1, v[46:47], off
	s_branch .LBB23_3016
.LBB23_3015:
	s_mov_b32 s0, -1
                                        ; implicit-def: $vgpr1
.LBB23_3016:
	s_delay_alu instid0(SALU_CYCLE_1)
	s_and_not1_b32 vcc_lo, exec_lo, s0
	s_cbranch_vccnz .LBB23_3018
; %bb.3017:
	s_wait_loadcnt 0x0
	global_load_u8 v1, v[46:47], off
.LBB23_3018:
.LBB23_3019:
	v_mov_b32_e32 v45, 0
	s_load_b64 s[12:13], s[2:3], 0x258
	global_load_u8 v3, v45, s[2:3] offset:802
	s_wait_kmcnt 0x0
	v_add_nc_u64_e32 v[44:45], s[12:13], v[44:45]
	s_wait_loadcnt 0x0
	v_and_b32_e32 v5, 0xffff, v3
	v_readfirstlane_b32 s35, v3
	s_delay_alu instid0(VALU_DEP_2)
	v_cmp_gt_i32_e32 vcc_lo, 11, v5
	s_cbranch_vccnz .LBB23_3026
; %bb.3020:
	s_and_b32 s0, 0xffff, s35
	s_mov_b32 s8, 0
	s_cmp_gt_i32 s0, 25
	s_cbranch_scc0 .LBB23_3028
; %bb.3021:
	s_cmp_gt_i32 s0, 28
	s_cbranch_scc0 .LBB23_3029
; %bb.3022:
	s_cmp_gt_i32 s0, 43
	s_cbranch_scc0 .LBB23_3030
; %bb.3023:
	s_cmp_gt_i32 s0, 45
	s_cbranch_scc0 .LBB23_3032
; %bb.3024:
	s_cmp_eq_u32 s0, 46
	s_mov_b32 s10, 0
	s_cbranch_scc0 .LBB23_3033
; %bb.3025:
	global_load_b32 v3, v[44:45], off
	s_mov_b32 s1, 0
	s_mov_b32 s9, -1
	s_wait_loadcnt 0x0
	v_lshlrev_b32_e32 v3, 16, v3
	s_delay_alu instid0(VALU_DEP_1)
	v_cvt_i32_f32_e32 v3, v3
	s_branch .LBB23_3035
.LBB23_3026:
	s_mov_b32 s9, 0
                                        ; implicit-def: $vgpr3
	s_cbranch_execnz .LBB23_3096
.LBB23_3027:
	s_and_not1_b32 vcc_lo, exec_lo, s9
	s_cbranch_vccnz .LBB23_3531
	s_branch .LBB23_3143
.LBB23_3028:
	s_mov_b32 s9, 0
	s_mov_b32 s1, 0
                                        ; implicit-def: $vgpr3
	s_cbranch_execnz .LBB23_3062
	s_branch .LBB23_3092
.LBB23_3029:
	s_mov_b32 s10, -1
	s_mov_b32 s9, 0
	s_mov_b32 s1, 0
                                        ; implicit-def: $vgpr3
	s_branch .LBB23_3045
.LBB23_3030:
	s_mov_b32 s10, -1
	s_mov_b32 s9, 0
	s_mov_b32 s1, 0
                                        ; implicit-def: $vgpr3
	s_branch .LBB23_3040
.LBB23_3031:
	s_or_b32 s33, s36, exec_lo
	s_trap 2
	s_cbranch_execz .LBB23_2972
	s_branch .LBB23_2973
.LBB23_3032:
	s_mov_b32 s10, -1
	s_mov_b32 s9, 0
	s_mov_b32 s1, 0
	s_branch .LBB23_3034
.LBB23_3033:
	s_mov_b32 s1, -1
	s_mov_b32 s9, 0
.LBB23_3034:
                                        ; implicit-def: $vgpr3
.LBB23_3035:
	s_and_b32 vcc_lo, exec_lo, s10
	s_cbranch_vccz .LBB23_3039
; %bb.3036:
	s_cmp_eq_u32 s0, 44
	s_cbranch_scc0 .LBB23_3038
; %bb.3037:
	global_load_u8 v3, v[44:45], off
	s_mov_b32 s1, 0
	s_mov_b32 s9, -1
	s_wait_loadcnt 0x0
	v_lshlrev_b32_e32 v5, 23, v3
	v_cmp_ne_u32_e32 vcc_lo, 0, v3
	s_delay_alu instid0(VALU_DEP_2) | instskip(NEXT) | instid1(VALU_DEP_1)
	v_cvt_i32_f32_e32 v5, v5
	v_cndmask_b32_e32 v3, 0, v5, vcc_lo
	s_branch .LBB23_3039
.LBB23_3038:
	s_mov_b32 s1, -1
                                        ; implicit-def: $vgpr3
.LBB23_3039:
	s_mov_b32 s10, 0
.LBB23_3040:
	s_delay_alu instid0(SALU_CYCLE_1)
	s_and_b32 vcc_lo, exec_lo, s10
	s_cbranch_vccz .LBB23_3044
; %bb.3041:
	s_cmp_eq_u32 s0, 29
	s_cbranch_scc0 .LBB23_3043
; %bb.3042:
	global_load_b32 v3, v[44:45], off
	s_mov_b32 s1, 0
	s_mov_b32 s9, -1
	s_branch .LBB23_3044
.LBB23_3043:
	s_mov_b32 s1, -1
                                        ; implicit-def: $vgpr3
.LBB23_3044:
	s_mov_b32 s10, 0
.LBB23_3045:
	s_delay_alu instid0(SALU_CYCLE_1)
	s_and_b32 vcc_lo, exec_lo, s10
	s_cbranch_vccz .LBB23_3061
; %bb.3046:
	s_cmp_lt_i32 s0, 27
	s_cbranch_scc1 .LBB23_3049
; %bb.3047:
	s_cmp_gt_i32 s0, 27
	s_cbranch_scc0 .LBB23_3050
; %bb.3048:
	s_wait_loadcnt 0x0
	global_load_b32 v3, v[44:45], off
	s_mov_b32 s9, 0
	s_branch .LBB23_3051
.LBB23_3049:
	s_mov_b32 s9, -1
                                        ; implicit-def: $vgpr3
	s_branch .LBB23_3054
.LBB23_3050:
	s_mov_b32 s9, -1
                                        ; implicit-def: $vgpr3
.LBB23_3051:
	s_delay_alu instid0(SALU_CYCLE_1)
	s_and_not1_b32 vcc_lo, exec_lo, s9
	s_cbranch_vccnz .LBB23_3053
; %bb.3052:
	s_wait_loadcnt 0x0
	global_load_u16 v3, v[44:45], off
.LBB23_3053:
	s_mov_b32 s9, 0
.LBB23_3054:
	s_delay_alu instid0(SALU_CYCLE_1)
	s_and_not1_b32 vcc_lo, exec_lo, s9
	s_cbranch_vccnz .LBB23_3060
; %bb.3055:
	global_load_u8 v5, v[44:45], off
	s_mov_b32 s10, 0
	s_mov_b32 s9, exec_lo
	s_wait_loadcnt 0x0
	v_cmpx_lt_i16_e32 0x7f, v5
	s_xor_b32 s9, exec_lo, s9
	s_cbranch_execz .LBB23_3071
; %bb.3056:
	v_cmp_ne_u16_e32 vcc_lo, 0x80, v5
	s_and_b32 s10, vcc_lo, exec_lo
	s_and_not1_saveexec_b32 s9, s9
	s_cbranch_execnz .LBB23_3072
.LBB23_3057:
	s_or_b32 exec_lo, exec_lo, s9
	v_mov_b32_e32 v3, 0
	s_and_saveexec_b32 s9, s10
	s_cbranch_execz .LBB23_3059
.LBB23_3058:
	v_and_b32_e32 v3, 0xffff, v5
	s_delay_alu instid0(VALU_DEP_1) | instskip(SKIP_1) | instid1(VALU_DEP_2)
	v_and_b32_e32 v7, 7, v3
	v_bfe_u32 v13, v3, 3, 4
	v_clz_i32_u32_e32 v9, v7
	s_delay_alu instid0(VALU_DEP_2) | instskip(NEXT) | instid1(VALU_DEP_2)
	v_cmp_eq_u32_e32 vcc_lo, 0, v13
	v_min_u32_e32 v9, 32, v9
	s_delay_alu instid0(VALU_DEP_1) | instskip(NEXT) | instid1(VALU_DEP_1)
	v_subrev_nc_u32_e32 v11, 28, v9
	v_dual_lshlrev_b32 v3, v11, v3 :: v_dual_sub_nc_u32 v9, 29, v9
	s_delay_alu instid0(VALU_DEP_1) | instskip(NEXT) | instid1(VALU_DEP_1)
	v_dual_lshlrev_b32 v5, 24, v5 :: v_dual_bitop2_b32 v3, 7, v3 bitop3:0x40
	v_dual_cndmask_b32 v3, v7, v3, vcc_lo :: v_dual_cndmask_b32 v9, v13, v9, vcc_lo
	s_delay_alu instid0(VALU_DEP_2) | instskip(NEXT) | instid1(VALU_DEP_2)
	v_and_b32_e32 v5, 0x80000000, v5
	v_lshlrev_b32_e32 v3, 20, v3
	s_delay_alu instid0(VALU_DEP_3) | instskip(NEXT) | instid1(VALU_DEP_1)
	v_lshl_add_u32 v7, v9, 23, 0x3b800000
	v_or3_b32 v3, v5, v7, v3
	s_delay_alu instid0(VALU_DEP_1)
	v_cvt_i32_f32_e32 v3, v3
.LBB23_3059:
	s_or_b32 exec_lo, exec_lo, s9
.LBB23_3060:
	s_mov_b32 s9, -1
.LBB23_3061:
	s_branch .LBB23_3092
.LBB23_3062:
	s_cmp_gt_i32 s0, 22
	s_cbranch_scc0 .LBB23_3070
; %bb.3063:
	s_cmp_lt_i32 s0, 24
	s_cbranch_scc1 .LBB23_3073
; %bb.3064:
	s_cmp_gt_i32 s0, 24
	s_cbranch_scc0 .LBB23_3074
; %bb.3065:
	global_load_u8 v5, v[44:45], off
	s_mov_b32 s9, 0
	s_mov_b32 s8, exec_lo
	s_wait_loadcnt 0x0
	v_cmpx_lt_i16_e32 0x7f, v5
	s_xor_b32 s8, exec_lo, s8
	s_cbranch_execz .LBB23_3086
; %bb.3066:
	v_cmp_ne_u16_e32 vcc_lo, 0x80, v5
	s_and_b32 s9, vcc_lo, exec_lo
	s_and_not1_saveexec_b32 s8, s8
	s_cbranch_execnz .LBB23_3087
.LBB23_3067:
	s_or_b32 exec_lo, exec_lo, s8
	v_mov_b32_e32 v3, 0
	s_and_saveexec_b32 s8, s9
	s_cbranch_execz .LBB23_3069
.LBB23_3068:
	v_and_b32_e32 v3, 0xffff, v5
	s_delay_alu instid0(VALU_DEP_1) | instskip(SKIP_1) | instid1(VALU_DEP_2)
	v_and_b32_e32 v7, 3, v3
	v_bfe_u32 v13, v3, 2, 5
	v_clz_i32_u32_e32 v9, v7
	s_delay_alu instid0(VALU_DEP_2) | instskip(NEXT) | instid1(VALU_DEP_2)
	v_cmp_eq_u32_e32 vcc_lo, 0, v13
	v_min_u32_e32 v9, 32, v9
	s_delay_alu instid0(VALU_DEP_1) | instskip(NEXT) | instid1(VALU_DEP_1)
	v_subrev_nc_u32_e32 v11, 29, v9
	v_dual_lshlrev_b32 v3, v11, v3 :: v_dual_sub_nc_u32 v9, 30, v9
	s_delay_alu instid0(VALU_DEP_1) | instskip(NEXT) | instid1(VALU_DEP_1)
	v_dual_lshlrev_b32 v5, 24, v5 :: v_dual_bitop2_b32 v3, 3, v3 bitop3:0x40
	v_dual_cndmask_b32 v3, v7, v3, vcc_lo :: v_dual_cndmask_b32 v9, v13, v9, vcc_lo
	s_delay_alu instid0(VALU_DEP_2) | instskip(NEXT) | instid1(VALU_DEP_2)
	v_and_b32_e32 v5, 0x80000000, v5
	v_lshlrev_b32_e32 v3, 21, v3
	s_delay_alu instid0(VALU_DEP_3) | instskip(NEXT) | instid1(VALU_DEP_1)
	v_lshl_add_u32 v7, v9, 23, 0x37800000
	v_or3_b32 v3, v5, v7, v3
	s_delay_alu instid0(VALU_DEP_1)
	v_cvt_i32_f32_e32 v3, v3
.LBB23_3069:
	s_or_b32 exec_lo, exec_lo, s8
	s_mov_b32 s8, 0
	s_branch .LBB23_3075
.LBB23_3070:
	s_mov_b32 s8, -1
                                        ; implicit-def: $vgpr3
	s_branch .LBB23_3081
.LBB23_3071:
	s_and_not1_saveexec_b32 s9, s9
	s_cbranch_execz .LBB23_3057
.LBB23_3072:
	v_cmp_ne_u16_e32 vcc_lo, 0, v5
	s_and_not1_b32 s10, s10, exec_lo
	s_and_b32 s11, vcc_lo, exec_lo
	s_delay_alu instid0(SALU_CYCLE_1)
	s_or_b32 s10, s10, s11
	s_or_b32 exec_lo, exec_lo, s9
	v_mov_b32_e32 v3, 0
	s_and_saveexec_b32 s9, s10
	s_cbranch_execnz .LBB23_3058
	s_branch .LBB23_3059
.LBB23_3073:
	s_mov_b32 s8, -1
                                        ; implicit-def: $vgpr3
	s_branch .LBB23_3078
.LBB23_3074:
	s_mov_b32 s8, -1
                                        ; implicit-def: $vgpr3
.LBB23_3075:
	s_delay_alu instid0(SALU_CYCLE_1)
	s_and_b32 vcc_lo, exec_lo, s8
	s_cbranch_vccz .LBB23_3077
; %bb.3076:
	s_wait_loadcnt 0x0
	global_load_u8 v3, v[44:45], off
	s_wait_loadcnt 0x0
	v_lshlrev_b32_e32 v3, 24, v3
	s_delay_alu instid0(VALU_DEP_1) | instskip(NEXT) | instid1(VALU_DEP_1)
	v_and_b32_e32 v5, 0x7f000000, v3
	v_clz_i32_u32_e32 v7, v5
	v_add_nc_u32_e32 v11, 0x1000000, v5
	v_cmp_ne_u32_e32 vcc_lo, 0, v5
	s_delay_alu instid0(VALU_DEP_3) | instskip(NEXT) | instid1(VALU_DEP_1)
	v_min_u32_e32 v7, 32, v7
	v_sub_nc_u32_e64 v7, v7, 4 clamp
	s_delay_alu instid0(VALU_DEP_1) | instskip(NEXT) | instid1(VALU_DEP_1)
	v_dual_lshlrev_b32 v9, v7, v5 :: v_dual_lshlrev_b32 v7, 23, v7
	v_lshrrev_b32_e32 v9, 4, v9
	s_delay_alu instid0(VALU_DEP_1) | instskip(SKIP_1) | instid1(VALU_DEP_2)
	v_sub_nc_u32_e32 v7, v9, v7
	v_ashrrev_i32_e32 v9, 8, v11
	v_add_nc_u32_e32 v7, 0x3c000000, v7
	s_delay_alu instid0(VALU_DEP_1) | instskip(NEXT) | instid1(VALU_DEP_1)
	v_and_or_b32 v7, 0x7f800000, v9, v7
	v_cndmask_b32_e32 v5, 0, v7, vcc_lo
	s_delay_alu instid0(VALU_DEP_1) | instskip(NEXT) | instid1(VALU_DEP_1)
	v_and_or_b32 v3, 0x80000000, v3, v5
	v_cvt_i32_f32_e32 v3, v3
.LBB23_3077:
	s_mov_b32 s8, 0
.LBB23_3078:
	s_delay_alu instid0(SALU_CYCLE_1)
	s_and_not1_b32 vcc_lo, exec_lo, s8
	s_cbranch_vccnz .LBB23_3080
; %bb.3079:
	s_wait_loadcnt 0x0
	global_load_u8 v3, v[44:45], off
	s_wait_loadcnt 0x0
	v_lshlrev_b32_e32 v5, 25, v3
	v_lshlrev_b16 v3, 8, v3
	s_delay_alu instid0(VALU_DEP_1) | instskip(SKIP_1) | instid1(VALU_DEP_2)
	v_and_or_b32 v9, 0x7f00, v3, 0.5
	v_bfe_i32 v3, v3, 0, 16
	v_add_f32_e32 v9, -0.5, v9
	v_lshrrev_b32_e32 v7, 4, v5
	v_cmp_gt_u32_e32 vcc_lo, 0x8000000, v5
	s_delay_alu instid0(VALU_DEP_2) | instskip(NEXT) | instid1(VALU_DEP_1)
	v_or_b32_e32 v7, 0x70000000, v7
	v_mul_f32_e32 v7, 0x7800000, v7
	s_delay_alu instid0(VALU_DEP_1) | instskip(NEXT) | instid1(VALU_DEP_1)
	v_cndmask_b32_e32 v5, v7, v9, vcc_lo
	v_and_or_b32 v3, 0x80000000, v3, v5
	s_delay_alu instid0(VALU_DEP_1)
	v_cvt_i32_f32_e32 v3, v3
.LBB23_3080:
	s_mov_b32 s8, 0
	s_mov_b32 s9, -1
.LBB23_3081:
	s_and_not1_b32 vcc_lo, exec_lo, s8
	s_mov_b32 s8, 0
	s_cbranch_vccnz .LBB23_3092
; %bb.3082:
	s_cmp_gt_i32 s0, 14
	s_cbranch_scc0 .LBB23_3085
; %bb.3083:
	s_cmp_eq_u32 s0, 15
	s_cbranch_scc0 .LBB23_3088
; %bb.3084:
	s_wait_loadcnt 0x0
	global_load_u16 v3, v[44:45], off
	s_mov_b32 s1, 0
	s_mov_b32 s9, -1
	s_wait_loadcnt 0x0
	v_lshlrev_b32_e32 v3, 16, v3
	s_delay_alu instid0(VALU_DEP_1)
	v_cvt_i32_f32_e32 v3, v3
	s_branch .LBB23_3090
.LBB23_3085:
	s_mov_b32 s8, -1
	s_branch .LBB23_3089
.LBB23_3086:
	s_and_not1_saveexec_b32 s8, s8
	s_cbranch_execz .LBB23_3067
.LBB23_3087:
	v_cmp_ne_u16_e32 vcc_lo, 0, v5
	s_and_not1_b32 s9, s9, exec_lo
	s_and_b32 s10, vcc_lo, exec_lo
	s_delay_alu instid0(SALU_CYCLE_1)
	s_or_b32 s9, s9, s10
	s_or_b32 exec_lo, exec_lo, s8
	v_mov_b32_e32 v3, 0
	s_and_saveexec_b32 s8, s9
	s_cbranch_execnz .LBB23_3068
	s_branch .LBB23_3069
.LBB23_3088:
	s_mov_b32 s1, -1
.LBB23_3089:
                                        ; implicit-def: $vgpr3
.LBB23_3090:
	s_and_b32 vcc_lo, exec_lo, s8
	s_mov_b32 s8, 0
	s_cbranch_vccz .LBB23_3092
; %bb.3091:
	s_cmp_lg_u32 s0, 11
	s_mov_b32 s8, -1
	s_cselect_b32 s1, -1, 0
.LBB23_3092:
	s_delay_alu instid0(SALU_CYCLE_1)
	s_and_b32 vcc_lo, exec_lo, s1
	s_cbranch_vccnz .LBB23_3155
; %bb.3093:
	s_and_not1_b32 vcc_lo, exec_lo, s8
	s_cbranch_vccnz .LBB23_3095
.LBB23_3094:
	s_wait_loadcnt 0x0
	global_load_u8 v3, v[44:45], off
	s_mov_b32 s9, -1
	s_wait_loadcnt 0x0
	v_cmp_ne_u16_e32 vcc_lo, 0, v3
	v_cndmask_b32_e64 v3, 0, 1, vcc_lo
.LBB23_3095:
	s_branch .LBB23_3027
.LBB23_3096:
	s_and_b32 s0, 0xffff, s35
	s_delay_alu instid0(SALU_CYCLE_1)
	s_cmp_lt_i32 s0, 5
	s_cbranch_scc1 .LBB23_3101
; %bb.3097:
	s_cmp_lt_i32 s0, 8
	s_cbranch_scc1 .LBB23_3102
; %bb.3098:
	;; [unrolled: 3-line block ×3, first 2 shown]
	s_cmp_gt_i32 s0, 9
	s_cbranch_scc0 .LBB23_3104
; %bb.3100:
	global_load_b64 v[46:47], v[44:45], off
	s_mov_b32 s1, 0
	s_wait_loadcnt 0x0
	v_cvt_i32_f64_e32 v3, v[46:47]
	s_branch .LBB23_3105
.LBB23_3101:
                                        ; implicit-def: $vgpr3
	s_branch .LBB23_3123
.LBB23_3102:
	s_mov_b32 s1, -1
                                        ; implicit-def: $vgpr3
	s_branch .LBB23_3111
.LBB23_3103:
	s_mov_b32 s1, -1
                                        ; implicit-def: $vgpr3
	s_branch .LBB23_3108
.LBB23_3104:
	s_mov_b32 s1, -1
                                        ; implicit-def: $vgpr3
.LBB23_3105:
	s_delay_alu instid0(SALU_CYCLE_1)
	s_and_not1_b32 vcc_lo, exec_lo, s1
	s_cbranch_vccnz .LBB23_3107
; %bb.3106:
	s_wait_loadcnt 0x0
	global_load_b32 v3, v[44:45], off
	s_wait_loadcnt 0x0
	v_cvt_i32_f32_e32 v3, v3
.LBB23_3107:
	s_mov_b32 s1, 0
.LBB23_3108:
	s_delay_alu instid0(SALU_CYCLE_1)
	s_and_not1_b32 vcc_lo, exec_lo, s1
	s_cbranch_vccnz .LBB23_3110
; %bb.3109:
	s_wait_loadcnt 0x0
	global_load_b32 v3, v[44:45], off
	s_wait_loadcnt 0x0
	v_cvt_f32_f16_e32 v3, v3
	s_delay_alu instid0(VALU_DEP_1)
	v_cvt_i32_f32_e32 v3, v3
.LBB23_3110:
	s_mov_b32 s1, 0
.LBB23_3111:
	s_delay_alu instid0(SALU_CYCLE_1)
	s_and_not1_b32 vcc_lo, exec_lo, s1
	s_cbranch_vccnz .LBB23_3122
; %bb.3112:
	s_cmp_lt_i32 s0, 6
	s_cbranch_scc1 .LBB23_3115
; %bb.3113:
	s_cmp_gt_i32 s0, 6
	s_cbranch_scc0 .LBB23_3116
; %bb.3114:
	global_load_b64 v[46:47], v[44:45], off
	s_mov_b32 s1, 0
	s_wait_loadcnt 0x0
	v_cvt_i32_f64_e32 v3, v[46:47]
	s_branch .LBB23_3117
.LBB23_3115:
	s_mov_b32 s1, -1
                                        ; implicit-def: $vgpr3
	s_branch .LBB23_3120
.LBB23_3116:
	s_mov_b32 s1, -1
                                        ; implicit-def: $vgpr3
.LBB23_3117:
	s_delay_alu instid0(SALU_CYCLE_1)
	s_and_not1_b32 vcc_lo, exec_lo, s1
	s_cbranch_vccnz .LBB23_3119
; %bb.3118:
	s_wait_loadcnt 0x0
	global_load_b32 v3, v[44:45], off
	s_wait_loadcnt 0x0
	v_cvt_i32_f32_e32 v3, v3
.LBB23_3119:
	s_mov_b32 s1, 0
.LBB23_3120:
	s_delay_alu instid0(SALU_CYCLE_1)
	s_and_not1_b32 vcc_lo, exec_lo, s1
	s_cbranch_vccnz .LBB23_3122
; %bb.3121:
	s_wait_loadcnt 0x0
	global_load_u16 v3, v[44:45], off
	s_wait_loadcnt 0x0
	v_cvt_f32_f16_e32 v3, v3
	s_delay_alu instid0(VALU_DEP_1)
	v_cvt_i32_f32_e32 v3, v3
.LBB23_3122:
	s_cbranch_execnz .LBB23_3142
.LBB23_3123:
	s_cmp_lt_i32 s0, 2
	s_cbranch_scc1 .LBB23_3127
; %bb.3124:
	s_cmp_lt_i32 s0, 3
	s_cbranch_scc1 .LBB23_3128
; %bb.3125:
	s_cmp_gt_i32 s0, 3
	s_cbranch_scc0 .LBB23_3129
; %bb.3126:
	s_wait_loadcnt 0x0
	global_load_b32 v3, v[44:45], off
	s_mov_b32 s1, 0
	s_branch .LBB23_3130
.LBB23_3127:
	s_mov_b32 s1, -1
                                        ; implicit-def: $vgpr3
	s_branch .LBB23_3136
.LBB23_3128:
	s_mov_b32 s1, -1
                                        ; implicit-def: $vgpr3
	s_branch .LBB23_3133
.LBB23_3129:
	s_mov_b32 s1, -1
                                        ; implicit-def: $vgpr3
.LBB23_3130:
	s_delay_alu instid0(SALU_CYCLE_1)
	s_and_not1_b32 vcc_lo, exec_lo, s1
	s_cbranch_vccnz .LBB23_3132
; %bb.3131:
	s_wait_loadcnt 0x0
	global_load_b32 v3, v[44:45], off
.LBB23_3132:
	s_mov_b32 s1, 0
.LBB23_3133:
	s_delay_alu instid0(SALU_CYCLE_1)
	s_and_not1_b32 vcc_lo, exec_lo, s1
	s_cbranch_vccnz .LBB23_3135
; %bb.3134:
	s_wait_loadcnt 0x0
	global_load_i16 v3, v[44:45], off
.LBB23_3135:
	s_mov_b32 s1, 0
.LBB23_3136:
	s_delay_alu instid0(SALU_CYCLE_1)
	s_and_not1_b32 vcc_lo, exec_lo, s1
	s_cbranch_vccnz .LBB23_3142
; %bb.3137:
	s_cmp_gt_i32 s0, 0
	s_mov_b32 s0, 0
	s_cbranch_scc0 .LBB23_3139
; %bb.3138:
	s_wait_loadcnt 0x0
	global_load_i8 v3, v[44:45], off
	s_branch .LBB23_3140
.LBB23_3139:
	s_mov_b32 s0, -1
                                        ; implicit-def: $vgpr3
.LBB23_3140:
	s_delay_alu instid0(SALU_CYCLE_1)
	s_and_not1_b32 vcc_lo, exec_lo, s0
	s_cbranch_vccnz .LBB23_3142
; %bb.3141:
	s_wait_loadcnt 0x0
	global_load_u8 v3, v[44:45], off
.LBB23_3142:
.LBB23_3143:
	v_mov_b32_e32 v43, 0
	s_load_b64 s[14:15], s[2:3], 0x260
	global_load_u8 v5, v43, s[2:3] offset:803
	s_wait_kmcnt 0x0
	v_add_nc_u64_e32 v[44:45], s[14:15], v[42:43]
	s_wait_loadcnt 0x0
	v_and_b32_e32 v7, 0xffff, v5
	v_readfirstlane_b32 s47, v5
	s_delay_alu instid0(VALU_DEP_2)
	v_cmp_gt_i32_e32 vcc_lo, 11, v7
	s_cbranch_vccnz .LBB23_3150
; %bb.3144:
	s_and_b32 s0, 0xffff, s47
	s_mov_b32 s8, 0
	s_cmp_gt_i32 s0, 25
	s_cbranch_scc0 .LBB23_3152
; %bb.3145:
	s_cmp_gt_i32 s0, 28
	s_cbranch_scc0 .LBB23_3153
; %bb.3146:
	;; [unrolled: 3-line block ×4, first 2 shown]
	s_cmp_eq_u32 s0, 46
	s_mov_b32 s10, 0
	s_cbranch_scc0 .LBB23_3157
; %bb.3149:
	global_load_b32 v5, v[44:45], off
	s_mov_b32 s1, 0
	s_mov_b32 s9, -1
	s_wait_loadcnt 0x0
	v_lshlrev_b32_e32 v5, 16, v5
	s_delay_alu instid0(VALU_DEP_1)
	v_cvt_i32_f32_e32 v42, v5
	s_branch .LBB23_3159
.LBB23_3150:
	s_mov_b32 s9, 0
                                        ; implicit-def: $vgpr42
	s_cbranch_execnz .LBB23_3221
.LBB23_3151:
	s_and_not1_b32 vcc_lo, exec_lo, s9
	s_cbranch_vccnz .LBB23_3531
	s_branch .LBB23_3269
.LBB23_3152:
	s_mov_b32 s10, -1
	s_mov_b32 s9, 0
	s_mov_b32 s1, 0
                                        ; implicit-def: $vgpr42
	s_branch .LBB23_3186
.LBB23_3153:
	s_mov_b32 s10, -1
	s_mov_b32 s9, 0
	s_mov_b32 s1, 0
                                        ; implicit-def: $vgpr42
	s_branch .LBB23_3169
.LBB23_3154:
	s_mov_b32 s10, -1
	s_mov_b32 s9, 0
	s_mov_b32 s1, 0
                                        ; implicit-def: $vgpr42
	s_branch .LBB23_3164
.LBB23_3155:
	s_or_b32 s33, s33, exec_lo
	s_trap 2
	s_cbranch_execz .LBB23_3094
	s_branch .LBB23_3095
.LBB23_3156:
	s_mov_b32 s10, -1
	s_mov_b32 s9, 0
	s_mov_b32 s1, 0
	s_branch .LBB23_3158
.LBB23_3157:
	s_mov_b32 s1, -1
	s_mov_b32 s9, 0
.LBB23_3158:
                                        ; implicit-def: $vgpr42
.LBB23_3159:
	s_and_b32 vcc_lo, exec_lo, s10
	s_cbranch_vccz .LBB23_3163
; %bb.3160:
	s_cmp_eq_u32 s0, 44
	s_cbranch_scc0 .LBB23_3162
; %bb.3161:
	global_load_u8 v5, v[44:45], off
	s_mov_b32 s1, 0
	s_mov_b32 s9, -1
	s_wait_loadcnt 0x0
	v_lshlrev_b32_e32 v7, 23, v5
	v_cmp_ne_u32_e32 vcc_lo, 0, v5
	s_delay_alu instid0(VALU_DEP_2) | instskip(NEXT) | instid1(VALU_DEP_1)
	v_cvt_i32_f32_e32 v7, v7
	v_cndmask_b32_e32 v42, 0, v7, vcc_lo
	s_branch .LBB23_3163
.LBB23_3162:
	s_mov_b32 s1, -1
                                        ; implicit-def: $vgpr42
.LBB23_3163:
	s_mov_b32 s10, 0
.LBB23_3164:
	s_delay_alu instid0(SALU_CYCLE_1)
	s_and_b32 vcc_lo, exec_lo, s10
	s_cbranch_vccz .LBB23_3168
; %bb.3165:
	s_cmp_eq_u32 s0, 29
	s_cbranch_scc0 .LBB23_3167
; %bb.3166:
	global_load_b32 v42, v[44:45], off
	s_mov_b32 s1, 0
	s_mov_b32 s9, -1
	s_branch .LBB23_3168
.LBB23_3167:
	s_mov_b32 s1, -1
                                        ; implicit-def: $vgpr42
.LBB23_3168:
	s_mov_b32 s10, 0
.LBB23_3169:
	s_delay_alu instid0(SALU_CYCLE_1)
	s_and_b32 vcc_lo, exec_lo, s10
	s_cbranch_vccz .LBB23_3185
; %bb.3170:
	s_cmp_lt_i32 s0, 27
	s_cbranch_scc1 .LBB23_3173
; %bb.3171:
	s_cmp_gt_i32 s0, 27
	s_cbranch_scc0 .LBB23_3174
; %bb.3172:
	s_wait_loadcnt 0x0
	global_load_b32 v42, v[44:45], off
	s_mov_b32 s9, 0
	s_branch .LBB23_3175
.LBB23_3173:
	s_mov_b32 s9, -1
                                        ; implicit-def: $vgpr42
	s_branch .LBB23_3178
.LBB23_3174:
	s_mov_b32 s9, -1
                                        ; implicit-def: $vgpr42
.LBB23_3175:
	s_delay_alu instid0(SALU_CYCLE_1)
	s_and_not1_b32 vcc_lo, exec_lo, s9
	s_cbranch_vccnz .LBB23_3177
; %bb.3176:
	s_wait_loadcnt 0x0
	global_load_u16 v42, v[44:45], off
.LBB23_3177:
	s_mov_b32 s9, 0
.LBB23_3178:
	s_delay_alu instid0(SALU_CYCLE_1)
	s_and_not1_b32 vcc_lo, exec_lo, s9
	s_cbranch_vccnz .LBB23_3184
; %bb.3179:
	global_load_u8 v5, v[44:45], off
	s_mov_b32 s10, 0
	s_mov_b32 s9, exec_lo
	s_wait_loadcnt 0x0
	v_cmpx_lt_i16_e32 0x7f, v5
	s_xor_b32 s9, exec_lo, s9
	s_cbranch_execz .LBB23_3196
; %bb.3180:
	v_cmp_ne_u16_e32 vcc_lo, 0x80, v5
	s_and_b32 s10, vcc_lo, exec_lo
	s_and_not1_saveexec_b32 s9, s9
	s_cbranch_execnz .LBB23_3197
.LBB23_3181:
	s_or_b32 exec_lo, exec_lo, s9
	v_mov_b32_e32 v42, 0
	s_and_saveexec_b32 s9, s10
	s_cbranch_execz .LBB23_3183
.LBB23_3182:
	v_and_b32_e32 v7, 0xffff, v5
	s_delay_alu instid0(VALU_DEP_1) | instskip(SKIP_1) | instid1(VALU_DEP_2)
	v_dual_lshlrev_b32 v5, 24, v5 :: v_dual_bitop2_b32 v9, 7, v7 bitop3:0x40
	v_bfe_u32 v15, v7, 3, 4
	v_and_b32_e32 v5, 0x80000000, v5
	s_delay_alu instid0(VALU_DEP_3) | instskip(NEXT) | instid1(VALU_DEP_3)
	v_clz_i32_u32_e32 v11, v9
	v_cmp_eq_u32_e32 vcc_lo, 0, v15
	s_delay_alu instid0(VALU_DEP_2) | instskip(NEXT) | instid1(VALU_DEP_1)
	v_min_u32_e32 v11, 32, v11
	v_subrev_nc_u32_e32 v13, 28, v11
	v_sub_nc_u32_e32 v11, 29, v11
	s_delay_alu instid0(VALU_DEP_2) | instskip(NEXT) | instid1(VALU_DEP_2)
	v_lshlrev_b32_e32 v7, v13, v7
	v_cndmask_b32_e32 v11, v15, v11, vcc_lo
	s_delay_alu instid0(VALU_DEP_2) | instskip(NEXT) | instid1(VALU_DEP_1)
	v_and_b32_e32 v7, 7, v7
	v_cndmask_b32_e32 v7, v9, v7, vcc_lo
	s_delay_alu instid0(VALU_DEP_3) | instskip(NEXT) | instid1(VALU_DEP_2)
	v_lshl_add_u32 v9, v11, 23, 0x3b800000
	v_lshlrev_b32_e32 v7, 20, v7
	s_delay_alu instid0(VALU_DEP_1) | instskip(NEXT) | instid1(VALU_DEP_1)
	v_or3_b32 v5, v5, v9, v7
	v_cvt_i32_f32_e32 v42, v5
.LBB23_3183:
	s_or_b32 exec_lo, exec_lo, s9
.LBB23_3184:
	s_mov_b32 s9, -1
.LBB23_3185:
	s_mov_b32 s10, 0
.LBB23_3186:
	s_delay_alu instid0(SALU_CYCLE_1)
	s_and_b32 vcc_lo, exec_lo, s10
	s_cbranch_vccz .LBB23_3217
; %bb.3187:
	s_cmp_gt_i32 s0, 22
	s_cbranch_scc0 .LBB23_3195
; %bb.3188:
	s_cmp_lt_i32 s0, 24
	s_cbranch_scc1 .LBB23_3198
; %bb.3189:
	s_cmp_gt_i32 s0, 24
	s_cbranch_scc0 .LBB23_3199
; %bb.3190:
	global_load_u8 v5, v[44:45], off
	s_mov_b32 s9, 0
	s_mov_b32 s8, exec_lo
	s_wait_loadcnt 0x0
	v_cmpx_lt_i16_e32 0x7f, v5
	s_xor_b32 s8, exec_lo, s8
	s_cbranch_execz .LBB23_3211
; %bb.3191:
	v_cmp_ne_u16_e32 vcc_lo, 0x80, v5
	s_and_b32 s9, vcc_lo, exec_lo
	s_and_not1_saveexec_b32 s8, s8
	s_cbranch_execnz .LBB23_3212
.LBB23_3192:
	s_or_b32 exec_lo, exec_lo, s8
	v_mov_b32_e32 v42, 0
	s_and_saveexec_b32 s8, s9
	s_cbranch_execz .LBB23_3194
.LBB23_3193:
	v_and_b32_e32 v7, 0xffff, v5
	s_delay_alu instid0(VALU_DEP_1) | instskip(SKIP_1) | instid1(VALU_DEP_2)
	v_dual_lshlrev_b32 v5, 24, v5 :: v_dual_bitop2_b32 v9, 3, v7 bitop3:0x40
	v_bfe_u32 v15, v7, 2, 5
	v_and_b32_e32 v5, 0x80000000, v5
	s_delay_alu instid0(VALU_DEP_3) | instskip(NEXT) | instid1(VALU_DEP_3)
	v_clz_i32_u32_e32 v11, v9
	v_cmp_eq_u32_e32 vcc_lo, 0, v15
	s_delay_alu instid0(VALU_DEP_2) | instskip(NEXT) | instid1(VALU_DEP_1)
	v_min_u32_e32 v11, 32, v11
	v_subrev_nc_u32_e32 v13, 29, v11
	v_sub_nc_u32_e32 v11, 30, v11
	s_delay_alu instid0(VALU_DEP_2) | instskip(NEXT) | instid1(VALU_DEP_2)
	v_lshlrev_b32_e32 v7, v13, v7
	v_cndmask_b32_e32 v11, v15, v11, vcc_lo
	s_delay_alu instid0(VALU_DEP_2) | instskip(NEXT) | instid1(VALU_DEP_1)
	v_and_b32_e32 v7, 3, v7
	v_cndmask_b32_e32 v7, v9, v7, vcc_lo
	s_delay_alu instid0(VALU_DEP_3) | instskip(NEXT) | instid1(VALU_DEP_2)
	v_lshl_add_u32 v9, v11, 23, 0x37800000
	v_lshlrev_b32_e32 v7, 21, v7
	s_delay_alu instid0(VALU_DEP_1) | instskip(NEXT) | instid1(VALU_DEP_1)
	v_or3_b32 v5, v5, v9, v7
	v_cvt_i32_f32_e32 v42, v5
.LBB23_3194:
	s_or_b32 exec_lo, exec_lo, s8
	s_mov_b32 s8, 0
	s_branch .LBB23_3200
.LBB23_3195:
	s_mov_b32 s8, -1
                                        ; implicit-def: $vgpr42
	s_branch .LBB23_3206
.LBB23_3196:
	s_and_not1_saveexec_b32 s9, s9
	s_cbranch_execz .LBB23_3181
.LBB23_3197:
	v_cmp_ne_u16_e32 vcc_lo, 0, v5
	s_and_not1_b32 s10, s10, exec_lo
	s_and_b32 s11, vcc_lo, exec_lo
	s_delay_alu instid0(SALU_CYCLE_1)
	s_or_b32 s10, s10, s11
	s_or_b32 exec_lo, exec_lo, s9
	v_mov_b32_e32 v42, 0
	s_and_saveexec_b32 s9, s10
	s_cbranch_execnz .LBB23_3182
	s_branch .LBB23_3183
.LBB23_3198:
	s_mov_b32 s8, -1
                                        ; implicit-def: $vgpr42
	s_branch .LBB23_3203
.LBB23_3199:
	s_mov_b32 s8, -1
                                        ; implicit-def: $vgpr42
.LBB23_3200:
	s_delay_alu instid0(SALU_CYCLE_1)
	s_and_b32 vcc_lo, exec_lo, s8
	s_cbranch_vccz .LBB23_3202
; %bb.3201:
	global_load_u8 v5, v[44:45], off
	s_wait_loadcnt 0x0
	v_lshlrev_b32_e32 v5, 24, v5
	s_delay_alu instid0(VALU_DEP_1) | instskip(NEXT) | instid1(VALU_DEP_1)
	v_and_b32_e32 v7, 0x7f000000, v5
	v_clz_i32_u32_e32 v9, v7
	v_add_nc_u32_e32 v13, 0x1000000, v7
	v_cmp_ne_u32_e32 vcc_lo, 0, v7
	s_delay_alu instid0(VALU_DEP_3) | instskip(NEXT) | instid1(VALU_DEP_1)
	v_min_u32_e32 v9, 32, v9
	v_sub_nc_u32_e64 v9, v9, 4 clamp
	s_delay_alu instid0(VALU_DEP_1) | instskip(NEXT) | instid1(VALU_DEP_1)
	v_dual_lshlrev_b32 v11, v9, v7 :: v_dual_lshlrev_b32 v9, 23, v9
	v_lshrrev_b32_e32 v11, 4, v11
	s_delay_alu instid0(VALU_DEP_1) | instskip(SKIP_1) | instid1(VALU_DEP_2)
	v_sub_nc_u32_e32 v9, v11, v9
	v_ashrrev_i32_e32 v11, 8, v13
	v_add_nc_u32_e32 v9, 0x3c000000, v9
	s_delay_alu instid0(VALU_DEP_1) | instskip(NEXT) | instid1(VALU_DEP_1)
	v_and_or_b32 v9, 0x7f800000, v11, v9
	v_cndmask_b32_e32 v7, 0, v9, vcc_lo
	s_delay_alu instid0(VALU_DEP_1) | instskip(NEXT) | instid1(VALU_DEP_1)
	v_and_or_b32 v5, 0x80000000, v5, v7
	v_cvt_i32_f32_e32 v42, v5
.LBB23_3202:
	s_mov_b32 s8, 0
.LBB23_3203:
	s_delay_alu instid0(SALU_CYCLE_1)
	s_and_not1_b32 vcc_lo, exec_lo, s8
	s_cbranch_vccnz .LBB23_3205
; %bb.3204:
	global_load_u8 v5, v[44:45], off
	s_wait_loadcnt 0x0
	v_lshlrev_b32_e32 v7, 25, v5
	v_lshlrev_b16 v5, 8, v5
	s_delay_alu instid0(VALU_DEP_1) | instskip(SKIP_1) | instid1(VALU_DEP_2)
	v_and_or_b32 v11, 0x7f00, v5, 0.5
	v_bfe_i32 v5, v5, 0, 16
	v_add_f32_e32 v11, -0.5, v11
	v_lshrrev_b32_e32 v9, 4, v7
	v_cmp_gt_u32_e32 vcc_lo, 0x8000000, v7
	s_delay_alu instid0(VALU_DEP_2) | instskip(NEXT) | instid1(VALU_DEP_1)
	v_or_b32_e32 v9, 0x70000000, v9
	v_mul_f32_e32 v9, 0x7800000, v9
	s_delay_alu instid0(VALU_DEP_1) | instskip(NEXT) | instid1(VALU_DEP_1)
	v_cndmask_b32_e32 v7, v9, v11, vcc_lo
	v_and_or_b32 v5, 0x80000000, v5, v7
	s_delay_alu instid0(VALU_DEP_1)
	v_cvt_i32_f32_e32 v42, v5
.LBB23_3205:
	s_mov_b32 s8, 0
	s_mov_b32 s9, -1
.LBB23_3206:
	s_and_not1_b32 vcc_lo, exec_lo, s8
	s_mov_b32 s8, 0
	s_cbranch_vccnz .LBB23_3217
; %bb.3207:
	s_cmp_gt_i32 s0, 14
	s_cbranch_scc0 .LBB23_3210
; %bb.3208:
	s_cmp_eq_u32 s0, 15
	s_cbranch_scc0 .LBB23_3213
; %bb.3209:
	global_load_u16 v5, v[44:45], off
	s_mov_b32 s1, 0
	s_mov_b32 s9, -1
	s_wait_loadcnt 0x0
	v_lshlrev_b32_e32 v5, 16, v5
	s_delay_alu instid0(VALU_DEP_1)
	v_cvt_i32_f32_e32 v42, v5
	s_branch .LBB23_3215
.LBB23_3210:
	s_mov_b32 s8, -1
	s_branch .LBB23_3214
.LBB23_3211:
	s_and_not1_saveexec_b32 s8, s8
	s_cbranch_execz .LBB23_3192
.LBB23_3212:
	v_cmp_ne_u16_e32 vcc_lo, 0, v5
	s_and_not1_b32 s9, s9, exec_lo
	s_and_b32 s10, vcc_lo, exec_lo
	s_delay_alu instid0(SALU_CYCLE_1)
	s_or_b32 s9, s9, s10
	s_or_b32 exec_lo, exec_lo, s8
	v_mov_b32_e32 v42, 0
	s_and_saveexec_b32 s8, s9
	s_cbranch_execnz .LBB23_3193
	s_branch .LBB23_3194
.LBB23_3213:
	s_mov_b32 s1, -1
.LBB23_3214:
                                        ; implicit-def: $vgpr42
.LBB23_3215:
	s_and_b32 vcc_lo, exec_lo, s8
	s_mov_b32 s8, 0
	s_cbranch_vccz .LBB23_3217
; %bb.3216:
	s_cmp_lg_u32 s0, 11
	s_mov_b32 s8, -1
	s_cselect_b32 s1, -1, 0
.LBB23_3217:
	s_delay_alu instid0(SALU_CYCLE_1)
	s_and_b32 vcc_lo, exec_lo, s1
	s_cbranch_vccnz .LBB23_3280
; %bb.3218:
	s_and_not1_b32 vcc_lo, exec_lo, s8
	s_cbranch_vccnz .LBB23_3220
.LBB23_3219:
	global_load_u8 v5, v[44:45], off
	s_mov_b32 s9, -1
	s_wait_loadcnt 0x0
	v_cmp_ne_u16_e32 vcc_lo, 0, v5
	v_cndmask_b32_e64 v42, 0, 1, vcc_lo
.LBB23_3220:
	s_branch .LBB23_3151
.LBB23_3221:
	s_and_b32 s0, 0xffff, s47
	s_delay_alu instid0(SALU_CYCLE_1)
	s_cmp_lt_i32 s0, 5
	s_cbranch_scc1 .LBB23_3226
; %bb.3222:
	s_cmp_lt_i32 s0, 8
	s_cbranch_scc1 .LBB23_3227
; %bb.3223:
	;; [unrolled: 3-line block ×3, first 2 shown]
	s_cmp_gt_i32 s0, 9
	s_cbranch_scc0 .LBB23_3229
; %bb.3225:
	s_wait_loadcnt 0x0
	global_load_b64 v[42:43], v[44:45], off
	s_mov_b32 s1, 0
	s_wait_loadcnt 0x0
	v_cvt_i32_f64_e32 v42, v[42:43]
	s_branch .LBB23_3230
.LBB23_3226:
	s_mov_b32 s1, -1
                                        ; implicit-def: $vgpr42
	s_branch .LBB23_3248
.LBB23_3227:
	s_mov_b32 s1, -1
                                        ; implicit-def: $vgpr42
	s_branch .LBB23_3236
.LBB23_3228:
	s_mov_b32 s1, -1
                                        ; implicit-def: $vgpr42
	s_branch .LBB23_3233
.LBB23_3229:
	s_mov_b32 s1, -1
                                        ; implicit-def: $vgpr42
.LBB23_3230:
	s_delay_alu instid0(SALU_CYCLE_1)
	s_and_not1_b32 vcc_lo, exec_lo, s1
	s_cbranch_vccnz .LBB23_3232
; %bb.3231:
	global_load_b32 v5, v[44:45], off
	s_wait_loadcnt 0x0
	v_cvt_i32_f32_e32 v42, v5
.LBB23_3232:
	s_mov_b32 s1, 0
.LBB23_3233:
	s_delay_alu instid0(SALU_CYCLE_1)
	s_and_not1_b32 vcc_lo, exec_lo, s1
	s_cbranch_vccnz .LBB23_3235
; %bb.3234:
	global_load_b32 v5, v[44:45], off
	s_wait_loadcnt 0x0
	v_cvt_f32_f16_e32 v5, v5
	s_delay_alu instid0(VALU_DEP_1)
	v_cvt_i32_f32_e32 v42, v5
.LBB23_3235:
	s_mov_b32 s1, 0
.LBB23_3236:
	s_delay_alu instid0(SALU_CYCLE_1)
	s_and_not1_b32 vcc_lo, exec_lo, s1
	s_cbranch_vccnz .LBB23_3247
; %bb.3237:
	s_cmp_lt_i32 s0, 6
	s_cbranch_scc1 .LBB23_3240
; %bb.3238:
	s_cmp_gt_i32 s0, 6
	s_cbranch_scc0 .LBB23_3241
; %bb.3239:
	s_wait_loadcnt 0x0
	global_load_b64 v[42:43], v[44:45], off
	s_mov_b32 s1, 0
	s_wait_loadcnt 0x0
	v_cvt_i32_f64_e32 v42, v[42:43]
	s_branch .LBB23_3242
.LBB23_3240:
	s_mov_b32 s1, -1
                                        ; implicit-def: $vgpr42
	s_branch .LBB23_3245
.LBB23_3241:
	s_mov_b32 s1, -1
                                        ; implicit-def: $vgpr42
.LBB23_3242:
	s_delay_alu instid0(SALU_CYCLE_1)
	s_and_not1_b32 vcc_lo, exec_lo, s1
	s_cbranch_vccnz .LBB23_3244
; %bb.3243:
	global_load_b32 v5, v[44:45], off
	s_wait_loadcnt 0x0
	v_cvt_i32_f32_e32 v42, v5
.LBB23_3244:
	s_mov_b32 s1, 0
.LBB23_3245:
	s_delay_alu instid0(SALU_CYCLE_1)
	s_and_not1_b32 vcc_lo, exec_lo, s1
	s_cbranch_vccnz .LBB23_3247
; %bb.3246:
	global_load_u16 v5, v[44:45], off
	s_wait_loadcnt 0x0
	v_cvt_f32_f16_e32 v5, v5
	s_delay_alu instid0(VALU_DEP_1)
	v_cvt_i32_f32_e32 v42, v5
.LBB23_3247:
	s_mov_b32 s1, 0
.LBB23_3248:
	s_delay_alu instid0(SALU_CYCLE_1)
	s_and_not1_b32 vcc_lo, exec_lo, s1
	s_cbranch_vccnz .LBB23_3268
; %bb.3249:
	s_cmp_lt_i32 s0, 2
	s_cbranch_scc1 .LBB23_3253
; %bb.3250:
	s_cmp_lt_i32 s0, 3
	s_cbranch_scc1 .LBB23_3254
; %bb.3251:
	s_cmp_gt_i32 s0, 3
	s_cbranch_scc0 .LBB23_3255
; %bb.3252:
	s_wait_loadcnt 0x0
	global_load_b32 v42, v[44:45], off
	s_mov_b32 s1, 0
	s_branch .LBB23_3256
.LBB23_3253:
	s_mov_b32 s1, -1
                                        ; implicit-def: $vgpr42
	s_branch .LBB23_3262
.LBB23_3254:
	s_mov_b32 s1, -1
                                        ; implicit-def: $vgpr42
	s_branch .LBB23_3259
.LBB23_3255:
	s_mov_b32 s1, -1
                                        ; implicit-def: $vgpr42
.LBB23_3256:
	s_delay_alu instid0(SALU_CYCLE_1)
	s_and_not1_b32 vcc_lo, exec_lo, s1
	s_cbranch_vccnz .LBB23_3258
; %bb.3257:
	s_wait_loadcnt 0x0
	global_load_b32 v42, v[44:45], off
.LBB23_3258:
	s_mov_b32 s1, 0
.LBB23_3259:
	s_delay_alu instid0(SALU_CYCLE_1)
	s_and_not1_b32 vcc_lo, exec_lo, s1
	s_cbranch_vccnz .LBB23_3261
; %bb.3260:
	s_wait_loadcnt 0x0
	global_load_i16 v42, v[44:45], off
.LBB23_3261:
	s_mov_b32 s1, 0
.LBB23_3262:
	s_delay_alu instid0(SALU_CYCLE_1)
	s_and_not1_b32 vcc_lo, exec_lo, s1
	s_cbranch_vccnz .LBB23_3268
; %bb.3263:
	s_cmp_gt_i32 s0, 0
	s_mov_b32 s0, 0
	s_cbranch_scc0 .LBB23_3265
; %bb.3264:
	s_wait_loadcnt 0x0
	global_load_i8 v42, v[44:45], off
	s_branch .LBB23_3266
.LBB23_3265:
	s_mov_b32 s0, -1
                                        ; implicit-def: $vgpr42
.LBB23_3266:
	s_delay_alu instid0(SALU_CYCLE_1)
	s_and_not1_b32 vcc_lo, exec_lo, s0
	s_cbranch_vccnz .LBB23_3268
; %bb.3267:
	s_wait_loadcnt 0x0
	global_load_u8 v42, v[44:45], off
.LBB23_3268:
.LBB23_3269:
	s_clause 0x1
	s_load_b64 s[16:17], s[2:3], 0x268
	s_load_b32 s0, s[2:3], 0x324
	v_mov_b32_e32 v41, 0
	s_wait_kmcnt 0x0
	s_delay_alu instid0(VALU_DEP_1) | instskip(SKIP_1) | instid1(SALU_CYCLE_1)
	v_add_nc_u64_e32 v[44:45], s[16:17], v[40:41]
	s_and_b32 s48, s0, 0xff
	s_cmp_lt_i32 s48, 11
	s_cbranch_scc1 .LBB23_3276
; %bb.3270:
	s_and_b32 s0, 0xffff, s48
	s_mov_b32 s8, 0
	s_cmp_gt_i32 s0, 25
	s_cbranch_scc0 .LBB23_3277
; %bb.3271:
	s_cmp_gt_i32 s0, 28
	s_cbranch_scc0 .LBB23_3278
; %bb.3272:
	;; [unrolled: 3-line block ×4, first 2 shown]
	s_cmp_eq_u32 s0, 46
	s_mov_b32 s10, 0
	s_cbranch_scc0 .LBB23_3282
; %bb.3275:
	global_load_b32 v5, v[44:45], off
	s_mov_b32 s1, 0
	s_mov_b32 s9, -1
	s_wait_loadcnt 0x0
	v_lshlrev_b32_e32 v5, 16, v5
	s_delay_alu instid0(VALU_DEP_1)
	v_cvt_i32_f32_e32 v40, v5
	s_branch .LBB23_3284
.LBB23_3276:
	s_mov_b32 s0, -1
	s_mov_b32 s9, 0
                                        ; implicit-def: $vgpr40
	s_branch .LBB23_3346
.LBB23_3277:
	s_mov_b32 s10, -1
	s_mov_b32 s9, 0
	s_mov_b32 s1, 0
                                        ; implicit-def: $vgpr40
	s_branch .LBB23_3311
.LBB23_3278:
	s_mov_b32 s10, -1
	s_mov_b32 s9, 0
	s_mov_b32 s1, 0
                                        ; implicit-def: $vgpr40
	s_branch .LBB23_3294
.LBB23_3279:
	s_mov_b32 s10, -1
	s_mov_b32 s9, 0
	s_mov_b32 s1, 0
                                        ; implicit-def: $vgpr40
	s_branch .LBB23_3289
.LBB23_3280:
	s_or_b32 s33, s33, exec_lo
	s_trap 2
	s_cbranch_execz .LBB23_3219
	s_branch .LBB23_3220
.LBB23_3281:
	s_mov_b32 s10, -1
	s_mov_b32 s9, 0
	s_mov_b32 s1, 0
	s_branch .LBB23_3283
.LBB23_3282:
	s_mov_b32 s1, -1
	s_mov_b32 s9, 0
.LBB23_3283:
                                        ; implicit-def: $vgpr40
.LBB23_3284:
	s_and_b32 vcc_lo, exec_lo, s10
	s_cbranch_vccz .LBB23_3288
; %bb.3285:
	s_cmp_eq_u32 s0, 44
	s_cbranch_scc0 .LBB23_3287
; %bb.3286:
	global_load_u8 v5, v[44:45], off
	s_mov_b32 s1, 0
	s_mov_b32 s9, -1
	s_wait_loadcnt 0x0
	v_lshlrev_b32_e32 v7, 23, v5
	v_cmp_ne_u32_e32 vcc_lo, 0, v5
	s_delay_alu instid0(VALU_DEP_2) | instskip(NEXT) | instid1(VALU_DEP_1)
	v_cvt_i32_f32_e32 v7, v7
	v_cndmask_b32_e32 v40, 0, v7, vcc_lo
	s_branch .LBB23_3288
.LBB23_3287:
	s_mov_b32 s1, -1
                                        ; implicit-def: $vgpr40
.LBB23_3288:
	s_mov_b32 s10, 0
.LBB23_3289:
	s_delay_alu instid0(SALU_CYCLE_1)
	s_and_b32 vcc_lo, exec_lo, s10
	s_cbranch_vccz .LBB23_3293
; %bb.3290:
	s_cmp_eq_u32 s0, 29
	s_cbranch_scc0 .LBB23_3292
; %bb.3291:
	global_load_b32 v40, v[44:45], off
	s_mov_b32 s1, 0
	s_mov_b32 s9, -1
	s_branch .LBB23_3293
.LBB23_3292:
	s_mov_b32 s1, -1
                                        ; implicit-def: $vgpr40
.LBB23_3293:
	s_mov_b32 s10, 0
.LBB23_3294:
	s_delay_alu instid0(SALU_CYCLE_1)
	s_and_b32 vcc_lo, exec_lo, s10
	s_cbranch_vccz .LBB23_3310
; %bb.3295:
	s_cmp_lt_i32 s0, 27
	s_cbranch_scc1 .LBB23_3298
; %bb.3296:
	s_cmp_gt_i32 s0, 27
	s_cbranch_scc0 .LBB23_3299
; %bb.3297:
	s_wait_loadcnt 0x0
	global_load_b32 v40, v[44:45], off
	s_mov_b32 s9, 0
	s_branch .LBB23_3300
.LBB23_3298:
	s_mov_b32 s9, -1
                                        ; implicit-def: $vgpr40
	s_branch .LBB23_3303
.LBB23_3299:
	s_mov_b32 s9, -1
                                        ; implicit-def: $vgpr40
.LBB23_3300:
	s_delay_alu instid0(SALU_CYCLE_1)
	s_and_not1_b32 vcc_lo, exec_lo, s9
	s_cbranch_vccnz .LBB23_3302
; %bb.3301:
	s_wait_loadcnt 0x0
	global_load_u16 v40, v[44:45], off
.LBB23_3302:
	s_mov_b32 s9, 0
.LBB23_3303:
	s_delay_alu instid0(SALU_CYCLE_1)
	s_and_not1_b32 vcc_lo, exec_lo, s9
	s_cbranch_vccnz .LBB23_3309
; %bb.3304:
	global_load_u8 v5, v[44:45], off
	s_mov_b32 s10, 0
	s_mov_b32 s9, exec_lo
	s_wait_loadcnt 0x0
	v_cmpx_lt_i16_e32 0x7f, v5
	s_xor_b32 s9, exec_lo, s9
	s_cbranch_execz .LBB23_3321
; %bb.3305:
	v_cmp_ne_u16_e32 vcc_lo, 0x80, v5
	s_and_b32 s10, vcc_lo, exec_lo
	s_and_not1_saveexec_b32 s9, s9
	s_cbranch_execnz .LBB23_3322
.LBB23_3306:
	s_or_b32 exec_lo, exec_lo, s9
	v_mov_b32_e32 v40, 0
	s_and_saveexec_b32 s9, s10
	s_cbranch_execz .LBB23_3308
.LBB23_3307:
	v_and_b32_e32 v7, 0xffff, v5
	s_delay_alu instid0(VALU_DEP_1) | instskip(SKIP_1) | instid1(VALU_DEP_2)
	v_dual_lshlrev_b32 v5, 24, v5 :: v_dual_bitop2_b32 v9, 7, v7 bitop3:0x40
	v_bfe_u32 v15, v7, 3, 4
	v_and_b32_e32 v5, 0x80000000, v5
	s_delay_alu instid0(VALU_DEP_3) | instskip(NEXT) | instid1(VALU_DEP_3)
	v_clz_i32_u32_e32 v11, v9
	v_cmp_eq_u32_e32 vcc_lo, 0, v15
	s_delay_alu instid0(VALU_DEP_2) | instskip(NEXT) | instid1(VALU_DEP_1)
	v_min_u32_e32 v11, 32, v11
	v_subrev_nc_u32_e32 v13, 28, v11
	v_sub_nc_u32_e32 v11, 29, v11
	s_delay_alu instid0(VALU_DEP_2) | instskip(NEXT) | instid1(VALU_DEP_2)
	v_lshlrev_b32_e32 v7, v13, v7
	v_cndmask_b32_e32 v11, v15, v11, vcc_lo
	s_delay_alu instid0(VALU_DEP_2) | instskip(NEXT) | instid1(VALU_DEP_1)
	v_and_b32_e32 v7, 7, v7
	v_cndmask_b32_e32 v7, v9, v7, vcc_lo
	s_delay_alu instid0(VALU_DEP_3) | instskip(NEXT) | instid1(VALU_DEP_2)
	v_lshl_add_u32 v9, v11, 23, 0x3b800000
	v_lshlrev_b32_e32 v7, 20, v7
	s_delay_alu instid0(VALU_DEP_1) | instskip(NEXT) | instid1(VALU_DEP_1)
	v_or3_b32 v5, v5, v9, v7
	v_cvt_i32_f32_e32 v40, v5
.LBB23_3308:
	s_or_b32 exec_lo, exec_lo, s9
.LBB23_3309:
	s_mov_b32 s9, -1
.LBB23_3310:
	s_mov_b32 s10, 0
.LBB23_3311:
	s_delay_alu instid0(SALU_CYCLE_1)
	s_and_b32 vcc_lo, exec_lo, s10
	s_cbranch_vccz .LBB23_3342
; %bb.3312:
	s_cmp_gt_i32 s0, 22
	s_cbranch_scc0 .LBB23_3320
; %bb.3313:
	s_cmp_lt_i32 s0, 24
	s_cbranch_scc1 .LBB23_3323
; %bb.3314:
	s_cmp_gt_i32 s0, 24
	s_cbranch_scc0 .LBB23_3324
; %bb.3315:
	global_load_u8 v5, v[44:45], off
	s_mov_b32 s9, 0
	s_mov_b32 s8, exec_lo
	s_wait_loadcnt 0x0
	v_cmpx_lt_i16_e32 0x7f, v5
	s_xor_b32 s8, exec_lo, s8
	s_cbranch_execz .LBB23_3336
; %bb.3316:
	v_cmp_ne_u16_e32 vcc_lo, 0x80, v5
	s_and_b32 s9, vcc_lo, exec_lo
	s_and_not1_saveexec_b32 s8, s8
	s_cbranch_execnz .LBB23_3337
.LBB23_3317:
	s_or_b32 exec_lo, exec_lo, s8
	v_mov_b32_e32 v40, 0
	s_and_saveexec_b32 s8, s9
	s_cbranch_execz .LBB23_3319
.LBB23_3318:
	v_and_b32_e32 v7, 0xffff, v5
	s_delay_alu instid0(VALU_DEP_1) | instskip(SKIP_1) | instid1(VALU_DEP_2)
	v_dual_lshlrev_b32 v5, 24, v5 :: v_dual_bitop2_b32 v9, 3, v7 bitop3:0x40
	v_bfe_u32 v15, v7, 2, 5
	v_and_b32_e32 v5, 0x80000000, v5
	s_delay_alu instid0(VALU_DEP_3) | instskip(NEXT) | instid1(VALU_DEP_3)
	v_clz_i32_u32_e32 v11, v9
	v_cmp_eq_u32_e32 vcc_lo, 0, v15
	s_delay_alu instid0(VALU_DEP_2) | instskip(NEXT) | instid1(VALU_DEP_1)
	v_min_u32_e32 v11, 32, v11
	v_subrev_nc_u32_e32 v13, 29, v11
	v_sub_nc_u32_e32 v11, 30, v11
	s_delay_alu instid0(VALU_DEP_2) | instskip(NEXT) | instid1(VALU_DEP_2)
	v_lshlrev_b32_e32 v7, v13, v7
	v_cndmask_b32_e32 v11, v15, v11, vcc_lo
	s_delay_alu instid0(VALU_DEP_2) | instskip(NEXT) | instid1(VALU_DEP_1)
	v_and_b32_e32 v7, 3, v7
	v_cndmask_b32_e32 v7, v9, v7, vcc_lo
	s_delay_alu instid0(VALU_DEP_3) | instskip(NEXT) | instid1(VALU_DEP_2)
	v_lshl_add_u32 v9, v11, 23, 0x37800000
	v_lshlrev_b32_e32 v7, 21, v7
	s_delay_alu instid0(VALU_DEP_1) | instskip(NEXT) | instid1(VALU_DEP_1)
	v_or3_b32 v5, v5, v9, v7
	v_cvt_i32_f32_e32 v40, v5
.LBB23_3319:
	s_or_b32 exec_lo, exec_lo, s8
	s_mov_b32 s8, 0
	s_branch .LBB23_3325
.LBB23_3320:
	s_mov_b32 s8, -1
                                        ; implicit-def: $vgpr40
	s_branch .LBB23_3331
.LBB23_3321:
	s_and_not1_saveexec_b32 s9, s9
	s_cbranch_execz .LBB23_3306
.LBB23_3322:
	v_cmp_ne_u16_e32 vcc_lo, 0, v5
	s_and_not1_b32 s10, s10, exec_lo
	s_and_b32 s11, vcc_lo, exec_lo
	s_delay_alu instid0(SALU_CYCLE_1)
	s_or_b32 s10, s10, s11
	s_or_b32 exec_lo, exec_lo, s9
	v_mov_b32_e32 v40, 0
	s_and_saveexec_b32 s9, s10
	s_cbranch_execnz .LBB23_3307
	s_branch .LBB23_3308
.LBB23_3323:
	s_mov_b32 s8, -1
                                        ; implicit-def: $vgpr40
	s_branch .LBB23_3328
.LBB23_3324:
	s_mov_b32 s8, -1
                                        ; implicit-def: $vgpr40
.LBB23_3325:
	s_delay_alu instid0(SALU_CYCLE_1)
	s_and_b32 vcc_lo, exec_lo, s8
	s_cbranch_vccz .LBB23_3327
; %bb.3326:
	global_load_u8 v5, v[44:45], off
	s_wait_loadcnt 0x0
	v_lshlrev_b32_e32 v5, 24, v5
	s_delay_alu instid0(VALU_DEP_1) | instskip(NEXT) | instid1(VALU_DEP_1)
	v_and_b32_e32 v7, 0x7f000000, v5
	v_clz_i32_u32_e32 v9, v7
	v_add_nc_u32_e32 v13, 0x1000000, v7
	v_cmp_ne_u32_e32 vcc_lo, 0, v7
	s_delay_alu instid0(VALU_DEP_3) | instskip(NEXT) | instid1(VALU_DEP_1)
	v_min_u32_e32 v9, 32, v9
	v_sub_nc_u32_e64 v9, v9, 4 clamp
	s_delay_alu instid0(VALU_DEP_1) | instskip(NEXT) | instid1(VALU_DEP_1)
	v_dual_lshlrev_b32 v11, v9, v7 :: v_dual_lshlrev_b32 v9, 23, v9
	v_lshrrev_b32_e32 v11, 4, v11
	s_delay_alu instid0(VALU_DEP_1) | instskip(SKIP_1) | instid1(VALU_DEP_2)
	v_sub_nc_u32_e32 v9, v11, v9
	v_ashrrev_i32_e32 v11, 8, v13
	v_add_nc_u32_e32 v9, 0x3c000000, v9
	s_delay_alu instid0(VALU_DEP_1) | instskip(NEXT) | instid1(VALU_DEP_1)
	v_and_or_b32 v9, 0x7f800000, v11, v9
	v_cndmask_b32_e32 v7, 0, v9, vcc_lo
	s_delay_alu instid0(VALU_DEP_1) | instskip(NEXT) | instid1(VALU_DEP_1)
	v_and_or_b32 v5, 0x80000000, v5, v7
	v_cvt_i32_f32_e32 v40, v5
.LBB23_3327:
	s_mov_b32 s8, 0
.LBB23_3328:
	s_delay_alu instid0(SALU_CYCLE_1)
	s_and_not1_b32 vcc_lo, exec_lo, s8
	s_cbranch_vccnz .LBB23_3330
; %bb.3329:
	global_load_u8 v5, v[44:45], off
	s_wait_loadcnt 0x0
	v_lshlrev_b32_e32 v7, 25, v5
	v_lshlrev_b16 v5, 8, v5
	s_delay_alu instid0(VALU_DEP_1) | instskip(SKIP_1) | instid1(VALU_DEP_2)
	v_and_or_b32 v11, 0x7f00, v5, 0.5
	v_bfe_i32 v5, v5, 0, 16
	v_add_f32_e32 v11, -0.5, v11
	v_lshrrev_b32_e32 v9, 4, v7
	v_cmp_gt_u32_e32 vcc_lo, 0x8000000, v7
	s_delay_alu instid0(VALU_DEP_2) | instskip(NEXT) | instid1(VALU_DEP_1)
	v_or_b32_e32 v9, 0x70000000, v9
	v_mul_f32_e32 v9, 0x7800000, v9
	s_delay_alu instid0(VALU_DEP_1) | instskip(NEXT) | instid1(VALU_DEP_1)
	v_cndmask_b32_e32 v7, v9, v11, vcc_lo
	v_and_or_b32 v5, 0x80000000, v5, v7
	s_delay_alu instid0(VALU_DEP_1)
	v_cvt_i32_f32_e32 v40, v5
.LBB23_3330:
	s_mov_b32 s8, 0
	s_mov_b32 s9, -1
.LBB23_3331:
	s_and_not1_b32 vcc_lo, exec_lo, s8
	s_mov_b32 s8, 0
	s_cbranch_vccnz .LBB23_3342
; %bb.3332:
	s_cmp_gt_i32 s0, 14
	s_cbranch_scc0 .LBB23_3335
; %bb.3333:
	s_cmp_eq_u32 s0, 15
	s_cbranch_scc0 .LBB23_3338
; %bb.3334:
	global_load_u16 v5, v[44:45], off
	s_mov_b32 s1, 0
	s_mov_b32 s9, -1
	s_wait_loadcnt 0x0
	v_lshlrev_b32_e32 v5, 16, v5
	s_delay_alu instid0(VALU_DEP_1)
	v_cvt_i32_f32_e32 v40, v5
	s_branch .LBB23_3340
.LBB23_3335:
	s_mov_b32 s8, -1
	s_branch .LBB23_3339
.LBB23_3336:
	s_and_not1_saveexec_b32 s8, s8
	s_cbranch_execz .LBB23_3317
.LBB23_3337:
	v_cmp_ne_u16_e32 vcc_lo, 0, v5
	s_and_not1_b32 s9, s9, exec_lo
	s_and_b32 s10, vcc_lo, exec_lo
	s_delay_alu instid0(SALU_CYCLE_1)
	s_or_b32 s9, s9, s10
	s_or_b32 exec_lo, exec_lo, s8
	v_mov_b32_e32 v40, 0
	s_and_saveexec_b32 s8, s9
	s_cbranch_execnz .LBB23_3318
	s_branch .LBB23_3319
.LBB23_3338:
	s_mov_b32 s1, -1
.LBB23_3339:
                                        ; implicit-def: $vgpr40
.LBB23_3340:
	s_and_b32 vcc_lo, exec_lo, s8
	s_mov_b32 s8, 0
	s_cbranch_vccz .LBB23_3342
; %bb.3341:
	s_cmp_lg_u32 s0, 11
	s_mov_b32 s8, -1
	s_cselect_b32 s1, -1, 0
.LBB23_3342:
	s_delay_alu instid0(SALU_CYCLE_1)
	s_and_b32 vcc_lo, exec_lo, s1
	s_cbranch_vccnz .LBB23_3407
; %bb.3343:
	s_and_not1_b32 vcc_lo, exec_lo, s8
	s_cbranch_vccnz .LBB23_3345
.LBB23_3344:
	global_load_u8 v5, v[44:45], off
	s_mov_b32 s9, -1
	s_wait_loadcnt 0x0
	v_cmp_ne_u16_e32 vcc_lo, 0, v5
	v_cndmask_b32_e64 v40, 0, 1, vcc_lo
.LBB23_3345:
	s_mov_b32 s0, 0
.LBB23_3346:
	s_delay_alu instid0(SALU_CYCLE_1)
	s_and_b32 vcc_lo, exec_lo, s0
	s_cbranch_vccz .LBB23_3395
; %bb.3347:
	s_and_b32 s0, 0xffff, s48
	s_delay_alu instid0(SALU_CYCLE_1)
	s_cmp_lt_i32 s0, 5
	s_cbranch_scc1 .LBB23_3352
; %bb.3348:
	s_cmp_lt_i32 s0, 8
	s_cbranch_scc1 .LBB23_3353
; %bb.3349:
	s_cmp_lt_i32 s0, 9
	s_cbranch_scc1 .LBB23_3354
; %bb.3350:
	s_cmp_gt_i32 s0, 9
	s_cbranch_scc0 .LBB23_3355
; %bb.3351:
	s_wait_loadcnt 0x0
	global_load_b64 v[40:41], v[44:45], off
	s_mov_b32 s1, 0
	s_wait_loadcnt 0x0
	v_cvt_i32_f64_e32 v40, v[40:41]
	s_branch .LBB23_3356
.LBB23_3352:
	s_mov_b32 s1, -1
                                        ; implicit-def: $vgpr40
	s_branch .LBB23_3374
.LBB23_3353:
	s_mov_b32 s1, -1
                                        ; implicit-def: $vgpr40
	s_branch .LBB23_3362
.LBB23_3354:
	s_mov_b32 s1, -1
                                        ; implicit-def: $vgpr40
	s_branch .LBB23_3359
.LBB23_3355:
	s_mov_b32 s1, -1
                                        ; implicit-def: $vgpr40
.LBB23_3356:
	s_delay_alu instid0(SALU_CYCLE_1)
	s_and_not1_b32 vcc_lo, exec_lo, s1
	s_cbranch_vccnz .LBB23_3358
; %bb.3357:
	global_load_b32 v5, v[44:45], off
	s_wait_loadcnt 0x0
	v_cvt_i32_f32_e32 v40, v5
.LBB23_3358:
	s_mov_b32 s1, 0
.LBB23_3359:
	s_delay_alu instid0(SALU_CYCLE_1)
	s_and_not1_b32 vcc_lo, exec_lo, s1
	s_cbranch_vccnz .LBB23_3361
; %bb.3360:
	global_load_b32 v5, v[44:45], off
	s_wait_loadcnt 0x0
	v_cvt_f32_f16_e32 v5, v5
	s_delay_alu instid0(VALU_DEP_1)
	v_cvt_i32_f32_e32 v40, v5
.LBB23_3361:
	s_mov_b32 s1, 0
.LBB23_3362:
	s_delay_alu instid0(SALU_CYCLE_1)
	s_and_not1_b32 vcc_lo, exec_lo, s1
	s_cbranch_vccnz .LBB23_3373
; %bb.3363:
	s_cmp_lt_i32 s0, 6
	s_cbranch_scc1 .LBB23_3366
; %bb.3364:
	s_cmp_gt_i32 s0, 6
	s_cbranch_scc0 .LBB23_3367
; %bb.3365:
	s_wait_loadcnt 0x0
	global_load_b64 v[40:41], v[44:45], off
	s_mov_b32 s1, 0
	s_wait_loadcnt 0x0
	v_cvt_i32_f64_e32 v40, v[40:41]
	s_branch .LBB23_3368
.LBB23_3366:
	s_mov_b32 s1, -1
                                        ; implicit-def: $vgpr40
	s_branch .LBB23_3371
.LBB23_3367:
	s_mov_b32 s1, -1
                                        ; implicit-def: $vgpr40
.LBB23_3368:
	s_delay_alu instid0(SALU_CYCLE_1)
	s_and_not1_b32 vcc_lo, exec_lo, s1
	s_cbranch_vccnz .LBB23_3370
; %bb.3369:
	global_load_b32 v5, v[44:45], off
	s_wait_loadcnt 0x0
	v_cvt_i32_f32_e32 v40, v5
.LBB23_3370:
	s_mov_b32 s1, 0
.LBB23_3371:
	s_delay_alu instid0(SALU_CYCLE_1)
	s_and_not1_b32 vcc_lo, exec_lo, s1
	s_cbranch_vccnz .LBB23_3373
; %bb.3372:
	global_load_u16 v5, v[44:45], off
	s_wait_loadcnt 0x0
	v_cvt_f32_f16_e32 v5, v5
	s_delay_alu instid0(VALU_DEP_1)
	v_cvt_i32_f32_e32 v40, v5
.LBB23_3373:
	s_mov_b32 s1, 0
.LBB23_3374:
	s_delay_alu instid0(SALU_CYCLE_1)
	s_and_not1_b32 vcc_lo, exec_lo, s1
	s_cbranch_vccnz .LBB23_3394
; %bb.3375:
	s_cmp_lt_i32 s0, 2
	s_cbranch_scc1 .LBB23_3379
; %bb.3376:
	s_cmp_lt_i32 s0, 3
	s_cbranch_scc1 .LBB23_3380
; %bb.3377:
	s_cmp_gt_i32 s0, 3
	s_cbranch_scc0 .LBB23_3381
; %bb.3378:
	s_wait_loadcnt 0x0
	global_load_b32 v40, v[44:45], off
	s_mov_b32 s1, 0
	s_branch .LBB23_3382
.LBB23_3379:
	s_mov_b32 s1, -1
                                        ; implicit-def: $vgpr40
	s_branch .LBB23_3388
.LBB23_3380:
	s_mov_b32 s1, -1
                                        ; implicit-def: $vgpr40
	s_branch .LBB23_3385
.LBB23_3381:
	s_mov_b32 s1, -1
                                        ; implicit-def: $vgpr40
.LBB23_3382:
	s_delay_alu instid0(SALU_CYCLE_1)
	s_and_not1_b32 vcc_lo, exec_lo, s1
	s_cbranch_vccnz .LBB23_3384
; %bb.3383:
	s_wait_loadcnt 0x0
	global_load_b32 v40, v[44:45], off
.LBB23_3384:
	s_mov_b32 s1, 0
.LBB23_3385:
	s_delay_alu instid0(SALU_CYCLE_1)
	s_and_not1_b32 vcc_lo, exec_lo, s1
	s_cbranch_vccnz .LBB23_3387
; %bb.3386:
	s_wait_loadcnt 0x0
	global_load_i16 v40, v[44:45], off
.LBB23_3387:
	s_mov_b32 s1, 0
.LBB23_3388:
	s_delay_alu instid0(SALU_CYCLE_1)
	s_and_not1_b32 vcc_lo, exec_lo, s1
	s_cbranch_vccnz .LBB23_3394
; %bb.3389:
	s_cmp_gt_i32 s0, 0
	s_mov_b32 s0, 0
	s_cbranch_scc0 .LBB23_3391
; %bb.3390:
	s_wait_loadcnt 0x0
	global_load_i8 v40, v[44:45], off
	s_branch .LBB23_3392
.LBB23_3391:
	s_mov_b32 s0, -1
                                        ; implicit-def: $vgpr40
.LBB23_3392:
	s_delay_alu instid0(SALU_CYCLE_1)
	s_and_not1_b32 vcc_lo, exec_lo, s0
	s_cbranch_vccnz .LBB23_3394
; %bb.3393:
	s_wait_loadcnt 0x0
	global_load_u8 v40, v[44:45], off
.LBB23_3394:
	s_mov_b32 s9, -1
.LBB23_3395:
	s_delay_alu instid0(SALU_CYCLE_1)
	s_and_not1_b32 vcc_lo, exec_lo, s9
	s_cbranch_vccnz .LBB23_3531
; %bb.3396:
	v_mov_b32_e32 v39, 0
	s_load_b64 s[18:19], s[2:3], 0x270
	global_load_u8 v5, v39, s[2:3] offset:805
	s_wait_kmcnt 0x0
	v_add_nc_u64_e32 v[38:39], s[18:19], v[38:39]
	s_wait_loadcnt 0x0
	v_and_b32_e32 v7, 0xffff, v5
	v_readfirstlane_b32 s49, v5
	s_delay_alu instid0(VALU_DEP_2)
	v_cmp_gt_i32_e32 vcc_lo, 11, v7
	s_cbranch_vccnz .LBB23_3403
; %bb.3397:
	s_and_b32 s0, 0xffff, s49
	s_mov_b32 s8, 0
	s_cmp_gt_i32 s0, 25
	s_cbranch_scc0 .LBB23_3404
; %bb.3398:
	s_cmp_gt_i32 s0, 28
	s_cbranch_scc0 .LBB23_3405
; %bb.3399:
	;; [unrolled: 3-line block ×4, first 2 shown]
	s_cmp_eq_u32 s0, 46
	s_mov_b32 s10, 0
	s_cbranch_scc0 .LBB23_3409
; %bb.3402:
	global_load_b32 v5, v[38:39], off
	s_mov_b32 s1, 0
	s_mov_b32 s9, -1
	s_wait_loadcnt 0x0
	v_lshlrev_b32_e32 v5, 16, v5
	s_delay_alu instid0(VALU_DEP_1)
	v_cvt_i32_f32_e32 v44, v5
	s_branch .LBB23_3411
.LBB23_3403:
	s_mov_b32 s0, -1
	s_mov_b32 s9, 0
                                        ; implicit-def: $vgpr44
	s_branch .LBB23_3473
.LBB23_3404:
	s_mov_b32 s10, -1
	s_mov_b32 s9, 0
	s_mov_b32 s1, 0
                                        ; implicit-def: $vgpr44
	s_branch .LBB23_3438
.LBB23_3405:
	s_mov_b32 s10, -1
	s_mov_b32 s9, 0
	s_mov_b32 s1, 0
                                        ; implicit-def: $vgpr44
	s_branch .LBB23_3421
.LBB23_3406:
	s_mov_b32 s10, -1
	s_mov_b32 s9, 0
	s_mov_b32 s1, 0
                                        ; implicit-def: $vgpr44
	s_branch .LBB23_3416
.LBB23_3407:
	s_or_b32 s33, s33, exec_lo
	s_trap 2
	s_cbranch_execz .LBB23_3344
	s_branch .LBB23_3345
.LBB23_3408:
	s_mov_b32 s10, -1
	s_mov_b32 s9, 0
	s_mov_b32 s1, 0
	s_branch .LBB23_3410
.LBB23_3409:
	s_mov_b32 s1, -1
	s_mov_b32 s9, 0
.LBB23_3410:
                                        ; implicit-def: $vgpr44
.LBB23_3411:
	s_and_b32 vcc_lo, exec_lo, s10
	s_cbranch_vccz .LBB23_3415
; %bb.3412:
	s_cmp_eq_u32 s0, 44
	s_cbranch_scc0 .LBB23_3414
; %bb.3413:
	global_load_u8 v5, v[38:39], off
	s_mov_b32 s1, 0
	s_mov_b32 s9, -1
	s_wait_loadcnt 0x0
	v_lshlrev_b32_e32 v7, 23, v5
	v_cmp_ne_u32_e32 vcc_lo, 0, v5
	s_delay_alu instid0(VALU_DEP_2) | instskip(NEXT) | instid1(VALU_DEP_1)
	v_cvt_i32_f32_e32 v7, v7
	v_cndmask_b32_e32 v44, 0, v7, vcc_lo
	s_branch .LBB23_3415
.LBB23_3414:
	s_mov_b32 s1, -1
                                        ; implicit-def: $vgpr44
.LBB23_3415:
	s_mov_b32 s10, 0
.LBB23_3416:
	s_delay_alu instid0(SALU_CYCLE_1)
	s_and_b32 vcc_lo, exec_lo, s10
	s_cbranch_vccz .LBB23_3420
; %bb.3417:
	s_cmp_eq_u32 s0, 29
	s_cbranch_scc0 .LBB23_3419
; %bb.3418:
	global_load_b32 v44, v[38:39], off
	s_mov_b32 s1, 0
	s_mov_b32 s9, -1
	s_branch .LBB23_3420
.LBB23_3419:
	s_mov_b32 s1, -1
                                        ; implicit-def: $vgpr44
.LBB23_3420:
	s_mov_b32 s10, 0
.LBB23_3421:
	s_delay_alu instid0(SALU_CYCLE_1)
	s_and_b32 vcc_lo, exec_lo, s10
	s_cbranch_vccz .LBB23_3437
; %bb.3422:
	s_cmp_lt_i32 s0, 27
	s_cbranch_scc1 .LBB23_3425
; %bb.3423:
	s_cmp_gt_i32 s0, 27
	s_cbranch_scc0 .LBB23_3426
; %bb.3424:
	s_wait_loadcnt 0x0
	global_load_b32 v44, v[38:39], off
	s_mov_b32 s9, 0
	s_branch .LBB23_3427
.LBB23_3425:
	s_mov_b32 s9, -1
                                        ; implicit-def: $vgpr44
	s_branch .LBB23_3430
.LBB23_3426:
	s_mov_b32 s9, -1
                                        ; implicit-def: $vgpr44
.LBB23_3427:
	s_delay_alu instid0(SALU_CYCLE_1)
	s_and_not1_b32 vcc_lo, exec_lo, s9
	s_cbranch_vccnz .LBB23_3429
; %bb.3428:
	s_wait_loadcnt 0x0
	global_load_u16 v44, v[38:39], off
.LBB23_3429:
	s_mov_b32 s9, 0
.LBB23_3430:
	s_delay_alu instid0(SALU_CYCLE_1)
	s_and_not1_b32 vcc_lo, exec_lo, s9
	s_cbranch_vccnz .LBB23_3436
; %bb.3431:
	global_load_u8 v5, v[38:39], off
	s_mov_b32 s10, 0
	s_mov_b32 s9, exec_lo
	s_wait_loadcnt 0x0
	v_cmpx_lt_i16_e32 0x7f, v5
	s_xor_b32 s9, exec_lo, s9
	s_cbranch_execz .LBB23_3448
; %bb.3432:
	v_cmp_ne_u16_e32 vcc_lo, 0x80, v5
	s_and_b32 s10, vcc_lo, exec_lo
	s_and_not1_saveexec_b32 s9, s9
	s_cbranch_execnz .LBB23_3449
.LBB23_3433:
	s_or_b32 exec_lo, exec_lo, s9
	v_mov_b32_e32 v44, 0
	s_and_saveexec_b32 s9, s10
	s_cbranch_execz .LBB23_3435
.LBB23_3434:
	v_and_b32_e32 v7, 0xffff, v5
	s_delay_alu instid0(VALU_DEP_1) | instskip(SKIP_1) | instid1(VALU_DEP_2)
	v_dual_lshlrev_b32 v5, 24, v5 :: v_dual_bitop2_b32 v9, 7, v7 bitop3:0x40
	v_bfe_u32 v15, v7, 3, 4
	v_and_b32_e32 v5, 0x80000000, v5
	s_delay_alu instid0(VALU_DEP_3) | instskip(NEXT) | instid1(VALU_DEP_3)
	v_clz_i32_u32_e32 v11, v9
	v_cmp_eq_u32_e32 vcc_lo, 0, v15
	s_delay_alu instid0(VALU_DEP_2) | instskip(NEXT) | instid1(VALU_DEP_1)
	v_min_u32_e32 v11, 32, v11
	v_subrev_nc_u32_e32 v13, 28, v11
	v_sub_nc_u32_e32 v11, 29, v11
	s_delay_alu instid0(VALU_DEP_2) | instskip(NEXT) | instid1(VALU_DEP_2)
	v_lshlrev_b32_e32 v7, v13, v7
	v_cndmask_b32_e32 v11, v15, v11, vcc_lo
	s_delay_alu instid0(VALU_DEP_2) | instskip(NEXT) | instid1(VALU_DEP_1)
	v_and_b32_e32 v7, 7, v7
	v_cndmask_b32_e32 v7, v9, v7, vcc_lo
	s_delay_alu instid0(VALU_DEP_3) | instskip(NEXT) | instid1(VALU_DEP_2)
	v_lshl_add_u32 v9, v11, 23, 0x3b800000
	v_lshlrev_b32_e32 v7, 20, v7
	s_delay_alu instid0(VALU_DEP_1) | instskip(NEXT) | instid1(VALU_DEP_1)
	v_or3_b32 v5, v5, v9, v7
	v_cvt_i32_f32_e32 v44, v5
.LBB23_3435:
	s_or_b32 exec_lo, exec_lo, s9
.LBB23_3436:
	s_mov_b32 s9, -1
.LBB23_3437:
	s_mov_b32 s10, 0
.LBB23_3438:
	s_delay_alu instid0(SALU_CYCLE_1)
	s_and_b32 vcc_lo, exec_lo, s10
	s_cbranch_vccz .LBB23_3469
; %bb.3439:
	s_cmp_gt_i32 s0, 22
	s_cbranch_scc0 .LBB23_3447
; %bb.3440:
	s_cmp_lt_i32 s0, 24
	s_cbranch_scc1 .LBB23_3450
; %bb.3441:
	s_cmp_gt_i32 s0, 24
	s_cbranch_scc0 .LBB23_3451
; %bb.3442:
	global_load_u8 v5, v[38:39], off
	s_mov_b32 s9, 0
	s_mov_b32 s8, exec_lo
	s_wait_loadcnt 0x0
	v_cmpx_lt_i16_e32 0x7f, v5
	s_xor_b32 s8, exec_lo, s8
	s_cbranch_execz .LBB23_3463
; %bb.3443:
	v_cmp_ne_u16_e32 vcc_lo, 0x80, v5
	s_and_b32 s9, vcc_lo, exec_lo
	s_and_not1_saveexec_b32 s8, s8
	s_cbranch_execnz .LBB23_3464
.LBB23_3444:
	s_or_b32 exec_lo, exec_lo, s8
	v_mov_b32_e32 v44, 0
	s_and_saveexec_b32 s8, s9
	s_cbranch_execz .LBB23_3446
.LBB23_3445:
	v_and_b32_e32 v7, 0xffff, v5
	s_delay_alu instid0(VALU_DEP_1) | instskip(SKIP_1) | instid1(VALU_DEP_2)
	v_dual_lshlrev_b32 v5, 24, v5 :: v_dual_bitop2_b32 v9, 3, v7 bitop3:0x40
	v_bfe_u32 v15, v7, 2, 5
	v_and_b32_e32 v5, 0x80000000, v5
	s_delay_alu instid0(VALU_DEP_3) | instskip(NEXT) | instid1(VALU_DEP_3)
	v_clz_i32_u32_e32 v11, v9
	v_cmp_eq_u32_e32 vcc_lo, 0, v15
	s_delay_alu instid0(VALU_DEP_2) | instskip(NEXT) | instid1(VALU_DEP_1)
	v_min_u32_e32 v11, 32, v11
	v_subrev_nc_u32_e32 v13, 29, v11
	v_sub_nc_u32_e32 v11, 30, v11
	s_delay_alu instid0(VALU_DEP_2) | instskip(NEXT) | instid1(VALU_DEP_2)
	v_lshlrev_b32_e32 v7, v13, v7
	v_cndmask_b32_e32 v11, v15, v11, vcc_lo
	s_delay_alu instid0(VALU_DEP_2) | instskip(NEXT) | instid1(VALU_DEP_1)
	v_and_b32_e32 v7, 3, v7
	v_cndmask_b32_e32 v7, v9, v7, vcc_lo
	s_delay_alu instid0(VALU_DEP_3) | instskip(NEXT) | instid1(VALU_DEP_2)
	v_lshl_add_u32 v9, v11, 23, 0x37800000
	v_lshlrev_b32_e32 v7, 21, v7
	s_delay_alu instid0(VALU_DEP_1) | instskip(NEXT) | instid1(VALU_DEP_1)
	v_or3_b32 v5, v5, v9, v7
	v_cvt_i32_f32_e32 v44, v5
.LBB23_3446:
	s_or_b32 exec_lo, exec_lo, s8
	s_mov_b32 s8, 0
	s_branch .LBB23_3452
.LBB23_3447:
	s_mov_b32 s8, -1
                                        ; implicit-def: $vgpr44
	s_branch .LBB23_3458
.LBB23_3448:
	s_and_not1_saveexec_b32 s9, s9
	s_cbranch_execz .LBB23_3433
.LBB23_3449:
	v_cmp_ne_u16_e32 vcc_lo, 0, v5
	s_and_not1_b32 s10, s10, exec_lo
	s_and_b32 s11, vcc_lo, exec_lo
	s_delay_alu instid0(SALU_CYCLE_1)
	s_or_b32 s10, s10, s11
	s_or_b32 exec_lo, exec_lo, s9
	v_mov_b32_e32 v44, 0
	s_and_saveexec_b32 s9, s10
	s_cbranch_execnz .LBB23_3434
	s_branch .LBB23_3435
.LBB23_3450:
	s_mov_b32 s8, -1
                                        ; implicit-def: $vgpr44
	s_branch .LBB23_3455
.LBB23_3451:
	s_mov_b32 s8, -1
                                        ; implicit-def: $vgpr44
.LBB23_3452:
	s_delay_alu instid0(SALU_CYCLE_1)
	s_and_b32 vcc_lo, exec_lo, s8
	s_cbranch_vccz .LBB23_3454
; %bb.3453:
	global_load_u8 v5, v[38:39], off
	s_wait_loadcnt 0x0
	v_lshlrev_b32_e32 v5, 24, v5
	s_delay_alu instid0(VALU_DEP_1) | instskip(NEXT) | instid1(VALU_DEP_1)
	v_and_b32_e32 v7, 0x7f000000, v5
	v_clz_i32_u32_e32 v9, v7
	v_add_nc_u32_e32 v13, 0x1000000, v7
	v_cmp_ne_u32_e32 vcc_lo, 0, v7
	s_delay_alu instid0(VALU_DEP_3) | instskip(NEXT) | instid1(VALU_DEP_1)
	v_min_u32_e32 v9, 32, v9
	v_sub_nc_u32_e64 v9, v9, 4 clamp
	s_delay_alu instid0(VALU_DEP_1) | instskip(NEXT) | instid1(VALU_DEP_1)
	v_dual_lshlrev_b32 v11, v9, v7 :: v_dual_lshlrev_b32 v9, 23, v9
	v_lshrrev_b32_e32 v11, 4, v11
	s_delay_alu instid0(VALU_DEP_1) | instskip(SKIP_1) | instid1(VALU_DEP_2)
	v_sub_nc_u32_e32 v9, v11, v9
	v_ashrrev_i32_e32 v11, 8, v13
	v_add_nc_u32_e32 v9, 0x3c000000, v9
	s_delay_alu instid0(VALU_DEP_1) | instskip(NEXT) | instid1(VALU_DEP_1)
	v_and_or_b32 v9, 0x7f800000, v11, v9
	v_cndmask_b32_e32 v7, 0, v9, vcc_lo
	s_delay_alu instid0(VALU_DEP_1) | instskip(NEXT) | instid1(VALU_DEP_1)
	v_and_or_b32 v5, 0x80000000, v5, v7
	v_cvt_i32_f32_e32 v44, v5
.LBB23_3454:
	s_mov_b32 s8, 0
.LBB23_3455:
	s_delay_alu instid0(SALU_CYCLE_1)
	s_and_not1_b32 vcc_lo, exec_lo, s8
	s_cbranch_vccnz .LBB23_3457
; %bb.3456:
	global_load_u8 v5, v[38:39], off
	s_wait_loadcnt 0x0
	v_lshlrev_b32_e32 v7, 25, v5
	v_lshlrev_b16 v5, 8, v5
	s_delay_alu instid0(VALU_DEP_1) | instskip(SKIP_1) | instid1(VALU_DEP_2)
	v_and_or_b32 v11, 0x7f00, v5, 0.5
	v_bfe_i32 v5, v5, 0, 16
	v_add_f32_e32 v11, -0.5, v11
	v_lshrrev_b32_e32 v9, 4, v7
	v_cmp_gt_u32_e32 vcc_lo, 0x8000000, v7
	s_delay_alu instid0(VALU_DEP_2) | instskip(NEXT) | instid1(VALU_DEP_1)
	v_or_b32_e32 v9, 0x70000000, v9
	v_mul_f32_e32 v9, 0x7800000, v9
	s_delay_alu instid0(VALU_DEP_1) | instskip(NEXT) | instid1(VALU_DEP_1)
	v_cndmask_b32_e32 v7, v9, v11, vcc_lo
	v_and_or_b32 v5, 0x80000000, v5, v7
	s_delay_alu instid0(VALU_DEP_1)
	v_cvt_i32_f32_e32 v44, v5
.LBB23_3457:
	s_mov_b32 s8, 0
	s_mov_b32 s9, -1
.LBB23_3458:
	s_and_not1_b32 vcc_lo, exec_lo, s8
	s_mov_b32 s8, 0
	s_cbranch_vccnz .LBB23_3469
; %bb.3459:
	s_cmp_gt_i32 s0, 14
	s_cbranch_scc0 .LBB23_3462
; %bb.3460:
	s_cmp_eq_u32 s0, 15
	s_cbranch_scc0 .LBB23_3465
; %bb.3461:
	global_load_u16 v5, v[38:39], off
	s_mov_b32 s1, 0
	s_mov_b32 s9, -1
	s_wait_loadcnt 0x0
	v_lshlrev_b32_e32 v5, 16, v5
	s_delay_alu instid0(VALU_DEP_1)
	v_cvt_i32_f32_e32 v44, v5
	s_branch .LBB23_3467
.LBB23_3462:
	s_mov_b32 s8, -1
	s_branch .LBB23_3466
.LBB23_3463:
	s_and_not1_saveexec_b32 s8, s8
	s_cbranch_execz .LBB23_3444
.LBB23_3464:
	v_cmp_ne_u16_e32 vcc_lo, 0, v5
	s_and_not1_b32 s9, s9, exec_lo
	s_and_b32 s10, vcc_lo, exec_lo
	s_delay_alu instid0(SALU_CYCLE_1)
	s_or_b32 s9, s9, s10
	s_or_b32 exec_lo, exec_lo, s8
	v_mov_b32_e32 v44, 0
	s_and_saveexec_b32 s8, s9
	s_cbranch_execnz .LBB23_3445
	s_branch .LBB23_3446
.LBB23_3465:
	s_mov_b32 s1, -1
.LBB23_3466:
                                        ; implicit-def: $vgpr44
.LBB23_3467:
	s_and_b32 vcc_lo, exec_lo, s8
	s_mov_b32 s8, 0
	s_cbranch_vccz .LBB23_3469
; %bb.3468:
	s_cmp_lg_u32 s0, 11
	s_mov_b32 s8, -1
	s_cselect_b32 s1, -1, 0
.LBB23_3469:
	s_delay_alu instid0(SALU_CYCLE_1)
	s_and_b32 vcc_lo, exec_lo, s1
	s_cbranch_vccnz .LBB23_3596
; %bb.3470:
	s_and_not1_b32 vcc_lo, exec_lo, s8
	s_cbranch_vccnz .LBB23_3472
.LBB23_3471:
	global_load_u8 v5, v[38:39], off
	s_mov_b32 s9, -1
	s_wait_loadcnt 0x0
	v_cmp_ne_u16_e32 vcc_lo, 0, v5
	v_cndmask_b32_e64 v44, 0, 1, vcc_lo
.LBB23_3472:
	s_mov_b32 s0, 0
.LBB23_3473:
	s_delay_alu instid0(SALU_CYCLE_1)
	s_and_b32 vcc_lo, exec_lo, s0
	s_cbranch_vccz .LBB23_3522
; %bb.3474:
	s_and_b32 s0, 0xffff, s49
	s_delay_alu instid0(SALU_CYCLE_1)
	s_cmp_lt_i32 s0, 5
	s_cbranch_scc1 .LBB23_3479
; %bb.3475:
	s_cmp_lt_i32 s0, 8
	s_cbranch_scc1 .LBB23_3480
; %bb.3476:
	;; [unrolled: 3-line block ×3, first 2 shown]
	s_cmp_gt_i32 s0, 9
	s_cbranch_scc0 .LBB23_3482
; %bb.3478:
	s_wait_loadcnt 0x0
	global_load_b64 v[44:45], v[38:39], off
	s_mov_b32 s1, 0
	s_wait_loadcnt 0x0
	v_cvt_i32_f64_e32 v44, v[44:45]
	s_branch .LBB23_3483
.LBB23_3479:
	s_mov_b32 s1, -1
                                        ; implicit-def: $vgpr44
	s_branch .LBB23_3501
.LBB23_3480:
	s_mov_b32 s1, -1
                                        ; implicit-def: $vgpr44
	s_branch .LBB23_3489
.LBB23_3481:
	s_mov_b32 s1, -1
                                        ; implicit-def: $vgpr44
	s_branch .LBB23_3486
.LBB23_3482:
	s_mov_b32 s1, -1
                                        ; implicit-def: $vgpr44
.LBB23_3483:
	s_delay_alu instid0(SALU_CYCLE_1)
	s_and_not1_b32 vcc_lo, exec_lo, s1
	s_cbranch_vccnz .LBB23_3485
; %bb.3484:
	global_load_b32 v5, v[38:39], off
	s_wait_loadcnt 0x0
	v_cvt_i32_f32_e32 v44, v5
.LBB23_3485:
	s_mov_b32 s1, 0
.LBB23_3486:
	s_delay_alu instid0(SALU_CYCLE_1)
	s_and_not1_b32 vcc_lo, exec_lo, s1
	s_cbranch_vccnz .LBB23_3488
; %bb.3487:
	global_load_b32 v5, v[38:39], off
	s_wait_loadcnt 0x0
	v_cvt_f32_f16_e32 v5, v5
	s_delay_alu instid0(VALU_DEP_1)
	v_cvt_i32_f32_e32 v44, v5
.LBB23_3488:
	s_mov_b32 s1, 0
.LBB23_3489:
	s_delay_alu instid0(SALU_CYCLE_1)
	s_and_not1_b32 vcc_lo, exec_lo, s1
	s_cbranch_vccnz .LBB23_3500
; %bb.3490:
	s_cmp_lt_i32 s0, 6
	s_cbranch_scc1 .LBB23_3493
; %bb.3491:
	s_cmp_gt_i32 s0, 6
	s_cbranch_scc0 .LBB23_3494
; %bb.3492:
	s_wait_loadcnt 0x0
	global_load_b64 v[44:45], v[38:39], off
	s_mov_b32 s1, 0
	s_wait_loadcnt 0x0
	v_cvt_i32_f64_e32 v44, v[44:45]
	s_branch .LBB23_3495
.LBB23_3493:
	s_mov_b32 s1, -1
                                        ; implicit-def: $vgpr44
	s_branch .LBB23_3498
.LBB23_3494:
	s_mov_b32 s1, -1
                                        ; implicit-def: $vgpr44
.LBB23_3495:
	s_delay_alu instid0(SALU_CYCLE_1)
	s_and_not1_b32 vcc_lo, exec_lo, s1
	s_cbranch_vccnz .LBB23_3497
; %bb.3496:
	global_load_b32 v5, v[38:39], off
	s_wait_loadcnt 0x0
	v_cvt_i32_f32_e32 v44, v5
.LBB23_3497:
	s_mov_b32 s1, 0
.LBB23_3498:
	s_delay_alu instid0(SALU_CYCLE_1)
	s_and_not1_b32 vcc_lo, exec_lo, s1
	s_cbranch_vccnz .LBB23_3500
; %bb.3499:
	global_load_u16 v5, v[38:39], off
	s_wait_loadcnt 0x0
	v_cvt_f32_f16_e32 v5, v5
	s_delay_alu instid0(VALU_DEP_1)
	v_cvt_i32_f32_e32 v44, v5
.LBB23_3500:
	s_mov_b32 s1, 0
.LBB23_3501:
	s_delay_alu instid0(SALU_CYCLE_1)
	s_and_not1_b32 vcc_lo, exec_lo, s1
	s_cbranch_vccnz .LBB23_3521
; %bb.3502:
	s_cmp_lt_i32 s0, 2
	s_cbranch_scc1 .LBB23_3506
; %bb.3503:
	s_cmp_lt_i32 s0, 3
	s_cbranch_scc1 .LBB23_3507
; %bb.3504:
	s_cmp_gt_i32 s0, 3
	s_cbranch_scc0 .LBB23_3508
; %bb.3505:
	s_wait_loadcnt 0x0
	global_load_b32 v44, v[38:39], off
	s_mov_b32 s1, 0
	s_branch .LBB23_3509
.LBB23_3506:
	s_mov_b32 s1, -1
                                        ; implicit-def: $vgpr44
	s_branch .LBB23_3515
.LBB23_3507:
	s_mov_b32 s1, -1
                                        ; implicit-def: $vgpr44
	s_branch .LBB23_3512
.LBB23_3508:
	s_mov_b32 s1, -1
                                        ; implicit-def: $vgpr44
.LBB23_3509:
	s_delay_alu instid0(SALU_CYCLE_1)
	s_and_not1_b32 vcc_lo, exec_lo, s1
	s_cbranch_vccnz .LBB23_3511
; %bb.3510:
	s_wait_loadcnt 0x0
	global_load_b32 v44, v[38:39], off
.LBB23_3511:
	s_mov_b32 s1, 0
.LBB23_3512:
	s_delay_alu instid0(SALU_CYCLE_1)
	s_and_not1_b32 vcc_lo, exec_lo, s1
	s_cbranch_vccnz .LBB23_3514
; %bb.3513:
	s_wait_loadcnt 0x0
	global_load_i16 v44, v[38:39], off
.LBB23_3514:
	s_mov_b32 s1, 0
.LBB23_3515:
	s_delay_alu instid0(SALU_CYCLE_1)
	s_and_not1_b32 vcc_lo, exec_lo, s1
	s_cbranch_vccnz .LBB23_3521
; %bb.3516:
	s_cmp_gt_i32 s0, 0
	s_mov_b32 s0, 0
	s_cbranch_scc0 .LBB23_3518
; %bb.3517:
	s_wait_loadcnt 0x0
	global_load_i8 v44, v[38:39], off
	s_branch .LBB23_3519
.LBB23_3518:
	s_mov_b32 s0, -1
                                        ; implicit-def: $vgpr44
.LBB23_3519:
	s_delay_alu instid0(SALU_CYCLE_1)
	s_and_not1_b32 vcc_lo, exec_lo, s0
	s_cbranch_vccnz .LBB23_3521
; %bb.3520:
	s_wait_loadcnt 0x0
	global_load_u8 v44, v[38:39], off
.LBB23_3521:
	s_mov_b32 s9, -1
.LBB23_3522:
	s_delay_alu instid0(SALU_CYCLE_1)
	s_and_not1_b32 vcc_lo, exec_lo, s9
	s_cbranch_vccnz .LBB23_3531
; %bb.3523:
	s_load_b32 s8, s[2:3], 0x278
	s_get_pc_i64 s[0:1]
	s_add_nc_u64 s[0:1], s[0:1], .str.1@rel64+4
	s_delay_alu instid0(SALU_CYCLE_1) | instskip(SKIP_4) | instid1(SALU_CYCLE_1)
	s_cmp_eq_u64 s[0:1], 0
	s_cselect_b32 s0, -1, 0
	s_wait_kmcnt 0x0
	v_cmp_ne_u32_e32 vcc_lo, s8, v1
	s_or_b32 s0, s0, vcc_lo
	s_and_saveexec_b32 s1, s0
	s_delay_alu instid0(SALU_CYCLE_1)
	s_xor_b32 s0, exec_lo, s1
	s_cbranch_execnz .LBB23_3906
.LBB23_3524:
	s_or_saveexec_b32 s38, s0
	s_mov_b32 s1, 0
	s_mov_b32 s8, 0
                                        ; implicit-def: $vgpr38_vgpr39
                                        ; implicit-def: $sgpr0
	s_xor_b32 exec_lo, exec_lo, s38
	s_cbranch_execz .LBB23_4420
; %bb.3525:
	s_load_b64 s[10:11], s[2:3], 0x288
	s_get_pc_i64 s[0:1]
	s_add_nc_u64 s[0:1], s[0:1], .str.2@rel64+4
	s_mov_b32 s39, s33
	s_cmp_eq_u64 s[0:1], 0
	s_cselect_b32 s0, -1, 0
	s_wait_kmcnt 0x0
	v_cmp_ne_u32_e32 vcc_lo, s10, v3
	s_or_b32 s0, s0, vcc_lo
	s_delay_alu instid0(SALU_CYCLE_1) | instskip(NEXT) | instid1(SALU_CYCLE_1)
	s_and_saveexec_b32 s1, s0
	s_xor_b32 s0, exec_lo, s1
	s_cbranch_execnz .LBB23_4035
; %bb.3526:
	s_or_saveexec_b32 s40, s0
	s_mov_b32 s1, 0
                                        ; implicit-def: $vgpr38_vgpr39
                                        ; implicit-def: $sgpr0
	s_xor_b32 exec_lo, exec_lo, s40
	s_cbranch_execz .LBB23_4419
.LBB23_3527:
	s_load_b64 s[20:21], s[2:3], 0x280
	v_sub_nc_u32_e32 v5, v40, v42
	s_get_pc_i64 s[8:9]
	s_add_nc_u64 s[8:9], s[8:9], .str.3@rel64+4
	s_wait_kmcnt 0x0
	s_mov_b32 s21, s39
	v_cmp_gt_i32_e32 vcc_lo, v1, v5
	v_cmp_lt_i32_e64 s0, s20, v5
	s_or_b32 s0, vcc_lo, s0
	s_cmp_eq_u64 s[8:9], 0
	s_cselect_b32 s1, -1, 0
	s_delay_alu instid0(SALU_CYCLE_1) | instskip(NEXT) | instid1(SALU_CYCLE_1)
	s_or_b32 s0, s1, s0
	s_and_saveexec_b32 s1, s0
	s_delay_alu instid0(SALU_CYCLE_1)
	s_xor_b32 s0, exec_lo, s1
	s_cbranch_execnz .LBB23_4164
.LBB23_3528:
	s_or_saveexec_b32 s41, s0
	s_mov_b32 s1, 0
	s_mov_b32 s8, 0
                                        ; implicit-def: $vgpr38_vgpr39
                                        ; implicit-def: $sgpr0
	s_xor_b32 exec_lo, exec_lo, s41
	s_cbranch_execz .LBB23_4418
; %bb.3529:
	s_load_b32 s45, s[2:3], 0x290
	v_cmp_gt_i64_e64 s0, s[10:11], 0
	v_mov_b64_e32 v[38:39], 0
	s_wait_kmcnt 0x0
	s_add_co_i32 s8, s45, -1
	s_delay_alu instid0(SALU_CYCLE_1) | instskip(SKIP_1) | instid1(SALU_CYCLE_1)
	s_cmp_gt_i32 s8, -1
	s_cselect_b32 s1, -1, 0
	s_and_b32 s0, s0, s1
	s_delay_alu instid0(SALU_CYCLE_1) | instskip(NEXT) | instid1(VALU_DEP_1)
	v_cndmask_b32_e64 v5, 0, 1, s0
	v_cmp_ne_u32_e32 vcc_lo, 1, v5
	s_cbranch_vccnz .LBB23_3581
; %bb.3530:
	s_wait_loadcnt 0x0
	v_ashrrev_i32_e32 v45, 31, v44
	s_mov_b32 s1, 0
	v_mov_b64_e32 v[38:39], 0
	s_mov_b32 s9, s1
	s_mov_b64 s[22:23], 0xffffffff
	v_mul_u64_e32 v[46:47], s[10:11], v[44:45]
	s_lshl_b64 s[24:25], s[8:9], 3
	v_mov_b32_e32 v44, 0
	s_add_nc_u64 s[24:25], s[2:3], s[24:25]
	s_mov_b32 s9, s45
	s_add_nc_u64 s[24:25], s[24:25], 0x298
	s_branch .LBB23_3577
.LBB23_3531:
	s_mov_b32 s1, 0
	s_mov_b32 s8, 0
                                        ; implicit-def: $vgpr38_vgpr39
                                        ; implicit-def: $sgpr0
.LBB23_3532:
	s_wait_xcnt 0x0
	s_and_not1_b32 s2, s36, exec_lo
	s_and_b32 s3, s33, exec_lo
	s_and_b32 s4, s8, exec_lo
	;; [unrolled: 1-line block ×3, first 2 shown]
	s_or_b32 s36, s2, s3
.LBB23_3533:
	s_or_b32 exec_lo, exec_lo, s37
	s_and_saveexec_b32 s1, s36
	s_cbranch_execz .LBB23_3536
; %bb.3534:
	; divergent unreachable
	s_or_b32 exec_lo, exec_lo, s1
	s_and_saveexec_b32 s1, s63
	s_delay_alu instid0(SALU_CYCLE_1)
	s_xor_b32 s1, exec_lo, s1
	s_cbranch_execnz .LBB23_3537
.LBB23_3535:
	s_or_b32 exec_lo, exec_lo, s1
	s_and_saveexec_b32 s1, s4
	s_cbranch_execnz .LBB23_3538
	s_branch .LBB23_3575
.LBB23_3536:
	s_or_b32 exec_lo, exec_lo, s1
	s_and_saveexec_b32 s1, s63
	s_delay_alu instid0(SALU_CYCLE_1)
	s_xor_b32 s1, exec_lo, s1
	s_cbranch_execz .LBB23_3535
.LBB23_3537:
	s_wait_loadcnt 0x0
	v_mov_b32_e32 v0, 0
	global_store_b8 v[38:39], v0, off
	s_wait_xcnt 0x0
	s_or_b32 exec_lo, exec_lo, s1
	s_and_saveexec_b32 s1, s4
	s_cbranch_execz .LBB23_3575
.LBB23_3538:
	s_sext_i32_i16 s2, s0
	s_mov_b32 s1, -1
	s_cmp_lt_i32 s2, 5
	s_cbranch_scc1 .LBB23_3559
; %bb.3539:
	s_cmp_lt_i32 s2, 8
	s_cbranch_scc1 .LBB23_3549
; %bb.3540:
	;; [unrolled: 3-line block ×3, first 2 shown]
	s_cmp_gt_i32 s2, 9
	s_cbranch_scc0 .LBB23_3543
; %bb.3542:
	s_wait_loadcnt 0x0
	v_mov_b32_e32 v0, 0
	s_mov_b32 s1, 0
	s_delay_alu instid0(VALU_DEP_1)
	v_dual_mov_b32 v1, v0 :: v_dual_mov_b32 v2, v0
	v_mov_b32_e32 v3, v0
	global_store_b128 v[38:39], v[0:3], off
.LBB23_3543:
	s_and_not1_b32 vcc_lo, exec_lo, s1
	s_cbranch_vccnz .LBB23_3545
; %bb.3544:
	s_wait_loadcnt 0x0
	v_mov_b64_e32 v[0:1], 0
	global_store_b64 v[38:39], v[0:1], off
.LBB23_3545:
	s_mov_b32 s1, 0
.LBB23_3546:
	s_delay_alu instid0(SALU_CYCLE_1)
	s_and_not1_b32 vcc_lo, exec_lo, s1
	s_cbranch_vccnz .LBB23_3548
; %bb.3547:
	s_wait_loadcnt 0x0
	v_mov_b32_e32 v0, 0
	global_store_b32 v[38:39], v0, off
.LBB23_3548:
	s_mov_b32 s1, 0
.LBB23_3549:
	s_delay_alu instid0(SALU_CYCLE_1)
	s_and_not1_b32 vcc_lo, exec_lo, s1
	s_cbranch_vccnz .LBB23_3558
; %bb.3550:
	s_sext_i32_i16 s2, s0
	s_mov_b32 s1, -1
	s_cmp_lt_i32 s2, 6
	s_cbranch_scc1 .LBB23_3556
; %bb.3551:
	s_cmp_gt_i32 s2, 6
	s_cbranch_scc0 .LBB23_3553
; %bb.3552:
	s_wait_loadcnt 0x0
	v_mov_b64_e32 v[0:1], 0
	s_mov_b32 s1, 0
	global_store_b64 v[38:39], v[0:1], off
.LBB23_3553:
	s_and_not1_b32 vcc_lo, exec_lo, s1
	s_cbranch_vccnz .LBB23_3555
; %bb.3554:
	s_wait_loadcnt 0x0
	v_mov_b32_e32 v0, 0
	global_store_b32 v[38:39], v0, off
.LBB23_3555:
	s_mov_b32 s1, 0
.LBB23_3556:
	s_delay_alu instid0(SALU_CYCLE_1)
	s_and_not1_b32 vcc_lo, exec_lo, s1
	s_cbranch_vccnz .LBB23_3558
; %bb.3557:
	s_wait_loadcnt 0x0
	v_mov_b32_e32 v0, 0
	global_store_b16 v[38:39], v0, off
.LBB23_3558:
	s_mov_b32 s1, 0
.LBB23_3559:
	s_delay_alu instid0(SALU_CYCLE_1)
	s_and_not1_b32 vcc_lo, exec_lo, s1
	s_cbranch_vccnz .LBB23_3575
; %bb.3560:
	s_sext_i32_i16 s2, s0
	s_mov_b32 s1, -1
	s_cmp_lt_i32 s2, 2
	s_cbranch_scc1 .LBB23_3570
; %bb.3561:
	s_cmp_lt_i32 s2, 3
	s_cbranch_scc1 .LBB23_3567
; %bb.3562:
	s_cmp_gt_i32 s2, 3
	s_cbranch_scc0 .LBB23_3564
; %bb.3563:
	s_wait_loadcnt 0x0
	v_mov_b64_e32 v[0:1], 0
	s_mov_b32 s1, 0
	global_store_b64 v[38:39], v[0:1], off
.LBB23_3564:
	s_and_not1_b32 vcc_lo, exec_lo, s1
	s_cbranch_vccnz .LBB23_3566
; %bb.3565:
	s_wait_loadcnt 0x0
	v_mov_b32_e32 v0, 0
	global_store_b32 v[38:39], v0, off
.LBB23_3566:
	s_mov_b32 s1, 0
.LBB23_3567:
	s_delay_alu instid0(SALU_CYCLE_1)
	s_and_not1_b32 vcc_lo, exec_lo, s1
	s_cbranch_vccnz .LBB23_3569
; %bb.3568:
	s_wait_loadcnt 0x0
	v_mov_b32_e32 v0, 0
	global_store_b16 v[38:39], v0, off
.LBB23_3569:
	s_mov_b32 s1, 0
.LBB23_3570:
	s_delay_alu instid0(SALU_CYCLE_1)
	s_and_not1_b32 vcc_lo, exec_lo, s1
	s_cbranch_vccnz .LBB23_3575
; %bb.3571:
	s_sext_i32_i16 s0, s0
	s_delay_alu instid0(SALU_CYCLE_1)
	s_cmp_gt_i32 s0, 0
	s_mov_b32 s0, -1
	s_cbranch_scc0 .LBB23_3573
; %bb.3572:
	s_wait_loadcnt 0x0
	v_mov_b32_e32 v0, 0
	s_mov_b32 s0, 0
	global_store_b8 v[38:39], v0, off
.LBB23_3573:
	s_and_not1_b32 vcc_lo, exec_lo, s0
	s_cbranch_vccnz .LBB23_3575
; %bb.3574:
	s_wait_loadcnt 0x0
	v_mov_b32_e32 v0, 0
	global_store_b8 v[38:39], v0, off
	s_endpgm
.LBB23_3575:
	s_endpgm
.LBB23_3576:                            ;   in Loop: Header=BB23_3577 Depth=1
	s_or_b32 exec_lo, exec_lo, s0
	s_delay_alu instid0(VALU_DEP_1)
	v_mul_u64_e32 v[50:51], s[26:27], v[48:49]
	s_load_b64 s[26:27], s[24:25], 0x40
	s_add_co_i32 s9, s9, -1
	s_wait_xcnt 0x0
	s_add_nc_u64 s[24:25], s[24:25], -8
	s_cmp_eq_u32 s9, 0
	s_delay_alu instid0(VALU_DEP_1) | instskip(SKIP_1) | instid1(VALU_DEP_1)
	v_sub_nc_u64_e32 v[46:47], v[46:47], v[50:51]
	s_wait_kmcnt 0x0
	v_mad_nc_u64_u32 v[38:39], v46, s26, v[38:39]
	s_delay_alu instid0(VALU_DEP_1) | instskip(NEXT) | instid1(VALU_DEP_1)
	v_mad_u32 v7, v47, s26, v39
	v_mad_u32 v39, v46, s27, v7
	v_mov_b64_e32 v[46:47], v[48:49]
	s_cbranch_scc1 .LBB23_3581
.LBB23_3577:                            ; =>This Inner Loop Header: Depth=1
	s_load_b64 s[26:27], s[24:25], 0x0
                                        ; implicit-def: $vgpr48_vgpr49
	s_mov_b32 s0, exec_lo
	s_wait_kmcnt 0x0
	s_delay_alu instid0(VALU_DEP_1) | instskip(NEXT) | instid1(VALU_DEP_1)
	v_or_b32_e32 v45, s27, v47
	v_cmpx_ne_u64_e32 0, v[44:45]
	s_xor_b32 s42, exec_lo, s0
	s_cbranch_execz .LBB23_3579
; %bb.3578:                             ;   in Loop: Header=BB23_3577 Depth=1
	s_ashr_i32 s28, s27, 31
	v_dual_mov_b32 v53, v44 :: v_dual_ashrrev_i32 v48, 31, v47
	s_mov_b32 s29, s28
	v_mov_b32_e32 v61, v44
	s_add_nc_u64 s[30:31], s[26:27], s[28:29]
	s_delay_alu instid0(VALU_DEP_2) | instskip(SKIP_1) | instid1(SALU_CYCLE_1)
	v_mov_b32_e32 v49, v48
	s_xor_b64 s[30:31], s[30:31], s[28:29]
	s_cvt_f32_u32 s0, s30
	s_cvt_f32_u32 s29, s31
	s_sub_nc_u64 s[52:53], 0, s[30:31]
	v_add_nc_u64_e32 v[50:51], v[46:47], v[48:49]
	v_mov_b32_e32 v57, v44
	s_fmamk_f32 s0, s29, 0x4f800000, s0
	s_delay_alu instid0(SALU_CYCLE_3) | instskip(NEXT) | instid1(VALU_DEP_2)
	v_s_rcp_f32 s0, s0
	v_xor_b32_e32 v52, v50, v48
	s_delay_alu instid0(VALU_DEP_3) | instskip(NEXT) | instid1(TRANS32_DEP_1)
	v_xor_b32_e32 v56, v51, v48
	s_mul_f32 s0, s0, 0x5f7ffffc
	s_delay_alu instid0(SALU_CYCLE_3) | instskip(NEXT) | instid1(SALU_CYCLE_3)
	s_mul_f32 s29, s0, 0x2f800000
	s_trunc_f32 s29, s29
	s_delay_alu instid0(SALU_CYCLE_3) | instskip(SKIP_1) | instid1(SALU_CYCLE_2)
	s_fmamk_f32 s0, s29, 0xcf800000, s0
	s_cvt_u32_f32 s51, s29
	s_cvt_u32_f32 s50, s0
	s_delay_alu instid0(SALU_CYCLE_3) | instskip(NEXT) | instid1(SALU_CYCLE_1)
	s_mul_u64 s[54:55], s[52:53], s[50:51]
	s_mul_hi_u32 s57, s50, s55
	s_mul_i32 s56, s50, s55
	s_mul_hi_u32 s0, s50, s54
	s_mul_i32 s43, s51, s54
	s_add_nc_u64 s[56:57], s[0:1], s[56:57]
	s_mul_hi_u32 s29, s51, s54
	s_mul_hi_u32 s44, s51, s55
	s_add_co_u32 s0, s56, s43
	s_add_co_ci_u32 s0, s57, s29
	s_mul_i32 s54, s51, s55
	s_add_co_ci_u32 s55, s44, 0
	s_delay_alu instid0(SALU_CYCLE_1) | instskip(NEXT) | instid1(SALU_CYCLE_1)
	s_add_nc_u64 s[54:55], s[0:1], s[54:55]
	s_add_co_u32 s50, s50, s54
	s_cselect_b32 s0, -1, 0
	s_delay_alu instid0(SALU_CYCLE_1) | instskip(SKIP_1) | instid1(SALU_CYCLE_1)
	s_cmp_lg_u32 s0, 0
	s_add_co_ci_u32 s51, s51, s55
	s_mul_u64 s[52:53], s[52:53], s[50:51]
	s_delay_alu instid0(SALU_CYCLE_1)
	s_mul_hi_u32 s55, s50, s53
	s_mul_i32 s54, s50, s53
	s_mul_hi_u32 s0, s50, s52
	s_mul_i32 s43, s51, s52
	s_add_nc_u64 s[54:55], s[0:1], s[54:55]
	s_mul_hi_u32 s29, s51, s52
	s_mul_hi_u32 s44, s51, s53
	s_add_co_u32 s0, s54, s43
	s_add_co_ci_u32 s0, s55, s29
	s_mul_i32 s52, s51, s53
	s_add_co_ci_u32 s53, s44, 0
	s_delay_alu instid0(SALU_CYCLE_1) | instskip(NEXT) | instid1(SALU_CYCLE_1)
	s_add_nc_u64 s[52:53], s[0:1], s[52:53]
	s_add_co_u32 s44, s50, s52
	s_cselect_b32 s0, -1, 0
	v_mul_hi_u32 v60, v52, s44
	s_cmp_lg_u32 s0, 0
	s_add_co_ci_u32 s0, s51, s53
	s_and_b64 s[50:51], s[44:45], s[22:23]
	v_mul_u64_e32 v[54:55], s[0:1], v[52:53]
	v_mul_u64_e32 v[50:51], s[50:51], v[56:57]
	;; [unrolled: 1-line block ×3, first 2 shown]
	s_delay_alu instid0(VALU_DEP_3) | instskip(NEXT) | instid1(VALU_DEP_1)
	v_add_nc_u64_e32 v[54:55], v[60:61], v[54:55]
	v_add_co_u32 v7, vcc_lo, v54, v50
	s_delay_alu instid0(VALU_DEP_2) | instskip(NEXT) | instid1(VALU_DEP_4)
	v_add_co_ci_u32_e32 v60, vcc_lo, v55, v51, vcc_lo
	v_add_co_ci_u32_e32 v59, vcc_lo, 0, v59, vcc_lo
	s_delay_alu instid0(VALU_DEP_1) | instskip(NEXT) | instid1(VALU_DEP_1)
	v_add_nc_u64_e32 v[50:51], v[60:61], v[58:59]
	v_mul_u64_e32 v[54:55], s[30:31], v[50:51]
	s_delay_alu instid0(VALU_DEP_1) | instskip(NEXT) | instid1(VALU_DEP_2)
	v_sub_nc_u32_e32 v7, v56, v55
	v_sub_co_u32 v9, vcc_lo, v52, v54
	s_delay_alu instid0(VALU_DEP_1) | instskip(NEXT) | instid1(VALU_DEP_3)
	v_sub_co_ci_u32_e64 v13, null, v56, v55, vcc_lo
	v_subrev_co_ci_u32_e64 v7, null, s31, v7, vcc_lo
	s_delay_alu instid0(VALU_DEP_3) | instskip(SKIP_1) | instid1(VALU_DEP_3)
	v_sub_co_u32 v11, s0, v9, s30
	v_add_nc_u64_e32 v[52:53], 2, v[50:51]
	v_subrev_co_ci_u32_e64 v7, null, 0, v7, s0
	s_delay_alu instid0(VALU_DEP_3) | instskip(SKIP_2) | instid1(VALU_DEP_4)
	v_cmp_le_u32_e32 vcc_lo, s30, v11
	v_add_nc_u64_e32 v[54:55], 1, v[50:51]
	v_cndmask_b32_e64 v11, 0, -1, vcc_lo
	v_cmp_le_u32_e32 vcc_lo, s31, v7
	v_cndmask_b32_e64 v15, 0, -1, vcc_lo
	v_cmp_le_u32_e32 vcc_lo, s30, v9
	;; [unrolled: 2-line block ×3, first 2 shown]
	v_cndmask_b32_e64 v17, 0, -1, vcc_lo
	v_cmp_eq_u32_e32 vcc_lo, s31, v7
	v_cndmask_b32_e32 v7, v15, v11, vcc_lo
	v_cmp_eq_u32_e32 vcc_lo, s31, v13
	s_delay_alu instid0(VALU_DEP_4) | instskip(NEXT) | instid1(VALU_DEP_3)
	v_cndmask_b32_e32 v9, v17, v9, vcc_lo
	v_cmp_ne_u32_e32 vcc_lo, 0, v7
	s_delay_alu instid0(VALU_DEP_2) | instskip(SKIP_1) | instid1(VALU_DEP_1)
	v_cmp_ne_u32_e64 s0, 0, v9
	v_dual_cndmask_b32 v7, v55, v53, vcc_lo :: v_dual_cndmask_b32 v9, v54, v52, vcc_lo
	v_dual_cndmask_b32 v7, v51, v7, s0 :: v_dual_bitop2_b32 v48, s28, v48 bitop3:0x14
	s_delay_alu instid0(VALU_DEP_1) | instskip(NEXT) | instid1(VALU_DEP_2)
	v_dual_cndmask_b32 v9, v50, v9, s0 :: v_dual_mov_b32 v49, v48
	v_xor_b32_e32 v51, v7, v48
	s_delay_alu instid0(VALU_DEP_2) | instskip(NEXT) | instid1(VALU_DEP_1)
	v_xor_b32_e32 v50, v9, v48
	v_sub_nc_u64_e32 v[48:49], v[50:51], v[48:49]
.LBB23_3579:                            ;   in Loop: Header=BB23_3577 Depth=1
	s_and_not1_saveexec_b32 s0, s42
	s_cbranch_execz .LBB23_3576
; %bb.3580:                             ;   in Loop: Header=BB23_3577 Depth=1
	v_cvt_f32_u32_e32 v7, s26
	s_sub_co_i32 s28, 0, s26
	v_mov_b32_e32 v49, v44
	s_delay_alu instid0(VALU_DEP_2) | instskip(SKIP_1) | instid1(TRANS32_DEP_1)
	v_rcp_iflag_f32_e32 v7, v7
	v_nop
	v_mul_f32_e32 v7, 0x4f7ffffe, v7
	s_delay_alu instid0(VALU_DEP_1) | instskip(NEXT) | instid1(VALU_DEP_1)
	v_cvt_u32_f32_e32 v7, v7
	v_mul_lo_u32 v9, s28, v7
	s_delay_alu instid0(VALU_DEP_1) | instskip(NEXT) | instid1(VALU_DEP_1)
	v_mul_hi_u32 v9, v7, v9
	v_add_nc_u32_e32 v7, v7, v9
	s_delay_alu instid0(VALU_DEP_1) | instskip(NEXT) | instid1(VALU_DEP_1)
	v_mul_hi_u32 v7, v46, v7
	v_mul_lo_u32 v9, v7, s26
	s_delay_alu instid0(VALU_DEP_1) | instskip(NEXT) | instid1(VALU_DEP_1)
	v_sub_nc_u32_e32 v9, v46, v9
	v_subrev_nc_u32_e32 v13, s26, v9
	v_cmp_le_u32_e32 vcc_lo, s26, v9
	s_delay_alu instid0(VALU_DEP_2) | instskip(NEXT) | instid1(VALU_DEP_1)
	v_dual_add_nc_u32 v11, 1, v7 :: v_dual_cndmask_b32 v9, v9, v13, vcc_lo
	v_cndmask_b32_e32 v7, v7, v11, vcc_lo
	s_delay_alu instid0(VALU_DEP_2) | instskip(NEXT) | instid1(VALU_DEP_2)
	v_cmp_le_u32_e32 vcc_lo, s26, v9
	v_add_nc_u32_e32 v11, 1, v7
	s_delay_alu instid0(VALU_DEP_1)
	v_cndmask_b32_e32 v48, v7, v11, vcc_lo
	s_branch .LBB23_3576
.LBB23_3581:
	s_load_b64 s[22:23], s[2:3], 0x318
	s_get_pc_i64 s[0:1]
	s_add_nc_u64 s[0:1], s[0:1], .str.4@rel64+4
	s_mov_b32 s24, -1
	s_cmp_lg_u64 s[0:1], 0
	s_mov_b32 s42, s21
	s_cselect_b32 s46, -1, 0
	s_mov_b32 s0, exec_lo
	v_cmpx_gt_i32_e64 v40, v42
	s_cbranch_execz .LBB23_3588
; %bb.3582:
	v_lshlrev_b64_e32 v[38:39], 2, v[38:39]
	v_dual_ashrrev_i32 v43, 31, v42 :: v_dual_ashrrev_i32 v41, 31, v40
	s_mov_b32 s9, 0
	s_xor_b32 s24, s46, -1
                                        ; implicit-def: $sgpr1
                                        ; implicit-def: $sgpr26
                                        ; implicit-def: $sgpr25
	s_delay_alu instid0(VALU_DEP_1) | instskip(SKIP_3) | instid1(VALU_DEP_2)
	v_lshl_add_u64 v[42:43], v[42:43], 2, v[38:39]
	s_wait_loadcnt 0x0
	s_wait_kmcnt 0x0
	v_add_nc_u64_e32 v[44:45], s[22:23], v[38:39]
	v_add_nc_u64_e32 v[42:43], s[22:23], v[42:43]
	s_delay_alu instid0(VALU_DEP_2) | instskip(NEXT) | instid1(VALU_DEP_2)
	v_lshl_add_u64 v[40:41], v[40:41], 2, v[44:45]
	v_add_nc_u64_e32 v[38:39], 4, v[42:43]
	s_branch .LBB23_3584
.LBB23_3583:                            ;   in Loop: Header=BB23_3584 Depth=1
	s_or_b32 exec_lo, exec_lo, s27
	s_xor_b32 s27, s25, -1
	s_and_b32 s28, exec_lo, s26
	s_delay_alu instid0(SALU_CYCLE_1) | instskip(SKIP_2) | instid1(SALU_CYCLE_1)
	s_or_b32 s9, s28, s9
	s_and_not1_b32 s1, s1, exec_lo
	s_and_b32 s27, s27, exec_lo
	s_or_b32 s1, s1, s27
	s_and_not1_b32 exec_lo, exec_lo, s9
	s_cbranch_execz .LBB23_3586
.LBB23_3584:                            ; =>This Inner Loop Header: Depth=1
	s_or_b32 s25, s25, exec_lo
	s_or_b32 s26, s26, exec_lo
	s_mov_b32 s27, exec_lo
	s_delay_alu instid0(VALU_DEP_1)
	v_cmpx_lt_u64_e64 v[38:39], v[40:41]
	s_cbranch_execz .LBB23_3583
; %bb.3585:                             ;   in Loop: Header=BB23_3584 Depth=1
	global_load_b64 v[42:43], v[38:39], off offset:-4
	s_wait_xcnt 0x0
	v_add_nc_u64_e32 v[38:39], 4, v[38:39]
	s_and_not1_b32 s26, s26, exec_lo
	s_and_not1_b32 s25, s25, exec_lo
	s_wait_loadcnt 0x0
	v_cmp_ge_i32_e32 vcc_lo, v42, v43
	s_or_b32 s28, s24, vcc_lo
	s_delay_alu instid0(SALU_CYCLE_1) | instskip(NEXT) | instid1(SALU_CYCLE_1)
	s_and_b32 s28, s28, exec_lo
	s_or_b32 s26, s26, s28
	s_branch .LBB23_3583
.LBB23_3586:
	s_or_b32 exec_lo, exec_lo, s9
	s_mov_b32 s9, -1
	s_mov_b32 s24, s21
	s_and_saveexec_b32 s25, s1
	s_delay_alu instid0(SALU_CYCLE_1)
	s_xor_b32 s1, exec_lo, s25
	s_cbranch_execnz .LBB23_3691
.LBB23_3587:
	s_or_b32 exec_lo, exec_lo, s1
	s_delay_alu instid0(SALU_CYCLE_1) | instskip(SKIP_1) | instid1(SALU_CYCLE_1)
	s_and_not1_b32 s1, s21, exec_lo
	s_and_b32 s24, s24, exec_lo
	s_or_b32 s42, s1, s24
	s_or_not1_b32 s24, s9, exec_lo
.LBB23_3588:
	s_or_b32 exec_lo, exec_lo, s0
	s_mov_b32 s1, 0
	s_mov_b32 s9, 0
                                        ; implicit-def: $vgpr38_vgpr39
                                        ; implicit-def: $sgpr0
	s_and_saveexec_b32 s43, s24
	s_cbranch_execz .LBB23_4417
; %bb.3589:
	v_mov_b32_e32 v37, 0
	s_and_b32 s55, 0xffff, s34
	s_delay_alu instid0(SALU_CYCLE_1) | instskip(NEXT) | instid1(VALU_DEP_1)
	s_cmp_lt_i32 s55, 11
	v_add_nc_u64_e32 v[36:37], s[6:7], v[36:37]
	s_cbranch_scc1 .LBB23_3597
; %bb.3590:
	s_cmp_gt_i32 s55, 25
	s_cbranch_scc0 .LBB23_3599
; %bb.3591:
	s_cmp_gt_i32 s55, 28
	s_cbranch_scc0 .LBB23_3601
	;; [unrolled: 3-line block ×4, first 2 shown]
; %bb.3594:
	s_cmp_eq_u32 s55, 46
	s_mov_b32 s24, 0
	s_cbranch_scc0 .LBB23_3779
; %bb.3595:
	global_load_b32 v7, v[36:37], off
	s_mov_b32 s0, 0
	s_mov_b32 s9, -1
	s_wait_loadcnt 0x0
	v_lshlrev_b32_e32 v7, 16, v7
	s_delay_alu instid0(VALU_DEP_1)
	v_cvt_i32_f32_e32 v7, v7
	s_branch .LBB23_3781
.LBB23_3596:
	s_or_b32 s33, s33, exec_lo
	s_trap 2
	s_cbranch_execz .LBB23_3471
	s_branch .LBB23_3472
.LBB23_3597:
	s_mov_b32 s0, -1
	s_mov_b32 s44, s42
                                        ; implicit-def: $vgpr7
	s_branch .LBB23_3843
.LBB23_3598:
	s_mov_b32 s52, -1
	s_mov_b32 s53, 0
	s_mov_b32 s50, s67
	s_branch .LBB23_3733
.LBB23_3599:
	s_mov_b32 s24, -1
	s_mov_b32 s0, 0
                                        ; implicit-def: $vgpr7
	s_branch .LBB23_3808
.LBB23_3600:
	s_mov_b32 s54, -1
	s_mov_b32 s53, 0
	s_mov_b32 s50, s67
	s_branch .LBB23_3713
.LBB23_3601:
	s_mov_b32 s24, -1
	s_mov_b32 s0, 0
                                        ; implicit-def: $vgpr7
	s_branch .LBB23_3791
.LBB23_3602:
	s_mov_b32 s54, -1
	s_mov_b32 s53, 0
	s_mov_b32 s50, s67
	s_branch .LBB23_3702
.LBB23_3603:
	s_mov_b32 s24, -1
	s_mov_b32 s0, 0
                                        ; implicit-def: $vgpr7
	s_branch .LBB23_3786
.LBB23_3604:
	s_mov_b32 s54, -1
	s_mov_b32 s53, 0
	s_mov_b32 s50, s60
.LBB23_3605:
	s_and_b32 vcc_lo, exec_lo, s54
	s_cbranch_vccz .LBB23_3608
; %bb.3606:
	s_cmp_eq_u32 s52, 44
	s_mov_b32 s50, -1
	s_cbranch_scc0 .LBB23_3608
; %bb.3607:
	s_wait_xcnt 0x0
	v_mov_b32_e32 v1, 0
	s_mov_b32 s53, -1
	s_mov_b32 s50, 0
	global_store_b8 v[2:3], v1, off
.LBB23_3608:
	s_mov_b32 s54, 0
.LBB23_3609:
	s_delay_alu instid0(SALU_CYCLE_1)
	s_and_b32 vcc_lo, exec_lo, s54
	s_cbranch_vccz .LBB23_3612
; %bb.3610:
	s_cmp_eq_u32 s52, 29
	s_mov_b32 s50, -1
	s_cbranch_scc0 .LBB23_3612
; %bb.3611:
	v_mov_b64_e32 v[4:5], 0
	s_mov_b32 s53, -1
	s_mov_b32 s50, 0
	s_mov_b32 s54, 0
	global_store_b64 v[2:3], v[4:5], off
	s_branch .LBB23_3613
.LBB23_3612:
	s_mov_b32 s54, 0
.LBB23_3613:
	s_delay_alu instid0(SALU_CYCLE_1)
	s_and_b32 vcc_lo, exec_lo, s54
	s_cbranch_vccz .LBB23_3623
; %bb.3614:
	s_cmp_lt_i32 s52, 27
	s_mov_b32 s53, -1
	s_cbranch_scc1 .LBB23_3620
; %bb.3615:
	s_cmp_gt_i32 s52, 27
	s_cbranch_scc0 .LBB23_3617
; %bb.3616:
	s_wait_xcnt 0x0
	v_mov_b32_e32 v1, 0
	s_mov_b32 s53, 0
	global_store_b32 v[2:3], v1, off
.LBB23_3617:
	s_and_not1_b32 vcc_lo, exec_lo, s53
	s_cbranch_vccnz .LBB23_3619
; %bb.3618:
	s_wait_xcnt 0x0
	v_mov_b32_e32 v1, 0
	global_store_b16 v[2:3], v1, off
.LBB23_3619:
	s_mov_b32 s53, 0
.LBB23_3620:
	s_delay_alu instid0(SALU_CYCLE_1)
	s_and_not1_b32 vcc_lo, exec_lo, s53
	s_cbranch_vccnz .LBB23_3622
; %bb.3621:
	s_wait_xcnt 0x0
	v_mov_b32_e32 v1, 0
	global_store_b8 v[2:3], v1, off
.LBB23_3622:
	s_mov_b32 s53, -1
.LBB23_3623:
	s_mov_b32 s54, 0
.LBB23_3624:
	s_delay_alu instid0(SALU_CYCLE_1)
	s_and_b32 vcc_lo, exec_lo, s54
	s_cbranch_vccz .LBB23_3643
; %bb.3625:
	s_cmp_gt_i32 s52, 22
	s_mov_b32 s54, -1
	s_cbranch_scc0 .LBB23_3635
; %bb.3626:
	s_cmp_lt_i32 s52, 24
	s_mov_b32 s53, -1
	s_cbranch_scc1 .LBB23_3632
; %bb.3627:
	s_cmp_gt_i32 s52, 24
	s_cbranch_scc0 .LBB23_3629
; %bb.3628:
	s_wait_xcnt 0x0
	v_mov_b32_e32 v1, 0
	s_mov_b32 s53, 0
	global_store_b8 v[2:3], v1, off
.LBB23_3629:
	s_and_not1_b32 vcc_lo, exec_lo, s53
	s_cbranch_vccnz .LBB23_3631
; %bb.3630:
	s_wait_xcnt 0x0
	v_mov_b32_e32 v1, 0
	global_store_b8 v[2:3], v1, off
.LBB23_3631:
	s_mov_b32 s53, 0
.LBB23_3632:
	s_delay_alu instid0(SALU_CYCLE_1)
	s_and_not1_b32 vcc_lo, exec_lo, s53
	s_cbranch_vccnz .LBB23_3634
; %bb.3633:
	s_wait_xcnt 0x0
	v_mov_b32_e32 v1, 0
	global_store_b8 v[2:3], v1, off
.LBB23_3634:
	s_mov_b32 s54, 0
	s_mov_b32 s53, -1
.LBB23_3635:
	s_and_not1_b32 vcc_lo, exec_lo, s54
	s_cbranch_vccnz .LBB23_3643
; %bb.3636:
	s_cmp_gt_i32 s52, 14
	s_mov_b32 s54, -1
	s_cbranch_scc0 .LBB23_3640
; %bb.3637:
	s_cmp_eq_u32 s52, 15
	s_mov_b32 s50, -1
	s_cbranch_scc0 .LBB23_3639
; %bb.3638:
	s_wait_xcnt 0x0
	v_mov_b32_e32 v1, 0
	s_mov_b32 s53, -1
	s_mov_b32 s50, 0
	global_store_b16 v[2:3], v1, off
.LBB23_3639:
	s_mov_b32 s54, 0
.LBB23_3640:
	s_delay_alu instid0(SALU_CYCLE_1)
	s_and_b32 vcc_lo, exec_lo, s54
	s_cbranch_vccz .LBB23_3643
; %bb.3641:
	s_cmp_eq_u32 s52, 11
	s_mov_b32 s50, -1
	s_cbranch_scc0 .LBB23_3643
; %bb.3642:
	s_wait_xcnt 0x0
	v_mov_b32_e32 v1, 0
	s_mov_b32 s53, -1
	s_mov_b32 s50, 0
	global_store_b8 v[2:3], v1, off
.LBB23_3643:
	s_mov_b32 s52, 0
.LBB23_3644:
	s_delay_alu instid0(SALU_CYCLE_1)
	s_and_b32 vcc_lo, exec_lo, s52
	s_cbranch_vccz .LBB23_3683
; %bb.3645:
	s_and_b32 s51, 0xffff, s51
	s_mov_b32 s52, -1
	s_cmp_lt_i32 s51, 5
	s_cbranch_scc1 .LBB23_3666
; %bb.3646:
	s_cmp_lt_i32 s51, 8
	s_cbranch_scc1 .LBB23_3656
; %bb.3647:
	;; [unrolled: 3-line block ×3, first 2 shown]
	s_cmp_gt_i32 s51, 9
	s_cbranch_scc0 .LBB23_3650
; %bb.3649:
	s_wait_xcnt 0x0
	v_mov_b32_e32 v4, 0
	s_mov_b32 s52, 0
	s_delay_alu instid0(VALU_DEP_1)
	v_dual_mov_b32 v5, v4 :: v_dual_mov_b32 v6, v4
	v_mov_b32_e32 v7, v4
	global_store_b128 v[2:3], v[4:7], off
.LBB23_3650:
	s_and_not1_b32 vcc_lo, exec_lo, s52
	s_cbranch_vccnz .LBB23_3652
; %bb.3651:
	s_wait_xcnt 0x0
	v_mov_b64_e32 v[4:5], 0
	global_store_b64 v[2:3], v[4:5], off
.LBB23_3652:
	s_mov_b32 s52, 0
.LBB23_3653:
	s_delay_alu instid0(SALU_CYCLE_1)
	s_and_not1_b32 vcc_lo, exec_lo, s52
	s_cbranch_vccnz .LBB23_3655
; %bb.3654:
	s_wait_xcnt 0x0
	v_mov_b32_e32 v1, 0
	global_store_b32 v[2:3], v1, off
.LBB23_3655:
	s_mov_b32 s52, 0
.LBB23_3656:
	s_delay_alu instid0(SALU_CYCLE_1)
	s_and_not1_b32 vcc_lo, exec_lo, s52
	s_cbranch_vccnz .LBB23_3665
; %bb.3657:
	s_cmp_lt_i32 s51, 6
	s_mov_b32 s52, -1
	s_cbranch_scc1 .LBB23_3663
; %bb.3658:
	s_cmp_gt_i32 s51, 6
	s_cbranch_scc0 .LBB23_3660
; %bb.3659:
	s_wait_xcnt 0x0
	v_mov_b64_e32 v[4:5], 0
	s_mov_b32 s52, 0
	global_store_b64 v[2:3], v[4:5], off
.LBB23_3660:
	s_and_not1_b32 vcc_lo, exec_lo, s52
	s_cbranch_vccnz .LBB23_3662
; %bb.3661:
	s_wait_xcnt 0x0
	v_mov_b32_e32 v1, 0
	global_store_b32 v[2:3], v1, off
.LBB23_3662:
	s_mov_b32 s52, 0
.LBB23_3663:
	s_delay_alu instid0(SALU_CYCLE_1)
	s_and_not1_b32 vcc_lo, exec_lo, s52
	s_cbranch_vccnz .LBB23_3665
; %bb.3664:
	s_wait_xcnt 0x0
	v_mov_b32_e32 v1, 0
	global_store_b16 v[2:3], v1, off
.LBB23_3665:
	s_mov_b32 s52, 0
.LBB23_3666:
	s_delay_alu instid0(SALU_CYCLE_1)
	s_and_not1_b32 vcc_lo, exec_lo, s52
	s_cbranch_vccnz .LBB23_3682
; %bb.3667:
	s_cmp_lt_i32 s51, 2
	s_mov_b32 s52, -1
	s_cbranch_scc1 .LBB23_3677
; %bb.3668:
	s_cmp_lt_i32 s51, 3
	s_cbranch_scc1 .LBB23_3674
; %bb.3669:
	s_cmp_gt_i32 s51, 3
	s_cbranch_scc0 .LBB23_3671
; %bb.3670:
	s_wait_xcnt 0x0
	v_mov_b64_e32 v[4:5], 0
	s_mov_b32 s52, 0
	global_store_b64 v[2:3], v[4:5], off
.LBB23_3671:
	s_and_not1_b32 vcc_lo, exec_lo, s52
	s_cbranch_vccnz .LBB23_3673
; %bb.3672:
	s_wait_xcnt 0x0
	v_mov_b32_e32 v1, 0
	global_store_b32 v[2:3], v1, off
.LBB23_3673:
	s_mov_b32 s52, 0
.LBB23_3674:
	s_delay_alu instid0(SALU_CYCLE_1)
	s_and_not1_b32 vcc_lo, exec_lo, s52
	s_cbranch_vccnz .LBB23_3676
; %bb.3675:
	s_wait_xcnt 0x0
	v_mov_b32_e32 v1, 0
	global_store_b16 v[2:3], v1, off
.LBB23_3676:
	s_mov_b32 s52, 0
.LBB23_3677:
	s_delay_alu instid0(SALU_CYCLE_1)
	s_and_not1_b32 vcc_lo, exec_lo, s52
	s_cbranch_vccnz .LBB23_3682
; %bb.3678:
	s_cmp_gt_i32 s51, 0
	s_mov_b32 s51, -1
	s_cbranch_scc0 .LBB23_3680
; %bb.3679:
	s_wait_xcnt 0x0
	v_mov_b32_e32 v1, 0
	s_mov_b32 s51, 0
	global_store_b8 v[2:3], v1, off
.LBB23_3680:
	s_and_not1_b32 vcc_lo, exec_lo, s51
	s_cbranch_vccnz .LBB23_3682
; %bb.3681:
	s_wait_xcnt 0x0
	v_mov_b32_e32 v1, 0
	global_store_b8 v[2:3], v1, off
.LBB23_3682:
	s_mov_b32 s53, -1
.LBB23_3683:
	s_delay_alu instid0(SALU_CYCLE_1)
	s_and_not1_b32 vcc_lo, exec_lo, s53
	s_cbranch_vccnz .LBB23_3685
; %bb.3684:
	v_add_nc_u32_e32 v0, 0x80, v0
	s_mov_b32 s51, -1
	s_branch .LBB23_3686
.LBB23_3685:
	s_mov_b32 s51, 0
                                        ; implicit-def: $vgpr0
.LBB23_3686:
	s_and_not1_b32 s4, s60, exec_lo
	s_and_b32 s5, s50, exec_lo
	s_and_not1_b32 s0, s0, exec_lo
	s_or_b32 s50, s4, s5
	s_and_b32 s51, s51, exec_lo
.LBB23_3687:
	s_wait_xcnt 0x0
	s_or_b32 exec_lo, exec_lo, s35
	s_delay_alu instid0(SALU_CYCLE_1)
	s_and_not1_b32 s4, s60, exec_lo
	s_and_b32 s5, s50, exec_lo
	s_and_not1_b32 s6, s61, exec_lo
	s_and_b32 s0, s0, exec_lo
	s_or_b32 s52, s4, s5
	s_or_b32 s0, s6, s0
	s_xor_b32 s50, exec_lo, -1
	s_and_b32 s35, s51, exec_lo
.LBB23_3688:
	s_or_b32 exec_lo, exec_lo, s93
	s_delay_alu instid0(SALU_CYCLE_1)
	s_and_not1_b32 s4, s60, exec_lo
	s_and_b32 s5, s52, exec_lo
	s_and_b32 s0, s0, exec_lo
	s_or_b32 s53, s4, s5
	s_and_not1_b32 s4, s61, exec_lo
	s_and_not1_b32 s5, s77, exec_lo
	s_and_b32 s6, s50, exec_lo
	s_or_b32 s50, s4, s0
	s_or_b32 s52, s5, s6
	s_xor_b32 s51, exec_lo, -1
	s_and_b32 s0, s35, exec_lo
.LBB23_3689:
	s_or_b32 exec_lo, exec_lo, s92
	s_delay_alu instid0(SALU_CYCLE_1)
	s_and_not1_b32 s4, s60, exec_lo
	s_and_b32 s5, s53, exec_lo
	s_and_not1_b32 s6, s61, exec_lo
	s_and_b32 s7, s50, exec_lo
	s_or_b32 s35, s4, s5
	s_or_b32 s50, s6, s7
	s_and_not1_b32 s4, s77, exec_lo
	s_and_b32 s5, s52, exec_lo
	s_and_not1_b32 s6, s78, exec_lo
	s_and_b32 s7, s51, exec_lo
	s_or_b32 s51, s4, s5
	s_or_b32 s53, s6, s7
	s_xor_b32 s52, exec_lo, -1
	s_and_b32 s0, s0, exec_lo
	s_or_b32 exec_lo, exec_lo, s91
	s_branch .LBB23_1325
.LBB23_3690:
	s_mov_b32 s54, -1
	s_mov_b32 s53, 0
	s_mov_b32 s50, s67
	s_branch .LBB23_3698
.LBB23_3691:
	s_or_b32 s24, s21, exec_lo
	s_xor_b32 s9, exec_lo, -1
	s_trap 2
	s_branch .LBB23_3587
.LBB23_3692:
	s_mov_b32 s24, -1
	s_mov_b32 s0, 0
	s_branch .LBB23_3780
.LBB23_3693:
	s_mov_b32 s54, -1
	s_mov_b32 s53, 0
	s_mov_b32 s50, s67
.LBB23_3694:
	s_and_b32 vcc_lo, exec_lo, s54
	s_cbranch_vccz .LBB23_3697
; %bb.3695:
	s_cmp_eq_u32 s52, 44
	s_mov_b32 s50, -1
	s_cbranch_scc0 .LBB23_3697
; %bb.3696:
	s_wait_xcnt 0x0
	v_mov_b32_e32 v1, 0
	s_mov_b32 s53, -1
	s_mov_b32 s50, 0
	global_store_b8 v[2:3], v1, off
.LBB23_3697:
	s_mov_b32 s54, 0
.LBB23_3698:
	s_delay_alu instid0(SALU_CYCLE_1)
	s_and_b32 vcc_lo, exec_lo, s54
	s_cbranch_vccz .LBB23_3701
; %bb.3699:
	s_cmp_eq_u32 s52, 29
	s_mov_b32 s50, -1
	s_cbranch_scc0 .LBB23_3701
; %bb.3700:
	v_mov_b64_e32 v[4:5], 0
	s_mov_b32 s53, -1
	s_mov_b32 s50, 0
	s_mov_b32 s54, 0
	global_store_b64 v[2:3], v[4:5], off
	s_branch .LBB23_3702
.LBB23_3701:
	s_mov_b32 s54, 0
.LBB23_3702:
	s_delay_alu instid0(SALU_CYCLE_1)
	s_and_b32 vcc_lo, exec_lo, s54
	s_cbranch_vccz .LBB23_3712
; %bb.3703:
	s_cmp_lt_i32 s52, 27
	s_mov_b32 s53, -1
	s_cbranch_scc1 .LBB23_3709
; %bb.3704:
	s_cmp_gt_i32 s52, 27
	s_cbranch_scc0 .LBB23_3706
; %bb.3705:
	s_wait_xcnt 0x0
	v_mov_b32_e32 v1, 0
	s_mov_b32 s53, 0
	global_store_b32 v[2:3], v1, off
.LBB23_3706:
	s_and_not1_b32 vcc_lo, exec_lo, s53
	s_cbranch_vccnz .LBB23_3708
; %bb.3707:
	s_wait_xcnt 0x0
	v_mov_b32_e32 v1, 0
	global_store_b16 v[2:3], v1, off
.LBB23_3708:
	s_mov_b32 s53, 0
.LBB23_3709:
	s_delay_alu instid0(SALU_CYCLE_1)
	s_and_not1_b32 vcc_lo, exec_lo, s53
	s_cbranch_vccnz .LBB23_3711
; %bb.3710:
	s_wait_xcnt 0x0
	v_mov_b32_e32 v1, 0
	global_store_b8 v[2:3], v1, off
.LBB23_3711:
	s_mov_b32 s53, -1
.LBB23_3712:
	s_mov_b32 s54, 0
.LBB23_3713:
	s_delay_alu instid0(SALU_CYCLE_1)
	s_and_b32 vcc_lo, exec_lo, s54
	s_cbranch_vccz .LBB23_3732
; %bb.3714:
	s_cmp_gt_i32 s52, 22
	s_mov_b32 s54, -1
	s_cbranch_scc0 .LBB23_3724
; %bb.3715:
	s_cmp_lt_i32 s52, 24
	s_mov_b32 s53, -1
	s_cbranch_scc1 .LBB23_3721
; %bb.3716:
	s_cmp_gt_i32 s52, 24
	s_cbranch_scc0 .LBB23_3718
; %bb.3717:
	s_wait_xcnt 0x0
	v_mov_b32_e32 v1, 0
	s_mov_b32 s53, 0
	global_store_b8 v[2:3], v1, off
.LBB23_3718:
	s_and_not1_b32 vcc_lo, exec_lo, s53
	s_cbranch_vccnz .LBB23_3720
; %bb.3719:
	s_wait_xcnt 0x0
	v_mov_b32_e32 v1, 0
	global_store_b8 v[2:3], v1, off
.LBB23_3720:
	s_mov_b32 s53, 0
.LBB23_3721:
	s_delay_alu instid0(SALU_CYCLE_1)
	s_and_not1_b32 vcc_lo, exec_lo, s53
	s_cbranch_vccnz .LBB23_3723
; %bb.3722:
	s_wait_xcnt 0x0
	v_mov_b32_e32 v1, 0
	global_store_b8 v[2:3], v1, off
.LBB23_3723:
	s_mov_b32 s54, 0
	s_mov_b32 s53, -1
.LBB23_3724:
	s_and_not1_b32 vcc_lo, exec_lo, s54
	s_cbranch_vccnz .LBB23_3732
; %bb.3725:
	s_cmp_gt_i32 s52, 14
	s_mov_b32 s54, -1
	s_cbranch_scc0 .LBB23_3729
; %bb.3726:
	s_cmp_eq_u32 s52, 15
	s_mov_b32 s50, -1
	s_cbranch_scc0 .LBB23_3728
; %bb.3727:
	s_wait_xcnt 0x0
	v_mov_b32_e32 v1, 0
	s_mov_b32 s53, -1
	s_mov_b32 s50, 0
	global_store_b16 v[2:3], v1, off
.LBB23_3728:
	s_mov_b32 s54, 0
.LBB23_3729:
	s_delay_alu instid0(SALU_CYCLE_1)
	s_and_b32 vcc_lo, exec_lo, s54
	s_cbranch_vccz .LBB23_3732
; %bb.3730:
	s_cmp_eq_u32 s52, 11
	s_mov_b32 s50, -1
	s_cbranch_scc0 .LBB23_3732
; %bb.3731:
	s_wait_xcnt 0x0
	v_mov_b32_e32 v1, 0
	s_mov_b32 s53, -1
	s_mov_b32 s50, 0
	global_store_b8 v[2:3], v1, off
.LBB23_3732:
	s_mov_b32 s52, 0
.LBB23_3733:
	s_delay_alu instid0(SALU_CYCLE_1)
	s_and_b32 vcc_lo, exec_lo, s52
	s_cbranch_vccz .LBB23_3772
; %bb.3734:
	s_and_b32 s51, 0xffff, s51
	s_mov_b32 s52, -1
	s_cmp_lt_i32 s51, 5
	s_cbranch_scc1 .LBB23_3755
; %bb.3735:
	s_cmp_lt_i32 s51, 8
	s_cbranch_scc1 .LBB23_3745
; %bb.3736:
	;; [unrolled: 3-line block ×3, first 2 shown]
	s_cmp_gt_i32 s51, 9
	s_cbranch_scc0 .LBB23_3739
; %bb.3738:
	s_wait_xcnt 0x0
	v_mov_b32_e32 v4, 0
	s_mov_b32 s52, 0
	s_delay_alu instid0(VALU_DEP_1)
	v_dual_mov_b32 v5, v4 :: v_dual_mov_b32 v6, v4
	v_mov_b32_e32 v7, v4
	global_store_b128 v[2:3], v[4:7], off
.LBB23_3739:
	s_and_not1_b32 vcc_lo, exec_lo, s52
	s_cbranch_vccnz .LBB23_3741
; %bb.3740:
	s_wait_xcnt 0x0
	v_mov_b64_e32 v[4:5], 0
	global_store_b64 v[2:3], v[4:5], off
.LBB23_3741:
	s_mov_b32 s52, 0
.LBB23_3742:
	s_delay_alu instid0(SALU_CYCLE_1)
	s_and_not1_b32 vcc_lo, exec_lo, s52
	s_cbranch_vccnz .LBB23_3744
; %bb.3743:
	s_wait_xcnt 0x0
	v_mov_b32_e32 v1, 0
	global_store_b32 v[2:3], v1, off
.LBB23_3744:
	s_mov_b32 s52, 0
.LBB23_3745:
	s_delay_alu instid0(SALU_CYCLE_1)
	s_and_not1_b32 vcc_lo, exec_lo, s52
	s_cbranch_vccnz .LBB23_3754
; %bb.3746:
	s_cmp_lt_i32 s51, 6
	s_mov_b32 s52, -1
	s_cbranch_scc1 .LBB23_3752
; %bb.3747:
	s_cmp_gt_i32 s51, 6
	s_cbranch_scc0 .LBB23_3749
; %bb.3748:
	s_wait_xcnt 0x0
	v_mov_b64_e32 v[4:5], 0
	s_mov_b32 s52, 0
	global_store_b64 v[2:3], v[4:5], off
.LBB23_3749:
	s_and_not1_b32 vcc_lo, exec_lo, s52
	s_cbranch_vccnz .LBB23_3751
; %bb.3750:
	s_wait_xcnt 0x0
	v_mov_b32_e32 v1, 0
	global_store_b32 v[2:3], v1, off
.LBB23_3751:
	s_mov_b32 s52, 0
.LBB23_3752:
	s_delay_alu instid0(SALU_CYCLE_1)
	s_and_not1_b32 vcc_lo, exec_lo, s52
	s_cbranch_vccnz .LBB23_3754
; %bb.3753:
	s_wait_xcnt 0x0
	v_mov_b32_e32 v1, 0
	global_store_b16 v[2:3], v1, off
.LBB23_3754:
	s_mov_b32 s52, 0
.LBB23_3755:
	s_delay_alu instid0(SALU_CYCLE_1)
	s_and_not1_b32 vcc_lo, exec_lo, s52
	s_cbranch_vccnz .LBB23_3771
; %bb.3756:
	s_cmp_lt_i32 s51, 2
	s_mov_b32 s52, -1
	s_cbranch_scc1 .LBB23_3766
; %bb.3757:
	s_cmp_lt_i32 s51, 3
	s_cbranch_scc1 .LBB23_3763
; %bb.3758:
	s_cmp_gt_i32 s51, 3
	s_cbranch_scc0 .LBB23_3760
; %bb.3759:
	s_wait_xcnt 0x0
	v_mov_b64_e32 v[4:5], 0
	s_mov_b32 s52, 0
	global_store_b64 v[2:3], v[4:5], off
.LBB23_3760:
	s_and_not1_b32 vcc_lo, exec_lo, s52
	s_cbranch_vccnz .LBB23_3762
; %bb.3761:
	s_wait_xcnt 0x0
	v_mov_b32_e32 v1, 0
	global_store_b32 v[2:3], v1, off
.LBB23_3762:
	s_mov_b32 s52, 0
.LBB23_3763:
	s_delay_alu instid0(SALU_CYCLE_1)
	s_and_not1_b32 vcc_lo, exec_lo, s52
	s_cbranch_vccnz .LBB23_3765
; %bb.3764:
	s_wait_xcnt 0x0
	v_mov_b32_e32 v1, 0
	global_store_b16 v[2:3], v1, off
.LBB23_3765:
	s_mov_b32 s52, 0
.LBB23_3766:
	s_delay_alu instid0(SALU_CYCLE_1)
	s_and_not1_b32 vcc_lo, exec_lo, s52
	s_cbranch_vccnz .LBB23_3771
; %bb.3767:
	s_cmp_gt_i32 s51, 0
	s_mov_b32 s51, -1
	s_cbranch_scc0 .LBB23_3769
; %bb.3768:
	s_wait_xcnt 0x0
	v_mov_b32_e32 v1, 0
	s_mov_b32 s51, 0
	global_store_b8 v[2:3], v1, off
.LBB23_3769:
	s_and_not1_b32 vcc_lo, exec_lo, s51
	s_cbranch_vccnz .LBB23_3771
; %bb.3770:
	s_wait_xcnt 0x0
	v_mov_b32_e32 v1, 0
	global_store_b8 v[2:3], v1, off
.LBB23_3771:
	s_mov_b32 s53, -1
.LBB23_3772:
	s_delay_alu instid0(SALU_CYCLE_1)
	s_and_not1_b32 vcc_lo, exec_lo, s53
	s_cbranch_vccnz .LBB23_3774
; %bb.3773:
	v_add_nc_u32_e32 v0, 0x80, v0
	s_mov_b32 s51, -1
	s_branch .LBB23_3775
.LBB23_3774:
	s_mov_b32 s51, 0
                                        ; implicit-def: $vgpr0
.LBB23_3775:
	s_and_not1_b32 s4, s67, exec_lo
	s_and_b32 s5, s50, exec_lo
	s_and_not1_b32 s0, s0, exec_lo
	s_or_b32 s50, s4, s5
	s_and_b32 s51, s51, exec_lo
.LBB23_3776:
	s_wait_xcnt 0x0
	s_or_b32 exec_lo, exec_lo, s35
	s_delay_alu instid0(SALU_CYCLE_1)
	s_and_not1_b32 s4, s67, exec_lo
	s_and_b32 s5, s50, exec_lo
	s_and_not1_b32 s6, s94, exec_lo
	s_and_b32 s0, s0, exec_lo
	s_or_b32 s52, s4, s5
	s_or_b32 s0, s6, s0
	s_xor_b32 s50, exec_lo, -1
	s_and_b32 s35, s51, exec_lo
.LBB23_3777:
	s_or_b32 exec_lo, exec_lo, vcc_hi
	s_delay_alu instid0(SALU_CYCLE_1)
	s_and_not1_b32 s4, s67, exec_lo
	s_and_b32 s5, s52, exec_lo
	s_and_b32 s0, s0, exec_lo
	s_or_b32 s53, s4, s5
	s_and_not1_b32 s4, s94, exec_lo
	s_and_not1_b32 s5, s95, exec_lo
	s_and_b32 s6, s50, exec_lo
	s_or_b32 s50, s4, s0
	s_or_b32 s52, s5, s6
	s_xor_b32 s51, exec_lo, -1
	s_and_b32 s0, s35, exec_lo
.LBB23_3778:
	s_or_b32 exec_lo, exec_lo, s26
	s_delay_alu instid0(SALU_CYCLE_1)
	s_and_not1_b32 s4, s67, exec_lo
	s_and_b32 s5, s53, exec_lo
	s_and_not1_b32 s6, s94, exec_lo
	s_and_b32 s7, s50, exec_lo
	s_or_b32 s35, s4, s5
	s_or_b32 s50, s6, s7
	s_and_not1_b32 s4, s95, exec_lo
	s_and_b32 s5, s52, exec_lo
	s_and_not1_b32 s6, s91, exec_lo
	s_and_b32 s7, s51, exec_lo
	s_or_b32 s51, s4, s5
	s_or_b32 s53, s6, s7
	s_xor_b32 s52, exec_lo, -1
	s_and_b32 s0, s0, exec_lo
	s_or_b32 exec_lo, exec_lo, s19
	s_branch .LBB23_2086
.LBB23_3779:
	s_mov_b32 s0, -1
.LBB23_3780:
                                        ; implicit-def: $vgpr7
.LBB23_3781:
	s_and_b32 vcc_lo, exec_lo, s24
	s_cbranch_vccz .LBB23_3785
; %bb.3782:
	s_cmp_eq_u32 s55, 44
	s_cbranch_scc0 .LBB23_3784
; %bb.3783:
	global_load_u8 v7, v[36:37], off
	s_mov_b32 s0, 0
	s_mov_b32 s9, -1
	s_wait_loadcnt 0x0
	v_lshlrev_b32_e32 v9, 23, v7
	v_cmp_ne_u32_e32 vcc_lo, 0, v7
	s_delay_alu instid0(VALU_DEP_2) | instskip(NEXT) | instid1(VALU_DEP_1)
	v_cvt_i32_f32_e32 v9, v9
	v_cndmask_b32_e32 v7, 0, v9, vcc_lo
	s_branch .LBB23_3785
.LBB23_3784:
	s_mov_b32 s0, -1
                                        ; implicit-def: $vgpr7
.LBB23_3785:
	s_mov_b32 s24, 0
.LBB23_3786:
	s_delay_alu instid0(SALU_CYCLE_1)
	s_and_b32 vcc_lo, exec_lo, s24
	s_cbranch_vccz .LBB23_3790
; %bb.3787:
	s_cmp_eq_u32 s55, 29
	s_cbranch_scc0 .LBB23_3789
; %bb.3788:
	global_load_b32 v7, v[36:37], off
	s_mov_b32 s0, 0
	s_mov_b32 s9, -1
	s_branch .LBB23_3790
.LBB23_3789:
	s_mov_b32 s0, -1
                                        ; implicit-def: $vgpr7
.LBB23_3790:
	s_mov_b32 s24, 0
.LBB23_3791:
	s_delay_alu instid0(SALU_CYCLE_1)
	s_and_b32 vcc_lo, exec_lo, s24
	s_cbranch_vccz .LBB23_3807
; %bb.3792:
	s_cmp_lt_i32 s55, 27
	s_cbranch_scc1 .LBB23_3795
; %bb.3793:
	s_cmp_gt_i32 s55, 27
	s_cbranch_scc0 .LBB23_3796
; %bb.3794:
	s_wait_loadcnt 0x0
	global_load_b32 v7, v[36:37], off
	s_mov_b32 s9, 0
	s_branch .LBB23_3797
.LBB23_3795:
	s_mov_b32 s9, -1
                                        ; implicit-def: $vgpr7
	s_branch .LBB23_3800
.LBB23_3796:
	s_mov_b32 s9, -1
                                        ; implicit-def: $vgpr7
.LBB23_3797:
	s_delay_alu instid0(SALU_CYCLE_1)
	s_and_not1_b32 vcc_lo, exec_lo, s9
	s_cbranch_vccnz .LBB23_3799
; %bb.3798:
	s_wait_loadcnt 0x0
	global_load_u16 v7, v[36:37], off
.LBB23_3799:
	s_mov_b32 s9, 0
.LBB23_3800:
	s_delay_alu instid0(SALU_CYCLE_1)
	s_and_not1_b32 vcc_lo, exec_lo, s9
	s_cbranch_vccnz .LBB23_3806
; %bb.3801:
	global_load_u8 v9, v[36:37], off
	s_mov_b32 s24, 0
	s_mov_b32 s9, exec_lo
	s_wait_loadcnt 0x0
	v_cmpx_lt_i16_e32 0x7f, v9
	s_xor_b32 s9, exec_lo, s9
	s_cbranch_execz .LBB23_3818
; %bb.3802:
	v_cmp_ne_u16_e32 vcc_lo, 0x80, v9
	s_and_b32 s24, vcc_lo, exec_lo
	s_and_not1_saveexec_b32 s9, s9
	s_cbranch_execnz .LBB23_3819
.LBB23_3803:
	s_or_b32 exec_lo, exec_lo, s9
	v_mov_b32_e32 v7, 0
	s_and_saveexec_b32 s9, s24
	s_cbranch_execz .LBB23_3805
.LBB23_3804:
	v_and_b32_e32 v7, 0xffff, v9
	s_delay_alu instid0(VALU_DEP_1) | instskip(SKIP_1) | instid1(VALU_DEP_2)
	v_and_b32_e32 v11, 7, v7
	v_bfe_u32 v17, v7, 3, 4
	v_clz_i32_u32_e32 v13, v11
	s_delay_alu instid0(VALU_DEP_2) | instskip(NEXT) | instid1(VALU_DEP_2)
	v_cmp_eq_u32_e32 vcc_lo, 0, v17
	v_min_u32_e32 v13, 32, v13
	s_delay_alu instid0(VALU_DEP_1) | instskip(NEXT) | instid1(VALU_DEP_1)
	v_subrev_nc_u32_e32 v15, 28, v13
	v_dual_lshlrev_b32 v7, v15, v7 :: v_dual_sub_nc_u32 v13, 29, v13
	s_delay_alu instid0(VALU_DEP_1) | instskip(NEXT) | instid1(VALU_DEP_1)
	v_dual_lshlrev_b32 v9, 24, v9 :: v_dual_bitop2_b32 v7, 7, v7 bitop3:0x40
	v_dual_cndmask_b32 v7, v11, v7, vcc_lo :: v_dual_cndmask_b32 v13, v17, v13, vcc_lo
	s_delay_alu instid0(VALU_DEP_2) | instskip(NEXT) | instid1(VALU_DEP_2)
	v_and_b32_e32 v9, 0x80000000, v9
	v_lshlrev_b32_e32 v7, 20, v7
	s_delay_alu instid0(VALU_DEP_3) | instskip(NEXT) | instid1(VALU_DEP_1)
	v_lshl_add_u32 v11, v13, 23, 0x3b800000
	v_or3_b32 v7, v9, v11, v7
	s_delay_alu instid0(VALU_DEP_1)
	v_cvt_i32_f32_e32 v7, v7
.LBB23_3805:
	s_or_b32 exec_lo, exec_lo, s9
.LBB23_3806:
	s_mov_b32 s9, -1
.LBB23_3807:
	s_mov_b32 s24, 0
.LBB23_3808:
	s_delay_alu instid0(SALU_CYCLE_1)
	s_and_b32 vcc_lo, exec_lo, s24
	s_cbranch_vccz .LBB23_3839
; %bb.3809:
	s_cmp_gt_i32 s55, 22
	s_cbranch_scc0 .LBB23_3817
; %bb.3810:
	s_cmp_lt_i32 s55, 24
	s_cbranch_scc1 .LBB23_3820
; %bb.3811:
	s_cmp_gt_i32 s55, 24
	s_cbranch_scc0 .LBB23_3821
; %bb.3812:
	global_load_u8 v9, v[36:37], off
	s_mov_b32 s9, 0
	s_mov_b32 s1, exec_lo
	s_wait_loadcnt 0x0
	v_cmpx_lt_i16_e32 0x7f, v9
	s_xor_b32 s1, exec_lo, s1
	s_cbranch_execz .LBB23_3833
; %bb.3813:
	v_cmp_ne_u16_e32 vcc_lo, 0x80, v9
	s_and_b32 s9, vcc_lo, exec_lo
	s_and_not1_saveexec_b32 s1, s1
	s_cbranch_execnz .LBB23_3834
.LBB23_3814:
	s_or_b32 exec_lo, exec_lo, s1
	v_mov_b32_e32 v7, 0
	s_and_saveexec_b32 s1, s9
	s_cbranch_execz .LBB23_3816
.LBB23_3815:
	v_and_b32_e32 v7, 0xffff, v9
	s_delay_alu instid0(VALU_DEP_1) | instskip(SKIP_1) | instid1(VALU_DEP_2)
	v_and_b32_e32 v11, 3, v7
	v_bfe_u32 v17, v7, 2, 5
	v_clz_i32_u32_e32 v13, v11
	s_delay_alu instid0(VALU_DEP_2) | instskip(NEXT) | instid1(VALU_DEP_2)
	v_cmp_eq_u32_e32 vcc_lo, 0, v17
	v_min_u32_e32 v13, 32, v13
	s_delay_alu instid0(VALU_DEP_1) | instskip(NEXT) | instid1(VALU_DEP_1)
	v_subrev_nc_u32_e32 v15, 29, v13
	v_dual_lshlrev_b32 v7, v15, v7 :: v_dual_sub_nc_u32 v13, 30, v13
	s_delay_alu instid0(VALU_DEP_1) | instskip(NEXT) | instid1(VALU_DEP_1)
	v_dual_lshlrev_b32 v9, 24, v9 :: v_dual_bitop2_b32 v7, 3, v7 bitop3:0x40
	v_dual_cndmask_b32 v7, v11, v7, vcc_lo :: v_dual_cndmask_b32 v13, v17, v13, vcc_lo
	s_delay_alu instid0(VALU_DEP_2) | instskip(NEXT) | instid1(VALU_DEP_2)
	v_and_b32_e32 v9, 0x80000000, v9
	v_lshlrev_b32_e32 v7, 21, v7
	s_delay_alu instid0(VALU_DEP_3) | instskip(NEXT) | instid1(VALU_DEP_1)
	v_lshl_add_u32 v11, v13, 23, 0x37800000
	v_or3_b32 v7, v9, v11, v7
	s_delay_alu instid0(VALU_DEP_1)
	v_cvt_i32_f32_e32 v7, v7
.LBB23_3816:
	s_or_b32 exec_lo, exec_lo, s1
	s_mov_b32 s1, 0
	s_branch .LBB23_3822
.LBB23_3817:
	s_mov_b32 s1, -1
                                        ; implicit-def: $vgpr7
	s_branch .LBB23_3828
.LBB23_3818:
	s_and_not1_saveexec_b32 s9, s9
	s_cbranch_execz .LBB23_3803
.LBB23_3819:
	v_cmp_ne_u16_e32 vcc_lo, 0, v9
	s_and_not1_b32 s24, s24, exec_lo
	s_and_b32 s25, vcc_lo, exec_lo
	s_delay_alu instid0(SALU_CYCLE_1)
	s_or_b32 s24, s24, s25
	s_or_b32 exec_lo, exec_lo, s9
	v_mov_b32_e32 v7, 0
	s_and_saveexec_b32 s9, s24
	s_cbranch_execnz .LBB23_3804
	s_branch .LBB23_3805
.LBB23_3820:
	s_mov_b32 s1, -1
                                        ; implicit-def: $vgpr7
	s_branch .LBB23_3825
.LBB23_3821:
	s_mov_b32 s1, -1
                                        ; implicit-def: $vgpr7
.LBB23_3822:
	s_delay_alu instid0(SALU_CYCLE_1)
	s_and_b32 vcc_lo, exec_lo, s1
	s_cbranch_vccz .LBB23_3824
; %bb.3823:
	s_wait_loadcnt 0x0
	global_load_u8 v7, v[36:37], off
	s_wait_loadcnt 0x0
	v_lshlrev_b32_e32 v7, 24, v7
	s_delay_alu instid0(VALU_DEP_1) | instskip(NEXT) | instid1(VALU_DEP_1)
	v_and_b32_e32 v9, 0x7f000000, v7
	v_clz_i32_u32_e32 v11, v9
	v_add_nc_u32_e32 v15, 0x1000000, v9
	v_cmp_ne_u32_e32 vcc_lo, 0, v9
	s_delay_alu instid0(VALU_DEP_3) | instskip(NEXT) | instid1(VALU_DEP_1)
	v_min_u32_e32 v11, 32, v11
	v_sub_nc_u32_e64 v11, v11, 4 clamp
	s_delay_alu instid0(VALU_DEP_1) | instskip(NEXT) | instid1(VALU_DEP_1)
	v_dual_lshlrev_b32 v13, v11, v9 :: v_dual_lshlrev_b32 v11, 23, v11
	v_lshrrev_b32_e32 v13, 4, v13
	s_delay_alu instid0(VALU_DEP_1) | instskip(SKIP_1) | instid1(VALU_DEP_2)
	v_sub_nc_u32_e32 v11, v13, v11
	v_ashrrev_i32_e32 v13, 8, v15
	v_add_nc_u32_e32 v11, 0x3c000000, v11
	s_delay_alu instid0(VALU_DEP_1) | instskip(NEXT) | instid1(VALU_DEP_1)
	v_and_or_b32 v11, 0x7f800000, v13, v11
	v_cndmask_b32_e32 v9, 0, v11, vcc_lo
	s_delay_alu instid0(VALU_DEP_1) | instskip(NEXT) | instid1(VALU_DEP_1)
	v_and_or_b32 v7, 0x80000000, v7, v9
	v_cvt_i32_f32_e32 v7, v7
.LBB23_3824:
	s_mov_b32 s1, 0
.LBB23_3825:
	s_delay_alu instid0(SALU_CYCLE_1)
	s_and_not1_b32 vcc_lo, exec_lo, s1
	s_cbranch_vccnz .LBB23_3827
; %bb.3826:
	s_wait_loadcnt 0x0
	global_load_u8 v7, v[36:37], off
	s_wait_loadcnt 0x0
	v_lshlrev_b32_e32 v9, 25, v7
	v_lshlrev_b16 v7, 8, v7
	s_delay_alu instid0(VALU_DEP_1) | instskip(SKIP_1) | instid1(VALU_DEP_2)
	v_and_or_b32 v13, 0x7f00, v7, 0.5
	v_bfe_i32 v7, v7, 0, 16
	v_add_f32_e32 v13, -0.5, v13
	v_lshrrev_b32_e32 v11, 4, v9
	v_cmp_gt_u32_e32 vcc_lo, 0x8000000, v9
	s_delay_alu instid0(VALU_DEP_2) | instskip(NEXT) | instid1(VALU_DEP_1)
	v_or_b32_e32 v11, 0x70000000, v11
	v_mul_f32_e32 v11, 0x7800000, v11
	s_delay_alu instid0(VALU_DEP_1) | instskip(NEXT) | instid1(VALU_DEP_1)
	v_cndmask_b32_e32 v9, v11, v13, vcc_lo
	v_and_or_b32 v7, 0x80000000, v7, v9
	s_delay_alu instid0(VALU_DEP_1)
	v_cvt_i32_f32_e32 v7, v7
.LBB23_3827:
	s_mov_b32 s1, 0
	s_mov_b32 s9, -1
.LBB23_3828:
	s_and_not1_b32 vcc_lo, exec_lo, s1
	s_mov_b32 s1, 0
	s_cbranch_vccnz .LBB23_3839
; %bb.3829:
	s_cmp_gt_i32 s55, 14
	s_cbranch_scc0 .LBB23_3832
; %bb.3830:
	s_cmp_eq_u32 s55, 15
	s_cbranch_scc0 .LBB23_3835
; %bb.3831:
	s_wait_loadcnt 0x0
	global_load_u16 v7, v[36:37], off
	s_mov_b32 s0, 0
	s_mov_b32 s9, -1
	s_wait_loadcnt 0x0
	v_lshlrev_b32_e32 v7, 16, v7
	s_delay_alu instid0(VALU_DEP_1)
	v_cvt_i32_f32_e32 v7, v7
	s_branch .LBB23_3837
.LBB23_3832:
	s_mov_b32 s1, -1
	s_branch .LBB23_3836
.LBB23_3833:
	s_and_not1_saveexec_b32 s1, s1
	s_cbranch_execz .LBB23_3814
.LBB23_3834:
	v_cmp_ne_u16_e32 vcc_lo, 0, v9
	s_and_not1_b32 s9, s9, exec_lo
	s_and_b32 s24, vcc_lo, exec_lo
	s_delay_alu instid0(SALU_CYCLE_1)
	s_or_b32 s9, s9, s24
	s_or_b32 exec_lo, exec_lo, s1
	v_mov_b32_e32 v7, 0
	s_and_saveexec_b32 s1, s9
	s_cbranch_execnz .LBB23_3815
	s_branch .LBB23_3816
.LBB23_3835:
	s_mov_b32 s0, -1
.LBB23_3836:
                                        ; implicit-def: $vgpr7
.LBB23_3837:
	s_and_b32 vcc_lo, exec_lo, s1
	s_mov_b32 s1, 0
	s_cbranch_vccz .LBB23_3839
; %bb.3838:
	s_cmp_lg_u32 s55, 11
	s_mov_b32 s1, -1
	s_cselect_b32 s0, -1, 0
.LBB23_3839:
	s_delay_alu instid0(SALU_CYCLE_1)
	s_and_b32 vcc_lo, exec_lo, s0
	s_mov_b32 s44, s42
	s_cbranch_vccnz .LBB23_3904
; %bb.3840:
	s_and_not1_b32 vcc_lo, exec_lo, s1
	s_cbranch_vccnz .LBB23_3842
.LBB23_3841:
	s_wait_loadcnt 0x0
	global_load_u8 v7, v[36:37], off
	s_mov_b32 s9, -1
	s_wait_loadcnt 0x0
	v_cmp_ne_u16_e32 vcc_lo, 0, v7
	v_cndmask_b32_e64 v7, 0, 1, vcc_lo
.LBB23_3842:
	s_mov_b32 s0, 0
.LBB23_3843:
	s_delay_alu instid0(SALU_CYCLE_1)
	s_and_b32 vcc_lo, exec_lo, s0
	s_cbranch_vccz .LBB23_3892
; %bb.3844:
	s_cmp_lt_i32 s55, 5
	s_cbranch_scc1 .LBB23_3849
; %bb.3845:
	s_cmp_lt_i32 s55, 8
	s_cbranch_scc1 .LBB23_3850
	;; [unrolled: 3-line block ×3, first 2 shown]
; %bb.3847:
	s_cmp_gt_i32 s55, 9
	s_cbranch_scc0 .LBB23_3852
; %bb.3848:
	global_load_b64 v[38:39], v[36:37], off
	s_mov_b32 s0, 0
	s_wait_loadcnt 0x0
	v_cvt_i32_f64_e32 v7, v[38:39]
	s_branch .LBB23_3853
.LBB23_3849:
	s_mov_b32 s0, -1
                                        ; implicit-def: $vgpr7
	s_branch .LBB23_3871
.LBB23_3850:
	s_mov_b32 s0, -1
                                        ; implicit-def: $vgpr7
	s_branch .LBB23_3859
.LBB23_3851:
	s_mov_b32 s0, -1
                                        ; implicit-def: $vgpr7
	s_branch .LBB23_3856
.LBB23_3852:
	s_mov_b32 s0, -1
                                        ; implicit-def: $vgpr7
.LBB23_3853:
	s_delay_alu instid0(SALU_CYCLE_1)
	s_and_not1_b32 vcc_lo, exec_lo, s0
	s_cbranch_vccnz .LBB23_3855
; %bb.3854:
	s_wait_loadcnt 0x0
	global_load_b32 v7, v[36:37], off
	s_wait_loadcnt 0x0
	v_cvt_i32_f32_e32 v7, v7
.LBB23_3855:
	s_mov_b32 s0, 0
.LBB23_3856:
	s_delay_alu instid0(SALU_CYCLE_1)
	s_and_not1_b32 vcc_lo, exec_lo, s0
	s_cbranch_vccnz .LBB23_3858
; %bb.3857:
	s_wait_loadcnt 0x0
	global_load_b32 v7, v[36:37], off
	s_wait_loadcnt 0x0
	v_cvt_f32_f16_e32 v7, v7
	s_delay_alu instid0(VALU_DEP_1)
	v_cvt_i32_f32_e32 v7, v7
.LBB23_3858:
	s_mov_b32 s0, 0
.LBB23_3859:
	s_delay_alu instid0(SALU_CYCLE_1)
	s_and_not1_b32 vcc_lo, exec_lo, s0
	s_cbranch_vccnz .LBB23_3870
; %bb.3860:
	s_cmp_lt_i32 s55, 6
	s_cbranch_scc1 .LBB23_3863
; %bb.3861:
	s_cmp_gt_i32 s55, 6
	s_cbranch_scc0 .LBB23_3864
; %bb.3862:
	global_load_b64 v[38:39], v[36:37], off
	s_mov_b32 s0, 0
	s_wait_loadcnt 0x0
	v_cvt_i32_f64_e32 v7, v[38:39]
	s_branch .LBB23_3865
.LBB23_3863:
	s_mov_b32 s0, -1
                                        ; implicit-def: $vgpr7
	s_branch .LBB23_3868
.LBB23_3864:
	s_mov_b32 s0, -1
                                        ; implicit-def: $vgpr7
.LBB23_3865:
	s_delay_alu instid0(SALU_CYCLE_1)
	s_and_not1_b32 vcc_lo, exec_lo, s0
	s_cbranch_vccnz .LBB23_3867
; %bb.3866:
	s_wait_loadcnt 0x0
	global_load_b32 v7, v[36:37], off
	s_wait_loadcnt 0x0
	v_cvt_i32_f32_e32 v7, v7
.LBB23_3867:
	s_mov_b32 s0, 0
.LBB23_3868:
	s_delay_alu instid0(SALU_CYCLE_1)
	s_and_not1_b32 vcc_lo, exec_lo, s0
	s_cbranch_vccnz .LBB23_3870
; %bb.3869:
	s_wait_loadcnt 0x0
	global_load_u16 v7, v[36:37], off
	s_wait_loadcnt 0x0
	v_cvt_f32_f16_e32 v7, v7
	s_delay_alu instid0(VALU_DEP_1)
	v_cvt_i32_f32_e32 v7, v7
.LBB23_3870:
	s_mov_b32 s0, 0
.LBB23_3871:
	s_delay_alu instid0(SALU_CYCLE_1)
	s_and_not1_b32 vcc_lo, exec_lo, s0
	s_cbranch_vccnz .LBB23_3891
; %bb.3872:
	s_cmp_lt_i32 s55, 2
	s_cbranch_scc1 .LBB23_3876
; %bb.3873:
	s_cmp_lt_i32 s55, 3
	s_cbranch_scc1 .LBB23_3877
; %bb.3874:
	s_cmp_gt_i32 s55, 3
	s_cbranch_scc0 .LBB23_3878
; %bb.3875:
	s_wait_loadcnt 0x0
	global_load_b32 v7, v[36:37], off
	s_mov_b32 s0, 0
	s_branch .LBB23_3879
.LBB23_3876:
	s_mov_b32 s0, -1
                                        ; implicit-def: $vgpr7
	s_branch .LBB23_3885
.LBB23_3877:
	s_mov_b32 s0, -1
                                        ; implicit-def: $vgpr7
	s_branch .LBB23_3882
.LBB23_3878:
	s_mov_b32 s0, -1
                                        ; implicit-def: $vgpr7
.LBB23_3879:
	s_delay_alu instid0(SALU_CYCLE_1)
	s_and_not1_b32 vcc_lo, exec_lo, s0
	s_cbranch_vccnz .LBB23_3881
; %bb.3880:
	s_wait_loadcnt 0x0
	global_load_b32 v7, v[36:37], off
.LBB23_3881:
	s_mov_b32 s0, 0
.LBB23_3882:
	s_delay_alu instid0(SALU_CYCLE_1)
	s_and_not1_b32 vcc_lo, exec_lo, s0
	s_cbranch_vccnz .LBB23_3884
; %bb.3883:
	s_wait_loadcnt 0x0
	global_load_i16 v7, v[36:37], off
.LBB23_3884:
	s_mov_b32 s0, 0
.LBB23_3885:
	s_delay_alu instid0(SALU_CYCLE_1)
	s_and_not1_b32 vcc_lo, exec_lo, s0
	s_cbranch_vccnz .LBB23_3891
; %bb.3886:
	s_cmp_gt_i32 s55, 0
	s_mov_b32 s0, 0
	s_cbranch_scc0 .LBB23_3888
; %bb.3887:
	s_wait_loadcnt 0x0
	global_load_i8 v7, v[36:37], off
	s_branch .LBB23_3889
.LBB23_3888:
	s_mov_b32 s0, -1
                                        ; implicit-def: $vgpr7
.LBB23_3889:
	s_delay_alu instid0(SALU_CYCLE_1)
	s_and_not1_b32 vcc_lo, exec_lo, s0
	s_cbranch_vccnz .LBB23_3891
; %bb.3890:
	s_wait_loadcnt 0x0
	global_load_u8 v7, v[36:37], off
.LBB23_3891:
	s_mov_b32 s9, -1
.LBB23_3892:
	s_delay_alu instid0(SALU_CYCLE_1)
	s_and_not1_b32 vcc_lo, exec_lo, s9
	s_cbranch_vccnz .LBB23_4415
; %bb.3893:
	v_mov_b32_e32 v35, 0
	s_and_b32 s56, 0xffff, s35
	s_delay_alu instid0(SALU_CYCLE_1) | instskip(NEXT) | instid1(VALU_DEP_1)
	s_cmp_lt_i32 s56, 11
	v_add_nc_u64_e32 v[34:35], s[12:13], v[34:35]
	s_cbranch_scc1 .LBB23_3900
; %bb.3894:
	s_cmp_gt_i32 s56, 25
	s_mov_b32 s1, 0
	s_cbranch_scc0 .LBB23_3901
; %bb.3895:
	s_cmp_gt_i32 s56, 28
	s_cbranch_scc0 .LBB23_3902
; %bb.3896:
	s_cmp_gt_i32 s56, 43
	;; [unrolled: 3-line block ×3, first 2 shown]
	s_cbranch_scc0 .LBB23_3905
; %bb.3898:
	s_cmp_eq_u32 s56, 46
	s_mov_b32 s24, 0
	s_cbranch_scc0 .LBB23_3907
; %bb.3899:
	global_load_b32 v9, v[34:35], off
	s_mov_b32 s0, 0
	s_mov_b32 s9, -1
	s_wait_loadcnt 0x0
	v_lshlrev_b32_e32 v9, 16, v9
	s_delay_alu instid0(VALU_DEP_1)
	v_cvt_i32_f32_e32 v9, v9
	s_branch .LBB23_3909
.LBB23_3900:
	s_mov_b32 s0, -1
	s_mov_b32 s9, 0
                                        ; implicit-def: $vgpr9
	s_branch .LBB23_3971
.LBB23_3901:
	s_mov_b32 s24, -1
	s_mov_b32 s9, 0
	s_mov_b32 s0, 0
                                        ; implicit-def: $vgpr9
	s_branch .LBB23_3936
.LBB23_3902:
	s_mov_b32 s24, -1
	s_mov_b32 s9, 0
	s_mov_b32 s0, 0
                                        ; implicit-def: $vgpr9
	s_branch .LBB23_3919
.LBB23_3903:
	s_mov_b32 s24, -1
	s_mov_b32 s9, 0
	s_mov_b32 s0, 0
                                        ; implicit-def: $vgpr9
	s_branch .LBB23_3914
.LBB23_3904:
	s_or_b32 s44, s42, exec_lo
	s_trap 2
	s_cbranch_execz .LBB23_3841
	s_branch .LBB23_3842
.LBB23_3905:
	s_mov_b32 s24, -1
	s_mov_b32 s9, 0
	s_mov_b32 s0, 0
	s_branch .LBB23_3908
.LBB23_3906:
	s_or_b32 s33, s33, exec_lo
	s_trap 2
                                        ; implicit-def: $vgpr6
                                        ; implicit-def: $vgpr30
                                        ; implicit-def: $vgpr28
                                        ; implicit-def: $vgpr34
                                        ; implicit-def: $vgpr32
                                        ; implicit-def: $vgpr4
                                        ; implicit-def: $vgpr36
                                        ; implicit-def: $vgpr20
                                        ; implicit-def: $vgpr18
                                        ; implicit-def: $vgpr24
                                        ; implicit-def: $vgpr22
                                        ; implicit-def: $vgpr2
                                        ; implicit-def: $vgpr26
                                        ; implicit-def: $vgpr10
                                        ; implicit-def: $vgpr8
                                        ; implicit-def: $vgpr14
                                        ; implicit-def: $vgpr12
                                        ; implicit-def: $vgpr0
                                        ; implicit-def: $vgpr16
                                        ; implicit-def: $vgpr1
                                        ; implicit-def: $vgpr3
                                        ; implicit-def: $vgpr42
                                        ; implicit-def: $vgpr40
                                        ; implicit-def: $vgpr44
	s_branch .LBB23_3524
.LBB23_3907:
	s_mov_b32 s0, -1
	s_mov_b32 s9, 0
.LBB23_3908:
                                        ; implicit-def: $vgpr9
.LBB23_3909:
	s_and_b32 vcc_lo, exec_lo, s24
	s_cbranch_vccz .LBB23_3913
; %bb.3910:
	s_cmp_eq_u32 s56, 44
	s_cbranch_scc0 .LBB23_3912
; %bb.3911:
	global_load_u8 v9, v[34:35], off
	s_mov_b32 s0, 0
	s_mov_b32 s9, -1
	s_wait_loadcnt 0x0
	v_lshlrev_b32_e32 v11, 23, v9
	v_cmp_ne_u32_e32 vcc_lo, 0, v9
	s_delay_alu instid0(VALU_DEP_2) | instskip(NEXT) | instid1(VALU_DEP_1)
	v_cvt_i32_f32_e32 v11, v11
	v_cndmask_b32_e32 v9, 0, v11, vcc_lo
	s_branch .LBB23_3913
.LBB23_3912:
	s_mov_b32 s0, -1
                                        ; implicit-def: $vgpr9
.LBB23_3913:
	s_mov_b32 s24, 0
.LBB23_3914:
	s_delay_alu instid0(SALU_CYCLE_1)
	s_and_b32 vcc_lo, exec_lo, s24
	s_cbranch_vccz .LBB23_3918
; %bb.3915:
	s_cmp_eq_u32 s56, 29
	s_cbranch_scc0 .LBB23_3917
; %bb.3916:
	global_load_b32 v9, v[34:35], off
	s_mov_b32 s0, 0
	s_mov_b32 s9, -1
	s_branch .LBB23_3918
.LBB23_3917:
	s_mov_b32 s0, -1
                                        ; implicit-def: $vgpr9
.LBB23_3918:
	s_mov_b32 s24, 0
.LBB23_3919:
	s_delay_alu instid0(SALU_CYCLE_1)
	s_and_b32 vcc_lo, exec_lo, s24
	s_cbranch_vccz .LBB23_3935
; %bb.3920:
	s_cmp_lt_i32 s56, 27
	s_cbranch_scc1 .LBB23_3923
; %bb.3921:
	s_cmp_gt_i32 s56, 27
	s_cbranch_scc0 .LBB23_3924
; %bb.3922:
	s_wait_loadcnt 0x0
	global_load_b32 v9, v[34:35], off
	s_mov_b32 s9, 0
	s_branch .LBB23_3925
.LBB23_3923:
	s_mov_b32 s9, -1
                                        ; implicit-def: $vgpr9
	s_branch .LBB23_3928
.LBB23_3924:
	s_mov_b32 s9, -1
                                        ; implicit-def: $vgpr9
.LBB23_3925:
	s_delay_alu instid0(SALU_CYCLE_1)
	s_and_not1_b32 vcc_lo, exec_lo, s9
	s_cbranch_vccnz .LBB23_3927
; %bb.3926:
	s_wait_loadcnt 0x0
	global_load_u16 v9, v[34:35], off
.LBB23_3927:
	s_mov_b32 s9, 0
.LBB23_3928:
	s_delay_alu instid0(SALU_CYCLE_1)
	s_and_not1_b32 vcc_lo, exec_lo, s9
	s_cbranch_vccnz .LBB23_3934
; %bb.3929:
	global_load_u8 v11, v[34:35], off
	s_mov_b32 s24, 0
	s_mov_b32 s9, exec_lo
	s_wait_loadcnt 0x0
	v_cmpx_lt_i16_e32 0x7f, v11
	s_xor_b32 s9, exec_lo, s9
	s_cbranch_execz .LBB23_3946
; %bb.3930:
	v_cmp_ne_u16_e32 vcc_lo, 0x80, v11
	s_and_b32 s24, vcc_lo, exec_lo
	s_and_not1_saveexec_b32 s9, s9
	s_cbranch_execnz .LBB23_3947
.LBB23_3931:
	s_or_b32 exec_lo, exec_lo, s9
	v_mov_b32_e32 v9, 0
	s_and_saveexec_b32 s9, s24
	s_cbranch_execz .LBB23_3933
.LBB23_3932:
	v_and_b32_e32 v9, 0xffff, v11
	s_delay_alu instid0(VALU_DEP_1) | instskip(SKIP_1) | instid1(VALU_DEP_2)
	v_and_b32_e32 v13, 7, v9
	v_bfe_u32 v19, v9, 3, 4
	v_clz_i32_u32_e32 v15, v13
	s_delay_alu instid0(VALU_DEP_2) | instskip(NEXT) | instid1(VALU_DEP_2)
	v_cmp_eq_u32_e32 vcc_lo, 0, v19
	v_min_u32_e32 v15, 32, v15
	s_delay_alu instid0(VALU_DEP_1) | instskip(NEXT) | instid1(VALU_DEP_1)
	v_subrev_nc_u32_e32 v17, 28, v15
	v_dual_lshlrev_b32 v9, v17, v9 :: v_dual_sub_nc_u32 v15, 29, v15
	s_delay_alu instid0(VALU_DEP_1) | instskip(NEXT) | instid1(VALU_DEP_1)
	v_dual_lshlrev_b32 v11, 24, v11 :: v_dual_bitop2_b32 v9, 7, v9 bitop3:0x40
	v_dual_cndmask_b32 v9, v13, v9, vcc_lo :: v_dual_cndmask_b32 v15, v19, v15, vcc_lo
	s_delay_alu instid0(VALU_DEP_2) | instskip(NEXT) | instid1(VALU_DEP_2)
	v_and_b32_e32 v11, 0x80000000, v11
	v_lshlrev_b32_e32 v9, 20, v9
	s_delay_alu instid0(VALU_DEP_3) | instskip(NEXT) | instid1(VALU_DEP_1)
	v_lshl_add_u32 v13, v15, 23, 0x3b800000
	v_or3_b32 v9, v11, v13, v9
	s_delay_alu instid0(VALU_DEP_1)
	v_cvt_i32_f32_e32 v9, v9
.LBB23_3933:
	s_or_b32 exec_lo, exec_lo, s9
.LBB23_3934:
	s_mov_b32 s9, -1
.LBB23_3935:
	s_mov_b32 s24, 0
.LBB23_3936:
	s_delay_alu instid0(SALU_CYCLE_1)
	s_and_b32 vcc_lo, exec_lo, s24
	s_cbranch_vccz .LBB23_3967
; %bb.3937:
	s_cmp_gt_i32 s56, 22
	s_cbranch_scc0 .LBB23_3945
; %bb.3938:
	s_cmp_lt_i32 s56, 24
	s_cbranch_scc1 .LBB23_3948
; %bb.3939:
	s_cmp_gt_i32 s56, 24
	s_cbranch_scc0 .LBB23_3949
; %bb.3940:
	global_load_u8 v11, v[34:35], off
	s_mov_b32 s9, 0
	s_mov_b32 s1, exec_lo
	s_wait_loadcnt 0x0
	v_cmpx_lt_i16_e32 0x7f, v11
	s_xor_b32 s1, exec_lo, s1
	s_cbranch_execz .LBB23_3961
; %bb.3941:
	v_cmp_ne_u16_e32 vcc_lo, 0x80, v11
	s_and_b32 s9, vcc_lo, exec_lo
	s_and_not1_saveexec_b32 s1, s1
	s_cbranch_execnz .LBB23_3962
.LBB23_3942:
	s_or_b32 exec_lo, exec_lo, s1
	v_mov_b32_e32 v9, 0
	s_and_saveexec_b32 s1, s9
	s_cbranch_execz .LBB23_3944
.LBB23_3943:
	v_and_b32_e32 v9, 0xffff, v11
	s_delay_alu instid0(VALU_DEP_1) | instskip(SKIP_1) | instid1(VALU_DEP_2)
	v_and_b32_e32 v13, 3, v9
	v_bfe_u32 v19, v9, 2, 5
	v_clz_i32_u32_e32 v15, v13
	s_delay_alu instid0(VALU_DEP_2) | instskip(NEXT) | instid1(VALU_DEP_2)
	v_cmp_eq_u32_e32 vcc_lo, 0, v19
	v_min_u32_e32 v15, 32, v15
	s_delay_alu instid0(VALU_DEP_1) | instskip(NEXT) | instid1(VALU_DEP_1)
	v_subrev_nc_u32_e32 v17, 29, v15
	v_dual_lshlrev_b32 v9, v17, v9 :: v_dual_sub_nc_u32 v15, 30, v15
	s_delay_alu instid0(VALU_DEP_1) | instskip(NEXT) | instid1(VALU_DEP_1)
	v_dual_lshlrev_b32 v11, 24, v11 :: v_dual_bitop2_b32 v9, 3, v9 bitop3:0x40
	v_dual_cndmask_b32 v9, v13, v9, vcc_lo :: v_dual_cndmask_b32 v15, v19, v15, vcc_lo
	s_delay_alu instid0(VALU_DEP_2) | instskip(NEXT) | instid1(VALU_DEP_2)
	v_and_b32_e32 v11, 0x80000000, v11
	v_lshlrev_b32_e32 v9, 21, v9
	s_delay_alu instid0(VALU_DEP_3) | instskip(NEXT) | instid1(VALU_DEP_1)
	v_lshl_add_u32 v13, v15, 23, 0x37800000
	v_or3_b32 v9, v11, v13, v9
	s_delay_alu instid0(VALU_DEP_1)
	v_cvt_i32_f32_e32 v9, v9
.LBB23_3944:
	s_or_b32 exec_lo, exec_lo, s1
	s_mov_b32 s1, 0
	s_branch .LBB23_3950
.LBB23_3945:
	s_mov_b32 s1, -1
                                        ; implicit-def: $vgpr9
	s_branch .LBB23_3956
.LBB23_3946:
	s_and_not1_saveexec_b32 s9, s9
	s_cbranch_execz .LBB23_3931
.LBB23_3947:
	v_cmp_ne_u16_e32 vcc_lo, 0, v11
	s_and_not1_b32 s24, s24, exec_lo
	s_and_b32 s25, vcc_lo, exec_lo
	s_delay_alu instid0(SALU_CYCLE_1)
	s_or_b32 s24, s24, s25
	s_or_b32 exec_lo, exec_lo, s9
	v_mov_b32_e32 v9, 0
	s_and_saveexec_b32 s9, s24
	s_cbranch_execnz .LBB23_3932
	s_branch .LBB23_3933
.LBB23_3948:
	s_mov_b32 s1, -1
                                        ; implicit-def: $vgpr9
	s_branch .LBB23_3953
.LBB23_3949:
	s_mov_b32 s1, -1
                                        ; implicit-def: $vgpr9
.LBB23_3950:
	s_delay_alu instid0(SALU_CYCLE_1)
	s_and_b32 vcc_lo, exec_lo, s1
	s_cbranch_vccz .LBB23_3952
; %bb.3951:
	s_wait_loadcnt 0x0
	global_load_u8 v9, v[34:35], off
	s_wait_loadcnt 0x0
	v_lshlrev_b32_e32 v9, 24, v9
	s_delay_alu instid0(VALU_DEP_1) | instskip(NEXT) | instid1(VALU_DEP_1)
	v_and_b32_e32 v11, 0x7f000000, v9
	v_clz_i32_u32_e32 v13, v11
	v_add_nc_u32_e32 v17, 0x1000000, v11
	v_cmp_ne_u32_e32 vcc_lo, 0, v11
	s_delay_alu instid0(VALU_DEP_3) | instskip(NEXT) | instid1(VALU_DEP_1)
	v_min_u32_e32 v13, 32, v13
	v_sub_nc_u32_e64 v13, v13, 4 clamp
	s_delay_alu instid0(VALU_DEP_1) | instskip(NEXT) | instid1(VALU_DEP_1)
	v_dual_lshlrev_b32 v15, v13, v11 :: v_dual_lshlrev_b32 v13, 23, v13
	v_lshrrev_b32_e32 v15, 4, v15
	s_delay_alu instid0(VALU_DEP_1) | instskip(SKIP_1) | instid1(VALU_DEP_2)
	v_sub_nc_u32_e32 v13, v15, v13
	v_ashrrev_i32_e32 v15, 8, v17
	v_add_nc_u32_e32 v13, 0x3c000000, v13
	s_delay_alu instid0(VALU_DEP_1) | instskip(NEXT) | instid1(VALU_DEP_1)
	v_and_or_b32 v13, 0x7f800000, v15, v13
	v_cndmask_b32_e32 v11, 0, v13, vcc_lo
	s_delay_alu instid0(VALU_DEP_1) | instskip(NEXT) | instid1(VALU_DEP_1)
	v_and_or_b32 v9, 0x80000000, v9, v11
	v_cvt_i32_f32_e32 v9, v9
.LBB23_3952:
	s_mov_b32 s1, 0
.LBB23_3953:
	s_delay_alu instid0(SALU_CYCLE_1)
	s_and_not1_b32 vcc_lo, exec_lo, s1
	s_cbranch_vccnz .LBB23_3955
; %bb.3954:
	s_wait_loadcnt 0x0
	global_load_u8 v9, v[34:35], off
	s_wait_loadcnt 0x0
	v_lshlrev_b32_e32 v11, 25, v9
	v_lshlrev_b16 v9, 8, v9
	s_delay_alu instid0(VALU_DEP_1) | instskip(SKIP_1) | instid1(VALU_DEP_2)
	v_and_or_b32 v15, 0x7f00, v9, 0.5
	v_bfe_i32 v9, v9, 0, 16
	v_add_f32_e32 v15, -0.5, v15
	v_lshrrev_b32_e32 v13, 4, v11
	v_cmp_gt_u32_e32 vcc_lo, 0x8000000, v11
	s_delay_alu instid0(VALU_DEP_2) | instskip(NEXT) | instid1(VALU_DEP_1)
	v_or_b32_e32 v13, 0x70000000, v13
	v_mul_f32_e32 v13, 0x7800000, v13
	s_delay_alu instid0(VALU_DEP_1) | instskip(NEXT) | instid1(VALU_DEP_1)
	v_cndmask_b32_e32 v11, v13, v15, vcc_lo
	v_and_or_b32 v9, 0x80000000, v9, v11
	s_delay_alu instid0(VALU_DEP_1)
	v_cvt_i32_f32_e32 v9, v9
.LBB23_3955:
	s_mov_b32 s1, 0
	s_mov_b32 s9, -1
.LBB23_3956:
	s_and_not1_b32 vcc_lo, exec_lo, s1
	s_mov_b32 s1, 0
	s_cbranch_vccnz .LBB23_3967
; %bb.3957:
	s_cmp_gt_i32 s56, 14
	s_cbranch_scc0 .LBB23_3960
; %bb.3958:
	s_cmp_eq_u32 s56, 15
	s_cbranch_scc0 .LBB23_3963
; %bb.3959:
	s_wait_loadcnt 0x0
	global_load_u16 v9, v[34:35], off
	s_mov_b32 s0, 0
	s_mov_b32 s9, -1
	s_wait_loadcnt 0x0
	v_lshlrev_b32_e32 v9, 16, v9
	s_delay_alu instid0(VALU_DEP_1)
	v_cvt_i32_f32_e32 v9, v9
	s_branch .LBB23_3965
.LBB23_3960:
	s_mov_b32 s1, -1
	s_branch .LBB23_3964
.LBB23_3961:
	s_and_not1_saveexec_b32 s1, s1
	s_cbranch_execz .LBB23_3942
.LBB23_3962:
	v_cmp_ne_u16_e32 vcc_lo, 0, v11
	s_and_not1_b32 s9, s9, exec_lo
	s_and_b32 s24, vcc_lo, exec_lo
	s_delay_alu instid0(SALU_CYCLE_1)
	s_or_b32 s9, s9, s24
	s_or_b32 exec_lo, exec_lo, s1
	v_mov_b32_e32 v9, 0
	s_and_saveexec_b32 s1, s9
	s_cbranch_execnz .LBB23_3943
	s_branch .LBB23_3944
.LBB23_3963:
	s_mov_b32 s0, -1
.LBB23_3964:
                                        ; implicit-def: $vgpr9
.LBB23_3965:
	s_and_b32 vcc_lo, exec_lo, s1
	s_mov_b32 s1, 0
	s_cbranch_vccz .LBB23_3967
; %bb.3966:
	s_cmp_lg_u32 s56, 11
	s_mov_b32 s1, -1
	s_cselect_b32 s0, -1, 0
.LBB23_3967:
	s_delay_alu instid0(SALU_CYCLE_1)
	s_and_b32 vcc_lo, exec_lo, s0
	s_cbranch_vccnz .LBB23_4032
; %bb.3968:
	s_and_not1_b32 vcc_lo, exec_lo, s1
	s_cbranch_vccnz .LBB23_3970
.LBB23_3969:
	s_wait_loadcnt 0x0
	global_load_u8 v9, v[34:35], off
	s_mov_b32 s9, -1
	s_wait_loadcnt 0x0
	v_cmp_ne_u16_e32 vcc_lo, 0, v9
	v_cndmask_b32_e64 v9, 0, 1, vcc_lo
.LBB23_3970:
	s_mov_b32 s0, 0
.LBB23_3971:
	s_delay_alu instid0(SALU_CYCLE_1)
	s_and_b32 vcc_lo, exec_lo, s0
	s_cbranch_vccz .LBB23_4020
; %bb.3972:
	s_cmp_lt_i32 s56, 5
	s_cbranch_scc1 .LBB23_3977
; %bb.3973:
	s_cmp_lt_i32 s56, 8
	s_cbranch_scc1 .LBB23_3978
	;; [unrolled: 3-line block ×3, first 2 shown]
; %bb.3975:
	s_cmp_gt_i32 s56, 9
	s_cbranch_scc0 .LBB23_3980
; %bb.3976:
	global_load_b64 v[36:37], v[34:35], off
	s_mov_b32 s0, 0
	s_wait_loadcnt 0x0
	v_cvt_i32_f64_e32 v9, v[36:37]
	s_branch .LBB23_3981
.LBB23_3977:
	s_mov_b32 s0, -1
                                        ; implicit-def: $vgpr9
	s_branch .LBB23_3999
.LBB23_3978:
	s_mov_b32 s0, -1
                                        ; implicit-def: $vgpr9
	s_branch .LBB23_3987
.LBB23_3979:
	s_mov_b32 s0, -1
                                        ; implicit-def: $vgpr9
	s_branch .LBB23_3984
.LBB23_3980:
	s_mov_b32 s0, -1
                                        ; implicit-def: $vgpr9
.LBB23_3981:
	s_delay_alu instid0(SALU_CYCLE_1)
	s_and_not1_b32 vcc_lo, exec_lo, s0
	s_cbranch_vccnz .LBB23_3983
; %bb.3982:
	s_wait_loadcnt 0x0
	global_load_b32 v9, v[34:35], off
	s_wait_loadcnt 0x0
	v_cvt_i32_f32_e32 v9, v9
.LBB23_3983:
	s_mov_b32 s0, 0
.LBB23_3984:
	s_delay_alu instid0(SALU_CYCLE_1)
	s_and_not1_b32 vcc_lo, exec_lo, s0
	s_cbranch_vccnz .LBB23_3986
; %bb.3985:
	s_wait_loadcnt 0x0
	global_load_b32 v9, v[34:35], off
	s_wait_loadcnt 0x0
	v_cvt_f32_f16_e32 v9, v9
	s_delay_alu instid0(VALU_DEP_1)
	v_cvt_i32_f32_e32 v9, v9
.LBB23_3986:
	s_mov_b32 s0, 0
.LBB23_3987:
	s_delay_alu instid0(SALU_CYCLE_1)
	s_and_not1_b32 vcc_lo, exec_lo, s0
	s_cbranch_vccnz .LBB23_3998
; %bb.3988:
	s_cmp_lt_i32 s56, 6
	s_cbranch_scc1 .LBB23_3991
; %bb.3989:
	s_cmp_gt_i32 s56, 6
	s_cbranch_scc0 .LBB23_3992
; %bb.3990:
	global_load_b64 v[36:37], v[34:35], off
	s_mov_b32 s0, 0
	s_wait_loadcnt 0x0
	v_cvt_i32_f64_e32 v9, v[36:37]
	s_branch .LBB23_3993
.LBB23_3991:
	s_mov_b32 s0, -1
                                        ; implicit-def: $vgpr9
	s_branch .LBB23_3996
.LBB23_3992:
	s_mov_b32 s0, -1
                                        ; implicit-def: $vgpr9
.LBB23_3993:
	s_delay_alu instid0(SALU_CYCLE_1)
	s_and_not1_b32 vcc_lo, exec_lo, s0
	s_cbranch_vccnz .LBB23_3995
; %bb.3994:
	s_wait_loadcnt 0x0
	global_load_b32 v9, v[34:35], off
	s_wait_loadcnt 0x0
	v_cvt_i32_f32_e32 v9, v9
.LBB23_3995:
	s_mov_b32 s0, 0
.LBB23_3996:
	s_delay_alu instid0(SALU_CYCLE_1)
	s_and_not1_b32 vcc_lo, exec_lo, s0
	s_cbranch_vccnz .LBB23_3998
; %bb.3997:
	s_wait_loadcnt 0x0
	global_load_u16 v9, v[34:35], off
	s_wait_loadcnt 0x0
	v_cvt_f32_f16_e32 v9, v9
	s_delay_alu instid0(VALU_DEP_1)
	v_cvt_i32_f32_e32 v9, v9
.LBB23_3998:
	s_mov_b32 s0, 0
.LBB23_3999:
	s_delay_alu instid0(SALU_CYCLE_1)
	s_and_not1_b32 vcc_lo, exec_lo, s0
	s_cbranch_vccnz .LBB23_4019
; %bb.4000:
	s_cmp_lt_i32 s56, 2
	s_cbranch_scc1 .LBB23_4004
; %bb.4001:
	s_cmp_lt_i32 s56, 3
	s_cbranch_scc1 .LBB23_4005
; %bb.4002:
	s_cmp_gt_i32 s56, 3
	s_cbranch_scc0 .LBB23_4006
; %bb.4003:
	s_wait_loadcnt 0x0
	global_load_b32 v9, v[34:35], off
	s_mov_b32 s0, 0
	s_branch .LBB23_4007
.LBB23_4004:
	s_mov_b32 s0, -1
                                        ; implicit-def: $vgpr9
	s_branch .LBB23_4013
.LBB23_4005:
	s_mov_b32 s0, -1
                                        ; implicit-def: $vgpr9
	s_branch .LBB23_4010
.LBB23_4006:
	s_mov_b32 s0, -1
                                        ; implicit-def: $vgpr9
.LBB23_4007:
	s_delay_alu instid0(SALU_CYCLE_1)
	s_and_not1_b32 vcc_lo, exec_lo, s0
	s_cbranch_vccnz .LBB23_4009
; %bb.4008:
	s_wait_loadcnt 0x0
	global_load_b32 v9, v[34:35], off
.LBB23_4009:
	s_mov_b32 s0, 0
.LBB23_4010:
	s_delay_alu instid0(SALU_CYCLE_1)
	s_and_not1_b32 vcc_lo, exec_lo, s0
	s_cbranch_vccnz .LBB23_4012
; %bb.4011:
	s_wait_loadcnt 0x0
	global_load_i16 v9, v[34:35], off
.LBB23_4012:
	s_mov_b32 s0, 0
.LBB23_4013:
	s_delay_alu instid0(SALU_CYCLE_1)
	s_and_not1_b32 vcc_lo, exec_lo, s0
	s_cbranch_vccnz .LBB23_4019
; %bb.4014:
	s_cmp_gt_i32 s56, 0
	s_mov_b32 s0, 0
	s_cbranch_scc0 .LBB23_4016
; %bb.4015:
	s_wait_loadcnt 0x0
	global_load_i8 v9, v[34:35], off
	s_branch .LBB23_4017
.LBB23_4016:
	s_mov_b32 s0, -1
                                        ; implicit-def: $vgpr9
.LBB23_4017:
	s_delay_alu instid0(SALU_CYCLE_1)
	s_and_not1_b32 vcc_lo, exec_lo, s0
	s_cbranch_vccnz .LBB23_4019
; %bb.4018:
	s_wait_loadcnt 0x0
	global_load_u8 v9, v[34:35], off
.LBB23_4019:
	s_mov_b32 s9, -1
.LBB23_4020:
	s_delay_alu instid0(SALU_CYCLE_1)
	s_and_not1_b32 vcc_lo, exec_lo, s9
	s_cbranch_vccnz .LBB23_4415
; %bb.4021:
	v_mov_b32_e32 v33, 0
	s_and_b32 s57, 0xffff, s47
	s_delay_alu instid0(SALU_CYCLE_1) | instskip(SKIP_1) | instid1(VALU_DEP_1)
	s_cmp_lt_i32 s57, 11
	s_wait_xcnt 0x0
	v_add_nc_u64_e32 v[34:35], s[14:15], v[32:33]
	s_cbranch_scc1 .LBB23_4028
; %bb.4022:
	s_cmp_gt_i32 s57, 25
	s_mov_b32 s1, 0
	s_cbranch_scc0 .LBB23_4029
; %bb.4023:
	s_cmp_gt_i32 s57, 28
	s_cbranch_scc0 .LBB23_4030
; %bb.4024:
	s_cmp_gt_i32 s57, 43
	;; [unrolled: 3-line block ×3, first 2 shown]
	s_cbranch_scc0 .LBB23_4033
; %bb.4026:
	s_cmp_eq_u32 s57, 46
	s_mov_b32 s24, 0
	s_cbranch_scc0 .LBB23_4036
; %bb.4027:
	global_load_b32 v11, v[34:35], off
	s_mov_b32 s0, 0
	s_mov_b32 s9, -1
	s_wait_loadcnt 0x0
	v_lshlrev_b32_e32 v11, 16, v11
	s_delay_alu instid0(VALU_DEP_1)
	v_cvt_i32_f32_e32 v32, v11
	s_branch .LBB23_4038
.LBB23_4028:
	s_mov_b32 s0, -1
	s_mov_b32 s9, 0
                                        ; implicit-def: $vgpr32
	s_branch .LBB23_4100
.LBB23_4029:
	s_mov_b32 s24, -1
	s_mov_b32 s9, 0
	s_mov_b32 s0, 0
                                        ; implicit-def: $vgpr32
	s_branch .LBB23_4065
.LBB23_4030:
	s_mov_b32 s24, -1
	s_mov_b32 s9, 0
	s_mov_b32 s0, 0
                                        ; implicit-def: $vgpr32
	s_branch .LBB23_4048
.LBB23_4031:
	s_mov_b32 s24, -1
	s_mov_b32 s9, 0
	s_mov_b32 s0, 0
                                        ; implicit-def: $vgpr32
	s_branch .LBB23_4043
.LBB23_4032:
	s_or_b32 s44, s44, exec_lo
	s_trap 2
	s_cbranch_execz .LBB23_3969
	s_branch .LBB23_3970
.LBB23_4033:
	s_mov_b32 s24, -1
	s_mov_b32 s9, 0
	s_mov_b32 s0, 0
	s_branch .LBB23_4037
.LBB23_4034:
	s_or_b32 exec_lo, exec_lo, s77
	s_branch .LBB23_650
.LBB23_4035:
	s_or_b32 s39, s33, exec_lo
	s_trap 2
                                        ; implicit-def: $vgpr6
                                        ; implicit-def: $vgpr30
                                        ; implicit-def: $vgpr28
                                        ; implicit-def: $vgpr34
                                        ; implicit-def: $vgpr32
                                        ; implicit-def: $vgpr4
                                        ; implicit-def: $vgpr36
                                        ; implicit-def: $vgpr20
                                        ; implicit-def: $vgpr18
                                        ; implicit-def: $vgpr24
                                        ; implicit-def: $vgpr22
                                        ; implicit-def: $vgpr2
                                        ; implicit-def: $vgpr26
                                        ; implicit-def: $vgpr10
                                        ; implicit-def: $vgpr8
                                        ; implicit-def: $vgpr14
                                        ; implicit-def: $vgpr12
                                        ; implicit-def: $vgpr0
                                        ; implicit-def: $vgpr16
                                        ; implicit-def: $vgpr1
                                        ; implicit-def: $vgpr3
                                        ; implicit-def: $vgpr42
                                        ; implicit-def: $vgpr40
                                        ; implicit-def: $vgpr44
	s_or_saveexec_b32 s40, s0
	s_mov_b32 s1, 0
                                        ; implicit-def: $vgpr38_vgpr39
                                        ; implicit-def: $sgpr0
	s_xor_b32 exec_lo, exec_lo, s40
	s_cbranch_execz .LBB23_4419
	s_branch .LBB23_3527
.LBB23_4036:
	s_mov_b32 s0, -1
	s_mov_b32 s9, 0
.LBB23_4037:
                                        ; implicit-def: $vgpr32
.LBB23_4038:
	s_and_b32 vcc_lo, exec_lo, s24
	s_cbranch_vccz .LBB23_4042
; %bb.4039:
	s_cmp_eq_u32 s57, 44
	s_cbranch_scc0 .LBB23_4041
; %bb.4040:
	global_load_u8 v11, v[34:35], off
	s_mov_b32 s0, 0
	s_mov_b32 s9, -1
	s_wait_loadcnt 0x0
	v_lshlrev_b32_e32 v13, 23, v11
	v_cmp_ne_u32_e32 vcc_lo, 0, v11
	s_delay_alu instid0(VALU_DEP_2) | instskip(NEXT) | instid1(VALU_DEP_1)
	v_cvt_i32_f32_e32 v13, v13
	v_cndmask_b32_e32 v32, 0, v13, vcc_lo
	s_branch .LBB23_4042
.LBB23_4041:
	s_mov_b32 s0, -1
                                        ; implicit-def: $vgpr32
.LBB23_4042:
	s_mov_b32 s24, 0
.LBB23_4043:
	s_delay_alu instid0(SALU_CYCLE_1)
	s_and_b32 vcc_lo, exec_lo, s24
	s_cbranch_vccz .LBB23_4047
; %bb.4044:
	s_cmp_eq_u32 s57, 29
	s_cbranch_scc0 .LBB23_4046
; %bb.4045:
	global_load_b32 v32, v[34:35], off
	s_mov_b32 s0, 0
	s_mov_b32 s9, -1
	s_branch .LBB23_4047
.LBB23_4046:
	s_mov_b32 s0, -1
                                        ; implicit-def: $vgpr32
.LBB23_4047:
	s_mov_b32 s24, 0
.LBB23_4048:
	s_delay_alu instid0(SALU_CYCLE_1)
	s_and_b32 vcc_lo, exec_lo, s24
	s_cbranch_vccz .LBB23_4064
; %bb.4049:
	s_cmp_lt_i32 s57, 27
	s_cbranch_scc1 .LBB23_4052
; %bb.4050:
	s_cmp_gt_i32 s57, 27
	s_cbranch_scc0 .LBB23_4053
; %bb.4051:
	s_wait_loadcnt 0x0
	global_load_b32 v32, v[34:35], off
	s_mov_b32 s9, 0
	s_branch .LBB23_4054
.LBB23_4052:
	s_mov_b32 s9, -1
                                        ; implicit-def: $vgpr32
	s_branch .LBB23_4057
.LBB23_4053:
	s_mov_b32 s9, -1
                                        ; implicit-def: $vgpr32
.LBB23_4054:
	s_delay_alu instid0(SALU_CYCLE_1)
	s_and_not1_b32 vcc_lo, exec_lo, s9
	s_cbranch_vccnz .LBB23_4056
; %bb.4055:
	s_wait_loadcnt 0x0
	global_load_u16 v32, v[34:35], off
.LBB23_4056:
	s_mov_b32 s9, 0
.LBB23_4057:
	s_delay_alu instid0(SALU_CYCLE_1)
	s_and_not1_b32 vcc_lo, exec_lo, s9
	s_cbranch_vccnz .LBB23_4063
; %bb.4058:
	global_load_u8 v11, v[34:35], off
	s_mov_b32 s24, 0
	s_mov_b32 s9, exec_lo
	s_wait_loadcnt 0x0
	v_cmpx_lt_i16_e32 0x7f, v11
	s_xor_b32 s9, exec_lo, s9
	s_cbranch_execz .LBB23_4075
; %bb.4059:
	v_cmp_ne_u16_e32 vcc_lo, 0x80, v11
	s_and_b32 s24, vcc_lo, exec_lo
	s_and_not1_saveexec_b32 s9, s9
	s_cbranch_execnz .LBB23_4076
.LBB23_4060:
	s_or_b32 exec_lo, exec_lo, s9
	v_mov_b32_e32 v32, 0
	s_and_saveexec_b32 s9, s24
	s_cbranch_execz .LBB23_4062
.LBB23_4061:
	v_and_b32_e32 v13, 0xffff, v11
	s_delay_alu instid0(VALU_DEP_1) | instskip(SKIP_1) | instid1(VALU_DEP_2)
	v_dual_lshlrev_b32 v11, 24, v11 :: v_dual_bitop2_b32 v15, 7, v13 bitop3:0x40
	v_bfe_u32 v21, v13, 3, 4
	v_and_b32_e32 v11, 0x80000000, v11
	s_delay_alu instid0(VALU_DEP_3) | instskip(NEXT) | instid1(VALU_DEP_3)
	v_clz_i32_u32_e32 v17, v15
	v_cmp_eq_u32_e32 vcc_lo, 0, v21
	s_delay_alu instid0(VALU_DEP_2) | instskip(NEXT) | instid1(VALU_DEP_1)
	v_min_u32_e32 v17, 32, v17
	v_subrev_nc_u32_e32 v19, 28, v17
	v_sub_nc_u32_e32 v17, 29, v17
	s_delay_alu instid0(VALU_DEP_2) | instskip(NEXT) | instid1(VALU_DEP_2)
	v_lshlrev_b32_e32 v13, v19, v13
	v_cndmask_b32_e32 v17, v21, v17, vcc_lo
	s_delay_alu instid0(VALU_DEP_2) | instskip(NEXT) | instid1(VALU_DEP_1)
	v_and_b32_e32 v13, 7, v13
	v_cndmask_b32_e32 v13, v15, v13, vcc_lo
	s_delay_alu instid0(VALU_DEP_3) | instskip(NEXT) | instid1(VALU_DEP_2)
	v_lshl_add_u32 v15, v17, 23, 0x3b800000
	v_lshlrev_b32_e32 v13, 20, v13
	s_delay_alu instid0(VALU_DEP_1) | instskip(NEXT) | instid1(VALU_DEP_1)
	v_or3_b32 v11, v11, v15, v13
	v_cvt_i32_f32_e32 v32, v11
.LBB23_4062:
	s_or_b32 exec_lo, exec_lo, s9
.LBB23_4063:
	s_mov_b32 s9, -1
.LBB23_4064:
	s_mov_b32 s24, 0
.LBB23_4065:
	s_delay_alu instid0(SALU_CYCLE_1)
	s_and_b32 vcc_lo, exec_lo, s24
	s_cbranch_vccz .LBB23_4096
; %bb.4066:
	s_cmp_gt_i32 s57, 22
	s_cbranch_scc0 .LBB23_4074
; %bb.4067:
	s_cmp_lt_i32 s57, 24
	s_cbranch_scc1 .LBB23_4077
; %bb.4068:
	s_cmp_gt_i32 s57, 24
	s_cbranch_scc0 .LBB23_4078
; %bb.4069:
	global_load_u8 v11, v[34:35], off
	s_mov_b32 s9, 0
	s_mov_b32 s1, exec_lo
	s_wait_loadcnt 0x0
	v_cmpx_lt_i16_e32 0x7f, v11
	s_xor_b32 s1, exec_lo, s1
	s_cbranch_execz .LBB23_4090
; %bb.4070:
	v_cmp_ne_u16_e32 vcc_lo, 0x80, v11
	s_and_b32 s9, vcc_lo, exec_lo
	s_and_not1_saveexec_b32 s1, s1
	s_cbranch_execnz .LBB23_4091
.LBB23_4071:
	s_or_b32 exec_lo, exec_lo, s1
	v_mov_b32_e32 v32, 0
	s_and_saveexec_b32 s1, s9
	s_cbranch_execz .LBB23_4073
.LBB23_4072:
	v_and_b32_e32 v13, 0xffff, v11
	s_delay_alu instid0(VALU_DEP_1) | instskip(SKIP_1) | instid1(VALU_DEP_2)
	v_dual_lshlrev_b32 v11, 24, v11 :: v_dual_bitop2_b32 v15, 3, v13 bitop3:0x40
	v_bfe_u32 v21, v13, 2, 5
	v_and_b32_e32 v11, 0x80000000, v11
	s_delay_alu instid0(VALU_DEP_3) | instskip(NEXT) | instid1(VALU_DEP_3)
	v_clz_i32_u32_e32 v17, v15
	v_cmp_eq_u32_e32 vcc_lo, 0, v21
	s_delay_alu instid0(VALU_DEP_2) | instskip(NEXT) | instid1(VALU_DEP_1)
	v_min_u32_e32 v17, 32, v17
	v_subrev_nc_u32_e32 v19, 29, v17
	v_sub_nc_u32_e32 v17, 30, v17
	s_delay_alu instid0(VALU_DEP_2) | instskip(NEXT) | instid1(VALU_DEP_2)
	v_lshlrev_b32_e32 v13, v19, v13
	v_cndmask_b32_e32 v17, v21, v17, vcc_lo
	s_delay_alu instid0(VALU_DEP_2) | instskip(NEXT) | instid1(VALU_DEP_1)
	v_and_b32_e32 v13, 3, v13
	v_cndmask_b32_e32 v13, v15, v13, vcc_lo
	s_delay_alu instid0(VALU_DEP_3) | instskip(NEXT) | instid1(VALU_DEP_2)
	v_lshl_add_u32 v15, v17, 23, 0x37800000
	v_lshlrev_b32_e32 v13, 21, v13
	s_delay_alu instid0(VALU_DEP_1) | instskip(NEXT) | instid1(VALU_DEP_1)
	v_or3_b32 v11, v11, v15, v13
	v_cvt_i32_f32_e32 v32, v11
.LBB23_4073:
	s_or_b32 exec_lo, exec_lo, s1
	s_mov_b32 s1, 0
	s_branch .LBB23_4079
.LBB23_4074:
	s_mov_b32 s1, -1
                                        ; implicit-def: $vgpr32
	s_branch .LBB23_4085
.LBB23_4075:
	s_and_not1_saveexec_b32 s9, s9
	s_cbranch_execz .LBB23_4060
.LBB23_4076:
	v_cmp_ne_u16_e32 vcc_lo, 0, v11
	s_and_not1_b32 s24, s24, exec_lo
	s_and_b32 s25, vcc_lo, exec_lo
	s_delay_alu instid0(SALU_CYCLE_1)
	s_or_b32 s24, s24, s25
	s_or_b32 exec_lo, exec_lo, s9
	v_mov_b32_e32 v32, 0
	s_and_saveexec_b32 s9, s24
	s_cbranch_execnz .LBB23_4061
	s_branch .LBB23_4062
.LBB23_4077:
	s_mov_b32 s1, -1
                                        ; implicit-def: $vgpr32
	s_branch .LBB23_4082
.LBB23_4078:
	s_mov_b32 s1, -1
                                        ; implicit-def: $vgpr32
.LBB23_4079:
	s_delay_alu instid0(SALU_CYCLE_1)
	s_and_b32 vcc_lo, exec_lo, s1
	s_cbranch_vccz .LBB23_4081
; %bb.4080:
	global_load_u8 v11, v[34:35], off
	s_wait_loadcnt 0x0
	v_lshlrev_b32_e32 v11, 24, v11
	s_delay_alu instid0(VALU_DEP_1) | instskip(NEXT) | instid1(VALU_DEP_1)
	v_and_b32_e32 v13, 0x7f000000, v11
	v_clz_i32_u32_e32 v15, v13
	v_add_nc_u32_e32 v19, 0x1000000, v13
	v_cmp_ne_u32_e32 vcc_lo, 0, v13
	s_delay_alu instid0(VALU_DEP_3) | instskip(NEXT) | instid1(VALU_DEP_1)
	v_min_u32_e32 v15, 32, v15
	v_sub_nc_u32_e64 v15, v15, 4 clamp
	s_delay_alu instid0(VALU_DEP_1) | instskip(NEXT) | instid1(VALU_DEP_1)
	v_dual_lshlrev_b32 v17, v15, v13 :: v_dual_lshlrev_b32 v15, 23, v15
	v_lshrrev_b32_e32 v17, 4, v17
	s_delay_alu instid0(VALU_DEP_1) | instskip(SKIP_1) | instid1(VALU_DEP_2)
	v_sub_nc_u32_e32 v15, v17, v15
	v_ashrrev_i32_e32 v17, 8, v19
	v_add_nc_u32_e32 v15, 0x3c000000, v15
	s_delay_alu instid0(VALU_DEP_1) | instskip(NEXT) | instid1(VALU_DEP_1)
	v_and_or_b32 v15, 0x7f800000, v17, v15
	v_cndmask_b32_e32 v13, 0, v15, vcc_lo
	s_delay_alu instid0(VALU_DEP_1) | instskip(NEXT) | instid1(VALU_DEP_1)
	v_and_or_b32 v11, 0x80000000, v11, v13
	v_cvt_i32_f32_e32 v32, v11
.LBB23_4081:
	s_mov_b32 s1, 0
.LBB23_4082:
	s_delay_alu instid0(SALU_CYCLE_1)
	s_and_not1_b32 vcc_lo, exec_lo, s1
	s_cbranch_vccnz .LBB23_4084
; %bb.4083:
	global_load_u8 v11, v[34:35], off
	s_wait_loadcnt 0x0
	v_lshlrev_b32_e32 v13, 25, v11
	v_lshlrev_b16 v11, 8, v11
	s_delay_alu instid0(VALU_DEP_1) | instskip(SKIP_1) | instid1(VALU_DEP_2)
	v_and_or_b32 v17, 0x7f00, v11, 0.5
	v_bfe_i32 v11, v11, 0, 16
	v_add_f32_e32 v17, -0.5, v17
	v_lshrrev_b32_e32 v15, 4, v13
	v_cmp_gt_u32_e32 vcc_lo, 0x8000000, v13
	s_delay_alu instid0(VALU_DEP_2) | instskip(NEXT) | instid1(VALU_DEP_1)
	v_or_b32_e32 v15, 0x70000000, v15
	v_mul_f32_e32 v15, 0x7800000, v15
	s_delay_alu instid0(VALU_DEP_1) | instskip(NEXT) | instid1(VALU_DEP_1)
	v_cndmask_b32_e32 v13, v15, v17, vcc_lo
	v_and_or_b32 v11, 0x80000000, v11, v13
	s_delay_alu instid0(VALU_DEP_1)
	v_cvt_i32_f32_e32 v32, v11
.LBB23_4084:
	s_mov_b32 s1, 0
	s_mov_b32 s9, -1
.LBB23_4085:
	s_and_not1_b32 vcc_lo, exec_lo, s1
	s_mov_b32 s1, 0
	s_cbranch_vccnz .LBB23_4096
; %bb.4086:
	s_cmp_gt_i32 s57, 14
	s_cbranch_scc0 .LBB23_4089
; %bb.4087:
	s_cmp_eq_u32 s57, 15
	s_cbranch_scc0 .LBB23_4092
; %bb.4088:
	global_load_u16 v11, v[34:35], off
	s_mov_b32 s0, 0
	s_mov_b32 s9, -1
	s_wait_loadcnt 0x0
	v_lshlrev_b32_e32 v11, 16, v11
	s_delay_alu instid0(VALU_DEP_1)
	v_cvt_i32_f32_e32 v32, v11
	s_branch .LBB23_4094
.LBB23_4089:
	s_mov_b32 s1, -1
	s_branch .LBB23_4093
.LBB23_4090:
	s_and_not1_saveexec_b32 s1, s1
	s_cbranch_execz .LBB23_4071
.LBB23_4091:
	v_cmp_ne_u16_e32 vcc_lo, 0, v11
	s_and_not1_b32 s9, s9, exec_lo
	s_and_b32 s24, vcc_lo, exec_lo
	s_delay_alu instid0(SALU_CYCLE_1)
	s_or_b32 s9, s9, s24
	s_or_b32 exec_lo, exec_lo, s1
	v_mov_b32_e32 v32, 0
	s_and_saveexec_b32 s1, s9
	s_cbranch_execnz .LBB23_4072
	s_branch .LBB23_4073
.LBB23_4092:
	s_mov_b32 s0, -1
.LBB23_4093:
                                        ; implicit-def: $vgpr32
.LBB23_4094:
	s_and_b32 vcc_lo, exec_lo, s1
	s_mov_b32 s1, 0
	s_cbranch_vccz .LBB23_4096
; %bb.4095:
	s_cmp_lg_u32 s57, 11
	s_mov_b32 s1, -1
	s_cselect_b32 s0, -1, 0
.LBB23_4096:
	s_delay_alu instid0(SALU_CYCLE_1)
	s_and_b32 vcc_lo, exec_lo, s0
	s_cbranch_vccnz .LBB23_4161
; %bb.4097:
	s_and_not1_b32 vcc_lo, exec_lo, s1
	s_cbranch_vccnz .LBB23_4099
.LBB23_4098:
	global_load_u8 v11, v[34:35], off
	s_mov_b32 s9, -1
	s_wait_loadcnt 0x0
	v_cmp_ne_u16_e32 vcc_lo, 0, v11
	v_cndmask_b32_e64 v32, 0, 1, vcc_lo
.LBB23_4099:
	s_mov_b32 s0, 0
.LBB23_4100:
	s_delay_alu instid0(SALU_CYCLE_1)
	s_and_b32 vcc_lo, exec_lo, s0
	s_cbranch_vccz .LBB23_4149
; %bb.4101:
	s_cmp_lt_i32 s57, 5
	s_cbranch_scc1 .LBB23_4106
; %bb.4102:
	s_cmp_lt_i32 s57, 8
	s_cbranch_scc1 .LBB23_4107
	;; [unrolled: 3-line block ×3, first 2 shown]
; %bb.4104:
	s_cmp_gt_i32 s57, 9
	s_cbranch_scc0 .LBB23_4109
; %bb.4105:
	s_wait_loadcnt 0x0
	global_load_b64 v[32:33], v[34:35], off
	s_mov_b32 s0, 0
	s_wait_loadcnt 0x0
	v_cvt_i32_f64_e32 v32, v[32:33]
	s_branch .LBB23_4110
.LBB23_4106:
	s_mov_b32 s0, -1
                                        ; implicit-def: $vgpr32
	s_branch .LBB23_4128
.LBB23_4107:
	s_mov_b32 s0, -1
                                        ; implicit-def: $vgpr32
	s_branch .LBB23_4116
.LBB23_4108:
	s_mov_b32 s0, -1
                                        ; implicit-def: $vgpr32
	s_branch .LBB23_4113
.LBB23_4109:
	s_mov_b32 s0, -1
                                        ; implicit-def: $vgpr32
.LBB23_4110:
	s_delay_alu instid0(SALU_CYCLE_1)
	s_and_not1_b32 vcc_lo, exec_lo, s0
	s_cbranch_vccnz .LBB23_4112
; %bb.4111:
	global_load_b32 v11, v[34:35], off
	s_wait_loadcnt 0x0
	v_cvt_i32_f32_e32 v32, v11
.LBB23_4112:
	s_mov_b32 s0, 0
.LBB23_4113:
	s_delay_alu instid0(SALU_CYCLE_1)
	s_and_not1_b32 vcc_lo, exec_lo, s0
	s_cbranch_vccnz .LBB23_4115
; %bb.4114:
	global_load_b32 v11, v[34:35], off
	s_wait_loadcnt 0x0
	v_cvt_f32_f16_e32 v11, v11
	s_delay_alu instid0(VALU_DEP_1)
	v_cvt_i32_f32_e32 v32, v11
.LBB23_4115:
	s_mov_b32 s0, 0
.LBB23_4116:
	s_delay_alu instid0(SALU_CYCLE_1)
	s_and_not1_b32 vcc_lo, exec_lo, s0
	s_cbranch_vccnz .LBB23_4127
; %bb.4117:
	s_cmp_lt_i32 s57, 6
	s_cbranch_scc1 .LBB23_4120
; %bb.4118:
	s_cmp_gt_i32 s57, 6
	s_cbranch_scc0 .LBB23_4121
; %bb.4119:
	s_wait_loadcnt 0x0
	global_load_b64 v[32:33], v[34:35], off
	s_mov_b32 s0, 0
	s_wait_loadcnt 0x0
	v_cvt_i32_f64_e32 v32, v[32:33]
	s_branch .LBB23_4122
.LBB23_4120:
	s_mov_b32 s0, -1
                                        ; implicit-def: $vgpr32
	s_branch .LBB23_4125
.LBB23_4121:
	s_mov_b32 s0, -1
                                        ; implicit-def: $vgpr32
.LBB23_4122:
	s_delay_alu instid0(SALU_CYCLE_1)
	s_and_not1_b32 vcc_lo, exec_lo, s0
	s_cbranch_vccnz .LBB23_4124
; %bb.4123:
	global_load_b32 v11, v[34:35], off
	s_wait_loadcnt 0x0
	v_cvt_i32_f32_e32 v32, v11
.LBB23_4124:
	s_mov_b32 s0, 0
.LBB23_4125:
	s_delay_alu instid0(SALU_CYCLE_1)
	s_and_not1_b32 vcc_lo, exec_lo, s0
	s_cbranch_vccnz .LBB23_4127
; %bb.4126:
	global_load_u16 v11, v[34:35], off
	s_wait_loadcnt 0x0
	v_cvt_f32_f16_e32 v11, v11
	s_delay_alu instid0(VALU_DEP_1)
	v_cvt_i32_f32_e32 v32, v11
.LBB23_4127:
	s_mov_b32 s0, 0
.LBB23_4128:
	s_delay_alu instid0(SALU_CYCLE_1)
	s_and_not1_b32 vcc_lo, exec_lo, s0
	s_cbranch_vccnz .LBB23_4148
; %bb.4129:
	s_cmp_lt_i32 s57, 2
	s_cbranch_scc1 .LBB23_4133
; %bb.4130:
	s_cmp_lt_i32 s57, 3
	s_cbranch_scc1 .LBB23_4134
; %bb.4131:
	s_cmp_gt_i32 s57, 3
	s_cbranch_scc0 .LBB23_4135
; %bb.4132:
	s_wait_loadcnt 0x0
	global_load_b32 v32, v[34:35], off
	s_mov_b32 s0, 0
	s_branch .LBB23_4136
.LBB23_4133:
	s_mov_b32 s0, -1
                                        ; implicit-def: $vgpr32
	s_branch .LBB23_4142
.LBB23_4134:
	s_mov_b32 s0, -1
                                        ; implicit-def: $vgpr32
	s_branch .LBB23_4139
.LBB23_4135:
	s_mov_b32 s0, -1
                                        ; implicit-def: $vgpr32
.LBB23_4136:
	s_delay_alu instid0(SALU_CYCLE_1)
	s_and_not1_b32 vcc_lo, exec_lo, s0
	s_cbranch_vccnz .LBB23_4138
; %bb.4137:
	s_wait_loadcnt 0x0
	global_load_b32 v32, v[34:35], off
.LBB23_4138:
	s_mov_b32 s0, 0
.LBB23_4139:
	s_delay_alu instid0(SALU_CYCLE_1)
	s_and_not1_b32 vcc_lo, exec_lo, s0
	s_cbranch_vccnz .LBB23_4141
; %bb.4140:
	s_wait_loadcnt 0x0
	global_load_i16 v32, v[34:35], off
.LBB23_4141:
	s_mov_b32 s0, 0
.LBB23_4142:
	s_delay_alu instid0(SALU_CYCLE_1)
	s_and_not1_b32 vcc_lo, exec_lo, s0
	s_cbranch_vccnz .LBB23_4148
; %bb.4143:
	s_cmp_gt_i32 s57, 0
	s_mov_b32 s0, 0
	s_cbranch_scc0 .LBB23_4145
; %bb.4144:
	s_wait_loadcnt 0x0
	global_load_i8 v32, v[34:35], off
	s_branch .LBB23_4146
.LBB23_4145:
	s_mov_b32 s0, -1
                                        ; implicit-def: $vgpr32
.LBB23_4146:
	s_delay_alu instid0(SALU_CYCLE_1)
	s_and_not1_b32 vcc_lo, exec_lo, s0
	s_cbranch_vccnz .LBB23_4148
; %bb.4147:
	s_wait_loadcnt 0x0
	global_load_u8 v32, v[34:35], off
.LBB23_4148:
	s_mov_b32 s9, -1
.LBB23_4149:
	s_delay_alu instid0(SALU_CYCLE_1)
	s_and_not1_b32 vcc_lo, exec_lo, s9
	s_cbranch_vccnz .LBB23_4415
; %bb.4150:
	v_mov_b32_e32 v31, 0
	s_and_b32 s58, 0xffff, s48
	s_delay_alu instid0(SALU_CYCLE_1) | instskip(SKIP_1) | instid1(VALU_DEP_1)
	s_cmp_lt_i32 s58, 11
	s_wait_xcnt 0x0
	v_add_nc_u64_e32 v[34:35], s[16:17], v[30:31]
	s_cbranch_scc1 .LBB23_4157
; %bb.4151:
	s_cmp_gt_i32 s58, 25
	s_mov_b32 s1, 0
	s_cbranch_scc0 .LBB23_4158
; %bb.4152:
	s_cmp_gt_i32 s58, 28
	s_cbranch_scc0 .LBB23_4159
; %bb.4153:
	s_cmp_gt_i32 s58, 43
	;; [unrolled: 3-line block ×3, first 2 shown]
	s_cbranch_scc0 .LBB23_4162
; %bb.4155:
	s_cmp_eq_u32 s58, 46
	s_mov_b32 s24, 0
	s_cbranch_scc0 .LBB23_4165
; %bb.4156:
	global_load_b32 v11, v[34:35], off
	s_mov_b32 s0, 0
	s_mov_b32 s9, -1
	s_wait_loadcnt 0x0
	v_lshlrev_b32_e32 v11, 16, v11
	s_delay_alu instid0(VALU_DEP_1)
	v_cvt_i32_f32_e32 v30, v11
	s_branch .LBB23_4167
.LBB23_4157:
	s_mov_b32 s0, -1
	s_mov_b32 s9, 0
                                        ; implicit-def: $vgpr30
	s_branch .LBB23_4229
.LBB23_4158:
	s_mov_b32 s24, -1
	s_mov_b32 s9, 0
	s_mov_b32 s0, 0
                                        ; implicit-def: $vgpr30
	s_branch .LBB23_4194
.LBB23_4159:
	s_mov_b32 s24, -1
	s_mov_b32 s9, 0
	s_mov_b32 s0, 0
                                        ; implicit-def: $vgpr30
	s_branch .LBB23_4177
.LBB23_4160:
	s_mov_b32 s24, -1
	s_mov_b32 s9, 0
	s_mov_b32 s0, 0
                                        ; implicit-def: $vgpr30
	s_branch .LBB23_4172
.LBB23_4161:
	s_or_b32 s44, s44, exec_lo
	s_trap 2
	s_cbranch_execz .LBB23_4098
	s_branch .LBB23_4099
.LBB23_4162:
	s_mov_b32 s24, -1
	s_mov_b32 s9, 0
	s_mov_b32 s0, 0
	s_branch .LBB23_4166
.LBB23_4163:
	s_or_b32 exec_lo, exec_lo, s91
	s_branch .LBB23_1325
.LBB23_4164:
	s_or_b32 s21, s39, exec_lo
	s_trap 2
                                        ; implicit-def: $vgpr6
                                        ; implicit-def: $vgpr30
                                        ; implicit-def: $vgpr28
                                        ; implicit-def: $vgpr34
                                        ; implicit-def: $vgpr32
                                        ; implicit-def: $vgpr4
                                        ; implicit-def: $vgpr36
                                        ; implicit-def: $vgpr20
                                        ; implicit-def: $vgpr18
                                        ; implicit-def: $vgpr24
                                        ; implicit-def: $vgpr22
                                        ; implicit-def: $vgpr2
                                        ; implicit-def: $vgpr26
                                        ; implicit-def: $vgpr10
                                        ; implicit-def: $vgpr8
                                        ; implicit-def: $vgpr14
                                        ; implicit-def: $vgpr12
                                        ; implicit-def: $vgpr0
                                        ; implicit-def: $vgpr16
                                        ; implicit-def: $vgpr1
                                        ; implicit-def: $vgpr3
                                        ; implicit-def: $vgpr42
                                        ; implicit-def: $vgpr40
                                        ; implicit-def: $vgpr44
	s_branch .LBB23_3528
.LBB23_4165:
	s_mov_b32 s0, -1
	s_mov_b32 s9, 0
.LBB23_4166:
                                        ; implicit-def: $vgpr30
.LBB23_4167:
	s_and_b32 vcc_lo, exec_lo, s24
	s_cbranch_vccz .LBB23_4171
; %bb.4168:
	s_cmp_eq_u32 s58, 44
	s_cbranch_scc0 .LBB23_4170
; %bb.4169:
	global_load_u8 v11, v[34:35], off
	s_mov_b32 s0, 0
	s_mov_b32 s9, -1
	s_wait_loadcnt 0x0
	v_lshlrev_b32_e32 v13, 23, v11
	v_cmp_ne_u32_e32 vcc_lo, 0, v11
	s_delay_alu instid0(VALU_DEP_2) | instskip(NEXT) | instid1(VALU_DEP_1)
	v_cvt_i32_f32_e32 v13, v13
	v_cndmask_b32_e32 v30, 0, v13, vcc_lo
	s_branch .LBB23_4171
.LBB23_4170:
	s_mov_b32 s0, -1
                                        ; implicit-def: $vgpr30
.LBB23_4171:
	s_mov_b32 s24, 0
.LBB23_4172:
	s_delay_alu instid0(SALU_CYCLE_1)
	s_and_b32 vcc_lo, exec_lo, s24
	s_cbranch_vccz .LBB23_4176
; %bb.4173:
	s_cmp_eq_u32 s58, 29
	s_cbranch_scc0 .LBB23_4175
; %bb.4174:
	global_load_b32 v30, v[34:35], off
	s_mov_b32 s0, 0
	s_mov_b32 s9, -1
	s_branch .LBB23_4176
.LBB23_4175:
	s_mov_b32 s0, -1
                                        ; implicit-def: $vgpr30
.LBB23_4176:
	s_mov_b32 s24, 0
.LBB23_4177:
	s_delay_alu instid0(SALU_CYCLE_1)
	s_and_b32 vcc_lo, exec_lo, s24
	s_cbranch_vccz .LBB23_4193
; %bb.4178:
	s_cmp_lt_i32 s58, 27
	s_cbranch_scc1 .LBB23_4181
; %bb.4179:
	s_cmp_gt_i32 s58, 27
	s_cbranch_scc0 .LBB23_4182
; %bb.4180:
	s_wait_loadcnt 0x0
	global_load_b32 v30, v[34:35], off
	s_mov_b32 s9, 0
	s_branch .LBB23_4183
.LBB23_4181:
	s_mov_b32 s9, -1
                                        ; implicit-def: $vgpr30
	s_branch .LBB23_4186
.LBB23_4182:
	s_mov_b32 s9, -1
                                        ; implicit-def: $vgpr30
.LBB23_4183:
	s_delay_alu instid0(SALU_CYCLE_1)
	s_and_not1_b32 vcc_lo, exec_lo, s9
	s_cbranch_vccnz .LBB23_4185
; %bb.4184:
	s_wait_loadcnt 0x0
	global_load_u16 v30, v[34:35], off
.LBB23_4185:
	s_mov_b32 s9, 0
.LBB23_4186:
	s_delay_alu instid0(SALU_CYCLE_1)
	s_and_not1_b32 vcc_lo, exec_lo, s9
	s_cbranch_vccnz .LBB23_4192
; %bb.4187:
	global_load_u8 v11, v[34:35], off
	s_mov_b32 s24, 0
	s_mov_b32 s9, exec_lo
	s_wait_loadcnt 0x0
	v_cmpx_lt_i16_e32 0x7f, v11
	s_xor_b32 s9, exec_lo, s9
	s_cbranch_execz .LBB23_4204
; %bb.4188:
	v_cmp_ne_u16_e32 vcc_lo, 0x80, v11
	s_and_b32 s24, vcc_lo, exec_lo
	s_and_not1_saveexec_b32 s9, s9
	s_cbranch_execnz .LBB23_4205
.LBB23_4189:
	s_or_b32 exec_lo, exec_lo, s9
	v_mov_b32_e32 v30, 0
	s_and_saveexec_b32 s9, s24
	s_cbranch_execz .LBB23_4191
.LBB23_4190:
	v_and_b32_e32 v13, 0xffff, v11
	s_delay_alu instid0(VALU_DEP_1) | instskip(SKIP_1) | instid1(VALU_DEP_2)
	v_dual_lshlrev_b32 v11, 24, v11 :: v_dual_bitop2_b32 v15, 7, v13 bitop3:0x40
	v_bfe_u32 v21, v13, 3, 4
	v_and_b32_e32 v11, 0x80000000, v11
	s_delay_alu instid0(VALU_DEP_3) | instskip(NEXT) | instid1(VALU_DEP_3)
	v_clz_i32_u32_e32 v17, v15
	v_cmp_eq_u32_e32 vcc_lo, 0, v21
	s_delay_alu instid0(VALU_DEP_2) | instskip(NEXT) | instid1(VALU_DEP_1)
	v_min_u32_e32 v17, 32, v17
	v_subrev_nc_u32_e32 v19, 28, v17
	v_sub_nc_u32_e32 v17, 29, v17
	s_delay_alu instid0(VALU_DEP_2) | instskip(NEXT) | instid1(VALU_DEP_2)
	v_lshlrev_b32_e32 v13, v19, v13
	v_cndmask_b32_e32 v17, v21, v17, vcc_lo
	s_delay_alu instid0(VALU_DEP_2) | instskip(NEXT) | instid1(VALU_DEP_1)
	v_and_b32_e32 v13, 7, v13
	v_cndmask_b32_e32 v13, v15, v13, vcc_lo
	s_delay_alu instid0(VALU_DEP_3) | instskip(NEXT) | instid1(VALU_DEP_2)
	v_lshl_add_u32 v15, v17, 23, 0x3b800000
	v_lshlrev_b32_e32 v13, 20, v13
	s_delay_alu instid0(VALU_DEP_1) | instskip(NEXT) | instid1(VALU_DEP_1)
	v_or3_b32 v11, v11, v15, v13
	v_cvt_i32_f32_e32 v30, v11
.LBB23_4191:
	s_or_b32 exec_lo, exec_lo, s9
.LBB23_4192:
	s_mov_b32 s9, -1
.LBB23_4193:
	s_mov_b32 s24, 0
.LBB23_4194:
	s_delay_alu instid0(SALU_CYCLE_1)
	s_and_b32 vcc_lo, exec_lo, s24
	s_cbranch_vccz .LBB23_4225
; %bb.4195:
	s_cmp_gt_i32 s58, 22
	s_cbranch_scc0 .LBB23_4203
; %bb.4196:
	s_cmp_lt_i32 s58, 24
	s_cbranch_scc1 .LBB23_4206
; %bb.4197:
	s_cmp_gt_i32 s58, 24
	s_cbranch_scc0 .LBB23_4207
; %bb.4198:
	global_load_u8 v11, v[34:35], off
	s_mov_b32 s9, 0
	s_mov_b32 s1, exec_lo
	s_wait_loadcnt 0x0
	v_cmpx_lt_i16_e32 0x7f, v11
	s_xor_b32 s1, exec_lo, s1
	s_cbranch_execz .LBB23_4219
; %bb.4199:
	v_cmp_ne_u16_e32 vcc_lo, 0x80, v11
	s_and_b32 s9, vcc_lo, exec_lo
	s_and_not1_saveexec_b32 s1, s1
	s_cbranch_execnz .LBB23_4220
.LBB23_4200:
	s_or_b32 exec_lo, exec_lo, s1
	v_mov_b32_e32 v30, 0
	s_and_saveexec_b32 s1, s9
	s_cbranch_execz .LBB23_4202
.LBB23_4201:
	v_and_b32_e32 v13, 0xffff, v11
	s_delay_alu instid0(VALU_DEP_1) | instskip(SKIP_1) | instid1(VALU_DEP_2)
	v_dual_lshlrev_b32 v11, 24, v11 :: v_dual_bitop2_b32 v15, 3, v13 bitop3:0x40
	v_bfe_u32 v21, v13, 2, 5
	v_and_b32_e32 v11, 0x80000000, v11
	s_delay_alu instid0(VALU_DEP_3) | instskip(NEXT) | instid1(VALU_DEP_3)
	v_clz_i32_u32_e32 v17, v15
	v_cmp_eq_u32_e32 vcc_lo, 0, v21
	s_delay_alu instid0(VALU_DEP_2) | instskip(NEXT) | instid1(VALU_DEP_1)
	v_min_u32_e32 v17, 32, v17
	v_subrev_nc_u32_e32 v19, 29, v17
	v_sub_nc_u32_e32 v17, 30, v17
	s_delay_alu instid0(VALU_DEP_2) | instskip(NEXT) | instid1(VALU_DEP_2)
	v_lshlrev_b32_e32 v13, v19, v13
	v_cndmask_b32_e32 v17, v21, v17, vcc_lo
	s_delay_alu instid0(VALU_DEP_2) | instskip(NEXT) | instid1(VALU_DEP_1)
	v_and_b32_e32 v13, 3, v13
	v_cndmask_b32_e32 v13, v15, v13, vcc_lo
	s_delay_alu instid0(VALU_DEP_3) | instskip(NEXT) | instid1(VALU_DEP_2)
	v_lshl_add_u32 v15, v17, 23, 0x37800000
	v_lshlrev_b32_e32 v13, 21, v13
	s_delay_alu instid0(VALU_DEP_1) | instskip(NEXT) | instid1(VALU_DEP_1)
	v_or3_b32 v11, v11, v15, v13
	v_cvt_i32_f32_e32 v30, v11
.LBB23_4202:
	s_or_b32 exec_lo, exec_lo, s1
	s_mov_b32 s1, 0
	s_branch .LBB23_4208
.LBB23_4203:
	s_mov_b32 s1, -1
                                        ; implicit-def: $vgpr30
	s_branch .LBB23_4214
.LBB23_4204:
	s_and_not1_saveexec_b32 s9, s9
	s_cbranch_execz .LBB23_4189
.LBB23_4205:
	v_cmp_ne_u16_e32 vcc_lo, 0, v11
	s_and_not1_b32 s24, s24, exec_lo
	s_and_b32 s25, vcc_lo, exec_lo
	s_delay_alu instid0(SALU_CYCLE_1)
	s_or_b32 s24, s24, s25
	s_or_b32 exec_lo, exec_lo, s9
	v_mov_b32_e32 v30, 0
	s_and_saveexec_b32 s9, s24
	s_cbranch_execnz .LBB23_4190
	s_branch .LBB23_4191
.LBB23_4206:
	s_mov_b32 s1, -1
                                        ; implicit-def: $vgpr30
	s_branch .LBB23_4211
.LBB23_4207:
	s_mov_b32 s1, -1
                                        ; implicit-def: $vgpr30
.LBB23_4208:
	s_delay_alu instid0(SALU_CYCLE_1)
	s_and_b32 vcc_lo, exec_lo, s1
	s_cbranch_vccz .LBB23_4210
; %bb.4209:
	global_load_u8 v11, v[34:35], off
	s_wait_loadcnt 0x0
	v_lshlrev_b32_e32 v11, 24, v11
	s_delay_alu instid0(VALU_DEP_1) | instskip(NEXT) | instid1(VALU_DEP_1)
	v_and_b32_e32 v13, 0x7f000000, v11
	v_clz_i32_u32_e32 v15, v13
	v_add_nc_u32_e32 v19, 0x1000000, v13
	v_cmp_ne_u32_e32 vcc_lo, 0, v13
	s_delay_alu instid0(VALU_DEP_3) | instskip(NEXT) | instid1(VALU_DEP_1)
	v_min_u32_e32 v15, 32, v15
	v_sub_nc_u32_e64 v15, v15, 4 clamp
	s_delay_alu instid0(VALU_DEP_1) | instskip(NEXT) | instid1(VALU_DEP_1)
	v_dual_lshlrev_b32 v17, v15, v13 :: v_dual_lshlrev_b32 v15, 23, v15
	v_lshrrev_b32_e32 v17, 4, v17
	s_delay_alu instid0(VALU_DEP_1) | instskip(SKIP_1) | instid1(VALU_DEP_2)
	v_sub_nc_u32_e32 v15, v17, v15
	v_ashrrev_i32_e32 v17, 8, v19
	v_add_nc_u32_e32 v15, 0x3c000000, v15
	s_delay_alu instid0(VALU_DEP_1) | instskip(NEXT) | instid1(VALU_DEP_1)
	v_and_or_b32 v15, 0x7f800000, v17, v15
	v_cndmask_b32_e32 v13, 0, v15, vcc_lo
	s_delay_alu instid0(VALU_DEP_1) | instskip(NEXT) | instid1(VALU_DEP_1)
	v_and_or_b32 v11, 0x80000000, v11, v13
	v_cvt_i32_f32_e32 v30, v11
.LBB23_4210:
	s_mov_b32 s1, 0
.LBB23_4211:
	s_delay_alu instid0(SALU_CYCLE_1)
	s_and_not1_b32 vcc_lo, exec_lo, s1
	s_cbranch_vccnz .LBB23_4213
; %bb.4212:
	global_load_u8 v11, v[34:35], off
	s_wait_loadcnt 0x0
	v_lshlrev_b32_e32 v13, 25, v11
	v_lshlrev_b16 v11, 8, v11
	s_delay_alu instid0(VALU_DEP_1) | instskip(SKIP_1) | instid1(VALU_DEP_2)
	v_and_or_b32 v17, 0x7f00, v11, 0.5
	v_bfe_i32 v11, v11, 0, 16
	v_add_f32_e32 v17, -0.5, v17
	v_lshrrev_b32_e32 v15, 4, v13
	v_cmp_gt_u32_e32 vcc_lo, 0x8000000, v13
	s_delay_alu instid0(VALU_DEP_2) | instskip(NEXT) | instid1(VALU_DEP_1)
	v_or_b32_e32 v15, 0x70000000, v15
	v_mul_f32_e32 v15, 0x7800000, v15
	s_delay_alu instid0(VALU_DEP_1) | instskip(NEXT) | instid1(VALU_DEP_1)
	v_cndmask_b32_e32 v13, v15, v17, vcc_lo
	v_and_or_b32 v11, 0x80000000, v11, v13
	s_delay_alu instid0(VALU_DEP_1)
	v_cvt_i32_f32_e32 v30, v11
.LBB23_4213:
	s_mov_b32 s1, 0
	s_mov_b32 s9, -1
.LBB23_4214:
	s_and_not1_b32 vcc_lo, exec_lo, s1
	s_mov_b32 s1, 0
	s_cbranch_vccnz .LBB23_4225
; %bb.4215:
	s_cmp_gt_i32 s58, 14
	s_cbranch_scc0 .LBB23_4218
; %bb.4216:
	s_cmp_eq_u32 s58, 15
	s_cbranch_scc0 .LBB23_4221
; %bb.4217:
	global_load_u16 v11, v[34:35], off
	s_mov_b32 s0, 0
	s_mov_b32 s9, -1
	s_wait_loadcnt 0x0
	v_lshlrev_b32_e32 v11, 16, v11
	s_delay_alu instid0(VALU_DEP_1)
	v_cvt_i32_f32_e32 v30, v11
	s_branch .LBB23_4223
.LBB23_4218:
	s_mov_b32 s1, -1
	s_branch .LBB23_4222
.LBB23_4219:
	s_and_not1_saveexec_b32 s1, s1
	s_cbranch_execz .LBB23_4200
.LBB23_4220:
	v_cmp_ne_u16_e32 vcc_lo, 0, v11
	s_and_not1_b32 s9, s9, exec_lo
	s_and_b32 s24, vcc_lo, exec_lo
	s_delay_alu instid0(SALU_CYCLE_1)
	s_or_b32 s9, s9, s24
	s_or_b32 exec_lo, exec_lo, s1
	v_mov_b32_e32 v30, 0
	s_and_saveexec_b32 s1, s9
	s_cbranch_execnz .LBB23_4201
	s_branch .LBB23_4202
.LBB23_4221:
	s_mov_b32 s0, -1
.LBB23_4222:
                                        ; implicit-def: $vgpr30
.LBB23_4223:
	s_and_b32 vcc_lo, exec_lo, s1
	s_mov_b32 s1, 0
	s_cbranch_vccz .LBB23_4225
; %bb.4224:
	s_cmp_lg_u32 s58, 11
	s_mov_b32 s1, -1
	s_cselect_b32 s0, -1, 0
.LBB23_4225:
	s_delay_alu instid0(SALU_CYCLE_1)
	s_and_b32 vcc_lo, exec_lo, s0
	s_cbranch_vccnz .LBB23_4290
; %bb.4226:
	s_and_not1_b32 vcc_lo, exec_lo, s1
	s_cbranch_vccnz .LBB23_4228
.LBB23_4227:
	global_load_u8 v11, v[34:35], off
	s_mov_b32 s9, -1
	s_wait_loadcnt 0x0
	v_cmp_ne_u16_e32 vcc_lo, 0, v11
	v_cndmask_b32_e64 v30, 0, 1, vcc_lo
.LBB23_4228:
	s_mov_b32 s0, 0
.LBB23_4229:
	s_delay_alu instid0(SALU_CYCLE_1)
	s_and_b32 vcc_lo, exec_lo, s0
	s_cbranch_vccz .LBB23_4278
; %bb.4230:
	s_cmp_lt_i32 s58, 5
	s_cbranch_scc1 .LBB23_4235
; %bb.4231:
	s_cmp_lt_i32 s58, 8
	s_cbranch_scc1 .LBB23_4236
	;; [unrolled: 3-line block ×3, first 2 shown]
; %bb.4233:
	s_cmp_gt_i32 s58, 9
	s_cbranch_scc0 .LBB23_4238
; %bb.4234:
	s_wait_loadcnt 0x0
	global_load_b64 v[30:31], v[34:35], off
	s_mov_b32 s0, 0
	s_wait_loadcnt 0x0
	v_cvt_i32_f64_e32 v30, v[30:31]
	s_branch .LBB23_4239
.LBB23_4235:
	s_mov_b32 s0, -1
                                        ; implicit-def: $vgpr30
	s_branch .LBB23_4257
.LBB23_4236:
	s_mov_b32 s0, -1
                                        ; implicit-def: $vgpr30
	s_branch .LBB23_4245
.LBB23_4237:
	s_mov_b32 s0, -1
                                        ; implicit-def: $vgpr30
	s_branch .LBB23_4242
.LBB23_4238:
	s_mov_b32 s0, -1
                                        ; implicit-def: $vgpr30
.LBB23_4239:
	s_delay_alu instid0(SALU_CYCLE_1)
	s_and_not1_b32 vcc_lo, exec_lo, s0
	s_cbranch_vccnz .LBB23_4241
; %bb.4240:
	global_load_b32 v11, v[34:35], off
	s_wait_loadcnt 0x0
	v_cvt_i32_f32_e32 v30, v11
.LBB23_4241:
	s_mov_b32 s0, 0
.LBB23_4242:
	s_delay_alu instid0(SALU_CYCLE_1)
	s_and_not1_b32 vcc_lo, exec_lo, s0
	s_cbranch_vccnz .LBB23_4244
; %bb.4243:
	global_load_b32 v11, v[34:35], off
	s_wait_loadcnt 0x0
	v_cvt_f32_f16_e32 v11, v11
	s_delay_alu instid0(VALU_DEP_1)
	v_cvt_i32_f32_e32 v30, v11
.LBB23_4244:
	s_mov_b32 s0, 0
.LBB23_4245:
	s_delay_alu instid0(SALU_CYCLE_1)
	s_and_not1_b32 vcc_lo, exec_lo, s0
	s_cbranch_vccnz .LBB23_4256
; %bb.4246:
	s_cmp_lt_i32 s58, 6
	s_cbranch_scc1 .LBB23_4249
; %bb.4247:
	s_cmp_gt_i32 s58, 6
	s_cbranch_scc0 .LBB23_4250
; %bb.4248:
	s_wait_loadcnt 0x0
	global_load_b64 v[30:31], v[34:35], off
	s_mov_b32 s0, 0
	s_wait_loadcnt 0x0
	v_cvt_i32_f64_e32 v30, v[30:31]
	s_branch .LBB23_4251
.LBB23_4249:
	s_mov_b32 s0, -1
                                        ; implicit-def: $vgpr30
	s_branch .LBB23_4254
.LBB23_4250:
	s_mov_b32 s0, -1
                                        ; implicit-def: $vgpr30
.LBB23_4251:
	s_delay_alu instid0(SALU_CYCLE_1)
	s_and_not1_b32 vcc_lo, exec_lo, s0
	s_cbranch_vccnz .LBB23_4253
; %bb.4252:
	global_load_b32 v11, v[34:35], off
	s_wait_loadcnt 0x0
	v_cvt_i32_f32_e32 v30, v11
.LBB23_4253:
	s_mov_b32 s0, 0
.LBB23_4254:
	s_delay_alu instid0(SALU_CYCLE_1)
	s_and_not1_b32 vcc_lo, exec_lo, s0
	s_cbranch_vccnz .LBB23_4256
; %bb.4255:
	global_load_u16 v11, v[34:35], off
	s_wait_loadcnt 0x0
	v_cvt_f32_f16_e32 v11, v11
	s_delay_alu instid0(VALU_DEP_1)
	v_cvt_i32_f32_e32 v30, v11
.LBB23_4256:
	s_mov_b32 s0, 0
.LBB23_4257:
	s_delay_alu instid0(SALU_CYCLE_1)
	s_and_not1_b32 vcc_lo, exec_lo, s0
	s_cbranch_vccnz .LBB23_4277
; %bb.4258:
	s_cmp_lt_i32 s58, 2
	s_cbranch_scc1 .LBB23_4262
; %bb.4259:
	s_cmp_lt_i32 s58, 3
	s_cbranch_scc1 .LBB23_4263
; %bb.4260:
	s_cmp_gt_i32 s58, 3
	s_cbranch_scc0 .LBB23_4264
; %bb.4261:
	s_wait_loadcnt 0x0
	global_load_b32 v30, v[34:35], off
	s_mov_b32 s0, 0
	s_branch .LBB23_4265
.LBB23_4262:
	s_mov_b32 s0, -1
                                        ; implicit-def: $vgpr30
	s_branch .LBB23_4271
.LBB23_4263:
	s_mov_b32 s0, -1
                                        ; implicit-def: $vgpr30
	s_branch .LBB23_4268
.LBB23_4264:
	s_mov_b32 s0, -1
                                        ; implicit-def: $vgpr30
.LBB23_4265:
	s_delay_alu instid0(SALU_CYCLE_1)
	s_and_not1_b32 vcc_lo, exec_lo, s0
	s_cbranch_vccnz .LBB23_4267
; %bb.4266:
	s_wait_loadcnt 0x0
	global_load_b32 v30, v[34:35], off
.LBB23_4267:
	s_mov_b32 s0, 0
.LBB23_4268:
	s_delay_alu instid0(SALU_CYCLE_1)
	s_and_not1_b32 vcc_lo, exec_lo, s0
	s_cbranch_vccnz .LBB23_4270
; %bb.4269:
	s_wait_loadcnt 0x0
	global_load_i16 v30, v[34:35], off
.LBB23_4270:
	s_mov_b32 s0, 0
.LBB23_4271:
	s_delay_alu instid0(SALU_CYCLE_1)
	s_and_not1_b32 vcc_lo, exec_lo, s0
	s_cbranch_vccnz .LBB23_4277
; %bb.4272:
	s_cmp_gt_i32 s58, 0
	s_mov_b32 s0, 0
	s_cbranch_scc0 .LBB23_4274
; %bb.4273:
	s_wait_loadcnt 0x0
	global_load_i8 v30, v[34:35], off
	s_branch .LBB23_4275
.LBB23_4274:
	s_mov_b32 s0, -1
                                        ; implicit-def: $vgpr30
.LBB23_4275:
	s_delay_alu instid0(SALU_CYCLE_1)
	s_and_not1_b32 vcc_lo, exec_lo, s0
	s_cbranch_vccnz .LBB23_4277
; %bb.4276:
	s_wait_loadcnt 0x0
	global_load_u8 v30, v[34:35], off
.LBB23_4277:
	s_mov_b32 s9, -1
.LBB23_4278:
	s_delay_alu instid0(SALU_CYCLE_1)
	s_and_not1_b32 vcc_lo, exec_lo, s9
	s_cbranch_vccnz .LBB23_4415
; %bb.4279:
	v_mov_b32_e32 v29, 0
	s_and_b32 s59, 0xffff, s49
	s_delay_alu instid0(SALU_CYCLE_1) | instskip(NEXT) | instid1(VALU_DEP_1)
	s_cmp_lt_i32 s59, 11
	v_add_nc_u64_e32 v[28:29], s[18:19], v[28:29]
	s_cbranch_scc1 .LBB23_4286
; %bb.4280:
	s_cmp_gt_i32 s59, 25
	s_mov_b32 s1, 0
	s_cbranch_scc0 .LBB23_4287
; %bb.4281:
	s_cmp_gt_i32 s59, 28
	s_cbranch_scc0 .LBB23_4288
; %bb.4282:
	s_cmp_gt_i32 s59, 43
	;; [unrolled: 3-line block ×3, first 2 shown]
	s_cbranch_scc0 .LBB23_4291
; %bb.4284:
	s_cmp_eq_u32 s59, 46
	s_mov_b32 s24, 0
	s_cbranch_scc0 .LBB23_4293
; %bb.4285:
	global_load_b32 v11, v[28:29], off
	s_mov_b32 s0, 0
	s_mov_b32 s9, -1
	s_wait_loadcnt 0x0
	v_lshlrev_b32_e32 v11, 16, v11
	s_wait_xcnt 0x1
	s_delay_alu instid0(VALU_DEP_1)
	v_cvt_i32_f32_e32 v34, v11
	s_branch .LBB23_4295
.LBB23_4286:
	s_mov_b32 s0, -1
	s_mov_b32 s9, 0
                                        ; implicit-def: $vgpr34
	s_branch .LBB23_4357
.LBB23_4287:
	s_mov_b32 s24, -1
	s_mov_b32 s9, 0
	s_mov_b32 s0, 0
                                        ; implicit-def: $vgpr34
	s_branch .LBB23_4322
.LBB23_4288:
	s_mov_b32 s24, -1
	s_mov_b32 s9, 0
	s_mov_b32 s0, 0
                                        ; implicit-def: $vgpr34
	s_branch .LBB23_4305
.LBB23_4289:
	s_mov_b32 s24, -1
	s_mov_b32 s9, 0
	s_mov_b32 s0, 0
                                        ; implicit-def: $vgpr34
	s_branch .LBB23_4300
.LBB23_4290:
	s_or_b32 s44, s44, exec_lo
	s_trap 2
	s_cbranch_execz .LBB23_4227
	s_branch .LBB23_4228
.LBB23_4291:
	s_mov_b32 s24, -1
	s_mov_b32 s9, 0
	s_mov_b32 s0, 0
	s_branch .LBB23_4294
.LBB23_4292:
	s_or_b32 exec_lo, exec_lo, s19
	s_branch .LBB23_2086
.LBB23_4293:
	s_mov_b32 s0, -1
	s_mov_b32 s9, 0
.LBB23_4294:
                                        ; implicit-def: $vgpr34
.LBB23_4295:
	s_and_b32 vcc_lo, exec_lo, s24
	s_cbranch_vccz .LBB23_4299
; %bb.4296:
	s_cmp_eq_u32 s59, 44
	s_cbranch_scc0 .LBB23_4298
; %bb.4297:
	global_load_u8 v11, v[28:29], off
	s_mov_b32 s0, 0
	s_mov_b32 s9, -1
	s_wait_loadcnt 0x0
	v_lshlrev_b32_e32 v13, 23, v11
	v_cmp_ne_u32_e32 vcc_lo, 0, v11
	s_delay_alu instid0(VALU_DEP_2) | instskip(SKIP_1) | instid1(VALU_DEP_1)
	v_cvt_i32_f32_e32 v13, v13
	s_wait_xcnt 0x1
	v_cndmask_b32_e32 v34, 0, v13, vcc_lo
	s_branch .LBB23_4299
.LBB23_4298:
	s_mov_b32 s0, -1
                                        ; implicit-def: $vgpr34
.LBB23_4299:
	s_mov_b32 s24, 0
.LBB23_4300:
	s_delay_alu instid0(SALU_CYCLE_1)
	s_and_b32 vcc_lo, exec_lo, s24
	s_cbranch_vccz .LBB23_4304
; %bb.4301:
	s_cmp_eq_u32 s59, 29
	s_cbranch_scc0 .LBB23_4303
; %bb.4302:
	global_load_b32 v34, v[28:29], off
	s_mov_b32 s0, 0
	s_mov_b32 s9, -1
	s_branch .LBB23_4304
.LBB23_4303:
	s_mov_b32 s0, -1
                                        ; implicit-def: $vgpr34
.LBB23_4304:
	s_mov_b32 s24, 0
.LBB23_4305:
	s_delay_alu instid0(SALU_CYCLE_1)
	s_and_b32 vcc_lo, exec_lo, s24
	s_cbranch_vccz .LBB23_4321
; %bb.4306:
	s_cmp_lt_i32 s59, 27
	s_cbranch_scc1 .LBB23_4309
; %bb.4307:
	s_cmp_gt_i32 s59, 27
	s_cbranch_scc0 .LBB23_4310
; %bb.4308:
	s_wait_loadcnt 0x0
	global_load_b32 v34, v[28:29], off
	s_mov_b32 s9, 0
	s_branch .LBB23_4311
.LBB23_4309:
	s_mov_b32 s9, -1
                                        ; implicit-def: $vgpr34
	s_branch .LBB23_4314
.LBB23_4310:
	s_mov_b32 s9, -1
                                        ; implicit-def: $vgpr34
.LBB23_4311:
	s_delay_alu instid0(SALU_CYCLE_1)
	s_and_not1_b32 vcc_lo, exec_lo, s9
	s_cbranch_vccnz .LBB23_4313
; %bb.4312:
	s_wait_loadcnt 0x0
	global_load_u16 v34, v[28:29], off
.LBB23_4313:
	s_mov_b32 s9, 0
.LBB23_4314:
	s_delay_alu instid0(SALU_CYCLE_1)
	s_and_not1_b32 vcc_lo, exec_lo, s9
	s_cbranch_vccnz .LBB23_4320
; %bb.4315:
	global_load_u8 v11, v[28:29], off
	s_mov_b32 s24, 0
	s_mov_b32 s9, exec_lo
	s_wait_loadcnt 0x0
	v_cmpx_lt_i16_e32 0x7f, v11
	s_xor_b32 s9, exec_lo, s9
	s_cbranch_execz .LBB23_4332
; %bb.4316:
	v_cmp_ne_u16_e32 vcc_lo, 0x80, v11
	s_and_b32 s24, vcc_lo, exec_lo
	s_and_not1_saveexec_b32 s9, s9
	s_cbranch_execnz .LBB23_4333
.LBB23_4317:
	s_or_b32 exec_lo, exec_lo, s9
	v_mov_b32_e32 v34, 0
	s_and_saveexec_b32 s9, s24
	s_cbranch_execz .LBB23_4319
.LBB23_4318:
	v_and_b32_e32 v13, 0xffff, v11
	s_delay_alu instid0(VALU_DEP_1) | instskip(SKIP_1) | instid1(VALU_DEP_2)
	v_dual_lshlrev_b32 v11, 24, v11 :: v_dual_bitop2_b32 v15, 7, v13 bitop3:0x40
	v_bfe_u32 v21, v13, 3, 4
	v_and_b32_e32 v11, 0x80000000, v11
	s_delay_alu instid0(VALU_DEP_3) | instskip(NEXT) | instid1(VALU_DEP_3)
	v_clz_i32_u32_e32 v17, v15
	v_cmp_eq_u32_e32 vcc_lo, 0, v21
	s_delay_alu instid0(VALU_DEP_2) | instskip(NEXT) | instid1(VALU_DEP_1)
	v_min_u32_e32 v17, 32, v17
	v_subrev_nc_u32_e32 v19, 28, v17
	v_sub_nc_u32_e32 v17, 29, v17
	s_delay_alu instid0(VALU_DEP_2) | instskip(NEXT) | instid1(VALU_DEP_2)
	v_lshlrev_b32_e32 v13, v19, v13
	v_cndmask_b32_e32 v17, v21, v17, vcc_lo
	s_delay_alu instid0(VALU_DEP_2) | instskip(NEXT) | instid1(VALU_DEP_1)
	v_and_b32_e32 v13, 7, v13
	v_cndmask_b32_e32 v13, v15, v13, vcc_lo
	s_delay_alu instid0(VALU_DEP_3) | instskip(NEXT) | instid1(VALU_DEP_2)
	v_lshl_add_u32 v15, v17, 23, 0x3b800000
	v_lshlrev_b32_e32 v13, 20, v13
	s_delay_alu instid0(VALU_DEP_1) | instskip(NEXT) | instid1(VALU_DEP_1)
	v_or3_b32 v11, v11, v15, v13
	v_cvt_i32_f32_e32 v34, v11
.LBB23_4319:
	s_or_b32 exec_lo, exec_lo, s9
.LBB23_4320:
	s_mov_b32 s9, -1
.LBB23_4321:
	s_mov_b32 s24, 0
.LBB23_4322:
	s_delay_alu instid0(SALU_CYCLE_1)
	s_and_b32 vcc_lo, exec_lo, s24
	s_cbranch_vccz .LBB23_4353
; %bb.4323:
	s_cmp_gt_i32 s59, 22
	s_cbranch_scc0 .LBB23_4331
; %bb.4324:
	s_cmp_lt_i32 s59, 24
	s_cbranch_scc1 .LBB23_4334
; %bb.4325:
	s_cmp_gt_i32 s59, 24
	s_cbranch_scc0 .LBB23_4335
; %bb.4326:
	global_load_u8 v11, v[28:29], off
	s_mov_b32 s9, 0
	s_mov_b32 s1, exec_lo
	s_wait_loadcnt 0x0
	v_cmpx_lt_i16_e32 0x7f, v11
	s_xor_b32 s1, exec_lo, s1
	s_cbranch_execz .LBB23_4347
; %bb.4327:
	v_cmp_ne_u16_e32 vcc_lo, 0x80, v11
	s_and_b32 s9, vcc_lo, exec_lo
	s_and_not1_saveexec_b32 s1, s1
	s_cbranch_execnz .LBB23_4348
.LBB23_4328:
	s_or_b32 exec_lo, exec_lo, s1
	v_mov_b32_e32 v34, 0
	s_and_saveexec_b32 s1, s9
	s_cbranch_execz .LBB23_4330
.LBB23_4329:
	v_and_b32_e32 v13, 0xffff, v11
	s_delay_alu instid0(VALU_DEP_1) | instskip(SKIP_1) | instid1(VALU_DEP_2)
	v_dual_lshlrev_b32 v11, 24, v11 :: v_dual_bitop2_b32 v15, 3, v13 bitop3:0x40
	v_bfe_u32 v21, v13, 2, 5
	v_and_b32_e32 v11, 0x80000000, v11
	s_delay_alu instid0(VALU_DEP_3) | instskip(NEXT) | instid1(VALU_DEP_3)
	v_clz_i32_u32_e32 v17, v15
	v_cmp_eq_u32_e32 vcc_lo, 0, v21
	s_delay_alu instid0(VALU_DEP_2) | instskip(NEXT) | instid1(VALU_DEP_1)
	v_min_u32_e32 v17, 32, v17
	v_subrev_nc_u32_e32 v19, 29, v17
	v_sub_nc_u32_e32 v17, 30, v17
	s_delay_alu instid0(VALU_DEP_2) | instskip(NEXT) | instid1(VALU_DEP_2)
	v_lshlrev_b32_e32 v13, v19, v13
	v_cndmask_b32_e32 v17, v21, v17, vcc_lo
	s_delay_alu instid0(VALU_DEP_2) | instskip(NEXT) | instid1(VALU_DEP_1)
	v_and_b32_e32 v13, 3, v13
	v_cndmask_b32_e32 v13, v15, v13, vcc_lo
	s_delay_alu instid0(VALU_DEP_3) | instskip(NEXT) | instid1(VALU_DEP_2)
	v_lshl_add_u32 v15, v17, 23, 0x37800000
	v_lshlrev_b32_e32 v13, 21, v13
	s_delay_alu instid0(VALU_DEP_1) | instskip(NEXT) | instid1(VALU_DEP_1)
	v_or3_b32 v11, v11, v15, v13
	v_cvt_i32_f32_e32 v34, v11
.LBB23_4330:
	s_or_b32 exec_lo, exec_lo, s1
	s_mov_b32 s1, 0
	s_branch .LBB23_4336
.LBB23_4331:
	s_mov_b32 s1, -1
                                        ; implicit-def: $vgpr34
	s_branch .LBB23_4342
.LBB23_4332:
	s_and_not1_saveexec_b32 s9, s9
	s_cbranch_execz .LBB23_4317
.LBB23_4333:
	v_cmp_ne_u16_e32 vcc_lo, 0, v11
	s_and_not1_b32 s24, s24, exec_lo
	s_and_b32 s25, vcc_lo, exec_lo
	s_delay_alu instid0(SALU_CYCLE_1)
	s_or_b32 s24, s24, s25
	s_or_b32 exec_lo, exec_lo, s9
	v_mov_b32_e32 v34, 0
	s_and_saveexec_b32 s9, s24
	s_cbranch_execnz .LBB23_4318
	s_branch .LBB23_4319
.LBB23_4334:
	s_mov_b32 s1, -1
                                        ; implicit-def: $vgpr34
	s_branch .LBB23_4339
.LBB23_4335:
	s_mov_b32 s1, -1
                                        ; implicit-def: $vgpr34
.LBB23_4336:
	s_delay_alu instid0(SALU_CYCLE_1)
	s_and_b32 vcc_lo, exec_lo, s1
	s_cbranch_vccz .LBB23_4338
; %bb.4337:
	global_load_u8 v11, v[28:29], off
	s_wait_loadcnt 0x0
	v_lshlrev_b32_e32 v11, 24, v11
	s_delay_alu instid0(VALU_DEP_1) | instskip(NEXT) | instid1(VALU_DEP_1)
	v_and_b32_e32 v13, 0x7f000000, v11
	v_clz_i32_u32_e32 v15, v13
	v_add_nc_u32_e32 v19, 0x1000000, v13
	v_cmp_ne_u32_e32 vcc_lo, 0, v13
	s_delay_alu instid0(VALU_DEP_3) | instskip(NEXT) | instid1(VALU_DEP_1)
	v_min_u32_e32 v15, 32, v15
	v_sub_nc_u32_e64 v15, v15, 4 clamp
	s_delay_alu instid0(VALU_DEP_1) | instskip(NEXT) | instid1(VALU_DEP_1)
	v_dual_lshlrev_b32 v17, v15, v13 :: v_dual_lshlrev_b32 v15, 23, v15
	v_lshrrev_b32_e32 v17, 4, v17
	s_delay_alu instid0(VALU_DEP_1) | instskip(SKIP_1) | instid1(VALU_DEP_2)
	v_sub_nc_u32_e32 v15, v17, v15
	v_ashrrev_i32_e32 v17, 8, v19
	v_add_nc_u32_e32 v15, 0x3c000000, v15
	s_delay_alu instid0(VALU_DEP_1) | instskip(NEXT) | instid1(VALU_DEP_1)
	v_and_or_b32 v15, 0x7f800000, v17, v15
	v_cndmask_b32_e32 v13, 0, v15, vcc_lo
	s_delay_alu instid0(VALU_DEP_1) | instskip(SKIP_1) | instid1(VALU_DEP_1)
	v_and_or_b32 v11, 0x80000000, v11, v13
	s_wait_xcnt 0x1
	v_cvt_i32_f32_e32 v34, v11
.LBB23_4338:
	s_mov_b32 s1, 0
.LBB23_4339:
	s_delay_alu instid0(SALU_CYCLE_1)
	s_and_not1_b32 vcc_lo, exec_lo, s1
	s_cbranch_vccnz .LBB23_4341
; %bb.4340:
	global_load_u8 v11, v[28:29], off
	s_wait_loadcnt 0x0
	v_lshlrev_b32_e32 v13, 25, v11
	v_lshlrev_b16 v11, 8, v11
	s_delay_alu instid0(VALU_DEP_1) | instskip(SKIP_1) | instid1(VALU_DEP_2)
	v_and_or_b32 v17, 0x7f00, v11, 0.5
	v_bfe_i32 v11, v11, 0, 16
	v_add_f32_e32 v17, -0.5, v17
	v_lshrrev_b32_e32 v15, 4, v13
	v_cmp_gt_u32_e32 vcc_lo, 0x8000000, v13
	s_delay_alu instid0(VALU_DEP_2) | instskip(NEXT) | instid1(VALU_DEP_1)
	v_or_b32_e32 v15, 0x70000000, v15
	v_mul_f32_e32 v15, 0x7800000, v15
	s_delay_alu instid0(VALU_DEP_1) | instskip(NEXT) | instid1(VALU_DEP_1)
	v_cndmask_b32_e32 v13, v15, v17, vcc_lo
	v_and_or_b32 v11, 0x80000000, v11, v13
	s_wait_xcnt 0x1
	s_delay_alu instid0(VALU_DEP_1)
	v_cvt_i32_f32_e32 v34, v11
.LBB23_4341:
	s_mov_b32 s1, 0
	s_mov_b32 s9, -1
.LBB23_4342:
	s_and_not1_b32 vcc_lo, exec_lo, s1
	s_mov_b32 s1, 0
	s_cbranch_vccnz .LBB23_4353
; %bb.4343:
	s_cmp_gt_i32 s59, 14
	s_cbranch_scc0 .LBB23_4346
; %bb.4344:
	s_cmp_eq_u32 s59, 15
	s_cbranch_scc0 .LBB23_4349
; %bb.4345:
	global_load_u16 v11, v[28:29], off
	s_mov_b32 s0, 0
	s_mov_b32 s9, -1
	s_wait_loadcnt 0x0
	v_lshlrev_b32_e32 v11, 16, v11
	s_wait_xcnt 0x1
	s_delay_alu instid0(VALU_DEP_1)
	v_cvt_i32_f32_e32 v34, v11
	s_branch .LBB23_4351
.LBB23_4346:
	s_mov_b32 s1, -1
	s_branch .LBB23_4350
.LBB23_4347:
	s_and_not1_saveexec_b32 s1, s1
	s_cbranch_execz .LBB23_4328
.LBB23_4348:
	v_cmp_ne_u16_e32 vcc_lo, 0, v11
	s_and_not1_b32 s9, s9, exec_lo
	s_and_b32 s24, vcc_lo, exec_lo
	s_delay_alu instid0(SALU_CYCLE_1)
	s_or_b32 s9, s9, s24
	s_or_b32 exec_lo, exec_lo, s1
	v_mov_b32_e32 v34, 0
	s_and_saveexec_b32 s1, s9
	s_cbranch_execnz .LBB23_4329
	s_branch .LBB23_4330
.LBB23_4349:
	s_mov_b32 s0, -1
.LBB23_4350:
                                        ; implicit-def: $vgpr34
.LBB23_4351:
	s_and_b32 vcc_lo, exec_lo, s1
	s_mov_b32 s1, 0
	s_cbranch_vccz .LBB23_4353
; %bb.4352:
	s_cmp_lg_u32 s59, 11
	s_mov_b32 s1, -1
	s_cselect_b32 s0, -1, 0
.LBB23_4353:
	s_delay_alu instid0(SALU_CYCLE_1)
	s_and_b32 vcc_lo, exec_lo, s0
	s_cbranch_vccnz .LBB23_4441
; %bb.4354:
	s_and_not1_b32 vcc_lo, exec_lo, s1
	s_cbranch_vccnz .LBB23_4356
.LBB23_4355:
	global_load_u8 v11, v[28:29], off
	s_mov_b32 s9, -1
	s_wait_loadcnt 0x0
	v_cmp_ne_u16_e32 vcc_lo, 0, v11
	s_wait_xcnt 0x1
	v_cndmask_b32_e64 v34, 0, 1, vcc_lo
.LBB23_4356:
	s_mov_b32 s0, 0
.LBB23_4357:
	s_delay_alu instid0(SALU_CYCLE_1)
	s_and_b32 vcc_lo, exec_lo, s0
	s_cbranch_vccz .LBB23_4406
; %bb.4358:
	s_cmp_lt_i32 s59, 5
	s_cbranch_scc1 .LBB23_4363
; %bb.4359:
	s_cmp_lt_i32 s59, 8
	s_cbranch_scc1 .LBB23_4364
	;; [unrolled: 3-line block ×3, first 2 shown]
; %bb.4361:
	s_cmp_gt_i32 s59, 9
	s_cbranch_scc0 .LBB23_4366
; %bb.4362:
	s_wait_loadcnt 0x0
	global_load_b64 v[34:35], v[28:29], off
	s_mov_b32 s0, 0
	s_wait_loadcnt 0x0
	v_cvt_i32_f64_e32 v34, v[34:35]
	s_branch .LBB23_4367
.LBB23_4363:
	s_mov_b32 s0, -1
                                        ; implicit-def: $vgpr34
	s_branch .LBB23_4385
.LBB23_4364:
	s_mov_b32 s0, -1
                                        ; implicit-def: $vgpr34
	s_branch .LBB23_4373
.LBB23_4365:
	s_mov_b32 s0, -1
                                        ; implicit-def: $vgpr34
	s_branch .LBB23_4370
.LBB23_4366:
	s_mov_b32 s0, -1
                                        ; implicit-def: $vgpr34
.LBB23_4367:
	s_delay_alu instid0(SALU_CYCLE_1)
	s_and_not1_b32 vcc_lo, exec_lo, s0
	s_cbranch_vccnz .LBB23_4369
; %bb.4368:
	global_load_b32 v11, v[28:29], off
	s_wait_loadcnt 0x0
	s_wait_xcnt 0x1
	v_cvt_i32_f32_e32 v34, v11
.LBB23_4369:
	s_mov_b32 s0, 0
.LBB23_4370:
	s_delay_alu instid0(SALU_CYCLE_1)
	s_and_not1_b32 vcc_lo, exec_lo, s0
	s_cbranch_vccnz .LBB23_4372
; %bb.4371:
	global_load_b32 v11, v[28:29], off
	s_wait_loadcnt 0x0
	v_cvt_f32_f16_e32 v11, v11
	s_wait_xcnt 0x1
	s_delay_alu instid0(VALU_DEP_1)
	v_cvt_i32_f32_e32 v34, v11
.LBB23_4372:
	s_mov_b32 s0, 0
.LBB23_4373:
	s_delay_alu instid0(SALU_CYCLE_1)
	s_and_not1_b32 vcc_lo, exec_lo, s0
	s_cbranch_vccnz .LBB23_4384
; %bb.4374:
	s_cmp_lt_i32 s59, 6
	s_cbranch_scc1 .LBB23_4377
; %bb.4375:
	s_cmp_gt_i32 s59, 6
	s_cbranch_scc0 .LBB23_4378
; %bb.4376:
	s_wait_loadcnt 0x0
	global_load_b64 v[34:35], v[28:29], off
	s_mov_b32 s0, 0
	s_wait_loadcnt 0x0
	v_cvt_i32_f64_e32 v34, v[34:35]
	s_branch .LBB23_4379
.LBB23_4377:
	s_mov_b32 s0, -1
                                        ; implicit-def: $vgpr34
	s_branch .LBB23_4382
.LBB23_4378:
	s_mov_b32 s0, -1
                                        ; implicit-def: $vgpr34
.LBB23_4379:
	s_delay_alu instid0(SALU_CYCLE_1)
	s_and_not1_b32 vcc_lo, exec_lo, s0
	s_cbranch_vccnz .LBB23_4381
; %bb.4380:
	global_load_b32 v11, v[28:29], off
	s_wait_loadcnt 0x0
	s_wait_xcnt 0x1
	v_cvt_i32_f32_e32 v34, v11
.LBB23_4381:
	s_mov_b32 s0, 0
.LBB23_4382:
	s_delay_alu instid0(SALU_CYCLE_1)
	s_and_not1_b32 vcc_lo, exec_lo, s0
	s_cbranch_vccnz .LBB23_4384
; %bb.4383:
	global_load_u16 v11, v[28:29], off
	s_wait_loadcnt 0x0
	v_cvt_f32_f16_e32 v11, v11
	s_wait_xcnt 0x1
	s_delay_alu instid0(VALU_DEP_1)
	v_cvt_i32_f32_e32 v34, v11
.LBB23_4384:
	s_mov_b32 s0, 0
.LBB23_4385:
	s_delay_alu instid0(SALU_CYCLE_1)
	s_and_not1_b32 vcc_lo, exec_lo, s0
	s_cbranch_vccnz .LBB23_4405
; %bb.4386:
	s_cmp_lt_i32 s59, 2
	s_cbranch_scc1 .LBB23_4390
; %bb.4387:
	s_cmp_lt_i32 s59, 3
	s_cbranch_scc1 .LBB23_4391
; %bb.4388:
	s_cmp_gt_i32 s59, 3
	s_cbranch_scc0 .LBB23_4392
; %bb.4389:
	s_wait_loadcnt 0x0
	global_load_b32 v34, v[28:29], off
	s_mov_b32 s0, 0
	s_branch .LBB23_4393
.LBB23_4390:
	s_mov_b32 s0, -1
                                        ; implicit-def: $vgpr34
	s_branch .LBB23_4399
.LBB23_4391:
	s_mov_b32 s0, -1
                                        ; implicit-def: $vgpr34
	s_branch .LBB23_4396
.LBB23_4392:
	s_mov_b32 s0, -1
                                        ; implicit-def: $vgpr34
.LBB23_4393:
	s_delay_alu instid0(SALU_CYCLE_1)
	s_and_not1_b32 vcc_lo, exec_lo, s0
	s_cbranch_vccnz .LBB23_4395
; %bb.4394:
	s_wait_loadcnt 0x0
	global_load_b32 v34, v[28:29], off
.LBB23_4395:
	s_mov_b32 s0, 0
.LBB23_4396:
	s_delay_alu instid0(SALU_CYCLE_1)
	s_and_not1_b32 vcc_lo, exec_lo, s0
	s_cbranch_vccnz .LBB23_4398
; %bb.4397:
	s_wait_loadcnt 0x0
	global_load_i16 v34, v[28:29], off
.LBB23_4398:
	s_mov_b32 s0, 0
.LBB23_4399:
	s_delay_alu instid0(SALU_CYCLE_1)
	s_and_not1_b32 vcc_lo, exec_lo, s0
	s_cbranch_vccnz .LBB23_4405
; %bb.4400:
	s_cmp_gt_i32 s59, 0
	s_mov_b32 s0, 0
	s_cbranch_scc0 .LBB23_4402
; %bb.4401:
	s_wait_loadcnt 0x0
	global_load_i8 v34, v[28:29], off
	s_branch .LBB23_4403
.LBB23_4402:
	s_mov_b32 s0, -1
                                        ; implicit-def: $vgpr34
.LBB23_4403:
	s_delay_alu instid0(SALU_CYCLE_1)
	s_and_not1_b32 vcc_lo, exec_lo, s0
	s_cbranch_vccnz .LBB23_4405
; %bb.4404:
	s_wait_loadcnt 0x0
	global_load_u8 v34, v[28:29], off
.LBB23_4405:
	s_mov_b32 s9, -1
.LBB23_4406:
	s_delay_alu instid0(SALU_CYCLE_1)
	s_and_not1_b32 vcc_lo, exec_lo, s9
	s_cbranch_vccnz .LBB23_4415
; %bb.4407:
	s_mov_b32 s0, exec_lo
	s_wait_loadcnt 0x0
	v_cmpx_ne_u32_e64 v7, v1
	s_xor_b32 s0, exec_lo, s0
	s_cbranch_execnz .LBB23_4575
.LBB23_4408:
	s_or_saveexec_b32 s47, s0
	s_mov_b32 s1, 0
	s_mov_b32 s9, 0
                                        ; implicit-def: $vgpr38_vgpr39
                                        ; implicit-def: $sgpr0
	s_xor_b32 exec_lo, exec_lo, s47
	s_cbranch_execz .LBB23_5086
; %bb.4409:
	s_mov_b32 s48, s44
	s_mov_b32 s0, exec_lo
	v_cmpx_ne_u32_e64 v9, v3
	s_xor_b32 s0, exec_lo, s0
	s_cbranch_execnz .LBB23_4703
; %bb.4410:
	s_or_saveexec_b32 s49, s0
                                        ; implicit-def: $vgpr38_vgpr39
                                        ; implicit-def: $sgpr0
	s_delay_alu instid0(SALU_CYCLE_1)
	s_xor_b32 exec_lo, exec_lo, s49
	s_cbranch_execz .LBB23_5085
.LBB23_4411:
	v_sub_nc_u32_e32 v7, v30, v32
	s_mov_b32 s50, s48
	s_delay_alu instid0(VALU_DEP_1) | instskip(SKIP_2) | instid1(SALU_CYCLE_1)
	v_cmp_gt_i32_e32 vcc_lo, v1, v7
	v_cmp_lt_i32_e64 s0, s20, v7
	s_or_b32 s0, vcc_lo, s0
	s_and_saveexec_b32 s1, s0
	s_delay_alu instid0(SALU_CYCLE_1)
	s_xor_b32 s0, exec_lo, s1
	s_cbranch_execnz .LBB23_4831
; %bb.4412:
	s_or_saveexec_b32 s51, s0
	s_mov_b32 s1, 0
                                        ; implicit-def: $vgpr38_vgpr39
                                        ; implicit-def: $sgpr0
	s_xor_b32 exec_lo, exec_lo, s51
	s_cbranch_execz .LBB23_5084
.LBB23_4413:
	v_cmp_ne_u32_e32 vcc_lo, 1, v5
	v_mov_b64_e32 v[28:29], 0
	s_cbranch_vccnz .LBB23_4426
; %bb.4414:
	v_ashrrev_i32_e32 v35, 31, v34
	s_mov_b32 s9, s1
	v_mov_b64_e32 v[28:29], 0
	s_lshl_b64 s[26:27], s[8:9], 3
	s_mov_b64 s[24:25], 0xffffffff
	v_mul_u64_e32 v[36:37], s[10:11], v[34:35]
	v_mov_b32_e32 v34, 0
	s_add_nc_u64 s[26:27], s[2:3], s[26:27]
	s_mov_b32 s9, s45
	s_add_nc_u64 s[26:27], s[26:27], 0x298
	s_branch .LBB23_4422
.LBB23_4415:
	s_mov_b32 s1, 0
	s_mov_b32 s9, 0
                                        ; implicit-def: $vgpr38_vgpr39
                                        ; implicit-def: $sgpr0
.LBB23_4416:
	s_wait_xcnt 0x0
	s_and_not1_b32 s2, s42, exec_lo
	s_and_b32 s3, s44, exec_lo
	s_and_b32 s9, s9, exec_lo
	;; [unrolled: 1-line block ×3, first 2 shown]
	s_or_b32 s42, s2, s3
.LBB23_4417:
	s_or_b32 exec_lo, exec_lo, s43
	s_wait_xcnt 0x0
	s_and_not1_b32 s2, s21, exec_lo
	s_and_b32 s3, s42, exec_lo
	s_and_b32 s8, s9, exec_lo
	;; [unrolled: 1-line block ×3, first 2 shown]
	s_or_b32 s21, s2, s3
.LBB23_4418:
	s_or_b32 exec_lo, exec_lo, s41
	s_delay_alu instid0(SALU_CYCLE_1)
	s_and_not1_b32 s2, s39, exec_lo
	s_and_b32 s3, s21, exec_lo
	s_and_b32 s8, s8, exec_lo
	;; [unrolled: 1-line block ×3, first 2 shown]
	s_or_b32 s39, s2, s3
.LBB23_4419:
	s_or_b32 exec_lo, exec_lo, s40
	s_delay_alu instid0(SALU_CYCLE_1)
	s_and_not1_b32 s2, s33, exec_lo
	s_and_b32 s3, s39, exec_lo
	s_and_b32 s8, s8, exec_lo
	;; [unrolled: 1-line block ×3, first 2 shown]
	s_or_b32 s33, s2, s3
.LBB23_4420:
	s_or_b32 exec_lo, exec_lo, s38
	s_branch .LBB23_3532
.LBB23_4421:                            ;   in Loop: Header=BB23_4422 Depth=1
	s_or_b32 exec_lo, exec_lo, s0
	s_delay_alu instid0(VALU_DEP_1)
	v_mul_u64_e32 v[40:41], s[28:29], v[38:39]
	s_load_b64 s[28:29], s[26:27], 0x40
	s_add_co_i32 s9, s9, -1
	s_wait_xcnt 0x0
	s_add_nc_u64 s[26:27], s[26:27], -8
	s_cmp_eq_u32 s9, 0
	s_delay_alu instid0(VALU_DEP_1) | instskip(SKIP_1) | instid1(VALU_DEP_1)
	v_sub_nc_u64_e32 v[36:37], v[36:37], v[40:41]
	s_wait_kmcnt 0x0
	v_mad_nc_u64_u32 v[28:29], v36, s28, v[28:29]
	s_delay_alu instid0(VALU_DEP_1) | instskip(NEXT) | instid1(VALU_DEP_1)
	v_mad_u32 v7, v37, s28, v29
	v_mad_u32 v29, v36, s29, v7
	v_mov_b64_e32 v[36:37], v[38:39]
	s_cbranch_scc1 .LBB23_4426
.LBB23_4422:                            ; =>This Inner Loop Header: Depth=1
	s_load_b64 s[28:29], s[26:27], 0x0
                                        ; implicit-def: $vgpr38_vgpr39
	s_mov_b32 s0, exec_lo
	s_wait_kmcnt 0x0
	s_delay_alu instid0(VALU_DEP_1) | instskip(NEXT) | instid1(VALU_DEP_1)
	v_or_b32_e32 v35, s29, v37
	v_cmpx_ne_u64_e32 0, v[34:35]
	s_xor_b32 s52, exec_lo, s0
	s_cbranch_execz .LBB23_4424
; %bb.4423:                             ;   in Loop: Header=BB23_4422 Depth=1
	s_ashr_i32 s30, s29, 31
	v_dual_mov_b32 v43, v34 :: v_dual_ashrrev_i32 v38, 31, v37
	s_mov_b32 s31, s30
	v_mov_b32_e32 v51, v34
	s_add_nc_u64 s[34:35], s[28:29], s[30:31]
	s_delay_alu instid0(VALU_DEP_2) | instskip(SKIP_1) | instid1(SALU_CYCLE_1)
	v_mov_b32_e32 v39, v38
	s_xor_b64 s[34:35], s[34:35], s[30:31]
	s_cvt_f32_u32 s0, s34
	s_cvt_f32_u32 s31, s35
	s_sub_nc_u64 s[62:63], 0, s[34:35]
	v_add_nc_u64_e32 v[40:41], v[36:37], v[38:39]
	v_mov_b32_e32 v47, v34
	s_fmamk_f32 s0, s31, 0x4f800000, s0
	s_delay_alu instid0(SALU_CYCLE_3) | instskip(NEXT) | instid1(VALU_DEP_2)
	v_s_rcp_f32 s0, s0
	v_xor_b32_e32 v42, v40, v38
	s_delay_alu instid0(VALU_DEP_3) | instskip(SKIP_1) | instid1(TRANS32_DEP_1)
	v_xor_b32_e32 v46, v41, v38
	v_xor_b32_e32 v38, s30, v38
	s_mul_f32 s0, s0, 0x5f7ffffc
	s_delay_alu instid0(VALU_DEP_1) | instskip(NEXT) | instid1(SALU_CYCLE_2)
	v_mov_b32_e32 v39, v38
	s_mul_f32 s31, s0, 0x2f800000
	s_delay_alu instid0(SALU_CYCLE_3) | instskip(NEXT) | instid1(SALU_CYCLE_3)
	s_trunc_f32 s31, s31
	s_fmamk_f32 s0, s31, 0xcf800000, s0
	s_cvt_u32_f32 s61, s31
	s_delay_alu instid0(SALU_CYCLE_2) | instskip(NEXT) | instid1(SALU_CYCLE_3)
	s_cvt_u32_f32 s60, s0
	s_mul_u64 s[64:65], s[62:63], s[60:61]
	s_delay_alu instid0(SALU_CYCLE_1)
	s_mul_hi_u32 s67, s60, s65
	s_mul_i32 s66, s60, s65
	s_mul_hi_u32 s0, s60, s64
	s_mul_i32 s53, s61, s64
	s_add_nc_u64 s[66:67], s[0:1], s[66:67]
	s_mul_hi_u32 s31, s61, s64
	s_mul_hi_u32 s54, s61, s65
	s_add_co_u32 s0, s66, s53
	s_add_co_ci_u32 s0, s67, s31
	s_mul_i32 s64, s61, s65
	s_add_co_ci_u32 s65, s54, 0
	s_delay_alu instid0(SALU_CYCLE_1) | instskip(NEXT) | instid1(SALU_CYCLE_1)
	s_add_nc_u64 s[64:65], s[0:1], s[64:65]
	s_add_co_u32 s60, s60, s64
	s_cselect_b32 s0, -1, 0
	s_delay_alu instid0(SALU_CYCLE_1) | instskip(SKIP_1) | instid1(SALU_CYCLE_1)
	s_cmp_lg_u32 s0, 0
	s_add_co_ci_u32 s61, s61, s65
	s_mul_u64 s[62:63], s[62:63], s[60:61]
	s_delay_alu instid0(SALU_CYCLE_1)
	s_mul_hi_u32 s65, s60, s63
	s_mul_i32 s64, s60, s63
	s_mul_hi_u32 s0, s60, s62
	s_mul_i32 s53, s61, s62
	s_add_nc_u64 s[64:65], s[0:1], s[64:65]
	s_mul_hi_u32 s31, s61, s62
	s_mul_hi_u32 s54, s61, s63
	s_add_co_u32 s0, s64, s53
	s_add_co_ci_u32 s0, s65, s31
	s_mul_i32 s62, s61, s63
	s_add_co_ci_u32 s63, s54, 0
	s_delay_alu instid0(SALU_CYCLE_1) | instskip(NEXT) | instid1(SALU_CYCLE_1)
	s_add_nc_u64 s[62:63], s[0:1], s[62:63]
	s_add_co_u32 s54, s60, s62
	s_cselect_b32 s0, -1, 0
	v_mul_hi_u32 v50, v42, s54
	s_cmp_lg_u32 s0, 0
	s_add_co_ci_u32 s0, s61, s63
	s_and_b64 s[60:61], s[54:55], s[24:25]
	v_mul_u64_e32 v[44:45], s[0:1], v[42:43]
	v_mul_u64_e32 v[40:41], s[60:61], v[46:47]
	v_mul_u64_e32 v[48:49], s[0:1], v[46:47]
	s_delay_alu instid0(VALU_DEP_3) | instskip(NEXT) | instid1(VALU_DEP_1)
	v_add_nc_u64_e32 v[44:45], v[50:51], v[44:45]
	v_add_co_u32 v7, vcc_lo, v44, v40
	s_delay_alu instid0(VALU_DEP_2) | instskip(NEXT) | instid1(VALU_DEP_4)
	v_add_co_ci_u32_e32 v50, vcc_lo, v45, v41, vcc_lo
	v_add_co_ci_u32_e32 v49, vcc_lo, 0, v49, vcc_lo
	s_delay_alu instid0(VALU_DEP_1) | instskip(NEXT) | instid1(VALU_DEP_1)
	v_add_nc_u64_e32 v[40:41], v[50:51], v[48:49]
	v_mul_u64_e32 v[44:45], s[34:35], v[40:41]
	s_delay_alu instid0(VALU_DEP_1) | instskip(SKIP_1) | instid1(VALU_DEP_3)
	v_sub_co_u32 v9, vcc_lo, v42, v44
	v_add_nc_u64_e32 v[42:43], 2, v[40:41]
	v_sub_nc_u32_e32 v7, v46, v45
	v_sub_co_ci_u32_e64 v13, null, v46, v45, vcc_lo
	s_delay_alu instid0(VALU_DEP_4) | instskip(NEXT) | instid1(VALU_DEP_3)
	v_sub_co_u32 v11, s0, v9, s34
	v_subrev_co_ci_u32_e64 v7, null, s35, v7, vcc_lo
	v_add_nc_u64_e32 v[44:45], 1, v[40:41]
	s_delay_alu instid0(VALU_DEP_3) | instskip(NEXT) | instid1(VALU_DEP_3)
	v_cmp_le_u32_e32 vcc_lo, s34, v11
	v_subrev_co_ci_u32_e64 v7, null, 0, v7, s0
	v_cndmask_b32_e64 v11, 0, -1, vcc_lo
	s_delay_alu instid0(VALU_DEP_2)
	v_cmp_le_u32_e32 vcc_lo, s35, v7
	v_cndmask_b32_e64 v15, 0, -1, vcc_lo
	v_cmp_le_u32_e32 vcc_lo, s34, v9
	v_cndmask_b32_e64 v9, 0, -1, vcc_lo
	;; [unrolled: 2-line block ×3, first 2 shown]
	v_cmp_eq_u32_e32 vcc_lo, s35, v7
	v_cndmask_b32_e32 v7, v15, v11, vcc_lo
	v_cmp_eq_u32_e32 vcc_lo, s35, v13
	s_delay_alu instid0(VALU_DEP_4) | instskip(NEXT) | instid1(VALU_DEP_3)
	v_cndmask_b32_e32 v9, v17, v9, vcc_lo
	v_cmp_ne_u32_e32 vcc_lo, 0, v7
	s_delay_alu instid0(VALU_DEP_2) | instskip(SKIP_1) | instid1(VALU_DEP_1)
	v_cmp_ne_u32_e64 s0, 0, v9
	v_dual_cndmask_b32 v9, v44, v42, vcc_lo :: v_dual_cndmask_b32 v7, v45, v43, vcc_lo
	v_dual_cndmask_b32 v9, v40, v9, s0 :: v_dual_cndmask_b32 v7, v41, v7, s0
	s_delay_alu instid0(VALU_DEP_1) | instskip(NEXT) | instid1(VALU_DEP_2)
	v_xor_b32_e32 v40, v9, v38
	v_xor_b32_e32 v41, v7, v38
	s_delay_alu instid0(VALU_DEP_1)
	v_sub_nc_u64_e32 v[38:39], v[40:41], v[38:39]
.LBB23_4424:                            ;   in Loop: Header=BB23_4422 Depth=1
	s_and_not1_saveexec_b32 s0, s52
	s_cbranch_execz .LBB23_4421
; %bb.4425:                             ;   in Loop: Header=BB23_4422 Depth=1
	v_cvt_f32_u32_e32 v7, s28
	s_sub_co_i32 s30, 0, s28
	v_mov_b32_e32 v39, v34
	s_delay_alu instid0(VALU_DEP_2) | instskip(SKIP_1) | instid1(TRANS32_DEP_1)
	v_rcp_iflag_f32_e32 v7, v7
	v_nop
	v_mul_f32_e32 v7, 0x4f7ffffe, v7
	s_delay_alu instid0(VALU_DEP_1) | instskip(NEXT) | instid1(VALU_DEP_1)
	v_cvt_u32_f32_e32 v7, v7
	v_mul_lo_u32 v9, s30, v7
	s_delay_alu instid0(VALU_DEP_1) | instskip(NEXT) | instid1(VALU_DEP_1)
	v_mul_hi_u32 v9, v7, v9
	v_add_nc_u32_e32 v7, v7, v9
	s_delay_alu instid0(VALU_DEP_1) | instskip(NEXT) | instid1(VALU_DEP_1)
	v_mul_hi_u32 v7, v36, v7
	v_mul_lo_u32 v9, v7, s28
	s_delay_alu instid0(VALU_DEP_1) | instskip(NEXT) | instid1(VALU_DEP_1)
	v_sub_nc_u32_e32 v9, v36, v9
	v_subrev_nc_u32_e32 v13, s28, v9
	v_cmp_le_u32_e32 vcc_lo, s28, v9
	s_delay_alu instid0(VALU_DEP_2) | instskip(NEXT) | instid1(VALU_DEP_1)
	v_dual_add_nc_u32 v11, 1, v7 :: v_dual_cndmask_b32 v9, v9, v13, vcc_lo
	v_cndmask_b32_e32 v7, v7, v11, vcc_lo
	s_delay_alu instid0(VALU_DEP_2) | instskip(NEXT) | instid1(VALU_DEP_2)
	v_cmp_le_u32_e32 vcc_lo, s28, v9
	v_add_nc_u32_e32 v11, 1, v7
	s_delay_alu instid0(VALU_DEP_1)
	v_cndmask_b32_e32 v38, v7, v11, vcc_lo
	s_branch .LBB23_4421
.LBB23_4426:
	s_mov_b32 s24, -1
	s_mov_b32 s52, s50
	s_mov_b32 s0, exec_lo
	v_cmpx_gt_i32_e64 v30, v32
	s_cbranch_execz .LBB23_4433
; %bb.4427:
	s_delay_alu instid0(VALU_DEP_2) | instskip(SKIP_3) | instid1(VALU_DEP_1)
	v_lshlrev_b64_e32 v[28:29], 2, v[28:29]
	v_dual_ashrrev_i32 v33, 31, v32 :: v_dual_ashrrev_i32 v31, 31, v30
	s_mov_b32 s9, 0
	s_xor_b32 s24, s46, -1
                                        ; implicit-def: $sgpr1
                                        ; implicit-def: $sgpr26
                                        ; implicit-def: $sgpr25
	v_lshl_add_u64 v[32:33], v[32:33], 2, v[28:29]
	s_wait_kmcnt 0x0
	v_add_nc_u64_e32 v[34:35], s[22:23], v[28:29]
	s_delay_alu instid0(VALU_DEP_2) | instskip(NEXT) | instid1(VALU_DEP_2)
	v_add_nc_u64_e32 v[32:33], s[22:23], v[32:33]
	v_lshl_add_u64 v[30:31], v[30:31], 2, v[34:35]
	s_delay_alu instid0(VALU_DEP_2)
	v_add_nc_u64_e32 v[28:29], 4, v[32:33]
	s_branch .LBB23_4429
.LBB23_4428:                            ;   in Loop: Header=BB23_4429 Depth=1
	s_or_b32 exec_lo, exec_lo, s27
	s_xor_b32 s27, s25, -1
	s_and_b32 s28, exec_lo, s26
	s_delay_alu instid0(SALU_CYCLE_1) | instskip(SKIP_2) | instid1(SALU_CYCLE_1)
	s_or_b32 s9, s28, s9
	s_and_not1_b32 s1, s1, exec_lo
	s_and_b32 s27, s27, exec_lo
	s_or_b32 s1, s1, s27
	s_and_not1_b32 exec_lo, exec_lo, s9
	s_cbranch_execz .LBB23_4431
.LBB23_4429:                            ; =>This Inner Loop Header: Depth=1
	s_or_b32 s25, s25, exec_lo
	s_or_b32 s26, s26, exec_lo
	s_mov_b32 s27, exec_lo
	s_delay_alu instid0(VALU_DEP_1)
	v_cmpx_lt_u64_e64 v[28:29], v[30:31]
	s_cbranch_execz .LBB23_4428
; %bb.4430:                             ;   in Loop: Header=BB23_4429 Depth=1
	global_load_b64 v[32:33], v[28:29], off offset:-4
	s_wait_xcnt 0x0
	v_add_nc_u64_e32 v[28:29], 4, v[28:29]
	s_and_not1_b32 s26, s26, exec_lo
	s_and_not1_b32 s25, s25, exec_lo
	s_wait_loadcnt 0x0
	v_cmp_ge_i32_e32 vcc_lo, v32, v33
	s_or_b32 s28, s24, vcc_lo
	s_delay_alu instid0(SALU_CYCLE_1) | instskip(NEXT) | instid1(SALU_CYCLE_1)
	s_and_b32 s28, s28, exec_lo
	s_or_b32 s26, s26, s28
	s_branch .LBB23_4428
.LBB23_4431:
	s_or_b32 exec_lo, exec_lo, s9
	s_mov_b32 s9, -1
	s_mov_b32 s24, s50
	s_and_saveexec_b32 s25, s1
	s_delay_alu instid0(SALU_CYCLE_1)
	s_xor_b32 s1, exec_lo, s25
	s_cbranch_execnz .LBB23_4446
.LBB23_4432:
	s_or_b32 exec_lo, exec_lo, s1
	s_delay_alu instid0(SALU_CYCLE_1) | instskip(SKIP_1) | instid1(SALU_CYCLE_1)
	s_and_not1_b32 s1, s50, exec_lo
	s_and_b32 s24, s24, exec_lo
	s_or_b32 s52, s1, s24
	s_or_not1_b32 s24, s9, exec_lo
.LBB23_4433:
	s_or_b32 exec_lo, exec_lo, s0
	s_mov_b32 s1, 0
	s_mov_b32 s9, 0
                                        ; implicit-def: $vgpr38_vgpr39
                                        ; implicit-def: $sgpr0
	s_and_saveexec_b32 s53, s24
	s_cbranch_execz .LBB23_5083
; %bb.4434:
	v_mov_b32_e32 v27, 0
	s_cmp_lt_i32 s55, 11
	s_delay_alu instid0(VALU_DEP_1)
	v_add_nc_u64_e32 v[26:27], s[6:7], v[26:27]
	s_cbranch_scc1 .LBB23_4442
; %bb.4435:
	s_cmp_gt_i32 s55, 25
	s_cbranch_scc0 .LBB23_4443
; %bb.4436:
	s_cmp_gt_i32 s55, 28
	s_cbranch_scc0 .LBB23_4444
	;; [unrolled: 3-line block ×4, first 2 shown]
; %bb.4439:
	s_cmp_eq_u32 s55, 46
	s_mov_b32 s24, 0
	s_cbranch_scc0 .LBB23_4448
; %bb.4440:
	global_load_b32 v7, v[26:27], off
	s_mov_b32 s0, 0
	s_mov_b32 s9, -1
	s_wait_loadcnt 0x0
	v_lshlrev_b32_e32 v7, 16, v7
	s_delay_alu instid0(VALU_DEP_1)
	v_cvt_i32_f32_e32 v7, v7
	s_branch .LBB23_4450
.LBB23_4441:
	s_or_b32 s44, s44, exec_lo
	s_trap 2
	s_cbranch_execz .LBB23_4355
	s_branch .LBB23_4356
.LBB23_4442:
	s_mov_b32 s0, -1
	s_mov_b32 s54, s52
                                        ; implicit-def: $vgpr7
	s_branch .LBB23_4512
.LBB23_4443:
	s_mov_b32 s24, -1
	s_mov_b32 s0, 0
                                        ; implicit-def: $vgpr7
	s_branch .LBB23_4477
.LBB23_4444:
	s_mov_b32 s24, -1
	s_mov_b32 s0, 0
                                        ; implicit-def: $vgpr7
	s_branch .LBB23_4460
.LBB23_4445:
	s_mov_b32 s24, -1
	s_mov_b32 s0, 0
                                        ; implicit-def: $vgpr7
	s_branch .LBB23_4455
.LBB23_4446:
	s_or_b32 s24, s50, exec_lo
	s_xor_b32 s9, exec_lo, -1
	s_trap 2
	s_branch .LBB23_4432
.LBB23_4447:
	s_mov_b32 s24, -1
	s_mov_b32 s0, 0
	s_branch .LBB23_4449
.LBB23_4448:
	s_mov_b32 s0, -1
.LBB23_4449:
                                        ; implicit-def: $vgpr7
.LBB23_4450:
	s_and_b32 vcc_lo, exec_lo, s24
	s_cbranch_vccz .LBB23_4454
; %bb.4451:
	s_cmp_eq_u32 s55, 44
	s_cbranch_scc0 .LBB23_4453
; %bb.4452:
	global_load_u8 v7, v[26:27], off
	s_mov_b32 s0, 0
	s_mov_b32 s9, -1
	s_wait_loadcnt 0x0
	v_lshlrev_b32_e32 v9, 23, v7
	v_cmp_ne_u32_e32 vcc_lo, 0, v7
	s_delay_alu instid0(VALU_DEP_2) | instskip(NEXT) | instid1(VALU_DEP_1)
	v_cvt_i32_f32_e32 v9, v9
	v_cndmask_b32_e32 v7, 0, v9, vcc_lo
	s_branch .LBB23_4454
.LBB23_4453:
	s_mov_b32 s0, -1
                                        ; implicit-def: $vgpr7
.LBB23_4454:
	s_mov_b32 s24, 0
.LBB23_4455:
	s_delay_alu instid0(SALU_CYCLE_1)
	s_and_b32 vcc_lo, exec_lo, s24
	s_cbranch_vccz .LBB23_4459
; %bb.4456:
	s_cmp_eq_u32 s55, 29
	s_cbranch_scc0 .LBB23_4458
; %bb.4457:
	global_load_b32 v7, v[26:27], off
	s_mov_b32 s0, 0
	s_mov_b32 s9, -1
	s_branch .LBB23_4459
.LBB23_4458:
	s_mov_b32 s0, -1
                                        ; implicit-def: $vgpr7
.LBB23_4459:
	s_mov_b32 s24, 0
.LBB23_4460:
	s_delay_alu instid0(SALU_CYCLE_1)
	s_and_b32 vcc_lo, exec_lo, s24
	s_cbranch_vccz .LBB23_4476
; %bb.4461:
	s_cmp_lt_i32 s55, 27
	s_cbranch_scc1 .LBB23_4464
; %bb.4462:
	s_cmp_gt_i32 s55, 27
	s_cbranch_scc0 .LBB23_4465
; %bb.4463:
	s_wait_loadcnt 0x0
	global_load_b32 v7, v[26:27], off
	s_mov_b32 s9, 0
	s_branch .LBB23_4466
.LBB23_4464:
	s_mov_b32 s9, -1
                                        ; implicit-def: $vgpr7
	s_branch .LBB23_4469
.LBB23_4465:
	s_mov_b32 s9, -1
                                        ; implicit-def: $vgpr7
.LBB23_4466:
	s_delay_alu instid0(SALU_CYCLE_1)
	s_and_not1_b32 vcc_lo, exec_lo, s9
	s_cbranch_vccnz .LBB23_4468
; %bb.4467:
	s_wait_loadcnt 0x0
	global_load_u16 v7, v[26:27], off
.LBB23_4468:
	s_mov_b32 s9, 0
.LBB23_4469:
	s_delay_alu instid0(SALU_CYCLE_1)
	s_and_not1_b32 vcc_lo, exec_lo, s9
	s_cbranch_vccnz .LBB23_4475
; %bb.4470:
	global_load_u8 v9, v[26:27], off
	s_mov_b32 s24, 0
	s_mov_b32 s9, exec_lo
	s_wait_loadcnt 0x0
	v_cmpx_lt_i16_e32 0x7f, v9
	s_xor_b32 s9, exec_lo, s9
	s_cbranch_execz .LBB23_4487
; %bb.4471:
	v_cmp_ne_u16_e32 vcc_lo, 0x80, v9
	s_and_b32 s24, vcc_lo, exec_lo
	s_and_not1_saveexec_b32 s9, s9
	s_cbranch_execnz .LBB23_4488
.LBB23_4472:
	s_or_b32 exec_lo, exec_lo, s9
	v_mov_b32_e32 v7, 0
	s_and_saveexec_b32 s9, s24
	s_cbranch_execz .LBB23_4474
.LBB23_4473:
	v_and_b32_e32 v7, 0xffff, v9
	s_delay_alu instid0(VALU_DEP_1) | instskip(SKIP_1) | instid1(VALU_DEP_2)
	v_and_b32_e32 v11, 7, v7
	v_bfe_u32 v17, v7, 3, 4
	v_clz_i32_u32_e32 v13, v11
	s_delay_alu instid0(VALU_DEP_2) | instskip(NEXT) | instid1(VALU_DEP_2)
	v_cmp_eq_u32_e32 vcc_lo, 0, v17
	v_min_u32_e32 v13, 32, v13
	s_delay_alu instid0(VALU_DEP_1) | instskip(NEXT) | instid1(VALU_DEP_1)
	v_subrev_nc_u32_e32 v15, 28, v13
	v_dual_lshlrev_b32 v7, v15, v7 :: v_dual_sub_nc_u32 v13, 29, v13
	s_delay_alu instid0(VALU_DEP_1) | instskip(NEXT) | instid1(VALU_DEP_1)
	v_dual_lshlrev_b32 v9, 24, v9 :: v_dual_bitop2_b32 v7, 7, v7 bitop3:0x40
	v_dual_cndmask_b32 v7, v11, v7, vcc_lo :: v_dual_cndmask_b32 v13, v17, v13, vcc_lo
	s_delay_alu instid0(VALU_DEP_2) | instskip(NEXT) | instid1(VALU_DEP_2)
	v_and_b32_e32 v9, 0x80000000, v9
	v_lshlrev_b32_e32 v7, 20, v7
	s_delay_alu instid0(VALU_DEP_3) | instskip(NEXT) | instid1(VALU_DEP_1)
	v_lshl_add_u32 v11, v13, 23, 0x3b800000
	v_or3_b32 v7, v9, v11, v7
	s_delay_alu instid0(VALU_DEP_1)
	v_cvt_i32_f32_e32 v7, v7
.LBB23_4474:
	s_or_b32 exec_lo, exec_lo, s9
.LBB23_4475:
	s_mov_b32 s9, -1
.LBB23_4476:
	s_mov_b32 s24, 0
.LBB23_4477:
	s_delay_alu instid0(SALU_CYCLE_1)
	s_and_b32 vcc_lo, exec_lo, s24
	s_cbranch_vccz .LBB23_4508
; %bb.4478:
	s_cmp_gt_i32 s55, 22
	s_cbranch_scc0 .LBB23_4486
; %bb.4479:
	s_cmp_lt_i32 s55, 24
	s_cbranch_scc1 .LBB23_4489
; %bb.4480:
	s_cmp_gt_i32 s55, 24
	s_cbranch_scc0 .LBB23_4490
; %bb.4481:
	global_load_u8 v9, v[26:27], off
	s_mov_b32 s9, 0
	s_mov_b32 s1, exec_lo
	s_wait_loadcnt 0x0
	v_cmpx_lt_i16_e32 0x7f, v9
	s_xor_b32 s1, exec_lo, s1
	s_cbranch_execz .LBB23_4502
; %bb.4482:
	v_cmp_ne_u16_e32 vcc_lo, 0x80, v9
	s_and_b32 s9, vcc_lo, exec_lo
	s_and_not1_saveexec_b32 s1, s1
	s_cbranch_execnz .LBB23_4503
.LBB23_4483:
	s_or_b32 exec_lo, exec_lo, s1
	v_mov_b32_e32 v7, 0
	s_and_saveexec_b32 s1, s9
	s_cbranch_execz .LBB23_4485
.LBB23_4484:
	v_and_b32_e32 v7, 0xffff, v9
	s_delay_alu instid0(VALU_DEP_1) | instskip(SKIP_1) | instid1(VALU_DEP_2)
	v_and_b32_e32 v11, 3, v7
	v_bfe_u32 v17, v7, 2, 5
	v_clz_i32_u32_e32 v13, v11
	s_delay_alu instid0(VALU_DEP_2) | instskip(NEXT) | instid1(VALU_DEP_2)
	v_cmp_eq_u32_e32 vcc_lo, 0, v17
	v_min_u32_e32 v13, 32, v13
	s_delay_alu instid0(VALU_DEP_1) | instskip(NEXT) | instid1(VALU_DEP_1)
	v_subrev_nc_u32_e32 v15, 29, v13
	v_dual_lshlrev_b32 v7, v15, v7 :: v_dual_sub_nc_u32 v13, 30, v13
	s_delay_alu instid0(VALU_DEP_1) | instskip(NEXT) | instid1(VALU_DEP_1)
	v_dual_lshlrev_b32 v9, 24, v9 :: v_dual_bitop2_b32 v7, 3, v7 bitop3:0x40
	v_dual_cndmask_b32 v7, v11, v7, vcc_lo :: v_dual_cndmask_b32 v13, v17, v13, vcc_lo
	s_delay_alu instid0(VALU_DEP_2) | instskip(NEXT) | instid1(VALU_DEP_2)
	v_and_b32_e32 v9, 0x80000000, v9
	v_lshlrev_b32_e32 v7, 21, v7
	s_delay_alu instid0(VALU_DEP_3) | instskip(NEXT) | instid1(VALU_DEP_1)
	v_lshl_add_u32 v11, v13, 23, 0x37800000
	v_or3_b32 v7, v9, v11, v7
	s_delay_alu instid0(VALU_DEP_1)
	v_cvt_i32_f32_e32 v7, v7
.LBB23_4485:
	s_or_b32 exec_lo, exec_lo, s1
	s_mov_b32 s1, 0
	s_branch .LBB23_4491
.LBB23_4486:
	s_mov_b32 s1, -1
                                        ; implicit-def: $vgpr7
	s_branch .LBB23_4497
.LBB23_4487:
	s_and_not1_saveexec_b32 s9, s9
	s_cbranch_execz .LBB23_4472
.LBB23_4488:
	v_cmp_ne_u16_e32 vcc_lo, 0, v9
	s_and_not1_b32 s24, s24, exec_lo
	s_and_b32 s25, vcc_lo, exec_lo
	s_delay_alu instid0(SALU_CYCLE_1)
	s_or_b32 s24, s24, s25
	s_or_b32 exec_lo, exec_lo, s9
	v_mov_b32_e32 v7, 0
	s_and_saveexec_b32 s9, s24
	s_cbranch_execnz .LBB23_4473
	s_branch .LBB23_4474
.LBB23_4489:
	s_mov_b32 s1, -1
                                        ; implicit-def: $vgpr7
	s_branch .LBB23_4494
.LBB23_4490:
	s_mov_b32 s1, -1
                                        ; implicit-def: $vgpr7
.LBB23_4491:
	s_delay_alu instid0(SALU_CYCLE_1)
	s_and_b32 vcc_lo, exec_lo, s1
	s_cbranch_vccz .LBB23_4493
; %bb.4492:
	s_wait_loadcnt 0x0
	global_load_u8 v7, v[26:27], off
	s_wait_loadcnt 0x0
	v_lshlrev_b32_e32 v7, 24, v7
	s_delay_alu instid0(VALU_DEP_1) | instskip(NEXT) | instid1(VALU_DEP_1)
	v_and_b32_e32 v9, 0x7f000000, v7
	v_clz_i32_u32_e32 v11, v9
	v_add_nc_u32_e32 v15, 0x1000000, v9
	v_cmp_ne_u32_e32 vcc_lo, 0, v9
	s_delay_alu instid0(VALU_DEP_3) | instskip(NEXT) | instid1(VALU_DEP_1)
	v_min_u32_e32 v11, 32, v11
	v_sub_nc_u32_e64 v11, v11, 4 clamp
	s_delay_alu instid0(VALU_DEP_1) | instskip(NEXT) | instid1(VALU_DEP_1)
	v_dual_lshlrev_b32 v13, v11, v9 :: v_dual_lshlrev_b32 v11, 23, v11
	v_lshrrev_b32_e32 v13, 4, v13
	s_delay_alu instid0(VALU_DEP_1) | instskip(SKIP_1) | instid1(VALU_DEP_2)
	v_sub_nc_u32_e32 v11, v13, v11
	v_ashrrev_i32_e32 v13, 8, v15
	v_add_nc_u32_e32 v11, 0x3c000000, v11
	s_delay_alu instid0(VALU_DEP_1) | instskip(NEXT) | instid1(VALU_DEP_1)
	v_and_or_b32 v11, 0x7f800000, v13, v11
	v_cndmask_b32_e32 v9, 0, v11, vcc_lo
	s_delay_alu instid0(VALU_DEP_1) | instskip(NEXT) | instid1(VALU_DEP_1)
	v_and_or_b32 v7, 0x80000000, v7, v9
	v_cvt_i32_f32_e32 v7, v7
.LBB23_4493:
	s_mov_b32 s1, 0
.LBB23_4494:
	s_delay_alu instid0(SALU_CYCLE_1)
	s_and_not1_b32 vcc_lo, exec_lo, s1
	s_cbranch_vccnz .LBB23_4496
; %bb.4495:
	s_wait_loadcnt 0x0
	global_load_u8 v7, v[26:27], off
	s_wait_loadcnt 0x0
	v_lshlrev_b32_e32 v9, 25, v7
	v_lshlrev_b16 v7, 8, v7
	s_delay_alu instid0(VALU_DEP_1) | instskip(SKIP_1) | instid1(VALU_DEP_2)
	v_and_or_b32 v13, 0x7f00, v7, 0.5
	v_bfe_i32 v7, v7, 0, 16
	v_add_f32_e32 v13, -0.5, v13
	v_lshrrev_b32_e32 v11, 4, v9
	v_cmp_gt_u32_e32 vcc_lo, 0x8000000, v9
	s_delay_alu instid0(VALU_DEP_2) | instskip(NEXT) | instid1(VALU_DEP_1)
	v_or_b32_e32 v11, 0x70000000, v11
	v_mul_f32_e32 v11, 0x7800000, v11
	s_delay_alu instid0(VALU_DEP_1) | instskip(NEXT) | instid1(VALU_DEP_1)
	v_cndmask_b32_e32 v9, v11, v13, vcc_lo
	v_and_or_b32 v7, 0x80000000, v7, v9
	s_delay_alu instid0(VALU_DEP_1)
	v_cvt_i32_f32_e32 v7, v7
.LBB23_4496:
	s_mov_b32 s1, 0
	s_mov_b32 s9, -1
.LBB23_4497:
	s_and_not1_b32 vcc_lo, exec_lo, s1
	s_mov_b32 s1, 0
	s_cbranch_vccnz .LBB23_4508
; %bb.4498:
	s_cmp_gt_i32 s55, 14
	s_cbranch_scc0 .LBB23_4501
; %bb.4499:
	s_cmp_eq_u32 s55, 15
	s_cbranch_scc0 .LBB23_4504
; %bb.4500:
	s_wait_loadcnt 0x0
	global_load_u16 v7, v[26:27], off
	s_mov_b32 s0, 0
	s_mov_b32 s9, -1
	s_wait_loadcnt 0x0
	v_lshlrev_b32_e32 v7, 16, v7
	s_delay_alu instid0(VALU_DEP_1)
	v_cvt_i32_f32_e32 v7, v7
	s_branch .LBB23_4506
.LBB23_4501:
	s_mov_b32 s1, -1
	s_branch .LBB23_4505
.LBB23_4502:
	s_and_not1_saveexec_b32 s1, s1
	s_cbranch_execz .LBB23_4483
.LBB23_4503:
	v_cmp_ne_u16_e32 vcc_lo, 0, v9
	s_and_not1_b32 s9, s9, exec_lo
	s_and_b32 s24, vcc_lo, exec_lo
	s_delay_alu instid0(SALU_CYCLE_1)
	s_or_b32 s9, s9, s24
	s_or_b32 exec_lo, exec_lo, s1
	v_mov_b32_e32 v7, 0
	s_and_saveexec_b32 s1, s9
	s_cbranch_execnz .LBB23_4484
	s_branch .LBB23_4485
.LBB23_4504:
	s_mov_b32 s0, -1
.LBB23_4505:
                                        ; implicit-def: $vgpr7
.LBB23_4506:
	s_and_b32 vcc_lo, exec_lo, s1
	s_mov_b32 s1, 0
	s_cbranch_vccz .LBB23_4508
; %bb.4507:
	s_cmp_lg_u32 s55, 11
	s_mov_b32 s1, -1
	s_cselect_b32 s0, -1, 0
.LBB23_4508:
	s_delay_alu instid0(SALU_CYCLE_1)
	s_and_b32 vcc_lo, exec_lo, s0
	s_mov_b32 s54, s52
	s_cbranch_vccnz .LBB23_4573
; %bb.4509:
	s_and_not1_b32 vcc_lo, exec_lo, s1
	s_cbranch_vccnz .LBB23_4511
.LBB23_4510:
	s_wait_loadcnt 0x0
	global_load_u8 v7, v[26:27], off
	s_mov_b32 s9, -1
	s_wait_loadcnt 0x0
	v_cmp_ne_u16_e32 vcc_lo, 0, v7
	v_cndmask_b32_e64 v7, 0, 1, vcc_lo
.LBB23_4511:
	s_mov_b32 s0, 0
.LBB23_4512:
	s_delay_alu instid0(SALU_CYCLE_1)
	s_and_b32 vcc_lo, exec_lo, s0
	s_cbranch_vccz .LBB23_4561
; %bb.4513:
	s_cmp_lt_i32 s55, 5
	s_cbranch_scc1 .LBB23_4518
; %bb.4514:
	s_cmp_lt_i32 s55, 8
	s_cbranch_scc1 .LBB23_4519
	;; [unrolled: 3-line block ×3, first 2 shown]
; %bb.4516:
	s_cmp_gt_i32 s55, 9
	s_cbranch_scc0 .LBB23_4521
; %bb.4517:
	global_load_b64 v[28:29], v[26:27], off
	s_mov_b32 s0, 0
	s_wait_loadcnt 0x0
	v_cvt_i32_f64_e32 v7, v[28:29]
	s_branch .LBB23_4522
.LBB23_4518:
	s_mov_b32 s0, -1
                                        ; implicit-def: $vgpr7
	s_branch .LBB23_4540
.LBB23_4519:
	s_mov_b32 s0, -1
                                        ; implicit-def: $vgpr7
	s_branch .LBB23_4528
.LBB23_4520:
	s_mov_b32 s0, -1
                                        ; implicit-def: $vgpr7
	s_branch .LBB23_4525
.LBB23_4521:
	s_mov_b32 s0, -1
                                        ; implicit-def: $vgpr7
.LBB23_4522:
	s_delay_alu instid0(SALU_CYCLE_1)
	s_and_not1_b32 vcc_lo, exec_lo, s0
	s_cbranch_vccnz .LBB23_4524
; %bb.4523:
	s_wait_loadcnt 0x0
	global_load_b32 v7, v[26:27], off
	s_wait_loadcnt 0x0
	v_cvt_i32_f32_e32 v7, v7
.LBB23_4524:
	s_mov_b32 s0, 0
.LBB23_4525:
	s_delay_alu instid0(SALU_CYCLE_1)
	s_and_not1_b32 vcc_lo, exec_lo, s0
	s_cbranch_vccnz .LBB23_4527
; %bb.4526:
	s_wait_loadcnt 0x0
	global_load_b32 v7, v[26:27], off
	s_wait_loadcnt 0x0
	v_cvt_f32_f16_e32 v7, v7
	s_delay_alu instid0(VALU_DEP_1)
	v_cvt_i32_f32_e32 v7, v7
.LBB23_4527:
	s_mov_b32 s0, 0
.LBB23_4528:
	s_delay_alu instid0(SALU_CYCLE_1)
	s_and_not1_b32 vcc_lo, exec_lo, s0
	s_cbranch_vccnz .LBB23_4539
; %bb.4529:
	s_cmp_lt_i32 s55, 6
	s_cbranch_scc1 .LBB23_4532
; %bb.4530:
	s_cmp_gt_i32 s55, 6
	s_cbranch_scc0 .LBB23_4533
; %bb.4531:
	global_load_b64 v[28:29], v[26:27], off
	s_mov_b32 s0, 0
	s_wait_loadcnt 0x0
	v_cvt_i32_f64_e32 v7, v[28:29]
	s_branch .LBB23_4534
.LBB23_4532:
	s_mov_b32 s0, -1
                                        ; implicit-def: $vgpr7
	s_branch .LBB23_4537
.LBB23_4533:
	s_mov_b32 s0, -1
                                        ; implicit-def: $vgpr7
.LBB23_4534:
	s_delay_alu instid0(SALU_CYCLE_1)
	s_and_not1_b32 vcc_lo, exec_lo, s0
	s_cbranch_vccnz .LBB23_4536
; %bb.4535:
	s_wait_loadcnt 0x0
	global_load_b32 v7, v[26:27], off
	s_wait_loadcnt 0x0
	v_cvt_i32_f32_e32 v7, v7
.LBB23_4536:
	s_mov_b32 s0, 0
.LBB23_4537:
	s_delay_alu instid0(SALU_CYCLE_1)
	s_and_not1_b32 vcc_lo, exec_lo, s0
	s_cbranch_vccnz .LBB23_4539
; %bb.4538:
	s_wait_loadcnt 0x0
	global_load_u16 v7, v[26:27], off
	s_wait_loadcnt 0x0
	v_cvt_f32_f16_e32 v7, v7
	s_delay_alu instid0(VALU_DEP_1)
	v_cvt_i32_f32_e32 v7, v7
.LBB23_4539:
	s_mov_b32 s0, 0
.LBB23_4540:
	s_delay_alu instid0(SALU_CYCLE_1)
	s_and_not1_b32 vcc_lo, exec_lo, s0
	s_cbranch_vccnz .LBB23_4560
; %bb.4541:
	s_cmp_lt_i32 s55, 2
	s_cbranch_scc1 .LBB23_4545
; %bb.4542:
	s_cmp_lt_i32 s55, 3
	s_cbranch_scc1 .LBB23_4546
; %bb.4543:
	s_cmp_gt_i32 s55, 3
	s_cbranch_scc0 .LBB23_4547
; %bb.4544:
	s_wait_loadcnt 0x0
	global_load_b32 v7, v[26:27], off
	s_mov_b32 s0, 0
	s_branch .LBB23_4548
.LBB23_4545:
	s_mov_b32 s0, -1
                                        ; implicit-def: $vgpr7
	s_branch .LBB23_4554
.LBB23_4546:
	s_mov_b32 s0, -1
                                        ; implicit-def: $vgpr7
	s_branch .LBB23_4551
.LBB23_4547:
	s_mov_b32 s0, -1
                                        ; implicit-def: $vgpr7
.LBB23_4548:
	s_delay_alu instid0(SALU_CYCLE_1)
	s_and_not1_b32 vcc_lo, exec_lo, s0
	s_cbranch_vccnz .LBB23_4550
; %bb.4549:
	s_wait_loadcnt 0x0
	global_load_b32 v7, v[26:27], off
.LBB23_4550:
	s_mov_b32 s0, 0
.LBB23_4551:
	s_delay_alu instid0(SALU_CYCLE_1)
	s_and_not1_b32 vcc_lo, exec_lo, s0
	s_cbranch_vccnz .LBB23_4553
; %bb.4552:
	s_wait_loadcnt 0x0
	global_load_i16 v7, v[26:27], off
.LBB23_4553:
	s_mov_b32 s0, 0
.LBB23_4554:
	s_delay_alu instid0(SALU_CYCLE_1)
	s_and_not1_b32 vcc_lo, exec_lo, s0
	s_cbranch_vccnz .LBB23_4560
; %bb.4555:
	s_cmp_gt_i32 s55, 0
	s_mov_b32 s0, 0
	s_cbranch_scc0 .LBB23_4557
; %bb.4556:
	s_wait_loadcnt 0x0
	global_load_i8 v7, v[26:27], off
	s_branch .LBB23_4558
.LBB23_4557:
	s_mov_b32 s0, -1
                                        ; implicit-def: $vgpr7
.LBB23_4558:
	s_delay_alu instid0(SALU_CYCLE_1)
	s_and_not1_b32 vcc_lo, exec_lo, s0
	s_cbranch_vccnz .LBB23_4560
; %bb.4559:
	s_wait_loadcnt 0x0
	global_load_u8 v7, v[26:27], off
.LBB23_4560:
	s_mov_b32 s9, -1
.LBB23_4561:
	s_delay_alu instid0(SALU_CYCLE_1)
	s_and_not1_b32 vcc_lo, exec_lo, s9
	s_cbranch_vccnz .LBB23_5081
; %bb.4562:
	v_mov_b32_e32 v25, 0
	s_cmp_lt_i32 s56, 11
	s_delay_alu instid0(VALU_DEP_1)
	v_add_nc_u64_e32 v[24:25], s[12:13], v[24:25]
	s_cbranch_scc1 .LBB23_4569
; %bb.4563:
	s_cmp_gt_i32 s56, 25
	s_mov_b32 s1, 0
	s_cbranch_scc0 .LBB23_4570
; %bb.4564:
	s_cmp_gt_i32 s56, 28
	s_cbranch_scc0 .LBB23_4571
; %bb.4565:
	s_cmp_gt_i32 s56, 43
	;; [unrolled: 3-line block ×3, first 2 shown]
	s_cbranch_scc0 .LBB23_4574
; %bb.4567:
	s_cmp_eq_u32 s56, 46
	s_mov_b32 s24, 0
	s_cbranch_scc0 .LBB23_4576
; %bb.4568:
	global_load_b32 v9, v[24:25], off
	s_mov_b32 s0, 0
	s_mov_b32 s9, -1
	s_wait_loadcnt 0x0
	v_lshlrev_b32_e32 v9, 16, v9
	s_delay_alu instid0(VALU_DEP_1)
	v_cvt_i32_f32_e32 v9, v9
	s_branch .LBB23_4578
.LBB23_4569:
	s_mov_b32 s0, -1
	s_mov_b32 s9, 0
                                        ; implicit-def: $vgpr9
	s_branch .LBB23_4640
.LBB23_4570:
	s_mov_b32 s24, -1
	s_mov_b32 s9, 0
	s_mov_b32 s0, 0
                                        ; implicit-def: $vgpr9
	s_branch .LBB23_4605
.LBB23_4571:
	s_mov_b32 s24, -1
	s_mov_b32 s9, 0
	s_mov_b32 s0, 0
                                        ; implicit-def: $vgpr9
	s_branch .LBB23_4588
.LBB23_4572:
	s_mov_b32 s24, -1
	s_mov_b32 s9, 0
	s_mov_b32 s0, 0
                                        ; implicit-def: $vgpr9
	s_branch .LBB23_4583
.LBB23_4573:
	s_or_b32 s54, s52, exec_lo
	s_trap 2
	s_cbranch_execz .LBB23_4510
	s_branch .LBB23_4511
.LBB23_4574:
	s_mov_b32 s24, -1
	s_mov_b32 s9, 0
	s_mov_b32 s0, 0
	s_branch .LBB23_4577
.LBB23_4575:
	s_or_b32 s44, s44, exec_lo
	s_trap 2
                                        ; implicit-def: $vgpr9
                                        ; implicit-def: $vgpr32
                                        ; implicit-def: $vgpr30
                                        ; implicit-def: $vgpr34
                                        ; implicit-def: $vgpr5
                                        ; implicit-def: $vgpr6
                                        ; implicit-def: $vgpr4
                                        ; implicit-def: $vgpr20
                                        ; implicit-def: $vgpr18
                                        ; implicit-def: $vgpr24
                                        ; implicit-def: $vgpr22
                                        ; implicit-def: $vgpr2
                                        ; implicit-def: $vgpr26
                                        ; implicit-def: $vgpr10
                                        ; implicit-def: $vgpr8
                                        ; implicit-def: $vgpr14
                                        ; implicit-def: $vgpr12
                                        ; implicit-def: $vgpr0
                                        ; implicit-def: $vgpr16
                                        ; implicit-def: $vgpr1
                                        ; implicit-def: $vgpr3
	s_branch .LBB23_4408
.LBB23_4576:
	s_mov_b32 s0, -1
	s_mov_b32 s9, 0
.LBB23_4577:
                                        ; implicit-def: $vgpr9
.LBB23_4578:
	s_and_b32 vcc_lo, exec_lo, s24
	s_cbranch_vccz .LBB23_4582
; %bb.4579:
	s_cmp_eq_u32 s56, 44
	s_cbranch_scc0 .LBB23_4581
; %bb.4580:
	global_load_u8 v9, v[24:25], off
	s_mov_b32 s0, 0
	s_mov_b32 s9, -1
	s_wait_loadcnt 0x0
	v_lshlrev_b32_e32 v11, 23, v9
	v_cmp_ne_u32_e32 vcc_lo, 0, v9
	s_delay_alu instid0(VALU_DEP_2) | instskip(NEXT) | instid1(VALU_DEP_1)
	v_cvt_i32_f32_e32 v11, v11
	v_cndmask_b32_e32 v9, 0, v11, vcc_lo
	s_branch .LBB23_4582
.LBB23_4581:
	s_mov_b32 s0, -1
                                        ; implicit-def: $vgpr9
.LBB23_4582:
	s_mov_b32 s24, 0
.LBB23_4583:
	s_delay_alu instid0(SALU_CYCLE_1)
	s_and_b32 vcc_lo, exec_lo, s24
	s_cbranch_vccz .LBB23_4587
; %bb.4584:
	s_cmp_eq_u32 s56, 29
	s_cbranch_scc0 .LBB23_4586
; %bb.4585:
	global_load_b32 v9, v[24:25], off
	s_mov_b32 s0, 0
	s_mov_b32 s9, -1
	s_branch .LBB23_4587
.LBB23_4586:
	s_mov_b32 s0, -1
                                        ; implicit-def: $vgpr9
.LBB23_4587:
	s_mov_b32 s24, 0
.LBB23_4588:
	s_delay_alu instid0(SALU_CYCLE_1)
	s_and_b32 vcc_lo, exec_lo, s24
	s_cbranch_vccz .LBB23_4604
; %bb.4589:
	s_cmp_lt_i32 s56, 27
	s_cbranch_scc1 .LBB23_4592
; %bb.4590:
	s_cmp_gt_i32 s56, 27
	s_cbranch_scc0 .LBB23_4593
; %bb.4591:
	s_wait_loadcnt 0x0
	global_load_b32 v9, v[24:25], off
	s_mov_b32 s9, 0
	s_branch .LBB23_4594
.LBB23_4592:
	s_mov_b32 s9, -1
                                        ; implicit-def: $vgpr9
	s_branch .LBB23_4597
.LBB23_4593:
	s_mov_b32 s9, -1
                                        ; implicit-def: $vgpr9
.LBB23_4594:
	s_delay_alu instid0(SALU_CYCLE_1)
	s_and_not1_b32 vcc_lo, exec_lo, s9
	s_cbranch_vccnz .LBB23_4596
; %bb.4595:
	s_wait_loadcnt 0x0
	global_load_u16 v9, v[24:25], off
.LBB23_4596:
	s_mov_b32 s9, 0
.LBB23_4597:
	s_delay_alu instid0(SALU_CYCLE_1)
	s_and_not1_b32 vcc_lo, exec_lo, s9
	s_cbranch_vccnz .LBB23_4603
; %bb.4598:
	global_load_u8 v11, v[24:25], off
	s_mov_b32 s24, 0
	s_mov_b32 s9, exec_lo
	s_wait_loadcnt 0x0
	v_cmpx_lt_i16_e32 0x7f, v11
	s_xor_b32 s9, exec_lo, s9
	s_cbranch_execz .LBB23_4615
; %bb.4599:
	v_cmp_ne_u16_e32 vcc_lo, 0x80, v11
	s_and_b32 s24, vcc_lo, exec_lo
	s_and_not1_saveexec_b32 s9, s9
	s_cbranch_execnz .LBB23_4616
.LBB23_4600:
	s_or_b32 exec_lo, exec_lo, s9
	v_mov_b32_e32 v9, 0
	s_and_saveexec_b32 s9, s24
	s_cbranch_execz .LBB23_4602
.LBB23_4601:
	v_and_b32_e32 v9, 0xffff, v11
	s_delay_alu instid0(VALU_DEP_1) | instskip(SKIP_1) | instid1(VALU_DEP_2)
	v_and_b32_e32 v13, 7, v9
	v_bfe_u32 v19, v9, 3, 4
	v_clz_i32_u32_e32 v15, v13
	s_delay_alu instid0(VALU_DEP_2) | instskip(NEXT) | instid1(VALU_DEP_2)
	v_cmp_eq_u32_e32 vcc_lo, 0, v19
	v_min_u32_e32 v15, 32, v15
	s_delay_alu instid0(VALU_DEP_1) | instskip(NEXT) | instid1(VALU_DEP_1)
	v_subrev_nc_u32_e32 v17, 28, v15
	v_dual_lshlrev_b32 v9, v17, v9 :: v_dual_sub_nc_u32 v15, 29, v15
	s_delay_alu instid0(VALU_DEP_1) | instskip(NEXT) | instid1(VALU_DEP_1)
	v_dual_lshlrev_b32 v11, 24, v11 :: v_dual_bitop2_b32 v9, 7, v9 bitop3:0x40
	v_dual_cndmask_b32 v9, v13, v9, vcc_lo :: v_dual_cndmask_b32 v15, v19, v15, vcc_lo
	s_delay_alu instid0(VALU_DEP_2) | instskip(NEXT) | instid1(VALU_DEP_2)
	v_and_b32_e32 v11, 0x80000000, v11
	v_lshlrev_b32_e32 v9, 20, v9
	s_delay_alu instid0(VALU_DEP_3) | instskip(NEXT) | instid1(VALU_DEP_1)
	v_lshl_add_u32 v13, v15, 23, 0x3b800000
	v_or3_b32 v9, v11, v13, v9
	s_delay_alu instid0(VALU_DEP_1)
	v_cvt_i32_f32_e32 v9, v9
.LBB23_4602:
	s_or_b32 exec_lo, exec_lo, s9
.LBB23_4603:
	s_mov_b32 s9, -1
.LBB23_4604:
	s_mov_b32 s24, 0
.LBB23_4605:
	s_delay_alu instid0(SALU_CYCLE_1)
	s_and_b32 vcc_lo, exec_lo, s24
	s_cbranch_vccz .LBB23_4636
; %bb.4606:
	s_cmp_gt_i32 s56, 22
	s_cbranch_scc0 .LBB23_4614
; %bb.4607:
	s_cmp_lt_i32 s56, 24
	s_cbranch_scc1 .LBB23_4617
; %bb.4608:
	s_cmp_gt_i32 s56, 24
	s_cbranch_scc0 .LBB23_4618
; %bb.4609:
	global_load_u8 v11, v[24:25], off
	s_mov_b32 s9, 0
	s_mov_b32 s1, exec_lo
	s_wait_loadcnt 0x0
	v_cmpx_lt_i16_e32 0x7f, v11
	s_xor_b32 s1, exec_lo, s1
	s_cbranch_execz .LBB23_4630
; %bb.4610:
	v_cmp_ne_u16_e32 vcc_lo, 0x80, v11
	s_and_b32 s9, vcc_lo, exec_lo
	s_and_not1_saveexec_b32 s1, s1
	s_cbranch_execnz .LBB23_4631
.LBB23_4611:
	s_or_b32 exec_lo, exec_lo, s1
	v_mov_b32_e32 v9, 0
	s_and_saveexec_b32 s1, s9
	s_cbranch_execz .LBB23_4613
.LBB23_4612:
	v_and_b32_e32 v9, 0xffff, v11
	s_delay_alu instid0(VALU_DEP_1) | instskip(SKIP_1) | instid1(VALU_DEP_2)
	v_and_b32_e32 v13, 3, v9
	v_bfe_u32 v19, v9, 2, 5
	v_clz_i32_u32_e32 v15, v13
	s_delay_alu instid0(VALU_DEP_2) | instskip(NEXT) | instid1(VALU_DEP_2)
	v_cmp_eq_u32_e32 vcc_lo, 0, v19
	v_min_u32_e32 v15, 32, v15
	s_delay_alu instid0(VALU_DEP_1) | instskip(NEXT) | instid1(VALU_DEP_1)
	v_subrev_nc_u32_e32 v17, 29, v15
	v_dual_lshlrev_b32 v9, v17, v9 :: v_dual_sub_nc_u32 v15, 30, v15
	s_delay_alu instid0(VALU_DEP_1) | instskip(NEXT) | instid1(VALU_DEP_1)
	v_dual_lshlrev_b32 v11, 24, v11 :: v_dual_bitop2_b32 v9, 3, v9 bitop3:0x40
	v_dual_cndmask_b32 v9, v13, v9, vcc_lo :: v_dual_cndmask_b32 v15, v19, v15, vcc_lo
	s_delay_alu instid0(VALU_DEP_2) | instskip(NEXT) | instid1(VALU_DEP_2)
	v_and_b32_e32 v11, 0x80000000, v11
	v_lshlrev_b32_e32 v9, 21, v9
	s_delay_alu instid0(VALU_DEP_3) | instskip(NEXT) | instid1(VALU_DEP_1)
	v_lshl_add_u32 v13, v15, 23, 0x37800000
	v_or3_b32 v9, v11, v13, v9
	s_delay_alu instid0(VALU_DEP_1)
	v_cvt_i32_f32_e32 v9, v9
.LBB23_4613:
	s_or_b32 exec_lo, exec_lo, s1
	s_mov_b32 s1, 0
	s_branch .LBB23_4619
.LBB23_4614:
	s_mov_b32 s1, -1
                                        ; implicit-def: $vgpr9
	s_branch .LBB23_4625
.LBB23_4615:
	s_and_not1_saveexec_b32 s9, s9
	s_cbranch_execz .LBB23_4600
.LBB23_4616:
	v_cmp_ne_u16_e32 vcc_lo, 0, v11
	s_and_not1_b32 s24, s24, exec_lo
	s_and_b32 s25, vcc_lo, exec_lo
	s_delay_alu instid0(SALU_CYCLE_1)
	s_or_b32 s24, s24, s25
	s_or_b32 exec_lo, exec_lo, s9
	v_mov_b32_e32 v9, 0
	s_and_saveexec_b32 s9, s24
	s_cbranch_execnz .LBB23_4601
	s_branch .LBB23_4602
.LBB23_4617:
	s_mov_b32 s1, -1
                                        ; implicit-def: $vgpr9
	s_branch .LBB23_4622
.LBB23_4618:
	s_mov_b32 s1, -1
                                        ; implicit-def: $vgpr9
.LBB23_4619:
	s_delay_alu instid0(SALU_CYCLE_1)
	s_and_b32 vcc_lo, exec_lo, s1
	s_cbranch_vccz .LBB23_4621
; %bb.4620:
	s_wait_loadcnt 0x0
	global_load_u8 v9, v[24:25], off
	s_wait_loadcnt 0x0
	v_lshlrev_b32_e32 v9, 24, v9
	s_delay_alu instid0(VALU_DEP_1) | instskip(NEXT) | instid1(VALU_DEP_1)
	v_and_b32_e32 v11, 0x7f000000, v9
	v_clz_i32_u32_e32 v13, v11
	v_add_nc_u32_e32 v17, 0x1000000, v11
	v_cmp_ne_u32_e32 vcc_lo, 0, v11
	s_delay_alu instid0(VALU_DEP_3) | instskip(NEXT) | instid1(VALU_DEP_1)
	v_min_u32_e32 v13, 32, v13
	v_sub_nc_u32_e64 v13, v13, 4 clamp
	s_delay_alu instid0(VALU_DEP_1) | instskip(NEXT) | instid1(VALU_DEP_1)
	v_dual_lshlrev_b32 v15, v13, v11 :: v_dual_lshlrev_b32 v13, 23, v13
	v_lshrrev_b32_e32 v15, 4, v15
	s_delay_alu instid0(VALU_DEP_1) | instskip(SKIP_1) | instid1(VALU_DEP_2)
	v_sub_nc_u32_e32 v13, v15, v13
	v_ashrrev_i32_e32 v15, 8, v17
	v_add_nc_u32_e32 v13, 0x3c000000, v13
	s_delay_alu instid0(VALU_DEP_1) | instskip(NEXT) | instid1(VALU_DEP_1)
	v_and_or_b32 v13, 0x7f800000, v15, v13
	v_cndmask_b32_e32 v11, 0, v13, vcc_lo
	s_delay_alu instid0(VALU_DEP_1) | instskip(NEXT) | instid1(VALU_DEP_1)
	v_and_or_b32 v9, 0x80000000, v9, v11
	v_cvt_i32_f32_e32 v9, v9
.LBB23_4621:
	s_mov_b32 s1, 0
.LBB23_4622:
	s_delay_alu instid0(SALU_CYCLE_1)
	s_and_not1_b32 vcc_lo, exec_lo, s1
	s_cbranch_vccnz .LBB23_4624
; %bb.4623:
	s_wait_loadcnt 0x0
	global_load_u8 v9, v[24:25], off
	s_wait_loadcnt 0x0
	v_lshlrev_b32_e32 v11, 25, v9
	v_lshlrev_b16 v9, 8, v9
	s_delay_alu instid0(VALU_DEP_1) | instskip(SKIP_1) | instid1(VALU_DEP_2)
	v_and_or_b32 v15, 0x7f00, v9, 0.5
	v_bfe_i32 v9, v9, 0, 16
	v_add_f32_e32 v15, -0.5, v15
	v_lshrrev_b32_e32 v13, 4, v11
	v_cmp_gt_u32_e32 vcc_lo, 0x8000000, v11
	s_delay_alu instid0(VALU_DEP_2) | instskip(NEXT) | instid1(VALU_DEP_1)
	v_or_b32_e32 v13, 0x70000000, v13
	v_mul_f32_e32 v13, 0x7800000, v13
	s_delay_alu instid0(VALU_DEP_1) | instskip(NEXT) | instid1(VALU_DEP_1)
	v_cndmask_b32_e32 v11, v13, v15, vcc_lo
	v_and_or_b32 v9, 0x80000000, v9, v11
	s_delay_alu instid0(VALU_DEP_1)
	v_cvt_i32_f32_e32 v9, v9
.LBB23_4624:
	s_mov_b32 s1, 0
	s_mov_b32 s9, -1
.LBB23_4625:
	s_and_not1_b32 vcc_lo, exec_lo, s1
	s_mov_b32 s1, 0
	s_cbranch_vccnz .LBB23_4636
; %bb.4626:
	s_cmp_gt_i32 s56, 14
	s_cbranch_scc0 .LBB23_4629
; %bb.4627:
	s_cmp_eq_u32 s56, 15
	s_cbranch_scc0 .LBB23_4632
; %bb.4628:
	s_wait_loadcnt 0x0
	global_load_u16 v9, v[24:25], off
	s_mov_b32 s0, 0
	s_mov_b32 s9, -1
	s_wait_loadcnt 0x0
	v_lshlrev_b32_e32 v9, 16, v9
	s_delay_alu instid0(VALU_DEP_1)
	v_cvt_i32_f32_e32 v9, v9
	s_branch .LBB23_4634
.LBB23_4629:
	s_mov_b32 s1, -1
	s_branch .LBB23_4633
.LBB23_4630:
	s_and_not1_saveexec_b32 s1, s1
	s_cbranch_execz .LBB23_4611
.LBB23_4631:
	v_cmp_ne_u16_e32 vcc_lo, 0, v11
	s_and_not1_b32 s9, s9, exec_lo
	s_and_b32 s24, vcc_lo, exec_lo
	s_delay_alu instid0(SALU_CYCLE_1)
	s_or_b32 s9, s9, s24
	s_or_b32 exec_lo, exec_lo, s1
	v_mov_b32_e32 v9, 0
	s_and_saveexec_b32 s1, s9
	s_cbranch_execnz .LBB23_4612
	s_branch .LBB23_4613
.LBB23_4632:
	s_mov_b32 s0, -1
.LBB23_4633:
                                        ; implicit-def: $vgpr9
.LBB23_4634:
	s_and_b32 vcc_lo, exec_lo, s1
	s_mov_b32 s1, 0
	s_cbranch_vccz .LBB23_4636
; %bb.4635:
	s_cmp_lg_u32 s56, 11
	s_mov_b32 s1, -1
	s_cselect_b32 s0, -1, 0
.LBB23_4636:
	s_delay_alu instid0(SALU_CYCLE_1)
	s_and_b32 vcc_lo, exec_lo, s0
	s_cbranch_vccnz .LBB23_4701
; %bb.4637:
	s_and_not1_b32 vcc_lo, exec_lo, s1
	s_cbranch_vccnz .LBB23_4639
.LBB23_4638:
	s_wait_loadcnt 0x0
	global_load_u8 v9, v[24:25], off
	s_mov_b32 s9, -1
	s_wait_loadcnt 0x0
	v_cmp_ne_u16_e32 vcc_lo, 0, v9
	v_cndmask_b32_e64 v9, 0, 1, vcc_lo
.LBB23_4639:
	s_mov_b32 s0, 0
.LBB23_4640:
	s_delay_alu instid0(SALU_CYCLE_1)
	s_and_b32 vcc_lo, exec_lo, s0
	s_cbranch_vccz .LBB23_4689
; %bb.4641:
	s_cmp_lt_i32 s56, 5
	s_cbranch_scc1 .LBB23_4646
; %bb.4642:
	s_cmp_lt_i32 s56, 8
	s_cbranch_scc1 .LBB23_4647
	;; [unrolled: 3-line block ×3, first 2 shown]
; %bb.4644:
	s_cmp_gt_i32 s56, 9
	s_cbranch_scc0 .LBB23_4649
; %bb.4645:
	global_load_b64 v[26:27], v[24:25], off
	s_mov_b32 s0, 0
	s_wait_loadcnt 0x0
	v_cvt_i32_f64_e32 v9, v[26:27]
	s_branch .LBB23_4650
.LBB23_4646:
	s_mov_b32 s0, -1
                                        ; implicit-def: $vgpr9
	s_branch .LBB23_4668
.LBB23_4647:
	s_mov_b32 s0, -1
                                        ; implicit-def: $vgpr9
	s_branch .LBB23_4656
.LBB23_4648:
	s_mov_b32 s0, -1
                                        ; implicit-def: $vgpr9
	s_branch .LBB23_4653
.LBB23_4649:
	s_mov_b32 s0, -1
                                        ; implicit-def: $vgpr9
.LBB23_4650:
	s_delay_alu instid0(SALU_CYCLE_1)
	s_and_not1_b32 vcc_lo, exec_lo, s0
	s_cbranch_vccnz .LBB23_4652
; %bb.4651:
	s_wait_loadcnt 0x0
	global_load_b32 v9, v[24:25], off
	s_wait_loadcnt 0x0
	v_cvt_i32_f32_e32 v9, v9
.LBB23_4652:
	s_mov_b32 s0, 0
.LBB23_4653:
	s_delay_alu instid0(SALU_CYCLE_1)
	s_and_not1_b32 vcc_lo, exec_lo, s0
	s_cbranch_vccnz .LBB23_4655
; %bb.4654:
	s_wait_loadcnt 0x0
	global_load_b32 v9, v[24:25], off
	s_wait_loadcnt 0x0
	v_cvt_f32_f16_e32 v9, v9
	s_delay_alu instid0(VALU_DEP_1)
	v_cvt_i32_f32_e32 v9, v9
.LBB23_4655:
	s_mov_b32 s0, 0
.LBB23_4656:
	s_delay_alu instid0(SALU_CYCLE_1)
	s_and_not1_b32 vcc_lo, exec_lo, s0
	s_cbranch_vccnz .LBB23_4667
; %bb.4657:
	s_cmp_lt_i32 s56, 6
	s_cbranch_scc1 .LBB23_4660
; %bb.4658:
	s_cmp_gt_i32 s56, 6
	s_cbranch_scc0 .LBB23_4661
; %bb.4659:
	global_load_b64 v[26:27], v[24:25], off
	s_mov_b32 s0, 0
	s_wait_loadcnt 0x0
	v_cvt_i32_f64_e32 v9, v[26:27]
	s_branch .LBB23_4662
.LBB23_4660:
	s_mov_b32 s0, -1
                                        ; implicit-def: $vgpr9
	s_branch .LBB23_4665
.LBB23_4661:
	s_mov_b32 s0, -1
                                        ; implicit-def: $vgpr9
.LBB23_4662:
	s_delay_alu instid0(SALU_CYCLE_1)
	s_and_not1_b32 vcc_lo, exec_lo, s0
	s_cbranch_vccnz .LBB23_4664
; %bb.4663:
	s_wait_loadcnt 0x0
	global_load_b32 v9, v[24:25], off
	s_wait_loadcnt 0x0
	v_cvt_i32_f32_e32 v9, v9
.LBB23_4664:
	s_mov_b32 s0, 0
.LBB23_4665:
	s_delay_alu instid0(SALU_CYCLE_1)
	s_and_not1_b32 vcc_lo, exec_lo, s0
	s_cbranch_vccnz .LBB23_4667
; %bb.4666:
	s_wait_loadcnt 0x0
	global_load_u16 v9, v[24:25], off
	s_wait_loadcnt 0x0
	v_cvt_f32_f16_e32 v9, v9
	s_delay_alu instid0(VALU_DEP_1)
	v_cvt_i32_f32_e32 v9, v9
.LBB23_4667:
	s_mov_b32 s0, 0
.LBB23_4668:
	s_delay_alu instid0(SALU_CYCLE_1)
	s_and_not1_b32 vcc_lo, exec_lo, s0
	s_cbranch_vccnz .LBB23_4688
; %bb.4669:
	s_cmp_lt_i32 s56, 2
	s_cbranch_scc1 .LBB23_4673
; %bb.4670:
	s_cmp_lt_i32 s56, 3
	s_cbranch_scc1 .LBB23_4674
; %bb.4671:
	s_cmp_gt_i32 s56, 3
	s_cbranch_scc0 .LBB23_4675
; %bb.4672:
	s_wait_loadcnt 0x0
	global_load_b32 v9, v[24:25], off
	s_mov_b32 s0, 0
	s_branch .LBB23_4676
.LBB23_4673:
	s_mov_b32 s0, -1
                                        ; implicit-def: $vgpr9
	s_branch .LBB23_4682
.LBB23_4674:
	s_mov_b32 s0, -1
                                        ; implicit-def: $vgpr9
	s_branch .LBB23_4679
.LBB23_4675:
	s_mov_b32 s0, -1
                                        ; implicit-def: $vgpr9
.LBB23_4676:
	s_delay_alu instid0(SALU_CYCLE_1)
	s_and_not1_b32 vcc_lo, exec_lo, s0
	s_cbranch_vccnz .LBB23_4678
; %bb.4677:
	s_wait_loadcnt 0x0
	global_load_b32 v9, v[24:25], off
.LBB23_4678:
	s_mov_b32 s0, 0
.LBB23_4679:
	s_delay_alu instid0(SALU_CYCLE_1)
	s_and_not1_b32 vcc_lo, exec_lo, s0
	s_cbranch_vccnz .LBB23_4681
; %bb.4680:
	s_wait_loadcnt 0x0
	global_load_i16 v9, v[24:25], off
.LBB23_4681:
	s_mov_b32 s0, 0
.LBB23_4682:
	s_delay_alu instid0(SALU_CYCLE_1)
	s_and_not1_b32 vcc_lo, exec_lo, s0
	s_cbranch_vccnz .LBB23_4688
; %bb.4683:
	s_cmp_gt_i32 s56, 0
	s_mov_b32 s0, 0
	s_cbranch_scc0 .LBB23_4685
; %bb.4684:
	s_wait_loadcnt 0x0
	global_load_i8 v9, v[24:25], off
	s_branch .LBB23_4686
.LBB23_4685:
	s_mov_b32 s0, -1
                                        ; implicit-def: $vgpr9
.LBB23_4686:
	s_delay_alu instid0(SALU_CYCLE_1)
	s_and_not1_b32 vcc_lo, exec_lo, s0
	s_cbranch_vccnz .LBB23_4688
; %bb.4687:
	s_wait_loadcnt 0x0
	global_load_u8 v9, v[24:25], off
.LBB23_4688:
	s_mov_b32 s9, -1
.LBB23_4689:
	s_delay_alu instid0(SALU_CYCLE_1)
	s_and_not1_b32 vcc_lo, exec_lo, s9
	s_cbranch_vccnz .LBB23_5081
; %bb.4690:
	v_mov_b32_e32 v23, 0
	s_cmp_lt_i32 s57, 11
	s_wait_xcnt 0x0
	s_delay_alu instid0(VALU_DEP_1)
	v_add_nc_u64_e32 v[24:25], s[14:15], v[22:23]
	s_cbranch_scc1 .LBB23_4697
; %bb.4691:
	s_cmp_gt_i32 s57, 25
	s_mov_b32 s1, 0
	s_cbranch_scc0 .LBB23_4698
; %bb.4692:
	s_cmp_gt_i32 s57, 28
	s_cbranch_scc0 .LBB23_4699
; %bb.4693:
	s_cmp_gt_i32 s57, 43
	;; [unrolled: 3-line block ×3, first 2 shown]
	s_cbranch_scc0 .LBB23_4702
; %bb.4695:
	s_cmp_eq_u32 s57, 46
	s_mov_b32 s24, 0
	s_cbranch_scc0 .LBB23_4704
; %bb.4696:
	global_load_b32 v11, v[24:25], off
	s_mov_b32 s0, 0
	s_mov_b32 s9, -1
	s_wait_loadcnt 0x0
	v_lshlrev_b32_e32 v11, 16, v11
	s_delay_alu instid0(VALU_DEP_1)
	v_cvt_i32_f32_e32 v22, v11
	s_branch .LBB23_4706
.LBB23_4697:
	s_mov_b32 s0, -1
	s_mov_b32 s9, 0
                                        ; implicit-def: $vgpr22
	s_branch .LBB23_4768
.LBB23_4698:
	s_mov_b32 s24, -1
	s_mov_b32 s9, 0
	s_mov_b32 s0, 0
                                        ; implicit-def: $vgpr22
	s_branch .LBB23_4733
.LBB23_4699:
	s_mov_b32 s24, -1
	s_mov_b32 s9, 0
	s_mov_b32 s0, 0
                                        ; implicit-def: $vgpr22
	s_branch .LBB23_4716
.LBB23_4700:
	s_mov_b32 s24, -1
	s_mov_b32 s9, 0
	s_mov_b32 s0, 0
                                        ; implicit-def: $vgpr22
	s_branch .LBB23_4711
.LBB23_4701:
	s_or_b32 s54, s54, exec_lo
	s_trap 2
	s_cbranch_execz .LBB23_4638
	s_branch .LBB23_4639
.LBB23_4702:
	s_mov_b32 s24, -1
	s_mov_b32 s9, 0
	s_mov_b32 s0, 0
	s_branch .LBB23_4705
.LBB23_4703:
	s_or_b32 s48, s44, exec_lo
	s_trap 2
                                        ; implicit-def: $vgpr32
                                        ; implicit-def: $vgpr30
                                        ; implicit-def: $vgpr34
                                        ; implicit-def: $vgpr5
                                        ; implicit-def: $vgpr6
                                        ; implicit-def: $vgpr4
                                        ; implicit-def: $vgpr20
                                        ; implicit-def: $vgpr18
                                        ; implicit-def: $vgpr24
                                        ; implicit-def: $vgpr22
                                        ; implicit-def: $vgpr2
                                        ; implicit-def: $vgpr26
                                        ; implicit-def: $vgpr10
                                        ; implicit-def: $vgpr8
                                        ; implicit-def: $vgpr14
                                        ; implicit-def: $vgpr12
                                        ; implicit-def: $vgpr0
                                        ; implicit-def: $vgpr16
                                        ; implicit-def: $vgpr1
                                        ; implicit-def: $vgpr3
	s_or_saveexec_b32 s49, s0
                                        ; implicit-def: $vgpr38_vgpr39
                                        ; implicit-def: $sgpr0
	s_delay_alu instid0(SALU_CYCLE_1)
	s_xor_b32 exec_lo, exec_lo, s49
	s_cbranch_execz .LBB23_5085
	s_branch .LBB23_4411
.LBB23_4704:
	s_mov_b32 s0, -1
	s_mov_b32 s9, 0
.LBB23_4705:
                                        ; implicit-def: $vgpr22
.LBB23_4706:
	s_and_b32 vcc_lo, exec_lo, s24
	s_cbranch_vccz .LBB23_4710
; %bb.4707:
	s_cmp_eq_u32 s57, 44
	s_cbranch_scc0 .LBB23_4709
; %bb.4708:
	global_load_u8 v11, v[24:25], off
	s_mov_b32 s0, 0
	s_mov_b32 s9, -1
	s_wait_loadcnt 0x0
	v_lshlrev_b32_e32 v13, 23, v11
	v_cmp_ne_u32_e32 vcc_lo, 0, v11
	s_delay_alu instid0(VALU_DEP_2) | instskip(NEXT) | instid1(VALU_DEP_1)
	v_cvt_i32_f32_e32 v13, v13
	v_cndmask_b32_e32 v22, 0, v13, vcc_lo
	s_branch .LBB23_4710
.LBB23_4709:
	s_mov_b32 s0, -1
                                        ; implicit-def: $vgpr22
.LBB23_4710:
	s_mov_b32 s24, 0
.LBB23_4711:
	s_delay_alu instid0(SALU_CYCLE_1)
	s_and_b32 vcc_lo, exec_lo, s24
	s_cbranch_vccz .LBB23_4715
; %bb.4712:
	s_cmp_eq_u32 s57, 29
	s_cbranch_scc0 .LBB23_4714
; %bb.4713:
	global_load_b32 v22, v[24:25], off
	s_mov_b32 s0, 0
	s_mov_b32 s9, -1
	s_branch .LBB23_4715
.LBB23_4714:
	s_mov_b32 s0, -1
                                        ; implicit-def: $vgpr22
.LBB23_4715:
	s_mov_b32 s24, 0
.LBB23_4716:
	s_delay_alu instid0(SALU_CYCLE_1)
	s_and_b32 vcc_lo, exec_lo, s24
	s_cbranch_vccz .LBB23_4732
; %bb.4717:
	s_cmp_lt_i32 s57, 27
	s_cbranch_scc1 .LBB23_4720
; %bb.4718:
	s_cmp_gt_i32 s57, 27
	s_cbranch_scc0 .LBB23_4721
; %bb.4719:
	s_wait_loadcnt 0x0
	global_load_b32 v22, v[24:25], off
	s_mov_b32 s9, 0
	s_branch .LBB23_4722
.LBB23_4720:
	s_mov_b32 s9, -1
                                        ; implicit-def: $vgpr22
	s_branch .LBB23_4725
.LBB23_4721:
	s_mov_b32 s9, -1
                                        ; implicit-def: $vgpr22
.LBB23_4722:
	s_delay_alu instid0(SALU_CYCLE_1)
	s_and_not1_b32 vcc_lo, exec_lo, s9
	s_cbranch_vccnz .LBB23_4724
; %bb.4723:
	s_wait_loadcnt 0x0
	global_load_u16 v22, v[24:25], off
.LBB23_4724:
	s_mov_b32 s9, 0
.LBB23_4725:
	s_delay_alu instid0(SALU_CYCLE_1)
	s_and_not1_b32 vcc_lo, exec_lo, s9
	s_cbranch_vccnz .LBB23_4731
; %bb.4726:
	global_load_u8 v11, v[24:25], off
	s_mov_b32 s24, 0
	s_mov_b32 s9, exec_lo
	s_wait_loadcnt 0x0
	v_cmpx_lt_i16_e32 0x7f, v11
	s_xor_b32 s9, exec_lo, s9
	s_cbranch_execz .LBB23_4743
; %bb.4727:
	v_cmp_ne_u16_e32 vcc_lo, 0x80, v11
	s_and_b32 s24, vcc_lo, exec_lo
	s_and_not1_saveexec_b32 s9, s9
	s_cbranch_execnz .LBB23_4744
.LBB23_4728:
	s_or_b32 exec_lo, exec_lo, s9
	v_mov_b32_e32 v22, 0
	s_and_saveexec_b32 s9, s24
	s_cbranch_execz .LBB23_4730
.LBB23_4729:
	v_and_b32_e32 v13, 0xffff, v11
	s_delay_alu instid0(VALU_DEP_1) | instskip(SKIP_1) | instid1(VALU_DEP_2)
	v_dual_lshlrev_b32 v11, 24, v11 :: v_dual_bitop2_b32 v15, 7, v13 bitop3:0x40
	v_bfe_u32 v21, v13, 3, 4
	v_and_b32_e32 v11, 0x80000000, v11
	s_delay_alu instid0(VALU_DEP_3) | instskip(NEXT) | instid1(VALU_DEP_3)
	v_clz_i32_u32_e32 v17, v15
	v_cmp_eq_u32_e32 vcc_lo, 0, v21
	s_delay_alu instid0(VALU_DEP_2) | instskip(NEXT) | instid1(VALU_DEP_1)
	v_min_u32_e32 v17, 32, v17
	v_subrev_nc_u32_e32 v19, 28, v17
	v_sub_nc_u32_e32 v17, 29, v17
	s_delay_alu instid0(VALU_DEP_2) | instskip(NEXT) | instid1(VALU_DEP_2)
	v_lshlrev_b32_e32 v13, v19, v13
	v_cndmask_b32_e32 v17, v21, v17, vcc_lo
	s_delay_alu instid0(VALU_DEP_2) | instskip(NEXT) | instid1(VALU_DEP_1)
	v_and_b32_e32 v13, 7, v13
	v_cndmask_b32_e32 v13, v15, v13, vcc_lo
	s_delay_alu instid0(VALU_DEP_3) | instskip(NEXT) | instid1(VALU_DEP_2)
	v_lshl_add_u32 v15, v17, 23, 0x3b800000
	v_lshlrev_b32_e32 v13, 20, v13
	s_delay_alu instid0(VALU_DEP_1) | instskip(NEXT) | instid1(VALU_DEP_1)
	v_or3_b32 v11, v11, v15, v13
	v_cvt_i32_f32_e32 v22, v11
.LBB23_4730:
	s_or_b32 exec_lo, exec_lo, s9
.LBB23_4731:
	s_mov_b32 s9, -1
.LBB23_4732:
	s_mov_b32 s24, 0
.LBB23_4733:
	s_delay_alu instid0(SALU_CYCLE_1)
	s_and_b32 vcc_lo, exec_lo, s24
	s_cbranch_vccz .LBB23_4764
; %bb.4734:
	s_cmp_gt_i32 s57, 22
	s_cbranch_scc0 .LBB23_4742
; %bb.4735:
	s_cmp_lt_i32 s57, 24
	s_cbranch_scc1 .LBB23_4745
; %bb.4736:
	s_cmp_gt_i32 s57, 24
	s_cbranch_scc0 .LBB23_4746
; %bb.4737:
	global_load_u8 v11, v[24:25], off
	s_mov_b32 s9, 0
	s_mov_b32 s1, exec_lo
	s_wait_loadcnt 0x0
	v_cmpx_lt_i16_e32 0x7f, v11
	s_xor_b32 s1, exec_lo, s1
	s_cbranch_execz .LBB23_4758
; %bb.4738:
	v_cmp_ne_u16_e32 vcc_lo, 0x80, v11
	s_and_b32 s9, vcc_lo, exec_lo
	s_and_not1_saveexec_b32 s1, s1
	s_cbranch_execnz .LBB23_4759
.LBB23_4739:
	s_or_b32 exec_lo, exec_lo, s1
	v_mov_b32_e32 v22, 0
	s_and_saveexec_b32 s1, s9
	s_cbranch_execz .LBB23_4741
.LBB23_4740:
	v_and_b32_e32 v13, 0xffff, v11
	s_delay_alu instid0(VALU_DEP_1) | instskip(SKIP_1) | instid1(VALU_DEP_2)
	v_dual_lshlrev_b32 v11, 24, v11 :: v_dual_bitop2_b32 v15, 3, v13 bitop3:0x40
	v_bfe_u32 v21, v13, 2, 5
	v_and_b32_e32 v11, 0x80000000, v11
	s_delay_alu instid0(VALU_DEP_3) | instskip(NEXT) | instid1(VALU_DEP_3)
	v_clz_i32_u32_e32 v17, v15
	v_cmp_eq_u32_e32 vcc_lo, 0, v21
	s_delay_alu instid0(VALU_DEP_2) | instskip(NEXT) | instid1(VALU_DEP_1)
	v_min_u32_e32 v17, 32, v17
	v_subrev_nc_u32_e32 v19, 29, v17
	v_sub_nc_u32_e32 v17, 30, v17
	s_delay_alu instid0(VALU_DEP_2) | instskip(NEXT) | instid1(VALU_DEP_2)
	v_lshlrev_b32_e32 v13, v19, v13
	v_cndmask_b32_e32 v17, v21, v17, vcc_lo
	s_delay_alu instid0(VALU_DEP_2) | instskip(NEXT) | instid1(VALU_DEP_1)
	v_and_b32_e32 v13, 3, v13
	v_cndmask_b32_e32 v13, v15, v13, vcc_lo
	s_delay_alu instid0(VALU_DEP_3) | instskip(NEXT) | instid1(VALU_DEP_2)
	v_lshl_add_u32 v15, v17, 23, 0x37800000
	v_lshlrev_b32_e32 v13, 21, v13
	s_delay_alu instid0(VALU_DEP_1) | instskip(NEXT) | instid1(VALU_DEP_1)
	v_or3_b32 v11, v11, v15, v13
	v_cvt_i32_f32_e32 v22, v11
.LBB23_4741:
	s_or_b32 exec_lo, exec_lo, s1
	s_mov_b32 s1, 0
	s_branch .LBB23_4747
.LBB23_4742:
	s_mov_b32 s1, -1
                                        ; implicit-def: $vgpr22
	s_branch .LBB23_4753
.LBB23_4743:
	s_and_not1_saveexec_b32 s9, s9
	s_cbranch_execz .LBB23_4728
.LBB23_4744:
	v_cmp_ne_u16_e32 vcc_lo, 0, v11
	s_and_not1_b32 s24, s24, exec_lo
	s_and_b32 s25, vcc_lo, exec_lo
	s_delay_alu instid0(SALU_CYCLE_1)
	s_or_b32 s24, s24, s25
	s_or_b32 exec_lo, exec_lo, s9
	v_mov_b32_e32 v22, 0
	s_and_saveexec_b32 s9, s24
	s_cbranch_execnz .LBB23_4729
	s_branch .LBB23_4730
.LBB23_4745:
	s_mov_b32 s1, -1
                                        ; implicit-def: $vgpr22
	s_branch .LBB23_4750
.LBB23_4746:
	s_mov_b32 s1, -1
                                        ; implicit-def: $vgpr22
.LBB23_4747:
	s_delay_alu instid0(SALU_CYCLE_1)
	s_and_b32 vcc_lo, exec_lo, s1
	s_cbranch_vccz .LBB23_4749
; %bb.4748:
	global_load_u8 v11, v[24:25], off
	s_wait_loadcnt 0x0
	v_lshlrev_b32_e32 v11, 24, v11
	s_delay_alu instid0(VALU_DEP_1) | instskip(NEXT) | instid1(VALU_DEP_1)
	v_and_b32_e32 v13, 0x7f000000, v11
	v_clz_i32_u32_e32 v15, v13
	v_add_nc_u32_e32 v19, 0x1000000, v13
	v_cmp_ne_u32_e32 vcc_lo, 0, v13
	s_delay_alu instid0(VALU_DEP_3) | instskip(NEXT) | instid1(VALU_DEP_1)
	v_min_u32_e32 v15, 32, v15
	v_sub_nc_u32_e64 v15, v15, 4 clamp
	s_delay_alu instid0(VALU_DEP_1) | instskip(NEXT) | instid1(VALU_DEP_1)
	v_dual_lshlrev_b32 v17, v15, v13 :: v_dual_lshlrev_b32 v15, 23, v15
	v_lshrrev_b32_e32 v17, 4, v17
	s_delay_alu instid0(VALU_DEP_1) | instskip(SKIP_1) | instid1(VALU_DEP_2)
	v_sub_nc_u32_e32 v15, v17, v15
	v_ashrrev_i32_e32 v17, 8, v19
	v_add_nc_u32_e32 v15, 0x3c000000, v15
	s_delay_alu instid0(VALU_DEP_1) | instskip(NEXT) | instid1(VALU_DEP_1)
	v_and_or_b32 v15, 0x7f800000, v17, v15
	v_cndmask_b32_e32 v13, 0, v15, vcc_lo
	s_delay_alu instid0(VALU_DEP_1) | instskip(NEXT) | instid1(VALU_DEP_1)
	v_and_or_b32 v11, 0x80000000, v11, v13
	v_cvt_i32_f32_e32 v22, v11
.LBB23_4749:
	s_mov_b32 s1, 0
.LBB23_4750:
	s_delay_alu instid0(SALU_CYCLE_1)
	s_and_not1_b32 vcc_lo, exec_lo, s1
	s_cbranch_vccnz .LBB23_4752
; %bb.4751:
	global_load_u8 v11, v[24:25], off
	s_wait_loadcnt 0x0
	v_lshlrev_b32_e32 v13, 25, v11
	v_lshlrev_b16 v11, 8, v11
	s_delay_alu instid0(VALU_DEP_1) | instskip(SKIP_1) | instid1(VALU_DEP_2)
	v_and_or_b32 v17, 0x7f00, v11, 0.5
	v_bfe_i32 v11, v11, 0, 16
	v_add_f32_e32 v17, -0.5, v17
	v_lshrrev_b32_e32 v15, 4, v13
	v_cmp_gt_u32_e32 vcc_lo, 0x8000000, v13
	s_delay_alu instid0(VALU_DEP_2) | instskip(NEXT) | instid1(VALU_DEP_1)
	v_or_b32_e32 v15, 0x70000000, v15
	v_mul_f32_e32 v15, 0x7800000, v15
	s_delay_alu instid0(VALU_DEP_1) | instskip(NEXT) | instid1(VALU_DEP_1)
	v_cndmask_b32_e32 v13, v15, v17, vcc_lo
	v_and_or_b32 v11, 0x80000000, v11, v13
	s_delay_alu instid0(VALU_DEP_1)
	v_cvt_i32_f32_e32 v22, v11
.LBB23_4752:
	s_mov_b32 s1, 0
	s_mov_b32 s9, -1
.LBB23_4753:
	s_and_not1_b32 vcc_lo, exec_lo, s1
	s_mov_b32 s1, 0
	s_cbranch_vccnz .LBB23_4764
; %bb.4754:
	s_cmp_gt_i32 s57, 14
	s_cbranch_scc0 .LBB23_4757
; %bb.4755:
	s_cmp_eq_u32 s57, 15
	s_cbranch_scc0 .LBB23_4760
; %bb.4756:
	global_load_u16 v11, v[24:25], off
	s_mov_b32 s0, 0
	s_mov_b32 s9, -1
	s_wait_loadcnt 0x0
	v_lshlrev_b32_e32 v11, 16, v11
	s_delay_alu instid0(VALU_DEP_1)
	v_cvt_i32_f32_e32 v22, v11
	s_branch .LBB23_4762
.LBB23_4757:
	s_mov_b32 s1, -1
	s_branch .LBB23_4761
.LBB23_4758:
	s_and_not1_saveexec_b32 s1, s1
	s_cbranch_execz .LBB23_4739
.LBB23_4759:
	v_cmp_ne_u16_e32 vcc_lo, 0, v11
	s_and_not1_b32 s9, s9, exec_lo
	s_and_b32 s24, vcc_lo, exec_lo
	s_delay_alu instid0(SALU_CYCLE_1)
	s_or_b32 s9, s9, s24
	s_or_b32 exec_lo, exec_lo, s1
	v_mov_b32_e32 v22, 0
	s_and_saveexec_b32 s1, s9
	s_cbranch_execnz .LBB23_4740
	s_branch .LBB23_4741
.LBB23_4760:
	s_mov_b32 s0, -1
.LBB23_4761:
                                        ; implicit-def: $vgpr22
.LBB23_4762:
	s_and_b32 vcc_lo, exec_lo, s1
	s_mov_b32 s1, 0
	s_cbranch_vccz .LBB23_4764
; %bb.4763:
	s_cmp_lg_u32 s57, 11
	s_mov_b32 s1, -1
	s_cselect_b32 s0, -1, 0
.LBB23_4764:
	s_delay_alu instid0(SALU_CYCLE_1)
	s_and_b32 vcc_lo, exec_lo, s0
	s_cbranch_vccnz .LBB23_4829
; %bb.4765:
	s_and_not1_b32 vcc_lo, exec_lo, s1
	s_cbranch_vccnz .LBB23_4767
.LBB23_4766:
	global_load_u8 v11, v[24:25], off
	s_mov_b32 s9, -1
	s_wait_loadcnt 0x0
	v_cmp_ne_u16_e32 vcc_lo, 0, v11
	v_cndmask_b32_e64 v22, 0, 1, vcc_lo
.LBB23_4767:
	s_mov_b32 s0, 0
.LBB23_4768:
	s_delay_alu instid0(SALU_CYCLE_1)
	s_and_b32 vcc_lo, exec_lo, s0
	s_cbranch_vccz .LBB23_4817
; %bb.4769:
	s_cmp_lt_i32 s57, 5
	s_cbranch_scc1 .LBB23_4774
; %bb.4770:
	s_cmp_lt_i32 s57, 8
	s_cbranch_scc1 .LBB23_4775
	;; [unrolled: 3-line block ×3, first 2 shown]
; %bb.4772:
	s_cmp_gt_i32 s57, 9
	s_cbranch_scc0 .LBB23_4777
; %bb.4773:
	s_wait_loadcnt 0x0
	global_load_b64 v[22:23], v[24:25], off
	s_mov_b32 s0, 0
	s_wait_loadcnt 0x0
	v_cvt_i32_f64_e32 v22, v[22:23]
	s_branch .LBB23_4778
.LBB23_4774:
	s_mov_b32 s0, -1
                                        ; implicit-def: $vgpr22
	s_branch .LBB23_4796
.LBB23_4775:
	s_mov_b32 s0, -1
                                        ; implicit-def: $vgpr22
	s_branch .LBB23_4784
.LBB23_4776:
	s_mov_b32 s0, -1
                                        ; implicit-def: $vgpr22
	s_branch .LBB23_4781
.LBB23_4777:
	s_mov_b32 s0, -1
                                        ; implicit-def: $vgpr22
.LBB23_4778:
	s_delay_alu instid0(SALU_CYCLE_1)
	s_and_not1_b32 vcc_lo, exec_lo, s0
	s_cbranch_vccnz .LBB23_4780
; %bb.4779:
	global_load_b32 v11, v[24:25], off
	s_wait_loadcnt 0x0
	v_cvt_i32_f32_e32 v22, v11
.LBB23_4780:
	s_mov_b32 s0, 0
.LBB23_4781:
	s_delay_alu instid0(SALU_CYCLE_1)
	s_and_not1_b32 vcc_lo, exec_lo, s0
	s_cbranch_vccnz .LBB23_4783
; %bb.4782:
	global_load_b32 v11, v[24:25], off
	s_wait_loadcnt 0x0
	v_cvt_f32_f16_e32 v11, v11
	s_delay_alu instid0(VALU_DEP_1)
	v_cvt_i32_f32_e32 v22, v11
.LBB23_4783:
	s_mov_b32 s0, 0
.LBB23_4784:
	s_delay_alu instid0(SALU_CYCLE_1)
	s_and_not1_b32 vcc_lo, exec_lo, s0
	s_cbranch_vccnz .LBB23_4795
; %bb.4785:
	s_cmp_lt_i32 s57, 6
	s_cbranch_scc1 .LBB23_4788
; %bb.4786:
	s_cmp_gt_i32 s57, 6
	s_cbranch_scc0 .LBB23_4789
; %bb.4787:
	s_wait_loadcnt 0x0
	global_load_b64 v[22:23], v[24:25], off
	s_mov_b32 s0, 0
	s_wait_loadcnt 0x0
	v_cvt_i32_f64_e32 v22, v[22:23]
	s_branch .LBB23_4790
.LBB23_4788:
	s_mov_b32 s0, -1
                                        ; implicit-def: $vgpr22
	s_branch .LBB23_4793
.LBB23_4789:
	s_mov_b32 s0, -1
                                        ; implicit-def: $vgpr22
.LBB23_4790:
	s_delay_alu instid0(SALU_CYCLE_1)
	s_and_not1_b32 vcc_lo, exec_lo, s0
	s_cbranch_vccnz .LBB23_4792
; %bb.4791:
	global_load_b32 v11, v[24:25], off
	s_wait_loadcnt 0x0
	v_cvt_i32_f32_e32 v22, v11
.LBB23_4792:
	s_mov_b32 s0, 0
.LBB23_4793:
	s_delay_alu instid0(SALU_CYCLE_1)
	s_and_not1_b32 vcc_lo, exec_lo, s0
	s_cbranch_vccnz .LBB23_4795
; %bb.4794:
	global_load_u16 v11, v[24:25], off
	s_wait_loadcnt 0x0
	v_cvt_f32_f16_e32 v11, v11
	s_delay_alu instid0(VALU_DEP_1)
	v_cvt_i32_f32_e32 v22, v11
.LBB23_4795:
	s_mov_b32 s0, 0
.LBB23_4796:
	s_delay_alu instid0(SALU_CYCLE_1)
	s_and_not1_b32 vcc_lo, exec_lo, s0
	s_cbranch_vccnz .LBB23_4816
; %bb.4797:
	s_cmp_lt_i32 s57, 2
	s_cbranch_scc1 .LBB23_4801
; %bb.4798:
	s_cmp_lt_i32 s57, 3
	s_cbranch_scc1 .LBB23_4802
; %bb.4799:
	s_cmp_gt_i32 s57, 3
	s_cbranch_scc0 .LBB23_4803
; %bb.4800:
	s_wait_loadcnt 0x0
	global_load_b32 v22, v[24:25], off
	s_mov_b32 s0, 0
	s_branch .LBB23_4804
.LBB23_4801:
	s_mov_b32 s0, -1
                                        ; implicit-def: $vgpr22
	s_branch .LBB23_4810
.LBB23_4802:
	s_mov_b32 s0, -1
                                        ; implicit-def: $vgpr22
	s_branch .LBB23_4807
.LBB23_4803:
	s_mov_b32 s0, -1
                                        ; implicit-def: $vgpr22
.LBB23_4804:
	s_delay_alu instid0(SALU_CYCLE_1)
	s_and_not1_b32 vcc_lo, exec_lo, s0
	s_cbranch_vccnz .LBB23_4806
; %bb.4805:
	s_wait_loadcnt 0x0
	global_load_b32 v22, v[24:25], off
.LBB23_4806:
	s_mov_b32 s0, 0
.LBB23_4807:
	s_delay_alu instid0(SALU_CYCLE_1)
	s_and_not1_b32 vcc_lo, exec_lo, s0
	s_cbranch_vccnz .LBB23_4809
; %bb.4808:
	s_wait_loadcnt 0x0
	global_load_i16 v22, v[24:25], off
.LBB23_4809:
	s_mov_b32 s0, 0
.LBB23_4810:
	s_delay_alu instid0(SALU_CYCLE_1)
	s_and_not1_b32 vcc_lo, exec_lo, s0
	s_cbranch_vccnz .LBB23_4816
; %bb.4811:
	s_cmp_gt_i32 s57, 0
	s_mov_b32 s0, 0
	s_cbranch_scc0 .LBB23_4813
; %bb.4812:
	s_wait_loadcnt 0x0
	global_load_i8 v22, v[24:25], off
	s_branch .LBB23_4814
.LBB23_4813:
	s_mov_b32 s0, -1
                                        ; implicit-def: $vgpr22
.LBB23_4814:
	s_delay_alu instid0(SALU_CYCLE_1)
	s_and_not1_b32 vcc_lo, exec_lo, s0
	s_cbranch_vccnz .LBB23_4816
; %bb.4815:
	s_wait_loadcnt 0x0
	global_load_u8 v22, v[24:25], off
.LBB23_4816:
	s_mov_b32 s9, -1
.LBB23_4817:
	s_delay_alu instid0(SALU_CYCLE_1)
	s_and_not1_b32 vcc_lo, exec_lo, s9
	s_cbranch_vccnz .LBB23_5081
; %bb.4818:
	v_mov_b32_e32 v21, 0
	s_cmp_lt_i32 s58, 11
	s_wait_xcnt 0x0
	s_delay_alu instid0(VALU_DEP_1)
	v_add_nc_u64_e32 v[24:25], s[16:17], v[20:21]
	s_cbranch_scc1 .LBB23_4825
; %bb.4819:
	s_cmp_gt_i32 s58, 25
	s_mov_b32 s1, 0
	s_cbranch_scc0 .LBB23_4826
; %bb.4820:
	s_cmp_gt_i32 s58, 28
	s_cbranch_scc0 .LBB23_4827
; %bb.4821:
	s_cmp_gt_i32 s58, 43
	;; [unrolled: 3-line block ×3, first 2 shown]
	s_cbranch_scc0 .LBB23_4830
; %bb.4823:
	s_cmp_eq_u32 s58, 46
	s_mov_b32 s24, 0
	s_cbranch_scc0 .LBB23_4832
; %bb.4824:
	global_load_b32 v11, v[24:25], off
	s_mov_b32 s0, 0
	s_mov_b32 s9, -1
	s_wait_loadcnt 0x0
	v_lshlrev_b32_e32 v11, 16, v11
	s_delay_alu instid0(VALU_DEP_1)
	v_cvt_i32_f32_e32 v20, v11
	s_branch .LBB23_4834
.LBB23_4825:
	s_mov_b32 s0, -1
	s_mov_b32 s9, 0
                                        ; implicit-def: $vgpr20
	s_branch .LBB23_4896
.LBB23_4826:
	s_mov_b32 s24, -1
	s_mov_b32 s9, 0
	s_mov_b32 s0, 0
                                        ; implicit-def: $vgpr20
	s_branch .LBB23_4861
.LBB23_4827:
	s_mov_b32 s24, -1
	s_mov_b32 s9, 0
	s_mov_b32 s0, 0
                                        ; implicit-def: $vgpr20
	s_branch .LBB23_4844
.LBB23_4828:
	s_mov_b32 s24, -1
	s_mov_b32 s9, 0
	s_mov_b32 s0, 0
                                        ; implicit-def: $vgpr20
	s_branch .LBB23_4839
.LBB23_4829:
	s_or_b32 s54, s54, exec_lo
	s_trap 2
	s_cbranch_execz .LBB23_4766
	s_branch .LBB23_4767
.LBB23_4830:
	s_mov_b32 s24, -1
	s_mov_b32 s9, 0
	s_mov_b32 s0, 0
	s_branch .LBB23_4833
.LBB23_4831:
	s_or_b32 s50, s48, exec_lo
	s_trap 2
                                        ; implicit-def: $vgpr32
                                        ; implicit-def: $vgpr30
                                        ; implicit-def: $vgpr34
                                        ; implicit-def: $vgpr5
                                        ; implicit-def: $vgpr6
                                        ; implicit-def: $vgpr4
                                        ; implicit-def: $vgpr20
                                        ; implicit-def: $vgpr18
                                        ; implicit-def: $vgpr24
                                        ; implicit-def: $vgpr22
                                        ; implicit-def: $vgpr2
                                        ; implicit-def: $vgpr26
                                        ; implicit-def: $vgpr10
                                        ; implicit-def: $vgpr8
                                        ; implicit-def: $vgpr14
                                        ; implicit-def: $vgpr12
                                        ; implicit-def: $vgpr0
                                        ; implicit-def: $vgpr16
                                        ; implicit-def: $vgpr1
                                        ; implicit-def: $vgpr3
	s_or_saveexec_b32 s51, s0
	s_mov_b32 s1, 0
                                        ; implicit-def: $vgpr38_vgpr39
                                        ; implicit-def: $sgpr0
	s_xor_b32 exec_lo, exec_lo, s51
	s_cbranch_execz .LBB23_5084
	s_branch .LBB23_4413
.LBB23_4832:
	s_mov_b32 s0, -1
	s_mov_b32 s9, 0
.LBB23_4833:
                                        ; implicit-def: $vgpr20
.LBB23_4834:
	s_and_b32 vcc_lo, exec_lo, s24
	s_cbranch_vccz .LBB23_4838
; %bb.4835:
	s_cmp_eq_u32 s58, 44
	s_cbranch_scc0 .LBB23_4837
; %bb.4836:
	global_load_u8 v11, v[24:25], off
	s_mov_b32 s0, 0
	s_mov_b32 s9, -1
	s_wait_loadcnt 0x0
	v_lshlrev_b32_e32 v13, 23, v11
	v_cmp_ne_u32_e32 vcc_lo, 0, v11
	s_delay_alu instid0(VALU_DEP_2) | instskip(NEXT) | instid1(VALU_DEP_1)
	v_cvt_i32_f32_e32 v13, v13
	v_cndmask_b32_e32 v20, 0, v13, vcc_lo
	s_branch .LBB23_4838
.LBB23_4837:
	s_mov_b32 s0, -1
                                        ; implicit-def: $vgpr20
.LBB23_4838:
	s_mov_b32 s24, 0
.LBB23_4839:
	s_delay_alu instid0(SALU_CYCLE_1)
	s_and_b32 vcc_lo, exec_lo, s24
	s_cbranch_vccz .LBB23_4843
; %bb.4840:
	s_cmp_eq_u32 s58, 29
	s_cbranch_scc0 .LBB23_4842
; %bb.4841:
	global_load_b32 v20, v[24:25], off
	s_mov_b32 s0, 0
	s_mov_b32 s9, -1
	s_branch .LBB23_4843
.LBB23_4842:
	s_mov_b32 s0, -1
                                        ; implicit-def: $vgpr20
.LBB23_4843:
	s_mov_b32 s24, 0
.LBB23_4844:
	s_delay_alu instid0(SALU_CYCLE_1)
	s_and_b32 vcc_lo, exec_lo, s24
	s_cbranch_vccz .LBB23_4860
; %bb.4845:
	s_cmp_lt_i32 s58, 27
	s_cbranch_scc1 .LBB23_4848
; %bb.4846:
	s_cmp_gt_i32 s58, 27
	s_cbranch_scc0 .LBB23_4849
; %bb.4847:
	s_wait_loadcnt 0x0
	global_load_b32 v20, v[24:25], off
	s_mov_b32 s9, 0
	s_branch .LBB23_4850
.LBB23_4848:
	s_mov_b32 s9, -1
                                        ; implicit-def: $vgpr20
	s_branch .LBB23_4853
.LBB23_4849:
	s_mov_b32 s9, -1
                                        ; implicit-def: $vgpr20
.LBB23_4850:
	s_delay_alu instid0(SALU_CYCLE_1)
	s_and_not1_b32 vcc_lo, exec_lo, s9
	s_cbranch_vccnz .LBB23_4852
; %bb.4851:
	s_wait_loadcnt 0x0
	global_load_u16 v20, v[24:25], off
.LBB23_4852:
	s_mov_b32 s9, 0
.LBB23_4853:
	s_delay_alu instid0(SALU_CYCLE_1)
	s_and_not1_b32 vcc_lo, exec_lo, s9
	s_cbranch_vccnz .LBB23_4859
; %bb.4854:
	global_load_u8 v11, v[24:25], off
	s_mov_b32 s24, 0
	s_mov_b32 s9, exec_lo
	s_wait_loadcnt 0x0
	v_cmpx_lt_i16_e32 0x7f, v11
	s_xor_b32 s9, exec_lo, s9
	s_cbranch_execz .LBB23_4871
; %bb.4855:
	v_cmp_ne_u16_e32 vcc_lo, 0x80, v11
	s_and_b32 s24, vcc_lo, exec_lo
	s_and_not1_saveexec_b32 s9, s9
	s_cbranch_execnz .LBB23_4872
.LBB23_4856:
	s_or_b32 exec_lo, exec_lo, s9
	v_mov_b32_e32 v20, 0
	s_and_saveexec_b32 s9, s24
	s_cbranch_execz .LBB23_4858
.LBB23_4857:
	v_and_b32_e32 v13, 0xffff, v11
	s_delay_alu instid0(VALU_DEP_1) | instskip(SKIP_1) | instid1(VALU_DEP_2)
	v_dual_lshlrev_b32 v11, 24, v11 :: v_dual_bitop2_b32 v15, 7, v13 bitop3:0x40
	v_bfe_u32 v20, v13, 3, 4
	v_and_b32_e32 v11, 0x80000000, v11
	s_delay_alu instid0(VALU_DEP_3) | instskip(NEXT) | instid1(VALU_DEP_3)
	v_clz_i32_u32_e32 v17, v15
	v_cmp_eq_u32_e32 vcc_lo, 0, v20
	s_delay_alu instid0(VALU_DEP_2) | instskip(NEXT) | instid1(VALU_DEP_1)
	v_min_u32_e32 v17, 32, v17
	v_subrev_nc_u32_e32 v19, 28, v17
	v_sub_nc_u32_e32 v17, 29, v17
	s_delay_alu instid0(VALU_DEP_2) | instskip(NEXT) | instid1(VALU_DEP_2)
	v_lshlrev_b32_e32 v13, v19, v13
	v_cndmask_b32_e32 v17, v20, v17, vcc_lo
	s_delay_alu instid0(VALU_DEP_2) | instskip(NEXT) | instid1(VALU_DEP_1)
	v_and_b32_e32 v13, 7, v13
	v_cndmask_b32_e32 v13, v15, v13, vcc_lo
	s_delay_alu instid0(VALU_DEP_3) | instskip(NEXT) | instid1(VALU_DEP_2)
	v_lshl_add_u32 v15, v17, 23, 0x3b800000
	v_lshlrev_b32_e32 v13, 20, v13
	s_delay_alu instid0(VALU_DEP_1) | instskip(NEXT) | instid1(VALU_DEP_1)
	v_or3_b32 v11, v11, v15, v13
	v_cvt_i32_f32_e32 v20, v11
.LBB23_4858:
	s_or_b32 exec_lo, exec_lo, s9
.LBB23_4859:
	s_mov_b32 s9, -1
.LBB23_4860:
	s_mov_b32 s24, 0
.LBB23_4861:
	s_delay_alu instid0(SALU_CYCLE_1)
	s_and_b32 vcc_lo, exec_lo, s24
	s_cbranch_vccz .LBB23_4892
; %bb.4862:
	s_cmp_gt_i32 s58, 22
	s_cbranch_scc0 .LBB23_4870
; %bb.4863:
	s_cmp_lt_i32 s58, 24
	s_cbranch_scc1 .LBB23_4873
; %bb.4864:
	s_cmp_gt_i32 s58, 24
	s_cbranch_scc0 .LBB23_4874
; %bb.4865:
	global_load_u8 v11, v[24:25], off
	s_mov_b32 s9, 0
	s_mov_b32 s1, exec_lo
	s_wait_loadcnt 0x0
	v_cmpx_lt_i16_e32 0x7f, v11
	s_xor_b32 s1, exec_lo, s1
	s_cbranch_execz .LBB23_4886
; %bb.4866:
	v_cmp_ne_u16_e32 vcc_lo, 0x80, v11
	s_and_b32 s9, vcc_lo, exec_lo
	s_and_not1_saveexec_b32 s1, s1
	s_cbranch_execnz .LBB23_4887
.LBB23_4867:
	s_or_b32 exec_lo, exec_lo, s1
	v_mov_b32_e32 v20, 0
	s_and_saveexec_b32 s1, s9
	s_cbranch_execz .LBB23_4869
.LBB23_4868:
	v_and_b32_e32 v13, 0xffff, v11
	s_delay_alu instid0(VALU_DEP_1) | instskip(SKIP_1) | instid1(VALU_DEP_2)
	v_dual_lshlrev_b32 v11, 24, v11 :: v_dual_bitop2_b32 v15, 3, v13 bitop3:0x40
	v_bfe_u32 v20, v13, 2, 5
	v_and_b32_e32 v11, 0x80000000, v11
	s_delay_alu instid0(VALU_DEP_3) | instskip(NEXT) | instid1(VALU_DEP_3)
	v_clz_i32_u32_e32 v17, v15
	v_cmp_eq_u32_e32 vcc_lo, 0, v20
	s_delay_alu instid0(VALU_DEP_2) | instskip(NEXT) | instid1(VALU_DEP_1)
	v_min_u32_e32 v17, 32, v17
	v_subrev_nc_u32_e32 v19, 29, v17
	v_sub_nc_u32_e32 v17, 30, v17
	s_delay_alu instid0(VALU_DEP_2) | instskip(NEXT) | instid1(VALU_DEP_2)
	v_lshlrev_b32_e32 v13, v19, v13
	v_cndmask_b32_e32 v17, v20, v17, vcc_lo
	s_delay_alu instid0(VALU_DEP_2) | instskip(NEXT) | instid1(VALU_DEP_1)
	v_and_b32_e32 v13, 3, v13
	v_cndmask_b32_e32 v13, v15, v13, vcc_lo
	s_delay_alu instid0(VALU_DEP_3) | instskip(NEXT) | instid1(VALU_DEP_2)
	v_lshl_add_u32 v15, v17, 23, 0x37800000
	v_lshlrev_b32_e32 v13, 21, v13
	s_delay_alu instid0(VALU_DEP_1) | instskip(NEXT) | instid1(VALU_DEP_1)
	v_or3_b32 v11, v11, v15, v13
	v_cvt_i32_f32_e32 v20, v11
.LBB23_4869:
	s_or_b32 exec_lo, exec_lo, s1
	s_mov_b32 s1, 0
	s_branch .LBB23_4875
.LBB23_4870:
	s_mov_b32 s1, -1
                                        ; implicit-def: $vgpr20
	s_branch .LBB23_4881
.LBB23_4871:
	s_and_not1_saveexec_b32 s9, s9
	s_cbranch_execz .LBB23_4856
.LBB23_4872:
	v_cmp_ne_u16_e32 vcc_lo, 0, v11
	s_and_not1_b32 s24, s24, exec_lo
	s_and_b32 s25, vcc_lo, exec_lo
	s_delay_alu instid0(SALU_CYCLE_1)
	s_or_b32 s24, s24, s25
	s_or_b32 exec_lo, exec_lo, s9
	v_mov_b32_e32 v20, 0
	s_and_saveexec_b32 s9, s24
	s_cbranch_execnz .LBB23_4857
	s_branch .LBB23_4858
.LBB23_4873:
	s_mov_b32 s1, -1
                                        ; implicit-def: $vgpr20
	s_branch .LBB23_4878
.LBB23_4874:
	s_mov_b32 s1, -1
                                        ; implicit-def: $vgpr20
.LBB23_4875:
	s_delay_alu instid0(SALU_CYCLE_1)
	s_and_b32 vcc_lo, exec_lo, s1
	s_cbranch_vccz .LBB23_4877
; %bb.4876:
	global_load_u8 v11, v[24:25], off
	s_wait_loadcnt 0x0
	v_lshlrev_b32_e32 v11, 24, v11
	s_delay_alu instid0(VALU_DEP_1) | instskip(NEXT) | instid1(VALU_DEP_1)
	v_and_b32_e32 v13, 0x7f000000, v11
	v_clz_i32_u32_e32 v15, v13
	v_add_nc_u32_e32 v19, 0x1000000, v13
	v_cmp_ne_u32_e32 vcc_lo, 0, v13
	s_delay_alu instid0(VALU_DEP_3) | instskip(NEXT) | instid1(VALU_DEP_1)
	v_min_u32_e32 v15, 32, v15
	v_sub_nc_u32_e64 v15, v15, 4 clamp
	s_delay_alu instid0(VALU_DEP_1) | instskip(NEXT) | instid1(VALU_DEP_1)
	v_dual_lshlrev_b32 v17, v15, v13 :: v_dual_lshlrev_b32 v15, 23, v15
	v_lshrrev_b32_e32 v17, 4, v17
	s_delay_alu instid0(VALU_DEP_1) | instskip(SKIP_1) | instid1(VALU_DEP_2)
	v_sub_nc_u32_e32 v15, v17, v15
	v_ashrrev_i32_e32 v17, 8, v19
	v_add_nc_u32_e32 v15, 0x3c000000, v15
	s_delay_alu instid0(VALU_DEP_1) | instskip(NEXT) | instid1(VALU_DEP_1)
	v_and_or_b32 v15, 0x7f800000, v17, v15
	v_cndmask_b32_e32 v13, 0, v15, vcc_lo
	s_delay_alu instid0(VALU_DEP_1) | instskip(NEXT) | instid1(VALU_DEP_1)
	v_and_or_b32 v11, 0x80000000, v11, v13
	v_cvt_i32_f32_e32 v20, v11
.LBB23_4877:
	s_mov_b32 s1, 0
.LBB23_4878:
	s_delay_alu instid0(SALU_CYCLE_1)
	s_and_not1_b32 vcc_lo, exec_lo, s1
	s_cbranch_vccnz .LBB23_4880
; %bb.4879:
	global_load_u8 v11, v[24:25], off
	s_wait_loadcnt 0x0
	v_lshlrev_b32_e32 v13, 25, v11
	v_lshlrev_b16 v11, 8, v11
	s_delay_alu instid0(VALU_DEP_1) | instskip(SKIP_1) | instid1(VALU_DEP_2)
	v_and_or_b32 v17, 0x7f00, v11, 0.5
	v_bfe_i32 v11, v11, 0, 16
	v_add_f32_e32 v17, -0.5, v17
	v_lshrrev_b32_e32 v15, 4, v13
	v_cmp_gt_u32_e32 vcc_lo, 0x8000000, v13
	s_delay_alu instid0(VALU_DEP_2) | instskip(NEXT) | instid1(VALU_DEP_1)
	v_or_b32_e32 v15, 0x70000000, v15
	v_mul_f32_e32 v15, 0x7800000, v15
	s_delay_alu instid0(VALU_DEP_1) | instskip(NEXT) | instid1(VALU_DEP_1)
	v_cndmask_b32_e32 v13, v15, v17, vcc_lo
	v_and_or_b32 v11, 0x80000000, v11, v13
	s_delay_alu instid0(VALU_DEP_1)
	v_cvt_i32_f32_e32 v20, v11
.LBB23_4880:
	s_mov_b32 s1, 0
	s_mov_b32 s9, -1
.LBB23_4881:
	s_and_not1_b32 vcc_lo, exec_lo, s1
	s_mov_b32 s1, 0
	s_cbranch_vccnz .LBB23_4892
; %bb.4882:
	s_cmp_gt_i32 s58, 14
	s_cbranch_scc0 .LBB23_4885
; %bb.4883:
	s_cmp_eq_u32 s58, 15
	s_cbranch_scc0 .LBB23_4888
; %bb.4884:
	global_load_u16 v11, v[24:25], off
	s_mov_b32 s0, 0
	s_mov_b32 s9, -1
	s_wait_loadcnt 0x0
	v_lshlrev_b32_e32 v11, 16, v11
	s_delay_alu instid0(VALU_DEP_1)
	v_cvt_i32_f32_e32 v20, v11
	s_branch .LBB23_4890
.LBB23_4885:
	s_mov_b32 s1, -1
	s_branch .LBB23_4889
.LBB23_4886:
	s_and_not1_saveexec_b32 s1, s1
	s_cbranch_execz .LBB23_4867
.LBB23_4887:
	v_cmp_ne_u16_e32 vcc_lo, 0, v11
	s_and_not1_b32 s9, s9, exec_lo
	s_and_b32 s24, vcc_lo, exec_lo
	s_delay_alu instid0(SALU_CYCLE_1)
	s_or_b32 s9, s9, s24
	s_or_b32 exec_lo, exec_lo, s1
	v_mov_b32_e32 v20, 0
	s_and_saveexec_b32 s1, s9
	s_cbranch_execnz .LBB23_4868
	s_branch .LBB23_4869
.LBB23_4888:
	s_mov_b32 s0, -1
.LBB23_4889:
                                        ; implicit-def: $vgpr20
.LBB23_4890:
	s_and_b32 vcc_lo, exec_lo, s1
	s_mov_b32 s1, 0
	s_cbranch_vccz .LBB23_4892
; %bb.4891:
	s_cmp_lg_u32 s58, 11
	s_mov_b32 s1, -1
	s_cselect_b32 s0, -1, 0
.LBB23_4892:
	s_delay_alu instid0(SALU_CYCLE_1)
	s_and_b32 vcc_lo, exec_lo, s0
	s_cbranch_vccnz .LBB23_4957
; %bb.4893:
	s_and_not1_b32 vcc_lo, exec_lo, s1
	s_cbranch_vccnz .LBB23_4895
.LBB23_4894:
	global_load_u8 v11, v[24:25], off
	s_mov_b32 s9, -1
	s_wait_loadcnt 0x0
	v_cmp_ne_u16_e32 vcc_lo, 0, v11
	v_cndmask_b32_e64 v20, 0, 1, vcc_lo
.LBB23_4895:
	s_mov_b32 s0, 0
.LBB23_4896:
	s_delay_alu instid0(SALU_CYCLE_1)
	s_and_b32 vcc_lo, exec_lo, s0
	s_cbranch_vccz .LBB23_4945
; %bb.4897:
	s_cmp_lt_i32 s58, 5
	s_cbranch_scc1 .LBB23_4902
; %bb.4898:
	s_cmp_lt_i32 s58, 8
	s_cbranch_scc1 .LBB23_4903
	;; [unrolled: 3-line block ×3, first 2 shown]
; %bb.4900:
	s_cmp_gt_i32 s58, 9
	s_cbranch_scc0 .LBB23_4905
; %bb.4901:
	s_wait_loadcnt 0x0
	global_load_b64 v[20:21], v[24:25], off
	s_mov_b32 s0, 0
	s_wait_loadcnt 0x0
	v_cvt_i32_f64_e32 v20, v[20:21]
	s_branch .LBB23_4906
.LBB23_4902:
	s_mov_b32 s0, -1
                                        ; implicit-def: $vgpr20
	s_branch .LBB23_4924
.LBB23_4903:
	s_mov_b32 s0, -1
                                        ; implicit-def: $vgpr20
	s_branch .LBB23_4912
.LBB23_4904:
	s_mov_b32 s0, -1
                                        ; implicit-def: $vgpr20
	s_branch .LBB23_4909
.LBB23_4905:
	s_mov_b32 s0, -1
                                        ; implicit-def: $vgpr20
.LBB23_4906:
	s_delay_alu instid0(SALU_CYCLE_1)
	s_and_not1_b32 vcc_lo, exec_lo, s0
	s_cbranch_vccnz .LBB23_4908
; %bb.4907:
	global_load_b32 v11, v[24:25], off
	s_wait_loadcnt 0x0
	v_cvt_i32_f32_e32 v20, v11
.LBB23_4908:
	s_mov_b32 s0, 0
.LBB23_4909:
	s_delay_alu instid0(SALU_CYCLE_1)
	s_and_not1_b32 vcc_lo, exec_lo, s0
	s_cbranch_vccnz .LBB23_4911
; %bb.4910:
	global_load_b32 v11, v[24:25], off
	s_wait_loadcnt 0x0
	v_cvt_f32_f16_e32 v11, v11
	s_delay_alu instid0(VALU_DEP_1)
	v_cvt_i32_f32_e32 v20, v11
.LBB23_4911:
	s_mov_b32 s0, 0
.LBB23_4912:
	s_delay_alu instid0(SALU_CYCLE_1)
	s_and_not1_b32 vcc_lo, exec_lo, s0
	s_cbranch_vccnz .LBB23_4923
; %bb.4913:
	s_cmp_lt_i32 s58, 6
	s_cbranch_scc1 .LBB23_4916
; %bb.4914:
	s_cmp_gt_i32 s58, 6
	s_cbranch_scc0 .LBB23_4917
; %bb.4915:
	s_wait_loadcnt 0x0
	global_load_b64 v[20:21], v[24:25], off
	s_mov_b32 s0, 0
	s_wait_loadcnt 0x0
	v_cvt_i32_f64_e32 v20, v[20:21]
	s_branch .LBB23_4918
.LBB23_4916:
	s_mov_b32 s0, -1
                                        ; implicit-def: $vgpr20
	s_branch .LBB23_4921
.LBB23_4917:
	s_mov_b32 s0, -1
                                        ; implicit-def: $vgpr20
.LBB23_4918:
	s_delay_alu instid0(SALU_CYCLE_1)
	s_and_not1_b32 vcc_lo, exec_lo, s0
	s_cbranch_vccnz .LBB23_4920
; %bb.4919:
	global_load_b32 v11, v[24:25], off
	s_wait_loadcnt 0x0
	v_cvt_i32_f32_e32 v20, v11
.LBB23_4920:
	s_mov_b32 s0, 0
.LBB23_4921:
	s_delay_alu instid0(SALU_CYCLE_1)
	s_and_not1_b32 vcc_lo, exec_lo, s0
	s_cbranch_vccnz .LBB23_4923
; %bb.4922:
	global_load_u16 v11, v[24:25], off
	s_wait_loadcnt 0x0
	v_cvt_f32_f16_e32 v11, v11
	s_delay_alu instid0(VALU_DEP_1)
	v_cvt_i32_f32_e32 v20, v11
.LBB23_4923:
	s_mov_b32 s0, 0
.LBB23_4924:
	s_delay_alu instid0(SALU_CYCLE_1)
	s_and_not1_b32 vcc_lo, exec_lo, s0
	s_cbranch_vccnz .LBB23_4944
; %bb.4925:
	s_cmp_lt_i32 s58, 2
	s_cbranch_scc1 .LBB23_4929
; %bb.4926:
	s_cmp_lt_i32 s58, 3
	s_cbranch_scc1 .LBB23_4930
; %bb.4927:
	s_cmp_gt_i32 s58, 3
	s_cbranch_scc0 .LBB23_4931
; %bb.4928:
	s_wait_loadcnt 0x0
	global_load_b32 v20, v[24:25], off
	s_mov_b32 s0, 0
	s_branch .LBB23_4932
.LBB23_4929:
	s_mov_b32 s0, -1
                                        ; implicit-def: $vgpr20
	s_branch .LBB23_4938
.LBB23_4930:
	s_mov_b32 s0, -1
                                        ; implicit-def: $vgpr20
	s_branch .LBB23_4935
.LBB23_4931:
	s_mov_b32 s0, -1
                                        ; implicit-def: $vgpr20
.LBB23_4932:
	s_delay_alu instid0(SALU_CYCLE_1)
	s_and_not1_b32 vcc_lo, exec_lo, s0
	s_cbranch_vccnz .LBB23_4934
; %bb.4933:
	s_wait_loadcnt 0x0
	global_load_b32 v20, v[24:25], off
.LBB23_4934:
	s_mov_b32 s0, 0
.LBB23_4935:
	s_delay_alu instid0(SALU_CYCLE_1)
	s_and_not1_b32 vcc_lo, exec_lo, s0
	s_cbranch_vccnz .LBB23_4937
; %bb.4936:
	s_wait_loadcnt 0x0
	global_load_i16 v20, v[24:25], off
.LBB23_4937:
	s_mov_b32 s0, 0
.LBB23_4938:
	s_delay_alu instid0(SALU_CYCLE_1)
	s_and_not1_b32 vcc_lo, exec_lo, s0
	s_cbranch_vccnz .LBB23_4944
; %bb.4939:
	s_cmp_gt_i32 s58, 0
	s_mov_b32 s0, 0
	s_cbranch_scc0 .LBB23_4941
; %bb.4940:
	s_wait_loadcnt 0x0
	global_load_i8 v20, v[24:25], off
	s_branch .LBB23_4942
.LBB23_4941:
	s_mov_b32 s0, -1
                                        ; implicit-def: $vgpr20
.LBB23_4942:
	s_delay_alu instid0(SALU_CYCLE_1)
	s_and_not1_b32 vcc_lo, exec_lo, s0
	s_cbranch_vccnz .LBB23_4944
; %bb.4943:
	s_wait_loadcnt 0x0
	global_load_u8 v20, v[24:25], off
.LBB23_4944:
	s_mov_b32 s9, -1
.LBB23_4945:
	s_delay_alu instid0(SALU_CYCLE_1)
	s_and_not1_b32 vcc_lo, exec_lo, s9
	s_cbranch_vccnz .LBB23_5081
; %bb.4946:
	v_mov_b32_e32 v19, 0
	s_cmp_lt_i32 s59, 11
	s_delay_alu instid0(VALU_DEP_1)
	v_add_nc_u64_e32 v[18:19], s[18:19], v[18:19]
	s_cbranch_scc1 .LBB23_4953
; %bb.4947:
	s_cmp_gt_i32 s59, 25
	s_mov_b32 s1, 0
	s_cbranch_scc0 .LBB23_4954
; %bb.4948:
	s_cmp_gt_i32 s59, 28
	s_cbranch_scc0 .LBB23_4955
; %bb.4949:
	s_cmp_gt_i32 s59, 43
	;; [unrolled: 3-line block ×3, first 2 shown]
	s_cbranch_scc0 .LBB23_4958
; %bb.4951:
	s_cmp_eq_u32 s59, 46
	s_mov_b32 s24, 0
	s_cbranch_scc0 .LBB23_4959
; %bb.4952:
	global_load_b32 v11, v[18:19], off
	s_mov_b32 s0, 0
	s_mov_b32 s9, -1
	s_wait_loadcnt 0x0
	v_lshlrev_b32_e32 v11, 16, v11
	s_wait_xcnt 0x1
	s_delay_alu instid0(VALU_DEP_1)
	v_cvt_i32_f32_e32 v24, v11
	s_branch .LBB23_4961
.LBB23_4953:
	s_mov_b32 s0, -1
	s_mov_b32 s9, 0
                                        ; implicit-def: $vgpr24
	s_branch .LBB23_5023
.LBB23_4954:
	s_mov_b32 s24, -1
	s_mov_b32 s9, 0
	s_mov_b32 s0, 0
                                        ; implicit-def: $vgpr24
	s_branch .LBB23_4988
.LBB23_4955:
	s_mov_b32 s24, -1
	s_mov_b32 s9, 0
	s_mov_b32 s0, 0
                                        ; implicit-def: $vgpr24
	s_branch .LBB23_4971
.LBB23_4956:
	s_mov_b32 s24, -1
	s_mov_b32 s9, 0
	s_mov_b32 s0, 0
                                        ; implicit-def: $vgpr24
	s_branch .LBB23_4966
.LBB23_4957:
	s_or_b32 s54, s54, exec_lo
	s_trap 2
	s_cbranch_execz .LBB23_4894
	s_branch .LBB23_4895
.LBB23_4958:
	s_mov_b32 s24, -1
	s_mov_b32 s9, 0
	s_mov_b32 s0, 0
	s_branch .LBB23_4960
.LBB23_4959:
	s_mov_b32 s0, -1
	s_mov_b32 s9, 0
.LBB23_4960:
                                        ; implicit-def: $vgpr24
.LBB23_4961:
	s_and_b32 vcc_lo, exec_lo, s24
	s_cbranch_vccz .LBB23_4965
; %bb.4962:
	s_cmp_eq_u32 s59, 44
	s_cbranch_scc0 .LBB23_4964
; %bb.4963:
	global_load_u8 v11, v[18:19], off
	s_mov_b32 s0, 0
	s_mov_b32 s9, -1
	s_wait_loadcnt 0x0
	v_lshlrev_b32_e32 v13, 23, v11
	v_cmp_ne_u32_e32 vcc_lo, 0, v11
	s_delay_alu instid0(VALU_DEP_2) | instskip(SKIP_1) | instid1(VALU_DEP_1)
	v_cvt_i32_f32_e32 v13, v13
	s_wait_xcnt 0x1
	v_cndmask_b32_e32 v24, 0, v13, vcc_lo
	s_branch .LBB23_4965
.LBB23_4964:
	s_mov_b32 s0, -1
                                        ; implicit-def: $vgpr24
.LBB23_4965:
	s_mov_b32 s24, 0
.LBB23_4966:
	s_delay_alu instid0(SALU_CYCLE_1)
	s_and_b32 vcc_lo, exec_lo, s24
	s_cbranch_vccz .LBB23_4970
; %bb.4967:
	s_cmp_eq_u32 s59, 29
	s_cbranch_scc0 .LBB23_4969
; %bb.4968:
	global_load_b32 v24, v[18:19], off
	s_mov_b32 s0, 0
	s_mov_b32 s9, -1
	s_branch .LBB23_4970
.LBB23_4969:
	s_mov_b32 s0, -1
                                        ; implicit-def: $vgpr24
.LBB23_4970:
	s_mov_b32 s24, 0
.LBB23_4971:
	s_delay_alu instid0(SALU_CYCLE_1)
	s_and_b32 vcc_lo, exec_lo, s24
	s_cbranch_vccz .LBB23_4987
; %bb.4972:
	s_cmp_lt_i32 s59, 27
	s_cbranch_scc1 .LBB23_4975
; %bb.4973:
	s_cmp_gt_i32 s59, 27
	s_cbranch_scc0 .LBB23_4976
; %bb.4974:
	s_wait_loadcnt 0x0
	global_load_b32 v24, v[18:19], off
	s_mov_b32 s9, 0
	s_branch .LBB23_4977
.LBB23_4975:
	s_mov_b32 s9, -1
                                        ; implicit-def: $vgpr24
	s_branch .LBB23_4980
.LBB23_4976:
	s_mov_b32 s9, -1
                                        ; implicit-def: $vgpr24
.LBB23_4977:
	s_delay_alu instid0(SALU_CYCLE_1)
	s_and_not1_b32 vcc_lo, exec_lo, s9
	s_cbranch_vccnz .LBB23_4979
; %bb.4978:
	s_wait_loadcnt 0x0
	global_load_u16 v24, v[18:19], off
.LBB23_4979:
	s_mov_b32 s9, 0
.LBB23_4980:
	s_delay_alu instid0(SALU_CYCLE_1)
	s_and_not1_b32 vcc_lo, exec_lo, s9
	s_cbranch_vccnz .LBB23_4986
; %bb.4981:
	global_load_u8 v11, v[18:19], off
	s_mov_b32 s24, 0
	s_mov_b32 s9, exec_lo
	s_wait_loadcnt 0x0
	v_cmpx_lt_i16_e32 0x7f, v11
	s_xor_b32 s9, exec_lo, s9
	s_cbranch_execz .LBB23_4998
; %bb.4982:
	v_cmp_ne_u16_e32 vcc_lo, 0x80, v11
	s_and_b32 s24, vcc_lo, exec_lo
	s_and_not1_saveexec_b32 s9, s9
	s_cbranch_execnz .LBB23_4999
.LBB23_4983:
	s_or_b32 exec_lo, exec_lo, s9
	v_mov_b32_e32 v24, 0
	s_and_saveexec_b32 s9, s24
	s_cbranch_execz .LBB23_4985
.LBB23_4984:
	v_and_b32_e32 v13, 0xffff, v11
	s_delay_alu instid0(VALU_DEP_1) | instskip(SKIP_1) | instid1(VALU_DEP_2)
	v_dual_lshlrev_b32 v11, 24, v11 :: v_dual_bitop2_b32 v15, 7, v13 bitop3:0x40
	v_bfe_u32 v23, v13, 3, 4
	v_and_b32_e32 v11, 0x80000000, v11
	s_delay_alu instid0(VALU_DEP_3) | instskip(NEXT) | instid1(VALU_DEP_3)
	v_clz_i32_u32_e32 v17, v15
	v_cmp_eq_u32_e32 vcc_lo, 0, v23
	s_delay_alu instid0(VALU_DEP_2) | instskip(NEXT) | instid1(VALU_DEP_1)
	v_min_u32_e32 v17, 32, v17
	v_subrev_nc_u32_e32 v21, 28, v17
	v_sub_nc_u32_e32 v17, 29, v17
	s_delay_alu instid0(VALU_DEP_2) | instskip(NEXT) | instid1(VALU_DEP_2)
	v_lshlrev_b32_e32 v13, v21, v13
	v_cndmask_b32_e32 v17, v23, v17, vcc_lo
	s_delay_alu instid0(VALU_DEP_2) | instskip(NEXT) | instid1(VALU_DEP_1)
	v_and_b32_e32 v13, 7, v13
	v_cndmask_b32_e32 v13, v15, v13, vcc_lo
	s_delay_alu instid0(VALU_DEP_3) | instskip(NEXT) | instid1(VALU_DEP_2)
	v_lshl_add_u32 v15, v17, 23, 0x3b800000
	v_lshlrev_b32_e32 v13, 20, v13
	s_delay_alu instid0(VALU_DEP_1) | instskip(NEXT) | instid1(VALU_DEP_1)
	v_or3_b32 v11, v11, v15, v13
	v_cvt_i32_f32_e32 v24, v11
.LBB23_4985:
	s_or_b32 exec_lo, exec_lo, s9
.LBB23_4986:
	s_mov_b32 s9, -1
.LBB23_4987:
	s_mov_b32 s24, 0
.LBB23_4988:
	s_delay_alu instid0(SALU_CYCLE_1)
	s_and_b32 vcc_lo, exec_lo, s24
	s_cbranch_vccz .LBB23_5019
; %bb.4989:
	s_cmp_gt_i32 s59, 22
	s_cbranch_scc0 .LBB23_4997
; %bb.4990:
	s_cmp_lt_i32 s59, 24
	s_cbranch_scc1 .LBB23_5000
; %bb.4991:
	s_cmp_gt_i32 s59, 24
	s_cbranch_scc0 .LBB23_5001
; %bb.4992:
	global_load_u8 v11, v[18:19], off
	s_mov_b32 s9, 0
	s_mov_b32 s1, exec_lo
	s_wait_loadcnt 0x0
	v_cmpx_lt_i16_e32 0x7f, v11
	s_xor_b32 s1, exec_lo, s1
	s_cbranch_execz .LBB23_5013
; %bb.4993:
	v_cmp_ne_u16_e32 vcc_lo, 0x80, v11
	s_and_b32 s9, vcc_lo, exec_lo
	s_and_not1_saveexec_b32 s1, s1
	s_cbranch_execnz .LBB23_5014
.LBB23_4994:
	s_or_b32 exec_lo, exec_lo, s1
	v_mov_b32_e32 v24, 0
	s_and_saveexec_b32 s1, s9
	s_cbranch_execz .LBB23_4996
.LBB23_4995:
	v_and_b32_e32 v13, 0xffff, v11
	s_delay_alu instid0(VALU_DEP_1) | instskip(SKIP_1) | instid1(VALU_DEP_2)
	v_dual_lshlrev_b32 v11, 24, v11 :: v_dual_bitop2_b32 v15, 3, v13 bitop3:0x40
	v_bfe_u32 v23, v13, 2, 5
	v_and_b32_e32 v11, 0x80000000, v11
	s_delay_alu instid0(VALU_DEP_3) | instskip(NEXT) | instid1(VALU_DEP_3)
	v_clz_i32_u32_e32 v17, v15
	v_cmp_eq_u32_e32 vcc_lo, 0, v23
	s_delay_alu instid0(VALU_DEP_2) | instskip(NEXT) | instid1(VALU_DEP_1)
	v_min_u32_e32 v17, 32, v17
	v_subrev_nc_u32_e32 v21, 29, v17
	v_sub_nc_u32_e32 v17, 30, v17
	s_delay_alu instid0(VALU_DEP_2) | instskip(NEXT) | instid1(VALU_DEP_2)
	v_lshlrev_b32_e32 v13, v21, v13
	v_cndmask_b32_e32 v17, v23, v17, vcc_lo
	s_delay_alu instid0(VALU_DEP_2) | instskip(NEXT) | instid1(VALU_DEP_1)
	v_and_b32_e32 v13, 3, v13
	v_cndmask_b32_e32 v13, v15, v13, vcc_lo
	s_delay_alu instid0(VALU_DEP_3) | instskip(NEXT) | instid1(VALU_DEP_2)
	v_lshl_add_u32 v15, v17, 23, 0x37800000
	v_lshlrev_b32_e32 v13, 21, v13
	s_delay_alu instid0(VALU_DEP_1) | instskip(NEXT) | instid1(VALU_DEP_1)
	v_or3_b32 v11, v11, v15, v13
	v_cvt_i32_f32_e32 v24, v11
.LBB23_4996:
	s_or_b32 exec_lo, exec_lo, s1
	s_mov_b32 s1, 0
	s_branch .LBB23_5002
.LBB23_4997:
	s_mov_b32 s1, -1
                                        ; implicit-def: $vgpr24
	s_branch .LBB23_5008
.LBB23_4998:
	s_and_not1_saveexec_b32 s9, s9
	s_cbranch_execz .LBB23_4983
.LBB23_4999:
	v_cmp_ne_u16_e32 vcc_lo, 0, v11
	s_and_not1_b32 s24, s24, exec_lo
	s_and_b32 s25, vcc_lo, exec_lo
	s_delay_alu instid0(SALU_CYCLE_1)
	s_or_b32 s24, s24, s25
	s_or_b32 exec_lo, exec_lo, s9
	v_mov_b32_e32 v24, 0
	s_and_saveexec_b32 s9, s24
	s_cbranch_execnz .LBB23_4984
	s_branch .LBB23_4985
.LBB23_5000:
	s_mov_b32 s1, -1
                                        ; implicit-def: $vgpr24
	s_branch .LBB23_5005
.LBB23_5001:
	s_mov_b32 s1, -1
                                        ; implicit-def: $vgpr24
.LBB23_5002:
	s_delay_alu instid0(SALU_CYCLE_1)
	s_and_b32 vcc_lo, exec_lo, s1
	s_cbranch_vccz .LBB23_5004
; %bb.5003:
	global_load_u8 v11, v[18:19], off
	s_wait_loadcnt 0x0
	v_lshlrev_b32_e32 v11, 24, v11
	s_delay_alu instid0(VALU_DEP_1) | instskip(NEXT) | instid1(VALU_DEP_1)
	v_and_b32_e32 v13, 0x7f000000, v11
	v_clz_i32_u32_e32 v15, v13
	v_add_nc_u32_e32 v21, 0x1000000, v13
	v_cmp_ne_u32_e32 vcc_lo, 0, v13
	s_delay_alu instid0(VALU_DEP_3) | instskip(NEXT) | instid1(VALU_DEP_1)
	v_min_u32_e32 v15, 32, v15
	v_sub_nc_u32_e64 v15, v15, 4 clamp
	s_delay_alu instid0(VALU_DEP_1) | instskip(NEXT) | instid1(VALU_DEP_1)
	v_dual_lshlrev_b32 v17, v15, v13 :: v_dual_lshlrev_b32 v15, 23, v15
	v_lshrrev_b32_e32 v17, 4, v17
	s_delay_alu instid0(VALU_DEP_1) | instskip(NEXT) | instid1(VALU_DEP_1)
	v_dual_sub_nc_u32 v15, v17, v15 :: v_dual_ashrrev_i32 v17, 8, v21
	v_add_nc_u32_e32 v15, 0x3c000000, v15
	s_delay_alu instid0(VALU_DEP_1) | instskip(NEXT) | instid1(VALU_DEP_1)
	v_and_or_b32 v15, 0x7f800000, v17, v15
	v_cndmask_b32_e32 v13, 0, v15, vcc_lo
	s_delay_alu instid0(VALU_DEP_1) | instskip(SKIP_1) | instid1(VALU_DEP_1)
	v_and_or_b32 v11, 0x80000000, v11, v13
	s_wait_xcnt 0x1
	v_cvt_i32_f32_e32 v24, v11
.LBB23_5004:
	s_mov_b32 s1, 0
.LBB23_5005:
	s_delay_alu instid0(SALU_CYCLE_1)
	s_and_not1_b32 vcc_lo, exec_lo, s1
	s_cbranch_vccnz .LBB23_5007
; %bb.5006:
	global_load_u8 v11, v[18:19], off
	s_wait_loadcnt 0x0
	v_lshlrev_b32_e32 v13, 25, v11
	v_lshlrev_b16 v11, 8, v11
	s_delay_alu instid0(VALU_DEP_1) | instskip(SKIP_1) | instid1(VALU_DEP_2)
	v_and_or_b32 v17, 0x7f00, v11, 0.5
	v_bfe_i32 v11, v11, 0, 16
	v_add_f32_e32 v17, -0.5, v17
	v_lshrrev_b32_e32 v15, 4, v13
	v_cmp_gt_u32_e32 vcc_lo, 0x8000000, v13
	s_delay_alu instid0(VALU_DEP_2) | instskip(NEXT) | instid1(VALU_DEP_1)
	v_or_b32_e32 v15, 0x70000000, v15
	v_mul_f32_e32 v15, 0x7800000, v15
	s_delay_alu instid0(VALU_DEP_1) | instskip(NEXT) | instid1(VALU_DEP_1)
	v_cndmask_b32_e32 v13, v15, v17, vcc_lo
	v_and_or_b32 v11, 0x80000000, v11, v13
	s_wait_xcnt 0x1
	s_delay_alu instid0(VALU_DEP_1)
	v_cvt_i32_f32_e32 v24, v11
.LBB23_5007:
	s_mov_b32 s1, 0
	s_mov_b32 s9, -1
.LBB23_5008:
	s_and_not1_b32 vcc_lo, exec_lo, s1
	s_mov_b32 s1, 0
	s_cbranch_vccnz .LBB23_5019
; %bb.5009:
	s_cmp_gt_i32 s59, 14
	s_cbranch_scc0 .LBB23_5012
; %bb.5010:
	s_cmp_eq_u32 s59, 15
	s_cbranch_scc0 .LBB23_5015
; %bb.5011:
	global_load_u16 v11, v[18:19], off
	s_mov_b32 s0, 0
	s_mov_b32 s9, -1
	s_wait_loadcnt 0x0
	v_lshlrev_b32_e32 v11, 16, v11
	s_wait_xcnt 0x1
	s_delay_alu instid0(VALU_DEP_1)
	v_cvt_i32_f32_e32 v24, v11
	s_branch .LBB23_5017
.LBB23_5012:
	s_mov_b32 s1, -1
	s_branch .LBB23_5016
.LBB23_5013:
	s_and_not1_saveexec_b32 s1, s1
	s_cbranch_execz .LBB23_4994
.LBB23_5014:
	v_cmp_ne_u16_e32 vcc_lo, 0, v11
	s_and_not1_b32 s9, s9, exec_lo
	s_and_b32 s24, vcc_lo, exec_lo
	s_delay_alu instid0(SALU_CYCLE_1)
	s_or_b32 s9, s9, s24
	s_or_b32 exec_lo, exec_lo, s1
	v_mov_b32_e32 v24, 0
	s_and_saveexec_b32 s1, s9
	s_cbranch_execnz .LBB23_4995
	s_branch .LBB23_4996
.LBB23_5015:
	s_mov_b32 s0, -1
.LBB23_5016:
                                        ; implicit-def: $vgpr24
.LBB23_5017:
	s_and_b32 vcc_lo, exec_lo, s1
	s_mov_b32 s1, 0
	s_cbranch_vccz .LBB23_5019
; %bb.5018:
	s_cmp_lg_u32 s59, 11
	s_mov_b32 s1, -1
	s_cselect_b32 s0, -1, 0
.LBB23_5019:
	s_delay_alu instid0(SALU_CYCLE_1)
	s_and_b32 vcc_lo, exec_lo, s0
	s_cbranch_vccnz .LBB23_5107
; %bb.5020:
	s_and_not1_b32 vcc_lo, exec_lo, s1
	s_cbranch_vccnz .LBB23_5022
.LBB23_5021:
	global_load_u8 v11, v[18:19], off
	s_mov_b32 s9, -1
	s_wait_loadcnt 0x0
	v_cmp_ne_u16_e32 vcc_lo, 0, v11
	s_wait_xcnt 0x1
	v_cndmask_b32_e64 v24, 0, 1, vcc_lo
.LBB23_5022:
	s_mov_b32 s0, 0
.LBB23_5023:
	s_delay_alu instid0(SALU_CYCLE_1)
	s_and_b32 vcc_lo, exec_lo, s0
	s_cbranch_vccz .LBB23_5072
; %bb.5024:
	s_cmp_lt_i32 s59, 5
	s_cbranch_scc1 .LBB23_5029
; %bb.5025:
	s_cmp_lt_i32 s59, 8
	s_cbranch_scc1 .LBB23_5030
	;; [unrolled: 3-line block ×3, first 2 shown]
; %bb.5027:
	s_cmp_gt_i32 s59, 9
	s_cbranch_scc0 .LBB23_5032
; %bb.5028:
	s_wait_loadcnt 0x0
	global_load_b64 v[24:25], v[18:19], off
	s_mov_b32 s0, 0
	s_wait_loadcnt 0x0
	v_cvt_i32_f64_e32 v24, v[24:25]
	s_branch .LBB23_5033
.LBB23_5029:
	s_mov_b32 s0, -1
                                        ; implicit-def: $vgpr24
	s_branch .LBB23_5051
.LBB23_5030:
	s_mov_b32 s0, -1
                                        ; implicit-def: $vgpr24
	s_branch .LBB23_5039
.LBB23_5031:
	s_mov_b32 s0, -1
                                        ; implicit-def: $vgpr24
	s_branch .LBB23_5036
.LBB23_5032:
	s_mov_b32 s0, -1
                                        ; implicit-def: $vgpr24
.LBB23_5033:
	s_delay_alu instid0(SALU_CYCLE_1)
	s_and_not1_b32 vcc_lo, exec_lo, s0
	s_cbranch_vccnz .LBB23_5035
; %bb.5034:
	global_load_b32 v11, v[18:19], off
	s_wait_loadcnt 0x0
	s_wait_xcnt 0x1
	v_cvt_i32_f32_e32 v24, v11
.LBB23_5035:
	s_mov_b32 s0, 0
.LBB23_5036:
	s_delay_alu instid0(SALU_CYCLE_1)
	s_and_not1_b32 vcc_lo, exec_lo, s0
	s_cbranch_vccnz .LBB23_5038
; %bb.5037:
	global_load_b32 v11, v[18:19], off
	s_wait_loadcnt 0x0
	v_cvt_f32_f16_e32 v11, v11
	s_wait_xcnt 0x1
	s_delay_alu instid0(VALU_DEP_1)
	v_cvt_i32_f32_e32 v24, v11
.LBB23_5038:
	s_mov_b32 s0, 0
.LBB23_5039:
	s_delay_alu instid0(SALU_CYCLE_1)
	s_and_not1_b32 vcc_lo, exec_lo, s0
	s_cbranch_vccnz .LBB23_5050
; %bb.5040:
	s_cmp_lt_i32 s59, 6
	s_cbranch_scc1 .LBB23_5043
; %bb.5041:
	s_cmp_gt_i32 s59, 6
	s_cbranch_scc0 .LBB23_5044
; %bb.5042:
	s_wait_loadcnt 0x0
	global_load_b64 v[24:25], v[18:19], off
	s_mov_b32 s0, 0
	s_wait_loadcnt 0x0
	v_cvt_i32_f64_e32 v24, v[24:25]
	s_branch .LBB23_5045
.LBB23_5043:
	s_mov_b32 s0, -1
                                        ; implicit-def: $vgpr24
	s_branch .LBB23_5048
.LBB23_5044:
	s_mov_b32 s0, -1
                                        ; implicit-def: $vgpr24
.LBB23_5045:
	s_delay_alu instid0(SALU_CYCLE_1)
	s_and_not1_b32 vcc_lo, exec_lo, s0
	s_cbranch_vccnz .LBB23_5047
; %bb.5046:
	global_load_b32 v11, v[18:19], off
	s_wait_loadcnt 0x0
	s_wait_xcnt 0x1
	v_cvt_i32_f32_e32 v24, v11
.LBB23_5047:
	s_mov_b32 s0, 0
.LBB23_5048:
	s_delay_alu instid0(SALU_CYCLE_1)
	s_and_not1_b32 vcc_lo, exec_lo, s0
	s_cbranch_vccnz .LBB23_5050
; %bb.5049:
	global_load_u16 v11, v[18:19], off
	s_wait_loadcnt 0x0
	v_cvt_f32_f16_e32 v11, v11
	s_wait_xcnt 0x1
	s_delay_alu instid0(VALU_DEP_1)
	v_cvt_i32_f32_e32 v24, v11
.LBB23_5050:
	s_mov_b32 s0, 0
.LBB23_5051:
	s_delay_alu instid0(SALU_CYCLE_1)
	s_and_not1_b32 vcc_lo, exec_lo, s0
	s_cbranch_vccnz .LBB23_5071
; %bb.5052:
	s_cmp_lt_i32 s59, 2
	s_cbranch_scc1 .LBB23_5056
; %bb.5053:
	s_cmp_lt_i32 s59, 3
	s_cbranch_scc1 .LBB23_5057
; %bb.5054:
	s_cmp_gt_i32 s59, 3
	s_cbranch_scc0 .LBB23_5058
; %bb.5055:
	s_wait_loadcnt 0x0
	global_load_b32 v24, v[18:19], off
	s_mov_b32 s0, 0
	s_branch .LBB23_5059
.LBB23_5056:
	s_mov_b32 s0, -1
                                        ; implicit-def: $vgpr24
	s_branch .LBB23_5065
.LBB23_5057:
	s_mov_b32 s0, -1
                                        ; implicit-def: $vgpr24
	s_branch .LBB23_5062
.LBB23_5058:
	s_mov_b32 s0, -1
                                        ; implicit-def: $vgpr24
.LBB23_5059:
	s_delay_alu instid0(SALU_CYCLE_1)
	s_and_not1_b32 vcc_lo, exec_lo, s0
	s_cbranch_vccnz .LBB23_5061
; %bb.5060:
	s_wait_loadcnt 0x0
	global_load_b32 v24, v[18:19], off
.LBB23_5061:
	s_mov_b32 s0, 0
.LBB23_5062:
	s_delay_alu instid0(SALU_CYCLE_1)
	s_and_not1_b32 vcc_lo, exec_lo, s0
	s_cbranch_vccnz .LBB23_5064
; %bb.5063:
	s_wait_loadcnt 0x0
	global_load_i16 v24, v[18:19], off
.LBB23_5064:
	s_mov_b32 s0, 0
.LBB23_5065:
	s_delay_alu instid0(SALU_CYCLE_1)
	s_and_not1_b32 vcc_lo, exec_lo, s0
	s_cbranch_vccnz .LBB23_5071
; %bb.5066:
	s_cmp_gt_i32 s59, 0
	s_mov_b32 s0, 0
	s_cbranch_scc0 .LBB23_5068
; %bb.5067:
	s_wait_loadcnt 0x0
	global_load_i8 v24, v[18:19], off
	s_branch .LBB23_5069
.LBB23_5068:
	s_mov_b32 s0, -1
                                        ; implicit-def: $vgpr24
.LBB23_5069:
	s_delay_alu instid0(SALU_CYCLE_1)
	s_and_not1_b32 vcc_lo, exec_lo, s0
	s_cbranch_vccnz .LBB23_5071
; %bb.5070:
	s_wait_loadcnt 0x0
	global_load_u8 v24, v[18:19], off
.LBB23_5071:
	s_mov_b32 s9, -1
.LBB23_5072:
	s_delay_alu instid0(SALU_CYCLE_1)
	s_and_not1_b32 vcc_lo, exec_lo, s9
	s_cbranch_vccnz .LBB23_5081
; %bb.5073:
	s_mov_b32 s0, exec_lo
	s_wait_loadcnt 0x0
	v_cmpx_ne_u32_e64 v7, v1
	s_xor_b32 s0, exec_lo, s0
	s_cbranch_execnz .LBB23_5241
.LBB23_5074:
	s_or_saveexec_b32 s60, s0
	s_mov_b32 s1, 0
	s_mov_b32 s9, 0
                                        ; implicit-def: $vgpr38_vgpr39
                                        ; implicit-def: $sgpr0
	s_xor_b32 exec_lo, exec_lo, s60
	s_cbranch_execz .LBB23_5752
; %bb.5075:
	s_mov_b32 s61, s54
	s_mov_b32 s0, exec_lo
	v_cmpx_ne_u32_e64 v9, v3
	s_xor_b32 s0, exec_lo, s0
	s_cbranch_execnz .LBB23_5369
; %bb.5076:
	s_or_saveexec_b32 s62, s0
                                        ; implicit-def: $vgpr38_vgpr39
                                        ; implicit-def: $sgpr0
	s_delay_alu instid0(SALU_CYCLE_1)
	s_xor_b32 exec_lo, exec_lo, s62
	s_cbranch_execz .LBB23_5751
.LBB23_5077:
	v_sub_nc_u32_e32 v7, v20, v22
	s_mov_b32 s63, s61
	s_delay_alu instid0(VALU_DEP_1) | instskip(SKIP_2) | instid1(SALU_CYCLE_1)
	v_cmp_gt_i32_e32 vcc_lo, v1, v7
	v_cmp_lt_i32_e64 s0, s20, v7
	s_or_b32 s0, vcc_lo, s0
	s_and_saveexec_b32 s1, s0
	s_delay_alu instid0(SALU_CYCLE_1)
	s_xor_b32 s0, exec_lo, s1
	s_cbranch_execnz .LBB23_5497
.LBB23_5078:
	s_or_saveexec_b32 s64, s0
	s_mov_b32 s1, 0
	s_mov_b32 s24, 0
                                        ; implicit-def: $vgpr38_vgpr39
                                        ; implicit-def: $sgpr0
	s_xor_b32 exec_lo, exec_lo, s64
	s_cbranch_execz .LBB23_5750
; %bb.5079:
	v_cmp_ne_u32_e32 vcc_lo, 1, v5
	v_mov_b64_e32 v[18:19], 0
	s_cbranch_vccnz .LBB23_5092
; %bb.5080:
	v_ashrrev_i32_e32 v25, 31, v24
	s_mov_b32 s9, s1
	v_mov_b64_e32 v[18:19], 0
	s_lshl_b64 s[26:27], s[8:9], 3
	s_mov_b64 s[24:25], 0xffffffff
	v_mul_u64_e32 v[26:27], s[10:11], v[24:25]
	v_mov_b32_e32 v24, 0
	s_add_nc_u64 s[26:27], s[2:3], s[26:27]
	s_mov_b32 s9, s45
	s_add_nc_u64 s[26:27], s[26:27], 0x298
	s_branch .LBB23_5088
.LBB23_5081:
	s_mov_b32 s1, 0
	s_mov_b32 s9, 0
                                        ; implicit-def: $vgpr38_vgpr39
                                        ; implicit-def: $sgpr0
.LBB23_5082:
	s_and_not1_b32 s2, s52, exec_lo
	s_and_b32 s3, s54, exec_lo
	s_and_b32 s9, s9, exec_lo
	;; [unrolled: 1-line block ×3, first 2 shown]
	s_or_b32 s52, s2, s3
.LBB23_5083:
	s_wait_xcnt 0x0
	s_or_b32 exec_lo, exec_lo, s53
	s_delay_alu instid0(SALU_CYCLE_1)
	s_and_not1_b32 s2, s50, exec_lo
	s_and_b32 s3, s52, exec_lo
	s_and_b32 s9, s9, exec_lo
	;; [unrolled: 1-line block ×3, first 2 shown]
	s_or_b32 s50, s2, s3
.LBB23_5084:
	s_or_b32 exec_lo, exec_lo, s51
	s_delay_alu instid0(SALU_CYCLE_1)
	s_and_not1_b32 s2, s48, exec_lo
	s_and_b32 s3, s50, exec_lo
	s_and_b32 s9, s9, exec_lo
	;; [unrolled: 1-line block ×3, first 2 shown]
	s_or_b32 s48, s2, s3
.LBB23_5085:
	s_or_b32 exec_lo, exec_lo, s49
	s_delay_alu instid0(SALU_CYCLE_1)
	s_and_not1_b32 s2, s44, exec_lo
	s_and_b32 s3, s48, exec_lo
	s_and_b32 s9, s9, exec_lo
	;; [unrolled: 1-line block ×3, first 2 shown]
	s_or_b32 s44, s2, s3
.LBB23_5086:
	s_or_b32 exec_lo, exec_lo, s47
	s_branch .LBB23_4416
.LBB23_5087:                            ;   in Loop: Header=BB23_5088 Depth=1
	s_or_b32 exec_lo, exec_lo, s0
	s_delay_alu instid0(VALU_DEP_1)
	v_mul_u64_e32 v[30:31], s[28:29], v[28:29]
	s_load_b64 s[28:29], s[26:27], 0x40
	s_add_co_i32 s9, s9, -1
	s_wait_xcnt 0x0
	s_add_nc_u64 s[26:27], s[26:27], -8
	s_cmp_eq_u32 s9, 0
	s_delay_alu instid0(VALU_DEP_1) | instskip(SKIP_1) | instid1(VALU_DEP_1)
	v_sub_nc_u64_e32 v[26:27], v[26:27], v[30:31]
	s_wait_kmcnt 0x0
	v_mad_nc_u64_u32 v[18:19], v26, s28, v[18:19]
	s_delay_alu instid0(VALU_DEP_1) | instskip(NEXT) | instid1(VALU_DEP_1)
	v_mad_u32 v7, v27, s28, v19
	v_mad_u32 v19, v26, s29, v7
	v_mov_b64_e32 v[26:27], v[28:29]
	s_cbranch_scc1 .LBB23_5092
.LBB23_5088:                            ; =>This Inner Loop Header: Depth=1
	s_load_b64 s[28:29], s[26:27], 0x0
                                        ; implicit-def: $vgpr28_vgpr29
	s_mov_b32 s0, exec_lo
	s_wait_kmcnt 0x0
	s_delay_alu instid0(VALU_DEP_1) | instskip(NEXT) | instid1(VALU_DEP_1)
	v_or_b32_e32 v25, s29, v27
	v_cmpx_ne_u64_e32 0, v[24:25]
	s_xor_b32 s65, exec_lo, s0
	s_cbranch_execz .LBB23_5090
; %bb.5089:                             ;   in Loop: Header=BB23_5088 Depth=1
	s_ashr_i32 s30, s29, 31
	v_dual_mov_b32 v33, v24 :: v_dual_ashrrev_i32 v28, 31, v27
	s_mov_b32 s31, s30
	v_mov_b32_e32 v41, v24
	s_add_nc_u64 s[34:35], s[28:29], s[30:31]
	s_delay_alu instid0(VALU_DEP_2) | instskip(SKIP_1) | instid1(SALU_CYCLE_1)
	v_mov_b32_e32 v29, v28
	s_xor_b64 s[34:35], s[34:35], s[30:31]
	s_cvt_f32_u32 s0, s34
	s_cvt_f32_u32 s31, s35
	s_sub_nc_u64 s[68:69], 0, s[34:35]
	v_add_nc_u64_e32 v[30:31], v[26:27], v[28:29]
	v_mov_b32_e32 v37, v24
	s_fmamk_f32 s0, s31, 0x4f800000, s0
	s_delay_alu instid0(SALU_CYCLE_3) | instskip(NEXT) | instid1(VALU_DEP_2)
	v_s_rcp_f32 s0, s0
	v_xor_b32_e32 v32, v30, v28
	s_delay_alu instid0(VALU_DEP_3) | instskip(NEXT) | instid1(TRANS32_DEP_1)
	v_xor_b32_e32 v36, v31, v28
	s_mul_f32 s0, s0, 0x5f7ffffc
	s_delay_alu instid0(SALU_CYCLE_3) | instskip(NEXT) | instid1(SALU_CYCLE_3)
	s_mul_f32 s31, s0, 0x2f800000
	s_trunc_f32 s31, s31
	s_delay_alu instid0(SALU_CYCLE_3) | instskip(SKIP_1) | instid1(SALU_CYCLE_2)
	s_fmamk_f32 s0, s31, 0xcf800000, s0
	s_cvt_u32_f32 s67, s31
	s_cvt_u32_f32 s66, s0
	s_delay_alu instid0(SALU_CYCLE_3) | instskip(NEXT) | instid1(SALU_CYCLE_1)
	s_mul_u64 s[70:71], s[68:69], s[66:67]
	s_mul_hi_u32 s73, s66, s71
	s_mul_i32 s72, s66, s71
	s_mul_hi_u32 s0, s66, s70
	s_mul_i32 s74, s67, s70
	s_add_nc_u64 s[72:73], s[0:1], s[72:73]
	s_mul_hi_u32 s31, s67, s70
	s_mul_hi_u32 s75, s67, s71
	s_add_co_u32 s0, s72, s74
	s_add_co_ci_u32 s0, s73, s31
	s_mul_i32 s70, s67, s71
	s_add_co_ci_u32 s71, s75, 0
	s_delay_alu instid0(SALU_CYCLE_1) | instskip(NEXT) | instid1(SALU_CYCLE_1)
	s_add_nc_u64 s[70:71], s[0:1], s[70:71]
	s_add_co_u32 s66, s66, s70
	s_cselect_b32 s0, -1, 0
	s_delay_alu instid0(SALU_CYCLE_1) | instskip(SKIP_1) | instid1(SALU_CYCLE_1)
	s_cmp_lg_u32 s0, 0
	s_add_co_ci_u32 s67, s67, s71
	s_mul_u64 s[68:69], s[68:69], s[66:67]
	s_delay_alu instid0(SALU_CYCLE_1)
	s_mul_hi_u32 s71, s66, s69
	s_mul_i32 s70, s66, s69
	s_mul_hi_u32 s0, s66, s68
	s_mul_i32 s72, s67, s68
	s_add_nc_u64 s[70:71], s[0:1], s[70:71]
	s_mul_hi_u32 s31, s67, s68
	s_mul_hi_u32 s73, s67, s69
	s_add_co_u32 s0, s70, s72
	s_add_co_ci_u32 s0, s71, s31
	s_mul_i32 s68, s67, s69
	s_add_co_ci_u32 s69, s73, 0
	s_delay_alu instid0(SALU_CYCLE_1) | instskip(NEXT) | instid1(SALU_CYCLE_1)
	s_add_nc_u64 s[68:69], s[0:1], s[68:69]
	s_add_co_u32 s66, s66, s68
	s_cselect_b32 s0, -1, 0
	v_mul_hi_u32 v40, v32, s66
	s_cmp_lg_u32 s0, 0
	s_add_co_ci_u32 s0, s67, s69
	s_and_b64 s[68:69], s[66:67], s[24:25]
	v_mul_u64_e32 v[34:35], s[0:1], v[32:33]
	v_mul_u64_e32 v[30:31], s[68:69], v[36:37]
	;; [unrolled: 1-line block ×3, first 2 shown]
	s_delay_alu instid0(VALU_DEP_3) | instskip(NEXT) | instid1(VALU_DEP_1)
	v_add_nc_u64_e32 v[34:35], v[40:41], v[34:35]
	v_add_co_u32 v7, vcc_lo, v34, v30
	s_delay_alu instid0(VALU_DEP_2) | instskip(NEXT) | instid1(VALU_DEP_4)
	v_add_co_ci_u32_e32 v40, vcc_lo, v35, v31, vcc_lo
	v_add_co_ci_u32_e32 v39, vcc_lo, 0, v39, vcc_lo
	s_delay_alu instid0(VALU_DEP_1) | instskip(NEXT) | instid1(VALU_DEP_1)
	v_add_nc_u64_e32 v[30:31], v[40:41], v[38:39]
	v_mul_u64_e32 v[34:35], s[34:35], v[30:31]
	s_delay_alu instid0(VALU_DEP_1) | instskip(NEXT) | instid1(VALU_DEP_2)
	v_sub_nc_u32_e32 v7, v36, v35
	v_sub_co_u32 v9, vcc_lo, v32, v34
	s_delay_alu instid0(VALU_DEP_1) | instskip(NEXT) | instid1(VALU_DEP_3)
	v_sub_co_ci_u32_e64 v13, null, v36, v35, vcc_lo
	v_subrev_co_ci_u32_e64 v7, null, s35, v7, vcc_lo
	s_delay_alu instid0(VALU_DEP_3) | instskip(SKIP_1) | instid1(VALU_DEP_3)
	v_sub_co_u32 v11, s0, v9, s34
	v_add_nc_u64_e32 v[32:33], 2, v[30:31]
	v_subrev_co_ci_u32_e64 v7, null, 0, v7, s0
	s_delay_alu instid0(VALU_DEP_3) | instskip(SKIP_2) | instid1(VALU_DEP_4)
	v_cmp_le_u32_e32 vcc_lo, s34, v11
	v_add_nc_u64_e32 v[34:35], 1, v[30:31]
	v_cndmask_b32_e64 v11, 0, -1, vcc_lo
	v_cmp_le_u32_e32 vcc_lo, s35, v7
	v_cndmask_b32_e64 v15, 0, -1, vcc_lo
	v_cmp_le_u32_e32 vcc_lo, s34, v9
	;; [unrolled: 2-line block ×3, first 2 shown]
	v_cndmask_b32_e64 v17, 0, -1, vcc_lo
	v_cmp_eq_u32_e32 vcc_lo, s35, v7
	v_cndmask_b32_e32 v7, v15, v11, vcc_lo
	v_cmp_eq_u32_e32 vcc_lo, s35, v13
	s_delay_alu instid0(VALU_DEP_4) | instskip(NEXT) | instid1(VALU_DEP_3)
	v_cndmask_b32_e32 v9, v17, v9, vcc_lo
	v_cmp_ne_u32_e32 vcc_lo, 0, v7
	s_delay_alu instid0(VALU_DEP_2) | instskip(SKIP_1) | instid1(VALU_DEP_1)
	v_cmp_ne_u32_e64 s0, 0, v9
	v_dual_cndmask_b32 v7, v35, v33, vcc_lo :: v_dual_cndmask_b32 v9, v34, v32, vcc_lo
	v_dual_cndmask_b32 v7, v31, v7, s0 :: v_dual_bitop2_b32 v28, s30, v28 bitop3:0x14
	s_delay_alu instid0(VALU_DEP_1) | instskip(NEXT) | instid1(VALU_DEP_2)
	v_dual_cndmask_b32 v9, v30, v9, s0 :: v_dual_mov_b32 v29, v28
	v_xor_b32_e32 v31, v7, v28
	s_delay_alu instid0(VALU_DEP_2) | instskip(NEXT) | instid1(VALU_DEP_1)
	v_xor_b32_e32 v30, v9, v28
	v_sub_nc_u64_e32 v[28:29], v[30:31], v[28:29]
.LBB23_5090:                            ;   in Loop: Header=BB23_5088 Depth=1
	s_and_not1_saveexec_b32 s0, s65
	s_cbranch_execz .LBB23_5087
; %bb.5091:                             ;   in Loop: Header=BB23_5088 Depth=1
	v_cvt_f32_u32_e32 v7, s28
	s_sub_co_i32 s30, 0, s28
	v_mov_b32_e32 v29, v24
	s_delay_alu instid0(VALU_DEP_2) | instskip(SKIP_1) | instid1(TRANS32_DEP_1)
	v_rcp_iflag_f32_e32 v7, v7
	v_nop
	v_mul_f32_e32 v7, 0x4f7ffffe, v7
	s_delay_alu instid0(VALU_DEP_1) | instskip(NEXT) | instid1(VALU_DEP_1)
	v_cvt_u32_f32_e32 v7, v7
	v_mul_lo_u32 v9, s30, v7
	s_delay_alu instid0(VALU_DEP_1) | instskip(NEXT) | instid1(VALU_DEP_1)
	v_mul_hi_u32 v9, v7, v9
	v_add_nc_u32_e32 v7, v7, v9
	s_delay_alu instid0(VALU_DEP_1) | instskip(NEXT) | instid1(VALU_DEP_1)
	v_mul_hi_u32 v7, v26, v7
	v_mul_lo_u32 v9, v7, s28
	s_delay_alu instid0(VALU_DEP_1) | instskip(NEXT) | instid1(VALU_DEP_1)
	v_sub_nc_u32_e32 v9, v26, v9
	v_subrev_nc_u32_e32 v13, s28, v9
	v_cmp_le_u32_e32 vcc_lo, s28, v9
	s_delay_alu instid0(VALU_DEP_2) | instskip(NEXT) | instid1(VALU_DEP_1)
	v_dual_add_nc_u32 v11, 1, v7 :: v_dual_cndmask_b32 v9, v9, v13, vcc_lo
	v_cndmask_b32_e32 v7, v7, v11, vcc_lo
	s_delay_alu instid0(VALU_DEP_2) | instskip(NEXT) | instid1(VALU_DEP_2)
	v_cmp_le_u32_e32 vcc_lo, s28, v9
	v_add_nc_u32_e32 v11, 1, v7
	s_delay_alu instid0(VALU_DEP_1)
	v_cndmask_b32_e32 v28, v7, v11, vcc_lo
	s_branch .LBB23_5087
.LBB23_5092:
	s_mov_b32 s25, -1
	s_mov_b32 s1, s63
	s_mov_b32 s0, exec_lo
	v_cmpx_gt_i32_e64 v20, v22
	s_cbranch_execz .LBB23_5099
; %bb.5093:
	s_delay_alu instid0(VALU_DEP_2) | instskip(SKIP_3) | instid1(VALU_DEP_1)
	v_lshlrev_b64_e32 v[18:19], 2, v[18:19]
	v_dual_ashrrev_i32 v23, 31, v22 :: v_dual_ashrrev_i32 v21, 31, v20
	s_mov_b32 s9, 0
	s_xor_b32 s24, s46, -1
                                        ; implicit-def: $sgpr1
                                        ; implicit-def: $sgpr26
                                        ; implicit-def: $sgpr25
	v_lshl_add_u64 v[22:23], v[22:23], 2, v[18:19]
	s_wait_kmcnt 0x0
	v_add_nc_u64_e32 v[24:25], s[22:23], v[18:19]
	s_delay_alu instid0(VALU_DEP_2) | instskip(NEXT) | instid1(VALU_DEP_2)
	v_add_nc_u64_e32 v[22:23], s[22:23], v[22:23]
	v_lshl_add_u64 v[20:21], v[20:21], 2, v[24:25]
	s_delay_alu instid0(VALU_DEP_2)
	v_add_nc_u64_e32 v[18:19], 4, v[22:23]
	s_branch .LBB23_5095
.LBB23_5094:                            ;   in Loop: Header=BB23_5095 Depth=1
	s_or_b32 exec_lo, exec_lo, s27
	s_xor_b32 s27, s25, -1
	s_and_b32 s28, exec_lo, s26
	s_delay_alu instid0(SALU_CYCLE_1) | instskip(SKIP_2) | instid1(SALU_CYCLE_1)
	s_or_b32 s9, s28, s9
	s_and_not1_b32 s1, s1, exec_lo
	s_and_b32 s27, s27, exec_lo
	s_or_b32 s1, s1, s27
	s_and_not1_b32 exec_lo, exec_lo, s9
	s_cbranch_execz .LBB23_5097
.LBB23_5095:                            ; =>This Inner Loop Header: Depth=1
	s_or_b32 s25, s25, exec_lo
	s_or_b32 s26, s26, exec_lo
	s_mov_b32 s27, exec_lo
	s_delay_alu instid0(VALU_DEP_1)
	v_cmpx_lt_u64_e64 v[18:19], v[20:21]
	s_cbranch_execz .LBB23_5094
; %bb.5096:                             ;   in Loop: Header=BB23_5095 Depth=1
	global_load_b64 v[22:23], v[18:19], off offset:-4
	s_wait_xcnt 0x0
	v_add_nc_u64_e32 v[18:19], 4, v[18:19]
	s_and_not1_b32 s26, s26, exec_lo
	s_and_not1_b32 s25, s25, exec_lo
	s_wait_loadcnt 0x0
	v_cmp_ge_i32_e32 vcc_lo, v22, v23
	s_or_b32 s28, s24, vcc_lo
	s_delay_alu instid0(SALU_CYCLE_1) | instskip(NEXT) | instid1(SALU_CYCLE_1)
	s_and_b32 s28, s28, exec_lo
	s_or_b32 s26, s26, s28
	s_branch .LBB23_5094
.LBB23_5097:
	s_or_b32 exec_lo, exec_lo, s9
	s_mov_b32 s9, -1
	s_mov_b32 s24, s63
	s_and_saveexec_b32 s25, s1
	s_delay_alu instid0(SALU_CYCLE_1)
	s_xor_b32 s1, exec_lo, s25
	s_cbranch_execnz .LBB23_5112
.LBB23_5098:
	s_or_b32 exec_lo, exec_lo, s1
	s_delay_alu instid0(SALU_CYCLE_1)
	s_and_not1_b32 s1, s63, exec_lo
	s_and_b32 s24, s24, exec_lo
	s_or_not1_b32 s25, s9, exec_lo
	s_or_b32 s1, s1, s24
.LBB23_5099:
	s_or_b32 exec_lo, exec_lo, s0
	s_mov_b32 s9, 0
	s_mov_b32 s26, 0
                                        ; implicit-def: $vgpr38_vgpr39
                                        ; implicit-def: $sgpr0
	s_and_saveexec_b32 s24, s25
	s_cbranch_execz .LBB23_5749
; %bb.5100:
	v_mov_b32_e32 v17, 0
	s_cmp_lt_i32 s55, 11
	s_delay_alu instid0(VALU_DEP_1)
	v_add_nc_u64_e32 v[16:17], s[6:7], v[16:17]
	s_cbranch_scc1 .LBB23_5108
; %bb.5101:
	s_cmp_gt_i32 s55, 25
	s_mov_b32 s6, 0
	s_cbranch_scc0 .LBB23_5109
; %bb.5102:
	s_cmp_gt_i32 s55, 28
	s_cbranch_scc0 .LBB23_5110
; %bb.5103:
	s_cmp_gt_i32 s55, 43
	;; [unrolled: 3-line block ×3, first 2 shown]
	s_cbranch_scc0 .LBB23_5113
; %bb.5105:
	s_cmp_eq_u32 s55, 46
	s_cbranch_scc0 .LBB23_5114
; %bb.5106:
	global_load_b32 v7, v[16:17], off
	s_mov_b32 s0, 0
	s_mov_b32 s7, -1
	s_wait_loadcnt 0x0
	v_lshlrev_b32_e32 v7, 16, v7
	s_delay_alu instid0(VALU_DEP_1)
	v_cvt_i32_f32_e32 v7, v7
	s_branch .LBB23_5116
.LBB23_5107:
	s_or_b32 s54, s54, exec_lo
	s_trap 2
	s_cbranch_execz .LBB23_5021
	s_branch .LBB23_5022
.LBB23_5108:
	s_mov_b32 s0, -1
	s_mov_b32 s7, 0
	s_mov_b32 s25, s1
                                        ; implicit-def: $vgpr7
	s_branch .LBB23_5178
.LBB23_5109:
	s_mov_b32 s9, -1
	s_mov_b32 s7, 0
	s_mov_b32 s0, 0
                                        ; implicit-def: $vgpr7
	s_branch .LBB23_5143
.LBB23_5110:
	s_mov_b32 s9, -1
	s_mov_b32 s7, 0
	s_mov_b32 s0, 0
                                        ; implicit-def: $vgpr7
	s_branch .LBB23_5126
.LBB23_5111:
	s_mov_b32 s9, -1
	s_mov_b32 s7, 0
	s_mov_b32 s0, 0
                                        ; implicit-def: $vgpr7
	s_branch .LBB23_5121
.LBB23_5112:
	s_or_b32 s24, s63, exec_lo
	s_xor_b32 s9, exec_lo, -1
	s_trap 2
	s_branch .LBB23_5098
.LBB23_5113:
	s_mov_b32 s9, -1
	s_mov_b32 s7, 0
	s_mov_b32 s0, 0
	s_branch .LBB23_5115
.LBB23_5114:
	s_mov_b32 s0, -1
	s_mov_b32 s7, 0
.LBB23_5115:
                                        ; implicit-def: $vgpr7
.LBB23_5116:
	s_and_b32 vcc_lo, exec_lo, s9
	s_cbranch_vccz .LBB23_5120
; %bb.5117:
	s_cmp_eq_u32 s55, 44
	s_cbranch_scc0 .LBB23_5119
; %bb.5118:
	global_load_u8 v7, v[16:17], off
	s_mov_b32 s0, 0
	s_mov_b32 s7, -1
	s_wait_loadcnt 0x0
	v_lshlrev_b32_e32 v9, 23, v7
	v_cmp_ne_u32_e32 vcc_lo, 0, v7
	s_delay_alu instid0(VALU_DEP_2) | instskip(NEXT) | instid1(VALU_DEP_1)
	v_cvt_i32_f32_e32 v9, v9
	v_cndmask_b32_e32 v7, 0, v9, vcc_lo
	s_branch .LBB23_5120
.LBB23_5119:
	s_mov_b32 s0, -1
                                        ; implicit-def: $vgpr7
.LBB23_5120:
	s_mov_b32 s9, 0
.LBB23_5121:
	s_delay_alu instid0(SALU_CYCLE_1)
	s_and_b32 vcc_lo, exec_lo, s9
	s_cbranch_vccz .LBB23_5125
; %bb.5122:
	s_cmp_eq_u32 s55, 29
	s_cbranch_scc0 .LBB23_5124
; %bb.5123:
	global_load_b32 v7, v[16:17], off
	s_mov_b32 s0, 0
	s_mov_b32 s7, -1
	s_branch .LBB23_5125
.LBB23_5124:
	s_mov_b32 s0, -1
                                        ; implicit-def: $vgpr7
.LBB23_5125:
	s_mov_b32 s9, 0
.LBB23_5126:
	s_delay_alu instid0(SALU_CYCLE_1)
	s_and_b32 vcc_lo, exec_lo, s9
	s_cbranch_vccz .LBB23_5142
; %bb.5127:
	s_cmp_lt_i32 s55, 27
	s_cbranch_scc1 .LBB23_5130
; %bb.5128:
	s_cmp_gt_i32 s55, 27
	s_cbranch_scc0 .LBB23_5131
; %bb.5129:
	s_wait_loadcnt 0x0
	global_load_b32 v7, v[16:17], off
	s_mov_b32 s7, 0
	s_branch .LBB23_5132
.LBB23_5130:
	s_mov_b32 s7, -1
                                        ; implicit-def: $vgpr7
	s_branch .LBB23_5135
.LBB23_5131:
	s_mov_b32 s7, -1
                                        ; implicit-def: $vgpr7
.LBB23_5132:
	s_delay_alu instid0(SALU_CYCLE_1)
	s_and_not1_b32 vcc_lo, exec_lo, s7
	s_cbranch_vccnz .LBB23_5134
; %bb.5133:
	s_wait_loadcnt 0x0
	global_load_u16 v7, v[16:17], off
.LBB23_5134:
	s_mov_b32 s7, 0
.LBB23_5135:
	s_delay_alu instid0(SALU_CYCLE_1)
	s_and_not1_b32 vcc_lo, exec_lo, s7
	s_cbranch_vccnz .LBB23_5141
; %bb.5136:
	global_load_u8 v9, v[16:17], off
	s_mov_b32 s9, 0
	s_mov_b32 s7, exec_lo
	s_wait_loadcnt 0x0
	v_cmpx_lt_i16_e32 0x7f, v9
	s_xor_b32 s7, exec_lo, s7
	s_cbranch_execz .LBB23_5153
; %bb.5137:
	v_cmp_ne_u16_e32 vcc_lo, 0x80, v9
	s_and_b32 s9, vcc_lo, exec_lo
	s_and_not1_saveexec_b32 s7, s7
	s_cbranch_execnz .LBB23_5154
.LBB23_5138:
	s_or_b32 exec_lo, exec_lo, s7
	v_mov_b32_e32 v7, 0
	s_and_saveexec_b32 s7, s9
	s_cbranch_execz .LBB23_5140
.LBB23_5139:
	v_and_b32_e32 v7, 0xffff, v9
	s_delay_alu instid0(VALU_DEP_1) | instskip(SKIP_1) | instid1(VALU_DEP_2)
	v_and_b32_e32 v11, 7, v7
	v_bfe_u32 v18, v7, 3, 4
	v_clz_i32_u32_e32 v13, v11
	s_delay_alu instid0(VALU_DEP_2) | instskip(NEXT) | instid1(VALU_DEP_2)
	v_cmp_eq_u32_e32 vcc_lo, 0, v18
	v_min_u32_e32 v13, 32, v13
	s_delay_alu instid0(VALU_DEP_1) | instskip(NEXT) | instid1(VALU_DEP_1)
	v_subrev_nc_u32_e32 v15, 28, v13
	v_dual_lshlrev_b32 v7, v15, v7 :: v_dual_sub_nc_u32 v13, 29, v13
	s_delay_alu instid0(VALU_DEP_1) | instskip(NEXT) | instid1(VALU_DEP_1)
	v_dual_lshlrev_b32 v9, 24, v9 :: v_dual_bitop2_b32 v7, 7, v7 bitop3:0x40
	v_dual_cndmask_b32 v7, v11, v7, vcc_lo :: v_dual_cndmask_b32 v13, v18, v13, vcc_lo
	s_delay_alu instid0(VALU_DEP_2) | instskip(NEXT) | instid1(VALU_DEP_2)
	v_and_b32_e32 v9, 0x80000000, v9
	v_lshlrev_b32_e32 v7, 20, v7
	s_delay_alu instid0(VALU_DEP_3) | instskip(NEXT) | instid1(VALU_DEP_1)
	v_lshl_add_u32 v11, v13, 23, 0x3b800000
	v_or3_b32 v7, v9, v11, v7
	s_delay_alu instid0(VALU_DEP_1)
	v_cvt_i32_f32_e32 v7, v7
.LBB23_5140:
	s_or_b32 exec_lo, exec_lo, s7
.LBB23_5141:
	s_mov_b32 s7, -1
.LBB23_5142:
	s_mov_b32 s9, 0
.LBB23_5143:
	s_delay_alu instid0(SALU_CYCLE_1)
	s_and_b32 vcc_lo, exec_lo, s9
	s_cbranch_vccz .LBB23_5174
; %bb.5144:
	s_cmp_gt_i32 s55, 22
	s_cbranch_scc0 .LBB23_5152
; %bb.5145:
	s_cmp_lt_i32 s55, 24
	s_cbranch_scc1 .LBB23_5155
; %bb.5146:
	s_cmp_gt_i32 s55, 24
	s_cbranch_scc0 .LBB23_5156
; %bb.5147:
	global_load_u8 v9, v[16:17], off
	s_mov_b32 s7, 0
	s_mov_b32 s6, exec_lo
	s_wait_loadcnt 0x0
	v_cmpx_lt_i16_e32 0x7f, v9
	s_xor_b32 s6, exec_lo, s6
	s_cbranch_execz .LBB23_5168
; %bb.5148:
	v_cmp_ne_u16_e32 vcc_lo, 0x80, v9
	s_and_b32 s7, vcc_lo, exec_lo
	s_and_not1_saveexec_b32 s6, s6
	s_cbranch_execnz .LBB23_5169
.LBB23_5149:
	s_or_b32 exec_lo, exec_lo, s6
	v_mov_b32_e32 v7, 0
	s_and_saveexec_b32 s6, s7
	s_cbranch_execz .LBB23_5151
.LBB23_5150:
	v_and_b32_e32 v7, 0xffff, v9
	s_delay_alu instid0(VALU_DEP_1) | instskip(SKIP_1) | instid1(VALU_DEP_2)
	v_and_b32_e32 v11, 3, v7
	v_bfe_u32 v18, v7, 2, 5
	v_clz_i32_u32_e32 v13, v11
	s_delay_alu instid0(VALU_DEP_2) | instskip(NEXT) | instid1(VALU_DEP_2)
	v_cmp_eq_u32_e32 vcc_lo, 0, v18
	v_min_u32_e32 v13, 32, v13
	s_delay_alu instid0(VALU_DEP_1) | instskip(NEXT) | instid1(VALU_DEP_1)
	v_subrev_nc_u32_e32 v15, 29, v13
	v_dual_lshlrev_b32 v7, v15, v7 :: v_dual_sub_nc_u32 v13, 30, v13
	s_delay_alu instid0(VALU_DEP_1) | instskip(NEXT) | instid1(VALU_DEP_1)
	v_dual_lshlrev_b32 v9, 24, v9 :: v_dual_bitop2_b32 v7, 3, v7 bitop3:0x40
	v_dual_cndmask_b32 v7, v11, v7, vcc_lo :: v_dual_cndmask_b32 v13, v18, v13, vcc_lo
	s_delay_alu instid0(VALU_DEP_2) | instskip(NEXT) | instid1(VALU_DEP_2)
	v_and_b32_e32 v9, 0x80000000, v9
	v_lshlrev_b32_e32 v7, 21, v7
	s_delay_alu instid0(VALU_DEP_3) | instskip(NEXT) | instid1(VALU_DEP_1)
	v_lshl_add_u32 v11, v13, 23, 0x37800000
	v_or3_b32 v7, v9, v11, v7
	s_delay_alu instid0(VALU_DEP_1)
	v_cvt_i32_f32_e32 v7, v7
.LBB23_5151:
	s_or_b32 exec_lo, exec_lo, s6
	s_mov_b32 s6, 0
	s_branch .LBB23_5157
.LBB23_5152:
	s_mov_b32 s6, -1
                                        ; implicit-def: $vgpr7
	s_branch .LBB23_5163
.LBB23_5153:
	s_and_not1_saveexec_b32 s7, s7
	s_cbranch_execz .LBB23_5138
.LBB23_5154:
	v_cmp_ne_u16_e32 vcc_lo, 0, v9
	s_and_not1_b32 s9, s9, exec_lo
	s_and_b32 s25, vcc_lo, exec_lo
	s_delay_alu instid0(SALU_CYCLE_1)
	s_or_b32 s9, s9, s25
	s_or_b32 exec_lo, exec_lo, s7
	v_mov_b32_e32 v7, 0
	s_and_saveexec_b32 s7, s9
	s_cbranch_execnz .LBB23_5139
	s_branch .LBB23_5140
.LBB23_5155:
	s_mov_b32 s6, -1
                                        ; implicit-def: $vgpr7
	s_branch .LBB23_5160
.LBB23_5156:
	s_mov_b32 s6, -1
                                        ; implicit-def: $vgpr7
.LBB23_5157:
	s_delay_alu instid0(SALU_CYCLE_1)
	s_and_b32 vcc_lo, exec_lo, s6
	s_cbranch_vccz .LBB23_5159
; %bb.5158:
	s_wait_loadcnt 0x0
	global_load_u8 v7, v[16:17], off
	s_wait_loadcnt 0x0
	v_lshlrev_b32_e32 v7, 24, v7
	s_delay_alu instid0(VALU_DEP_1) | instskip(NEXT) | instid1(VALU_DEP_1)
	v_and_b32_e32 v9, 0x7f000000, v7
	v_clz_i32_u32_e32 v11, v9
	v_add_nc_u32_e32 v15, 0x1000000, v9
	v_cmp_ne_u32_e32 vcc_lo, 0, v9
	s_delay_alu instid0(VALU_DEP_3) | instskip(NEXT) | instid1(VALU_DEP_1)
	v_min_u32_e32 v11, 32, v11
	v_sub_nc_u32_e64 v11, v11, 4 clamp
	s_delay_alu instid0(VALU_DEP_1) | instskip(NEXT) | instid1(VALU_DEP_1)
	v_dual_lshlrev_b32 v13, v11, v9 :: v_dual_lshlrev_b32 v11, 23, v11
	v_lshrrev_b32_e32 v13, 4, v13
	s_delay_alu instid0(VALU_DEP_1) | instskip(SKIP_1) | instid1(VALU_DEP_2)
	v_sub_nc_u32_e32 v11, v13, v11
	v_ashrrev_i32_e32 v13, 8, v15
	v_add_nc_u32_e32 v11, 0x3c000000, v11
	s_delay_alu instid0(VALU_DEP_1) | instskip(NEXT) | instid1(VALU_DEP_1)
	v_and_or_b32 v11, 0x7f800000, v13, v11
	v_cndmask_b32_e32 v9, 0, v11, vcc_lo
	s_delay_alu instid0(VALU_DEP_1) | instskip(NEXT) | instid1(VALU_DEP_1)
	v_and_or_b32 v7, 0x80000000, v7, v9
	v_cvt_i32_f32_e32 v7, v7
.LBB23_5159:
	s_mov_b32 s6, 0
.LBB23_5160:
	s_delay_alu instid0(SALU_CYCLE_1)
	s_and_not1_b32 vcc_lo, exec_lo, s6
	s_cbranch_vccnz .LBB23_5162
; %bb.5161:
	s_wait_loadcnt 0x0
	global_load_u8 v7, v[16:17], off
	s_wait_loadcnt 0x0
	v_lshlrev_b32_e32 v9, 25, v7
	v_lshlrev_b16 v7, 8, v7
	s_delay_alu instid0(VALU_DEP_1) | instskip(SKIP_1) | instid1(VALU_DEP_2)
	v_and_or_b32 v13, 0x7f00, v7, 0.5
	v_bfe_i32 v7, v7, 0, 16
	v_add_f32_e32 v13, -0.5, v13
	v_lshrrev_b32_e32 v11, 4, v9
	v_cmp_gt_u32_e32 vcc_lo, 0x8000000, v9
	s_delay_alu instid0(VALU_DEP_2) | instskip(NEXT) | instid1(VALU_DEP_1)
	v_or_b32_e32 v11, 0x70000000, v11
	v_mul_f32_e32 v11, 0x7800000, v11
	s_delay_alu instid0(VALU_DEP_1) | instskip(NEXT) | instid1(VALU_DEP_1)
	v_cndmask_b32_e32 v9, v11, v13, vcc_lo
	v_and_or_b32 v7, 0x80000000, v7, v9
	s_delay_alu instid0(VALU_DEP_1)
	v_cvt_i32_f32_e32 v7, v7
.LBB23_5162:
	s_mov_b32 s6, 0
	s_mov_b32 s7, -1
.LBB23_5163:
	s_and_not1_b32 vcc_lo, exec_lo, s6
	s_mov_b32 s6, 0
	s_cbranch_vccnz .LBB23_5174
; %bb.5164:
	s_cmp_gt_i32 s55, 14
	s_cbranch_scc0 .LBB23_5167
; %bb.5165:
	s_cmp_eq_u32 s55, 15
	s_cbranch_scc0 .LBB23_5170
; %bb.5166:
	s_wait_loadcnt 0x0
	global_load_u16 v7, v[16:17], off
	s_mov_b32 s0, 0
	s_mov_b32 s7, -1
	s_wait_loadcnt 0x0
	v_lshlrev_b32_e32 v7, 16, v7
	s_delay_alu instid0(VALU_DEP_1)
	v_cvt_i32_f32_e32 v7, v7
	s_branch .LBB23_5172
.LBB23_5167:
	s_mov_b32 s6, -1
	s_branch .LBB23_5171
.LBB23_5168:
	s_and_not1_saveexec_b32 s6, s6
	s_cbranch_execz .LBB23_5149
.LBB23_5169:
	v_cmp_ne_u16_e32 vcc_lo, 0, v9
	s_and_not1_b32 s7, s7, exec_lo
	s_and_b32 s9, vcc_lo, exec_lo
	s_delay_alu instid0(SALU_CYCLE_1)
	s_or_b32 s7, s7, s9
	s_or_b32 exec_lo, exec_lo, s6
	v_mov_b32_e32 v7, 0
	s_and_saveexec_b32 s6, s7
	s_cbranch_execnz .LBB23_5150
	s_branch .LBB23_5151
.LBB23_5170:
	s_mov_b32 s0, -1
.LBB23_5171:
                                        ; implicit-def: $vgpr7
.LBB23_5172:
	s_and_b32 vcc_lo, exec_lo, s6
	s_mov_b32 s6, 0
	s_cbranch_vccz .LBB23_5174
; %bb.5173:
	s_cmp_lg_u32 s55, 11
	s_mov_b32 s6, -1
	s_cselect_b32 s0, -1, 0
.LBB23_5174:
	s_delay_alu instid0(SALU_CYCLE_1)
	s_and_b32 vcc_lo, exec_lo, s0
	s_mov_b32 s25, s1
	s_cbranch_vccnz .LBB23_5239
; %bb.5175:
	s_and_not1_b32 vcc_lo, exec_lo, s6
	s_cbranch_vccnz .LBB23_5177
.LBB23_5176:
	s_wait_loadcnt 0x0
	global_load_u8 v7, v[16:17], off
	s_mov_b32 s7, -1
	s_wait_loadcnt 0x0
	v_cmp_ne_u16_e32 vcc_lo, 0, v7
	v_cndmask_b32_e64 v7, 0, 1, vcc_lo
.LBB23_5177:
	s_mov_b32 s0, 0
.LBB23_5178:
	s_delay_alu instid0(SALU_CYCLE_1)
	s_and_b32 vcc_lo, exec_lo, s0
	s_cbranch_vccz .LBB23_5227
; %bb.5179:
	s_cmp_lt_i32 s55, 5
	s_cbranch_scc1 .LBB23_5184
; %bb.5180:
	s_cmp_lt_i32 s55, 8
	s_cbranch_scc1 .LBB23_5185
	;; [unrolled: 3-line block ×3, first 2 shown]
; %bb.5182:
	s_cmp_gt_i32 s55, 9
	s_cbranch_scc0 .LBB23_5187
; %bb.5183:
	global_load_b64 v[18:19], v[16:17], off
	s_mov_b32 s0, 0
	s_wait_loadcnt 0x0
	v_cvt_i32_f64_e32 v7, v[18:19]
	s_branch .LBB23_5188
.LBB23_5184:
	s_mov_b32 s0, -1
                                        ; implicit-def: $vgpr7
	s_branch .LBB23_5206
.LBB23_5185:
	s_mov_b32 s0, -1
                                        ; implicit-def: $vgpr7
	s_branch .LBB23_5194
.LBB23_5186:
	s_mov_b32 s0, -1
                                        ; implicit-def: $vgpr7
	s_branch .LBB23_5191
.LBB23_5187:
	s_mov_b32 s0, -1
                                        ; implicit-def: $vgpr7
.LBB23_5188:
	s_delay_alu instid0(SALU_CYCLE_1)
	s_and_not1_b32 vcc_lo, exec_lo, s0
	s_cbranch_vccnz .LBB23_5190
; %bb.5189:
	s_wait_loadcnt 0x0
	global_load_b32 v7, v[16:17], off
	s_wait_loadcnt 0x0
	v_cvt_i32_f32_e32 v7, v7
.LBB23_5190:
	s_mov_b32 s0, 0
.LBB23_5191:
	s_delay_alu instid0(SALU_CYCLE_1)
	s_and_not1_b32 vcc_lo, exec_lo, s0
	s_cbranch_vccnz .LBB23_5193
; %bb.5192:
	s_wait_loadcnt 0x0
	global_load_b32 v7, v[16:17], off
	s_wait_loadcnt 0x0
	v_cvt_f32_f16_e32 v7, v7
	s_delay_alu instid0(VALU_DEP_1)
	v_cvt_i32_f32_e32 v7, v7
.LBB23_5193:
	s_mov_b32 s0, 0
.LBB23_5194:
	s_delay_alu instid0(SALU_CYCLE_1)
	s_and_not1_b32 vcc_lo, exec_lo, s0
	s_cbranch_vccnz .LBB23_5205
; %bb.5195:
	s_cmp_lt_i32 s55, 6
	s_cbranch_scc1 .LBB23_5198
; %bb.5196:
	s_cmp_gt_i32 s55, 6
	s_cbranch_scc0 .LBB23_5199
; %bb.5197:
	global_load_b64 v[18:19], v[16:17], off
	s_mov_b32 s0, 0
	s_wait_loadcnt 0x0
	v_cvt_i32_f64_e32 v7, v[18:19]
	s_branch .LBB23_5200
.LBB23_5198:
	s_mov_b32 s0, -1
                                        ; implicit-def: $vgpr7
	s_branch .LBB23_5203
.LBB23_5199:
	s_mov_b32 s0, -1
                                        ; implicit-def: $vgpr7
.LBB23_5200:
	s_delay_alu instid0(SALU_CYCLE_1)
	s_and_not1_b32 vcc_lo, exec_lo, s0
	s_cbranch_vccnz .LBB23_5202
; %bb.5201:
	s_wait_loadcnt 0x0
	global_load_b32 v7, v[16:17], off
	s_wait_loadcnt 0x0
	v_cvt_i32_f32_e32 v7, v7
.LBB23_5202:
	s_mov_b32 s0, 0
.LBB23_5203:
	s_delay_alu instid0(SALU_CYCLE_1)
	s_and_not1_b32 vcc_lo, exec_lo, s0
	s_cbranch_vccnz .LBB23_5205
; %bb.5204:
	s_wait_loadcnt 0x0
	global_load_u16 v7, v[16:17], off
	s_wait_loadcnt 0x0
	v_cvt_f32_f16_e32 v7, v7
	s_delay_alu instid0(VALU_DEP_1)
	v_cvt_i32_f32_e32 v7, v7
.LBB23_5205:
	s_mov_b32 s0, 0
.LBB23_5206:
	s_delay_alu instid0(SALU_CYCLE_1)
	s_and_not1_b32 vcc_lo, exec_lo, s0
	s_cbranch_vccnz .LBB23_5226
; %bb.5207:
	s_cmp_lt_i32 s55, 2
	s_cbranch_scc1 .LBB23_5211
; %bb.5208:
	s_cmp_lt_i32 s55, 3
	s_cbranch_scc1 .LBB23_5212
; %bb.5209:
	s_cmp_gt_i32 s55, 3
	s_cbranch_scc0 .LBB23_5213
; %bb.5210:
	s_wait_loadcnt 0x0
	global_load_b32 v7, v[16:17], off
	s_mov_b32 s0, 0
	s_branch .LBB23_5214
.LBB23_5211:
	s_mov_b32 s0, -1
                                        ; implicit-def: $vgpr7
	s_branch .LBB23_5220
.LBB23_5212:
	s_mov_b32 s0, -1
                                        ; implicit-def: $vgpr7
	s_branch .LBB23_5217
.LBB23_5213:
	s_mov_b32 s0, -1
                                        ; implicit-def: $vgpr7
.LBB23_5214:
	s_delay_alu instid0(SALU_CYCLE_1)
	s_and_not1_b32 vcc_lo, exec_lo, s0
	s_cbranch_vccnz .LBB23_5216
; %bb.5215:
	s_wait_loadcnt 0x0
	global_load_b32 v7, v[16:17], off
.LBB23_5216:
	s_mov_b32 s0, 0
.LBB23_5217:
	s_delay_alu instid0(SALU_CYCLE_1)
	s_and_not1_b32 vcc_lo, exec_lo, s0
	s_cbranch_vccnz .LBB23_5219
; %bb.5218:
	s_wait_loadcnt 0x0
	global_load_i16 v7, v[16:17], off
.LBB23_5219:
	s_mov_b32 s0, 0
.LBB23_5220:
	s_delay_alu instid0(SALU_CYCLE_1)
	s_and_not1_b32 vcc_lo, exec_lo, s0
	s_cbranch_vccnz .LBB23_5226
; %bb.5221:
	s_cmp_gt_i32 s55, 0
	s_mov_b32 s0, 0
	s_cbranch_scc0 .LBB23_5223
; %bb.5222:
	s_wait_loadcnt 0x0
	global_load_i8 v7, v[16:17], off
	s_branch .LBB23_5224
.LBB23_5223:
	s_mov_b32 s0, -1
                                        ; implicit-def: $vgpr7
.LBB23_5224:
	s_delay_alu instid0(SALU_CYCLE_1)
	s_and_not1_b32 vcc_lo, exec_lo, s0
	s_cbranch_vccnz .LBB23_5226
; %bb.5225:
	s_wait_loadcnt 0x0
	global_load_u8 v7, v[16:17], off
.LBB23_5226:
	s_mov_b32 s7, -1
.LBB23_5227:
	s_delay_alu instid0(SALU_CYCLE_1)
	s_and_not1_b32 vcc_lo, exec_lo, s7
	s_cbranch_vccnz .LBB23_5747
; %bb.5228:
	v_mov_b32_e32 v15, 0
	s_cmp_lt_i32 s56, 11
	s_delay_alu instid0(VALU_DEP_1)
	v_add_nc_u64_e32 v[14:15], s[12:13], v[14:15]
	s_cbranch_scc1 .LBB23_5235
; %bb.5229:
	s_cmp_gt_i32 s56, 25
	s_mov_b32 s6, 0
	s_cbranch_scc0 .LBB23_5236
; %bb.5230:
	s_cmp_gt_i32 s56, 28
	s_cbranch_scc0 .LBB23_5237
; %bb.5231:
	s_cmp_gt_i32 s56, 43
	;; [unrolled: 3-line block ×3, first 2 shown]
	s_cbranch_scc0 .LBB23_5240
; %bb.5233:
	s_cmp_eq_u32 s56, 46
	s_mov_b32 s9, 0
	s_cbranch_scc0 .LBB23_5242
; %bb.5234:
	global_load_b32 v9, v[14:15], off
	s_mov_b32 s0, 0
	s_mov_b32 s7, -1
	s_wait_loadcnt 0x0
	v_lshlrev_b32_e32 v9, 16, v9
	s_wait_xcnt 0x1
	s_delay_alu instid0(VALU_DEP_1)
	v_cvt_i32_f32_e32 v16, v9
	s_branch .LBB23_5244
.LBB23_5235:
	s_mov_b32 s0, -1
	s_mov_b32 s7, 0
                                        ; implicit-def: $vgpr16
	s_branch .LBB23_5306
.LBB23_5236:
	s_mov_b32 s9, -1
	s_mov_b32 s7, 0
	s_mov_b32 s0, 0
                                        ; implicit-def: $vgpr16
	s_branch .LBB23_5271
.LBB23_5237:
	s_mov_b32 s9, -1
	s_mov_b32 s7, 0
	s_mov_b32 s0, 0
                                        ; implicit-def: $vgpr16
	s_branch .LBB23_5254
.LBB23_5238:
	s_mov_b32 s9, -1
	s_mov_b32 s7, 0
	s_mov_b32 s0, 0
                                        ; implicit-def: $vgpr16
	s_branch .LBB23_5249
.LBB23_5239:
	s_or_b32 s25, s1, exec_lo
	s_trap 2
	s_cbranch_execz .LBB23_5176
	s_branch .LBB23_5177
.LBB23_5240:
	s_mov_b32 s9, -1
	s_mov_b32 s7, 0
	s_mov_b32 s0, 0
	s_branch .LBB23_5243
.LBB23_5241:
	s_or_b32 s54, s54, exec_lo
	s_trap 2
                                        ; implicit-def: $vgpr9
                                        ; implicit-def: $vgpr22
                                        ; implicit-def: $vgpr20
                                        ; implicit-def: $vgpr24
                                        ; implicit-def: $vgpr5
                                        ; implicit-def: $vgpr6
                                        ; implicit-def: $vgpr4
                                        ; implicit-def: $vgpr2
                                        ; implicit-def: $vgpr10
                                        ; implicit-def: $vgpr8
                                        ; implicit-def: $vgpr14
                                        ; implicit-def: $vgpr12
                                        ; implicit-def: $vgpr0
                                        ; implicit-def: $vgpr16
                                        ; implicit-def: $vgpr1
                                        ; implicit-def: $vgpr3
	s_branch .LBB23_5074
.LBB23_5242:
	s_mov_b32 s0, -1
	s_mov_b32 s7, 0
.LBB23_5243:
                                        ; implicit-def: $vgpr16
.LBB23_5244:
	s_and_b32 vcc_lo, exec_lo, s9
	s_cbranch_vccz .LBB23_5248
; %bb.5245:
	s_cmp_eq_u32 s56, 44
	s_cbranch_scc0 .LBB23_5247
; %bb.5246:
	global_load_u8 v9, v[14:15], off
	s_mov_b32 s0, 0
	s_mov_b32 s7, -1
	s_wait_loadcnt 0x0
	v_lshlrev_b32_e32 v11, 23, v9
	v_cmp_ne_u32_e32 vcc_lo, 0, v9
	s_delay_alu instid0(VALU_DEP_2) | instskip(SKIP_1) | instid1(VALU_DEP_1)
	v_cvt_i32_f32_e32 v11, v11
	s_wait_xcnt 0x1
	v_cndmask_b32_e32 v16, 0, v11, vcc_lo
	s_branch .LBB23_5248
.LBB23_5247:
	s_mov_b32 s0, -1
                                        ; implicit-def: $vgpr16
.LBB23_5248:
	s_mov_b32 s9, 0
.LBB23_5249:
	s_delay_alu instid0(SALU_CYCLE_1)
	s_and_b32 vcc_lo, exec_lo, s9
	s_cbranch_vccz .LBB23_5253
; %bb.5250:
	s_cmp_eq_u32 s56, 29
	s_cbranch_scc0 .LBB23_5252
; %bb.5251:
	global_load_b32 v16, v[14:15], off
	s_mov_b32 s0, 0
	s_mov_b32 s7, -1
	s_branch .LBB23_5253
.LBB23_5252:
	s_mov_b32 s0, -1
                                        ; implicit-def: $vgpr16
.LBB23_5253:
	s_mov_b32 s9, 0
.LBB23_5254:
	s_delay_alu instid0(SALU_CYCLE_1)
	s_and_b32 vcc_lo, exec_lo, s9
	s_cbranch_vccz .LBB23_5270
; %bb.5255:
	s_cmp_lt_i32 s56, 27
	s_cbranch_scc1 .LBB23_5258
; %bb.5256:
	s_cmp_gt_i32 s56, 27
	s_cbranch_scc0 .LBB23_5259
; %bb.5257:
	s_wait_loadcnt 0x0
	global_load_b32 v16, v[14:15], off
	s_mov_b32 s7, 0
	s_branch .LBB23_5260
.LBB23_5258:
	s_mov_b32 s7, -1
                                        ; implicit-def: $vgpr16
	s_branch .LBB23_5263
.LBB23_5259:
	s_mov_b32 s7, -1
                                        ; implicit-def: $vgpr16
.LBB23_5260:
	s_delay_alu instid0(SALU_CYCLE_1)
	s_and_not1_b32 vcc_lo, exec_lo, s7
	s_cbranch_vccnz .LBB23_5262
; %bb.5261:
	s_wait_loadcnt 0x0
	global_load_u16 v16, v[14:15], off
.LBB23_5262:
	s_mov_b32 s7, 0
.LBB23_5263:
	s_delay_alu instid0(SALU_CYCLE_1)
	s_and_not1_b32 vcc_lo, exec_lo, s7
	s_cbranch_vccnz .LBB23_5269
; %bb.5264:
	global_load_u8 v9, v[14:15], off
	s_mov_b32 s9, 0
	s_mov_b32 s7, exec_lo
	s_wait_loadcnt 0x0
	v_cmpx_lt_i16_e32 0x7f, v9
	s_xor_b32 s7, exec_lo, s7
	s_cbranch_execz .LBB23_5281
; %bb.5265:
	v_cmp_ne_u16_e32 vcc_lo, 0x80, v9
	s_and_b32 s9, vcc_lo, exec_lo
	s_and_not1_saveexec_b32 s7, s7
	s_cbranch_execnz .LBB23_5282
.LBB23_5266:
	s_or_b32 exec_lo, exec_lo, s7
	v_mov_b32_e32 v16, 0
	s_and_saveexec_b32 s7, s9
	s_cbranch_execz .LBB23_5268
.LBB23_5267:
	v_and_b32_e32 v11, 0xffff, v9
	s_delay_alu instid0(VALU_DEP_1) | instskip(SKIP_1) | instid1(VALU_DEP_2)
	v_and_b32_e32 v13, 7, v11
	v_bfe_u32 v18, v11, 3, 4
	v_clz_i32_u32_e32 v16, v13
	s_delay_alu instid0(VALU_DEP_2) | instskip(NEXT) | instid1(VALU_DEP_2)
	v_cmp_eq_u32_e32 vcc_lo, 0, v18
	v_min_u32_e32 v16, 32, v16
	s_delay_alu instid0(VALU_DEP_1) | instskip(NEXT) | instid1(VALU_DEP_1)
	v_subrev_nc_u32_e32 v17, 28, v16
	v_dual_lshlrev_b32 v11, v17, v11 :: v_dual_sub_nc_u32 v16, 29, v16
	s_delay_alu instid0(VALU_DEP_1) | instskip(NEXT) | instid1(VALU_DEP_1)
	v_dual_lshlrev_b32 v9, 24, v9 :: v_dual_bitop2_b32 v11, 7, v11 bitop3:0x40
	v_dual_cndmask_b32 v16, v18, v16 :: v_dual_cndmask_b32 v11, v13, v11
	s_delay_alu instid0(VALU_DEP_2) | instskip(NEXT) | instid1(VALU_DEP_2)
	v_and_b32_e32 v9, 0x80000000, v9
	v_lshl_add_u32 v13, v16, 23, 0x3b800000
	s_delay_alu instid0(VALU_DEP_3) | instskip(NEXT) | instid1(VALU_DEP_1)
	v_lshlrev_b32_e32 v11, 20, v11
	v_or3_b32 v9, v9, v13, v11
	s_delay_alu instid0(VALU_DEP_1)
	v_cvt_i32_f32_e32 v16, v9
.LBB23_5268:
	s_or_b32 exec_lo, exec_lo, s7
.LBB23_5269:
	s_mov_b32 s7, -1
.LBB23_5270:
	s_mov_b32 s9, 0
.LBB23_5271:
	s_delay_alu instid0(SALU_CYCLE_1)
	s_and_b32 vcc_lo, exec_lo, s9
	s_cbranch_vccz .LBB23_5302
; %bb.5272:
	s_cmp_gt_i32 s56, 22
	s_cbranch_scc0 .LBB23_5280
; %bb.5273:
	s_cmp_lt_i32 s56, 24
	s_cbranch_scc1 .LBB23_5283
; %bb.5274:
	s_cmp_gt_i32 s56, 24
	s_cbranch_scc0 .LBB23_5284
; %bb.5275:
	global_load_u8 v9, v[14:15], off
	s_mov_b32 s7, 0
	s_mov_b32 s6, exec_lo
	s_wait_loadcnt 0x0
	v_cmpx_lt_i16_e32 0x7f, v9
	s_xor_b32 s6, exec_lo, s6
	s_cbranch_execz .LBB23_5296
; %bb.5276:
	v_cmp_ne_u16_e32 vcc_lo, 0x80, v9
	s_and_b32 s7, vcc_lo, exec_lo
	s_and_not1_saveexec_b32 s6, s6
	s_cbranch_execnz .LBB23_5297
.LBB23_5277:
	s_or_b32 exec_lo, exec_lo, s6
	v_mov_b32_e32 v16, 0
	s_and_saveexec_b32 s6, s7
	s_cbranch_execz .LBB23_5279
.LBB23_5278:
	v_and_b32_e32 v11, 0xffff, v9
	s_delay_alu instid0(VALU_DEP_1) | instskip(SKIP_1) | instid1(VALU_DEP_2)
	v_and_b32_e32 v13, 3, v11
	v_bfe_u32 v18, v11, 2, 5
	v_clz_i32_u32_e32 v16, v13
	s_delay_alu instid0(VALU_DEP_2) | instskip(NEXT) | instid1(VALU_DEP_2)
	v_cmp_eq_u32_e32 vcc_lo, 0, v18
	v_min_u32_e32 v16, 32, v16
	s_delay_alu instid0(VALU_DEP_1) | instskip(NEXT) | instid1(VALU_DEP_1)
	v_subrev_nc_u32_e32 v17, 29, v16
	v_dual_lshlrev_b32 v11, v17, v11 :: v_dual_sub_nc_u32 v16, 30, v16
	s_delay_alu instid0(VALU_DEP_1) | instskip(NEXT) | instid1(VALU_DEP_1)
	v_dual_lshlrev_b32 v9, 24, v9 :: v_dual_bitop2_b32 v11, 3, v11 bitop3:0x40
	v_dual_cndmask_b32 v16, v18, v16 :: v_dual_cndmask_b32 v11, v13, v11
	s_delay_alu instid0(VALU_DEP_2) | instskip(NEXT) | instid1(VALU_DEP_2)
	v_and_b32_e32 v9, 0x80000000, v9
	v_lshl_add_u32 v13, v16, 23, 0x37800000
	s_delay_alu instid0(VALU_DEP_3) | instskip(NEXT) | instid1(VALU_DEP_1)
	v_lshlrev_b32_e32 v11, 21, v11
	v_or3_b32 v9, v9, v13, v11
	s_delay_alu instid0(VALU_DEP_1)
	v_cvt_i32_f32_e32 v16, v9
.LBB23_5279:
	s_or_b32 exec_lo, exec_lo, s6
	s_mov_b32 s6, 0
	s_branch .LBB23_5285
.LBB23_5280:
	s_mov_b32 s6, -1
                                        ; implicit-def: $vgpr16
	s_branch .LBB23_5291
.LBB23_5281:
	s_and_not1_saveexec_b32 s7, s7
	s_cbranch_execz .LBB23_5266
.LBB23_5282:
	v_cmp_ne_u16_e32 vcc_lo, 0, v9
	s_and_not1_b32 s9, s9, exec_lo
	s_and_b32 s12, vcc_lo, exec_lo
	s_delay_alu instid0(SALU_CYCLE_1)
	s_or_b32 s9, s9, s12
	s_or_b32 exec_lo, exec_lo, s7
	v_mov_b32_e32 v16, 0
	s_and_saveexec_b32 s7, s9
	s_cbranch_execnz .LBB23_5267
	s_branch .LBB23_5268
.LBB23_5283:
	s_mov_b32 s6, -1
                                        ; implicit-def: $vgpr16
	s_branch .LBB23_5288
.LBB23_5284:
	s_mov_b32 s6, -1
                                        ; implicit-def: $vgpr16
.LBB23_5285:
	s_delay_alu instid0(SALU_CYCLE_1)
	s_and_b32 vcc_lo, exec_lo, s6
	s_cbranch_vccz .LBB23_5287
; %bb.5286:
	global_load_u8 v9, v[14:15], off
	s_wait_loadcnt 0x0
	v_lshlrev_b32_e32 v9, 24, v9
	s_delay_alu instid0(VALU_DEP_1) | instskip(NEXT) | instid1(VALU_DEP_1)
	v_and_b32_e32 v11, 0x7f000000, v9
	v_clz_i32_u32_e32 v13, v11
	s_wait_xcnt 0x1
	v_add_nc_u32_e32 v17, 0x1000000, v11
	v_cmp_ne_u32_e32 vcc_lo, 0, v11
	s_delay_alu instid0(VALU_DEP_3) | instskip(NEXT) | instid1(VALU_DEP_1)
	v_min_u32_e32 v13, 32, v13
	v_sub_nc_u32_e64 v13, v13, 4 clamp
	s_delay_alu instid0(VALU_DEP_1) | instskip(NEXT) | instid1(VALU_DEP_1)
	v_dual_lshlrev_b32 v16, v13, v11 :: v_dual_lshlrev_b32 v13, 23, v13
	v_lshrrev_b32_e32 v16, 4, v16
	s_delay_alu instid0(VALU_DEP_1) | instskip(SKIP_1) | instid1(VALU_DEP_2)
	v_sub_nc_u32_e32 v13, v16, v13
	v_ashrrev_i32_e32 v16, 8, v17
	v_add_nc_u32_e32 v13, 0x3c000000, v13
	s_delay_alu instid0(VALU_DEP_1) | instskip(NEXT) | instid1(VALU_DEP_1)
	v_and_or_b32 v13, 0x7f800000, v16, v13
	v_cndmask_b32_e32 v11, 0, v13, vcc_lo
	s_delay_alu instid0(VALU_DEP_1) | instskip(NEXT) | instid1(VALU_DEP_1)
	v_and_or_b32 v9, 0x80000000, v9, v11
	v_cvt_i32_f32_e32 v16, v9
.LBB23_5287:
	s_mov_b32 s6, 0
.LBB23_5288:
	s_delay_alu instid0(SALU_CYCLE_1)
	s_and_not1_b32 vcc_lo, exec_lo, s6
	s_cbranch_vccnz .LBB23_5290
; %bb.5289:
	global_load_u8 v9, v[14:15], off
	s_wait_loadcnt 0x0
	v_lshlrev_b32_e32 v11, 25, v9
	v_lshlrev_b16 v9, 8, v9
	s_wait_xcnt 0x1
	s_delay_alu instid0(VALU_DEP_1) | instskip(SKIP_1) | instid1(VALU_DEP_2)
	v_and_or_b32 v16, 0x7f00, v9, 0.5
	v_bfe_i32 v9, v9, 0, 16
	v_dual_add_f32 v16, -0.5, v16 :: v_dual_lshrrev_b32 v13, 4, v11
	v_cmp_gt_u32_e32 vcc_lo, 0x8000000, v11
	s_delay_alu instid0(VALU_DEP_2) | instskip(NEXT) | instid1(VALU_DEP_1)
	v_or_b32_e32 v13, 0x70000000, v13
	v_mul_f32_e32 v13, 0x7800000, v13
	s_delay_alu instid0(VALU_DEP_1) | instskip(NEXT) | instid1(VALU_DEP_1)
	v_cndmask_b32_e32 v11, v13, v16, vcc_lo
	v_and_or_b32 v9, 0x80000000, v9, v11
	s_delay_alu instid0(VALU_DEP_1)
	v_cvt_i32_f32_e32 v16, v9
.LBB23_5290:
	s_mov_b32 s6, 0
	s_mov_b32 s7, -1
.LBB23_5291:
	s_and_not1_b32 vcc_lo, exec_lo, s6
	s_mov_b32 s6, 0
	s_cbranch_vccnz .LBB23_5302
; %bb.5292:
	s_cmp_gt_i32 s56, 14
	s_cbranch_scc0 .LBB23_5295
; %bb.5293:
	s_cmp_eq_u32 s56, 15
	s_cbranch_scc0 .LBB23_5298
; %bb.5294:
	global_load_u16 v9, v[14:15], off
	s_mov_b32 s0, 0
	s_mov_b32 s7, -1
	s_wait_loadcnt 0x0
	v_lshlrev_b32_e32 v9, 16, v9
	s_wait_xcnt 0x1
	s_delay_alu instid0(VALU_DEP_1)
	v_cvt_i32_f32_e32 v16, v9
	s_branch .LBB23_5300
.LBB23_5295:
	s_mov_b32 s6, -1
	s_branch .LBB23_5299
.LBB23_5296:
	s_and_not1_saveexec_b32 s6, s6
	s_cbranch_execz .LBB23_5277
.LBB23_5297:
	v_cmp_ne_u16_e32 vcc_lo, 0, v9
	s_and_not1_b32 s7, s7, exec_lo
	s_and_b32 s9, vcc_lo, exec_lo
	s_delay_alu instid0(SALU_CYCLE_1)
	s_or_b32 s7, s7, s9
	s_or_b32 exec_lo, exec_lo, s6
	v_mov_b32_e32 v16, 0
	s_and_saveexec_b32 s6, s7
	s_cbranch_execnz .LBB23_5278
	s_branch .LBB23_5279
.LBB23_5298:
	s_mov_b32 s0, -1
.LBB23_5299:
                                        ; implicit-def: $vgpr16
.LBB23_5300:
	s_and_b32 vcc_lo, exec_lo, s6
	s_mov_b32 s6, 0
	s_cbranch_vccz .LBB23_5302
; %bb.5301:
	s_cmp_lg_u32 s56, 11
	s_mov_b32 s6, -1
	s_cselect_b32 s0, -1, 0
.LBB23_5302:
	s_delay_alu instid0(SALU_CYCLE_1)
	s_and_b32 vcc_lo, exec_lo, s0
	s_cbranch_vccnz .LBB23_5367
; %bb.5303:
	s_and_not1_b32 vcc_lo, exec_lo, s6
	s_cbranch_vccnz .LBB23_5305
.LBB23_5304:
	global_load_u8 v9, v[14:15], off
	s_mov_b32 s7, -1
	s_wait_loadcnt 0x0
	v_cmp_ne_u16_e32 vcc_lo, 0, v9
	s_wait_xcnt 0x1
	v_cndmask_b32_e64 v16, 0, 1, vcc_lo
.LBB23_5305:
	s_mov_b32 s0, 0
.LBB23_5306:
	s_delay_alu instid0(SALU_CYCLE_1)
	s_and_b32 vcc_lo, exec_lo, s0
	s_cbranch_vccz .LBB23_5355
; %bb.5307:
	s_cmp_lt_i32 s56, 5
	s_cbranch_scc1 .LBB23_5312
; %bb.5308:
	s_cmp_lt_i32 s56, 8
	s_cbranch_scc1 .LBB23_5313
; %bb.5309:
	s_cmp_lt_i32 s56, 9
	s_cbranch_scc1 .LBB23_5314
; %bb.5310:
	s_cmp_gt_i32 s56, 9
	s_cbranch_scc0 .LBB23_5315
; %bb.5311:
	s_wait_loadcnt 0x0
	global_load_b64 v[16:17], v[14:15], off
	s_mov_b32 s0, 0
	s_wait_loadcnt 0x0
	v_cvt_i32_f64_e32 v16, v[16:17]
	s_branch .LBB23_5316
.LBB23_5312:
	s_mov_b32 s0, -1
                                        ; implicit-def: $vgpr16
	s_branch .LBB23_5334
.LBB23_5313:
	s_mov_b32 s0, -1
                                        ; implicit-def: $vgpr16
	s_branch .LBB23_5322
.LBB23_5314:
	s_mov_b32 s0, -1
                                        ; implicit-def: $vgpr16
	s_branch .LBB23_5319
.LBB23_5315:
	s_mov_b32 s0, -1
                                        ; implicit-def: $vgpr16
.LBB23_5316:
	s_delay_alu instid0(SALU_CYCLE_1)
	s_and_not1_b32 vcc_lo, exec_lo, s0
	s_cbranch_vccnz .LBB23_5318
; %bb.5317:
	global_load_b32 v9, v[14:15], off
	s_wait_loadcnt 0x0
	s_wait_xcnt 0x1
	v_cvt_i32_f32_e32 v16, v9
.LBB23_5318:
	s_mov_b32 s0, 0
.LBB23_5319:
	s_delay_alu instid0(SALU_CYCLE_1)
	s_and_not1_b32 vcc_lo, exec_lo, s0
	s_cbranch_vccnz .LBB23_5321
; %bb.5320:
	global_load_b32 v9, v[14:15], off
	s_wait_loadcnt 0x0
	v_cvt_f32_f16_e32 v9, v9
	s_wait_xcnt 0x1
	s_delay_alu instid0(VALU_DEP_1)
	v_cvt_i32_f32_e32 v16, v9
.LBB23_5321:
	s_mov_b32 s0, 0
.LBB23_5322:
	s_delay_alu instid0(SALU_CYCLE_1)
	s_and_not1_b32 vcc_lo, exec_lo, s0
	s_cbranch_vccnz .LBB23_5333
; %bb.5323:
	s_cmp_lt_i32 s56, 6
	s_cbranch_scc1 .LBB23_5326
; %bb.5324:
	s_cmp_gt_i32 s56, 6
	s_cbranch_scc0 .LBB23_5327
; %bb.5325:
	s_wait_loadcnt 0x0
	global_load_b64 v[16:17], v[14:15], off
	s_mov_b32 s0, 0
	s_wait_loadcnt 0x0
	v_cvt_i32_f64_e32 v16, v[16:17]
	s_branch .LBB23_5328
.LBB23_5326:
	s_mov_b32 s0, -1
                                        ; implicit-def: $vgpr16
	s_branch .LBB23_5331
.LBB23_5327:
	s_mov_b32 s0, -1
                                        ; implicit-def: $vgpr16
.LBB23_5328:
	s_delay_alu instid0(SALU_CYCLE_1)
	s_and_not1_b32 vcc_lo, exec_lo, s0
	s_cbranch_vccnz .LBB23_5330
; %bb.5329:
	global_load_b32 v9, v[14:15], off
	s_wait_loadcnt 0x0
	s_wait_xcnt 0x1
	v_cvt_i32_f32_e32 v16, v9
.LBB23_5330:
	s_mov_b32 s0, 0
.LBB23_5331:
	s_delay_alu instid0(SALU_CYCLE_1)
	s_and_not1_b32 vcc_lo, exec_lo, s0
	s_cbranch_vccnz .LBB23_5333
; %bb.5332:
	global_load_u16 v9, v[14:15], off
	s_wait_loadcnt 0x0
	v_cvt_f32_f16_e32 v9, v9
	s_wait_xcnt 0x1
	s_delay_alu instid0(VALU_DEP_1)
	v_cvt_i32_f32_e32 v16, v9
.LBB23_5333:
	s_mov_b32 s0, 0
.LBB23_5334:
	s_delay_alu instid0(SALU_CYCLE_1)
	s_and_not1_b32 vcc_lo, exec_lo, s0
	s_cbranch_vccnz .LBB23_5354
; %bb.5335:
	s_cmp_lt_i32 s56, 2
	s_cbranch_scc1 .LBB23_5339
; %bb.5336:
	s_cmp_lt_i32 s56, 3
	s_cbranch_scc1 .LBB23_5340
; %bb.5337:
	s_cmp_gt_i32 s56, 3
	s_cbranch_scc0 .LBB23_5341
; %bb.5338:
	s_wait_loadcnt 0x0
	global_load_b32 v16, v[14:15], off
	s_mov_b32 s0, 0
	s_branch .LBB23_5342
.LBB23_5339:
	s_mov_b32 s0, -1
                                        ; implicit-def: $vgpr16
	s_branch .LBB23_5348
.LBB23_5340:
	s_mov_b32 s0, -1
                                        ; implicit-def: $vgpr16
	s_branch .LBB23_5345
.LBB23_5341:
	s_mov_b32 s0, -1
                                        ; implicit-def: $vgpr16
.LBB23_5342:
	s_delay_alu instid0(SALU_CYCLE_1)
	s_and_not1_b32 vcc_lo, exec_lo, s0
	s_cbranch_vccnz .LBB23_5344
; %bb.5343:
	s_wait_loadcnt 0x0
	global_load_b32 v16, v[14:15], off
.LBB23_5344:
	s_mov_b32 s0, 0
.LBB23_5345:
	s_delay_alu instid0(SALU_CYCLE_1)
	s_and_not1_b32 vcc_lo, exec_lo, s0
	s_cbranch_vccnz .LBB23_5347
; %bb.5346:
	s_wait_loadcnt 0x0
	global_load_i16 v16, v[14:15], off
.LBB23_5347:
	s_mov_b32 s0, 0
.LBB23_5348:
	s_delay_alu instid0(SALU_CYCLE_1)
	s_and_not1_b32 vcc_lo, exec_lo, s0
	s_cbranch_vccnz .LBB23_5354
; %bb.5349:
	s_cmp_gt_i32 s56, 0
	s_mov_b32 s0, 0
	s_cbranch_scc0 .LBB23_5351
; %bb.5350:
	s_wait_loadcnt 0x0
	global_load_i8 v16, v[14:15], off
	s_branch .LBB23_5352
.LBB23_5351:
	s_mov_b32 s0, -1
                                        ; implicit-def: $vgpr16
.LBB23_5352:
	s_delay_alu instid0(SALU_CYCLE_1)
	s_and_not1_b32 vcc_lo, exec_lo, s0
	s_cbranch_vccnz .LBB23_5354
; %bb.5353:
	s_wait_loadcnt 0x0
	global_load_u8 v16, v[14:15], off
.LBB23_5354:
	s_mov_b32 s7, -1
.LBB23_5355:
	s_delay_alu instid0(SALU_CYCLE_1)
	s_and_not1_b32 vcc_lo, exec_lo, s7
	s_cbranch_vccnz .LBB23_5747
; %bb.5356:
	v_mov_b32_e32 v13, 0
	s_cmp_lt_i32 s57, 11
	s_wait_xcnt 0x0
	s_delay_alu instid0(VALU_DEP_1)
	v_add_nc_u64_e32 v[14:15], s[14:15], v[12:13]
	s_cbranch_scc1 .LBB23_5363
; %bb.5357:
	s_cmp_gt_i32 s57, 25
	s_mov_b32 s6, 0
	s_cbranch_scc0 .LBB23_5364
; %bb.5358:
	s_cmp_gt_i32 s57, 28
	s_cbranch_scc0 .LBB23_5365
; %bb.5359:
	s_cmp_gt_i32 s57, 43
	;; [unrolled: 3-line block ×3, first 2 shown]
	s_cbranch_scc0 .LBB23_5368
; %bb.5361:
	s_cmp_eq_u32 s57, 46
	s_mov_b32 s9, 0
	s_cbranch_scc0 .LBB23_5370
; %bb.5362:
	global_load_b32 v9, v[14:15], off
	s_mov_b32 s0, 0
	s_mov_b32 s7, -1
	s_wait_loadcnt 0x0
	v_lshlrev_b32_e32 v9, 16, v9
	s_delay_alu instid0(VALU_DEP_1)
	v_cvt_i32_f32_e32 v12, v9
	s_branch .LBB23_5372
.LBB23_5363:
	s_mov_b32 s0, -1
	s_mov_b32 s7, 0
                                        ; implicit-def: $vgpr12
	s_branch .LBB23_5434
.LBB23_5364:
	s_mov_b32 s9, -1
	s_mov_b32 s7, 0
	s_mov_b32 s0, 0
                                        ; implicit-def: $vgpr12
	s_branch .LBB23_5399
.LBB23_5365:
	s_mov_b32 s9, -1
	s_mov_b32 s7, 0
	s_mov_b32 s0, 0
                                        ; implicit-def: $vgpr12
	s_branch .LBB23_5382
.LBB23_5366:
	s_mov_b32 s9, -1
	s_mov_b32 s7, 0
	s_mov_b32 s0, 0
                                        ; implicit-def: $vgpr12
	s_branch .LBB23_5377
.LBB23_5367:
	s_or_b32 s25, s25, exec_lo
	s_trap 2
	s_cbranch_execz .LBB23_5304
	s_branch .LBB23_5305
.LBB23_5368:
	s_mov_b32 s9, -1
	s_mov_b32 s7, 0
	s_mov_b32 s0, 0
	s_branch .LBB23_5371
.LBB23_5369:
	s_or_b32 s61, s54, exec_lo
	s_trap 2
                                        ; implicit-def: $vgpr22
                                        ; implicit-def: $vgpr20
                                        ; implicit-def: $vgpr24
                                        ; implicit-def: $vgpr5
                                        ; implicit-def: $vgpr6
                                        ; implicit-def: $vgpr4
                                        ; implicit-def: $vgpr2
                                        ; implicit-def: $vgpr10
                                        ; implicit-def: $vgpr8
                                        ; implicit-def: $vgpr14
                                        ; implicit-def: $vgpr12
                                        ; implicit-def: $vgpr0
                                        ; implicit-def: $vgpr16
                                        ; implicit-def: $vgpr1
                                        ; implicit-def: $vgpr3
	s_or_saveexec_b32 s62, s0
                                        ; implicit-def: $vgpr38_vgpr39
                                        ; implicit-def: $sgpr0
	s_delay_alu instid0(SALU_CYCLE_1)
	s_xor_b32 exec_lo, exec_lo, s62
	s_cbranch_execz .LBB23_5751
	s_branch .LBB23_5077
.LBB23_5370:
	s_mov_b32 s0, -1
	s_mov_b32 s7, 0
.LBB23_5371:
                                        ; implicit-def: $vgpr12
.LBB23_5372:
	s_and_b32 vcc_lo, exec_lo, s9
	s_cbranch_vccz .LBB23_5376
; %bb.5373:
	s_cmp_eq_u32 s57, 44
	s_cbranch_scc0 .LBB23_5375
; %bb.5374:
	global_load_u8 v9, v[14:15], off
	s_mov_b32 s0, 0
	s_mov_b32 s7, -1
	s_wait_loadcnt 0x0
	v_lshlrev_b32_e32 v11, 23, v9
	v_cmp_ne_u32_e32 vcc_lo, 0, v9
	s_delay_alu instid0(VALU_DEP_2) | instskip(NEXT) | instid1(VALU_DEP_1)
	v_cvt_i32_f32_e32 v11, v11
	v_cndmask_b32_e32 v12, 0, v11, vcc_lo
	s_branch .LBB23_5376
.LBB23_5375:
	s_mov_b32 s0, -1
                                        ; implicit-def: $vgpr12
.LBB23_5376:
	s_mov_b32 s9, 0
.LBB23_5377:
	s_delay_alu instid0(SALU_CYCLE_1)
	s_and_b32 vcc_lo, exec_lo, s9
	s_cbranch_vccz .LBB23_5381
; %bb.5378:
	s_cmp_eq_u32 s57, 29
	s_cbranch_scc0 .LBB23_5380
; %bb.5379:
	global_load_b32 v12, v[14:15], off
	s_mov_b32 s0, 0
	s_mov_b32 s7, -1
	s_branch .LBB23_5381
.LBB23_5380:
	s_mov_b32 s0, -1
                                        ; implicit-def: $vgpr12
.LBB23_5381:
	s_mov_b32 s9, 0
.LBB23_5382:
	s_delay_alu instid0(SALU_CYCLE_1)
	s_and_b32 vcc_lo, exec_lo, s9
	s_cbranch_vccz .LBB23_5398
; %bb.5383:
	s_cmp_lt_i32 s57, 27
	s_cbranch_scc1 .LBB23_5386
; %bb.5384:
	s_cmp_gt_i32 s57, 27
	s_cbranch_scc0 .LBB23_5387
; %bb.5385:
	s_wait_loadcnt 0x0
	global_load_b32 v12, v[14:15], off
	s_mov_b32 s7, 0
	s_branch .LBB23_5388
.LBB23_5386:
	s_mov_b32 s7, -1
                                        ; implicit-def: $vgpr12
	s_branch .LBB23_5391
.LBB23_5387:
	s_mov_b32 s7, -1
                                        ; implicit-def: $vgpr12
.LBB23_5388:
	s_delay_alu instid0(SALU_CYCLE_1)
	s_and_not1_b32 vcc_lo, exec_lo, s7
	s_cbranch_vccnz .LBB23_5390
; %bb.5389:
	s_wait_loadcnt 0x0
	global_load_u16 v12, v[14:15], off
.LBB23_5390:
	s_mov_b32 s7, 0
.LBB23_5391:
	s_delay_alu instid0(SALU_CYCLE_1)
	s_and_not1_b32 vcc_lo, exec_lo, s7
	s_cbranch_vccnz .LBB23_5397
; %bb.5392:
	global_load_u8 v9, v[14:15], off
	s_mov_b32 s9, 0
	s_mov_b32 s7, exec_lo
	s_wait_loadcnt 0x0
	v_cmpx_lt_i16_e32 0x7f, v9
	s_xor_b32 s7, exec_lo, s7
	s_cbranch_execz .LBB23_5409
; %bb.5393:
	v_cmp_ne_u16_e32 vcc_lo, 0x80, v9
	s_and_b32 s9, vcc_lo, exec_lo
	s_and_not1_saveexec_b32 s7, s7
	s_cbranch_execnz .LBB23_5410
.LBB23_5394:
	s_or_b32 exec_lo, exec_lo, s7
	v_mov_b32_e32 v12, 0
	s_and_saveexec_b32 s7, s9
	s_cbranch_execz .LBB23_5396
.LBB23_5395:
	v_and_b32_e32 v11, 0xffff, v9
	s_delay_alu instid0(VALU_DEP_1) | instskip(SKIP_1) | instid1(VALU_DEP_2)
	v_and_b32_e32 v12, 7, v11
	v_bfe_u32 v18, v11, 3, 4
	v_clz_i32_u32_e32 v13, v12
	s_delay_alu instid0(VALU_DEP_2) | instskip(NEXT) | instid1(VALU_DEP_2)
	v_cmp_eq_u32_e32 vcc_lo, 0, v18
	v_min_u32_e32 v13, 32, v13
	s_delay_alu instid0(VALU_DEP_1) | instskip(NEXT) | instid1(VALU_DEP_1)
	v_subrev_nc_u32_e32 v17, 28, v13
	v_dual_lshlrev_b32 v11, v17, v11 :: v_dual_sub_nc_u32 v13, 29, v13
	s_delay_alu instid0(VALU_DEP_1) | instskip(NEXT) | instid1(VALU_DEP_1)
	v_dual_lshlrev_b32 v9, 24, v9 :: v_dual_bitop2_b32 v11, 7, v11 bitop3:0x40
	v_dual_cndmask_b32 v11, v12, v11, vcc_lo :: v_dual_cndmask_b32 v13, v18, v13, vcc_lo
	s_delay_alu instid0(VALU_DEP_2) | instskip(NEXT) | instid1(VALU_DEP_2)
	v_and_b32_e32 v9, 0x80000000, v9
	v_lshlrev_b32_e32 v11, 20, v11
	s_delay_alu instid0(VALU_DEP_3) | instskip(NEXT) | instid1(VALU_DEP_1)
	v_lshl_add_u32 v12, v13, 23, 0x3b800000
	v_or3_b32 v9, v9, v12, v11
	s_delay_alu instid0(VALU_DEP_1)
	v_cvt_i32_f32_e32 v12, v9
.LBB23_5396:
	s_or_b32 exec_lo, exec_lo, s7
.LBB23_5397:
	s_mov_b32 s7, -1
.LBB23_5398:
	s_mov_b32 s9, 0
.LBB23_5399:
	s_delay_alu instid0(SALU_CYCLE_1)
	s_and_b32 vcc_lo, exec_lo, s9
	s_cbranch_vccz .LBB23_5430
; %bb.5400:
	s_cmp_gt_i32 s57, 22
	s_cbranch_scc0 .LBB23_5408
; %bb.5401:
	s_cmp_lt_i32 s57, 24
	s_cbranch_scc1 .LBB23_5411
; %bb.5402:
	s_cmp_gt_i32 s57, 24
	s_cbranch_scc0 .LBB23_5412
; %bb.5403:
	global_load_u8 v9, v[14:15], off
	s_mov_b32 s7, 0
	s_mov_b32 s6, exec_lo
	s_wait_loadcnt 0x0
	v_cmpx_lt_i16_e32 0x7f, v9
	s_xor_b32 s6, exec_lo, s6
	s_cbranch_execz .LBB23_5424
; %bb.5404:
	v_cmp_ne_u16_e32 vcc_lo, 0x80, v9
	s_and_b32 s7, vcc_lo, exec_lo
	s_and_not1_saveexec_b32 s6, s6
	s_cbranch_execnz .LBB23_5425
.LBB23_5405:
	s_or_b32 exec_lo, exec_lo, s6
	v_mov_b32_e32 v12, 0
	s_and_saveexec_b32 s6, s7
	s_cbranch_execz .LBB23_5407
.LBB23_5406:
	v_and_b32_e32 v11, 0xffff, v9
	s_delay_alu instid0(VALU_DEP_1) | instskip(SKIP_1) | instid1(VALU_DEP_2)
	v_and_b32_e32 v12, 3, v11
	v_bfe_u32 v18, v11, 2, 5
	v_clz_i32_u32_e32 v13, v12
	s_delay_alu instid0(VALU_DEP_2) | instskip(NEXT) | instid1(VALU_DEP_2)
	v_cmp_eq_u32_e32 vcc_lo, 0, v18
	v_min_u32_e32 v13, 32, v13
	s_delay_alu instid0(VALU_DEP_1) | instskip(NEXT) | instid1(VALU_DEP_1)
	v_subrev_nc_u32_e32 v17, 29, v13
	v_dual_lshlrev_b32 v11, v17, v11 :: v_dual_sub_nc_u32 v13, 30, v13
	s_delay_alu instid0(VALU_DEP_1) | instskip(NEXT) | instid1(VALU_DEP_1)
	v_dual_lshlrev_b32 v9, 24, v9 :: v_dual_bitop2_b32 v11, 3, v11 bitop3:0x40
	v_dual_cndmask_b32 v11, v12, v11, vcc_lo :: v_dual_cndmask_b32 v13, v18, v13, vcc_lo
	s_delay_alu instid0(VALU_DEP_2) | instskip(NEXT) | instid1(VALU_DEP_2)
	v_and_b32_e32 v9, 0x80000000, v9
	v_lshlrev_b32_e32 v11, 21, v11
	s_delay_alu instid0(VALU_DEP_3) | instskip(NEXT) | instid1(VALU_DEP_1)
	v_lshl_add_u32 v12, v13, 23, 0x37800000
	v_or3_b32 v9, v9, v12, v11
	s_delay_alu instid0(VALU_DEP_1)
	v_cvt_i32_f32_e32 v12, v9
.LBB23_5407:
	s_or_b32 exec_lo, exec_lo, s6
	s_mov_b32 s6, 0
	s_branch .LBB23_5413
.LBB23_5408:
	s_mov_b32 s6, -1
                                        ; implicit-def: $vgpr12
	s_branch .LBB23_5419
.LBB23_5409:
	s_and_not1_saveexec_b32 s7, s7
	s_cbranch_execz .LBB23_5394
.LBB23_5410:
	v_cmp_ne_u16_e32 vcc_lo, 0, v9
	s_and_not1_b32 s9, s9, exec_lo
	s_and_b32 s12, vcc_lo, exec_lo
	s_delay_alu instid0(SALU_CYCLE_1)
	s_or_b32 s9, s9, s12
	s_or_b32 exec_lo, exec_lo, s7
	v_mov_b32_e32 v12, 0
	s_and_saveexec_b32 s7, s9
	s_cbranch_execnz .LBB23_5395
	s_branch .LBB23_5396
.LBB23_5411:
	s_mov_b32 s6, -1
                                        ; implicit-def: $vgpr12
	s_branch .LBB23_5416
.LBB23_5412:
	s_mov_b32 s6, -1
                                        ; implicit-def: $vgpr12
.LBB23_5413:
	s_delay_alu instid0(SALU_CYCLE_1)
	s_and_b32 vcc_lo, exec_lo, s6
	s_cbranch_vccz .LBB23_5415
; %bb.5414:
	global_load_u8 v9, v[14:15], off
	s_wait_loadcnt 0x0
	v_lshlrev_b32_e32 v9, 24, v9
	s_delay_alu instid0(VALU_DEP_1) | instskip(NEXT) | instid1(VALU_DEP_1)
	v_and_b32_e32 v11, 0x7f000000, v9
	v_clz_i32_u32_e32 v12, v11
	v_add_nc_u32_e32 v17, 0x1000000, v11
	v_cmp_ne_u32_e32 vcc_lo, 0, v11
	s_delay_alu instid0(VALU_DEP_3) | instskip(NEXT) | instid1(VALU_DEP_1)
	v_min_u32_e32 v12, 32, v12
	v_sub_nc_u32_e64 v12, v12, 4 clamp
	s_delay_alu instid0(VALU_DEP_1) | instskip(NEXT) | instid1(VALU_DEP_1)
	v_dual_lshlrev_b32 v13, v12, v11 :: v_dual_lshlrev_b32 v12, 23, v12
	v_lshrrev_b32_e32 v13, 4, v13
	s_delay_alu instid0(VALU_DEP_1) | instskip(NEXT) | instid1(VALU_DEP_1)
	v_dual_sub_nc_u32 v12, v13, v12 :: v_dual_ashrrev_i32 v13, 8, v17
	v_add_nc_u32_e32 v12, 0x3c000000, v12
	s_delay_alu instid0(VALU_DEP_1) | instskip(NEXT) | instid1(VALU_DEP_1)
	v_and_or_b32 v12, 0x7f800000, v13, v12
	v_cndmask_b32_e32 v11, 0, v12, vcc_lo
	s_delay_alu instid0(VALU_DEP_1) | instskip(NEXT) | instid1(VALU_DEP_1)
	v_and_or_b32 v9, 0x80000000, v9, v11
	v_cvt_i32_f32_e32 v12, v9
.LBB23_5415:
	s_mov_b32 s6, 0
.LBB23_5416:
	s_delay_alu instid0(SALU_CYCLE_1)
	s_and_not1_b32 vcc_lo, exec_lo, s6
	s_cbranch_vccnz .LBB23_5418
; %bb.5417:
	global_load_u8 v9, v[14:15], off
	s_wait_loadcnt 0x0
	v_lshlrev_b32_e32 v11, 25, v9
	v_lshlrev_b16 v9, 8, v9
	s_delay_alu instid0(VALU_DEP_1) | instskip(NEXT) | instid1(VALU_DEP_3)
	v_and_or_b32 v13, 0x7f00, v9, 0.5
	v_lshrrev_b32_e32 v12, 4, v11
	v_bfe_i32 v9, v9, 0, 16
	s_delay_alu instid0(VALU_DEP_3) | instskip(NEXT) | instid1(VALU_DEP_3)
	v_add_f32_e32 v13, -0.5, v13
	v_or_b32_e32 v12, 0x70000000, v12
	s_delay_alu instid0(VALU_DEP_1) | instskip(SKIP_1) | instid1(VALU_DEP_2)
	v_mul_f32_e32 v12, 0x7800000, v12
	v_cmp_gt_u32_e32 vcc_lo, 0x8000000, v11
	v_cndmask_b32_e32 v11, v12, v13, vcc_lo
	s_delay_alu instid0(VALU_DEP_1) | instskip(NEXT) | instid1(VALU_DEP_1)
	v_and_or_b32 v9, 0x80000000, v9, v11
	v_cvt_i32_f32_e32 v12, v9
.LBB23_5418:
	s_mov_b32 s6, 0
	s_mov_b32 s7, -1
.LBB23_5419:
	s_and_not1_b32 vcc_lo, exec_lo, s6
	s_mov_b32 s6, 0
	s_cbranch_vccnz .LBB23_5430
; %bb.5420:
	s_cmp_gt_i32 s57, 14
	s_cbranch_scc0 .LBB23_5423
; %bb.5421:
	s_cmp_eq_u32 s57, 15
	s_cbranch_scc0 .LBB23_5426
; %bb.5422:
	global_load_u16 v9, v[14:15], off
	s_mov_b32 s0, 0
	s_mov_b32 s7, -1
	s_wait_loadcnt 0x0
	v_lshlrev_b32_e32 v9, 16, v9
	s_delay_alu instid0(VALU_DEP_1)
	v_cvt_i32_f32_e32 v12, v9
	s_branch .LBB23_5428
.LBB23_5423:
	s_mov_b32 s6, -1
	s_branch .LBB23_5427
.LBB23_5424:
	s_and_not1_saveexec_b32 s6, s6
	s_cbranch_execz .LBB23_5405
.LBB23_5425:
	v_cmp_ne_u16_e32 vcc_lo, 0, v9
	s_and_not1_b32 s7, s7, exec_lo
	s_and_b32 s9, vcc_lo, exec_lo
	s_delay_alu instid0(SALU_CYCLE_1)
	s_or_b32 s7, s7, s9
	s_or_b32 exec_lo, exec_lo, s6
	v_mov_b32_e32 v12, 0
	s_and_saveexec_b32 s6, s7
	s_cbranch_execnz .LBB23_5406
	s_branch .LBB23_5407
.LBB23_5426:
	s_mov_b32 s0, -1
.LBB23_5427:
                                        ; implicit-def: $vgpr12
.LBB23_5428:
	s_and_b32 vcc_lo, exec_lo, s6
	s_mov_b32 s6, 0
	s_cbranch_vccz .LBB23_5430
; %bb.5429:
	s_cmp_lg_u32 s57, 11
	s_mov_b32 s6, -1
	s_cselect_b32 s0, -1, 0
.LBB23_5430:
	s_delay_alu instid0(SALU_CYCLE_1)
	s_and_b32 vcc_lo, exec_lo, s0
	s_cbranch_vccnz .LBB23_5495
; %bb.5431:
	s_and_not1_b32 vcc_lo, exec_lo, s6
	s_cbranch_vccnz .LBB23_5433
.LBB23_5432:
	global_load_u8 v9, v[14:15], off
	s_mov_b32 s7, -1
	s_wait_loadcnt 0x0
	v_cmp_ne_u16_e32 vcc_lo, 0, v9
	v_cndmask_b32_e64 v12, 0, 1, vcc_lo
.LBB23_5433:
	s_mov_b32 s0, 0
.LBB23_5434:
	s_delay_alu instid0(SALU_CYCLE_1)
	s_and_b32 vcc_lo, exec_lo, s0
	s_cbranch_vccz .LBB23_5483
; %bb.5435:
	s_cmp_lt_i32 s57, 5
	s_cbranch_scc1 .LBB23_5440
; %bb.5436:
	s_cmp_lt_i32 s57, 8
	s_cbranch_scc1 .LBB23_5441
	;; [unrolled: 3-line block ×3, first 2 shown]
; %bb.5438:
	s_cmp_gt_i32 s57, 9
	s_cbranch_scc0 .LBB23_5443
; %bb.5439:
	s_wait_loadcnt 0x0
	global_load_b64 v[12:13], v[14:15], off
	s_mov_b32 s0, 0
	s_wait_loadcnt 0x0
	v_cvt_i32_f64_e32 v12, v[12:13]
	s_branch .LBB23_5444
.LBB23_5440:
	s_mov_b32 s0, -1
                                        ; implicit-def: $vgpr12
	s_branch .LBB23_5462
.LBB23_5441:
	s_mov_b32 s0, -1
                                        ; implicit-def: $vgpr12
	s_branch .LBB23_5450
.LBB23_5442:
	s_mov_b32 s0, -1
                                        ; implicit-def: $vgpr12
	s_branch .LBB23_5447
.LBB23_5443:
	s_mov_b32 s0, -1
                                        ; implicit-def: $vgpr12
.LBB23_5444:
	s_delay_alu instid0(SALU_CYCLE_1)
	s_and_not1_b32 vcc_lo, exec_lo, s0
	s_cbranch_vccnz .LBB23_5446
; %bb.5445:
	global_load_b32 v9, v[14:15], off
	s_wait_loadcnt 0x0
	v_cvt_i32_f32_e32 v12, v9
.LBB23_5446:
	s_mov_b32 s0, 0
.LBB23_5447:
	s_delay_alu instid0(SALU_CYCLE_1)
	s_and_not1_b32 vcc_lo, exec_lo, s0
	s_cbranch_vccnz .LBB23_5449
; %bb.5448:
	global_load_b32 v9, v[14:15], off
	s_wait_loadcnt 0x0
	v_cvt_f32_f16_e32 v9, v9
	s_delay_alu instid0(VALU_DEP_1)
	v_cvt_i32_f32_e32 v12, v9
.LBB23_5449:
	s_mov_b32 s0, 0
.LBB23_5450:
	s_delay_alu instid0(SALU_CYCLE_1)
	s_and_not1_b32 vcc_lo, exec_lo, s0
	s_cbranch_vccnz .LBB23_5461
; %bb.5451:
	s_cmp_lt_i32 s57, 6
	s_cbranch_scc1 .LBB23_5454
; %bb.5452:
	s_cmp_gt_i32 s57, 6
	s_cbranch_scc0 .LBB23_5455
; %bb.5453:
	s_wait_loadcnt 0x0
	global_load_b64 v[12:13], v[14:15], off
	s_mov_b32 s0, 0
	s_wait_loadcnt 0x0
	v_cvt_i32_f64_e32 v12, v[12:13]
	s_branch .LBB23_5456
.LBB23_5454:
	s_mov_b32 s0, -1
                                        ; implicit-def: $vgpr12
	s_branch .LBB23_5459
.LBB23_5455:
	s_mov_b32 s0, -1
                                        ; implicit-def: $vgpr12
.LBB23_5456:
	s_delay_alu instid0(SALU_CYCLE_1)
	s_and_not1_b32 vcc_lo, exec_lo, s0
	s_cbranch_vccnz .LBB23_5458
; %bb.5457:
	global_load_b32 v9, v[14:15], off
	s_wait_loadcnt 0x0
	v_cvt_i32_f32_e32 v12, v9
.LBB23_5458:
	s_mov_b32 s0, 0
.LBB23_5459:
	s_delay_alu instid0(SALU_CYCLE_1)
	s_and_not1_b32 vcc_lo, exec_lo, s0
	s_cbranch_vccnz .LBB23_5461
; %bb.5460:
	global_load_u16 v9, v[14:15], off
	s_wait_loadcnt 0x0
	v_cvt_f32_f16_e32 v9, v9
	s_delay_alu instid0(VALU_DEP_1)
	v_cvt_i32_f32_e32 v12, v9
.LBB23_5461:
	s_mov_b32 s0, 0
.LBB23_5462:
	s_delay_alu instid0(SALU_CYCLE_1)
	s_and_not1_b32 vcc_lo, exec_lo, s0
	s_cbranch_vccnz .LBB23_5482
; %bb.5463:
	s_cmp_lt_i32 s57, 2
	s_cbranch_scc1 .LBB23_5467
; %bb.5464:
	s_cmp_lt_i32 s57, 3
	s_cbranch_scc1 .LBB23_5468
; %bb.5465:
	s_cmp_gt_i32 s57, 3
	s_cbranch_scc0 .LBB23_5469
; %bb.5466:
	s_wait_loadcnt 0x0
	global_load_b32 v12, v[14:15], off
	s_mov_b32 s0, 0
	s_branch .LBB23_5470
.LBB23_5467:
	s_mov_b32 s0, -1
                                        ; implicit-def: $vgpr12
	s_branch .LBB23_5476
.LBB23_5468:
	s_mov_b32 s0, -1
                                        ; implicit-def: $vgpr12
	s_branch .LBB23_5473
.LBB23_5469:
	s_mov_b32 s0, -1
                                        ; implicit-def: $vgpr12
.LBB23_5470:
	s_delay_alu instid0(SALU_CYCLE_1)
	s_and_not1_b32 vcc_lo, exec_lo, s0
	s_cbranch_vccnz .LBB23_5472
; %bb.5471:
	s_wait_loadcnt 0x0
	global_load_b32 v12, v[14:15], off
.LBB23_5472:
	s_mov_b32 s0, 0
.LBB23_5473:
	s_delay_alu instid0(SALU_CYCLE_1)
	s_and_not1_b32 vcc_lo, exec_lo, s0
	s_cbranch_vccnz .LBB23_5475
; %bb.5474:
	s_wait_loadcnt 0x0
	global_load_i16 v12, v[14:15], off
.LBB23_5475:
	s_mov_b32 s0, 0
.LBB23_5476:
	s_delay_alu instid0(SALU_CYCLE_1)
	s_and_not1_b32 vcc_lo, exec_lo, s0
	s_cbranch_vccnz .LBB23_5482
; %bb.5477:
	s_cmp_gt_i32 s57, 0
	s_mov_b32 s0, 0
	s_cbranch_scc0 .LBB23_5479
; %bb.5478:
	s_wait_loadcnt 0x0
	global_load_i8 v12, v[14:15], off
	s_branch .LBB23_5480
.LBB23_5479:
	s_mov_b32 s0, -1
                                        ; implicit-def: $vgpr12
.LBB23_5480:
	s_delay_alu instid0(SALU_CYCLE_1)
	s_and_not1_b32 vcc_lo, exec_lo, s0
	s_cbranch_vccnz .LBB23_5482
; %bb.5481:
	s_wait_loadcnt 0x0
	global_load_u8 v12, v[14:15], off
.LBB23_5482:
	s_mov_b32 s7, -1
.LBB23_5483:
	s_delay_alu instid0(SALU_CYCLE_1)
	s_and_not1_b32 vcc_lo, exec_lo, s7
	s_cbranch_vccnz .LBB23_5747
; %bb.5484:
	v_mov_b32_e32 v11, 0
	s_cmp_lt_i32 s58, 11
	s_wait_xcnt 0x0
	s_delay_alu instid0(VALU_DEP_1)
	v_add_nc_u64_e32 v[14:15], s[16:17], v[10:11]
	s_cbranch_scc1 .LBB23_5491
; %bb.5485:
	s_cmp_gt_i32 s58, 25
	s_mov_b32 s6, 0
	s_cbranch_scc0 .LBB23_5492
; %bb.5486:
	s_cmp_gt_i32 s58, 28
	s_cbranch_scc0 .LBB23_5493
; %bb.5487:
	s_cmp_gt_i32 s58, 43
	;; [unrolled: 3-line block ×3, first 2 shown]
	s_cbranch_scc0 .LBB23_5496
; %bb.5489:
	s_cmp_eq_u32 s58, 46
	s_mov_b32 s9, 0
	s_cbranch_scc0 .LBB23_5498
; %bb.5490:
	global_load_b32 v9, v[14:15], off
	s_mov_b32 s0, 0
	s_mov_b32 s7, -1
	s_wait_loadcnt 0x0
	v_lshlrev_b32_e32 v9, 16, v9
	s_delay_alu instid0(VALU_DEP_1)
	v_cvt_i32_f32_e32 v10, v9
	s_branch .LBB23_5500
.LBB23_5491:
	s_mov_b32 s0, -1
	s_mov_b32 s7, 0
                                        ; implicit-def: $vgpr10
	s_branch .LBB23_5562
.LBB23_5492:
	s_mov_b32 s9, -1
	s_mov_b32 s7, 0
	s_mov_b32 s0, 0
                                        ; implicit-def: $vgpr10
	s_branch .LBB23_5527
.LBB23_5493:
	s_mov_b32 s9, -1
	s_mov_b32 s7, 0
	s_mov_b32 s0, 0
                                        ; implicit-def: $vgpr10
	s_branch .LBB23_5510
.LBB23_5494:
	s_mov_b32 s9, -1
	s_mov_b32 s7, 0
	s_mov_b32 s0, 0
                                        ; implicit-def: $vgpr10
	s_branch .LBB23_5505
.LBB23_5495:
	s_or_b32 s25, s25, exec_lo
	s_trap 2
	s_cbranch_execz .LBB23_5432
	s_branch .LBB23_5433
.LBB23_5496:
	s_mov_b32 s9, -1
	s_mov_b32 s7, 0
	s_mov_b32 s0, 0
	s_branch .LBB23_5499
.LBB23_5497:
	s_or_b32 s63, s61, exec_lo
	s_trap 2
                                        ; implicit-def: $vgpr22
                                        ; implicit-def: $vgpr20
                                        ; implicit-def: $vgpr24
                                        ; implicit-def: $vgpr5
                                        ; implicit-def: $vgpr6
                                        ; implicit-def: $vgpr4
                                        ; implicit-def: $vgpr2
                                        ; implicit-def: $vgpr10
                                        ; implicit-def: $vgpr8
                                        ; implicit-def: $vgpr14
                                        ; implicit-def: $vgpr12
                                        ; implicit-def: $vgpr0
                                        ; implicit-def: $vgpr16
                                        ; implicit-def: $vgpr1
                                        ; implicit-def: $vgpr3
	s_branch .LBB23_5078
.LBB23_5498:
	s_mov_b32 s0, -1
	s_mov_b32 s7, 0
.LBB23_5499:
                                        ; implicit-def: $vgpr10
.LBB23_5500:
	s_and_b32 vcc_lo, exec_lo, s9
	s_cbranch_vccz .LBB23_5504
; %bb.5501:
	s_cmp_eq_u32 s58, 44
	s_cbranch_scc0 .LBB23_5503
; %bb.5502:
	global_load_u8 v9, v[14:15], off
	s_mov_b32 s0, 0
	s_mov_b32 s7, -1
	s_wait_loadcnt 0x0
	v_lshlrev_b32_e32 v10, 23, v9
	v_cmp_ne_u32_e32 vcc_lo, 0, v9
	s_delay_alu instid0(VALU_DEP_2) | instskip(NEXT) | instid1(VALU_DEP_1)
	v_cvt_i32_f32_e32 v10, v10
	v_cndmask_b32_e32 v10, 0, v10, vcc_lo
	s_branch .LBB23_5504
.LBB23_5503:
	s_mov_b32 s0, -1
                                        ; implicit-def: $vgpr10
.LBB23_5504:
	s_mov_b32 s9, 0
.LBB23_5505:
	s_delay_alu instid0(SALU_CYCLE_1)
	s_and_b32 vcc_lo, exec_lo, s9
	s_cbranch_vccz .LBB23_5509
; %bb.5506:
	s_cmp_eq_u32 s58, 29
	s_cbranch_scc0 .LBB23_5508
; %bb.5507:
	global_load_b32 v10, v[14:15], off
	s_mov_b32 s0, 0
	s_mov_b32 s7, -1
	s_branch .LBB23_5509
.LBB23_5508:
	s_mov_b32 s0, -1
                                        ; implicit-def: $vgpr10
.LBB23_5509:
	s_mov_b32 s9, 0
.LBB23_5510:
	s_delay_alu instid0(SALU_CYCLE_1)
	s_and_b32 vcc_lo, exec_lo, s9
	s_cbranch_vccz .LBB23_5526
; %bb.5511:
	s_cmp_lt_i32 s58, 27
	s_cbranch_scc1 .LBB23_5514
; %bb.5512:
	s_cmp_gt_i32 s58, 27
	s_cbranch_scc0 .LBB23_5515
; %bb.5513:
	s_wait_loadcnt 0x0
	global_load_b32 v10, v[14:15], off
	s_mov_b32 s7, 0
	s_branch .LBB23_5516
.LBB23_5514:
	s_mov_b32 s7, -1
                                        ; implicit-def: $vgpr10
	s_branch .LBB23_5519
.LBB23_5515:
	s_mov_b32 s7, -1
                                        ; implicit-def: $vgpr10
.LBB23_5516:
	s_delay_alu instid0(SALU_CYCLE_1)
	s_and_not1_b32 vcc_lo, exec_lo, s7
	s_cbranch_vccnz .LBB23_5518
; %bb.5517:
	s_wait_loadcnt 0x0
	global_load_u16 v10, v[14:15], off
.LBB23_5518:
	s_mov_b32 s7, 0
.LBB23_5519:
	s_delay_alu instid0(SALU_CYCLE_1)
	s_and_not1_b32 vcc_lo, exec_lo, s7
	s_cbranch_vccnz .LBB23_5525
; %bb.5520:
	global_load_u8 v9, v[14:15], off
	s_mov_b32 s9, 0
	s_mov_b32 s7, exec_lo
	s_wait_loadcnt 0x0
	v_cmpx_lt_i16_e32 0x7f, v9
	s_xor_b32 s7, exec_lo, s7
	s_cbranch_execz .LBB23_5537
; %bb.5521:
	v_cmp_ne_u16_e32 vcc_lo, 0x80, v9
	s_and_b32 s9, vcc_lo, exec_lo
	s_and_not1_saveexec_b32 s7, s7
	s_cbranch_execnz .LBB23_5538
.LBB23_5522:
	s_or_b32 exec_lo, exec_lo, s7
	v_mov_b32_e32 v10, 0
	s_and_saveexec_b32 s7, s9
	s_cbranch_execz .LBB23_5524
.LBB23_5523:
	v_and_b32_e32 v10, 0xffff, v9
	s_delay_alu instid0(VALU_DEP_1) | instskip(SKIP_1) | instid1(VALU_DEP_2)
	v_and_b32_e32 v11, 7, v10
	v_bfe_u32 v18, v10, 3, 4
	v_clz_i32_u32_e32 v13, v11
	s_delay_alu instid0(VALU_DEP_2) | instskip(NEXT) | instid1(VALU_DEP_2)
	v_cmp_eq_u32_e32 vcc_lo, 0, v18
	v_min_u32_e32 v13, 32, v13
	s_delay_alu instid0(VALU_DEP_1) | instskip(NEXT) | instid1(VALU_DEP_1)
	v_subrev_nc_u32_e32 v17, 28, v13
	v_dual_lshlrev_b32 v10, v17, v10 :: v_dual_sub_nc_u32 v13, 29, v13
	s_delay_alu instid0(VALU_DEP_1) | instskip(NEXT) | instid1(VALU_DEP_1)
	v_dual_lshlrev_b32 v9, 24, v9 :: v_dual_bitop2_b32 v10, 7, v10 bitop3:0x40
	v_dual_cndmask_b32 v10, v11, v10 :: v_dual_cndmask_b32 v13, v18, v13
	s_delay_alu instid0(VALU_DEP_2) | instskip(NEXT) | instid1(VALU_DEP_2)
	v_and_b32_e32 v9, 0x80000000, v9
	v_lshlrev_b32_e32 v10, 20, v10
	s_delay_alu instid0(VALU_DEP_3) | instskip(NEXT) | instid1(VALU_DEP_1)
	v_lshl_add_u32 v11, v13, 23, 0x3b800000
	v_or3_b32 v9, v9, v11, v10
	s_delay_alu instid0(VALU_DEP_1)
	v_cvt_i32_f32_e32 v10, v9
.LBB23_5524:
	s_or_b32 exec_lo, exec_lo, s7
.LBB23_5525:
	s_mov_b32 s7, -1
.LBB23_5526:
	s_mov_b32 s9, 0
.LBB23_5527:
	s_delay_alu instid0(SALU_CYCLE_1)
	s_and_b32 vcc_lo, exec_lo, s9
	s_cbranch_vccz .LBB23_5558
; %bb.5528:
	s_cmp_gt_i32 s58, 22
	s_cbranch_scc0 .LBB23_5536
; %bb.5529:
	s_cmp_lt_i32 s58, 24
	s_cbranch_scc1 .LBB23_5539
; %bb.5530:
	s_cmp_gt_i32 s58, 24
	s_cbranch_scc0 .LBB23_5540
; %bb.5531:
	global_load_u8 v9, v[14:15], off
	s_mov_b32 s7, 0
	s_mov_b32 s6, exec_lo
	s_wait_loadcnt 0x0
	v_cmpx_lt_i16_e32 0x7f, v9
	s_xor_b32 s6, exec_lo, s6
	s_cbranch_execz .LBB23_5552
; %bb.5532:
	v_cmp_ne_u16_e32 vcc_lo, 0x80, v9
	s_and_b32 s7, vcc_lo, exec_lo
	s_and_not1_saveexec_b32 s6, s6
	s_cbranch_execnz .LBB23_5553
.LBB23_5533:
	s_or_b32 exec_lo, exec_lo, s6
	v_mov_b32_e32 v10, 0
	s_and_saveexec_b32 s6, s7
	s_cbranch_execz .LBB23_5535
.LBB23_5534:
	v_and_b32_e32 v10, 0xffff, v9
	s_delay_alu instid0(VALU_DEP_1) | instskip(SKIP_1) | instid1(VALU_DEP_2)
	v_and_b32_e32 v11, 3, v10
	v_bfe_u32 v18, v10, 2, 5
	v_clz_i32_u32_e32 v13, v11
	s_delay_alu instid0(VALU_DEP_2) | instskip(NEXT) | instid1(VALU_DEP_2)
	v_cmp_eq_u32_e32 vcc_lo, 0, v18
	v_min_u32_e32 v13, 32, v13
	s_delay_alu instid0(VALU_DEP_1) | instskip(NEXT) | instid1(VALU_DEP_1)
	v_subrev_nc_u32_e32 v17, 29, v13
	v_dual_lshlrev_b32 v10, v17, v10 :: v_dual_sub_nc_u32 v13, 30, v13
	s_delay_alu instid0(VALU_DEP_1) | instskip(NEXT) | instid1(VALU_DEP_1)
	v_dual_lshlrev_b32 v9, 24, v9 :: v_dual_bitop2_b32 v10, 3, v10 bitop3:0x40
	v_dual_cndmask_b32 v10, v11, v10 :: v_dual_cndmask_b32 v13, v18, v13
	s_delay_alu instid0(VALU_DEP_2) | instskip(NEXT) | instid1(VALU_DEP_2)
	v_and_b32_e32 v9, 0x80000000, v9
	v_lshlrev_b32_e32 v10, 21, v10
	s_delay_alu instid0(VALU_DEP_3) | instskip(NEXT) | instid1(VALU_DEP_1)
	v_lshl_add_u32 v11, v13, 23, 0x37800000
	v_or3_b32 v9, v9, v11, v10
	s_delay_alu instid0(VALU_DEP_1)
	v_cvt_i32_f32_e32 v10, v9
.LBB23_5535:
	s_or_b32 exec_lo, exec_lo, s6
	s_mov_b32 s6, 0
	s_branch .LBB23_5541
.LBB23_5536:
	s_mov_b32 s6, -1
                                        ; implicit-def: $vgpr10
	s_branch .LBB23_5547
.LBB23_5537:
	s_and_not1_saveexec_b32 s7, s7
	s_cbranch_execz .LBB23_5522
.LBB23_5538:
	v_cmp_ne_u16_e32 vcc_lo, 0, v9
	s_and_not1_b32 s9, s9, exec_lo
	s_and_b32 s12, vcc_lo, exec_lo
	s_delay_alu instid0(SALU_CYCLE_1)
	s_or_b32 s9, s9, s12
	s_or_b32 exec_lo, exec_lo, s7
	v_mov_b32_e32 v10, 0
	s_and_saveexec_b32 s7, s9
	s_cbranch_execnz .LBB23_5523
	s_branch .LBB23_5524
.LBB23_5539:
	s_mov_b32 s6, -1
                                        ; implicit-def: $vgpr10
	s_branch .LBB23_5544
.LBB23_5540:
	s_mov_b32 s6, -1
                                        ; implicit-def: $vgpr10
.LBB23_5541:
	s_delay_alu instid0(SALU_CYCLE_1)
	s_and_b32 vcc_lo, exec_lo, s6
	s_cbranch_vccz .LBB23_5543
; %bb.5542:
	global_load_u8 v9, v[14:15], off
	s_wait_loadcnt 0x0
	v_lshlrev_b32_e32 v9, 24, v9
	s_delay_alu instid0(VALU_DEP_1) | instskip(NEXT) | instid1(VALU_DEP_1)
	v_and_b32_e32 v10, 0x7f000000, v9
	v_clz_i32_u32_e32 v11, v10
	v_cmp_ne_u32_e32 vcc_lo, 0, v10
	v_add_nc_u32_e32 v17, 0x1000000, v10
	s_delay_alu instid0(VALU_DEP_3) | instskip(NEXT) | instid1(VALU_DEP_1)
	v_min_u32_e32 v11, 32, v11
	v_sub_nc_u32_e64 v11, v11, 4 clamp
	s_delay_alu instid0(VALU_DEP_1) | instskip(NEXT) | instid1(VALU_DEP_1)
	v_dual_lshlrev_b32 v13, v11, v10 :: v_dual_lshlrev_b32 v11, 23, v11
	v_lshrrev_b32_e32 v13, 4, v13
	s_delay_alu instid0(VALU_DEP_1) | instskip(NEXT) | instid1(VALU_DEP_1)
	v_dual_sub_nc_u32 v11, v13, v11 :: v_dual_ashrrev_i32 v13, 8, v17
	v_add_nc_u32_e32 v11, 0x3c000000, v11
	s_delay_alu instid0(VALU_DEP_1) | instskip(NEXT) | instid1(VALU_DEP_1)
	v_and_or_b32 v11, 0x7f800000, v13, v11
	v_cndmask_b32_e32 v10, 0, v11, vcc_lo
	s_delay_alu instid0(VALU_DEP_1) | instskip(NEXT) | instid1(VALU_DEP_1)
	v_and_or_b32 v9, 0x80000000, v9, v10
	v_cvt_i32_f32_e32 v10, v9
.LBB23_5543:
	s_mov_b32 s6, 0
.LBB23_5544:
	s_delay_alu instid0(SALU_CYCLE_1)
	s_and_not1_b32 vcc_lo, exec_lo, s6
	s_cbranch_vccnz .LBB23_5546
; %bb.5545:
	global_load_u8 v9, v[14:15], off
	s_wait_loadcnt 0x0
	v_lshlrev_b32_e32 v10, 25, v9
	v_lshlrev_b16 v9, 8, v9
	s_delay_alu instid0(VALU_DEP_1) | instskip(NEXT) | instid1(VALU_DEP_3)
	v_and_or_b32 v13, 0x7f00, v9, 0.5
	v_lshrrev_b32_e32 v11, 4, v10
	v_bfe_i32 v9, v9, 0, 16
	s_delay_alu instid0(VALU_DEP_3) | instskip(NEXT) | instid1(VALU_DEP_3)
	v_add_f32_e32 v13, -0.5, v13
	v_or_b32_e32 v11, 0x70000000, v11
	s_delay_alu instid0(VALU_DEP_1) | instskip(SKIP_1) | instid1(VALU_DEP_2)
	v_mul_f32_e32 v11, 0x7800000, v11
	v_cmp_gt_u32_e32 vcc_lo, 0x8000000, v10
	v_cndmask_b32_e32 v10, v11, v13, vcc_lo
	s_delay_alu instid0(VALU_DEP_1) | instskip(NEXT) | instid1(VALU_DEP_1)
	v_and_or_b32 v9, 0x80000000, v9, v10
	v_cvt_i32_f32_e32 v10, v9
.LBB23_5546:
	s_mov_b32 s6, 0
	s_mov_b32 s7, -1
.LBB23_5547:
	s_and_not1_b32 vcc_lo, exec_lo, s6
	s_mov_b32 s6, 0
	s_cbranch_vccnz .LBB23_5558
; %bb.5548:
	s_cmp_gt_i32 s58, 14
	s_cbranch_scc0 .LBB23_5551
; %bb.5549:
	s_cmp_eq_u32 s58, 15
	s_cbranch_scc0 .LBB23_5554
; %bb.5550:
	global_load_u16 v9, v[14:15], off
	s_mov_b32 s0, 0
	s_mov_b32 s7, -1
	s_wait_loadcnt 0x0
	v_lshlrev_b32_e32 v9, 16, v9
	s_delay_alu instid0(VALU_DEP_1)
	v_cvt_i32_f32_e32 v10, v9
	s_branch .LBB23_5556
.LBB23_5551:
	s_mov_b32 s6, -1
	s_branch .LBB23_5555
.LBB23_5552:
	s_and_not1_saveexec_b32 s6, s6
	s_cbranch_execz .LBB23_5533
.LBB23_5553:
	v_cmp_ne_u16_e32 vcc_lo, 0, v9
	s_and_not1_b32 s7, s7, exec_lo
	s_and_b32 s9, vcc_lo, exec_lo
	s_delay_alu instid0(SALU_CYCLE_1)
	s_or_b32 s7, s7, s9
	s_or_b32 exec_lo, exec_lo, s6
	v_mov_b32_e32 v10, 0
	s_and_saveexec_b32 s6, s7
	s_cbranch_execnz .LBB23_5534
	s_branch .LBB23_5535
.LBB23_5554:
	s_mov_b32 s0, -1
.LBB23_5555:
                                        ; implicit-def: $vgpr10
.LBB23_5556:
	s_and_b32 vcc_lo, exec_lo, s6
	s_mov_b32 s6, 0
	s_cbranch_vccz .LBB23_5558
; %bb.5557:
	s_cmp_lg_u32 s58, 11
	s_mov_b32 s6, -1
	s_cselect_b32 s0, -1, 0
.LBB23_5558:
	s_delay_alu instid0(SALU_CYCLE_1)
	s_and_b32 vcc_lo, exec_lo, s0
	s_cbranch_vccnz .LBB23_5623
; %bb.5559:
	s_and_not1_b32 vcc_lo, exec_lo, s6
	s_cbranch_vccnz .LBB23_5561
.LBB23_5560:
	global_load_u8 v9, v[14:15], off
	s_mov_b32 s7, -1
	s_wait_loadcnt 0x0
	v_cmp_ne_u16_e32 vcc_lo, 0, v9
	v_cndmask_b32_e64 v10, 0, 1, vcc_lo
.LBB23_5561:
	s_mov_b32 s0, 0
.LBB23_5562:
	s_delay_alu instid0(SALU_CYCLE_1)
	s_and_b32 vcc_lo, exec_lo, s0
	s_cbranch_vccz .LBB23_5611
; %bb.5563:
	s_cmp_lt_i32 s58, 5
	s_cbranch_scc1 .LBB23_5568
; %bb.5564:
	s_cmp_lt_i32 s58, 8
	s_cbranch_scc1 .LBB23_5569
	;; [unrolled: 3-line block ×3, first 2 shown]
; %bb.5566:
	s_cmp_gt_i32 s58, 9
	s_cbranch_scc0 .LBB23_5571
; %bb.5567:
	s_wait_loadcnt 0x0
	global_load_b64 v[10:11], v[14:15], off
	s_mov_b32 s0, 0
	s_wait_loadcnt 0x0
	v_cvt_i32_f64_e32 v10, v[10:11]
	s_branch .LBB23_5572
.LBB23_5568:
	s_mov_b32 s0, -1
                                        ; implicit-def: $vgpr10
	s_branch .LBB23_5590
.LBB23_5569:
	s_mov_b32 s0, -1
                                        ; implicit-def: $vgpr10
	s_branch .LBB23_5578
.LBB23_5570:
	s_mov_b32 s0, -1
                                        ; implicit-def: $vgpr10
	s_branch .LBB23_5575
.LBB23_5571:
	s_mov_b32 s0, -1
                                        ; implicit-def: $vgpr10
.LBB23_5572:
	s_delay_alu instid0(SALU_CYCLE_1)
	s_and_not1_b32 vcc_lo, exec_lo, s0
	s_cbranch_vccnz .LBB23_5574
; %bb.5573:
	global_load_b32 v9, v[14:15], off
	s_wait_loadcnt 0x0
	v_cvt_i32_f32_e32 v10, v9
.LBB23_5574:
	s_mov_b32 s0, 0
.LBB23_5575:
	s_delay_alu instid0(SALU_CYCLE_1)
	s_and_not1_b32 vcc_lo, exec_lo, s0
	s_cbranch_vccnz .LBB23_5577
; %bb.5576:
	global_load_b32 v9, v[14:15], off
	s_wait_loadcnt 0x0
	v_cvt_f32_f16_e32 v9, v9
	s_delay_alu instid0(VALU_DEP_1)
	v_cvt_i32_f32_e32 v10, v9
.LBB23_5577:
	s_mov_b32 s0, 0
.LBB23_5578:
	s_delay_alu instid0(SALU_CYCLE_1)
	s_and_not1_b32 vcc_lo, exec_lo, s0
	s_cbranch_vccnz .LBB23_5589
; %bb.5579:
	s_cmp_lt_i32 s58, 6
	s_cbranch_scc1 .LBB23_5582
; %bb.5580:
	s_cmp_gt_i32 s58, 6
	s_cbranch_scc0 .LBB23_5583
; %bb.5581:
	s_wait_loadcnt 0x0
	global_load_b64 v[10:11], v[14:15], off
	s_mov_b32 s0, 0
	s_wait_loadcnt 0x0
	v_cvt_i32_f64_e32 v10, v[10:11]
	s_branch .LBB23_5584
.LBB23_5582:
	s_mov_b32 s0, -1
                                        ; implicit-def: $vgpr10
	s_branch .LBB23_5587
.LBB23_5583:
	s_mov_b32 s0, -1
                                        ; implicit-def: $vgpr10
.LBB23_5584:
	s_delay_alu instid0(SALU_CYCLE_1)
	s_and_not1_b32 vcc_lo, exec_lo, s0
	s_cbranch_vccnz .LBB23_5586
; %bb.5585:
	global_load_b32 v9, v[14:15], off
	s_wait_loadcnt 0x0
	v_cvt_i32_f32_e32 v10, v9
.LBB23_5586:
	s_mov_b32 s0, 0
.LBB23_5587:
	s_delay_alu instid0(SALU_CYCLE_1)
	s_and_not1_b32 vcc_lo, exec_lo, s0
	s_cbranch_vccnz .LBB23_5589
; %bb.5588:
	global_load_u16 v9, v[14:15], off
	s_wait_loadcnt 0x0
	v_cvt_f32_f16_e32 v9, v9
	s_delay_alu instid0(VALU_DEP_1)
	v_cvt_i32_f32_e32 v10, v9
.LBB23_5589:
	s_mov_b32 s0, 0
.LBB23_5590:
	s_delay_alu instid0(SALU_CYCLE_1)
	s_and_not1_b32 vcc_lo, exec_lo, s0
	s_cbranch_vccnz .LBB23_5610
; %bb.5591:
	s_cmp_lt_i32 s58, 2
	s_cbranch_scc1 .LBB23_5595
; %bb.5592:
	s_cmp_lt_i32 s58, 3
	s_cbranch_scc1 .LBB23_5596
; %bb.5593:
	s_cmp_gt_i32 s58, 3
	s_cbranch_scc0 .LBB23_5597
; %bb.5594:
	s_wait_loadcnt 0x0
	global_load_b32 v10, v[14:15], off
	s_mov_b32 s0, 0
	s_branch .LBB23_5598
.LBB23_5595:
	s_mov_b32 s0, -1
                                        ; implicit-def: $vgpr10
	s_branch .LBB23_5604
.LBB23_5596:
	s_mov_b32 s0, -1
                                        ; implicit-def: $vgpr10
	s_branch .LBB23_5601
.LBB23_5597:
	s_mov_b32 s0, -1
                                        ; implicit-def: $vgpr10
.LBB23_5598:
	s_delay_alu instid0(SALU_CYCLE_1)
	s_and_not1_b32 vcc_lo, exec_lo, s0
	s_cbranch_vccnz .LBB23_5600
; %bb.5599:
	s_wait_loadcnt 0x0
	global_load_b32 v10, v[14:15], off
.LBB23_5600:
	s_mov_b32 s0, 0
.LBB23_5601:
	s_delay_alu instid0(SALU_CYCLE_1)
	s_and_not1_b32 vcc_lo, exec_lo, s0
	s_cbranch_vccnz .LBB23_5603
; %bb.5602:
	s_wait_loadcnt 0x0
	global_load_i16 v10, v[14:15], off
.LBB23_5603:
	s_mov_b32 s0, 0
.LBB23_5604:
	s_delay_alu instid0(SALU_CYCLE_1)
	s_and_not1_b32 vcc_lo, exec_lo, s0
	s_cbranch_vccnz .LBB23_5610
; %bb.5605:
	s_cmp_gt_i32 s58, 0
	s_mov_b32 s0, 0
	s_cbranch_scc0 .LBB23_5607
; %bb.5606:
	s_wait_loadcnt 0x0
	global_load_i8 v10, v[14:15], off
	s_branch .LBB23_5608
.LBB23_5607:
	s_mov_b32 s0, -1
                                        ; implicit-def: $vgpr10
.LBB23_5608:
	s_delay_alu instid0(SALU_CYCLE_1)
	s_and_not1_b32 vcc_lo, exec_lo, s0
	s_cbranch_vccnz .LBB23_5610
; %bb.5609:
	s_wait_loadcnt 0x0
	global_load_u8 v10, v[14:15], off
.LBB23_5610:
	s_mov_b32 s7, -1
.LBB23_5611:
	s_delay_alu instid0(SALU_CYCLE_1)
	s_and_not1_b32 vcc_lo, exec_lo, s7
	s_cbranch_vccnz .LBB23_5747
; %bb.5612:
	v_mov_b32_e32 v9, 0
	s_cmp_lt_i32 s59, 11
	s_delay_alu instid0(VALU_DEP_1)
	v_add_nc_u64_e32 v[8:9], s[18:19], v[8:9]
	s_cbranch_scc1 .LBB23_5619
; %bb.5613:
	s_cmp_gt_i32 s59, 25
	s_mov_b32 s6, 0
	s_cbranch_scc0 .LBB23_5620
; %bb.5614:
	s_cmp_gt_i32 s59, 28
	s_cbranch_scc0 .LBB23_5621
; %bb.5615:
	s_cmp_gt_i32 s59, 43
	;; [unrolled: 3-line block ×3, first 2 shown]
	s_cbranch_scc0 .LBB23_5624
; %bb.5617:
	s_cmp_eq_u32 s59, 46
	s_mov_b32 s9, 0
	s_cbranch_scc0 .LBB23_5625
; %bb.5618:
	global_load_b32 v11, v[8:9], off
	s_mov_b32 s0, 0
	s_mov_b32 s7, -1
	s_wait_loadcnt 0x0
	v_lshlrev_b32_e32 v11, 16, v11
	s_wait_xcnt 0x1
	s_delay_alu instid0(VALU_DEP_1)
	v_cvt_i32_f32_e32 v14, v11
	s_branch .LBB23_5627
.LBB23_5619:
	s_mov_b32 s0, -1
	s_mov_b32 s7, 0
                                        ; implicit-def: $vgpr14
	s_branch .LBB23_5689
.LBB23_5620:
	s_mov_b32 s9, -1
	s_mov_b32 s7, 0
	s_mov_b32 s0, 0
                                        ; implicit-def: $vgpr14
	s_branch .LBB23_5654
.LBB23_5621:
	s_mov_b32 s9, -1
	s_mov_b32 s7, 0
	s_mov_b32 s0, 0
                                        ; implicit-def: $vgpr14
	s_branch .LBB23_5637
.LBB23_5622:
	s_mov_b32 s9, -1
	s_mov_b32 s7, 0
	s_mov_b32 s0, 0
                                        ; implicit-def: $vgpr14
	s_branch .LBB23_5632
.LBB23_5623:
	s_or_b32 s25, s25, exec_lo
	s_trap 2
	s_cbranch_execz .LBB23_5560
	s_branch .LBB23_5561
.LBB23_5624:
	s_mov_b32 s9, -1
	s_mov_b32 s7, 0
	s_mov_b32 s0, 0
	s_branch .LBB23_5626
.LBB23_5625:
	s_mov_b32 s0, -1
	s_mov_b32 s7, 0
.LBB23_5626:
                                        ; implicit-def: $vgpr14
.LBB23_5627:
	s_and_b32 vcc_lo, exec_lo, s9
	s_cbranch_vccz .LBB23_5631
; %bb.5628:
	s_cmp_eq_u32 s59, 44
	s_cbranch_scc0 .LBB23_5630
; %bb.5629:
	global_load_u8 v11, v[8:9], off
	s_mov_b32 s0, 0
	s_mov_b32 s7, -1
	s_wait_loadcnt 0x0
	v_lshlrev_b32_e32 v13, 23, v11
	v_cmp_ne_u32_e32 vcc_lo, 0, v11
	s_delay_alu instid0(VALU_DEP_2) | instskip(SKIP_1) | instid1(VALU_DEP_1)
	v_cvt_i32_f32_e32 v13, v13
	s_wait_xcnt 0x1
	v_cndmask_b32_e32 v14, 0, v13, vcc_lo
	s_branch .LBB23_5631
.LBB23_5630:
	s_mov_b32 s0, -1
                                        ; implicit-def: $vgpr14
.LBB23_5631:
	s_mov_b32 s9, 0
.LBB23_5632:
	s_delay_alu instid0(SALU_CYCLE_1)
	s_and_b32 vcc_lo, exec_lo, s9
	s_cbranch_vccz .LBB23_5636
; %bb.5633:
	s_cmp_eq_u32 s59, 29
	s_cbranch_scc0 .LBB23_5635
; %bb.5634:
	global_load_b32 v14, v[8:9], off
	s_mov_b32 s0, 0
	s_mov_b32 s7, -1
	s_branch .LBB23_5636
.LBB23_5635:
	s_mov_b32 s0, -1
                                        ; implicit-def: $vgpr14
.LBB23_5636:
	s_mov_b32 s9, 0
.LBB23_5637:
	s_delay_alu instid0(SALU_CYCLE_1)
	s_and_b32 vcc_lo, exec_lo, s9
	s_cbranch_vccz .LBB23_5653
; %bb.5638:
	s_cmp_lt_i32 s59, 27
	s_cbranch_scc1 .LBB23_5641
; %bb.5639:
	s_cmp_gt_i32 s59, 27
	s_cbranch_scc0 .LBB23_5642
; %bb.5640:
	s_wait_loadcnt 0x0
	global_load_b32 v14, v[8:9], off
	s_mov_b32 s7, 0
	s_branch .LBB23_5643
.LBB23_5641:
	s_mov_b32 s7, -1
                                        ; implicit-def: $vgpr14
	s_branch .LBB23_5646
.LBB23_5642:
	s_mov_b32 s7, -1
                                        ; implicit-def: $vgpr14
.LBB23_5643:
	s_delay_alu instid0(SALU_CYCLE_1)
	s_and_not1_b32 vcc_lo, exec_lo, s7
	s_cbranch_vccnz .LBB23_5645
; %bb.5644:
	s_wait_loadcnt 0x0
	global_load_u16 v14, v[8:9], off
.LBB23_5645:
	s_mov_b32 s7, 0
.LBB23_5646:
	s_delay_alu instid0(SALU_CYCLE_1)
	s_and_not1_b32 vcc_lo, exec_lo, s7
	s_cbranch_vccnz .LBB23_5652
; %bb.5647:
	global_load_u8 v11, v[8:9], off
	s_mov_b32 s9, 0
	s_mov_b32 s7, exec_lo
	s_wait_loadcnt 0x0
	v_cmpx_lt_i16_e32 0x7f, v11
	s_xor_b32 s7, exec_lo, s7
	s_cbranch_execz .LBB23_5664
; %bb.5648:
	v_cmp_ne_u16_e32 vcc_lo, 0x80, v11
	s_and_b32 s9, vcc_lo, exec_lo
	s_and_not1_saveexec_b32 s7, s7
	s_cbranch_execnz .LBB23_5665
.LBB23_5649:
	s_or_b32 exec_lo, exec_lo, s7
	v_mov_b32_e32 v14, 0
	s_and_saveexec_b32 s7, s9
	s_cbranch_execz .LBB23_5651
.LBB23_5650:
	v_and_b32_e32 v13, 0xffff, v11
	s_delay_alu instid0(VALU_DEP_1) | instskip(SKIP_1) | instid1(VALU_DEP_2)
	v_and_b32_e32 v14, 7, v13
	v_bfe_u32 v18, v13, 3, 4
	v_clz_i32_u32_e32 v15, v14
	s_delay_alu instid0(VALU_DEP_2) | instskip(NEXT) | instid1(VALU_DEP_2)
	v_cmp_eq_u32_e32 vcc_lo, 0, v18
	v_min_u32_e32 v15, 32, v15
	s_delay_alu instid0(VALU_DEP_1) | instskip(NEXT) | instid1(VALU_DEP_1)
	v_subrev_nc_u32_e32 v17, 28, v15
	v_dual_lshlrev_b32 v13, v17, v13 :: v_dual_sub_nc_u32 v15, 29, v15
	s_delay_alu instid0(VALU_DEP_1) | instskip(NEXT) | instid1(VALU_DEP_1)
	v_dual_lshlrev_b32 v11, 24, v11 :: v_dual_bitop2_b32 v13, 7, v13 bitop3:0x40
	v_cndmask_b32_e32 v13, v14, v13, vcc_lo
	s_delay_alu instid0(VALU_DEP_3) | instskip(NEXT) | instid1(VALU_DEP_3)
	v_cndmask_b32_e32 v15, v18, v15, vcc_lo
	v_and_b32_e32 v11, 0x80000000, v11
	s_delay_alu instid0(VALU_DEP_3) | instskip(NEXT) | instid1(VALU_DEP_3)
	v_lshlrev_b32_e32 v13, 20, v13
	v_lshl_add_u32 v14, v15, 23, 0x3b800000
	s_delay_alu instid0(VALU_DEP_1) | instskip(NEXT) | instid1(VALU_DEP_1)
	v_or3_b32 v11, v11, v14, v13
	v_cvt_i32_f32_e32 v14, v11
.LBB23_5651:
	s_or_b32 exec_lo, exec_lo, s7
.LBB23_5652:
	s_mov_b32 s7, -1
.LBB23_5653:
	s_mov_b32 s9, 0
.LBB23_5654:
	s_delay_alu instid0(SALU_CYCLE_1)
	s_and_b32 vcc_lo, exec_lo, s9
	s_cbranch_vccz .LBB23_5685
; %bb.5655:
	s_cmp_gt_i32 s59, 22
	s_cbranch_scc0 .LBB23_5663
; %bb.5656:
	s_cmp_lt_i32 s59, 24
	s_cbranch_scc1 .LBB23_5666
; %bb.5657:
	s_cmp_gt_i32 s59, 24
	s_cbranch_scc0 .LBB23_5667
; %bb.5658:
	global_load_u8 v11, v[8:9], off
	s_mov_b32 s7, 0
	s_mov_b32 s6, exec_lo
	s_wait_loadcnt 0x0
	v_cmpx_lt_i16_e32 0x7f, v11
	s_xor_b32 s6, exec_lo, s6
	s_cbranch_execz .LBB23_5679
; %bb.5659:
	v_cmp_ne_u16_e32 vcc_lo, 0x80, v11
	s_and_b32 s7, vcc_lo, exec_lo
	s_and_not1_saveexec_b32 s6, s6
	s_cbranch_execnz .LBB23_5680
.LBB23_5660:
	s_or_b32 exec_lo, exec_lo, s6
	v_mov_b32_e32 v14, 0
	s_and_saveexec_b32 s6, s7
	s_cbranch_execz .LBB23_5662
.LBB23_5661:
	v_and_b32_e32 v13, 0xffff, v11
	s_delay_alu instid0(VALU_DEP_1) | instskip(SKIP_1) | instid1(VALU_DEP_2)
	v_and_b32_e32 v14, 3, v13
	v_bfe_u32 v18, v13, 2, 5
	v_clz_i32_u32_e32 v15, v14
	s_delay_alu instid0(VALU_DEP_2) | instskip(NEXT) | instid1(VALU_DEP_2)
	v_cmp_eq_u32_e32 vcc_lo, 0, v18
	v_min_u32_e32 v15, 32, v15
	s_delay_alu instid0(VALU_DEP_1) | instskip(NEXT) | instid1(VALU_DEP_1)
	v_subrev_nc_u32_e32 v17, 29, v15
	v_dual_lshlrev_b32 v13, v17, v13 :: v_dual_sub_nc_u32 v15, 30, v15
	s_delay_alu instid0(VALU_DEP_1) | instskip(NEXT) | instid1(VALU_DEP_1)
	v_dual_lshlrev_b32 v11, 24, v11 :: v_dual_bitop2_b32 v13, 3, v13 bitop3:0x40
	v_cndmask_b32_e32 v13, v14, v13, vcc_lo
	s_delay_alu instid0(VALU_DEP_3) | instskip(NEXT) | instid1(VALU_DEP_3)
	v_cndmask_b32_e32 v15, v18, v15, vcc_lo
	v_and_b32_e32 v11, 0x80000000, v11
	s_delay_alu instid0(VALU_DEP_3) | instskip(NEXT) | instid1(VALU_DEP_3)
	v_lshlrev_b32_e32 v13, 21, v13
	v_lshl_add_u32 v14, v15, 23, 0x37800000
	s_delay_alu instid0(VALU_DEP_1) | instskip(NEXT) | instid1(VALU_DEP_1)
	v_or3_b32 v11, v11, v14, v13
	v_cvt_i32_f32_e32 v14, v11
.LBB23_5662:
	s_or_b32 exec_lo, exec_lo, s6
	s_mov_b32 s6, 0
	s_branch .LBB23_5668
.LBB23_5663:
	s_mov_b32 s6, -1
                                        ; implicit-def: $vgpr14
	s_branch .LBB23_5674
.LBB23_5664:
	s_and_not1_saveexec_b32 s7, s7
	s_cbranch_execz .LBB23_5649
.LBB23_5665:
	v_cmp_ne_u16_e32 vcc_lo, 0, v11
	s_and_not1_b32 s9, s9, exec_lo
	s_and_b32 s12, vcc_lo, exec_lo
	s_delay_alu instid0(SALU_CYCLE_1)
	s_or_b32 s9, s9, s12
	s_or_b32 exec_lo, exec_lo, s7
	v_mov_b32_e32 v14, 0
	s_and_saveexec_b32 s7, s9
	s_cbranch_execnz .LBB23_5650
	s_branch .LBB23_5651
.LBB23_5666:
	s_mov_b32 s6, -1
                                        ; implicit-def: $vgpr14
	s_branch .LBB23_5671
.LBB23_5667:
	s_mov_b32 s6, -1
                                        ; implicit-def: $vgpr14
.LBB23_5668:
	s_delay_alu instid0(SALU_CYCLE_1)
	s_and_b32 vcc_lo, exec_lo, s6
	s_cbranch_vccz .LBB23_5670
; %bb.5669:
	global_load_u8 v11, v[8:9], off
	s_wait_loadcnt 0x0
	v_lshlrev_b32_e32 v11, 24, v11
	s_delay_alu instid0(VALU_DEP_1) | instskip(SKIP_1) | instid1(VALU_DEP_1)
	v_and_b32_e32 v13, 0x7f000000, v11
	s_wait_xcnt 0x1
	v_clz_i32_u32_e32 v14, v13
	v_add_nc_u32_e32 v17, 0x1000000, v13
	v_cmp_ne_u32_e32 vcc_lo, 0, v13
	s_delay_alu instid0(VALU_DEP_3) | instskip(NEXT) | instid1(VALU_DEP_1)
	v_min_u32_e32 v14, 32, v14
	v_sub_nc_u32_e64 v14, v14, 4 clamp
	s_delay_alu instid0(VALU_DEP_1) | instskip(NEXT) | instid1(VALU_DEP_1)
	v_dual_lshlrev_b32 v15, v14, v13 :: v_dual_lshlrev_b32 v14, 23, v14
	v_lshrrev_b32_e32 v15, 4, v15
	s_delay_alu instid0(VALU_DEP_1) | instskip(NEXT) | instid1(VALU_DEP_1)
	v_dual_sub_nc_u32 v14, v15, v14 :: v_dual_ashrrev_i32 v15, 8, v17
	v_add_nc_u32_e32 v14, 0x3c000000, v14
	s_delay_alu instid0(VALU_DEP_1) | instskip(NEXT) | instid1(VALU_DEP_1)
	v_and_or_b32 v14, 0x7f800000, v15, v14
	v_cndmask_b32_e32 v13, 0, v14, vcc_lo
	s_delay_alu instid0(VALU_DEP_1) | instskip(NEXT) | instid1(VALU_DEP_1)
	v_and_or_b32 v11, 0x80000000, v11, v13
	v_cvt_i32_f32_e32 v14, v11
.LBB23_5670:
	s_mov_b32 s6, 0
.LBB23_5671:
	s_delay_alu instid0(SALU_CYCLE_1)
	s_and_not1_b32 vcc_lo, exec_lo, s6
	s_cbranch_vccnz .LBB23_5673
; %bb.5672:
	global_load_u8 v11, v[8:9], off
	s_wait_loadcnt 0x0
	v_lshlrev_b32_e32 v13, 25, v11
	v_lshlrev_b16 v11, 8, v11
	s_wait_xcnt 0x1
	s_delay_alu instid0(VALU_DEP_1) | instskip(NEXT) | instid1(VALU_DEP_3)
	v_and_or_b32 v15, 0x7f00, v11, 0.5
	v_lshrrev_b32_e32 v14, 4, v13
	v_bfe_i32 v11, v11, 0, 16
	s_delay_alu instid0(VALU_DEP_3) | instskip(NEXT) | instid1(VALU_DEP_3)
	v_add_f32_e32 v15, -0.5, v15
	v_or_b32_e32 v14, 0x70000000, v14
	s_delay_alu instid0(VALU_DEP_1) | instskip(SKIP_1) | instid1(VALU_DEP_2)
	v_mul_f32_e32 v14, 0x7800000, v14
	v_cmp_gt_u32_e32 vcc_lo, 0x8000000, v13
	v_cndmask_b32_e32 v13, v14, v15, vcc_lo
	s_delay_alu instid0(VALU_DEP_1) | instskip(NEXT) | instid1(VALU_DEP_1)
	v_and_or_b32 v11, 0x80000000, v11, v13
	v_cvt_i32_f32_e32 v14, v11
.LBB23_5673:
	s_mov_b32 s6, 0
	s_mov_b32 s7, -1
.LBB23_5674:
	s_and_not1_b32 vcc_lo, exec_lo, s6
	s_mov_b32 s6, 0
	s_cbranch_vccnz .LBB23_5685
; %bb.5675:
	s_cmp_gt_i32 s59, 14
	s_cbranch_scc0 .LBB23_5678
; %bb.5676:
	s_cmp_eq_u32 s59, 15
	s_cbranch_scc0 .LBB23_5681
; %bb.5677:
	global_load_u16 v11, v[8:9], off
	s_mov_b32 s0, 0
	s_mov_b32 s7, -1
	s_wait_loadcnt 0x0
	v_lshlrev_b32_e32 v11, 16, v11
	s_wait_xcnt 0x1
	s_delay_alu instid0(VALU_DEP_1)
	v_cvt_i32_f32_e32 v14, v11
	s_branch .LBB23_5683
.LBB23_5678:
	s_mov_b32 s6, -1
	s_branch .LBB23_5682
.LBB23_5679:
	s_and_not1_saveexec_b32 s6, s6
	s_cbranch_execz .LBB23_5660
.LBB23_5680:
	v_cmp_ne_u16_e32 vcc_lo, 0, v11
	s_and_not1_b32 s7, s7, exec_lo
	s_and_b32 s9, vcc_lo, exec_lo
	s_delay_alu instid0(SALU_CYCLE_1)
	s_or_b32 s7, s7, s9
	s_or_b32 exec_lo, exec_lo, s6
	v_mov_b32_e32 v14, 0
	s_and_saveexec_b32 s6, s7
	s_cbranch_execnz .LBB23_5661
	s_branch .LBB23_5662
.LBB23_5681:
	s_mov_b32 s0, -1
.LBB23_5682:
                                        ; implicit-def: $vgpr14
.LBB23_5683:
	s_and_b32 vcc_lo, exec_lo, s6
	s_mov_b32 s6, 0
	s_cbranch_vccz .LBB23_5685
; %bb.5684:
	s_cmp_lg_u32 s59, 11
	s_mov_b32 s6, -1
	s_cselect_b32 s0, -1, 0
.LBB23_5685:
	s_delay_alu instid0(SALU_CYCLE_1)
	s_and_b32 vcc_lo, exec_lo, s0
	s_cbranch_vccnz .LBB23_5814
; %bb.5686:
	s_and_not1_b32 vcc_lo, exec_lo, s6
	s_cbranch_vccnz .LBB23_5688
.LBB23_5687:
	global_load_u8 v11, v[8:9], off
	s_mov_b32 s7, -1
	s_wait_loadcnt 0x0
	v_cmp_ne_u16_e32 vcc_lo, 0, v11
	s_wait_xcnt 0x1
	v_cndmask_b32_e64 v14, 0, 1, vcc_lo
.LBB23_5688:
	s_mov_b32 s0, 0
.LBB23_5689:
	s_delay_alu instid0(SALU_CYCLE_1)
	s_and_b32 vcc_lo, exec_lo, s0
	s_cbranch_vccz .LBB23_5738
; %bb.5690:
	s_cmp_lt_i32 s59, 5
	s_cbranch_scc1 .LBB23_5695
; %bb.5691:
	s_cmp_lt_i32 s59, 8
	s_cbranch_scc1 .LBB23_5696
	;; [unrolled: 3-line block ×3, first 2 shown]
; %bb.5693:
	s_cmp_gt_i32 s59, 9
	s_cbranch_scc0 .LBB23_5698
; %bb.5694:
	s_wait_loadcnt 0x0
	global_load_b64 v[14:15], v[8:9], off
	s_mov_b32 s0, 0
	s_wait_loadcnt 0x0
	v_cvt_i32_f64_e32 v14, v[14:15]
	s_branch .LBB23_5699
.LBB23_5695:
	s_mov_b32 s0, -1
                                        ; implicit-def: $vgpr14
	s_branch .LBB23_5717
.LBB23_5696:
	s_mov_b32 s0, -1
                                        ; implicit-def: $vgpr14
	s_branch .LBB23_5705
.LBB23_5697:
	s_mov_b32 s0, -1
                                        ; implicit-def: $vgpr14
	s_branch .LBB23_5702
.LBB23_5698:
	s_mov_b32 s0, -1
                                        ; implicit-def: $vgpr14
.LBB23_5699:
	s_delay_alu instid0(SALU_CYCLE_1)
	s_and_not1_b32 vcc_lo, exec_lo, s0
	s_cbranch_vccnz .LBB23_5701
; %bb.5700:
	global_load_b32 v11, v[8:9], off
	s_wait_loadcnt 0x0
	s_wait_xcnt 0x1
	v_cvt_i32_f32_e32 v14, v11
.LBB23_5701:
	s_mov_b32 s0, 0
.LBB23_5702:
	s_delay_alu instid0(SALU_CYCLE_1)
	s_and_not1_b32 vcc_lo, exec_lo, s0
	s_cbranch_vccnz .LBB23_5704
; %bb.5703:
	global_load_b32 v11, v[8:9], off
	s_wait_loadcnt 0x0
	v_cvt_f32_f16_e32 v11, v11
	s_wait_xcnt 0x1
	s_delay_alu instid0(VALU_DEP_1)
	v_cvt_i32_f32_e32 v14, v11
.LBB23_5704:
	s_mov_b32 s0, 0
.LBB23_5705:
	s_delay_alu instid0(SALU_CYCLE_1)
	s_and_not1_b32 vcc_lo, exec_lo, s0
	s_cbranch_vccnz .LBB23_5716
; %bb.5706:
	s_cmp_lt_i32 s59, 6
	s_cbranch_scc1 .LBB23_5709
; %bb.5707:
	s_cmp_gt_i32 s59, 6
	s_cbranch_scc0 .LBB23_5710
; %bb.5708:
	s_wait_loadcnt 0x0
	global_load_b64 v[14:15], v[8:9], off
	s_mov_b32 s0, 0
	s_wait_loadcnt 0x0
	v_cvt_i32_f64_e32 v14, v[14:15]
	s_branch .LBB23_5711
.LBB23_5709:
	s_mov_b32 s0, -1
                                        ; implicit-def: $vgpr14
	s_branch .LBB23_5714
.LBB23_5710:
	s_mov_b32 s0, -1
                                        ; implicit-def: $vgpr14
.LBB23_5711:
	s_delay_alu instid0(SALU_CYCLE_1)
	s_and_not1_b32 vcc_lo, exec_lo, s0
	s_cbranch_vccnz .LBB23_5713
; %bb.5712:
	global_load_b32 v11, v[8:9], off
	s_wait_loadcnt 0x0
	s_wait_xcnt 0x1
	v_cvt_i32_f32_e32 v14, v11
.LBB23_5713:
	s_mov_b32 s0, 0
.LBB23_5714:
	s_delay_alu instid0(SALU_CYCLE_1)
	s_and_not1_b32 vcc_lo, exec_lo, s0
	s_cbranch_vccnz .LBB23_5716
; %bb.5715:
	global_load_u16 v11, v[8:9], off
	s_wait_loadcnt 0x0
	v_cvt_f32_f16_e32 v11, v11
	s_wait_xcnt 0x1
	s_delay_alu instid0(VALU_DEP_1)
	v_cvt_i32_f32_e32 v14, v11
.LBB23_5716:
	s_mov_b32 s0, 0
.LBB23_5717:
	s_delay_alu instid0(SALU_CYCLE_1)
	s_and_not1_b32 vcc_lo, exec_lo, s0
	s_cbranch_vccnz .LBB23_5737
; %bb.5718:
	s_cmp_lt_i32 s59, 2
	s_cbranch_scc1 .LBB23_5722
; %bb.5719:
	s_cmp_lt_i32 s59, 3
	s_cbranch_scc1 .LBB23_5723
; %bb.5720:
	s_cmp_gt_i32 s59, 3
	s_cbranch_scc0 .LBB23_5724
; %bb.5721:
	s_wait_loadcnt 0x0
	global_load_b32 v14, v[8:9], off
	s_mov_b32 s0, 0
	s_branch .LBB23_5725
.LBB23_5722:
	s_mov_b32 s0, -1
                                        ; implicit-def: $vgpr14
	s_branch .LBB23_5731
.LBB23_5723:
	s_mov_b32 s0, -1
                                        ; implicit-def: $vgpr14
	s_branch .LBB23_5728
.LBB23_5724:
	s_mov_b32 s0, -1
                                        ; implicit-def: $vgpr14
.LBB23_5725:
	s_delay_alu instid0(SALU_CYCLE_1)
	s_and_not1_b32 vcc_lo, exec_lo, s0
	s_cbranch_vccnz .LBB23_5727
; %bb.5726:
	s_wait_loadcnt 0x0
	global_load_b32 v14, v[8:9], off
.LBB23_5727:
	s_mov_b32 s0, 0
.LBB23_5728:
	s_delay_alu instid0(SALU_CYCLE_1)
	s_and_not1_b32 vcc_lo, exec_lo, s0
	s_cbranch_vccnz .LBB23_5730
; %bb.5729:
	s_wait_loadcnt 0x0
	global_load_i16 v14, v[8:9], off
.LBB23_5730:
	s_mov_b32 s0, 0
.LBB23_5731:
	s_delay_alu instid0(SALU_CYCLE_1)
	s_and_not1_b32 vcc_lo, exec_lo, s0
	s_cbranch_vccnz .LBB23_5737
; %bb.5732:
	s_cmp_gt_i32 s59, 0
	s_mov_b32 s0, 0
	s_cbranch_scc0 .LBB23_5734
; %bb.5733:
	s_wait_loadcnt 0x0
	global_load_i8 v14, v[8:9], off
	s_branch .LBB23_5735
.LBB23_5734:
	s_mov_b32 s0, -1
                                        ; implicit-def: $vgpr14
.LBB23_5735:
	s_delay_alu instid0(SALU_CYCLE_1)
	s_and_not1_b32 vcc_lo, exec_lo, s0
	s_cbranch_vccnz .LBB23_5737
; %bb.5736:
	s_wait_loadcnt 0x0
	global_load_u8 v14, v[8:9], off
.LBB23_5737:
	s_mov_b32 s7, -1
.LBB23_5738:
	s_delay_alu instid0(SALU_CYCLE_1)
	s_and_not1_b32 vcc_lo, exec_lo, s7
	s_cbranch_vccnz .LBB23_5747
; %bb.5739:
	s_mov_b32 s0, exec_lo
	s_wait_loadcnt 0x0
	v_cmpx_ne_u32_e64 v7, v1
	s_xor_b32 s0, exec_lo, s0
	s_cbranch_execnz .LBB23_6090
.LBB23_5740:
	s_or_saveexec_b32 s18, s0
	s_mov_b32 s6, 0
	s_mov_b32 s7, 0
                                        ; implicit-def: $vgpr38_vgpr39
                                        ; implicit-def: $sgpr0
	s_xor_b32 exec_lo, exec_lo, s18
	s_cbranch_execz .LBB23_6085
; %bb.5741:
	s_mov_b32 s19, s25
	s_mov_b32 s0, exec_lo
	v_cmpx_ne_u32_e64 v16, v3
	s_xor_b32 s0, exec_lo, s0
	s_cbranch_execnz .LBB23_6092
; %bb.5742:
	s_or_saveexec_b32 s26, s0
                                        ; implicit-def: $vgpr38_vgpr39
                                        ; implicit-def: $sgpr0
	s_delay_alu instid0(SALU_CYCLE_1)
	s_xor_b32 exec_lo, exec_lo, s26
	s_cbranch_execz .LBB23_6084
.LBB23_5743:
	v_sub_nc_u32_e32 v3, v10, v12
	s_delay_alu instid0(VALU_DEP_1) | instskip(SKIP_3) | instid1(SALU_CYCLE_1)
	v_cmp_gt_i32_e32 vcc_lo, v1, v3
	v_cmp_lt_i32_e64 s0, s20, v3
	s_mov_b32 s20, s19
	s_or_b32 s0, vcc_lo, s0
	s_and_saveexec_b32 s6, s0
	s_delay_alu instid0(SALU_CYCLE_1)
	s_xor_b32 s0, exec_lo, s6
	s_cbranch_execnz .LBB23_6094
; %bb.5744:
	s_or_saveexec_b32 s27, s0
	s_mov_b32 s6, 0
                                        ; implicit-def: $vgpr38_vgpr39
                                        ; implicit-def: $sgpr0
	s_xor_b32 exec_lo, exec_lo, s27
	s_cbranch_execz .LBB23_6083
.LBB23_5745:
	v_cmp_ne_u32_e32 vcc_lo, 1, v5
	v_mov_b64_e32 v[8:9], 0
	s_cbranch_vccnz .LBB23_5758
; %bb.5746:
	v_ashrrev_i32_e32 v15, 31, v14
	s_mov_b32 s9, 0
	v_mov_b64_e32 v[8:9], 0
	s_mov_b64 s[6:7], 0xffffffff
	s_delay_alu instid0(VALU_DEP_2) | instskip(SKIP_3) | instid1(SALU_CYCLE_1)
	v_mul_u64_e32 v[16:17], s[10:11], v[14:15]
	s_lshl_b64 s[10:11], s[8:9], 3
	v_mov_b32_e32 v14, 0
	s_add_nc_u64 s[10:11], s[2:3], s[10:11]
	s_add_nc_u64 s[10:11], s[10:11], 0x298
	s_branch .LBB23_5754
.LBB23_5747:
	s_mov_b32 s6, 0
	s_mov_b32 s7, 0
                                        ; implicit-def: $vgpr38_vgpr39
                                        ; implicit-def: $sgpr0
.LBB23_5748:
	s_and_not1_b32 s1, s1, exec_lo
	s_and_b32 s2, s25, exec_lo
	s_and_b32 s26, s7, exec_lo
	;; [unrolled: 1-line block ×3, first 2 shown]
	s_or_b32 s1, s1, s2
.LBB23_5749:
	s_wait_xcnt 0x0
	s_or_b32 exec_lo, exec_lo, s24
	s_delay_alu instid0(SALU_CYCLE_1)
	s_and_not1_b32 s2, s63, exec_lo
	s_and_b32 s3, s1, exec_lo
	s_and_b32 s24, s26, exec_lo
	;; [unrolled: 1-line block ×3, first 2 shown]
	s_or_b32 s63, s2, s3
.LBB23_5750:
	s_or_b32 exec_lo, exec_lo, s64
	s_delay_alu instid0(SALU_CYCLE_1)
	s_and_not1_b32 s2, s61, exec_lo
	s_and_b32 s3, s63, exec_lo
	s_and_b32 s9, s24, exec_lo
	;; [unrolled: 1-line block ×3, first 2 shown]
	s_or_b32 s61, s2, s3
.LBB23_5751:
	s_or_b32 exec_lo, exec_lo, s62
	s_delay_alu instid0(SALU_CYCLE_1)
	s_and_not1_b32 s2, s54, exec_lo
	s_and_b32 s3, s61, exec_lo
	s_and_b32 s9, s9, exec_lo
	;; [unrolled: 1-line block ×3, first 2 shown]
	s_or_b32 s54, s2, s3
.LBB23_5752:
	s_or_b32 exec_lo, exec_lo, s60
	s_branch .LBB23_5082
.LBB23_5753:                            ;   in Loop: Header=BB23_5754 Depth=1
	s_or_b32 exec_lo, exec_lo, s0
	s_delay_alu instid0(VALU_DEP_1)
	v_mul_u64_e32 v[20:21], s[12:13], v[18:19]
	s_load_b64 s[12:13], s[10:11], 0x40
	s_add_co_i32 s45, s45, -1
	s_wait_xcnt 0x0
	s_add_nc_u64 s[10:11], s[10:11], -8
	s_cmp_eq_u32 s45, 0
	s_delay_alu instid0(VALU_DEP_1) | instskip(SKIP_1) | instid1(VALU_DEP_1)
	v_sub_nc_u64_e32 v[16:17], v[16:17], v[20:21]
	s_wait_kmcnt 0x0
	v_mad_nc_u64_u32 v[8:9], v16, s12, v[8:9]
	s_delay_alu instid0(VALU_DEP_1) | instskip(NEXT) | instid1(VALU_DEP_1)
	v_mad_u32 v1, v17, s12, v9
	v_mad_u32 v9, v16, s13, v1
	v_mov_b64_e32 v[16:17], v[18:19]
	s_cbranch_scc1 .LBB23_5758
.LBB23_5754:                            ; =>This Inner Loop Header: Depth=1
	s_load_b64 s[12:13], s[10:11], 0x0
                                        ; implicit-def: $vgpr18_vgpr19
	s_mov_b32 s0, exec_lo
	s_wait_kmcnt 0x0
	s_delay_alu instid0(VALU_DEP_1) | instskip(NEXT) | instid1(VALU_DEP_1)
	v_or_b32_e32 v15, s13, v17
	v_cmpx_ne_u64_e32 0, v[14:15]
	s_xor_b32 s28, exec_lo, s0
	s_cbranch_execz .LBB23_5756
; %bb.5755:                             ;   in Loop: Header=BB23_5754 Depth=1
	s_ashr_i32 s14, s13, 31
	v_dual_mov_b32 v23, v14 :: v_dual_ashrrev_i32 v18, 31, v17
	s_mov_b32 s15, s14
	v_mov_b32_e32 v31, v14
	s_add_nc_u64 s[16:17], s[12:13], s[14:15]
	s_delay_alu instid0(VALU_DEP_2) | instskip(SKIP_1) | instid1(SALU_CYCLE_1)
	v_mov_b32_e32 v19, v18
	s_xor_b64 s[16:17], s[16:17], s[14:15]
	s_cvt_f32_u32 s0, s16
	s_cvt_f32_u32 s8, s17
	s_sub_nc_u64 s[34:35], 0, s[16:17]
	v_add_nc_u64_e32 v[20:21], v[16:17], v[18:19]
	v_mov_b32_e32 v27, v14
	s_fmamk_f32 s0, s8, 0x4f800000, s0
	s_delay_alu instid0(SALU_CYCLE_3) | instskip(NEXT) | instid1(VALU_DEP_2)
	v_s_rcp_f32 s0, s0
	v_xor_b32_e32 v22, v20, v18
	s_delay_alu instid0(VALU_DEP_3) | instskip(NEXT) | instid1(TRANS32_DEP_1)
	v_xor_b32_e32 v26, v21, v18
	s_mul_f32 s0, s0, 0x5f7ffffc
	s_delay_alu instid0(SALU_CYCLE_3) | instskip(NEXT) | instid1(SALU_CYCLE_3)
	s_mul_f32 s8, s0, 0x2f800000
	s_trunc_f32 s8, s8
	s_delay_alu instid0(SALU_CYCLE_3) | instskip(SKIP_1) | instid1(SALU_CYCLE_2)
	s_fmamk_f32 s0, s8, 0xcf800000, s0
	s_cvt_u32_f32 s31, s8
	s_cvt_u32_f32 s30, s0
	s_delay_alu instid0(SALU_CYCLE_3) | instskip(NEXT) | instid1(SALU_CYCLE_1)
	s_mul_u64 s[56:57], s[34:35], s[30:31]
	s_mul_hi_u32 s59, s30, s57
	s_mul_i32 s58, s30, s57
	s_mul_hi_u32 s8, s30, s56
	s_mul_i32 s15, s31, s56
	s_add_nc_u64 s[58:59], s[8:9], s[58:59]
	s_mul_hi_u32 s0, s31, s56
	s_mul_hi_u32 s29, s31, s57
	s_add_co_u32 s8, s58, s15
	s_add_co_ci_u32 s8, s59, s0
	s_mul_i32 s56, s31, s57
	s_add_co_ci_u32 s57, s29, 0
	s_delay_alu instid0(SALU_CYCLE_1) | instskip(NEXT) | instid1(SALU_CYCLE_1)
	s_add_nc_u64 s[56:57], s[8:9], s[56:57]
	s_add_co_u32 s30, s30, s56
	s_cselect_b32 s0, -1, 0
	s_delay_alu instid0(SALU_CYCLE_1) | instskip(SKIP_1) | instid1(SALU_CYCLE_1)
	s_cmp_lg_u32 s0, 0
	s_add_co_ci_u32 s31, s31, s57
	s_mul_u64 s[34:35], s[34:35], s[30:31]
	s_delay_alu instid0(SALU_CYCLE_1)
	s_mul_hi_u32 s57, s30, s35
	s_mul_i32 s56, s30, s35
	s_mul_hi_u32 s8, s30, s34
	s_mul_i32 s15, s31, s34
	s_add_nc_u64 s[56:57], s[8:9], s[56:57]
	s_mul_hi_u32 s0, s31, s34
	s_mul_hi_u32 s29, s31, s35
	s_add_co_u32 s8, s56, s15
	s_add_co_ci_u32 s8, s57, s0
	s_mul_i32 s34, s31, s35
	s_add_co_ci_u32 s35, s29, 0
	s_delay_alu instid0(SALU_CYCLE_1) | instskip(NEXT) | instid1(SALU_CYCLE_1)
	s_add_nc_u64 s[34:35], s[8:9], s[34:35]
	s_add_co_u32 s0, s30, s34
	s_cselect_b32 s8, -1, 0
	v_mul_hi_u32 v30, v22, s0
	s_cmp_lg_u32 s8, 0
	s_add_co_ci_u32 s8, s31, s35
	s_and_b64 s[30:31], s[0:1], s[6:7]
	v_mul_u64_e32 v[24:25], s[8:9], v[22:23]
	v_mul_u64_e32 v[20:21], s[30:31], v[26:27]
	;; [unrolled: 1-line block ×3, first 2 shown]
	s_delay_alu instid0(VALU_DEP_3) | instskip(NEXT) | instid1(VALU_DEP_1)
	v_add_nc_u64_e32 v[24:25], v[30:31], v[24:25]
	v_add_co_u32 v1, vcc_lo, v24, v20
	s_delay_alu instid0(VALU_DEP_2) | instskip(NEXT) | instid1(VALU_DEP_4)
	v_add_co_ci_u32_e32 v30, vcc_lo, v25, v21, vcc_lo
	v_add_co_ci_u32_e32 v29, vcc_lo, 0, v29, vcc_lo
	s_delay_alu instid0(VALU_DEP_1) | instskip(NEXT) | instid1(VALU_DEP_1)
	v_add_nc_u64_e32 v[20:21], v[30:31], v[28:29]
	v_mul_u64_e32 v[24:25], s[16:17], v[20:21]
	s_delay_alu instid0(VALU_DEP_1) | instskip(NEXT) | instid1(VALU_DEP_2)
	v_sub_nc_u32_e32 v1, v26, v25
	v_sub_co_u32 v3, vcc_lo, v22, v24
	s_delay_alu instid0(VALU_DEP_1) | instskip(NEXT) | instid1(VALU_DEP_3)
	v_sub_co_ci_u32_e64 v7, null, v26, v25, vcc_lo
	v_subrev_co_ci_u32_e64 v1, null, s17, v1, vcc_lo
	s_delay_alu instid0(VALU_DEP_3) | instskip(SKIP_1) | instid1(VALU_DEP_3)
	v_sub_co_u32 v5, s0, v3, s16
	v_add_nc_u64_e32 v[22:23], 2, v[20:21]
	v_subrev_co_ci_u32_e64 v1, null, 0, v1, s0
	s_delay_alu instid0(VALU_DEP_3) | instskip(SKIP_2) | instid1(VALU_DEP_4)
	v_cmp_le_u32_e32 vcc_lo, s16, v5
	v_add_nc_u64_e32 v[24:25], 1, v[20:21]
	v_cndmask_b32_e64 v5, 0, -1, vcc_lo
	v_cmp_le_u32_e32 vcc_lo, s17, v1
	v_cndmask_b32_e64 v11, 0, -1, vcc_lo
	v_cmp_le_u32_e32 vcc_lo, s16, v3
	;; [unrolled: 2-line block ×3, first 2 shown]
	v_cndmask_b32_e64 v13, 0, -1, vcc_lo
	v_cmp_eq_u32_e32 vcc_lo, s17, v1
	v_cndmask_b32_e32 v1, v11, v5, vcc_lo
	v_cmp_eq_u32_e32 vcc_lo, s17, v7
	s_delay_alu instid0(VALU_DEP_4) | instskip(NEXT) | instid1(VALU_DEP_3)
	v_cndmask_b32_e32 v3, v13, v3, vcc_lo
	v_cmp_ne_u32_e32 vcc_lo, 0, v1
	s_delay_alu instid0(VALU_DEP_2) | instskip(SKIP_1) | instid1(VALU_DEP_1)
	v_cmp_ne_u32_e64 s0, 0, v3
	v_dual_cndmask_b32 v1, v25, v23, vcc_lo :: v_dual_cndmask_b32 v3, v24, v22, vcc_lo
	v_dual_cndmask_b32 v1, v21, v1, s0 :: v_dual_bitop2_b32 v18, s14, v18 bitop3:0x14
	s_delay_alu instid0(VALU_DEP_1) | instskip(NEXT) | instid1(VALU_DEP_2)
	v_dual_cndmask_b32 v3, v20, v3, s0 :: v_dual_mov_b32 v19, v18
	v_xor_b32_e32 v21, v1, v18
	s_delay_alu instid0(VALU_DEP_2) | instskip(NEXT) | instid1(VALU_DEP_1)
	v_xor_b32_e32 v20, v3, v18
	v_sub_nc_u64_e32 v[18:19], v[20:21], v[18:19]
.LBB23_5756:                            ;   in Loop: Header=BB23_5754 Depth=1
	s_and_not1_saveexec_b32 s0, s28
	s_cbranch_execz .LBB23_5753
; %bb.5757:                             ;   in Loop: Header=BB23_5754 Depth=1
	v_cvt_f32_u32_e32 v1, s12
	s_sub_co_i32 s8, 0, s12
	v_mov_b32_e32 v19, v14
	s_delay_alu instid0(VALU_DEP_2) | instskip(SKIP_1) | instid1(TRANS32_DEP_1)
	v_rcp_iflag_f32_e32 v1, v1
	v_nop
	v_mul_f32_e32 v1, 0x4f7ffffe, v1
	s_delay_alu instid0(VALU_DEP_1) | instskip(NEXT) | instid1(VALU_DEP_1)
	v_cvt_u32_f32_e32 v1, v1
	v_mul_lo_u32 v3, s8, v1
	s_delay_alu instid0(VALU_DEP_1) | instskip(NEXT) | instid1(VALU_DEP_1)
	v_mul_hi_u32 v3, v1, v3
	v_add_nc_u32_e32 v1, v1, v3
	s_delay_alu instid0(VALU_DEP_1) | instskip(NEXT) | instid1(VALU_DEP_1)
	v_mul_hi_u32 v1, v16, v1
	v_mul_lo_u32 v3, v1, s12
	s_delay_alu instid0(VALU_DEP_1) | instskip(NEXT) | instid1(VALU_DEP_1)
	v_sub_nc_u32_e32 v3, v16, v3
	v_subrev_nc_u32_e32 v7, s12, v3
	v_cmp_le_u32_e32 vcc_lo, s12, v3
	s_delay_alu instid0(VALU_DEP_2) | instskip(NEXT) | instid1(VALU_DEP_1)
	v_dual_add_nc_u32 v5, 1, v1 :: v_dual_cndmask_b32 v3, v3, v7, vcc_lo
	v_cndmask_b32_e32 v1, v1, v5, vcc_lo
	s_delay_alu instid0(VALU_DEP_2) | instskip(NEXT) | instid1(VALU_DEP_2)
	v_cmp_le_u32_e32 vcc_lo, s12, v3
	v_add_nc_u32_e32 v5, 1, v1
	s_delay_alu instid0(VALU_DEP_1)
	v_cndmask_b32_e32 v18, v1, v5, vcc_lo
	s_branch .LBB23_5753
.LBB23_5758:
	s_mov_b32 s10, -1
	s_mov_b32 s6, s20
	s_mov_b32 s0, exec_lo
	v_cmpx_gt_i32_e64 v10, v12
	s_cbranch_execz .LBB23_5765
; %bb.5759:
	s_delay_alu instid0(VALU_DEP_2) | instskip(SKIP_3) | instid1(VALU_DEP_1)
	v_lshlrev_b64_e32 v[8:9], 2, v[8:9]
	v_dual_ashrrev_i32 v13, 31, v12 :: v_dual_ashrrev_i32 v11, 31, v10
	s_mov_b32 s7, 0
	s_xor_b32 s8, s46, -1
                                        ; implicit-def: $sgpr6
                                        ; implicit-def: $sgpr10
                                        ; implicit-def: $sgpr9
	v_lshl_add_u64 v[12:13], v[12:13], 2, v[8:9]
	s_wait_kmcnt 0x0
	v_add_nc_u64_e32 v[14:15], s[22:23], v[8:9]
	s_delay_alu instid0(VALU_DEP_2) | instskip(NEXT) | instid1(VALU_DEP_2)
	v_add_nc_u64_e32 v[12:13], s[22:23], v[12:13]
	v_lshl_add_u64 v[10:11], v[10:11], 2, v[14:15]
	s_delay_alu instid0(VALU_DEP_2)
	v_add_nc_u64_e32 v[8:9], 4, v[12:13]
	s_branch .LBB23_5761
.LBB23_5760:                            ;   in Loop: Header=BB23_5761 Depth=1
	s_or_b32 exec_lo, exec_lo, s11
	s_xor_b32 s11, s9, -1
	s_and_b32 s12, exec_lo, s10
	s_delay_alu instid0(SALU_CYCLE_1) | instskip(SKIP_2) | instid1(SALU_CYCLE_1)
	s_or_b32 s7, s12, s7
	s_and_not1_b32 s6, s6, exec_lo
	s_and_b32 s11, s11, exec_lo
	s_or_b32 s6, s6, s11
	s_and_not1_b32 exec_lo, exec_lo, s7
	s_cbranch_execz .LBB23_5763
.LBB23_5761:                            ; =>This Inner Loop Header: Depth=1
	s_or_b32 s9, s9, exec_lo
	s_or_b32 s10, s10, exec_lo
	s_mov_b32 s11, exec_lo
	s_delay_alu instid0(VALU_DEP_1)
	v_cmpx_lt_u64_e64 v[8:9], v[10:11]
	s_cbranch_execz .LBB23_5760
; %bb.5762:                             ;   in Loop: Header=BB23_5761 Depth=1
	global_load_b64 v[12:13], v[8:9], off offset:-4
	s_wait_xcnt 0x0
	v_add_nc_u64_e32 v[8:9], 4, v[8:9]
	s_and_not1_b32 s10, s10, exec_lo
	s_and_not1_b32 s9, s9, exec_lo
	s_wait_loadcnt 0x0
	v_cmp_ge_i32_e32 vcc_lo, v12, v13
	s_or_b32 s12, s8, vcc_lo
	s_delay_alu instid0(SALU_CYCLE_1) | instskip(NEXT) | instid1(SALU_CYCLE_1)
	s_and_b32 s12, s12, exec_lo
	s_or_b32 s10, s10, s12
	s_branch .LBB23_5760
.LBB23_5763:
	s_or_b32 exec_lo, exec_lo, s7
	s_mov_b32 s7, -1
	s_mov_b32 s8, s20
	s_and_saveexec_b32 s9, s6
	s_delay_alu instid0(SALU_CYCLE_1)
	s_xor_b32 s6, exec_lo, s9
	s_cbranch_execnz .LBB23_6087
.LBB23_5764:
	s_or_b32 exec_lo, exec_lo, s6
	s_delay_alu instid0(SALU_CYCLE_1)
	s_and_not1_b32 s6, s20, exec_lo
	s_and_b32 s8, s8, exec_lo
	s_or_not1_b32 s10, s7, exec_lo
	s_or_b32 s6, s6, s8
.LBB23_5765:
	s_or_b32 exec_lo, exec_lo, s0
	s_mov_b32 s8, 0
	s_mov_b32 s9, 0
                                        ; implicit-def: $vgpr38_vgpr39
                                        ; implicit-def: $sgpr0
	s_and_saveexec_b32 s7, s10
	s_cbranch_execz .LBB23_6082
; %bb.5766:
	s_load_b32 s0, s[2:3], 0x320
	v_mov_b32_e32 v7, 0
	s_delay_alu instid0(VALU_DEP_1) | instskip(SKIP_2) | instid1(SALU_CYCLE_1)
	v_add_nc_u64_e32 v[6:7], s[4:5], v[6:7]
	s_wait_kmcnt 0x0
	s_and_b32 s0, s0, 0xff
	s_cmp_lt_i32 s0, 11
	s_cbranch_scc1 .LBB23_5815
; %bb.5767:
	s_and_b32 s2, 0xffff, s0
	s_mov_b32 s10, -1
	s_cmp_gt_i32 s2, 25
	s_mov_b32 s3, 0
	s_cbranch_scc0 .LBB23_5792
; %bb.5768:
	s_cmp_gt_i32 s2, 28
	s_cbranch_scc0 .LBB23_5781
; %bb.5769:
	s_cmp_gt_i32 s2, 43
	s_cbranch_scc0 .LBB23_5777
; %bb.5770:
	s_cmp_gt_i32 s2, 45
	s_cbranch_scc0 .LBB23_5773
; %bb.5771:
	s_mov_b32 s3, -1
	s_mov_b32 s10, 0
	s_cmp_eq_u32 s2, 46
	s_cbranch_scc0 .LBB23_5773
; %bb.5772:
	v_mov_b32_e32 v1, 0
	s_mov_b32 s3, 0
	s_mov_b32 s8, -1
	global_store_b32 v[6:7], v1, off
.LBB23_5773:
	s_and_b32 vcc_lo, exec_lo, s10
	s_cbranch_vccz .LBB23_5776
; %bb.5774:
	s_cmp_eq_u32 s2, 44
	s_mov_b32 s3, -1
	s_cbranch_scc0 .LBB23_5776
; %bb.5775:
	s_wait_xcnt 0x0
	v_mov_b32_e32 v1, 0
	s_mov_b32 s3, 0
	s_mov_b32 s8, -1
	global_store_b8 v[6:7], v1, off
.LBB23_5776:
	s_mov_b32 s10, 0
.LBB23_5777:
	s_delay_alu instid0(SALU_CYCLE_1)
	s_and_b32 vcc_lo, exec_lo, s10
	s_cbranch_vccz .LBB23_5780
; %bb.5778:
	s_cmp_eq_u32 s2, 29
	s_mov_b32 s3, -1
	s_cbranch_scc0 .LBB23_5780
; %bb.5779:
	v_mov_b64_e32 v[8:9], 0
	s_mov_b32 s3, 0
	s_mov_b32 s8, -1
	global_store_b64 v[6:7], v[8:9], off
.LBB23_5780:
	s_mov_b32 s10, 0
.LBB23_5781:
	s_delay_alu instid0(SALU_CYCLE_1)
	s_and_b32 vcc_lo, exec_lo, s10
	s_cbranch_vccz .LBB23_5791
; %bb.5782:
	s_cmp_lt_i32 s2, 27
	s_mov_b32 s8, -1
	s_cbranch_scc1 .LBB23_5788
; %bb.5783:
	s_cmp_gt_i32 s2, 27
	s_cbranch_scc0 .LBB23_5785
; %bb.5784:
	s_wait_xcnt 0x0
	v_mov_b32_e32 v1, 0
	s_mov_b32 s8, 0
	global_store_b32 v[6:7], v1, off
.LBB23_5785:
	s_and_not1_b32 vcc_lo, exec_lo, s8
	s_cbranch_vccnz .LBB23_5787
; %bb.5786:
	s_wait_xcnt 0x0
	v_mov_b32_e32 v1, 0
	global_store_b16 v[6:7], v1, off
.LBB23_5787:
	s_mov_b32 s8, 0
.LBB23_5788:
	s_delay_alu instid0(SALU_CYCLE_1)
	s_and_not1_b32 vcc_lo, exec_lo, s8
	s_cbranch_vccnz .LBB23_5790
; %bb.5789:
	s_wait_xcnt 0x0
	v_mov_b32_e32 v1, 0
	global_store_b8 v[6:7], v1, off
.LBB23_5790:
	s_mov_b32 s8, -1
.LBB23_5791:
	s_mov_b32 s10, 0
.LBB23_5792:
	s_delay_alu instid0(SALU_CYCLE_1)
	s_and_b32 vcc_lo, exec_lo, s10
	s_cbranch_vccz .LBB23_5810
; %bb.5793:
	s_cmp_gt_i32 s2, 22
	s_mov_b32 s9, -1
	s_cbranch_scc0 .LBB23_5803
; %bb.5794:
	s_cmp_lt_i32 s2, 24
	s_mov_b32 s8, -1
	s_cbranch_scc1 .LBB23_5800
; %bb.5795:
	s_cmp_gt_i32 s2, 24
	s_cbranch_scc0 .LBB23_5797
; %bb.5796:
	s_wait_xcnt 0x0
	v_mov_b32_e32 v1, 0
	s_mov_b32 s8, 0
	global_store_b8 v[6:7], v1, off
.LBB23_5797:
	s_and_not1_b32 vcc_lo, exec_lo, s8
	s_cbranch_vccnz .LBB23_5799
; %bb.5798:
	s_wait_xcnt 0x0
	v_mov_b32_e32 v1, 0
	global_store_b8 v[6:7], v1, off
.LBB23_5799:
	s_mov_b32 s8, 0
.LBB23_5800:
	s_delay_alu instid0(SALU_CYCLE_1)
	s_and_not1_b32 vcc_lo, exec_lo, s8
	s_cbranch_vccnz .LBB23_5802
; %bb.5801:
	s_wait_xcnt 0x0
	v_mov_b32_e32 v1, 0
	global_store_b8 v[6:7], v1, off
.LBB23_5802:
	s_mov_b32 s9, 0
	s_mov_b32 s8, -1
.LBB23_5803:
	s_and_not1_b32 vcc_lo, exec_lo, s9
	s_mov_b32 s9, 0
	s_cbranch_vccnz .LBB23_5810
; %bb.5804:
	s_cmp_gt_i32 s2, 14
	s_mov_b32 s9, -1
	s_cbranch_scc0 .LBB23_5808
; %bb.5805:
	s_cmp_eq_u32 s2, 15
	s_mov_b32 s3, -1
	s_cbranch_scc0 .LBB23_5807
; %bb.5806:
	s_wait_xcnt 0x0
	v_mov_b32_e32 v1, 0
	s_mov_b32 s3, 0
	s_mov_b32 s8, -1
	global_store_b16 v[6:7], v1, off
.LBB23_5807:
	s_mov_b32 s9, 0
.LBB23_5808:
	s_delay_alu instid0(SALU_CYCLE_1)
	s_and_b32 vcc_lo, exec_lo, s9
	s_mov_b32 s9, 0
	s_cbranch_vccz .LBB23_5810
; %bb.5809:
	s_cmp_lg_u32 s2, 11
	s_mov_b32 s9, -1
	s_cselect_b32 s3, -1, 0
.LBB23_5810:
	s_delay_alu instid0(SALU_CYCLE_1)
	s_and_b32 vcc_lo, exec_lo, s3
	s_mov_b32 s2, s6
	s_cbranch_vccnz .LBB23_6088
; %bb.5811:
	s_and_not1_b32 vcc_lo, exec_lo, s9
	s_cbranch_vccnz .LBB23_5813
.LBB23_5812:
	s_wait_xcnt 0x0
	v_mov_b32_e32 v1, 0
	s_mov_b32 s8, -1
	global_store_b8 v[6:7], v1, off
.LBB23_5813:
	s_mov_b32 s3, 0
	s_branch .LBB23_5816
.LBB23_5814:
	s_or_b32 s25, s25, exec_lo
	s_trap 2
	s_cbranch_execz .LBB23_5687
	s_branch .LBB23_5688
.LBB23_5815:
	s_mov_b32 s3, -1
	s_mov_b32 s2, s6
.LBB23_5816:
	s_and_b32 vcc_lo, exec_lo, s3
	s_cbranch_vccz .LBB23_5855
; %bb.5817:
	s_and_b32 s3, 0xffff, s0
	s_mov_b32 s8, -1
	s_cmp_lt_i32 s3, 5
	s_cbranch_scc1 .LBB23_5838
; %bb.5818:
	s_cmp_lt_i32 s3, 8
	s_cbranch_scc1 .LBB23_5828
; %bb.5819:
	;; [unrolled: 3-line block ×3, first 2 shown]
	s_cmp_gt_i32 s3, 9
	s_cbranch_scc0 .LBB23_5822
; %bb.5821:
	s_wait_xcnt 0x0
	v_mov_b32_e32 v8, 0
	s_mov_b32 s8, 0
	s_delay_alu instid0(VALU_DEP_1)
	v_dual_mov_b32 v9, v8 :: v_dual_mov_b32 v10, v8
	v_mov_b32_e32 v11, v8
	global_store_b128 v[6:7], v[8:11], off
.LBB23_5822:
	s_and_not1_b32 vcc_lo, exec_lo, s8
	s_cbranch_vccnz .LBB23_5824
; %bb.5823:
	s_wait_xcnt 0x0
	v_mov_b64_e32 v[8:9], 0
	global_store_b64 v[6:7], v[8:9], off
.LBB23_5824:
	s_mov_b32 s8, 0
.LBB23_5825:
	s_delay_alu instid0(SALU_CYCLE_1)
	s_and_not1_b32 vcc_lo, exec_lo, s8
	s_cbranch_vccnz .LBB23_5827
; %bb.5826:
	s_wait_xcnt 0x0
	v_mov_b32_e32 v1, 0
	global_store_b32 v[6:7], v1, off
.LBB23_5827:
	s_mov_b32 s8, 0
.LBB23_5828:
	s_delay_alu instid0(SALU_CYCLE_1)
	s_and_not1_b32 vcc_lo, exec_lo, s8
	s_cbranch_vccnz .LBB23_5837
; %bb.5829:
	s_cmp_lt_i32 s3, 6
	s_mov_b32 s8, -1
	s_cbranch_scc1 .LBB23_5835
; %bb.5830:
	s_cmp_gt_i32 s3, 6
	s_cbranch_scc0 .LBB23_5832
; %bb.5831:
	s_wait_xcnt 0x0
	v_mov_b64_e32 v[8:9], 0
	s_mov_b32 s8, 0
	global_store_b64 v[6:7], v[8:9], off
.LBB23_5832:
	s_and_not1_b32 vcc_lo, exec_lo, s8
	s_cbranch_vccnz .LBB23_5834
; %bb.5833:
	s_wait_xcnt 0x0
	v_mov_b32_e32 v1, 0
	global_store_b32 v[6:7], v1, off
.LBB23_5834:
	s_mov_b32 s8, 0
.LBB23_5835:
	s_delay_alu instid0(SALU_CYCLE_1)
	s_and_not1_b32 vcc_lo, exec_lo, s8
	s_cbranch_vccnz .LBB23_5837
; %bb.5836:
	s_wait_xcnt 0x0
	v_mov_b32_e32 v1, 0
	global_store_b16 v[6:7], v1, off
.LBB23_5837:
	s_mov_b32 s8, 0
.LBB23_5838:
	s_delay_alu instid0(SALU_CYCLE_1)
	s_and_not1_b32 vcc_lo, exec_lo, s8
	s_cbranch_vccnz .LBB23_5854
; %bb.5839:
	s_cmp_lt_i32 s3, 2
	s_mov_b32 s8, -1
	s_cbranch_scc1 .LBB23_5849
; %bb.5840:
	s_cmp_lt_i32 s3, 3
	s_cbranch_scc1 .LBB23_5846
; %bb.5841:
	s_cmp_gt_i32 s3, 3
	s_cbranch_scc0 .LBB23_5843
; %bb.5842:
	s_wait_xcnt 0x0
	v_mov_b64_e32 v[8:9], 0
	s_mov_b32 s8, 0
	global_store_b64 v[6:7], v[8:9], off
.LBB23_5843:
	s_and_not1_b32 vcc_lo, exec_lo, s8
	s_cbranch_vccnz .LBB23_5845
; %bb.5844:
	s_wait_xcnt 0x0
	v_mov_b32_e32 v1, 0
	global_store_b32 v[6:7], v1, off
.LBB23_5845:
	s_mov_b32 s8, 0
.LBB23_5846:
	s_delay_alu instid0(SALU_CYCLE_1)
	s_and_not1_b32 vcc_lo, exec_lo, s8
	s_cbranch_vccnz .LBB23_5848
; %bb.5847:
	s_wait_xcnt 0x0
	v_mov_b32_e32 v1, 0
	global_store_b16 v[6:7], v1, off
.LBB23_5848:
	s_mov_b32 s8, 0
.LBB23_5849:
	s_delay_alu instid0(SALU_CYCLE_1)
	s_and_not1_b32 vcc_lo, exec_lo, s8
	s_cbranch_vccnz .LBB23_5854
; %bb.5850:
	s_cmp_gt_i32 s3, 0
	s_mov_b32 s3, -1
	s_cbranch_scc0 .LBB23_5852
; %bb.5851:
	s_wait_xcnt 0x0
	v_mov_b32_e32 v1, 0
	s_mov_b32 s3, 0
	global_store_b8 v[6:7], v1, off
.LBB23_5852:
	s_and_not1_b32 vcc_lo, exec_lo, s3
	s_cbranch_vccnz .LBB23_5854
; %bb.5853:
	s_wait_xcnt 0x0
	v_mov_b32_e32 v1, 0
	global_store_b8 v[6:7], v1, off
.LBB23_5854:
	s_mov_b32 s8, -1
.LBB23_5855:
	s_delay_alu instid0(SALU_CYCLE_1)
	s_and_not1_b32 vcc_lo, exec_lo, s8
	s_cbranch_vccnz .LBB23_6080
; %bb.5856:
	v_mov_b32_e32 v5, 0
	s_and_b32 s3, 0xffff, s0
	s_delay_alu instid0(SALU_CYCLE_1) | instskip(NEXT) | instid1(VALU_DEP_1)
	s_cmp_lt_i32 s3, 11
	v_add_nc_u64_e32 v[4:5], s[4:5], v[4:5]
	s_cbranch_scc1 .LBB23_5904
; %bb.5857:
	s_mov_b32 s11, -1
	s_mov_b32 s10, 0
	s_cmp_gt_i32 s3, 25
	s_mov_b32 s9, 0
	s_mov_b32 s8, 0
	s_cbranch_scc0 .LBB23_5882
; %bb.5858:
	s_cmp_gt_i32 s3, 28
	s_cbranch_scc0 .LBB23_5871
; %bb.5859:
	s_cmp_gt_i32 s3, 43
	;; [unrolled: 3-line block ×3, first 2 shown]
	s_cbranch_scc0 .LBB23_5863
; %bb.5861:
	s_mov_b32 s8, -1
	s_mov_b32 s11, 0
	s_cmp_eq_u32 s3, 46
	s_cbranch_scc0 .LBB23_5863
; %bb.5862:
	s_wait_xcnt 0x0
	v_mov_b32_e32 v1, 0
	s_mov_b32 s8, 0
	s_mov_b32 s9, -1
	global_store_b32 v[4:5], v1, off
.LBB23_5863:
	s_and_b32 vcc_lo, exec_lo, s11
	s_cbranch_vccz .LBB23_5866
; %bb.5864:
	s_cmp_eq_u32 s3, 44
	s_mov_b32 s8, -1
	s_cbranch_scc0 .LBB23_5866
; %bb.5865:
	s_wait_xcnt 0x0
	v_mov_b32_e32 v1, 0
	s_mov_b32 s8, 0
	s_mov_b32 s9, -1
	global_store_b8 v[4:5], v1, off
.LBB23_5866:
	s_mov_b32 s11, 0
.LBB23_5867:
	s_delay_alu instid0(SALU_CYCLE_1)
	s_and_b32 vcc_lo, exec_lo, s11
	s_cbranch_vccz .LBB23_5870
; %bb.5868:
	s_cmp_eq_u32 s3, 29
	s_mov_b32 s8, -1
	s_cbranch_scc0 .LBB23_5870
; %bb.5869:
	s_wait_xcnt 0x0
	v_mov_b64_e32 v[6:7], 0
	s_mov_b32 s8, 0
	s_mov_b32 s9, -1
	global_store_b64 v[4:5], v[6:7], off
.LBB23_5870:
	s_mov_b32 s11, 0
.LBB23_5871:
	s_delay_alu instid0(SALU_CYCLE_1)
	s_and_b32 vcc_lo, exec_lo, s11
	s_cbranch_vccz .LBB23_5881
; %bb.5872:
	s_cmp_lt_i32 s3, 27
	s_mov_b32 s9, -1
	s_cbranch_scc1 .LBB23_5878
; %bb.5873:
	s_cmp_gt_i32 s3, 27
	s_cbranch_scc0 .LBB23_5875
; %bb.5874:
	s_wait_xcnt 0x0
	v_mov_b32_e32 v1, 0
	s_mov_b32 s9, 0
	global_store_b32 v[4:5], v1, off
.LBB23_5875:
	s_and_not1_b32 vcc_lo, exec_lo, s9
	s_cbranch_vccnz .LBB23_5877
; %bb.5876:
	s_wait_xcnt 0x0
	v_mov_b32_e32 v1, 0
	global_store_b16 v[4:5], v1, off
.LBB23_5877:
	s_mov_b32 s9, 0
.LBB23_5878:
	s_delay_alu instid0(SALU_CYCLE_1)
	s_and_not1_b32 vcc_lo, exec_lo, s9
	s_cbranch_vccnz .LBB23_5880
; %bb.5879:
	s_wait_xcnt 0x0
	v_mov_b32_e32 v1, 0
	global_store_b8 v[4:5], v1, off
.LBB23_5880:
	s_mov_b32 s9, -1
.LBB23_5881:
	s_mov_b32 s11, 0
.LBB23_5882:
	s_delay_alu instid0(SALU_CYCLE_1)
	s_and_b32 vcc_lo, exec_lo, s11
	s_cbranch_vccz .LBB23_5900
; %bb.5883:
	s_cmp_gt_i32 s3, 22
	s_mov_b32 s10, -1
	s_cbranch_scc0 .LBB23_5893
; %bb.5884:
	s_cmp_lt_i32 s3, 24
	s_mov_b32 s9, -1
	s_cbranch_scc1 .LBB23_5890
; %bb.5885:
	s_cmp_gt_i32 s3, 24
	s_cbranch_scc0 .LBB23_5887
; %bb.5886:
	s_wait_xcnt 0x0
	v_mov_b32_e32 v1, 0
	s_mov_b32 s9, 0
	global_store_b8 v[4:5], v1, off
.LBB23_5887:
	s_and_not1_b32 vcc_lo, exec_lo, s9
	s_cbranch_vccnz .LBB23_5889
; %bb.5888:
	s_wait_xcnt 0x0
	v_mov_b32_e32 v1, 0
	global_store_b8 v[4:5], v1, off
.LBB23_5889:
	s_mov_b32 s9, 0
.LBB23_5890:
	s_delay_alu instid0(SALU_CYCLE_1)
	s_and_not1_b32 vcc_lo, exec_lo, s9
	s_cbranch_vccnz .LBB23_5892
; %bb.5891:
	s_wait_xcnt 0x0
	v_mov_b32_e32 v1, 0
	global_store_b8 v[4:5], v1, off
.LBB23_5892:
	s_mov_b32 s10, 0
	s_mov_b32 s9, -1
.LBB23_5893:
	s_and_not1_b32 vcc_lo, exec_lo, s10
	s_mov_b32 s10, 0
	s_cbranch_vccnz .LBB23_5900
; %bb.5894:
	s_cmp_gt_i32 s3, 14
	s_mov_b32 s10, -1
	s_cbranch_scc0 .LBB23_5898
; %bb.5895:
	s_cmp_eq_u32 s3, 15
	s_mov_b32 s8, -1
	s_cbranch_scc0 .LBB23_5897
; %bb.5896:
	s_wait_xcnt 0x0
	v_mov_b32_e32 v1, 0
	s_mov_b32 s8, 0
	s_mov_b32 s9, -1
	global_store_b16 v[4:5], v1, off
.LBB23_5897:
	s_mov_b32 s10, 0
.LBB23_5898:
	s_delay_alu instid0(SALU_CYCLE_1)
	s_and_b32 vcc_lo, exec_lo, s10
	s_mov_b32 s10, 0
	s_cbranch_vccz .LBB23_5900
; %bb.5899:
	s_cmp_lg_u32 s3, 11
	s_mov_b32 s10, -1
	s_cselect_b32 s8, -1, 0
.LBB23_5900:
	s_delay_alu instid0(SALU_CYCLE_1)
	s_and_b32 vcc_lo, exec_lo, s8
	s_cbranch_vccnz .LBB23_6089
; %bb.5901:
	s_and_not1_b32 vcc_lo, exec_lo, s10
	s_cbranch_vccnz .LBB23_5903
.LBB23_5902:
	s_wait_xcnt 0x0
	v_mov_b32_e32 v1, 0
	s_mov_b32 s9, -1
	global_store_b8 v[4:5], v1, off
.LBB23_5903:
	s_mov_b32 s8, 0
	s_branch .LBB23_5905
.LBB23_5904:
	s_mov_b32 s8, -1
	s_mov_b32 s9, 0
.LBB23_5905:
	s_and_b32 vcc_lo, exec_lo, s8
	s_cbranch_vccz .LBB23_5944
; %bb.5906:
	s_cmp_lt_i32 s3, 5
	s_mov_b32 s8, -1
	s_cbranch_scc1 .LBB23_5927
; %bb.5907:
	s_cmp_lt_i32 s3, 8
	s_cbranch_scc1 .LBB23_5917
; %bb.5908:
	s_cmp_lt_i32 s3, 9
	s_cbranch_scc1 .LBB23_5914
; %bb.5909:
	s_cmp_gt_i32 s3, 9
	s_cbranch_scc0 .LBB23_5911
; %bb.5910:
	s_wait_xcnt 0x0
	v_mov_b32_e32 v6, 0
	s_mov_b32 s8, 0
	s_delay_alu instid0(VALU_DEP_1)
	v_dual_mov_b32 v7, v6 :: v_dual_mov_b32 v8, v6
	v_mov_b32_e32 v9, v6
	global_store_b128 v[4:5], v[6:9], off
.LBB23_5911:
	s_and_not1_b32 vcc_lo, exec_lo, s8
	s_cbranch_vccnz .LBB23_5913
; %bb.5912:
	s_wait_xcnt 0x0
	v_mov_b64_e32 v[6:7], 0
	global_store_b64 v[4:5], v[6:7], off
.LBB23_5913:
	s_mov_b32 s8, 0
.LBB23_5914:
	s_delay_alu instid0(SALU_CYCLE_1)
	s_and_not1_b32 vcc_lo, exec_lo, s8
	s_cbranch_vccnz .LBB23_5916
; %bb.5915:
	s_wait_xcnt 0x0
	v_mov_b32_e32 v1, 0
	global_store_b32 v[4:5], v1, off
.LBB23_5916:
	s_mov_b32 s8, 0
.LBB23_5917:
	s_delay_alu instid0(SALU_CYCLE_1)
	s_and_not1_b32 vcc_lo, exec_lo, s8
	s_cbranch_vccnz .LBB23_5926
; %bb.5918:
	s_cmp_lt_i32 s3, 6
	s_mov_b32 s8, -1
	s_cbranch_scc1 .LBB23_5924
; %bb.5919:
	s_cmp_gt_i32 s3, 6
	s_cbranch_scc0 .LBB23_5921
; %bb.5920:
	s_wait_xcnt 0x0
	v_mov_b64_e32 v[6:7], 0
	s_mov_b32 s8, 0
	global_store_b64 v[4:5], v[6:7], off
.LBB23_5921:
	s_and_not1_b32 vcc_lo, exec_lo, s8
	s_cbranch_vccnz .LBB23_5923
; %bb.5922:
	s_wait_xcnt 0x0
	v_mov_b32_e32 v1, 0
	global_store_b32 v[4:5], v1, off
.LBB23_5923:
	s_mov_b32 s8, 0
.LBB23_5924:
	s_delay_alu instid0(SALU_CYCLE_1)
	s_and_not1_b32 vcc_lo, exec_lo, s8
	s_cbranch_vccnz .LBB23_5926
; %bb.5925:
	s_wait_xcnt 0x0
	v_mov_b32_e32 v1, 0
	global_store_b16 v[4:5], v1, off
.LBB23_5926:
	s_mov_b32 s8, 0
.LBB23_5927:
	s_delay_alu instid0(SALU_CYCLE_1)
	s_and_not1_b32 vcc_lo, exec_lo, s8
	s_cbranch_vccnz .LBB23_5943
; %bb.5928:
	s_cmp_lt_i32 s3, 2
	s_mov_b32 s8, -1
	s_cbranch_scc1 .LBB23_5938
; %bb.5929:
	s_cmp_lt_i32 s3, 3
	s_cbranch_scc1 .LBB23_5935
; %bb.5930:
	s_cmp_gt_i32 s3, 3
	s_cbranch_scc0 .LBB23_5932
; %bb.5931:
	s_wait_xcnt 0x0
	v_mov_b64_e32 v[6:7], 0
	s_mov_b32 s8, 0
	global_store_b64 v[4:5], v[6:7], off
.LBB23_5932:
	s_and_not1_b32 vcc_lo, exec_lo, s8
	s_cbranch_vccnz .LBB23_5934
; %bb.5933:
	s_wait_xcnt 0x0
	v_mov_b32_e32 v1, 0
	global_store_b32 v[4:5], v1, off
.LBB23_5934:
	s_mov_b32 s8, 0
.LBB23_5935:
	s_delay_alu instid0(SALU_CYCLE_1)
	s_and_not1_b32 vcc_lo, exec_lo, s8
	s_cbranch_vccnz .LBB23_5937
; %bb.5936:
	s_wait_xcnt 0x0
	v_mov_b32_e32 v1, 0
	global_store_b16 v[4:5], v1, off
.LBB23_5937:
	s_mov_b32 s8, 0
.LBB23_5938:
	s_delay_alu instid0(SALU_CYCLE_1)
	s_and_not1_b32 vcc_lo, exec_lo, s8
	s_cbranch_vccnz .LBB23_5943
; %bb.5939:
	s_cmp_gt_i32 s3, 0
	s_mov_b32 s8, -1
	s_cbranch_scc0 .LBB23_5941
; %bb.5940:
	s_wait_xcnt 0x0
	v_mov_b32_e32 v1, 0
	s_mov_b32 s8, 0
	global_store_b8 v[4:5], v1, off
.LBB23_5941:
	s_and_not1_b32 vcc_lo, exec_lo, s8
	s_cbranch_vccnz .LBB23_5943
; %bb.5942:
	s_wait_xcnt 0x0
	v_mov_b32_e32 v1, 0
	global_store_b8 v[4:5], v1, off
.LBB23_5943:
	s_mov_b32 s9, -1
.LBB23_5944:
	s_delay_alu instid0(SALU_CYCLE_1)
	s_and_not1_b32 vcc_lo, exec_lo, s9
	s_cbranch_vccnz .LBB23_6080
; %bb.5945:
	v_mov_b32_e32 v3, 0
	s_cmp_lt_i32 s3, 11
	s_delay_alu instid0(VALU_DEP_1)
	v_add_nc_u64_e32 v[2:3], s[4:5], v[2:3]
	s_cbranch_scc1 .LBB23_5993
; %bb.5946:
	s_mov_b32 s11, -1
	s_mov_b32 s10, 0
	s_cmp_gt_i32 s3, 25
	s_mov_b32 s9, 0
	s_mov_b32 s8, 0
	s_cbranch_scc0 .LBB23_5971
; %bb.5947:
	s_cmp_gt_i32 s3, 28
	s_cbranch_scc0 .LBB23_5960
; %bb.5948:
	s_cmp_gt_i32 s3, 43
	;; [unrolled: 3-line block ×3, first 2 shown]
	s_cbranch_scc0 .LBB23_5952
; %bb.5950:
	s_mov_b32 s8, -1
	s_mov_b32 s11, 0
	s_cmp_eq_u32 s3, 46
	s_cbranch_scc0 .LBB23_5952
; %bb.5951:
	s_wait_xcnt 0x0
	v_mov_b32_e32 v1, 0
	s_mov_b32 s8, 0
	s_mov_b32 s9, -1
	global_store_b32 v[2:3], v1, off
.LBB23_5952:
	s_and_b32 vcc_lo, exec_lo, s11
	s_cbranch_vccz .LBB23_5955
; %bb.5953:
	s_cmp_eq_u32 s3, 44
	s_mov_b32 s8, -1
	s_cbranch_scc0 .LBB23_5955
; %bb.5954:
	s_wait_xcnt 0x0
	v_mov_b32_e32 v1, 0
	s_mov_b32 s8, 0
	s_mov_b32 s9, -1
	global_store_b8 v[2:3], v1, off
.LBB23_5955:
	s_mov_b32 s11, 0
.LBB23_5956:
	s_delay_alu instid0(SALU_CYCLE_1)
	s_and_b32 vcc_lo, exec_lo, s11
	s_cbranch_vccz .LBB23_5959
; %bb.5957:
	s_cmp_eq_u32 s3, 29
	s_mov_b32 s8, -1
	s_cbranch_scc0 .LBB23_5959
; %bb.5958:
	s_wait_xcnt 0x0
	v_mov_b64_e32 v[4:5], 0
	s_mov_b32 s8, 0
	s_mov_b32 s9, -1
	global_store_b64 v[2:3], v[4:5], off
.LBB23_5959:
	s_mov_b32 s11, 0
.LBB23_5960:
	s_delay_alu instid0(SALU_CYCLE_1)
	s_and_b32 vcc_lo, exec_lo, s11
	s_cbranch_vccz .LBB23_5970
; %bb.5961:
	s_cmp_lt_i32 s3, 27
	s_mov_b32 s9, -1
	s_cbranch_scc1 .LBB23_5967
; %bb.5962:
	s_cmp_gt_i32 s3, 27
	s_cbranch_scc0 .LBB23_5964
; %bb.5963:
	s_wait_xcnt 0x0
	v_mov_b32_e32 v1, 0
	s_mov_b32 s9, 0
	global_store_b32 v[2:3], v1, off
.LBB23_5964:
	s_and_not1_b32 vcc_lo, exec_lo, s9
	s_cbranch_vccnz .LBB23_5966
; %bb.5965:
	s_wait_xcnt 0x0
	v_mov_b32_e32 v1, 0
	global_store_b16 v[2:3], v1, off
.LBB23_5966:
	s_mov_b32 s9, 0
.LBB23_5967:
	s_delay_alu instid0(SALU_CYCLE_1)
	s_and_not1_b32 vcc_lo, exec_lo, s9
	s_cbranch_vccnz .LBB23_5969
; %bb.5968:
	s_wait_xcnt 0x0
	v_mov_b32_e32 v1, 0
	global_store_b8 v[2:3], v1, off
.LBB23_5969:
	s_mov_b32 s9, -1
.LBB23_5970:
	s_mov_b32 s11, 0
.LBB23_5971:
	s_delay_alu instid0(SALU_CYCLE_1)
	s_and_b32 vcc_lo, exec_lo, s11
	s_cbranch_vccz .LBB23_5989
; %bb.5972:
	s_cmp_gt_i32 s3, 22
	s_mov_b32 s10, -1
	s_cbranch_scc0 .LBB23_5982
; %bb.5973:
	s_cmp_lt_i32 s3, 24
	s_mov_b32 s9, -1
	s_cbranch_scc1 .LBB23_5979
; %bb.5974:
	s_cmp_gt_i32 s3, 24
	s_cbranch_scc0 .LBB23_5976
; %bb.5975:
	s_wait_xcnt 0x0
	v_mov_b32_e32 v1, 0
	s_mov_b32 s9, 0
	global_store_b8 v[2:3], v1, off
.LBB23_5976:
	s_and_not1_b32 vcc_lo, exec_lo, s9
	s_cbranch_vccnz .LBB23_5978
; %bb.5977:
	s_wait_xcnt 0x0
	v_mov_b32_e32 v1, 0
	global_store_b8 v[2:3], v1, off
.LBB23_5978:
	s_mov_b32 s9, 0
.LBB23_5979:
	s_delay_alu instid0(SALU_CYCLE_1)
	s_and_not1_b32 vcc_lo, exec_lo, s9
	s_cbranch_vccnz .LBB23_5981
; %bb.5980:
	s_wait_xcnt 0x0
	v_mov_b32_e32 v1, 0
	global_store_b8 v[2:3], v1, off
.LBB23_5981:
	s_mov_b32 s10, 0
	s_mov_b32 s9, -1
.LBB23_5982:
	s_and_not1_b32 vcc_lo, exec_lo, s10
	s_mov_b32 s10, 0
	s_cbranch_vccnz .LBB23_5989
; %bb.5983:
	s_cmp_gt_i32 s3, 14
	s_mov_b32 s10, -1
	s_cbranch_scc0 .LBB23_5987
; %bb.5984:
	s_cmp_eq_u32 s3, 15
	s_mov_b32 s8, -1
	s_cbranch_scc0 .LBB23_5986
; %bb.5985:
	s_wait_xcnt 0x0
	v_mov_b32_e32 v1, 0
	s_mov_b32 s8, 0
	s_mov_b32 s9, -1
	global_store_b16 v[2:3], v1, off
.LBB23_5986:
	s_mov_b32 s10, 0
.LBB23_5987:
	s_delay_alu instid0(SALU_CYCLE_1)
	s_and_b32 vcc_lo, exec_lo, s10
	s_mov_b32 s10, 0
	s_cbranch_vccz .LBB23_5989
; %bb.5988:
	s_cmp_lg_u32 s3, 11
	s_mov_b32 s10, -1
	s_cselect_b32 s8, -1, 0
.LBB23_5989:
	s_delay_alu instid0(SALU_CYCLE_1)
	s_and_b32 vcc_lo, exec_lo, s8
	s_cbranch_vccnz .LBB23_6091
; %bb.5990:
	s_and_not1_b32 vcc_lo, exec_lo, s10
	s_cbranch_vccnz .LBB23_5992
.LBB23_5991:
	s_wait_xcnt 0x0
	v_mov_b32_e32 v1, 0
	s_mov_b32 s9, -1
	global_store_b8 v[2:3], v1, off
.LBB23_5992:
	s_mov_b32 s8, 0
	s_branch .LBB23_5994
.LBB23_5993:
	s_mov_b32 s8, -1
	s_mov_b32 s9, 0
.LBB23_5994:
	s_and_b32 vcc_lo, exec_lo, s8
	s_cbranch_vccz .LBB23_6033
; %bb.5995:
	s_cmp_lt_i32 s3, 5
	s_mov_b32 s8, -1
	s_cbranch_scc1 .LBB23_6016
; %bb.5996:
	s_cmp_lt_i32 s3, 8
	s_cbranch_scc1 .LBB23_6006
; %bb.5997:
	s_cmp_lt_i32 s3, 9
	s_cbranch_scc1 .LBB23_6003
; %bb.5998:
	s_cmp_gt_i32 s3, 9
	s_cbranch_scc0 .LBB23_6000
; %bb.5999:
	s_wait_xcnt 0x0
	v_mov_b32_e32 v4, 0
	s_mov_b32 s8, 0
	s_delay_alu instid0(VALU_DEP_1)
	v_dual_mov_b32 v5, v4 :: v_dual_mov_b32 v6, v4
	v_mov_b32_e32 v7, v4
	global_store_b128 v[2:3], v[4:7], off
.LBB23_6000:
	s_and_not1_b32 vcc_lo, exec_lo, s8
	s_cbranch_vccnz .LBB23_6002
; %bb.6001:
	s_wait_xcnt 0x0
	v_mov_b64_e32 v[4:5], 0
	global_store_b64 v[2:3], v[4:5], off
.LBB23_6002:
	s_mov_b32 s8, 0
.LBB23_6003:
	s_delay_alu instid0(SALU_CYCLE_1)
	s_and_not1_b32 vcc_lo, exec_lo, s8
	s_cbranch_vccnz .LBB23_6005
; %bb.6004:
	s_wait_xcnt 0x0
	v_mov_b32_e32 v1, 0
	global_store_b32 v[2:3], v1, off
.LBB23_6005:
	s_mov_b32 s8, 0
.LBB23_6006:
	s_delay_alu instid0(SALU_CYCLE_1)
	s_and_not1_b32 vcc_lo, exec_lo, s8
	s_cbranch_vccnz .LBB23_6015
; %bb.6007:
	s_cmp_lt_i32 s3, 6
	s_mov_b32 s8, -1
	s_cbranch_scc1 .LBB23_6013
; %bb.6008:
	s_cmp_gt_i32 s3, 6
	s_cbranch_scc0 .LBB23_6010
; %bb.6009:
	s_wait_xcnt 0x0
	v_mov_b64_e32 v[4:5], 0
	s_mov_b32 s8, 0
	global_store_b64 v[2:3], v[4:5], off
.LBB23_6010:
	s_and_not1_b32 vcc_lo, exec_lo, s8
	s_cbranch_vccnz .LBB23_6012
; %bb.6011:
	s_wait_xcnt 0x0
	v_mov_b32_e32 v1, 0
	global_store_b32 v[2:3], v1, off
.LBB23_6012:
	s_mov_b32 s8, 0
.LBB23_6013:
	s_delay_alu instid0(SALU_CYCLE_1)
	s_and_not1_b32 vcc_lo, exec_lo, s8
	s_cbranch_vccnz .LBB23_6015
; %bb.6014:
	s_wait_xcnt 0x0
	v_mov_b32_e32 v1, 0
	global_store_b16 v[2:3], v1, off
.LBB23_6015:
	s_mov_b32 s8, 0
.LBB23_6016:
	s_delay_alu instid0(SALU_CYCLE_1)
	s_and_not1_b32 vcc_lo, exec_lo, s8
	s_cbranch_vccnz .LBB23_6032
; %bb.6017:
	s_cmp_lt_i32 s3, 2
	s_mov_b32 s8, -1
	s_cbranch_scc1 .LBB23_6027
; %bb.6018:
	s_cmp_lt_i32 s3, 3
	s_cbranch_scc1 .LBB23_6024
; %bb.6019:
	s_cmp_gt_i32 s3, 3
	s_cbranch_scc0 .LBB23_6021
; %bb.6020:
	s_wait_xcnt 0x0
	v_mov_b64_e32 v[4:5], 0
	s_mov_b32 s8, 0
	global_store_b64 v[2:3], v[4:5], off
.LBB23_6021:
	s_and_not1_b32 vcc_lo, exec_lo, s8
	s_cbranch_vccnz .LBB23_6023
; %bb.6022:
	s_wait_xcnt 0x0
	v_mov_b32_e32 v1, 0
	global_store_b32 v[2:3], v1, off
.LBB23_6023:
	s_mov_b32 s8, 0
.LBB23_6024:
	s_delay_alu instid0(SALU_CYCLE_1)
	s_and_not1_b32 vcc_lo, exec_lo, s8
	s_cbranch_vccnz .LBB23_6026
; %bb.6025:
	s_wait_xcnt 0x0
	v_mov_b32_e32 v1, 0
	global_store_b16 v[2:3], v1, off
.LBB23_6026:
	s_mov_b32 s8, 0
.LBB23_6027:
	s_delay_alu instid0(SALU_CYCLE_1)
	s_and_not1_b32 vcc_lo, exec_lo, s8
	s_cbranch_vccnz .LBB23_6032
; %bb.6028:
	s_cmp_gt_i32 s3, 0
	s_mov_b32 s8, -1
	s_cbranch_scc0 .LBB23_6030
; %bb.6029:
	s_wait_xcnt 0x0
	v_mov_b32_e32 v1, 0
	s_mov_b32 s8, 0
	global_store_b8 v[2:3], v1, off
.LBB23_6030:
	s_and_not1_b32 vcc_lo, exec_lo, s8
	s_cbranch_vccnz .LBB23_6032
; %bb.6031:
	s_wait_xcnt 0x0
	v_mov_b32_e32 v1, 0
	global_store_b8 v[2:3], v1, off
.LBB23_6032:
	s_mov_b32 s9, -1
.LBB23_6033:
	s_delay_alu instid0(SALU_CYCLE_1)
	s_and_not1_b32 vcc_lo, exec_lo, s9
	s_cbranch_vccnz .LBB23_6080
; %bb.6034:
	s_wait_xcnt 0x0
	v_mov_b32_e32 v1, 0
	s_cmp_lt_i32 s3, 11
	s_delay_alu instid0(VALU_DEP_1)
	v_add_nc_u64_e32 v[38:39], s[4:5], v[0:1]
	s_cbranch_scc1 .LBB23_6086
; %bb.6035:
	s_mov_b32 s8, -1
	s_mov_b32 s4, 0
	s_cmp_gt_i32 s3, 25
	s_mov_b32 s5, 0
	s_cbranch_scc0 .LBB23_6060
; %bb.6036:
	s_cmp_gt_i32 s3, 28
	s_cbranch_scc0 .LBB23_6050
; %bb.6037:
	s_cmp_gt_i32 s3, 43
	s_cbranch_scc0 .LBB23_6046
; %bb.6038:
	s_cmp_gt_i32 s3, 45
	s_cbranch_scc0 .LBB23_6042
; %bb.6039:
	s_cmp_eq_u32 s3, 46
	s_mov_b32 s5, -1
	s_cbranch_scc0 .LBB23_6041
; %bb.6040:
	v_mov_b32_e32 v0, 0
	s_mov_b32 s5, 0
	global_store_b32 v[38:39], v0, off
.LBB23_6041:
	s_mov_b32 s8, 0
.LBB23_6042:
	s_delay_alu instid0(SALU_CYCLE_1)
	s_and_b32 vcc_lo, exec_lo, s8
	s_cbranch_vccz .LBB23_6045
; %bb.6043:
	s_cmp_eq_u32 s3, 44
	s_mov_b32 s5, -1
	s_cbranch_scc0 .LBB23_6045
; %bb.6044:
	s_wait_xcnt 0x0
	v_mov_b32_e32 v0, 0
	s_mov_b32 s5, 0
	global_store_b8 v[38:39], v0, off
.LBB23_6045:
	s_mov_b32 s8, 0
.LBB23_6046:
	s_delay_alu instid0(SALU_CYCLE_1)
	s_and_b32 vcc_lo, exec_lo, s8
	s_cbranch_vccz .LBB23_6049
; %bb.6047:
	s_cmp_eq_u32 s3, 29
	s_mov_b32 s5, -1
	s_cbranch_scc0 .LBB23_6049
; %bb.6048:
	s_wait_xcnt 0x0
	v_mov_b64_e32 v[0:1], 0
	s_mov_b32 s5, 0
	global_store_b64 v[38:39], v[0:1], off
.LBB23_6049:
	s_mov_b32 s8, 0
.LBB23_6050:
	s_delay_alu instid0(SALU_CYCLE_1)
	s_and_b32 vcc_lo, exec_lo, s8
	s_cbranch_vccz .LBB23_6059
; %bb.6051:
	s_cmp_lt_i32 s3, 27
	s_mov_b32 s8, -1
	s_cbranch_scc1 .LBB23_6057
; %bb.6052:
	s_cmp_gt_i32 s3, 27
	s_cbranch_scc0 .LBB23_6054
; %bb.6053:
	s_wait_xcnt 0x0
	v_mov_b32_e32 v0, 0
	s_mov_b32 s8, 0
	global_store_b32 v[38:39], v0, off
.LBB23_6054:
	s_and_not1_b32 vcc_lo, exec_lo, s8
	s_cbranch_vccnz .LBB23_6056
; %bb.6055:
	s_wait_xcnt 0x0
	v_mov_b32_e32 v0, 0
	global_store_b16 v[38:39], v0, off
.LBB23_6056:
	s_mov_b32 s8, 0
.LBB23_6057:
	s_delay_alu instid0(SALU_CYCLE_1)
	s_and_not1_b32 vcc_lo, exec_lo, s8
	s_cbranch_vccnz .LBB23_6059
; %bb.6058:
	s_wait_xcnt 0x0
	v_mov_b32_e32 v0, 0
	global_store_b8 v[38:39], v0, off
.LBB23_6059:
	s_mov_b32 s8, 0
.LBB23_6060:
	s_delay_alu instid0(SALU_CYCLE_1)
	s_and_b32 vcc_lo, exec_lo, s8
	s_cbranch_vccz .LBB23_6078
; %bb.6061:
	s_cmp_gt_i32 s3, 22
	s_mov_b32 s4, -1
	s_cbranch_scc0 .LBB23_6071
; %bb.6062:
	s_cmp_lt_i32 s3, 24
	s_cbranch_scc1 .LBB23_6068
; %bb.6063:
	s_cmp_gt_i32 s3, 24
	s_cbranch_scc0 .LBB23_6065
; %bb.6064:
	s_wait_xcnt 0x0
	v_mov_b32_e32 v0, 0
	s_mov_b32 s4, 0
	global_store_b8 v[38:39], v0, off
.LBB23_6065:
	s_and_not1_b32 vcc_lo, exec_lo, s4
	s_cbranch_vccnz .LBB23_6067
; %bb.6066:
	s_wait_xcnt 0x0
	v_mov_b32_e32 v0, 0
	global_store_b8 v[38:39], v0, off
.LBB23_6067:
	s_mov_b32 s4, 0
.LBB23_6068:
	s_delay_alu instid0(SALU_CYCLE_1)
	s_and_not1_b32 vcc_lo, exec_lo, s4
	s_cbranch_vccnz .LBB23_6070
; %bb.6069:
	s_wait_xcnt 0x0
	v_mov_b32_e32 v0, 0
	global_store_b8 v[38:39], v0, off
.LBB23_6070:
	s_mov_b32 s4, 0
.LBB23_6071:
	s_delay_alu instid0(SALU_CYCLE_1)
	s_and_not1_b32 vcc_lo, exec_lo, s4
	s_mov_b32 s4, 0
	s_cbranch_vccnz .LBB23_6078
; %bb.6072:
	s_cmp_gt_i32 s3, 14
	s_mov_b32 s4, -1
	s_cbranch_scc0 .LBB23_6076
; %bb.6073:
	s_cmp_eq_u32 s3, 15
	s_mov_b32 s5, -1
	s_cbranch_scc0 .LBB23_6075
; %bb.6074:
	s_wait_xcnt 0x0
	v_mov_b32_e32 v0, 0
	s_mov_b32 s5, 0
	global_store_b16 v[38:39], v0, off
.LBB23_6075:
	s_mov_b32 s4, 0
.LBB23_6076:
	s_delay_alu instid0(SALU_CYCLE_1)
	s_and_b32 vcc_lo, exec_lo, s4
	s_mov_b32 s4, 0
	s_cbranch_vccz .LBB23_6078
; %bb.6077:
	s_cmp_lg_u32 s3, 11
	s_mov_b32 s4, -1
	s_cselect_b32 s5, -1, 0
.LBB23_6078:
	s_delay_alu instid0(SALU_CYCLE_1)
	s_and_b32 vcc_lo, exec_lo, s5
	s_cbranch_vccnz .LBB23_6093
.LBB23_6079:
	s_mov_b32 s3, 0
	s_branch .LBB23_6081
.LBB23_6080:
	s_mov_b32 s3, 0
	s_mov_b32 s4, 0
                                        ; implicit-def: $vgpr38_vgpr39
                                        ; implicit-def: $sgpr0
.LBB23_6081:
	s_and_b32 s9, s3, exec_lo
	s_and_not1_b32 s3, s6, exec_lo
	s_and_b32 s2, s2, exec_lo
	s_and_b32 s8, s4, exec_lo
	s_or_b32 s6, s3, s2
.LBB23_6082:
	s_wait_xcnt 0x0
	s_or_b32 exec_lo, exec_lo, s7
	s_delay_alu instid0(SALU_CYCLE_1)
	s_and_not1_b32 s2, s20, exec_lo
	s_and_b32 s3, s6, exec_lo
	s_and_b32 s7, s9, exec_lo
	;; [unrolled: 1-line block ×3, first 2 shown]
	s_or_b32 s20, s2, s3
.LBB23_6083:
	s_or_b32 exec_lo, exec_lo, s27
	s_delay_alu instid0(SALU_CYCLE_1)
	s_and_not1_b32 s2, s19, exec_lo
	s_and_b32 s3, s20, exec_lo
	s_and_b32 s7, s7, exec_lo
	;; [unrolled: 1-line block ×3, first 2 shown]
	s_or_b32 s19, s2, s3
.LBB23_6084:
	s_or_b32 exec_lo, exec_lo, s26
	s_delay_alu instid0(SALU_CYCLE_1)
	s_and_not1_b32 s2, s25, exec_lo
	s_and_b32 s3, s19, exec_lo
	s_and_b32 s7, s7, exec_lo
	;; [unrolled: 1-line block ×3, first 2 shown]
	s_or_b32 s25, s2, s3
.LBB23_6085:
	s_or_b32 exec_lo, exec_lo, s18
	s_branch .LBB23_5748
.LBB23_6086:
	s_mov_b32 s4, 0
	s_mov_b32 s3, -1
	s_branch .LBB23_6081
.LBB23_6087:
	s_or_b32 s8, s20, exec_lo
	s_xor_b32 s7, exec_lo, -1
	s_trap 2
	s_branch .LBB23_5764
.LBB23_6088:
	s_or_b32 s2, s6, exec_lo
	s_trap 2
	s_cbranch_execz .LBB23_5812
	s_branch .LBB23_5813
.LBB23_6089:
	s_or_b32 s2, s2, exec_lo
	s_trap 2
	s_cbranch_execz .LBB23_5902
	s_branch .LBB23_5903
.LBB23_6090:
	s_or_b32 s25, s25, exec_lo
	s_trap 2
                                        ; implicit-def: $vgpr16
                                        ; implicit-def: $vgpr12
                                        ; implicit-def: $vgpr10
                                        ; implicit-def: $vgpr14
                                        ; implicit-def: $vgpr5
                                        ; implicit-def: $vgpr6
                                        ; implicit-def: $vgpr4
                                        ; implicit-def: $vgpr2
                                        ; implicit-def: $vgpr0
                                        ; implicit-def: $vgpr1
                                        ; implicit-def: $vgpr3
	s_branch .LBB23_5740
.LBB23_6091:
	s_or_b32 s2, s2, exec_lo
	s_trap 2
	s_cbranch_execz .LBB23_5991
	s_branch .LBB23_5992
.LBB23_6092:
	s_or_b32 s19, s25, exec_lo
	s_trap 2
                                        ; implicit-def: $vgpr12
                                        ; implicit-def: $vgpr10
                                        ; implicit-def: $vgpr14
                                        ; implicit-def: $vgpr5
                                        ; implicit-def: $vgpr6
                                        ; implicit-def: $vgpr4
                                        ; implicit-def: $vgpr2
                                        ; implicit-def: $vgpr0
                                        ; implicit-def: $vgpr1
	s_or_saveexec_b32 s26, s0
                                        ; implicit-def: $vgpr38_vgpr39
                                        ; implicit-def: $sgpr0
	s_delay_alu instid0(SALU_CYCLE_1)
	s_xor_b32 exec_lo, exec_lo, s26
	s_cbranch_execz .LBB23_6084
	s_branch .LBB23_5743
.LBB23_6093:
	s_mov_b32 s4, 0
	s_or_b32 s2, s2, exec_lo
	s_trap 2
	s_branch .LBB23_6079
.LBB23_6094:
	s_or_b32 s20, s19, exec_lo
	s_trap 2
                                        ; implicit-def: $vgpr10
                                        ; implicit-def: $vgpr12
                                        ; implicit-def: $vgpr5
                                        ; implicit-def: $vgpr0
                                        ; implicit-def: $vgpr6
                                        ; implicit-def: $vgpr4
                                        ; implicit-def: $vgpr14
                                        ; implicit-def: $vgpr2
	s_or_saveexec_b32 s27, s0
	s_mov_b32 s6, 0
                                        ; implicit-def: $vgpr38_vgpr39
                                        ; implicit-def: $sgpr0
	s_xor_b32 exec_lo, exec_lo, s27
	s_cbranch_execz .LBB23_6083
	s_branch .LBB23_5745
	.section	.rodata,"a",@progbits
	.p2align	6, 0x0
	.amdhsa_kernel _ZN2at6native32elementwise_kernel_manual_unrollILi128ELi4EZNS0_15gpu_kernel_implIZZZNS0_12_GLOBAL__N_142_validate_compressed_sparse_indices_kernelILNS3_8CDimNameE0ENS3_18CUDAKernelLauncherENS3_14EmptyVecKernelENS3_8DummyVecELm8EEEvRKNS_6TensorESB_lllENKUlvE1_clEvENKUlvE_clEvEUliiiiiE_EEvRNS_18TensorIteratorBaseERKT_EUlibE0_EEviT1_
		.amdhsa_group_segment_fixed_size 0
		.amdhsa_private_segment_fixed_size 0
		.amdhsa_kernarg_size 816
		.amdhsa_user_sgpr_count 2
		.amdhsa_user_sgpr_dispatch_ptr 0
		.amdhsa_user_sgpr_queue_ptr 0
		.amdhsa_user_sgpr_kernarg_segment_ptr 1
		.amdhsa_user_sgpr_dispatch_id 0
		.amdhsa_user_sgpr_kernarg_preload_length 0
		.amdhsa_user_sgpr_kernarg_preload_offset 0
		.amdhsa_user_sgpr_private_segment_size 0
		.amdhsa_wavefront_size32 1
		.amdhsa_uses_dynamic_stack 0
		.amdhsa_enable_private_segment 0
		.amdhsa_system_sgpr_workgroup_id_x 1
		.amdhsa_system_sgpr_workgroup_id_y 0
		.amdhsa_system_sgpr_workgroup_id_z 0
		.amdhsa_system_sgpr_workgroup_info 0
		.amdhsa_system_vgpr_workitem_id 0
		.amdhsa_next_free_vgpr 62
		.amdhsa_next_free_sgpr 105
		.amdhsa_named_barrier_count 0
		.amdhsa_reserve_vcc 1
		.amdhsa_float_round_mode_32 0
		.amdhsa_float_round_mode_16_64 0
		.amdhsa_float_denorm_mode_32 3
		.amdhsa_float_denorm_mode_16_64 3
		.amdhsa_fp16_overflow 0
		.amdhsa_memory_ordered 1
		.amdhsa_forward_progress 1
		.amdhsa_inst_pref_size 255
		.amdhsa_round_robin_scheduling 0
		.amdhsa_exception_fp_ieee_invalid_op 0
		.amdhsa_exception_fp_denorm_src 0
		.amdhsa_exception_fp_ieee_div_zero 0
		.amdhsa_exception_fp_ieee_overflow 0
		.amdhsa_exception_fp_ieee_underflow 0
		.amdhsa_exception_fp_ieee_inexact 0
		.amdhsa_exception_int_div_zero 0
	.end_amdhsa_kernel
	.section	.text._ZN2at6native32elementwise_kernel_manual_unrollILi128ELi4EZNS0_15gpu_kernel_implIZZZNS0_12_GLOBAL__N_142_validate_compressed_sparse_indices_kernelILNS3_8CDimNameE0ENS3_18CUDAKernelLauncherENS3_14EmptyVecKernelENS3_8DummyVecELm8EEEvRKNS_6TensorESB_lllENKUlvE1_clEvENKUlvE_clEvEUliiiiiE_EEvRNS_18TensorIteratorBaseERKT_EUlibE0_EEviT1_,"axG",@progbits,_ZN2at6native32elementwise_kernel_manual_unrollILi128ELi4EZNS0_15gpu_kernel_implIZZZNS0_12_GLOBAL__N_142_validate_compressed_sparse_indices_kernelILNS3_8CDimNameE0ENS3_18CUDAKernelLauncherENS3_14EmptyVecKernelENS3_8DummyVecELm8EEEvRKNS_6TensorESB_lllENKUlvE1_clEvENKUlvE_clEvEUliiiiiE_EEvRNS_18TensorIteratorBaseERKT_EUlibE0_EEviT1_,comdat
.Lfunc_end23:
	.size	_ZN2at6native32elementwise_kernel_manual_unrollILi128ELi4EZNS0_15gpu_kernel_implIZZZNS0_12_GLOBAL__N_142_validate_compressed_sparse_indices_kernelILNS3_8CDimNameE0ENS3_18CUDAKernelLauncherENS3_14EmptyVecKernelENS3_8DummyVecELm8EEEvRKNS_6TensorESB_lllENKUlvE1_clEvENKUlvE_clEvEUliiiiiE_EEvRNS_18TensorIteratorBaseERKT_EUlibE0_EEviT1_, .Lfunc_end23-_ZN2at6native32elementwise_kernel_manual_unrollILi128ELi4EZNS0_15gpu_kernel_implIZZZNS0_12_GLOBAL__N_142_validate_compressed_sparse_indices_kernelILNS3_8CDimNameE0ENS3_18CUDAKernelLauncherENS3_14EmptyVecKernelENS3_8DummyVecELm8EEEvRKNS_6TensorESB_lllENKUlvE1_clEvENKUlvE_clEvEUliiiiiE_EEvRNS_18TensorIteratorBaseERKT_EUlibE0_EEviT1_
                                        ; -- End function
	.set _ZN2at6native32elementwise_kernel_manual_unrollILi128ELi4EZNS0_15gpu_kernel_implIZZZNS0_12_GLOBAL__N_142_validate_compressed_sparse_indices_kernelILNS3_8CDimNameE0ENS3_18CUDAKernelLauncherENS3_14EmptyVecKernelENS3_8DummyVecELm8EEEvRKNS_6TensorESB_lllENKUlvE1_clEvENKUlvE_clEvEUliiiiiE_EEvRNS_18TensorIteratorBaseERKT_EUlibE0_EEviT1_.num_vgpr, 62
	.set _ZN2at6native32elementwise_kernel_manual_unrollILi128ELi4EZNS0_15gpu_kernel_implIZZZNS0_12_GLOBAL__N_142_validate_compressed_sparse_indices_kernelILNS3_8CDimNameE0ENS3_18CUDAKernelLauncherENS3_14EmptyVecKernelENS3_8DummyVecELm8EEEvRKNS_6TensorESB_lllENKUlvE1_clEvENKUlvE_clEvEUliiiiiE_EEvRNS_18TensorIteratorBaseERKT_EUlibE0_EEviT1_.num_agpr, 0
	.set _ZN2at6native32elementwise_kernel_manual_unrollILi128ELi4EZNS0_15gpu_kernel_implIZZZNS0_12_GLOBAL__N_142_validate_compressed_sparse_indices_kernelILNS3_8CDimNameE0ENS3_18CUDAKernelLauncherENS3_14EmptyVecKernelENS3_8DummyVecELm8EEEvRKNS_6TensorESB_lllENKUlvE1_clEvENKUlvE_clEvEUliiiiiE_EEvRNS_18TensorIteratorBaseERKT_EUlibE0_EEviT1_.numbered_sgpr, 105
	.set _ZN2at6native32elementwise_kernel_manual_unrollILi128ELi4EZNS0_15gpu_kernel_implIZZZNS0_12_GLOBAL__N_142_validate_compressed_sparse_indices_kernelILNS3_8CDimNameE0ENS3_18CUDAKernelLauncherENS3_14EmptyVecKernelENS3_8DummyVecELm8EEEvRKNS_6TensorESB_lllENKUlvE1_clEvENKUlvE_clEvEUliiiiiE_EEvRNS_18TensorIteratorBaseERKT_EUlibE0_EEviT1_.num_named_barrier, 0
	.set _ZN2at6native32elementwise_kernel_manual_unrollILi128ELi4EZNS0_15gpu_kernel_implIZZZNS0_12_GLOBAL__N_142_validate_compressed_sparse_indices_kernelILNS3_8CDimNameE0ENS3_18CUDAKernelLauncherENS3_14EmptyVecKernelENS3_8DummyVecELm8EEEvRKNS_6TensorESB_lllENKUlvE1_clEvENKUlvE_clEvEUliiiiiE_EEvRNS_18TensorIteratorBaseERKT_EUlibE0_EEviT1_.private_seg_size, 0
	.set _ZN2at6native32elementwise_kernel_manual_unrollILi128ELi4EZNS0_15gpu_kernel_implIZZZNS0_12_GLOBAL__N_142_validate_compressed_sparse_indices_kernelILNS3_8CDimNameE0ENS3_18CUDAKernelLauncherENS3_14EmptyVecKernelENS3_8DummyVecELm8EEEvRKNS_6TensorESB_lllENKUlvE1_clEvENKUlvE_clEvEUliiiiiE_EEvRNS_18TensorIteratorBaseERKT_EUlibE0_EEviT1_.uses_vcc, 1
	.set _ZN2at6native32elementwise_kernel_manual_unrollILi128ELi4EZNS0_15gpu_kernel_implIZZZNS0_12_GLOBAL__N_142_validate_compressed_sparse_indices_kernelILNS3_8CDimNameE0ENS3_18CUDAKernelLauncherENS3_14EmptyVecKernelENS3_8DummyVecELm8EEEvRKNS_6TensorESB_lllENKUlvE1_clEvENKUlvE_clEvEUliiiiiE_EEvRNS_18TensorIteratorBaseERKT_EUlibE0_EEviT1_.uses_flat_scratch, 0
	.set _ZN2at6native32elementwise_kernel_manual_unrollILi128ELi4EZNS0_15gpu_kernel_implIZZZNS0_12_GLOBAL__N_142_validate_compressed_sparse_indices_kernelILNS3_8CDimNameE0ENS3_18CUDAKernelLauncherENS3_14EmptyVecKernelENS3_8DummyVecELm8EEEvRKNS_6TensorESB_lllENKUlvE1_clEvENKUlvE_clEvEUliiiiiE_EEvRNS_18TensorIteratorBaseERKT_EUlibE0_EEviT1_.has_dyn_sized_stack, 0
	.set _ZN2at6native32elementwise_kernel_manual_unrollILi128ELi4EZNS0_15gpu_kernel_implIZZZNS0_12_GLOBAL__N_142_validate_compressed_sparse_indices_kernelILNS3_8CDimNameE0ENS3_18CUDAKernelLauncherENS3_14EmptyVecKernelENS3_8DummyVecELm8EEEvRKNS_6TensorESB_lllENKUlvE1_clEvENKUlvE_clEvEUliiiiiE_EEvRNS_18TensorIteratorBaseERKT_EUlibE0_EEviT1_.has_recursion, 0
	.set _ZN2at6native32elementwise_kernel_manual_unrollILi128ELi4EZNS0_15gpu_kernel_implIZZZNS0_12_GLOBAL__N_142_validate_compressed_sparse_indices_kernelILNS3_8CDimNameE0ENS3_18CUDAKernelLauncherENS3_14EmptyVecKernelENS3_8DummyVecELm8EEEvRKNS_6TensorESB_lllENKUlvE1_clEvENKUlvE_clEvEUliiiiiE_EEvRNS_18TensorIteratorBaseERKT_EUlibE0_EEviT1_.has_indirect_call, 0
	.section	.AMDGPU.csdata,"",@progbits
; Kernel info:
; codeLenInByte = 114332
; TotalNumSgprs: 107
; NumVgprs: 62
; ScratchSize: 0
; MemoryBound: 1
; FloatMode: 240
; IeeeMode: 1
; LDSByteSize: 0 bytes/workgroup (compile time only)
; SGPRBlocks: 0
; VGPRBlocks: 3
; NumSGPRsForWavesPerEU: 107
; NumVGPRsForWavesPerEU: 62
; NamedBarCnt: 0
; Occupancy: 16
; WaveLimiterHint : 1
; COMPUTE_PGM_RSRC2:SCRATCH_EN: 0
; COMPUTE_PGM_RSRC2:USER_SGPR: 2
; COMPUTE_PGM_RSRC2:TRAP_HANDLER: 0
; COMPUTE_PGM_RSRC2:TGID_X_EN: 1
; COMPUTE_PGM_RSRC2:TGID_Y_EN: 0
; COMPUTE_PGM_RSRC2:TGID_Z_EN: 0
; COMPUTE_PGM_RSRC2:TIDIG_COMP_CNT: 0
	.section	.text._ZN2at6native29vectorized_elementwise_kernelILi16EZZZNS0_12_GLOBAL__N_142_validate_compressed_sparse_indices_kernelILNS2_8CDimNameE0ENS2_18CUDAKernelLauncherENS2_14EmptyVecKernelENS2_8DummyVecELm8EEEvRKNS_6TensorESA_lllENKUlvE1_clEvENKUlvE0_clEvEUllllllE_St5arrayIPcLm6EEEEviT0_T1_,"axG",@progbits,_ZN2at6native29vectorized_elementwise_kernelILi16EZZZNS0_12_GLOBAL__N_142_validate_compressed_sparse_indices_kernelILNS2_8CDimNameE0ENS2_18CUDAKernelLauncherENS2_14EmptyVecKernelENS2_8DummyVecELm8EEEvRKNS_6TensorESA_lllENKUlvE1_clEvENKUlvE0_clEvEUllllllE_St5arrayIPcLm6EEEEviT0_T1_,comdat
	.globl	_ZN2at6native29vectorized_elementwise_kernelILi16EZZZNS0_12_GLOBAL__N_142_validate_compressed_sparse_indices_kernelILNS2_8CDimNameE0ENS2_18CUDAKernelLauncherENS2_14EmptyVecKernelENS2_8DummyVecELm8EEEvRKNS_6TensorESA_lllENKUlvE1_clEvENKUlvE0_clEvEUllllllE_St5arrayIPcLm6EEEEviT0_T1_ ; -- Begin function _ZN2at6native29vectorized_elementwise_kernelILi16EZZZNS0_12_GLOBAL__N_142_validate_compressed_sparse_indices_kernelILNS2_8CDimNameE0ENS2_18CUDAKernelLauncherENS2_14EmptyVecKernelENS2_8DummyVecELm8EEEvRKNS_6TensorESA_lllENKUlvE1_clEvENKUlvE0_clEvEUllllllE_St5arrayIPcLm6EEEEviT0_T1_
	.p2align	8
	.type	_ZN2at6native29vectorized_elementwise_kernelILi16EZZZNS0_12_GLOBAL__N_142_validate_compressed_sparse_indices_kernelILNS2_8CDimNameE0ENS2_18CUDAKernelLauncherENS2_14EmptyVecKernelENS2_8DummyVecELm8EEEvRKNS_6TensorESA_lllENKUlvE1_clEvENKUlvE0_clEvEUllllllE_St5arrayIPcLm6EEEEviT0_T1_,@function
_ZN2at6native29vectorized_elementwise_kernelILi16EZZZNS0_12_GLOBAL__N_142_validate_compressed_sparse_indices_kernelILNS2_8CDimNameE0ENS2_18CUDAKernelLauncherENS2_14EmptyVecKernelENS2_8DummyVecELm8EEEvRKNS_6TensorESA_lllENKUlvE1_clEvENKUlvE0_clEvEUllllllE_St5arrayIPcLm6EEEEviT0_T1_: ; @_ZN2at6native29vectorized_elementwise_kernelILi16EZZZNS0_12_GLOBAL__N_142_validate_compressed_sparse_indices_kernelILNS2_8CDimNameE0ENS2_18CUDAKernelLauncherENS2_14EmptyVecKernelENS2_8DummyVecELm8EEEvRKNS_6TensorESA_lllENKUlvE1_clEvENKUlvE0_clEvEUllllllE_St5arrayIPcLm6EEEEviT0_T1_
; %bb.0:
	s_clause 0x2
	s_load_b32 s2, s[0:1], 0x0
	s_load_b128 s[12:15], s[0:1], 0xd0
	s_load_b256 s[4:11], s[0:1], 0xb0
	s_bfe_u32 s3, ttmp6, 0x4000c
	s_and_b32 s16, ttmp6, 15
	s_add_co_i32 s3, s3, 1
	s_getreg_b32 s17, hwreg(HW_REG_IB_STS2, 6, 4)
	s_mul_i32 s3, ttmp9, s3
	s_or_b64 s[18:19], s[0:1], 8
	s_add_co_i32 s16, s16, s3
	s_cmp_eq_u32 s17, 0
	s_mov_b32 s40, 0
	s_wait_xcnt 0x0
	s_cselect_b32 s0, ttmp9, s16
	s_mov_b32 s17, 0
	s_lshl_b32 s16, s0, 10
	s_mov_b32 s0, -1
	s_get_pc_i64 s[20:21]
	s_add_nc_u64 s[20:21], s[20:21], .str.1@rel64+4
	s_wait_kmcnt 0x0
	s_sub_co_i32 s33, s2, s16
	s_delay_alu instid0(SALU_CYCLE_1)
	s_cmp_gt_i32 s33, 0x3ff
	s_cbranch_scc0 .LBB24_75
; %bb.1:
	s_ashr_i32 s17, s16, 31
	v_lshlrev_b32_e32 v1, 5, v0
	s_lshl_b64 s[22:23], s[16:17], 3
	s_cmp_lg_u64 s[20:21], 0
	s_add_nc_u64 s[0:1], s[6:7], s[22:23]
	s_mov_b32 s29, -1
	s_clause 0x1
	global_load_b128 v[38:41], v1, s[0:1]
	global_load_b128 v[42:45], v1, s[0:1] offset:16
	s_wait_xcnt 0x0
	s_load_b128 s[0:3], s[18:19], 0x0
	s_mov_b32 s17, 0
	s_mov_b32 s28, 0
	;; [unrolled: 1-line block ×4, first 2 shown]
                                        ; implicit-def: $sgpr42
                                        ; implicit-def: $sgpr26
                                        ; implicit-def: $sgpr41
                                        ; implicit-def: $sgpr24_sgpr25
                                        ; implicit-def: $vgpr18_vgpr19_vgpr20_vgpr21_vgpr22_vgpr23_vgpr24_vgpr25
                                        ; implicit-def: $vgpr2_vgpr3_vgpr4_vgpr5_vgpr6_vgpr7_vgpr8_vgpr9
                                        ; implicit-def: $vgpr10_vgpr11_vgpr12_vgpr13_vgpr14_vgpr15_vgpr16_vgpr17
                                        ; implicit-def: $vgpr34_vgpr35
                                        ; implicit-def: $vgpr26_vgpr27_vgpr28_vgpr29_vgpr30_vgpr31_vgpr32_vgpr33
	s_wait_loadcnt 0x1
	s_wait_kmcnt 0x0
	v_cmp_eq_u64_e32 vcc_lo, s[0:1], v[38:39]
	s_cselect_b32 s1, -1, 0
	s_mov_b32 s0, 0
	s_and_b32 s30, s1, vcc_lo
                                        ; implicit-def: $sgpr1
	s_delay_alu instid0(SALU_CYCLE_1)
	s_and_saveexec_b32 s43, s30
	s_cbranch_execz .LBB24_64
; %bb.2:
	s_add_nc_u64 s[0:1], s[8:9], s[22:23]
	s_get_pc_i64 s[24:25]
	s_add_nc_u64 s[24:25], s[24:25], .str.2@rel64+4
	s_clause 0x1
	global_load_b128 v[34:37], v1, s[0:1]
	global_load_b128 v[30:33], v1, s[0:1] offset:16
	s_wait_xcnt 0x0
	s_load_b64 s[0:1], s[18:19], 0x10
	s_cmp_lg_u64 s[24:25], 0
	s_mov_b32 s29, 0
	s_mov_b32 s30, 0
                                        ; implicit-def: $sgpr31
                                        ; implicit-def: $sgpr42
                                        ; implicit-def: $sgpr26
                                        ; implicit-def: $sgpr41
                                        ; implicit-def: $sgpr24_sgpr25
                                        ; implicit-def: $vgpr18_vgpr19_vgpr20_vgpr21_vgpr22_vgpr23_vgpr24_vgpr25
                                        ; implicit-def: $vgpr2_vgpr3_vgpr4_vgpr5_vgpr6_vgpr7_vgpr8_vgpr9
                                        ; implicit-def: $vgpr10_vgpr11_vgpr12_vgpr13_vgpr14_vgpr15_vgpr16_vgpr17
	s_wait_loadcnt 0x1
	s_wait_kmcnt 0x0
	v_cmp_eq_u64_e32 vcc_lo, s[0:1], v[34:35]
	s_cselect_b32 s1, -1, 0
	s_mov_b32 s0, -1
	s_and_b32 s1, s1, vcc_lo
	s_delay_alu instid0(SALU_CYCLE_1)
	s_and_saveexec_b32 s44, s1
	s_cbranch_execz .LBB24_63
; %bb.3:
	s_add_nc_u64 s[0:1], s[12:13], s[22:23]
	s_add_nc_u64 s[24:25], s[10:11], s[22:23]
	s_clause 0x3
	global_load_b128 v[2:5], v1, s[0:1]
	global_load_b128 v[10:13], v1, s[24:25]
	global_load_b128 v[14:17], v1, s[24:25] offset:16
	global_load_b128 v[6:9], v1, s[0:1] offset:16
	s_wait_xcnt 0x1
	s_get_pc_i64 s[24:25]
	s_add_nc_u64 s[24:25], s[24:25], .str.3@rel64+4
	s_wait_xcnt 0x0
	s_mov_b32 s1, -1
	s_cmp_lg_u64 s[24:25], 0
	s_mov_b32 s34, 0
	s_cselect_b32 s24, -1, 0
                                        ; implicit-def: $sgpr30
                                        ; implicit-def: $sgpr42
                                        ; implicit-def: $sgpr26
                                        ; implicit-def: $sgpr41
	s_wait_loadcnt 0x2
	v_sub_nc_u64_e32 v[18:19], v[2:3], v[10:11]
	s_delay_alu instid0(VALU_DEP_1) | instskip(SKIP_2) | instid1(SALU_CYCLE_1)
	v_cmp_le_i64_e32 vcc_lo, v[38:39], v[18:19]
	v_cmp_ge_i64_e64 s0, s[2:3], v[18:19]
                                        ; implicit-def: $vgpr18_vgpr19_vgpr20_vgpr21_vgpr22_vgpr23_vgpr24_vgpr25
	s_and_b32 s0, vcc_lo, s0
	s_and_b32 s0, s24, s0
                                        ; implicit-def: $sgpr24_sgpr25
	s_delay_alu instid0(SALU_CYCLE_1)
	s_and_saveexec_b32 s45, s0
	s_cbranch_execz .LBB24_62
; %bb.4:
	s_add_nc_u64 s[0:1], s[14:15], s[22:23]
	v_cmp_lt_i64_e32 vcc_lo, 0, v[34:35]
	s_clause 0x1
	global_load_b128 v[22:25], v1, s[0:1] offset:16
	global_load_b128 v[18:21], v1, s[0:1]
	s_clause 0x1
	s_load_b32 s41, s[18:19], 0x18
	s_load_b64 s[24:25], s[18:19], 0xa0
	v_mov_b64_e32 v[26:27], 0
	s_wait_kmcnt 0x0
	s_add_co_i32 s26, s41, -1
	s_delay_alu instid0(SALU_CYCLE_1) | instskip(SKIP_1) | instid1(SALU_CYCLE_1)
	s_cmp_gt_i32 s26, -1
	s_cselect_b32 s0, -1, 0
	s_and_b32 s46, vcc_lo, s0
	s_delay_alu instid0(SALU_CYCLE_1)
	s_and_saveexec_b32 s42, s46
	s_cbranch_execz .LBB24_11
; %bb.5:
	s_wait_loadcnt 0x0
	v_mul_u64_e32 v[28:29], v[18:19], v[34:35]
	s_ashr_i32 s27, s26, 31
	v_mov_b64_e32 v[26:27], 0
	s_lshl_b64 s[0:1], s[26:27], 3
	v_mov_b32_e32 v18, 0
	s_add_nc_u64 s[0:1], s[18:19], s[0:1]
	s_mov_b64 s[28:29], 0xffffffff
	s_add_nc_u64 s[30:31], s[0:1], 32
	s_mov_b32 s1, 0
	s_mov_b32 s27, s41
	s_branch .LBB24_7
.LBB24_6:                               ;   in Loop: Header=BB24_7 Depth=1
	s_or_b32 exec_lo, exec_lo, s0
	s_delay_alu instid0(VALU_DEP_1)
	v_mul_u64_e32 v[48:49], s[34:35], v[46:47]
	s_load_b64 s[34:35], s[30:31], 0x40
	s_add_co_i32 s27, s27, -1
	s_wait_xcnt 0x0
	s_add_nc_u64 s[30:31], s[30:31], -8
	s_cmp_eq_u32 s27, 0
	s_delay_alu instid0(VALU_DEP_1) | instskip(SKIP_1) | instid1(VALU_DEP_1)
	v_sub_nc_u64_e32 v[28:29], v[28:29], v[48:49]
	s_wait_kmcnt 0x0
	v_mad_nc_u64_u32 v[26:27], v28, s34, v[26:27]
	s_delay_alu instid0(VALU_DEP_1) | instskip(NEXT) | instid1(VALU_DEP_1)
	v_mad_u32 v19, v29, s34, v27
	v_mad_u32 v27, v28, s35, v19
	v_mov_b64_e32 v[28:29], v[46:47]
	s_cbranch_scc1 .LBB24_11
.LBB24_7:                               ; =>This Inner Loop Header: Depth=1
	s_load_b64 s[34:35], s[30:31], 0x0
                                        ; implicit-def: $vgpr46_vgpr47
	s_mov_b32 s0, exec_lo
	s_wait_kmcnt 0x0
	s_delay_alu instid0(VALU_DEP_1) | instskip(NEXT) | instid1(VALU_DEP_1)
	v_or_b32_e32 v19, s35, v29
	v_cmpx_ne_u64_e32 0, v[18:19]
	s_xor_b32 s47, exec_lo, s0
	s_cbranch_execz .LBB24_9
; %bb.8:                                ;   in Loop: Header=BB24_7 Depth=1
	s_ashr_i32 s36, s35, 31
	v_dual_mov_b32 v51, v18 :: v_dual_ashrrev_i32 v46, 31, v29
	s_mov_b32 s37, s36
	v_mov_b32_e32 v59, v18
	s_add_nc_u64 s[38:39], s[34:35], s[36:37]
	s_delay_alu instid0(VALU_DEP_2) | instskip(SKIP_1) | instid1(SALU_CYCLE_1)
	v_mov_b32_e32 v47, v46
	s_xor_b64 s[38:39], s[38:39], s[36:37]
	s_cvt_f32_u32 s0, s38
	s_cvt_f32_u32 s37, s39
	s_sub_nc_u64 s[50:51], 0, s[38:39]
	v_add_nc_u64_e32 v[48:49], v[28:29], v[46:47]
	v_mov_b32_e32 v55, v18
	s_fmamk_f32 s0, s37, 0x4f800000, s0
	s_delay_alu instid0(SALU_CYCLE_3) | instskip(NEXT) | instid1(VALU_DEP_2)
	v_s_rcp_f32 s0, s0
	v_xor_b32_e32 v50, v48, v46
	s_delay_alu instid0(VALU_DEP_3) | instskip(NEXT) | instid1(TRANS32_DEP_1)
	v_xor_b32_e32 v54, v49, v46
	s_mul_f32 s0, s0, 0x5f7ffffc
	s_delay_alu instid0(SALU_CYCLE_3) | instskip(NEXT) | instid1(SALU_CYCLE_3)
	s_mul_f32 s37, s0, 0x2f800000
	s_trunc_f32 s37, s37
	s_delay_alu instid0(SALU_CYCLE_3) | instskip(SKIP_1) | instid1(SALU_CYCLE_2)
	s_fmamk_f32 s0, s37, 0xcf800000, s0
	s_cvt_u32_f32 s49, s37
	s_cvt_u32_f32 s48, s0
	s_delay_alu instid0(SALU_CYCLE_3) | instskip(NEXT) | instid1(SALU_CYCLE_1)
	s_mul_u64 s[52:53], s[50:51], s[48:49]
	s_mul_hi_u32 s55, s48, s53
	s_mul_i32 s54, s48, s53
	s_mul_hi_u32 s0, s48, s52
	s_mul_i32 s56, s49, s52
	s_add_nc_u64 s[54:55], s[0:1], s[54:55]
	s_mul_hi_u32 s37, s49, s52
	s_mul_hi_u32 s57, s49, s53
	s_add_co_u32 s0, s54, s56
	s_add_co_ci_u32 s0, s55, s37
	s_mul_i32 s52, s49, s53
	s_add_co_ci_u32 s53, s57, 0
	s_delay_alu instid0(SALU_CYCLE_1) | instskip(NEXT) | instid1(SALU_CYCLE_1)
	s_add_nc_u64 s[52:53], s[0:1], s[52:53]
	s_add_co_u32 s48, s48, s52
	s_cselect_b32 s0, -1, 0
	s_delay_alu instid0(SALU_CYCLE_1) | instskip(SKIP_1) | instid1(SALU_CYCLE_1)
	s_cmp_lg_u32 s0, 0
	s_add_co_ci_u32 s49, s49, s53
	s_mul_u64 s[50:51], s[50:51], s[48:49]
	s_delay_alu instid0(SALU_CYCLE_1)
	s_mul_hi_u32 s53, s48, s51
	s_mul_i32 s52, s48, s51
	s_mul_hi_u32 s0, s48, s50
	s_mul_i32 s54, s49, s50
	s_add_nc_u64 s[52:53], s[0:1], s[52:53]
	s_mul_hi_u32 s37, s49, s50
	s_mul_hi_u32 s55, s49, s51
	s_add_co_u32 s0, s52, s54
	s_add_co_ci_u32 s0, s53, s37
	s_mul_i32 s50, s49, s51
	s_add_co_ci_u32 s51, s55, 0
	s_delay_alu instid0(SALU_CYCLE_1) | instskip(NEXT) | instid1(SALU_CYCLE_1)
	s_add_nc_u64 s[50:51], s[0:1], s[50:51]
	s_add_co_u32 s48, s48, s50
	s_cselect_b32 s0, -1, 0
	v_mul_hi_u32 v58, v50, s48
	s_cmp_lg_u32 s0, 0
	s_add_co_ci_u32 s0, s49, s51
	s_and_b64 s[50:51], s[48:49], s[28:29]
	v_mul_u64_e32 v[52:53], s[0:1], v[50:51]
	v_mul_u64_e32 v[48:49], s[50:51], v[54:55]
	;; [unrolled: 1-line block ×3, first 2 shown]
	s_delay_alu instid0(VALU_DEP_3) | instskip(NEXT) | instid1(VALU_DEP_1)
	v_add_nc_u64_e32 v[52:53], v[58:59], v[52:53]
	v_add_co_u32 v19, vcc_lo, v52, v48
	s_delay_alu instid0(VALU_DEP_2) | instskip(NEXT) | instid1(VALU_DEP_4)
	v_add_co_ci_u32_e32 v58, vcc_lo, v53, v49, vcc_lo
	v_add_co_ci_u32_e32 v57, vcc_lo, 0, v57, vcc_lo
	s_delay_alu instid0(VALU_DEP_1) | instskip(NEXT) | instid1(VALU_DEP_1)
	v_add_nc_u64_e32 v[48:49], v[58:59], v[56:57]
	v_mul_u64_e32 v[52:53], s[38:39], v[48:49]
	s_delay_alu instid0(VALU_DEP_1) | instskip(NEXT) | instid1(VALU_DEP_2)
	v_sub_nc_u32_e32 v19, v54, v53
	v_sub_co_u32 v47, vcc_lo, v50, v52
	s_delay_alu instid0(VALU_DEP_1) | instskip(NEXT) | instid1(VALU_DEP_3)
	v_sub_co_ci_u32_e64 v54, null, v54, v53, vcc_lo
	v_subrev_co_ci_u32_e64 v19, null, s39, v19, vcc_lo
	s_delay_alu instid0(VALU_DEP_3) | instskip(SKIP_1) | instid1(VALU_DEP_3)
	v_sub_co_u32 v50, s0, v47, s38
	v_add_nc_u64_e32 v[52:53], 1, v[48:49]
	v_subrev_co_ci_u32_e64 v19, null, 0, v19, s0
	s_delay_alu instid0(VALU_DEP_3) | instskip(SKIP_1) | instid1(VALU_DEP_3)
	v_cmp_le_u32_e32 vcc_lo, s38, v50
	v_cndmask_b32_e64 v50, 0, -1, vcc_lo
	v_cmp_le_u32_e32 vcc_lo, s39, v19
	v_cndmask_b32_e64 v51, 0, -1, vcc_lo
	v_cmp_le_u32_e32 vcc_lo, s38, v47
	v_cndmask_b32_e64 v47, 0, -1, vcc_lo
	v_cmp_le_u32_e32 vcc_lo, s39, v54
	v_cndmask_b32_e64 v55, 0, -1, vcc_lo
	v_cmp_eq_u32_e32 vcc_lo, s39, v19
	v_cndmask_b32_e32 v19, v51, v50, vcc_lo
	v_cmp_eq_u32_e32 vcc_lo, s39, v54
	v_add_nc_u64_e32 v[50:51], 2, v[48:49]
	v_cndmask_b32_e32 v47, v55, v47, vcc_lo
	s_delay_alu instid0(VALU_DEP_4) | instskip(NEXT) | instid1(VALU_DEP_2)
	v_cmp_ne_u32_e32 vcc_lo, 0, v19
	v_cmp_ne_u32_e64 s0, 0, v47
	s_delay_alu instid0(VALU_DEP_4) | instskip(NEXT) | instid1(VALU_DEP_1)
	v_dual_cndmask_b32 v19, v53, v51, vcc_lo :: v_dual_cndmask_b32 v47, v52, v50, vcc_lo
	v_dual_cndmask_b32 v19, v49, v19, s0 :: v_dual_bitop2_b32 v46, s36, v46 bitop3:0x14
	s_delay_alu instid0(VALU_DEP_1) | instskip(NEXT) | instid1(VALU_DEP_2)
	v_dual_cndmask_b32 v48, v48, v47, s0 :: v_dual_mov_b32 v47, v46
	v_xor_b32_e32 v49, v19, v46
	s_delay_alu instid0(VALU_DEP_2) | instskip(NEXT) | instid1(VALU_DEP_1)
	v_xor_b32_e32 v48, v48, v46
	v_sub_nc_u64_e32 v[46:47], v[48:49], v[46:47]
.LBB24_9:                               ;   in Loop: Header=BB24_7 Depth=1
	s_and_not1_saveexec_b32 s0, s47
	s_cbranch_execz .LBB24_6
; %bb.10:                               ;   in Loop: Header=BB24_7 Depth=1
	v_cvt_f32_u32_e32 v19, s34
	s_sub_co_i32 s36, 0, s34
	s_delay_alu instid0(VALU_DEP_1) | instskip(SKIP_1) | instid1(TRANS32_DEP_1)
	v_rcp_iflag_f32_e32 v19, v19
	v_nop
	v_mul_f32_e32 v19, 0x4f7ffffe, v19
	s_delay_alu instid0(VALU_DEP_1) | instskip(NEXT) | instid1(VALU_DEP_1)
	v_cvt_u32_f32_e32 v19, v19
	v_mul_lo_u32 v46, s36, v19
	s_delay_alu instid0(VALU_DEP_1) | instskip(NEXT) | instid1(VALU_DEP_1)
	v_mul_hi_u32 v46, v19, v46
	v_add_nc_u32_e32 v19, v19, v46
	s_delay_alu instid0(VALU_DEP_1) | instskip(NEXT) | instid1(VALU_DEP_1)
	v_mul_hi_u32 v19, v28, v19
	v_mul_lo_u32 v46, v19, s34
	s_delay_alu instid0(VALU_DEP_1) | instskip(NEXT) | instid1(VALU_DEP_1)
	v_dual_add_nc_u32 v47, 1, v19 :: v_dual_sub_nc_u32 v46, v28, v46
	v_subrev_nc_u32_e32 v48, s34, v46
	v_cmp_le_u32_e32 vcc_lo, s34, v46
	s_delay_alu instid0(VALU_DEP_2) | instskip(NEXT) | instid1(VALU_DEP_1)
	v_dual_cndmask_b32 v46, v46, v48 :: v_dual_cndmask_b32 v19, v19, v47
	v_cmp_le_u32_e32 vcc_lo, s34, v46
	s_delay_alu instid0(VALU_DEP_2) | instskip(NEXT) | instid1(VALU_DEP_1)
	v_add_nc_u32_e32 v47, 1, v19
	v_dual_cndmask_b32 v46, v19, v47 :: v_dual_mov_b32 v47, v18
	s_branch .LBB24_6
.LBB24_11:
	s_or_b32 exec_lo, exec_lo, s42
	s_get_pc_i64 s[0:1]
	s_add_nc_u64 s[0:1], s[0:1], .str.4@rel64+4
	s_mov_b32 s27, -1
	s_cmp_lg_u64 s[0:1], 0
	s_mov_b32 s0, 0
	s_cselect_b32 s42, -1, 0
	s_mov_b32 s47, 0
	s_mov_b32 s1, exec_lo
	v_cmpx_gt_i64_e64 v[2:3], v[10:11]
	s_cbranch_execz .LBB24_17
; %bb.12:
	s_wait_loadcnt 0x0
	v_lshlrev_b64_e32 v[18:19], 3, v[26:27]
	s_mov_b32 s27, 0
	s_xor_b32 s29, s42, -1
                                        ; implicit-def: $sgpr28
                                        ; implicit-def: $sgpr31
                                        ; implicit-def: $sgpr30
	s_delay_alu instid0(VALU_DEP_1) | instskip(SKIP_1) | instid1(VALU_DEP_2)
	v_lshl_add_u64 v[10:11], v[10:11], 3, v[18:19]
	v_add_nc_u64_e32 v[18:19], s[24:25], v[18:19]
	v_add_nc_u64_e32 v[10:11], s[24:25], v[10:11]
	s_delay_alu instid0(VALU_DEP_2) | instskip(NEXT) | instid1(VALU_DEP_2)
	v_lshl_add_u64 v[2:3], v[2:3], 3, v[18:19]
	v_add_nc_u64_e32 v[10:11], 8, v[10:11]
	s_branch .LBB24_14
.LBB24_13:                              ;   in Loop: Header=BB24_14 Depth=1
	s_or_b32 exec_lo, exec_lo, s34
	s_delay_alu instid0(SALU_CYCLE_1) | instskip(NEXT) | instid1(SALU_CYCLE_1)
	s_and_b32 s34, exec_lo, s31
	s_or_b32 s27, s34, s27
	s_and_not1_b32 s28, s28, exec_lo
	s_and_b32 s34, s30, exec_lo
	s_delay_alu instid0(SALU_CYCLE_1)
	s_or_b32 s28, s28, s34
	s_and_not1_b32 exec_lo, exec_lo, s27
	s_cbranch_execz .LBB24_16
.LBB24_14:                              ; =>This Inner Loop Header: Depth=1
	s_or_b32 s30, s30, exec_lo
	s_or_b32 s31, s31, exec_lo
	s_mov_b32 s34, exec_lo
	s_delay_alu instid0(VALU_DEP_1)
	v_cmpx_lt_u64_e64 v[10:11], v[2:3]
	s_cbranch_execz .LBB24_13
; %bb.15:                               ;   in Loop: Header=BB24_14 Depth=1
	global_load_b128 v[26:29], v[10:11], off offset:-8
	s_wait_xcnt 0x0
	v_add_nc_u64_e32 v[10:11], 8, v[10:11]
	s_and_not1_b32 s31, s31, exec_lo
	s_and_not1_b32 s30, s30, exec_lo
	s_wait_loadcnt 0x0
	v_cmp_ge_i64_e32 vcc_lo, v[26:27], v[28:29]
	s_or_b32 s35, s29, vcc_lo
	s_delay_alu instid0(SALU_CYCLE_1) | instskip(NEXT) | instid1(SALU_CYCLE_1)
	s_and_b32 s35, s35, exec_lo
	s_or_b32 s31, s31, s35
	s_branch .LBB24_13
.LBB24_16:
	s_or_b32 exec_lo, exec_lo, s27
	s_delay_alu instid0(SALU_CYCLE_1)
	s_mov_b32 s47, exec_lo
	s_or_not1_b32 s27, s28, exec_lo
.LBB24_17:
	s_or_b32 exec_lo, exec_lo, s1
	s_mov_b32 s28, 0
	s_mov_b32 s29, 0
	;; [unrolled: 1-line block ×3, first 2 shown]
	s_and_saveexec_b32 s48, s27
	s_cbranch_execz .LBB24_61
; %bb.18:
	s_mov_b32 s0, -1
	s_mov_b32 s1, 0
	s_mov_b32 s27, 0
	s_mov_b32 s30, 0
	s_mov_b32 s49, exec_lo
	v_cmpx_eq_u64_e64 v[40:41], v[38:39]
	s_cbranch_execz .LBB24_60
; %bb.19:
	s_mov_b32 s1, -1
	s_mov_b32 s0, 0
	s_mov_b32 s50, exec_lo
	v_cmpx_eq_u64_e64 v[36:37], v[34:35]
	s_cbranch_execz .LBB24_59
; %bb.20:
	v_sub_nc_u64_e32 v[2:3], v[4:5], v[12:13]
	s_delay_alu instid0(VALU_DEP_1) | instskip(SKIP_2) | instid1(SALU_CYCLE_1)
	v_cmp_le_i64_e32 vcc_lo, v[38:39], v[2:3]
	v_cmp_ge_i64_e64 s0, s[2:3], v[2:3]
	s_and_b32 s0, vcc_lo, s0
	s_and_saveexec_b32 s51, s0
	s_cbranch_execz .LBB24_58
; %bb.21:
	v_mov_b64_e32 v[2:3], 0
	s_and_saveexec_b32 s52, s46
	s_cbranch_execz .LBB24_28
; %bb.22:
	s_wait_loadcnt 0x0
	v_mul_u64_e32 v[18:19], v[20:21], v[34:35]
	s_ashr_i32 s27, s26, 31
	v_mov_b64_e32 v[2:3], 0
	s_lshl_b64 s[0:1], s[26:27], 3
	v_mov_b32_e32 v10, 0
	s_add_nc_u64 s[0:1], s[18:19], s[0:1]
	s_mov_b64 s[28:29], 0xffffffff
	s_add_nc_u64 s[30:31], s[0:1], 32
	s_mov_b32 s1, 0
	s_mov_b32 s27, s41
	s_branch .LBB24_24
.LBB24_23:                              ;   in Loop: Header=BB24_24 Depth=1
	s_or_b32 exec_lo, exec_lo, s0
	s_delay_alu instid0(VALU_DEP_1)
	v_mul_u64_e32 v[26:27], s[34:35], v[20:21]
	s_load_b64 s[34:35], s[30:31], 0x40
	s_add_co_i32 s27, s27, -1
	s_wait_xcnt 0x0
	s_add_nc_u64 s[30:31], s[30:31], -8
	s_cmp_lg_u32 s27, 0
	s_delay_alu instid0(VALU_DEP_1) | instskip(SKIP_1) | instid1(VALU_DEP_1)
	v_sub_nc_u64_e32 v[18:19], v[18:19], v[26:27]
	s_wait_kmcnt 0x0
	v_mad_nc_u64_u32 v[2:3], v18, s34, v[2:3]
	s_delay_alu instid0(VALU_DEP_1) | instskip(NEXT) | instid1(VALU_DEP_1)
	v_mad_u32 v3, v19, s34, v3
	v_mad_u32 v3, v18, s35, v3
	v_mov_b64_e32 v[18:19], v[20:21]
	s_cbranch_scc0 .LBB24_28
.LBB24_24:                              ; =>This Inner Loop Header: Depth=1
	s_load_b64 s[34:35], s[30:31], 0x0
                                        ; implicit-def: $vgpr20_vgpr21
	s_mov_b32 s0, exec_lo
	s_wait_kmcnt 0x0
	s_delay_alu instid0(VALU_DEP_1) | instskip(NEXT) | instid1(VALU_DEP_1)
	v_or_b32_e32 v11, s35, v19
	v_cmpx_ne_u64_e32 0, v[10:11]
	s_xor_b32 s53, exec_lo, s0
	s_cbranch_execz .LBB24_26
; %bb.25:                               ;   in Loop: Header=BB24_24 Depth=1
	s_ashr_i32 s36, s35, 31
	v_dual_mov_b32 v29, v10 :: v_dual_ashrrev_i32 v20, 31, v19
	s_mov_b32 s37, s36
	s_delay_alu instid0(SALU_CYCLE_1) | instskip(NEXT) | instid1(VALU_DEP_1)
	s_add_nc_u64 s[38:39], s[34:35], s[36:37]
	v_mov_b32_e32 v21, v20
	s_xor_b64 s[38:39], s[38:39], s[36:37]
	s_delay_alu instid0(SALU_CYCLE_1)
	s_cvt_f32_u32 s0, s38
	s_cvt_f32_u32 s37, s39
	s_sub_nc_u64 s[56:57], 0, s[38:39]
	v_add_nc_u64_e32 v[26:27], v[18:19], v[20:21]
	v_mov_b32_e32 v41, v10
	s_fmamk_f32 s0, s37, 0x4f800000, s0
	s_delay_alu instid0(SALU_CYCLE_3) | instskip(NEXT) | instid1(VALU_DEP_2)
	v_s_rcp_f32 s0, s0
	v_xor_b32_e32 v28, v26, v20
	s_delay_alu instid0(VALU_DEP_3) | instskip(SKIP_1) | instid1(TRANS32_DEP_1)
	v_dual_mov_b32 v49, v10 :: v_dual_bitop2_b32 v40, v27, v20 bitop3:0x14
	v_xor_b32_e32 v20, s36, v20
	s_mul_f32 s0, s0, 0x5f7ffffc
	s_delay_alu instid0(SALU_CYCLE_3) | instskip(NEXT) | instid1(SALU_CYCLE_3)
	s_mul_f32 s37, s0, 0x2f800000
	s_trunc_f32 s37, s37
	s_delay_alu instid0(SALU_CYCLE_3) | instskip(SKIP_1) | instid1(SALU_CYCLE_2)
	s_fmamk_f32 s0, s37, 0xcf800000, s0
	s_cvt_u32_f32 s55, s37
	s_cvt_u32_f32 s54, s0
	s_delay_alu instid0(SALU_CYCLE_3) | instskip(NEXT) | instid1(SALU_CYCLE_1)
	s_mul_u64 s[58:59], s[56:57], s[54:55]
	s_mul_hi_u32 s61, s54, s59
	s_mul_i32 s60, s54, s59
	s_mul_hi_u32 s0, s54, s58
	s_mul_i32 s62, s55, s58
	s_add_nc_u64 s[60:61], s[0:1], s[60:61]
	s_mul_hi_u32 s37, s55, s58
	s_mul_hi_u32 s63, s55, s59
	s_add_co_u32 s0, s60, s62
	s_add_co_ci_u32 s0, s61, s37
	s_mul_i32 s58, s55, s59
	s_add_co_ci_u32 s59, s63, 0
	s_delay_alu instid0(SALU_CYCLE_1) | instskip(NEXT) | instid1(SALU_CYCLE_1)
	s_add_nc_u64 s[58:59], s[0:1], s[58:59]
	s_add_co_u32 s54, s54, s58
	s_cselect_b32 s0, -1, 0
	s_delay_alu instid0(SALU_CYCLE_1) | instskip(SKIP_1) | instid1(SALU_CYCLE_1)
	s_cmp_lg_u32 s0, 0
	s_add_co_ci_u32 s55, s55, s59
	s_mul_u64 s[56:57], s[56:57], s[54:55]
	s_delay_alu instid0(SALU_CYCLE_1)
	s_mul_hi_u32 s59, s54, s57
	s_mul_i32 s58, s54, s57
	s_mul_hi_u32 s0, s54, s56
	s_mul_i32 s60, s55, s56
	s_add_nc_u64 s[58:59], s[0:1], s[58:59]
	s_mul_hi_u32 s37, s55, s56
	s_mul_hi_u32 s61, s55, s57
	s_add_co_u32 s0, s58, s60
	s_add_co_ci_u32 s0, s59, s37
	s_mul_i32 s56, s55, s57
	s_add_co_ci_u32 s57, s61, 0
	s_delay_alu instid0(SALU_CYCLE_1) | instskip(NEXT) | instid1(SALU_CYCLE_1)
	s_add_nc_u64 s[56:57], s[0:1], s[56:57]
	s_add_co_u32 s54, s54, s56
	s_cselect_b32 s0, -1, 0
	v_mul_hi_u32 v48, v28, s54
	s_cmp_lg_u32 s0, 0
	s_add_co_ci_u32 s0, s55, s57
	s_and_b64 s[56:57], s[54:55], s[28:29]
	v_mul_u64_e32 v[36:37], s[0:1], v[28:29]
	v_mul_u64_e32 v[26:27], s[56:57], v[40:41]
	;; [unrolled: 1-line block ×3, first 2 shown]
	s_delay_alu instid0(VALU_DEP_3) | instskip(NEXT) | instid1(VALU_DEP_1)
	v_add_nc_u64_e32 v[36:37], v[48:49], v[36:37]
	v_add_co_u32 v11, vcc_lo, v36, v26
	s_delay_alu instid0(VALU_DEP_2) | instskip(NEXT) | instid1(VALU_DEP_4)
	v_add_co_ci_u32_e32 v48, vcc_lo, v37, v27, vcc_lo
	v_add_co_ci_u32_e32 v47, vcc_lo, 0, v47, vcc_lo
	s_delay_alu instid0(VALU_DEP_1) | instskip(NEXT) | instid1(VALU_DEP_1)
	v_add_nc_u64_e32 v[26:27], v[48:49], v[46:47]
	v_mul_u64_e32 v[36:37], s[38:39], v[26:27]
	s_delay_alu instid0(VALU_DEP_1) | instskip(NEXT) | instid1(VALU_DEP_2)
	v_sub_nc_u32_e32 v11, v40, v37
	v_sub_co_u32 v21, vcc_lo, v28, v36
	s_delay_alu instid0(VALU_DEP_1) | instskip(NEXT) | instid1(VALU_DEP_3)
	v_sub_co_ci_u32_e64 v40, null, v40, v37, vcc_lo
	v_subrev_co_ci_u32_e64 v11, null, s39, v11, vcc_lo
	s_delay_alu instid0(VALU_DEP_3) | instskip(SKIP_1) | instid1(VALU_DEP_3)
	v_sub_co_u32 v28, s0, v21, s38
	v_add_nc_u64_e32 v[36:37], 1, v[26:27]
	v_subrev_co_ci_u32_e64 v11, null, 0, v11, s0
	s_delay_alu instid0(VALU_DEP_3) | instskip(SKIP_1) | instid1(VALU_DEP_3)
	v_cmp_le_u32_e32 vcc_lo, s38, v28
	v_cndmask_b32_e64 v28, 0, -1, vcc_lo
	v_cmp_le_u32_e32 vcc_lo, s39, v11
	v_cndmask_b32_e64 v29, 0, -1, vcc_lo
	;; [unrolled: 2-line block ×4, first 2 shown]
	v_cmp_eq_u32_e32 vcc_lo, s39, v11
	v_cndmask_b32_e32 v11, v29, v28, vcc_lo
	v_cmp_eq_u32_e32 vcc_lo, s39, v40
	v_add_nc_u64_e32 v[28:29], 2, v[26:27]
	v_cndmask_b32_e32 v21, v41, v21, vcc_lo
	s_delay_alu instid0(VALU_DEP_4) | instskip(NEXT) | instid1(VALU_DEP_2)
	v_cmp_ne_u32_e32 vcc_lo, 0, v11
	v_cmp_ne_u32_e64 s0, 0, v21
	s_delay_alu instid0(VALU_DEP_4) | instskip(NEXT) | instid1(VALU_DEP_1)
	v_dual_cndmask_b32 v11, v37, v29, vcc_lo :: v_dual_cndmask_b32 v21, v36, v28, vcc_lo
	v_dual_cndmask_b32 v26, v26, v21, s0 :: v_dual_mov_b32 v21, v20
	s_delay_alu instid0(VALU_DEP_1) | instskip(NEXT) | instid1(VALU_DEP_1)
	v_dual_cndmask_b32 v11, v27, v11, s0 :: v_dual_bitop2_b32 v26, v26, v20 bitop3:0x14
	v_xor_b32_e32 v27, v11, v20
	s_delay_alu instid0(VALU_DEP_1)
	v_sub_nc_u64_e32 v[20:21], v[26:27], v[20:21]
.LBB24_26:                              ;   in Loop: Header=BB24_24 Depth=1
	s_and_not1_saveexec_b32 s0, s53
	s_cbranch_execz .LBB24_23
; %bb.27:                               ;   in Loop: Header=BB24_24 Depth=1
	v_cvt_f32_u32_e32 v11, s34
	s_sub_co_i32 s36, 0, s34
	s_delay_alu instid0(VALU_DEP_1) | instskip(SKIP_1) | instid1(TRANS32_DEP_1)
	v_rcp_iflag_f32_e32 v11, v11
	v_nop
	v_mul_f32_e32 v11, 0x4f7ffffe, v11
	s_delay_alu instid0(VALU_DEP_1) | instskip(NEXT) | instid1(VALU_DEP_1)
	v_cvt_u32_f32_e32 v11, v11
	v_mul_lo_u32 v20, s36, v11
	s_delay_alu instid0(VALU_DEP_1) | instskip(NEXT) | instid1(VALU_DEP_1)
	v_mul_hi_u32 v20, v11, v20
	v_add_nc_u32_e32 v11, v11, v20
	s_delay_alu instid0(VALU_DEP_1) | instskip(NEXT) | instid1(VALU_DEP_1)
	v_mul_hi_u32 v11, v18, v11
	v_mul_lo_u32 v20, v11, s34
	s_delay_alu instid0(VALU_DEP_1) | instskip(NEXT) | instid1(VALU_DEP_1)
	v_dual_add_nc_u32 v21, 1, v11 :: v_dual_sub_nc_u32 v20, v18, v20
	v_subrev_nc_u32_e32 v26, s34, v20
	v_cmp_le_u32_e32 vcc_lo, s34, v20
	s_delay_alu instid0(VALU_DEP_2) | instskip(NEXT) | instid1(VALU_DEP_1)
	v_dual_cndmask_b32 v20, v20, v26 :: v_dual_cndmask_b32 v11, v11, v21
	v_cmp_le_u32_e32 vcc_lo, s34, v20
	s_delay_alu instid0(VALU_DEP_2) | instskip(NEXT) | instid1(VALU_DEP_1)
	v_add_nc_u32_e32 v21, 1, v11
	v_dual_cndmask_b32 v20, v11, v21 :: v_dual_mov_b32 v21, v10
	s_branch .LBB24_23
.LBB24_28:
	s_or_b32 exec_lo, exec_lo, s52
	s_mov_b32 s30, -1
	s_mov_b32 s0, 0
	s_mov_b32 s52, 0
	s_mov_b32 s1, exec_lo
	v_cmpx_gt_i64_e64 v[4:5], v[12:13]
	s_cbranch_execz .LBB24_34
; %bb.29:
	s_delay_alu instid0(VALU_DEP_2) | instskip(SKIP_2) | instid1(VALU_DEP_1)
	v_lshlrev_b64_e32 v[2:3], 3, v[2:3]
	s_mov_b32 s27, 0
	s_xor_b32 s29, s42, -1
                                        ; implicit-def: $sgpr28
                                        ; implicit-def: $sgpr31
                                        ; implicit-def: $sgpr30
	v_lshl_add_u64 v[10:11], v[12:13], 3, v[2:3]
	v_add_nc_u64_e32 v[12:13], s[24:25], v[2:3]
	s_delay_alu instid0(VALU_DEP_2) | instskip(NEXT) | instid1(VALU_DEP_2)
	v_add_nc_u64_e32 v[10:11], s[24:25], v[10:11]
	v_lshl_add_u64 v[4:5], v[4:5], 3, v[12:13]
	s_delay_alu instid0(VALU_DEP_2)
	v_add_nc_u64_e32 v[2:3], 8, v[10:11]
	s_branch .LBB24_31
.LBB24_30:                              ;   in Loop: Header=BB24_31 Depth=1
	s_or_b32 exec_lo, exec_lo, s34
	s_delay_alu instid0(SALU_CYCLE_1) | instskip(NEXT) | instid1(SALU_CYCLE_1)
	s_and_b32 s34, exec_lo, s31
	s_or_b32 s27, s34, s27
	s_and_not1_b32 s28, s28, exec_lo
	s_and_b32 s34, s30, exec_lo
	s_delay_alu instid0(SALU_CYCLE_1)
	s_or_b32 s28, s28, s34
	s_and_not1_b32 exec_lo, exec_lo, s27
	s_cbranch_execz .LBB24_33
.LBB24_31:                              ; =>This Inner Loop Header: Depth=1
	s_or_b32 s30, s30, exec_lo
	s_or_b32 s31, s31, exec_lo
	s_mov_b32 s34, exec_lo
	s_delay_alu instid0(VALU_DEP_1)
	v_cmpx_lt_u64_e64 v[2:3], v[4:5]
	s_cbranch_execz .LBB24_30
; %bb.32:                               ;   in Loop: Header=BB24_31 Depth=1
	global_load_b128 v[10:13], v[2:3], off offset:-8
	s_and_not1_b32 s31, s31, exec_lo
	s_wait_xcnt 0x0
	v_add_nc_u64_e32 v[2:3], 8, v[2:3]
	s_and_not1_b32 s30, s30, exec_lo
	s_wait_loadcnt 0x0
	v_cmp_ge_i64_e32 vcc_lo, v[10:11], v[12:13]
	s_or_b32 s35, s29, vcc_lo
	s_delay_alu instid0(SALU_CYCLE_1) | instskip(NEXT) | instid1(SALU_CYCLE_1)
	s_and_b32 s35, s35, exec_lo
	s_or_b32 s31, s31, s35
	s_branch .LBB24_30
.LBB24_33:
	s_or_b32 exec_lo, exec_lo, s27
	s_delay_alu instid0(SALU_CYCLE_1)
	s_mov_b32 s52, exec_lo
	s_or_not1_b32 s30, s28, exec_lo
.LBB24_34:
	s_or_b32 exec_lo, exec_lo, s1
	s_mov_b32 s27, 0
	s_mov_b32 s28, 0
	;; [unrolled: 1-line block ×3, first 2 shown]
	s_and_saveexec_b32 s53, s30
	s_cbranch_execz .LBB24_57
; %bb.35:
	s_mov_b32 s0, -1
	s_mov_b32 s1, 0
	s_mov_b32 s30, 0
	s_mov_b32 s54, exec_lo
	v_cmpx_eq_u64_e64 v[42:43], v[38:39]
	s_cbranch_execz .LBB24_56
; %bb.36:
	s_mov_b32 s1, -1
	s_mov_b32 s0, 0
	s_mov_b32 s55, exec_lo
	v_cmpx_eq_u64_e64 v[30:31], v[34:35]
	s_cbranch_execz .LBB24_55
; %bb.37:
	s_wait_loadcnt 0x2
	v_sub_nc_u64_e32 v[2:3], v[6:7], v[14:15]
	s_delay_alu instid0(VALU_DEP_1) | instskip(SKIP_2) | instid1(SALU_CYCLE_1)
	v_cmp_le_i64_e32 vcc_lo, v[38:39], v[2:3]
	v_cmp_ge_i64_e64 s0, s[2:3], v[2:3]
	s_and_b32 s0, vcc_lo, s0
	s_and_saveexec_b32 s56, s0
	s_cbranch_execz .LBB24_54
; %bb.38:
	v_mov_b64_e32 v[2:3], 0
	s_and_saveexec_b32 s57, s46
	s_cbranch_execz .LBB24_45
; %bb.39:
	s_wait_loadcnt 0x1
	v_mul_u64_e32 v[10:11], v[22:23], v[34:35]
	s_ashr_i32 s27, s26, 31
	v_mov_b64_e32 v[2:3], 0
	s_lshl_b64 s[0:1], s[26:27], 3
	v_mov_b32_e32 v4, 0
	s_add_nc_u64 s[0:1], s[18:19], s[0:1]
	s_mov_b64 s[28:29], 0xffffffff
	s_add_nc_u64 s[30:31], s[0:1], 32
	s_mov_b32 s1, 0
	s_mov_b32 s27, s41
	s_branch .LBB24_41
.LBB24_40:                              ;   in Loop: Header=BB24_41 Depth=1
	s_or_b32 exec_lo, exec_lo, s0
	s_wait_loadcnt 0x0
	s_delay_alu instid0(VALU_DEP_1)
	v_mul_u64_e32 v[18:19], s[34:35], v[12:13]
	s_load_b64 s[34:35], s[30:31], 0x40
	s_add_co_i32 s27, s27, -1
	s_wait_xcnt 0x0
	s_add_nc_u64 s[30:31], s[30:31], -8
	s_cmp_lg_u32 s27, 0
	s_delay_alu instid0(VALU_DEP_1) | instskip(SKIP_1) | instid1(VALU_DEP_1)
	v_sub_nc_u64_e32 v[10:11], v[10:11], v[18:19]
	s_wait_kmcnt 0x0
	v_mad_nc_u64_u32 v[2:3], v10, s34, v[2:3]
	s_delay_alu instid0(VALU_DEP_1) | instskip(NEXT) | instid1(VALU_DEP_1)
	v_mad_u32 v3, v11, s34, v3
	v_mad_u32 v3, v10, s35, v3
	v_mov_b64_e32 v[10:11], v[12:13]
	s_cbranch_scc0 .LBB24_45
.LBB24_41:                              ; =>This Inner Loop Header: Depth=1
	s_load_b64 s[34:35], s[30:31], 0x0
                                        ; implicit-def: $vgpr12_vgpr13
	s_mov_b32 s0, exec_lo
	s_wait_kmcnt 0x0
	s_delay_alu instid0(VALU_DEP_1) | instskip(NEXT) | instid1(VALU_DEP_1)
	v_or_b32_e32 v5, s35, v11
	v_cmpx_ne_u64_e32 0, v[4:5]
	s_xor_b32 s58, exec_lo, s0
	s_cbranch_execz .LBB24_43
; %bb.42:                               ;   in Loop: Header=BB24_41 Depth=1
	s_ashr_i32 s36, s35, 31
	s_wait_loadcnt 0x0
	v_dual_mov_b32 v21, v4 :: v_dual_ashrrev_i32 v12, 31, v11
	s_mov_b32 s37, s36
	s_delay_alu instid0(SALU_CYCLE_1) | instskip(NEXT) | instid1(VALU_DEP_1)
	s_add_nc_u64 s[38:39], s[34:35], s[36:37]
	v_mov_b32_e32 v13, v12
	s_xor_b64 s[38:39], s[38:39], s[36:37]
	s_delay_alu instid0(SALU_CYCLE_1)
	s_cvt_f32_u32 s0, s38
	s_cvt_f32_u32 s37, s39
	s_sub_nc_u64 s[62:63], 0, s[38:39]
	v_add_nc_u64_e32 v[18:19], v[10:11], v[12:13]
	v_mov_b32_e32 v27, v4
	s_fmamk_f32 s0, s37, 0x4f800000, s0
	s_delay_alu instid0(SALU_CYCLE_3) | instskip(NEXT) | instid1(VALU_DEP_2)
	v_s_rcp_f32 s0, s0
	v_xor_b32_e32 v20, v18, v12
	s_delay_alu instid0(VALU_DEP_3) | instskip(NEXT) | instid1(TRANS32_DEP_1)
	v_dual_mov_b32 v31, v4 :: v_dual_bitop2_b32 v26, v19, v12 bitop3:0x14
	s_mul_f32 s0, s0, 0x5f7ffffc
	s_delay_alu instid0(SALU_CYCLE_3) | instskip(NEXT) | instid1(SALU_CYCLE_3)
	s_mul_f32 s37, s0, 0x2f800000
	s_trunc_f32 s37, s37
	s_delay_alu instid0(SALU_CYCLE_3) | instskip(SKIP_1) | instid1(SALU_CYCLE_2)
	s_fmamk_f32 s0, s37, 0xcf800000, s0
	s_cvt_u32_f32 s61, s37
	s_cvt_u32_f32 s60, s0
	s_delay_alu instid0(SALU_CYCLE_3) | instskip(NEXT) | instid1(SALU_CYCLE_1)
	s_mul_u64 s[64:65], s[62:63], s[60:61]
	s_mul_hi_u32 s67, s60, s65
	s_mul_i32 s66, s60, s65
	s_mul_hi_u32 s0, s60, s64
	s_mul_i32 s59, s61, s64
	s_add_nc_u64 s[66:67], s[0:1], s[66:67]
	s_mul_hi_u32 s37, s61, s64
	s_mul_hi_u32 s68, s61, s65
	s_add_co_u32 s0, s66, s59
	s_add_co_ci_u32 s0, s67, s37
	s_mul_i32 s64, s61, s65
	s_add_co_ci_u32 s65, s68, 0
	s_delay_alu instid0(SALU_CYCLE_1) | instskip(NEXT) | instid1(SALU_CYCLE_1)
	s_add_nc_u64 s[64:65], s[0:1], s[64:65]
	s_add_co_u32 s60, s60, s64
	s_cselect_b32 s0, -1, 0
	s_delay_alu instid0(SALU_CYCLE_1) | instskip(SKIP_1) | instid1(SALU_CYCLE_1)
	s_cmp_lg_u32 s0, 0
	s_add_co_ci_u32 s61, s61, s65
	s_mul_u64 s[62:63], s[62:63], s[60:61]
	s_delay_alu instid0(SALU_CYCLE_1)
	s_mul_hi_u32 s65, s60, s63
	s_mul_i32 s64, s60, s63
	s_mul_hi_u32 s0, s60, s62
	s_mul_i32 s59, s61, s62
	s_add_nc_u64 s[64:65], s[0:1], s[64:65]
	s_mul_hi_u32 s37, s61, s62
	s_mul_hi_u32 s66, s61, s63
	s_add_co_u32 s0, s64, s59
	s_add_co_ci_u32 s0, s65, s37
	s_mul_i32 s62, s61, s63
	s_add_co_ci_u32 s63, s66, 0
	s_delay_alu instid0(SALU_CYCLE_1) | instskip(NEXT) | instid1(SALU_CYCLE_1)
	s_add_nc_u64 s[62:63], s[0:1], s[62:63]
	s_add_co_u32 s60, s60, s62
	s_cselect_b32 s0, -1, 0
	v_mul_hi_u32 v30, v20, s60
	s_cmp_lg_u32 s0, 0
	s_add_co_ci_u32 s0, s61, s63
	s_and_b64 s[62:63], s[60:61], s[28:29]
	v_mul_u64_e32 v[22:23], s[0:1], v[20:21]
	v_mul_u64_e32 v[18:19], s[62:63], v[26:27]
	;; [unrolled: 1-line block ×3, first 2 shown]
	s_delay_alu instid0(VALU_DEP_3) | instskip(NEXT) | instid1(VALU_DEP_1)
	v_add_nc_u64_e32 v[22:23], v[30:31], v[22:23]
	v_add_co_u32 v5, vcc_lo, v22, v18
	s_delay_alu instid0(VALU_DEP_2) | instskip(NEXT) | instid1(VALU_DEP_4)
	v_add_co_ci_u32_e32 v30, vcc_lo, v23, v19, vcc_lo
	v_add_co_ci_u32_e32 v29, vcc_lo, 0, v29, vcc_lo
	s_delay_alu instid0(VALU_DEP_1) | instskip(NEXT) | instid1(VALU_DEP_1)
	v_add_nc_u64_e32 v[18:19], v[30:31], v[28:29]
	v_mul_u64_e32 v[22:23], s[38:39], v[18:19]
	s_delay_alu instid0(VALU_DEP_1) | instskip(NEXT) | instid1(VALU_DEP_2)
	v_sub_nc_u32_e32 v5, v26, v23
	v_sub_co_u32 v13, vcc_lo, v20, v22
	s_delay_alu instid0(VALU_DEP_1) | instskip(NEXT) | instid1(VALU_DEP_3)
	v_sub_co_ci_u32_e64 v26, null, v26, v23, vcc_lo
	v_subrev_co_ci_u32_e64 v5, null, s39, v5, vcc_lo
	s_delay_alu instid0(VALU_DEP_3) | instskip(SKIP_1) | instid1(VALU_DEP_3)
	v_sub_co_u32 v20, s0, v13, s38
	v_add_nc_u64_e32 v[22:23], 1, v[18:19]
	v_subrev_co_ci_u32_e64 v5, null, 0, v5, s0
	s_delay_alu instid0(VALU_DEP_3) | instskip(SKIP_1) | instid1(VALU_DEP_3)
	v_cmp_le_u32_e32 vcc_lo, s38, v20
	v_cndmask_b32_e64 v20, 0, -1, vcc_lo
	v_cmp_le_u32_e32 vcc_lo, s39, v5
	v_cndmask_b32_e64 v21, 0, -1, vcc_lo
	;; [unrolled: 2-line block ×4, first 2 shown]
	v_cmp_eq_u32_e32 vcc_lo, s39, v5
	v_cndmask_b32_e32 v5, v21, v20, vcc_lo
	v_cmp_eq_u32_e32 vcc_lo, s39, v26
	v_add_nc_u64_e32 v[20:21], 2, v[18:19]
	v_cndmask_b32_e32 v13, v27, v13, vcc_lo
	s_delay_alu instid0(VALU_DEP_4) | instskip(NEXT) | instid1(VALU_DEP_2)
	v_cmp_ne_u32_e32 vcc_lo, 0, v5
	v_cmp_ne_u32_e64 s0, 0, v13
	s_delay_alu instid0(VALU_DEP_4) | instskip(NEXT) | instid1(VALU_DEP_1)
	v_dual_cndmask_b32 v5, v23, v21, vcc_lo :: v_dual_cndmask_b32 v13, v22, v20, vcc_lo
	v_dual_cndmask_b32 v5, v19, v5, s0 :: v_dual_bitop2_b32 v12, s36, v12 bitop3:0x14
	s_delay_alu instid0(VALU_DEP_1) | instskip(NEXT) | instid1(VALU_DEP_2)
	v_dual_cndmask_b32 v18, v18, v13, s0 :: v_dual_mov_b32 v13, v12
	v_xor_b32_e32 v19, v5, v12
	s_delay_alu instid0(VALU_DEP_2) | instskip(NEXT) | instid1(VALU_DEP_1)
	v_xor_b32_e32 v18, v18, v12
	v_sub_nc_u64_e32 v[12:13], v[18:19], v[12:13]
.LBB24_43:                              ;   in Loop: Header=BB24_41 Depth=1
	s_and_not1_saveexec_b32 s0, s58
	s_cbranch_execz .LBB24_40
; %bb.44:                               ;   in Loop: Header=BB24_41 Depth=1
	v_cvt_f32_u32_e32 v5, s34
	s_sub_co_i32 s36, 0, s34
	s_delay_alu instid0(VALU_DEP_1) | instskip(SKIP_1) | instid1(TRANS32_DEP_1)
	v_rcp_iflag_f32_e32 v5, v5
	v_nop
	v_mul_f32_e32 v5, 0x4f7ffffe, v5
	s_delay_alu instid0(VALU_DEP_1) | instskip(NEXT) | instid1(VALU_DEP_1)
	v_cvt_u32_f32_e32 v5, v5
	v_mul_lo_u32 v12, s36, v5
	s_delay_alu instid0(VALU_DEP_1) | instskip(NEXT) | instid1(VALU_DEP_1)
	v_mul_hi_u32 v12, v5, v12
	v_add_nc_u32_e32 v5, v5, v12
	s_delay_alu instid0(VALU_DEP_1) | instskip(NEXT) | instid1(VALU_DEP_1)
	v_mul_hi_u32 v5, v10, v5
	v_mul_lo_u32 v12, v5, s34
	s_delay_alu instid0(VALU_DEP_1) | instskip(SKIP_1) | instid1(VALU_DEP_1)
	v_dual_add_nc_u32 v13, 1, v5 :: v_dual_sub_nc_u32 v12, v10, v12
	s_wait_loadcnt 0x0
	v_subrev_nc_u32_e32 v18, s34, v12
	v_cmp_le_u32_e32 vcc_lo, s34, v12
	s_delay_alu instid0(VALU_DEP_2) | instskip(NEXT) | instid1(VALU_DEP_1)
	v_dual_cndmask_b32 v12, v12, v18 :: v_dual_cndmask_b32 v5, v5, v13
	v_cmp_le_u32_e32 vcc_lo, s34, v12
	s_delay_alu instid0(VALU_DEP_2) | instskip(NEXT) | instid1(VALU_DEP_1)
	v_add_nc_u32_e32 v13, 1, v5
	v_dual_cndmask_b32 v12, v5, v13 :: v_dual_mov_b32 v13, v4
	s_branch .LBB24_40
.LBB24_45:
	s_or_b32 exec_lo, exec_lo, s57
	s_mov_b32 s29, -1
	s_mov_b32 s0, 0
	s_mov_b32 s27, 0
	s_mov_b32 s1, exec_lo
	v_cmpx_gt_i64_e64 v[6:7], v[14:15]
	s_cbranch_execz .LBB24_51
; %bb.46:
	s_delay_alu instid0(VALU_DEP_2) | instskip(SKIP_1) | instid1(VALU_DEP_1)
	v_lshlrev_b64_e32 v[2:3], 3, v[2:3]
	s_xor_b32 s29, s42, -1
                                        ; implicit-def: $sgpr28
                                        ; implicit-def: $sgpr31
                                        ; implicit-def: $sgpr30
	v_lshl_add_u64 v[4:5], v[14:15], 3, v[2:3]
	v_add_nc_u64_e32 v[10:11], s[24:25], v[2:3]
	s_delay_alu instid0(VALU_DEP_2) | instskip(NEXT) | instid1(VALU_DEP_1)
	v_add_nc_u64_e32 v[4:5], s[24:25], v[4:5]
	v_add_nc_u64_e32 v[2:3], 8, v[4:5]
	s_delay_alu instid0(VALU_DEP_3)
	v_lshl_add_u64 v[4:5], v[6:7], 3, v[10:11]
	s_branch .LBB24_48
.LBB24_47:                              ;   in Loop: Header=BB24_48 Depth=1
	s_or_b32 exec_lo, exec_lo, s34
	s_delay_alu instid0(SALU_CYCLE_1) | instskip(NEXT) | instid1(SALU_CYCLE_1)
	s_and_b32 s34, exec_lo, s31
	s_or_b32 s27, s34, s27
	s_and_not1_b32 s28, s28, exec_lo
	s_and_b32 s34, s30, exec_lo
	s_delay_alu instid0(SALU_CYCLE_1)
	s_or_b32 s28, s28, s34
	s_and_not1_b32 exec_lo, exec_lo, s27
	s_cbranch_execz .LBB24_50
.LBB24_48:                              ; =>This Inner Loop Header: Depth=1
	s_or_b32 s30, s30, exec_lo
	s_or_b32 s31, s31, exec_lo
	s_mov_b32 s34, exec_lo
	s_delay_alu instid0(VALU_DEP_2)
	v_cmpx_lt_u64_e64 v[2:3], v[4:5]
	s_cbranch_execz .LBB24_47
; %bb.49:                               ;   in Loop: Header=BB24_48 Depth=1
	global_load_b128 v[10:13], v[2:3], off offset:-8
	s_and_not1_b32 s31, s31, exec_lo
	s_wait_xcnt 0x0
	v_add_nc_u64_e32 v[2:3], 8, v[2:3]
	s_and_not1_b32 s30, s30, exec_lo
	s_wait_loadcnt 0x0
	v_cmp_ge_i64_e32 vcc_lo, v[10:11], v[12:13]
	s_or_b32 s35, s29, vcc_lo
	s_delay_alu instid0(SALU_CYCLE_1) | instskip(NEXT) | instid1(SALU_CYCLE_1)
	s_and_b32 s35, s35, exec_lo
	s_or_b32 s31, s31, s35
	s_branch .LBB24_47
.LBB24_50:
	s_or_b32 exec_lo, exec_lo, s27
	s_delay_alu instid0(SALU_CYCLE_1)
	s_mov_b32 s27, exec_lo
	s_or_not1_b32 s29, s28, exec_lo
.LBB24_51:
	s_or_b32 exec_lo, exec_lo, s1
	s_mov_b32 s28, 0
	s_and_saveexec_b32 s1, s29
	s_delay_alu instid0(SALU_CYCLE_1)
	s_xor_b32 s1, exec_lo, s1
; %bb.52:
	v_cmp_ne_u64_e32 vcc_lo, v[44:45], v[38:39]
	s_mov_b32 s28, exec_lo
	s_and_not1_b32 s27, s27, exec_lo
	s_and_b32 s0, vcc_lo, exec_lo
; %bb.53:
	s_or_b32 exec_lo, exec_lo, s1
	s_delay_alu instid0(SALU_CYCLE_1)
	s_and_b32 s29, s27, exec_lo
	s_xor_b32 s1, exec_lo, -1
	s_and_b32 s27, s28, exec_lo
	s_and_b32 s28, s0, exec_lo
.LBB24_54:
	s_or_b32 exec_lo, exec_lo, s56
	s_delay_alu instid0(SALU_CYCLE_1)
	s_and_b32 s30, s29, exec_lo
	s_and_b32 s29, s1, exec_lo
	s_xor_b32 s1, exec_lo, -1
	s_and_b32 s27, s27, exec_lo
	s_and_b32 s0, s28, exec_lo
.LBB24_55:
	s_or_b32 exec_lo, exec_lo, s55
	s_delay_alu instid0(SALU_CYCLE_1)
	s_and_b32 s30, s30, exec_lo
	s_and_b32 s29, s29, exec_lo
	;; [unrolled: 1-line block ×4, first 2 shown]
	s_or_not1_b32 s0, s0, exec_lo
.LBB24_56:
	s_or_b32 exec_lo, exec_lo, s54
	s_delay_alu instid0(SALU_CYCLE_1)
	s_and_not1_b32 s27, s52, exec_lo
	s_and_b32 s30, s30, exec_lo
	s_and_b32 s29, s29, exec_lo
	s_or_b32 s52, s27, s30
	s_and_b32 s28, s28, exec_lo
	s_and_b32 s27, s1, exec_lo
	;; [unrolled: 1-line block ×3, first 2 shown]
.LBB24_57:
	s_or_b32 exec_lo, exec_lo, s53
	s_delay_alu instid0(SALU_CYCLE_1)
	s_and_b32 s30, s52, exec_lo
	s_or_not1_b32 s1, s29, exec_lo
	s_and_b32 s29, s28, exec_lo
	s_and_b32 s28, s27, exec_lo
	;; [unrolled: 1-line block ×3, first 2 shown]
.LBB24_58:
	s_or_b32 exec_lo, exec_lo, s51
	s_delay_alu instid0(SALU_CYCLE_1)
	s_and_b32 s30, s30, exec_lo
	s_and_b32 s31, s1, exec_lo
	s_or_not1_b32 s1, s29, exec_lo
	s_and_b32 s28, s28, exec_lo
	s_and_b32 s0, s27, exec_lo
.LBB24_59:
	s_or_b32 exec_lo, exec_lo, s50
	s_delay_alu instid0(SALU_CYCLE_1)
	s_and_b32 s30, s30, exec_lo
	s_and_b32 s29, s31, exec_lo
	;; [unrolled: 1-line block ×4, first 2 shown]
	s_or_not1_b32 s0, s0, exec_lo
.LBB24_60:
	s_or_b32 exec_lo, exec_lo, s49
	s_delay_alu instid0(SALU_CYCLE_1)
	s_and_not1_b32 s28, s47, exec_lo
	s_and_b32 s30, s30, exec_lo
	s_and_b32 s31, s29, exec_lo
	s_or_b32 s47, s28, s30
	s_and_b32 s29, s27, exec_lo
	s_and_b32 s28, s1, exec_lo
	;; [unrolled: 1-line block ×3, first 2 shown]
.LBB24_61:
	s_or_b32 exec_lo, exec_lo, s48
	s_delay_alu instid0(SALU_CYCLE_1)
	s_and_b32 s30, s46, exec_lo
	s_and_b32 s27, s47, exec_lo
	s_or_not1_b32 s1, s31, exec_lo
	s_and_b32 s34, s29, exec_lo
	s_and_b32 s28, s28, exec_lo
	;; [unrolled: 1-line block ×3, first 2 shown]
.LBB24_62:
	s_or_b32 exec_lo, exec_lo, s45
	s_delay_alu instid0(SALU_CYCLE_1)
	s_and_b32 s31, s30, exec_lo
	s_and_b32 s30, s27, exec_lo
	;; [unrolled: 1-line block ×3, first 2 shown]
	s_or_not1_b32 s0, s34, exec_lo
	s_and_b32 s28, s28, exec_lo
	s_and_b32 s29, s29, exec_lo
.LBB24_63:
	s_or_b32 exec_lo, exec_lo, s44
	s_delay_alu instid0(SALU_CYCLE_1)
	s_and_b32 s1, s31, exec_lo
	s_and_b32 s36, s30, exec_lo
	s_and_b32 s27, s27, exec_lo
	s_and_b32 s0, s0, exec_lo
	s_and_b32 s28, s28, exec_lo
	s_or_not1_b32 s29, s29, exec_lo
.LBB24_64:
	s_or_b32 exec_lo, exec_lo, s43
	s_and_saveexec_b32 s30, s29
	s_cbranch_execnz .LBB24_211
.LBB24_65:
	s_or_b32 exec_lo, exec_lo, s30
	s_mov_b32 s29, 0
	s_and_saveexec_b32 s30, s28
	s_delay_alu instid0(SALU_CYCLE_1)
	s_xor_b32 s28, exec_lo, s30
	s_cbranch_execz .LBB24_67
; %bb.66:
	s_wait_loadcnt 0x0
	v_cmp_ne_u64_e32 vcc_lo, v[32:33], v[34:35]
	s_and_not1_b32 s0, s0, exec_lo
	s_mov_b32 s29, exec_lo
	s_and_b32 s30, vcc_lo, exec_lo
	s_delay_alu instid0(SALU_CYCLE_1)
	s_or_b32 s0, s0, s30
.LBB24_67:
	s_or_b32 exec_lo, exec_lo, s28
	s_and_saveexec_b32 s28, s0
	s_cbranch_execnz .LBB24_212
.LBB24_68:
	s_or_b32 exec_lo, exec_lo, s28
	s_mov_b32 s28, 0
	s_and_saveexec_b32 s0, s29
	s_delay_alu instid0(SALU_CYCLE_1)
	s_xor_b32 s29, exec_lo, s0
	s_cbranch_execnz .LBB24_104
; %bb.69:
	s_or_b32 exec_lo, exec_lo, s29
	s_and_saveexec_b32 s0, s27
	s_cbranch_execnz .LBB24_105
.LBB24_70:
	s_or_b32 exec_lo, exec_lo, s0
	s_mov_b32 s0, 0
	s_and_saveexec_b32 s37, s28
	s_cbranch_execnz .LBB24_106
.LBB24_71:
	s_or_b32 exec_lo, exec_lo, s37
	s_and_saveexec_b32 s1, s36
	s_cbranch_execnz .LBB24_152
.LBB24_72:
	s_or_b32 exec_lo, exec_lo, s1
	s_and_saveexec_b32 s1, s0
	s_delay_alu instid0(SALU_CYCLE_1)
	s_xor_b32 s0, exec_lo, s1
	s_cbranch_execz .LBB24_74
.LBB24_73:
	s_mov_b32 s24, 0
	s_add_nc_u64 s[2:3], s[4:5], s[22:23]
	s_mov_b32 s25, s24
	s_mov_b32 s26, s24
	;; [unrolled: 1-line block ×3, first 2 shown]
	v_mov_b64_e32 v[2:3], s[24:25]
	v_mov_b64_e32 v[4:5], s[26:27]
	s_clause 0x1
	global_store_b128 v1, v[2:5], s[2:3]
	global_store_b128 v1, v[2:5], s[2:3] offset:16
.LBB24_74:
	s_wait_xcnt 0x0
	s_or_b32 exec_lo, exec_lo, s0
	s_mov_b32 s0, 0
.LBB24_75:
	s_delay_alu instid0(SALU_CYCLE_1)
	s_and_b32 vcc_lo, exec_lo, s0
	s_cbranch_vccz .LBB24_95
; %bb.76:
	v_mov_b64_e32 v[26:27], 0
	v_mov_b64_e32 v[36:37], 0
	;; [unrolled: 1-line block ×3, first 2 shown]
	s_wait_loadcnt 0x0
	v_mov_b64_e32 v[32:33], 0
	v_mov_b64_e32 v[34:35], 0
	;; [unrolled: 1-line block ×3, first 2 shown]
	v_cmp_gt_i32_e64 s0, s33, v0
	v_or_b32_e32 v1, 0x100, v0
	v_mov_b32_e32 v42, v0
	s_and_saveexec_b32 s1, s0
	s_cbranch_execz .LBB24_78
; %bb.77:
	v_or_b32_e32 v2, s16, v0
	v_or_b32_e32 v42, 0x100, v0
	s_clause 0x4
	global_load_b64 v[32:33], v2, s[10:11] scale_offset
	global_load_b64 v[36:37], v2, s[6:7] scale_offset
	global_load_b64 v[38:39], v2, s[8:9] scale_offset
	global_load_b64 v[34:35], v2, s[12:13] scale_offset
	global_load_b64 v[40:41], v2, s[14:15] scale_offset
.LBB24_78:
	s_wait_xcnt 0x0
	s_or_b32 exec_lo, exec_lo, s1
	v_mov_b64_e32 v[28:29], 0
	v_mov_b64_e32 v[22:23], 0
	;; [unrolled: 1-line block ×4, first 2 shown]
	s_mov_b32 s1, exec_lo
	v_cmpx_gt_i32_e64 s33, v42
	s_cbranch_execz .LBB24_80
; %bb.79:
	v_add_nc_u32_e32 v2, s16, v42
	v_add_nc_u32_e32 v42, 0x100, v42
	s_clause 0x4
	global_load_b64 v[22:23], v2, s[10:11] scale_offset
	global_load_b64 v[26:27], v2, s[6:7] scale_offset
	global_load_b64 v[28:29], v2, s[8:9] scale_offset
	global_load_b64 v[24:25], v2, s[12:13] scale_offset
	global_load_b64 v[30:31], v2, s[14:15] scale_offset
.LBB24_80:
	s_wait_xcnt 0x0
	s_or_b32 exec_lo, exec_lo, s1
	v_mov_b64_e32 v[10:11], 0
	v_mov_b64_e32 v[20:21], 0
	;; [unrolled: 1-line block ×6, first 2 shown]
	s_mov_b32 s1, exec_lo
	v_cmpx_gt_i32_e64 s33, v42
	s_cbranch_execz .LBB24_82
; %bb.81:
	v_add_nc_u32_e32 v2, s16, v42
	v_add_nc_u32_e32 v42, 0x100, v42
	s_clause 0x4
	global_load_b64 v[12:13], v2, s[10:11] scale_offset
	global_load_b64 v[20:21], v2, s[6:7] scale_offset
	;; [unrolled: 1-line block ×5, first 2 shown]
.LBB24_82:
	s_wait_xcnt 0x0
	s_or_b32 exec_lo, exec_lo, s1
	v_mov_b64_e32 v[6:7], 0
	v_mov_b64_e32 v[2:3], 0
	;; [unrolled: 1-line block ×4, first 2 shown]
	s_mov_b32 s1, exec_lo
	v_cmpx_gt_i32_e64 s33, v42
	s_cbranch_execz .LBB24_84
; %bb.83:
	v_add_nc_u32_e32 v42, s16, v42
	s_clause 0x4
	global_load_b64 v[2:3], v42, s[10:11] scale_offset
	global_load_b64 v[10:11], v42, s[6:7] scale_offset
	;; [unrolled: 1-line block ×5, first 2 shown]
.LBB24_84:
	s_wait_xcnt 0x0
	s_or_b32 exec_lo, exec_lo, s1
	s_clause 0x1
	s_load_b256 s[8:15], s[18:19], 0x0
	s_load_b64 s[2:3], s[18:19], 0xa0
	s_cmp_lg_u64 s[20:21], 0
	s_get_pc_i64 s[6:7]
	s_add_nc_u64 s[6:7], s[6:7], .str.2@rel64+4
	s_get_pc_i64 s[20:21]
	s_add_nc_u64 s[20:21], s[20:21], .str.3@rel64+4
	s_cselect_b32 s38, -1, 0
	s_cmp_lg_u64 s[6:7], 0
	s_get_pc_i64 s[22:23]
	s_add_nc_u64 s[22:23], s[22:23], .str.4@rel64+4
	s_cselect_b32 s36, -1, 0
	s_cmp_lg_u64 s[20:21], 0
	s_mov_b32 s1, -1
	s_cselect_b32 s35, -1, 0
	s_mov_b32 s44, 0
	s_mov_b32 s42, 0
	;; [unrolled: 1-line block ×5, first 2 shown]
	s_wait_kmcnt 0x0
	s_add_co_i32 s6, s14, -1
	s_delay_alu instid0(SALU_CYCLE_1)
	s_cmp_gt_i32 s6, -1
	s_cselect_b32 s34, -1, 0
	s_cmp_lg_u64 s[22:23], 0
	s_cselect_b32 s15, -1, 0
	s_and_saveexec_b32 s40, s0
	s_cbranch_execnz .LBB24_113
; %bb.85:
	s_or_b32 exec_lo, exec_lo, s40
	s_mov_b32 s40, 0
	s_and_saveexec_b32 s43, s1
	s_cbranch_execnz .LBB24_161
.LBB24_86:
	s_or_b32 exec_lo, exec_lo, s43
	s_and_saveexec_b32 s1, s42
	s_cbranch_execnz .LBB24_210
.LBB24_87:
	s_or_b32 exec_lo, exec_lo, s1
	s_mov_b32 s1, 0
	s_and_saveexec_b32 s7, s44
	s_delay_alu instid0(SALU_CYCLE_1)
	s_xor_b32 s7, exec_lo, s7
	s_cbranch_execz .LBB24_89
; %bb.88:
	s_wait_loadcnt 0x2
	v_cmp_ne_u64_e32 vcc_lo, s[12:13], v[6:7]
	s_xor_b32 s8, s36, -1
	s_and_not1_b32 s9, s41, exec_lo
	s_mov_b32 s1, exec_lo
	s_or_b32 s8, s8, vcc_lo
	s_delay_alu instid0(SALU_CYCLE_1) | instskip(NEXT) | instid1(SALU_CYCLE_1)
	s_and_b32 s8, s8, exec_lo
	s_or_b32 s41, s9, s8
.LBB24_89:
	s_or_b32 exec_lo, exec_lo, s7
	s_and_saveexec_b32 s7, s41
	s_cbranch_execnz .LBB24_213
.LBB24_90:
	s_or_b32 exec_lo, exec_lo, s7
	s_mov_b32 s7, 0
	s_and_saveexec_b32 s8, s1
	s_delay_alu instid0(SALU_CYCLE_1)
	s_xor_b32 s8, exec_lo, s8
	s_cbranch_execnz .LBB24_123
; %bb.91:
	s_or_b32 exec_lo, exec_lo, s8
	s_and_saveexec_b32 s1, s39
	s_cbranch_execnz .LBB24_124
.LBB24_92:
	s_or_b32 exec_lo, exec_lo, s1
	s_and_saveexec_b32 s22, s7
	s_cbranch_execnz .LBB24_125
.LBB24_93:
	s_or_b32 exec_lo, exec_lo, s22
	s_and_saveexec_b32 s1, s37
	s_cbranch_execnz .LBB24_155
.LBB24_94:
	s_or_b32 exec_lo, exec_lo, s1
	s_and_saveexec_b32 s1, s17
	s_cbranch_execnz .LBB24_96
	s_branch .LBB24_97
.LBB24_95:
                                        ; implicit-def: $sgpr0
                                        ; implicit-def: $vgpr1
                                        ; implicit-def: $vgpr0
	s_and_saveexec_b32 s1, s17
.LBB24_96:
	; divergent unreachable
.LBB24_97:
	s_delay_alu instid0(SALU_CYCLE_1) | instskip(SKIP_1) | instid1(SALU_CYCLE_1)
	s_or_b32 exec_lo, exec_lo, s1
	s_and_saveexec_b32 s1, s40
	s_xor_b32 s1, exec_lo, s1
	s_cbranch_execz .LBB24_103
; %bb.98:
	s_and_saveexec_b32 s1, s0
	s_delay_alu instid0(SALU_CYCLE_1)
	s_xor_b32 s0, exec_lo, s1
	s_cbranch_execnz .LBB24_132
; %bb.99:
	s_or_b32 exec_lo, exec_lo, s0
	s_delay_alu instid0(SALU_CYCLE_1)
	s_mov_b32 s0, exec_lo
	v_cmpx_gt_i32_e64 s33, v0
	s_cbranch_execnz .LBB24_133
.LBB24_100:
	s_or_b32 exec_lo, exec_lo, s0
	s_delay_alu instid0(SALU_CYCLE_1)
	s_mov_b32 s0, exec_lo
	v_cmpx_gt_i32_e64 s33, v0
	s_cbranch_execnz .LBB24_134
.LBB24_101:
	s_or_b32 exec_lo, exec_lo, s0
	s_delay_alu instid0(SALU_CYCLE_1)
	s_mov_b32 s0, exec_lo
	v_cmpx_gt_i32_e64 s33, v0
	s_cbranch_execz .LBB24_103
.LBB24_102:
	s_wait_loadcnt 0x4
	v_mov_b64_e32 v[2:3], 0
	v_add_nc_u32_e32 v0, s16, v0
	global_store_b64 v0, v[2:3], s[4:5] scale_offset
.LBB24_103:
	s_endpgm
.LBB24_104:
	s_wait_loadcnt 0x0
	v_sub_nc_u64_e32 v[2:3], v[8:9], v[16:17]
	s_mov_b32 s28, exec_lo
	s_delay_alu instid0(VALU_DEP_1) | instskip(SKIP_3) | instid1(SALU_CYCLE_1)
	v_cmp_gt_i64_e32 vcc_lo, v[38:39], v[2:3]
	v_cmp_lt_i64_e64 s0, s[2:3], v[2:3]
	s_and_not1_b32 s2, s27, exec_lo
	s_or_b32 s0, vcc_lo, s0
	s_and_b32 s0, s0, exec_lo
	s_delay_alu instid0(SALU_CYCLE_1)
	s_or_b32 s27, s2, s0
	s_or_b32 exec_lo, exec_lo, s29
	s_and_saveexec_b32 s0, s27
	s_cbranch_execz .LBB24_70
.LBB24_105:
	s_or_b32 s17, s17, exec_lo
	s_and_not1_b32 s28, s28, exec_lo
	s_trap 2
	s_or_b32 exec_lo, exec_lo, s0
	s_mov_b32 s0, 0
	s_and_saveexec_b32 s37, s28
	s_cbranch_execz .LBB24_71
.LBB24_106:
	v_mov_b64_e32 v[2:3], 0
	s_and_saveexec_b32 s38, s1
	s_cbranch_execz .LBB24_135
; %bb.107:
	s_wait_loadcnt 0x0
	v_mul_u64_e32 v[6:7], v[24:25], v[34:35]
	s_ashr_i32 s27, s26, 31
	v_mov_b64_e32 v[2:3], 0
	s_lshl_b64 s[0:1], s[26:27], 3
	v_mov_b32_e32 v4, 0
	s_add_nc_u64 s[0:1], s[18:19], s[0:1]
	s_mov_b64 s[2:3], 0xffffffff
	s_add_nc_u64 s[26:27], s[0:1], 32
	s_mov_b32 s1, 0
	s_branch .LBB24_109
.LBB24_108:                             ;   in Loop: Header=BB24_109 Depth=1
	s_or_b32 exec_lo, exec_lo, s0
	s_delay_alu instid0(VALU_DEP_1)
	v_mul_u64_e32 v[12:13], s[28:29], v[10:11]
	s_load_b64 s[28:29], s[26:27], 0x40
	s_add_co_i32 s41, s41, -1
	s_wait_xcnt 0x0
	s_add_nc_u64 s[26:27], s[26:27], -8
	s_cmp_lg_u32 s41, 0
	s_delay_alu instid0(VALU_DEP_1) | instskip(SKIP_1) | instid1(VALU_DEP_1)
	v_sub_nc_u64_e32 v[6:7], v[6:7], v[12:13]
	s_wait_kmcnt 0x0
	v_mad_nc_u64_u32 v[2:3], v6, s28, v[2:3]
	s_delay_alu instid0(VALU_DEP_1) | instskip(NEXT) | instid1(VALU_DEP_1)
	v_mad_u32 v3, v7, s28, v3
	v_mad_u32 v3, v6, s29, v3
	v_mov_b64_e32 v[6:7], v[10:11]
	s_cbranch_scc0 .LBB24_135
.LBB24_109:                             ; =>This Inner Loop Header: Depth=1
	s_load_b64 s[28:29], s[26:27], 0x0
                                        ; implicit-def: $vgpr10_vgpr11
	s_mov_b32 s0, exec_lo
	s_wait_kmcnt 0x0
	s_delay_alu instid0(VALU_DEP_1) | instskip(NEXT) | instid1(VALU_DEP_1)
	v_or_b32_e32 v5, s29, v7
	v_cmpx_ne_u64_e32 0, v[4:5]
	s_xor_b32 s39, exec_lo, s0
	s_cbranch_execz .LBB24_111
; %bb.110:                              ;   in Loop: Header=BB24_109 Depth=1
	s_ashr_i32 s30, s29, 31
	v_dual_mov_b32 v15, v4 :: v_dual_ashrrev_i32 v10, 31, v7
	s_mov_b32 s31, s30
	v_mov_b32_e32 v25, v4
	s_add_nc_u64 s[34:35], s[28:29], s[30:31]
	s_delay_alu instid0(VALU_DEP_2) | instskip(SKIP_1) | instid1(SALU_CYCLE_1)
	v_mov_b32_e32 v11, v10
	s_xor_b64 s[34:35], s[34:35], s[30:31]
	s_cvt_f32_u32 s0, s34
	s_cvt_f32_u32 s31, s35
	s_sub_nc_u64 s[46:47], 0, s[34:35]
	v_add_nc_u64_e32 v[12:13], v[6:7], v[10:11]
	v_mov_b32_e32 v21, v4
	s_fmamk_f32 s0, s31, 0x4f800000, s0
	s_delay_alu instid0(SALU_CYCLE_3) | instskip(NEXT) | instid1(VALU_DEP_2)
	v_s_rcp_f32 s0, s0
	v_xor_b32_e32 v14, v12, v10
	s_delay_alu instid0(VALU_DEP_3) | instskip(SKIP_1) | instid1(TRANS32_DEP_1)
	v_xor_b32_e32 v20, v13, v10
	v_xor_b32_e32 v10, s30, v10
	s_mul_f32 s0, s0, 0x5f7ffffc
	s_delay_alu instid0(SALU_CYCLE_3) | instskip(NEXT) | instid1(SALU_CYCLE_3)
	s_mul_f32 s31, s0, 0x2f800000
	s_trunc_f32 s31, s31
	s_delay_alu instid0(SALU_CYCLE_3) | instskip(SKIP_1) | instid1(SALU_CYCLE_2)
	s_fmamk_f32 s0, s31, 0xcf800000, s0
	s_cvt_u32_f32 s45, s31
	s_cvt_u32_f32 s44, s0
	s_delay_alu instid0(SALU_CYCLE_3) | instskip(NEXT) | instid1(SALU_CYCLE_1)
	s_mul_u64 s[48:49], s[46:47], s[44:45]
	s_mul_hi_u32 s51, s44, s49
	s_mul_i32 s50, s44, s49
	s_mul_hi_u32 s0, s44, s48
	s_mul_i32 s43, s45, s48
	s_add_nc_u64 s[50:51], s[0:1], s[50:51]
	s_mul_hi_u32 s31, s45, s48
	s_mul_hi_u32 s52, s45, s49
	s_add_co_u32 s0, s50, s43
	s_add_co_ci_u32 s0, s51, s31
	s_mul_i32 s48, s45, s49
	s_add_co_ci_u32 s49, s52, 0
	s_delay_alu instid0(SALU_CYCLE_1) | instskip(NEXT) | instid1(SALU_CYCLE_1)
	s_add_nc_u64 s[48:49], s[0:1], s[48:49]
	s_add_co_u32 s44, s44, s48
	s_cselect_b32 s0, -1, 0
	s_delay_alu instid0(SALU_CYCLE_1) | instskip(SKIP_1) | instid1(SALU_CYCLE_1)
	s_cmp_lg_u32 s0, 0
	s_add_co_ci_u32 s45, s45, s49
	s_mul_u64 s[46:47], s[46:47], s[44:45]
	s_delay_alu instid0(SALU_CYCLE_1)
	s_mul_hi_u32 s49, s44, s47
	s_mul_i32 s48, s44, s47
	s_mul_hi_u32 s0, s44, s46
	s_mul_i32 s43, s45, s46
	s_add_nc_u64 s[48:49], s[0:1], s[48:49]
	s_mul_hi_u32 s31, s45, s46
	s_mul_hi_u32 s50, s45, s47
	s_add_co_u32 s0, s48, s43
	s_add_co_ci_u32 s0, s49, s31
	s_mul_i32 s46, s45, s47
	s_add_co_ci_u32 s47, s50, 0
	s_delay_alu instid0(SALU_CYCLE_1) | instskip(NEXT) | instid1(SALU_CYCLE_1)
	s_add_nc_u64 s[46:47], s[0:1], s[46:47]
	s_add_co_u32 s44, s44, s46
	s_cselect_b32 s0, -1, 0
	v_mul_hi_u32 v24, v14, s44
	s_cmp_lg_u32 s0, 0
	s_add_co_ci_u32 s0, s45, s47
	s_and_b64 s[46:47], s[44:45], s[2:3]
	v_mul_u64_e32 v[18:19], s[0:1], v[14:15]
	v_mul_u64_e32 v[12:13], s[46:47], v[20:21]
	;; [unrolled: 1-line block ×3, first 2 shown]
	s_delay_alu instid0(VALU_DEP_3) | instskip(NEXT) | instid1(VALU_DEP_1)
	v_add_nc_u64_e32 v[18:19], v[24:25], v[18:19]
	v_add_co_u32 v5, vcc_lo, v18, v12
	s_delay_alu instid0(VALU_DEP_2) | instskip(NEXT) | instid1(VALU_DEP_4)
	v_add_co_ci_u32_e32 v24, vcc_lo, v19, v13, vcc_lo
	v_add_co_ci_u32_e32 v23, vcc_lo, 0, v23, vcc_lo
	s_delay_alu instid0(VALU_DEP_1) | instskip(NEXT) | instid1(VALU_DEP_1)
	v_add_nc_u64_e32 v[12:13], v[24:25], v[22:23]
	v_mul_u64_e32 v[18:19], s[34:35], v[12:13]
	s_delay_alu instid0(VALU_DEP_1) | instskip(NEXT) | instid1(VALU_DEP_2)
	v_sub_nc_u32_e32 v5, v20, v19
	v_sub_co_u32 v11, vcc_lo, v14, v18
	s_delay_alu instid0(VALU_DEP_1) | instskip(NEXT) | instid1(VALU_DEP_3)
	v_sub_co_ci_u32_e64 v20, null, v20, v19, vcc_lo
	v_subrev_co_ci_u32_e64 v5, null, s35, v5, vcc_lo
	s_delay_alu instid0(VALU_DEP_3) | instskip(SKIP_1) | instid1(VALU_DEP_3)
	v_sub_co_u32 v14, s0, v11, s34
	v_add_nc_u64_e32 v[18:19], 1, v[12:13]
	v_subrev_co_ci_u32_e64 v5, null, 0, v5, s0
	s_delay_alu instid0(VALU_DEP_3) | instskip(SKIP_1) | instid1(VALU_DEP_3)
	v_cmp_le_u32_e32 vcc_lo, s34, v14
	v_cndmask_b32_e64 v14, 0, -1, vcc_lo
	v_cmp_le_u32_e32 vcc_lo, s35, v5
	v_cndmask_b32_e64 v15, 0, -1, vcc_lo
	;; [unrolled: 2-line block ×4, first 2 shown]
	v_cmp_eq_u32_e32 vcc_lo, s35, v5
	v_cndmask_b32_e32 v5, v15, v14, vcc_lo
	v_cmp_eq_u32_e32 vcc_lo, s35, v20
	v_add_nc_u64_e32 v[14:15], 2, v[12:13]
	v_cndmask_b32_e32 v11, v21, v11, vcc_lo
	s_delay_alu instid0(VALU_DEP_4) | instskip(NEXT) | instid1(VALU_DEP_2)
	v_cmp_ne_u32_e32 vcc_lo, 0, v5
	v_cmp_ne_u32_e64 s0, 0, v11
	s_delay_alu instid0(VALU_DEP_4) | instskip(NEXT) | instid1(VALU_DEP_1)
	v_dual_cndmask_b32 v5, v19, v15, vcc_lo :: v_dual_cndmask_b32 v11, v18, v14, vcc_lo
	v_dual_cndmask_b32 v12, v12, v11, s0 :: v_dual_mov_b32 v11, v10
	s_delay_alu instid0(VALU_DEP_1) | instskip(NEXT) | instid1(VALU_DEP_1)
	v_dual_cndmask_b32 v5, v13, v5, s0 :: v_dual_bitop2_b32 v12, v12, v10 bitop3:0x14
	v_xor_b32_e32 v13, v5, v10
	s_delay_alu instid0(VALU_DEP_1)
	v_sub_nc_u64_e32 v[10:11], v[12:13], v[10:11]
.LBB24_111:                             ;   in Loop: Header=BB24_109 Depth=1
	s_and_not1_saveexec_b32 s0, s39
	s_cbranch_execz .LBB24_108
; %bb.112:                              ;   in Loop: Header=BB24_109 Depth=1
	v_cvt_f32_u32_e32 v5, s28
	s_sub_co_i32 s30, 0, s28
	s_delay_alu instid0(VALU_DEP_1) | instskip(SKIP_1) | instid1(TRANS32_DEP_1)
	v_rcp_iflag_f32_e32 v5, v5
	v_nop
	v_mul_f32_e32 v5, 0x4f7ffffe, v5
	s_delay_alu instid0(VALU_DEP_1) | instskip(NEXT) | instid1(VALU_DEP_1)
	v_cvt_u32_f32_e32 v5, v5
	v_mul_lo_u32 v10, s30, v5
	s_delay_alu instid0(VALU_DEP_1) | instskip(NEXT) | instid1(VALU_DEP_1)
	v_mul_hi_u32 v10, v5, v10
	v_add_nc_u32_e32 v5, v5, v10
	s_delay_alu instid0(VALU_DEP_1) | instskip(NEXT) | instid1(VALU_DEP_1)
	v_mul_hi_u32 v5, v6, v5
	v_mul_lo_u32 v10, v5, s28
	s_delay_alu instid0(VALU_DEP_1) | instskip(NEXT) | instid1(VALU_DEP_1)
	v_dual_add_nc_u32 v11, 1, v5 :: v_dual_sub_nc_u32 v10, v6, v10
	v_subrev_nc_u32_e32 v12, s28, v10
	v_cmp_le_u32_e32 vcc_lo, s28, v10
	s_delay_alu instid0(VALU_DEP_2) | instskip(NEXT) | instid1(VALU_DEP_1)
	v_dual_cndmask_b32 v10, v10, v12 :: v_dual_cndmask_b32 v5, v5, v11
	v_cmp_le_u32_e32 vcc_lo, s28, v10
	s_delay_alu instid0(VALU_DEP_2) | instskip(NEXT) | instid1(VALU_DEP_1)
	v_add_nc_u32_e32 v11, 1, v5
	v_dual_cndmask_b32 v10, v5, v11 :: v_dual_mov_b32 v11, v4
	s_branch .LBB24_108
.LBB24_113:
	s_wait_loadcnt 0x3
	v_cmp_eq_u64_e32 vcc_lo, s[8:9], v[36:37]
	s_mov_b32 s7, -1
	s_mov_b32 s1, 0
	s_mov_b32 s20, 0
	;; [unrolled: 1-line block ×4, first 2 shown]
	s_and_b32 s23, s38, vcc_lo
	s_delay_alu instid0(SALU_CYCLE_1)
	s_and_saveexec_b32 s37, s23
	s_cbranch_execz .LBB24_160
; %bb.114:
	s_wait_loadcnt 0x2
	v_cmp_eq_u64_e32 vcc_lo, s[12:13], v[38:39]
	s_and_b32 s22, s36, vcc_lo
	s_delay_alu instid0(SALU_CYCLE_1)
	s_and_saveexec_b32 s39, s22
	s_cbranch_execz .LBB24_159
; %bb.115:
	s_wait_loadcnt 0x1
	v_sub_nc_u64_e32 v[42:43], v[34:35], v[32:33]
	s_delay_alu instid0(VALU_DEP_1)
	v_cmp_le_i64_e32 vcc_lo, v[36:37], v[42:43]
	v_cmp_ge_i64_e64 s1, s[10:11], v[42:43]
	s_and_b32 s20, vcc_lo, s1
	s_mov_b32 s1, 0
	s_and_b32 s21, s35, s20
	s_mov_b32 s20, 0
	s_and_saveexec_b32 s41, s21
	s_cbranch_execz .LBB24_158
; %bb.116:
	v_cmp_lt_i64_e32 vcc_lo, 0, v[38:39]
	v_mov_b64_e32 v[36:37], 0
	s_and_b32 s1, vcc_lo, s34
	s_delay_alu instid0(SALU_CYCLE_1)
	s_and_saveexec_b32 s42, s1
	s_cbranch_execz .LBB24_145
; %bb.117:
	s_wait_loadcnt 0x0
	v_mul_u64_e32 v[40:41], v[40:41], v[38:39]
	s_ashr_i32 s7, s6, 31
	v_mov_b64_e32 v[36:37], 0
	s_lshl_b64 s[22:23], s[6:7], 3
	v_mov_b32_e32 v38, 0
	s_add_nc_u64 s[22:23], s[18:19], s[22:23]
	s_mov_b64 s[20:21], 0xffffffff
	s_add_nc_u64 s[22:23], s[22:23], 32
	s_mov_b32 s25, 0
	s_mov_b32 s7, s14
	s_branch .LBB24_119
.LBB24_118:                             ;   in Loop: Header=BB24_119 Depth=1
	s_or_b32 exec_lo, exec_lo, s1
	s_delay_alu instid0(VALU_DEP_1)
	v_mul_u64_e32 v[44:45], s[26:27], v[42:43]
	s_load_b64 s[26:27], s[22:23], 0x40
	s_add_co_i32 s7, s7, -1
	s_wait_xcnt 0x0
	s_add_nc_u64 s[22:23], s[22:23], -8
	s_cmp_eq_u32 s7, 0
	s_delay_alu instid0(VALU_DEP_1) | instskip(SKIP_1) | instid1(VALU_DEP_1)
	v_sub_nc_u64_e32 v[40:41], v[40:41], v[44:45]
	s_wait_kmcnt 0x0
	v_mad_nc_u64_u32 v[36:37], v40, s26, v[36:37]
	s_delay_alu instid0(VALU_DEP_1) | instskip(NEXT) | instid1(VALU_DEP_1)
	v_mad_u32 v37, v41, s26, v37
	v_mad_u32 v37, v40, s27, v37
	v_mov_b64_e32 v[40:41], v[42:43]
	s_cbranch_scc1 .LBB24_145
.LBB24_119:                             ; =>This Inner Loop Header: Depth=1
	s_load_b64 s[26:27], s[22:23], 0x0
                                        ; implicit-def: $vgpr42_vgpr43
	s_mov_b32 s1, exec_lo
	s_wait_kmcnt 0x0
	s_delay_alu instid0(VALU_DEP_1) | instskip(NEXT) | instid1(VALU_DEP_1)
	v_or_b32_e32 v39, s27, v41
	v_cmpx_ne_u64_e32 0, v[38:39]
	s_xor_b32 s43, exec_lo, s1
	s_cbranch_execz .LBB24_121
; %bb.120:                              ;   in Loop: Header=BB24_119 Depth=1
	s_ashr_i32 s28, s27, 31
	v_dual_mov_b32 v47, v38 :: v_dual_ashrrev_i32 v42, 31, v41
	s_mov_b32 s29, s28
	v_mov_b32_e32 v55, v38
	s_add_nc_u64 s[30:31], s[26:27], s[28:29]
	s_delay_alu instid0(VALU_DEP_2) | instskip(SKIP_1) | instid1(SALU_CYCLE_1)
	v_mov_b32_e32 v43, v42
	s_xor_b64 s[30:31], s[30:31], s[28:29]
	s_cvt_f32_u32 s1, s30
	s_cvt_f32_u32 s24, s31
	s_sub_nc_u64 s[48:49], 0, s[30:31]
	v_add_nc_u64_e32 v[44:45], v[40:41], v[42:43]
	v_mov_b32_e32 v51, v38
	s_fmamk_f32 s1, s24, 0x4f800000, s1
	s_delay_alu instid0(SALU_CYCLE_3) | instskip(NEXT) | instid1(VALU_DEP_2)
	v_s_rcp_f32 s1, s1
	v_xor_b32_e32 v46, v44, v42
	s_delay_alu instid0(VALU_DEP_3) | instskip(NEXT) | instid1(TRANS32_DEP_1)
	v_xor_b32_e32 v50, v45, v42
	s_mul_f32 s1, s1, 0x5f7ffffc
	s_delay_alu instid0(SALU_CYCLE_3) | instskip(NEXT) | instid1(SALU_CYCLE_3)
	s_mul_f32 s24, s1, 0x2f800000
	s_trunc_f32 s24, s24
	s_delay_alu instid0(SALU_CYCLE_3) | instskip(SKIP_1) | instid1(SALU_CYCLE_2)
	s_fmamk_f32 s1, s24, 0xcf800000, s1
	s_cvt_u32_f32 s47, s24
	s_cvt_u32_f32 s46, s1
	s_delay_alu instid0(SALU_CYCLE_3) | instskip(NEXT) | instid1(SALU_CYCLE_1)
	s_mul_u64 s[50:51], s[48:49], s[46:47]
	s_mul_hi_u32 s53, s46, s51
	s_mul_i32 s52, s46, s51
	s_mul_hi_u32 s24, s46, s50
	s_mul_i32 s29, s47, s50
	s_add_nc_u64 s[52:53], s[24:25], s[52:53]
	s_mul_hi_u32 s1, s47, s50
	s_mul_hi_u32 s45, s47, s51
	s_add_co_u32 s24, s52, s29
	s_add_co_ci_u32 s24, s53, s1
	s_mul_i32 s50, s47, s51
	s_add_co_ci_u32 s51, s45, 0
	s_delay_alu instid0(SALU_CYCLE_1) | instskip(NEXT) | instid1(SALU_CYCLE_1)
	s_add_nc_u64 s[50:51], s[24:25], s[50:51]
	s_add_co_u32 s46, s46, s50
	s_cselect_b32 s1, -1, 0
	s_delay_alu instid0(SALU_CYCLE_1) | instskip(SKIP_1) | instid1(SALU_CYCLE_1)
	s_cmp_lg_u32 s1, 0
	s_add_co_ci_u32 s47, s47, s51
	s_mul_u64 s[48:49], s[48:49], s[46:47]
	s_delay_alu instid0(SALU_CYCLE_1)
	s_mul_hi_u32 s51, s46, s49
	s_mul_i32 s50, s46, s49
	s_mul_hi_u32 s24, s46, s48
	s_mul_i32 s29, s47, s48
	s_add_nc_u64 s[50:51], s[24:25], s[50:51]
	s_mul_hi_u32 s1, s47, s48
	s_mul_hi_u32 s45, s47, s49
	s_add_co_u32 s24, s50, s29
	s_add_co_ci_u32 s24, s51, s1
	s_mul_i32 s48, s47, s49
	s_add_co_ci_u32 s49, s45, 0
	s_delay_alu instid0(SALU_CYCLE_1) | instskip(NEXT) | instid1(SALU_CYCLE_1)
	s_add_nc_u64 s[48:49], s[24:25], s[48:49]
	s_add_co_u32 s46, s46, s48
	s_cselect_b32 s1, -1, 0
	v_mul_hi_u32 v54, v46, s46
	s_cmp_lg_u32 s1, 0
	s_add_co_ci_u32 s24, s47, s49
	s_and_b64 s[48:49], s[46:47], s[20:21]
	v_mul_u64_e32 v[48:49], s[24:25], v[46:47]
	v_mul_u64_e32 v[44:45], s[48:49], v[50:51]
	;; [unrolled: 1-line block ×3, first 2 shown]
	s_delay_alu instid0(VALU_DEP_3) | instskip(NEXT) | instid1(VALU_DEP_1)
	v_add_nc_u64_e32 v[48:49], v[54:55], v[48:49]
	v_add_co_u32 v39, vcc_lo, v48, v44
	s_delay_alu instid0(VALU_DEP_2) | instskip(NEXT) | instid1(VALU_DEP_4)
	v_add_co_ci_u32_e32 v54, vcc_lo, v49, v45, vcc_lo
	v_add_co_ci_u32_e32 v53, vcc_lo, 0, v53, vcc_lo
	s_delay_alu instid0(VALU_DEP_1) | instskip(NEXT) | instid1(VALU_DEP_1)
	v_add_nc_u64_e32 v[44:45], v[54:55], v[52:53]
	v_mul_u64_e32 v[48:49], s[30:31], v[44:45]
	s_delay_alu instid0(VALU_DEP_1) | instskip(NEXT) | instid1(VALU_DEP_2)
	v_sub_nc_u32_e32 v39, v50, v49
	v_sub_co_u32 v43, vcc_lo, v46, v48
	s_delay_alu instid0(VALU_DEP_1) | instskip(NEXT) | instid1(VALU_DEP_3)
	v_sub_co_ci_u32_e64 v50, null, v50, v49, vcc_lo
	v_subrev_co_ci_u32_e64 v39, null, s31, v39, vcc_lo
	s_delay_alu instid0(VALU_DEP_3) | instskip(SKIP_1) | instid1(VALU_DEP_3)
	v_sub_co_u32 v46, s1, v43, s30
	v_add_nc_u64_e32 v[48:49], 1, v[44:45]
	v_subrev_co_ci_u32_e64 v39, null, 0, v39, s1
	s_delay_alu instid0(VALU_DEP_3) | instskip(SKIP_1) | instid1(VALU_DEP_3)
	v_cmp_le_u32_e32 vcc_lo, s30, v46
	v_cndmask_b32_e64 v46, 0, -1, vcc_lo
	v_cmp_le_u32_e32 vcc_lo, s31, v39
	v_cndmask_b32_e64 v47, 0, -1, vcc_lo
	;; [unrolled: 2-line block ×4, first 2 shown]
	v_cmp_eq_u32_e32 vcc_lo, s31, v39
	v_cndmask_b32_e32 v39, v47, v46, vcc_lo
	v_cmp_eq_u32_e32 vcc_lo, s31, v50
	v_add_nc_u64_e32 v[46:47], 2, v[44:45]
	v_cndmask_b32_e32 v43, v51, v43, vcc_lo
	s_delay_alu instid0(VALU_DEP_4) | instskip(NEXT) | instid1(VALU_DEP_2)
	v_cmp_ne_u32_e32 vcc_lo, 0, v39
	v_cmp_ne_u32_e64 s1, 0, v43
	s_delay_alu instid0(VALU_DEP_4) | instskip(NEXT) | instid1(VALU_DEP_1)
	v_dual_cndmask_b32 v39, v49, v47, vcc_lo :: v_dual_cndmask_b32 v43, v48, v46, vcc_lo
	v_dual_cndmask_b32 v39, v45, v39, s1 :: v_dual_bitop2_b32 v42, s28, v42 bitop3:0x14
	s_delay_alu instid0(VALU_DEP_1) | instskip(NEXT) | instid1(VALU_DEP_2)
	v_dual_cndmask_b32 v44, v44, v43, s1 :: v_dual_mov_b32 v43, v42
	v_xor_b32_e32 v45, v39, v42
	s_delay_alu instid0(VALU_DEP_2) | instskip(NEXT) | instid1(VALU_DEP_1)
	v_xor_b32_e32 v44, v44, v42
	v_sub_nc_u64_e32 v[42:43], v[44:45], v[42:43]
.LBB24_121:                             ;   in Loop: Header=BB24_119 Depth=1
	s_and_not1_saveexec_b32 s1, s43
	s_cbranch_execz .LBB24_118
; %bb.122:                              ;   in Loop: Header=BB24_119 Depth=1
	v_cvt_f32_u32_e32 v39, s26
	s_sub_co_i32 s24, 0, s26
	s_delay_alu instid0(VALU_DEP_1) | instskip(SKIP_1) | instid1(TRANS32_DEP_1)
	v_rcp_iflag_f32_e32 v39, v39
	v_nop
	v_mul_f32_e32 v39, 0x4f7ffffe, v39
	s_delay_alu instid0(VALU_DEP_1) | instskip(NEXT) | instid1(VALU_DEP_1)
	v_cvt_u32_f32_e32 v39, v39
	v_mul_lo_u32 v42, s24, v39
	s_delay_alu instid0(VALU_DEP_1) | instskip(NEXT) | instid1(VALU_DEP_1)
	v_mul_hi_u32 v42, v39, v42
	v_add_nc_u32_e32 v39, v39, v42
	s_delay_alu instid0(VALU_DEP_1) | instskip(NEXT) | instid1(VALU_DEP_1)
	v_mul_hi_u32 v39, v40, v39
	v_mul_lo_u32 v42, v39, s26
	s_delay_alu instid0(VALU_DEP_1) | instskip(NEXT) | instid1(VALU_DEP_1)
	v_dual_add_nc_u32 v43, 1, v39 :: v_dual_sub_nc_u32 v42, v40, v42
	v_subrev_nc_u32_e32 v44, s26, v42
	v_cmp_le_u32_e32 vcc_lo, s26, v42
	s_delay_alu instid0(VALU_DEP_2) | instskip(NEXT) | instid1(VALU_DEP_1)
	v_dual_cndmask_b32 v42, v42, v44 :: v_dual_cndmask_b32 v39, v39, v43
	v_cmp_le_u32_e32 vcc_lo, s26, v42
	s_delay_alu instid0(VALU_DEP_2) | instskip(NEXT) | instid1(VALU_DEP_1)
	v_add_nc_u32_e32 v43, 1, v39
	v_dual_cndmask_b32 v42, v39, v43 :: v_dual_mov_b32 v43, v38
	s_branch .LBB24_118
.LBB24_123:
	s_wait_loadcnt 0x1
	v_sub_nc_u64_e32 v[12:13], v[4:5], v[2:3]
	s_and_not1_b32 s9, s39, exec_lo
	s_mov_b32 s7, exec_lo
	s_delay_alu instid0(VALU_DEP_1) | instskip(SKIP_2) | instid1(SALU_CYCLE_1)
	v_cmp_le_i64_e32 vcc_lo, v[10:11], v[12:13]
	v_cmp_ge_i64_e64 s1, s[10:11], v[12:13]
	s_and_b32 s1, vcc_lo, s1
	s_and_b32 s1, s35, s1
	s_delay_alu instid0(SALU_CYCLE_1) | instskip(NEXT) | instid1(SALU_CYCLE_1)
	s_xor_b32 s1, s1, -1
	s_and_b32 s1, s1, exec_lo
	s_delay_alu instid0(SALU_CYCLE_1)
	s_or_b32 s39, s9, s1
	s_or_b32 exec_lo, exec_lo, s8
	s_and_saveexec_b32 s1, s39
	s_cbranch_execz .LBB24_92
.LBB24_124:
	s_or_b32 s17, s17, exec_lo
	s_and_not1_b32 s7, s7, exec_lo
	s_trap 2
	s_or_b32 exec_lo, exec_lo, s1
	s_and_saveexec_b32 s22, s7
	s_cbranch_execz .LBB24_93
.LBB24_125:
	s_wait_loadcnt 0x2
	v_cmp_lt_i64_e32 vcc_lo, 0, v[6:7]
	v_mov_b64_e32 v[10:11], 0
	s_and_b32 s1, vcc_lo, s34
	s_delay_alu instid0(SALU_CYCLE_1)
	s_and_saveexec_b32 s23, s1
	s_cbranch_execz .LBB24_140
; %bb.126:
	s_wait_loadcnt 0x0
	v_mul_u64_e32 v[8:9], v[8:9], v[6:7]
	s_ashr_i32 s7, s6, 31
	v_mov_b64_e32 v[10:11], 0
	s_lshl_b64 s[8:9], s[6:7], 3
	v_mov_b32_e32 v6, 0
	s_add_nc_u64 s[8:9], s[18:19], s[8:9]
	s_mov_b64 s[6:7], 0xffffffff
	s_add_nc_u64 s[8:9], s[8:9], 32
	s_mov_b32 s11, 0
	s_branch .LBB24_128
.LBB24_127:                             ;   in Loop: Header=BB24_128 Depth=1
	s_or_b32 exec_lo, exec_lo, s1
	s_delay_alu instid0(VALU_DEP_1)
	v_mul_u64_e32 v[14:15], s[12:13], v[12:13]
	s_load_b64 s[12:13], s[8:9], 0x40
	s_add_co_i32 s14, s14, -1
	s_wait_xcnt 0x0
	s_add_nc_u64 s[8:9], s[8:9], -8
	s_cmp_lg_u32 s14, 0
	s_delay_alu instid0(VALU_DEP_1) | instskip(SKIP_1) | instid1(VALU_DEP_1)
	v_sub_nc_u64_e32 v[8:9], v[8:9], v[14:15]
	s_wait_kmcnt 0x0
	v_mad_nc_u64_u32 v[10:11], v8, s12, v[10:11]
	s_delay_alu instid0(VALU_DEP_1) | instskip(NEXT) | instid1(VALU_DEP_1)
	v_mad_u32 v7, v9, s12, v11
	v_mad_u32 v11, v8, s13, v7
	v_mov_b64_e32 v[8:9], v[12:13]
	s_cbranch_scc0 .LBB24_140
.LBB24_128:                             ; =>This Inner Loop Header: Depth=1
	s_load_b64 s[12:13], s[8:9], 0x0
                                        ; implicit-def: $vgpr12_vgpr13
	s_mov_b32 s1, exec_lo
	s_wait_kmcnt 0x0
	s_delay_alu instid0(VALU_DEP_1) | instskip(NEXT) | instid1(VALU_DEP_1)
	v_or_b32_e32 v7, s13, v9
	v_cmpx_ne_u64_e32 0, v[6:7]
	s_xor_b32 s24, exec_lo, s1
	s_cbranch_execz .LBB24_130
; %bb.129:                              ;   in Loop: Header=BB24_128 Depth=1
	s_ashr_i32 s18, s13, 31
	v_dual_mov_b32 v17, v6 :: v_dual_ashrrev_i32 v12, 31, v9
	s_mov_b32 s19, s18
	s_delay_alu instid0(SALU_CYCLE_1) | instskip(NEXT) | instid1(VALU_DEP_1)
	s_add_nc_u64 s[20:21], s[12:13], s[18:19]
	v_mov_b32_e32 v13, v12
	s_xor_b64 s[20:21], s[20:21], s[18:19]
	s_delay_alu instid0(SALU_CYCLE_1)
	s_cvt_f32_u32 s1, s20
	s_cvt_f32_u32 s10, s21
	s_sub_nc_u64 s[28:29], 0, s[20:21]
	v_add_nc_u64_e32 v[14:15], v[8:9], v[12:13]
	v_mov_b32_e32 v21, v6
	s_fmamk_f32 s1, s10, 0x4f800000, s1
	s_delay_alu instid0(SALU_CYCLE_3) | instskip(NEXT) | instid1(VALU_DEP_2)
	v_s_rcp_f32 s1, s1
	v_xor_b32_e32 v16, v14, v12
	s_delay_alu instid0(VALU_DEP_3) | instskip(SKIP_1) | instid1(TRANS32_DEP_1)
	v_dual_mov_b32 v25, v6 :: v_dual_bitop2_b32 v20, v15, v12 bitop3:0x14
	v_xor_b32_e32 v12, s18, v12
	s_mul_f32 s1, s1, 0x5f7ffffc
	s_delay_alu instid0(SALU_CYCLE_3) | instskip(NEXT) | instid1(SALU_CYCLE_3)
	s_mul_f32 s10, s1, 0x2f800000
	s_trunc_f32 s10, s10
	s_delay_alu instid0(SALU_CYCLE_3) | instskip(SKIP_1) | instid1(SALU_CYCLE_2)
	s_fmamk_f32 s1, s10, 0xcf800000, s1
	s_cvt_u32_f32 s27, s10
	s_cvt_u32_f32 s26, s1
	s_delay_alu instid0(SALU_CYCLE_3) | instskip(NEXT) | instid1(SALU_CYCLE_1)
	s_mul_u64 s[30:31], s[28:29], s[26:27]
	s_mul_hi_u32 s35, s26, s31
	s_mul_i32 s34, s26, s31
	s_mul_hi_u32 s10, s26, s30
	s_mul_i32 s19, s27, s30
	s_add_nc_u64 s[34:35], s[10:11], s[34:35]
	s_mul_hi_u32 s1, s27, s30
	s_mul_hi_u32 s25, s27, s31
	s_add_co_u32 s10, s34, s19
	s_add_co_ci_u32 s10, s35, s1
	s_mul_i32 s30, s27, s31
	s_add_co_ci_u32 s31, s25, 0
	s_delay_alu instid0(SALU_CYCLE_1) | instskip(NEXT) | instid1(SALU_CYCLE_1)
	s_add_nc_u64 s[30:31], s[10:11], s[30:31]
	s_add_co_u32 s26, s26, s30
	s_cselect_b32 s1, -1, 0
	s_delay_alu instid0(SALU_CYCLE_1) | instskip(SKIP_1) | instid1(SALU_CYCLE_1)
	s_cmp_lg_u32 s1, 0
	s_add_co_ci_u32 s27, s27, s31
	s_mul_u64 s[28:29], s[28:29], s[26:27]
	s_delay_alu instid0(SALU_CYCLE_1)
	s_mul_hi_u32 s31, s26, s29
	s_mul_i32 s30, s26, s29
	s_mul_hi_u32 s10, s26, s28
	s_mul_i32 s19, s27, s28
	s_add_nc_u64 s[30:31], s[10:11], s[30:31]
	s_mul_hi_u32 s1, s27, s28
	s_mul_hi_u32 s25, s27, s29
	s_add_co_u32 s10, s30, s19
	s_add_co_ci_u32 s10, s31, s1
	s_mul_i32 s28, s27, s29
	s_add_co_ci_u32 s29, s25, 0
	s_delay_alu instid0(SALU_CYCLE_1) | instskip(NEXT) | instid1(SALU_CYCLE_1)
	s_add_nc_u64 s[28:29], s[10:11], s[28:29]
	s_add_co_u32 s26, s26, s28
	s_cselect_b32 s1, -1, 0
	v_mul_hi_u32 v24, v16, s26
	s_cmp_lg_u32 s1, 0
	s_add_co_ci_u32 s10, s27, s29
	s_and_b64 s[28:29], s[26:27], s[6:7]
	v_mul_u64_e32 v[18:19], s[10:11], v[16:17]
	v_mul_u64_e32 v[14:15], s[28:29], v[20:21]
	;; [unrolled: 1-line block ×3, first 2 shown]
	s_delay_alu instid0(VALU_DEP_3) | instskip(NEXT) | instid1(VALU_DEP_1)
	v_add_nc_u64_e32 v[18:19], v[24:25], v[18:19]
	v_add_co_u32 v7, vcc_lo, v18, v14
	s_delay_alu instid0(VALU_DEP_2) | instskip(NEXT) | instid1(VALU_DEP_4)
	v_add_co_ci_u32_e32 v24, vcc_lo, v19, v15, vcc_lo
	v_add_co_ci_u32_e32 v23, vcc_lo, 0, v23, vcc_lo
	s_delay_alu instid0(VALU_DEP_1) | instskip(NEXT) | instid1(VALU_DEP_1)
	v_add_nc_u64_e32 v[14:15], v[24:25], v[22:23]
	v_mul_u64_e32 v[18:19], s[20:21], v[14:15]
	s_delay_alu instid0(VALU_DEP_1) | instskip(NEXT) | instid1(VALU_DEP_2)
	v_sub_nc_u32_e32 v7, v20, v19
	v_sub_co_u32 v13, vcc_lo, v16, v18
	s_delay_alu instid0(VALU_DEP_1) | instskip(NEXT) | instid1(VALU_DEP_3)
	v_sub_co_ci_u32_e64 v20, null, v20, v19, vcc_lo
	v_subrev_co_ci_u32_e64 v7, null, s21, v7, vcc_lo
	s_delay_alu instid0(VALU_DEP_3) | instskip(SKIP_1) | instid1(VALU_DEP_3)
	v_sub_co_u32 v16, s1, v13, s20
	v_add_nc_u64_e32 v[18:19], 1, v[14:15]
	v_subrev_co_ci_u32_e64 v7, null, 0, v7, s1
	s_delay_alu instid0(VALU_DEP_3) | instskip(SKIP_1) | instid1(VALU_DEP_3)
	v_cmp_le_u32_e32 vcc_lo, s20, v16
	v_cndmask_b32_e64 v16, 0, -1, vcc_lo
	v_cmp_le_u32_e32 vcc_lo, s21, v7
	v_cndmask_b32_e64 v17, 0, -1, vcc_lo
	v_cmp_le_u32_e32 vcc_lo, s20, v13
	v_cndmask_b32_e64 v13, 0, -1, vcc_lo
	v_cmp_le_u32_e32 vcc_lo, s21, v20
	v_cndmask_b32_e64 v21, 0, -1, vcc_lo
	v_cmp_eq_u32_e32 vcc_lo, s21, v7
	v_cndmask_b32_e32 v7, v17, v16, vcc_lo
	v_cmp_eq_u32_e32 vcc_lo, s21, v20
	v_add_nc_u64_e32 v[16:17], 2, v[14:15]
	v_cndmask_b32_e32 v13, v21, v13, vcc_lo
	s_delay_alu instid0(VALU_DEP_4) | instskip(NEXT) | instid1(VALU_DEP_2)
	v_cmp_ne_u32_e32 vcc_lo, 0, v7
	v_cmp_ne_u32_e64 s1, 0, v13
	s_delay_alu instid0(VALU_DEP_4) | instskip(NEXT) | instid1(VALU_DEP_1)
	v_dual_cndmask_b32 v7, v19, v17, vcc_lo :: v_dual_cndmask_b32 v13, v18, v16, vcc_lo
	v_dual_cndmask_b32 v14, v14, v13, s1 :: v_dual_mov_b32 v13, v12
	s_delay_alu instid0(VALU_DEP_1) | instskip(NEXT) | instid1(VALU_DEP_1)
	v_dual_cndmask_b32 v7, v15, v7, s1 :: v_dual_bitop2_b32 v14, v14, v12 bitop3:0x14
	v_xor_b32_e32 v15, v7, v12
	s_delay_alu instid0(VALU_DEP_1)
	v_sub_nc_u64_e32 v[12:13], v[14:15], v[12:13]
.LBB24_130:                             ;   in Loop: Header=BB24_128 Depth=1
	s_and_not1_saveexec_b32 s1, s24
	s_cbranch_execz .LBB24_127
; %bb.131:                              ;   in Loop: Header=BB24_128 Depth=1
	v_cvt_f32_u32_e32 v7, s12
	s_sub_co_i32 s10, 0, s12
	s_delay_alu instid0(VALU_DEP_1) | instskip(SKIP_1) | instid1(TRANS32_DEP_1)
	v_rcp_iflag_f32_e32 v7, v7
	v_nop
	v_mul_f32_e32 v7, 0x4f7ffffe, v7
	s_delay_alu instid0(VALU_DEP_1) | instskip(NEXT) | instid1(VALU_DEP_1)
	v_cvt_u32_f32_e32 v7, v7
	v_mul_lo_u32 v12, s10, v7
	s_delay_alu instid0(VALU_DEP_1) | instskip(NEXT) | instid1(VALU_DEP_1)
	v_mul_hi_u32 v12, v7, v12
	v_add_nc_u32_e32 v7, v7, v12
	s_delay_alu instid0(VALU_DEP_1) | instskip(NEXT) | instid1(VALU_DEP_1)
	v_mul_hi_u32 v7, v8, v7
	v_mul_lo_u32 v12, v7, s12
	s_delay_alu instid0(VALU_DEP_1) | instskip(NEXT) | instid1(VALU_DEP_1)
	v_dual_add_nc_u32 v13, 1, v7 :: v_dual_sub_nc_u32 v12, v8, v12
	v_subrev_nc_u32_e32 v14, s12, v12
	v_cmp_le_u32_e32 vcc_lo, s12, v12
	s_delay_alu instid0(VALU_DEP_2) | instskip(NEXT) | instid1(VALU_DEP_1)
	v_dual_cndmask_b32 v12, v12, v14 :: v_dual_cndmask_b32 v7, v7, v13
	v_cmp_le_u32_e32 vcc_lo, s12, v12
	s_delay_alu instid0(VALU_DEP_2) | instskip(NEXT) | instid1(VALU_DEP_1)
	v_add_nc_u32_e32 v13, 1, v7
	v_dual_cndmask_b32 v12, v7, v13 :: v_dual_mov_b32 v13, v6
	s_branch .LBB24_127
.LBB24_132:
	s_wait_loadcnt 0x4
	v_mov_b64_e32 v[2:3], 0
	s_wait_loadcnt 0x1
	v_dual_mov_b32 v0, v1 :: v_dual_bitop2_b32 v4, s16, v0 bitop3:0x54
	global_store_b64 v4, v[2:3], s[4:5] scale_offset
	s_wait_xcnt 0x0
	s_or_b32 exec_lo, exec_lo, s0
	s_delay_alu instid0(SALU_CYCLE_1)
	s_mov_b32 s0, exec_lo
	v_cmpx_gt_i32_e64 s33, v0
	s_cbranch_execz .LBB24_100
.LBB24_133:
	s_wait_loadcnt 0x4
	v_mov_b64_e32 v[2:3], 0
	v_add_nc_u32_e32 v1, s16, v0
	v_add_nc_u32_e32 v0, 0x100, v0
	global_store_b64 v1, v[2:3], s[4:5] scale_offset
	s_wait_xcnt 0x0
	s_or_b32 exec_lo, exec_lo, s0
	s_delay_alu instid0(SALU_CYCLE_1)
	s_mov_b32 s0, exec_lo
	v_cmpx_gt_i32_e64 s33, v0
	s_cbranch_execz .LBB24_101
.LBB24_134:
	s_wait_loadcnt 0x4
	v_mov_b64_e32 v[2:3], 0
	v_add_nc_u32_e32 v1, s16, v0
	v_add_nc_u32_e32 v0, 0x100, v0
	global_store_b64 v1, v[2:3], s[4:5] scale_offset
	s_wait_xcnt 0x0
	s_or_b32 exec_lo, exec_lo, s0
	s_delay_alu instid0(SALU_CYCLE_1)
	s_mov_b32 s0, exec_lo
	v_cmpx_gt_i32_e64 s33, v0
	s_cbranch_execnz .LBB24_102
	s_branch .LBB24_103
.LBB24_135:
	s_or_b32 exec_lo, exec_lo, s38
	s_mov_b32 s1, s36
	s_mov_b32 s0, exec_lo
	s_wait_loadcnt 0x0
	v_cmpx_gt_i64_e64 v[8:9], v[16:17]
	s_cbranch_execz .LBB24_151
; %bb.136:
	s_delay_alu instid0(VALU_DEP_2) | instskip(SKIP_2) | instid1(VALU_DEP_1)
	v_lshlrev_b64_e32 v[2:3], 3, v[2:3]
	s_mov_b32 s1, 0
	s_xor_b32 s3, s42, -1
                                        ; implicit-def: $sgpr2
	v_lshl_add_u64 v[4:5], v[16:17], 3, v[2:3]
	v_add_nc_u64_e32 v[6:7], s[24:25], v[2:3]
	s_delay_alu instid0(VALU_DEP_2) | instskip(NEXT) | instid1(VALU_DEP_1)
	v_add_nc_u64_e32 v[4:5], s[24:25], v[4:5]
                                        ; implicit-def: $sgpr25
                                        ; implicit-def: $sgpr24
	v_add_nc_u64_e32 v[2:3], 8, v[4:5]
	s_delay_alu instid0(VALU_DEP_3)
	v_lshl_add_u64 v[4:5], v[8:9], 3, v[6:7]
	s_branch .LBB24_138
.LBB24_137:                             ;   in Loop: Header=BB24_138 Depth=1
	s_or_b32 exec_lo, exec_lo, s26
	s_xor_b32 s26, s24, -1
	s_and_b32 s27, exec_lo, s25
	s_delay_alu instid0(SALU_CYCLE_1) | instskip(SKIP_2) | instid1(SALU_CYCLE_1)
	s_or_b32 s1, s27, s1
	s_and_not1_b32 s2, s2, exec_lo
	s_and_b32 s26, s26, exec_lo
	s_or_b32 s2, s2, s26
	s_and_not1_b32 exec_lo, exec_lo, s1
	s_cbranch_execz .LBB24_150
.LBB24_138:                             ; =>This Inner Loop Header: Depth=1
	s_or_b32 s24, s24, exec_lo
	s_or_b32 s25, s25, exec_lo
	s_mov_b32 s26, exec_lo
	s_delay_alu instid0(VALU_DEP_2)
	v_cmpx_lt_u64_e64 v[2:3], v[4:5]
	s_cbranch_execz .LBB24_137
; %bb.139:                              ;   in Loop: Header=BB24_138 Depth=1
	global_load_b128 v[6:9], v[2:3], off offset:-8
	s_wait_xcnt 0x0
	v_add_nc_u64_e32 v[2:3], 8, v[2:3]
	s_and_not1_b32 s25, s25, exec_lo
	s_and_not1_b32 s24, s24, exec_lo
	s_wait_loadcnt 0x0
	v_cmp_ge_i64_e32 vcc_lo, v[6:7], v[8:9]
	s_or_b32 s27, s3, vcc_lo
	s_delay_alu instid0(SALU_CYCLE_1) | instskip(NEXT) | instid1(SALU_CYCLE_1)
	s_and_b32 s27, s27, exec_lo
	s_or_b32 s25, s25, s27
	s_branch .LBB24_137
.LBB24_140:
	s_or_b32 exec_lo, exec_lo, s23
	s_mov_b32 s6, s37
	s_mov_b32 s1, exec_lo
	s_wait_loadcnt 0x1
	v_cmpx_gt_i64_e64 v[4:5], v[2:3]
	s_cbranch_execz .LBB24_154
; %bb.141:
	s_delay_alu instid0(VALU_DEP_2) | instskip(SKIP_1) | instid1(VALU_DEP_1)
	v_lshlrev_b64_e32 v[6:7], 3, v[10:11]
	s_xor_b32 s6, s15, -1
                                        ; implicit-def: $sgpr8
                                        ; implicit-def: $sgpr7
	v_lshl_add_u64 v[2:3], v[2:3], 3, v[6:7]
	v_add_nc_u64_e32 v[6:7], s[2:3], v[6:7]
	s_delay_alu instid0(VALU_DEP_2) | instskip(SKIP_1) | instid1(VALU_DEP_2)
	v_add_nc_u64_e32 v[2:3], s[2:3], v[2:3]
	s_mov_b32 s2, 0
                                        ; implicit-def: $sgpr3
	v_lshl_add_u64 v[4:5], v[4:5], 3, v[6:7]
	s_delay_alu instid0(VALU_DEP_2)
	v_add_nc_u64_e32 v[2:3], 8, v[2:3]
	s_branch .LBB24_143
.LBB24_142:                             ;   in Loop: Header=BB24_143 Depth=1
	s_or_b32 exec_lo, exec_lo, s9
	s_xor_b32 s9, s7, -1
	s_and_b32 s10, exec_lo, s8
	s_delay_alu instid0(SALU_CYCLE_1) | instskip(SKIP_2) | instid1(SALU_CYCLE_1)
	s_or_b32 s2, s10, s2
	s_and_not1_b32 s3, s3, exec_lo
	s_and_b32 s9, s9, exec_lo
	s_or_b32 s3, s3, s9
	s_and_not1_b32 exec_lo, exec_lo, s2
	s_cbranch_execz .LBB24_153
.LBB24_143:                             ; =>This Inner Loop Header: Depth=1
	s_or_b32 s7, s7, exec_lo
	s_or_b32 s8, s8, exec_lo
	s_mov_b32 s9, exec_lo
	s_delay_alu instid0(VALU_DEP_1)
	v_cmpx_lt_u64_e64 v[2:3], v[4:5]
	s_cbranch_execz .LBB24_142
; %bb.144:                              ;   in Loop: Header=BB24_143 Depth=1
	s_wait_loadcnt 0x0
	global_load_b128 v[6:9], v[2:3], off offset:-8
	s_wait_xcnt 0x0
	v_add_nc_u64_e32 v[2:3], 8, v[2:3]
	s_and_not1_b32 s8, s8, exec_lo
	s_and_not1_b32 s7, s7, exec_lo
	s_wait_loadcnt 0x0
	v_cmp_ge_i64_e32 vcc_lo, v[6:7], v[8:9]
	s_or_b32 s10, s6, vcc_lo
	s_delay_alu instid0(SALU_CYCLE_1) | instskip(NEXT) | instid1(SALU_CYCLE_1)
	s_and_b32 s10, s10, exec_lo
	s_or_b32 s8, s8, s10
	s_branch .LBB24_142
.LBB24_145:
	s_or_b32 exec_lo, exec_lo, s42
	s_mov_b32 s21, -1
	s_mov_b32 s7, 0
	s_mov_b32 s1, exec_lo
	v_cmpx_gt_i64_e64 v[34:35], v[32:33]
	s_cbranch_execz .LBB24_157
; %bb.146:
	s_delay_alu instid0(VALU_DEP_2) | instskip(SKIP_1) | instid1(VALU_DEP_1)
	v_lshlrev_b64_e32 v[36:37], 3, v[36:37]
	s_xor_b32 s21, s15, -1
                                        ; implicit-def: $sgpr20
                                        ; implicit-def: $sgpr23
                                        ; implicit-def: $sgpr22
	v_lshl_add_u64 v[32:33], v[32:33], 3, v[36:37]
	v_add_nc_u64_e32 v[36:37], s[2:3], v[36:37]
	s_delay_alu instid0(VALU_DEP_2) | instskip(NEXT) | instid1(VALU_DEP_2)
	v_add_nc_u64_e32 v[32:33], s[2:3], v[32:33]
	v_lshl_add_u64 v[34:35], v[34:35], 3, v[36:37]
	s_delay_alu instid0(VALU_DEP_2)
	v_add_nc_u64_e32 v[32:33], 8, v[32:33]
	s_branch .LBB24_148
.LBB24_147:                             ;   in Loop: Header=BB24_148 Depth=1
	s_or_b32 exec_lo, exec_lo, s24
	s_delay_alu instid0(SALU_CYCLE_1) | instskip(NEXT) | instid1(SALU_CYCLE_1)
	s_and_b32 s24, exec_lo, s23
	s_or_b32 s7, s24, s7
	s_and_not1_b32 s20, s20, exec_lo
	s_and_b32 s24, s22, exec_lo
	s_delay_alu instid0(SALU_CYCLE_1)
	s_or_b32 s20, s20, s24
	s_and_not1_b32 exec_lo, exec_lo, s7
	s_cbranch_execz .LBB24_156
.LBB24_148:                             ; =>This Inner Loop Header: Depth=1
	s_or_b32 s22, s22, exec_lo
	s_or_b32 s23, s23, exec_lo
	s_mov_b32 s24, exec_lo
	s_delay_alu instid0(VALU_DEP_1)
	v_cmpx_lt_u64_e64 v[32:33], v[34:35]
	s_cbranch_execz .LBB24_147
; %bb.149:                              ;   in Loop: Header=BB24_148 Depth=1
	global_load_b128 v[36:39], v[32:33], off offset:-8
	s_wait_xcnt 0x0
	v_add_nc_u64_e32 v[32:33], 8, v[32:33]
	s_and_not1_b32 s23, s23, exec_lo
	s_and_not1_b32 s22, s22, exec_lo
	s_wait_loadcnt 0x0
	v_cmp_ge_i64_e32 vcc_lo, v[36:37], v[38:39]
	s_or_b32 s25, s21, vcc_lo
	s_delay_alu instid0(SALU_CYCLE_1) | instskip(NEXT) | instid1(SALU_CYCLE_1)
	s_and_b32 s25, s25, exec_lo
	s_or_b32 s23, s23, s25
	s_branch .LBB24_147
.LBB24_150:
	s_or_b32 exec_lo, exec_lo, s1
	s_delay_alu instid0(SALU_CYCLE_1) | instskip(SKIP_1) | instid1(SALU_CYCLE_1)
	s_and_not1_b32 s1, s36, exec_lo
	s_and_b32 s2, s2, exec_lo
	s_or_b32 s1, s1, s2
.LBB24_151:
	s_or_b32 exec_lo, exec_lo, s0
	s_delay_alu instid0(SALU_CYCLE_1)
	s_and_not1_b32 s2, s36, exec_lo
	s_and_b32 s1, s1, exec_lo
	s_mov_b32 s0, exec_lo
	s_or_b32 s36, s2, s1
	s_or_b32 exec_lo, exec_lo, s37
	s_and_saveexec_b32 s1, s36
	s_cbranch_execz .LBB24_72
.LBB24_152:
	s_or_b32 s17, s17, exec_lo
	s_and_not1_b32 s0, s0, exec_lo
	s_trap 2
	s_or_b32 exec_lo, exec_lo, s1
	s_and_saveexec_b32 s1, s0
	s_delay_alu instid0(SALU_CYCLE_1)
	s_xor_b32 s0, exec_lo, s1
	s_cbranch_execnz .LBB24_73
	s_branch .LBB24_74
.LBB24_153:
	s_or_b32 exec_lo, exec_lo, s2
	s_delay_alu instid0(SALU_CYCLE_1) | instskip(SKIP_1) | instid1(SALU_CYCLE_1)
	s_and_not1_b32 s2, s37, exec_lo
	s_and_b32 s3, s3, exec_lo
	s_or_b32 s6, s2, s3
.LBB24_154:
	s_or_b32 exec_lo, exec_lo, s1
	s_delay_alu instid0(SALU_CYCLE_1)
	s_and_not1_b32 s1, s37, exec_lo
	s_and_b32 s2, s6, exec_lo
	s_or_b32 s40, s40, exec_lo
	s_or_b32 s37, s1, s2
	s_or_b32 exec_lo, exec_lo, s22
	s_and_saveexec_b32 s1, s37
	s_cbranch_execz .LBB24_94
.LBB24_155:
	s_and_not1_b32 s40, s40, exec_lo
	s_or_b32 s17, s17, exec_lo
	s_trap 2
	s_or_b32 exec_lo, exec_lo, s1
	s_and_saveexec_b32 s1, s17
	s_cbranch_execnz .LBB24_96
	s_branch .LBB24_97
.LBB24_156:
	s_or_b32 exec_lo, exec_lo, s7
	s_delay_alu instid0(SALU_CYCLE_1)
	s_mov_b32 s7, exec_lo
	s_or_not1_b32 s21, s20, exec_lo
.LBB24_157:
	s_or_b32 exec_lo, exec_lo, s1
	s_delay_alu instid0(SALU_CYCLE_1)
	s_and_b32 s20, s7, exec_lo
	s_xor_b32 s7, exec_lo, -1
	s_and_b32 s1, s21, exec_lo
.LBB24_158:
	s_or_b32 exec_lo, exec_lo, s41
	s_delay_alu instid0(SALU_CYCLE_1)
	s_and_b32 s21, s20, exec_lo
	s_and_b32 s20, s7, exec_lo
	s_xor_b32 s7, exec_lo, -1
	s_and_b32 s1, s1, exec_lo
.LBB24_159:
	s_or_b32 exec_lo, exec_lo, s39
	s_delay_alu instid0(SALU_CYCLE_1)
	s_and_b32 s22, s21, exec_lo
	s_and_b32 s21, s20, exec_lo
	;; [unrolled: 1-line block ×3, first 2 shown]
	s_xor_b32 s7, exec_lo, -1
	s_and_b32 s1, s1, exec_lo
.LBB24_160:
	s_or_b32 exec_lo, exec_lo, s37
	s_delay_alu instid0(SALU_CYCLE_1)
	s_and_b32 s37, s22, exec_lo
	s_and_b32 s39, s21, exec_lo
	;; [unrolled: 1-line block ×4, first 2 shown]
	s_or_not1_b32 s1, s1, exec_lo
	s_or_b32 exec_lo, exec_lo, s40
	s_mov_b32 s40, 0
	s_and_saveexec_b32 s43, s1
	s_cbranch_execz .LBB24_86
.LBB24_161:
	s_mov_b32 s1, -1
	s_mov_b32 s48, 0
	s_mov_b32 s44, s42
	;; [unrolled: 1-line block ×4, first 2 shown]
	s_mov_b32 s47, exec_lo
	v_cmpx_gt_i32_e64 s33, v1
	s_cbranch_execz .LBB24_182
; %bb.162:
	s_wait_loadcnt 0x3
	v_cmp_eq_u64_e32 vcc_lo, s[8:9], v[26:27]
	s_mov_b32 s7, -1
	s_mov_b32 s1, 0
	s_mov_b32 s21, s41
	;; [unrolled: 1-line block ×4, first 2 shown]
	s_and_b32 s23, s38, vcc_lo
	s_delay_alu instid0(SALU_CYCLE_1)
	s_and_saveexec_b32 s40, s23
	s_cbranch_execz .LBB24_181
; %bb.163:
	s_wait_loadcnt 0x2
	v_cmp_eq_u64_e32 vcc_lo, s[12:13], v[28:29]
	s_mov_b32 s21, s39
	s_and_b32 s22, s36, vcc_lo
	s_delay_alu instid0(SALU_CYCLE_1)
	s_and_saveexec_b32 s44, s22
	s_cbranch_execz .LBB24_180
; %bb.164:
	s_wait_loadcnt 0x1
	v_sub_nc_u64_e32 v[32:33], v[24:25], v[22:23]
	s_delay_alu instid0(VALU_DEP_1)
	v_cmp_le_i64_e32 vcc_lo, v[26:27], v[32:33]
	v_cmp_ge_i64_e64 s1, s[10:11], v[32:33]
	s_and_b32 s20, vcc_lo, s1
	s_mov_b32 s1, 0
	s_and_b32 s21, s35, s20
	s_mov_b32 s20, 0
	s_and_saveexec_b32 s45, s21
	s_cbranch_execz .LBB24_179
; %bb.165:
	v_cmp_lt_i64_e32 vcc_lo, 0, v[28:29]
	v_mov_b64_e32 v[26:27], 0
	s_and_b32 s1, vcc_lo, s34
	s_delay_alu instid0(SALU_CYCLE_1)
	s_and_saveexec_b32 s46, s1
	s_cbranch_execz .LBB24_172
; %bb.166:
	s_wait_loadcnt 0x0
	v_mul_u64_e32 v[30:31], v[30:31], v[28:29]
	s_ashr_i32 s7, s6, 31
	v_mov_b64_e32 v[26:27], 0
	s_lshl_b64 s[22:23], s[6:7], 3
	v_mov_b32_e32 v28, 0
	s_add_nc_u64 s[22:23], s[18:19], s[22:23]
	s_mov_b64 s[20:21], 0xffffffff
	s_add_nc_u64 s[22:23], s[22:23], 32
	s_mov_b32 s25, 0
	s_mov_b32 s7, s14
	s_branch .LBB24_168
.LBB24_167:                             ;   in Loop: Header=BB24_168 Depth=1
	s_or_b32 exec_lo, exec_lo, s1
	s_delay_alu instid0(VALU_DEP_1)
	v_mul_u64_e32 v[34:35], s[26:27], v[32:33]
	s_load_b64 s[26:27], s[22:23], 0x40
	s_add_co_i32 s7, s7, -1
	s_wait_xcnt 0x0
	s_add_nc_u64 s[22:23], s[22:23], -8
	s_cmp_lg_u32 s7, 0
	s_delay_alu instid0(VALU_DEP_1) | instskip(SKIP_1) | instid1(VALU_DEP_1)
	v_sub_nc_u64_e32 v[30:31], v[30:31], v[34:35]
	s_wait_kmcnt 0x0
	v_mad_nc_u64_u32 v[26:27], v30, s26, v[26:27]
	s_delay_alu instid0(VALU_DEP_1) | instskip(NEXT) | instid1(VALU_DEP_1)
	v_mad_u32 v27, v31, s26, v27
	v_mad_u32 v27, v30, s27, v27
	v_mov_b64_e32 v[30:31], v[32:33]
	s_cbranch_scc0 .LBB24_172
.LBB24_168:                             ; =>This Inner Loop Header: Depth=1
	s_load_b64 s[26:27], s[22:23], 0x0
                                        ; implicit-def: $vgpr32_vgpr33
	s_mov_b32 s1, exec_lo
	s_wait_kmcnt 0x0
	s_delay_alu instid0(VALU_DEP_1) | instskip(NEXT) | instid1(VALU_DEP_1)
	v_or_b32_e32 v29, s27, v31
	v_cmpx_ne_u64_e32 0, v[28:29]
	s_xor_b32 s49, exec_lo, s1
	s_cbranch_execz .LBB24_170
; %bb.169:                              ;   in Loop: Header=BB24_168 Depth=1
	s_ashr_i32 s28, s27, 31
	v_dual_mov_b32 v37, v28 :: v_dual_ashrrev_i32 v32, 31, v31
	s_mov_b32 s29, s28
	v_mov_b32_e32 v45, v28
	s_add_nc_u64 s[30:31], s[26:27], s[28:29]
	s_delay_alu instid0(VALU_DEP_2) | instskip(SKIP_1) | instid1(SALU_CYCLE_1)
	v_mov_b32_e32 v33, v32
	s_xor_b64 s[30:31], s[30:31], s[28:29]
	s_cvt_f32_u32 s1, s30
	s_cvt_f32_u32 s24, s31
	s_sub_nc_u64 s[52:53], 0, s[30:31]
	v_add_nc_u64_e32 v[34:35], v[30:31], v[32:33]
	v_mov_b32_e32 v41, v28
	s_fmamk_f32 s1, s24, 0x4f800000, s1
	s_delay_alu instid0(SALU_CYCLE_3) | instskip(NEXT) | instid1(VALU_DEP_2)
	v_s_rcp_f32 s1, s1
	v_xor_b32_e32 v36, v34, v32
	s_delay_alu instid0(VALU_DEP_3) | instskip(NEXT) | instid1(TRANS32_DEP_1)
	v_xor_b32_e32 v40, v35, v32
	s_mul_f32 s1, s1, 0x5f7ffffc
	s_delay_alu instid0(SALU_CYCLE_3) | instskip(NEXT) | instid1(SALU_CYCLE_3)
	s_mul_f32 s24, s1, 0x2f800000
	s_trunc_f32 s24, s24
	s_delay_alu instid0(SALU_CYCLE_3) | instskip(SKIP_1) | instid1(SALU_CYCLE_2)
	s_fmamk_f32 s1, s24, 0xcf800000, s1
	s_cvt_u32_f32 s51, s24
	s_cvt_u32_f32 s50, s1
	s_delay_alu instid0(SALU_CYCLE_3) | instskip(NEXT) | instid1(SALU_CYCLE_1)
	s_mul_u64 s[54:55], s[52:53], s[50:51]
	s_mul_hi_u32 s57, s50, s55
	s_mul_i32 s56, s50, s55
	s_mul_hi_u32 s24, s50, s54
	s_mul_i32 s29, s51, s54
	s_add_nc_u64 s[56:57], s[24:25], s[56:57]
	s_mul_hi_u32 s1, s51, s54
	s_mul_hi_u32 s58, s51, s55
	s_add_co_u32 s24, s56, s29
	s_add_co_ci_u32 s24, s57, s1
	s_mul_i32 s54, s51, s55
	s_add_co_ci_u32 s55, s58, 0
	s_delay_alu instid0(SALU_CYCLE_1) | instskip(NEXT) | instid1(SALU_CYCLE_1)
	s_add_nc_u64 s[54:55], s[24:25], s[54:55]
	s_add_co_u32 s50, s50, s54
	s_cselect_b32 s1, -1, 0
	s_delay_alu instid0(SALU_CYCLE_1) | instskip(SKIP_1) | instid1(SALU_CYCLE_1)
	s_cmp_lg_u32 s1, 0
	s_add_co_ci_u32 s51, s51, s55
	s_mul_u64 s[52:53], s[52:53], s[50:51]
	s_delay_alu instid0(SALU_CYCLE_1)
	s_mul_hi_u32 s55, s50, s53
	s_mul_i32 s54, s50, s53
	s_mul_hi_u32 s24, s50, s52
	s_mul_i32 s29, s51, s52
	s_add_nc_u64 s[54:55], s[24:25], s[54:55]
	s_mul_hi_u32 s1, s51, s52
	s_mul_hi_u32 s56, s51, s53
	s_add_co_u32 s24, s54, s29
	s_add_co_ci_u32 s24, s55, s1
	s_mul_i32 s52, s51, s53
	s_add_co_ci_u32 s53, s56, 0
	s_delay_alu instid0(SALU_CYCLE_1) | instskip(NEXT) | instid1(SALU_CYCLE_1)
	s_add_nc_u64 s[52:53], s[24:25], s[52:53]
	s_add_co_u32 s50, s50, s52
	s_cselect_b32 s1, -1, 0
	v_mul_hi_u32 v44, v36, s50
	s_cmp_lg_u32 s1, 0
	s_add_co_ci_u32 s24, s51, s53
	s_and_b64 s[52:53], s[50:51], s[20:21]
	v_mul_u64_e32 v[38:39], s[24:25], v[36:37]
	v_mul_u64_e32 v[34:35], s[52:53], v[40:41]
	;; [unrolled: 1-line block ×3, first 2 shown]
	s_delay_alu instid0(VALU_DEP_3) | instskip(NEXT) | instid1(VALU_DEP_1)
	v_add_nc_u64_e32 v[38:39], v[44:45], v[38:39]
	v_add_co_u32 v29, vcc_lo, v38, v34
	s_delay_alu instid0(VALU_DEP_2) | instskip(NEXT) | instid1(VALU_DEP_4)
	v_add_co_ci_u32_e32 v44, vcc_lo, v39, v35, vcc_lo
	v_add_co_ci_u32_e32 v43, vcc_lo, 0, v43, vcc_lo
	s_delay_alu instid0(VALU_DEP_1) | instskip(NEXT) | instid1(VALU_DEP_1)
	v_add_nc_u64_e32 v[34:35], v[44:45], v[42:43]
	v_mul_u64_e32 v[38:39], s[30:31], v[34:35]
	s_delay_alu instid0(VALU_DEP_1) | instskip(NEXT) | instid1(VALU_DEP_2)
	v_sub_nc_u32_e32 v29, v40, v39
	v_sub_co_u32 v33, vcc_lo, v36, v38
	s_delay_alu instid0(VALU_DEP_1) | instskip(NEXT) | instid1(VALU_DEP_3)
	v_sub_co_ci_u32_e64 v40, null, v40, v39, vcc_lo
	v_subrev_co_ci_u32_e64 v29, null, s31, v29, vcc_lo
	s_delay_alu instid0(VALU_DEP_3) | instskip(SKIP_1) | instid1(VALU_DEP_3)
	v_sub_co_u32 v36, s1, v33, s30
	v_add_nc_u64_e32 v[38:39], 1, v[34:35]
	v_subrev_co_ci_u32_e64 v29, null, 0, v29, s1
	s_delay_alu instid0(VALU_DEP_3) | instskip(SKIP_1) | instid1(VALU_DEP_3)
	v_cmp_le_u32_e32 vcc_lo, s30, v36
	v_cndmask_b32_e64 v36, 0, -1, vcc_lo
	v_cmp_le_u32_e32 vcc_lo, s31, v29
	v_cndmask_b32_e64 v37, 0, -1, vcc_lo
	;; [unrolled: 2-line block ×4, first 2 shown]
	v_cmp_eq_u32_e32 vcc_lo, s31, v29
	v_cndmask_b32_e32 v29, v37, v36, vcc_lo
	v_cmp_eq_u32_e32 vcc_lo, s31, v40
	v_add_nc_u64_e32 v[36:37], 2, v[34:35]
	v_cndmask_b32_e32 v33, v41, v33, vcc_lo
	s_delay_alu instid0(VALU_DEP_4) | instskip(NEXT) | instid1(VALU_DEP_2)
	v_cmp_ne_u32_e32 vcc_lo, 0, v29
	v_cmp_ne_u32_e64 s1, 0, v33
	s_delay_alu instid0(VALU_DEP_4) | instskip(NEXT) | instid1(VALU_DEP_1)
	v_dual_cndmask_b32 v29, v39, v37, vcc_lo :: v_dual_cndmask_b32 v33, v38, v36, vcc_lo
	v_dual_cndmask_b32 v29, v35, v29, s1 :: v_dual_bitop2_b32 v32, s28, v32 bitop3:0x14
	s_delay_alu instid0(VALU_DEP_1) | instskip(NEXT) | instid1(VALU_DEP_2)
	v_dual_cndmask_b32 v34, v34, v33, s1 :: v_dual_mov_b32 v33, v32
	v_xor_b32_e32 v35, v29, v32
	s_delay_alu instid0(VALU_DEP_2) | instskip(NEXT) | instid1(VALU_DEP_1)
	v_xor_b32_e32 v34, v34, v32
	v_sub_nc_u64_e32 v[32:33], v[34:35], v[32:33]
.LBB24_170:                             ;   in Loop: Header=BB24_168 Depth=1
	s_and_not1_saveexec_b32 s1, s49
	s_cbranch_execz .LBB24_167
; %bb.171:                              ;   in Loop: Header=BB24_168 Depth=1
	v_cvt_f32_u32_e32 v29, s26
	s_sub_co_i32 s24, 0, s26
	s_delay_alu instid0(VALU_DEP_1) | instskip(SKIP_1) | instid1(TRANS32_DEP_1)
	v_rcp_iflag_f32_e32 v29, v29
	v_nop
	v_mul_f32_e32 v29, 0x4f7ffffe, v29
	s_delay_alu instid0(VALU_DEP_1) | instskip(NEXT) | instid1(VALU_DEP_1)
	v_cvt_u32_f32_e32 v29, v29
	v_mul_lo_u32 v32, s24, v29
	s_delay_alu instid0(VALU_DEP_1) | instskip(NEXT) | instid1(VALU_DEP_1)
	v_mul_hi_u32 v32, v29, v32
	v_add_nc_u32_e32 v29, v29, v32
	s_delay_alu instid0(VALU_DEP_1) | instskip(NEXT) | instid1(VALU_DEP_1)
	v_mul_hi_u32 v29, v30, v29
	v_mul_lo_u32 v32, v29, s26
	s_delay_alu instid0(VALU_DEP_1) | instskip(NEXT) | instid1(VALU_DEP_1)
	v_dual_add_nc_u32 v33, 1, v29 :: v_dual_sub_nc_u32 v32, v30, v32
	v_subrev_nc_u32_e32 v34, s26, v32
	v_cmp_le_u32_e32 vcc_lo, s26, v32
	s_delay_alu instid0(VALU_DEP_2) | instskip(NEXT) | instid1(VALU_DEP_1)
	v_dual_cndmask_b32 v32, v32, v34 :: v_dual_cndmask_b32 v29, v29, v33
	v_cmp_le_u32_e32 vcc_lo, s26, v32
	s_delay_alu instid0(VALU_DEP_2) | instskip(NEXT) | instid1(VALU_DEP_1)
	v_add_nc_u32_e32 v33, 1, v29
	v_dual_cndmask_b32 v32, v29, v33 :: v_dual_mov_b32 v33, v28
	s_branch .LBB24_167
.LBB24_172:
	s_or_b32 exec_lo, exec_lo, s46
	s_mov_b32 s21, -1
	s_mov_b32 s7, 0
	s_mov_b32 s1, exec_lo
	v_cmpx_gt_i64_e64 v[24:25], v[22:23]
	s_cbranch_execz .LBB24_178
; %bb.173:
	s_delay_alu instid0(VALU_DEP_2) | instskip(SKIP_1) | instid1(VALU_DEP_1)
	v_lshlrev_b64_e32 v[26:27], 3, v[26:27]
	s_xor_b32 s21, s15, -1
                                        ; implicit-def: $sgpr20
                                        ; implicit-def: $sgpr23
                                        ; implicit-def: $sgpr22
	v_lshl_add_u64 v[22:23], v[22:23], 3, v[26:27]
	v_add_nc_u64_e32 v[26:27], s[2:3], v[26:27]
	s_delay_alu instid0(VALU_DEP_2) | instskip(NEXT) | instid1(VALU_DEP_2)
	v_add_nc_u64_e32 v[22:23], s[2:3], v[22:23]
	v_lshl_add_u64 v[24:25], v[24:25], 3, v[26:27]
	s_delay_alu instid0(VALU_DEP_2)
	v_add_nc_u64_e32 v[22:23], 8, v[22:23]
	s_branch .LBB24_175
.LBB24_174:                             ;   in Loop: Header=BB24_175 Depth=1
	s_or_b32 exec_lo, exec_lo, s24
	s_delay_alu instid0(SALU_CYCLE_1) | instskip(NEXT) | instid1(SALU_CYCLE_1)
	s_and_b32 s24, exec_lo, s23
	s_or_b32 s7, s24, s7
	s_and_not1_b32 s20, s20, exec_lo
	s_and_b32 s24, s22, exec_lo
	s_delay_alu instid0(SALU_CYCLE_1)
	s_or_b32 s20, s20, s24
	s_and_not1_b32 exec_lo, exec_lo, s7
	s_cbranch_execz .LBB24_177
.LBB24_175:                             ; =>This Inner Loop Header: Depth=1
	s_or_b32 s22, s22, exec_lo
	s_or_b32 s23, s23, exec_lo
	s_mov_b32 s24, exec_lo
	s_delay_alu instid0(VALU_DEP_1)
	v_cmpx_lt_u64_e64 v[22:23], v[24:25]
	s_cbranch_execz .LBB24_174
; %bb.176:                              ;   in Loop: Header=BB24_175 Depth=1
	global_load_b128 v[26:29], v[22:23], off offset:-8
	s_wait_xcnt 0x0
	v_add_nc_u64_e32 v[22:23], 8, v[22:23]
	s_and_not1_b32 s23, s23, exec_lo
	s_and_not1_b32 s22, s22, exec_lo
	s_wait_loadcnt 0x0
	v_cmp_ge_i64_e32 vcc_lo, v[26:27], v[28:29]
	s_or_b32 s25, s21, vcc_lo
	s_delay_alu instid0(SALU_CYCLE_1) | instskip(NEXT) | instid1(SALU_CYCLE_1)
	s_and_b32 s25, s25, exec_lo
	s_or_b32 s23, s23, s25
	s_branch .LBB24_174
.LBB24_177:
	s_or_b32 exec_lo, exec_lo, s7
	s_delay_alu instid0(SALU_CYCLE_1)
	s_mov_b32 s7, exec_lo
	s_or_not1_b32 s21, s20, exec_lo
.LBB24_178:
	s_or_b32 exec_lo, exec_lo, s1
	s_delay_alu instid0(SALU_CYCLE_1)
	s_and_b32 s20, s7, exec_lo
	s_xor_b32 s7, exec_lo, -1
	s_and_b32 s1, s21, exec_lo
.LBB24_179:
	s_or_b32 exec_lo, exec_lo, s45
	s_delay_alu instid0(SALU_CYCLE_1)
	s_and_not1_b32 s21, s39, exec_lo
	s_and_b32 s7, s7, exec_lo
	s_and_b32 s20, s20, exec_lo
	s_or_b32 s21, s21, s7
	s_xor_b32 s7, exec_lo, -1
	s_and_b32 s1, s1, exec_lo
.LBB24_180:
	s_or_b32 exec_lo, exec_lo, s44
	s_delay_alu instid0(SALU_CYCLE_1)
	s_and_not1_b32 s22, s39, exec_lo
	s_and_b32 s21, s21, exec_lo
	s_and_not1_b32 s23, s41, exec_lo
	s_and_b32 s7, s7, exec_lo
	s_and_b32 s20, s20, exec_lo
	s_or_b32 s22, s22, s21
	s_or_b32 s21, s23, s7
	s_xor_b32 s7, exec_lo, -1
	s_and_b32 s1, s1, exec_lo
.LBB24_181:
	s_or_b32 exec_lo, exec_lo, s40
	s_delay_alu instid0(SALU_CYCLE_1)
	s_and_not1_b32 s23, s39, exec_lo
	s_and_b32 s22, s22, exec_lo
	s_and_b32 s40, s20, exec_lo
	s_or_b32 s45, s23, s22
	s_and_not1_b32 s20, s41, exec_lo
	s_and_b32 s21, s21, exec_lo
	s_and_not1_b32 s22, s42, exec_lo
	s_and_b32 s7, s7, exec_lo
	s_or_b32 s46, s20, s21
	s_or_b32 s44, s22, s7
	s_or_not1_b32 s1, s1, exec_lo
.LBB24_182:
	s_or_b32 exec_lo, exec_lo, s47
	s_mov_b32 s21, 0
	s_and_saveexec_b32 s47, s1
	s_cbranch_execz .LBB24_209
; %bb.183:
	s_wait_loadcnt 0x4
	v_or_b32_e32 v22, 0x200, v0
	s_mov_b32 s23, -1
	s_mov_b32 s48, 0
	s_mov_b32 s1, s44
	;; [unrolled: 1-line block ×4, first 2 shown]
	s_mov_b32 s49, exec_lo
	v_cmpx_gt_i32_e64 s33, v22
	s_cbranch_execz .LBB24_204
; %bb.184:
	s_wait_loadcnt 0x3
	v_cmp_eq_u64_e32 vcc_lo, s[8:9], v[20:21]
	s_mov_b32 s1, -1
	s_mov_b32 s22, 0
	s_mov_b32 s23, s46
	;; [unrolled: 1-line block ×4, first 2 shown]
	s_and_b32 s20, s38, vcc_lo
	s_delay_alu instid0(SALU_CYCLE_1)
	s_and_saveexec_b32 s50, s20
	s_cbranch_execz .LBB24_203
; %bb.185:
	s_wait_loadcnt 0x2
	v_cmp_eq_u64_e32 vcc_lo, s[12:13], v[16:17]
	s_mov_b32 s20, 0
	s_mov_b32 s21, s45
	s_and_b32 s7, s36, vcc_lo
	s_delay_alu instid0(SALU_CYCLE_1)
	s_and_saveexec_b32 s51, s7
	s_cbranch_execz .LBB24_202
; %bb.186:
	s_wait_loadcnt 0x1
	v_sub_nc_u64_e32 v[22:23], v[14:15], v[12:13]
	s_mov_b32 s20, -1
	s_mov_b32 s7, 0
	s_delay_alu instid0(VALU_DEP_1) | instskip(SKIP_2) | instid1(SALU_CYCLE_1)
	v_cmp_le_i64_e32 vcc_lo, v[20:21], v[22:23]
	v_cmp_ge_i64_e64 s1, s[10:11], v[22:23]
	s_and_b32 s1, vcc_lo, s1
	s_and_b32 s21, s35, s1
	s_mov_b32 s1, 0
	s_and_saveexec_b32 s52, s21
	s_cbranch_execz .LBB24_201
; %bb.187:
	v_cmp_lt_i64_e32 vcc_lo, 0, v[16:17]
	v_mov_b64_e32 v[20:21], 0
	s_and_b32 s1, vcc_lo, s34
	s_delay_alu instid0(SALU_CYCLE_1)
	s_and_saveexec_b32 s53, s1
	s_cbranch_execz .LBB24_194
; %bb.188:
	s_wait_loadcnt 0x0
	v_mul_u64_e32 v[18:19], v[18:19], v[16:17]
	s_ashr_i32 s7, s6, 31
	v_mov_b64_e32 v[20:21], 0
	s_lshl_b64 s[22:23], s[6:7], 3
	v_mov_b32_e32 v16, 0
	s_add_nc_u64 s[22:23], s[18:19], s[22:23]
	s_mov_b64 s[20:21], 0xffffffff
	s_add_nc_u64 s[22:23], s[22:23], 32
	s_mov_b32 s25, 0
	s_mov_b32 s7, s14
	s_branch .LBB24_190
.LBB24_189:                             ;   in Loop: Header=BB24_190 Depth=1
	s_or_b32 exec_lo, exec_lo, s1
	s_delay_alu instid0(VALU_DEP_1)
	v_mul_u64_e32 v[24:25], s[26:27], v[22:23]
	s_load_b64 s[26:27], s[22:23], 0x40
	s_add_co_i32 s7, s7, -1
	s_wait_xcnt 0x0
	s_add_nc_u64 s[22:23], s[22:23], -8
	s_cmp_lg_u32 s7, 0
	s_delay_alu instid0(VALU_DEP_1) | instskip(SKIP_1) | instid1(VALU_DEP_1)
	v_sub_nc_u64_e32 v[18:19], v[18:19], v[24:25]
	s_wait_kmcnt 0x0
	v_mad_nc_u64_u32 v[20:21], v18, s26, v[20:21]
	s_delay_alu instid0(VALU_DEP_1) | instskip(NEXT) | instid1(VALU_DEP_1)
	v_mad_u32 v17, v19, s26, v21
	v_mad_u32 v21, v18, s27, v17
	v_mov_b64_e32 v[18:19], v[22:23]
	s_cbranch_scc0 .LBB24_194
.LBB24_190:                             ; =>This Inner Loop Header: Depth=1
	s_load_b64 s[26:27], s[22:23], 0x0
                                        ; implicit-def: $vgpr22_vgpr23
	s_mov_b32 s1, exec_lo
	s_wait_kmcnt 0x0
	s_delay_alu instid0(VALU_DEP_1) | instskip(NEXT) | instid1(VALU_DEP_1)
	v_or_b32_e32 v17, s27, v19
	v_cmpx_ne_u64_e32 0, v[16:17]
	s_xor_b32 s54, exec_lo, s1
	s_cbranch_execz .LBB24_192
; %bb.191:                              ;   in Loop: Header=BB24_190 Depth=1
	s_ashr_i32 s28, s27, 31
	v_dual_mov_b32 v27, v16 :: v_dual_ashrrev_i32 v22, 31, v19
	s_mov_b32 s29, s28
	s_delay_alu instid0(SALU_CYCLE_1) | instskip(NEXT) | instid1(VALU_DEP_1)
	s_add_nc_u64 s[30:31], s[26:27], s[28:29]
	v_mov_b32_e32 v23, v22
	s_xor_b64 s[30:31], s[30:31], s[28:29]
	s_delay_alu instid0(SALU_CYCLE_1)
	s_cvt_f32_u32 s1, s30
	s_cvt_f32_u32 s24, s31
	s_sub_nc_u64 s[58:59], 0, s[30:31]
	v_add_nc_u64_e32 v[24:25], v[18:19], v[22:23]
	v_mov_b32_e32 v31, v16
	s_fmamk_f32 s1, s24, 0x4f800000, s1
	s_delay_alu instid0(SALU_CYCLE_3) | instskip(NEXT) | instid1(VALU_DEP_2)
	v_s_rcp_f32 s1, s1
	v_xor_b32_e32 v26, v24, v22
	s_delay_alu instid0(VALU_DEP_3) | instskip(SKIP_1) | instid1(TRANS32_DEP_1)
	v_dual_mov_b32 v35, v16 :: v_dual_bitop2_b32 v30, v25, v22 bitop3:0x14
	v_xor_b32_e32 v22, s28, v22
	s_mul_f32 s1, s1, 0x5f7ffffc
	s_delay_alu instid0(SALU_CYCLE_3) | instskip(NEXT) | instid1(SALU_CYCLE_3)
	s_mul_f32 s24, s1, 0x2f800000
	s_trunc_f32 s24, s24
	s_delay_alu instid0(SALU_CYCLE_3) | instskip(SKIP_1) | instid1(SALU_CYCLE_2)
	s_fmamk_f32 s1, s24, 0xcf800000, s1
	s_cvt_u32_f32 s57, s24
	s_cvt_u32_f32 s56, s1
	s_delay_alu instid0(SALU_CYCLE_3) | instskip(NEXT) | instid1(SALU_CYCLE_1)
	s_mul_u64 s[60:61], s[58:59], s[56:57]
	s_mul_hi_u32 s63, s56, s61
	s_mul_i32 s62, s56, s61
	s_mul_hi_u32 s24, s56, s60
	s_mul_i32 s29, s57, s60
	s_add_nc_u64 s[62:63], s[24:25], s[62:63]
	s_mul_hi_u32 s1, s57, s60
	s_mul_hi_u32 s55, s57, s61
	s_add_co_u32 s24, s62, s29
	s_add_co_ci_u32 s24, s63, s1
	s_mul_i32 s60, s57, s61
	s_add_co_ci_u32 s61, s55, 0
	s_delay_alu instid0(SALU_CYCLE_1) | instskip(NEXT) | instid1(SALU_CYCLE_1)
	s_add_nc_u64 s[60:61], s[24:25], s[60:61]
	s_add_co_u32 s56, s56, s60
	s_cselect_b32 s1, -1, 0
	s_delay_alu instid0(SALU_CYCLE_1) | instskip(SKIP_1) | instid1(SALU_CYCLE_1)
	s_cmp_lg_u32 s1, 0
	s_add_co_ci_u32 s57, s57, s61
	s_mul_u64 s[58:59], s[58:59], s[56:57]
	s_delay_alu instid0(SALU_CYCLE_1)
	s_mul_hi_u32 s61, s56, s59
	s_mul_i32 s60, s56, s59
	s_mul_hi_u32 s24, s56, s58
	s_mul_i32 s29, s57, s58
	s_add_nc_u64 s[60:61], s[24:25], s[60:61]
	s_mul_hi_u32 s1, s57, s58
	s_mul_hi_u32 s55, s57, s59
	s_add_co_u32 s24, s60, s29
	s_add_co_ci_u32 s24, s61, s1
	s_mul_i32 s58, s57, s59
	s_add_co_ci_u32 s59, s55, 0
	s_delay_alu instid0(SALU_CYCLE_1) | instskip(NEXT) | instid1(SALU_CYCLE_1)
	s_add_nc_u64 s[58:59], s[24:25], s[58:59]
	s_add_co_u32 s56, s56, s58
	s_cselect_b32 s1, -1, 0
	v_mul_hi_u32 v34, v26, s56
	s_cmp_lg_u32 s1, 0
	s_add_co_ci_u32 s24, s57, s59
	s_and_b64 s[58:59], s[56:57], s[20:21]
	v_mul_u64_e32 v[28:29], s[24:25], v[26:27]
	v_mul_u64_e32 v[24:25], s[58:59], v[30:31]
	;; [unrolled: 1-line block ×3, first 2 shown]
	s_delay_alu instid0(VALU_DEP_3) | instskip(NEXT) | instid1(VALU_DEP_1)
	v_add_nc_u64_e32 v[28:29], v[34:35], v[28:29]
	v_add_co_u32 v17, vcc_lo, v28, v24
	s_delay_alu instid0(VALU_DEP_2) | instskip(NEXT) | instid1(VALU_DEP_4)
	v_add_co_ci_u32_e32 v34, vcc_lo, v29, v25, vcc_lo
	v_add_co_ci_u32_e32 v33, vcc_lo, 0, v33, vcc_lo
	s_delay_alu instid0(VALU_DEP_1) | instskip(NEXT) | instid1(VALU_DEP_1)
	v_add_nc_u64_e32 v[24:25], v[34:35], v[32:33]
	v_mul_u64_e32 v[28:29], s[30:31], v[24:25]
	s_delay_alu instid0(VALU_DEP_1) | instskip(NEXT) | instid1(VALU_DEP_2)
	v_sub_nc_u32_e32 v17, v30, v29
	v_sub_co_u32 v23, vcc_lo, v26, v28
	s_delay_alu instid0(VALU_DEP_1) | instskip(NEXT) | instid1(VALU_DEP_3)
	v_sub_co_ci_u32_e64 v30, null, v30, v29, vcc_lo
	v_subrev_co_ci_u32_e64 v17, null, s31, v17, vcc_lo
	s_delay_alu instid0(VALU_DEP_3) | instskip(SKIP_1) | instid1(VALU_DEP_3)
	v_sub_co_u32 v26, s1, v23, s30
	v_add_nc_u64_e32 v[28:29], 1, v[24:25]
	v_subrev_co_ci_u32_e64 v17, null, 0, v17, s1
	s_delay_alu instid0(VALU_DEP_3) | instskip(SKIP_1) | instid1(VALU_DEP_3)
	v_cmp_le_u32_e32 vcc_lo, s30, v26
	v_cndmask_b32_e64 v26, 0, -1, vcc_lo
	v_cmp_le_u32_e32 vcc_lo, s31, v17
	v_cndmask_b32_e64 v27, 0, -1, vcc_lo
	;; [unrolled: 2-line block ×4, first 2 shown]
	v_cmp_eq_u32_e32 vcc_lo, s31, v17
	v_cndmask_b32_e32 v17, v27, v26, vcc_lo
	v_cmp_eq_u32_e32 vcc_lo, s31, v30
	v_add_nc_u64_e32 v[26:27], 2, v[24:25]
	v_cndmask_b32_e32 v23, v31, v23, vcc_lo
	s_delay_alu instid0(VALU_DEP_4) | instskip(NEXT) | instid1(VALU_DEP_2)
	v_cmp_ne_u32_e32 vcc_lo, 0, v17
	v_cmp_ne_u32_e64 s1, 0, v23
	s_delay_alu instid0(VALU_DEP_4) | instskip(NEXT) | instid1(VALU_DEP_1)
	v_dual_cndmask_b32 v17, v29, v27, vcc_lo :: v_dual_cndmask_b32 v23, v28, v26, vcc_lo
	v_dual_cndmask_b32 v24, v24, v23, s1 :: v_dual_mov_b32 v23, v22
	s_delay_alu instid0(VALU_DEP_1) | instskip(NEXT) | instid1(VALU_DEP_1)
	v_dual_cndmask_b32 v17, v25, v17, s1 :: v_dual_bitop2_b32 v24, v24, v22 bitop3:0x14
	v_xor_b32_e32 v25, v17, v22
	s_delay_alu instid0(VALU_DEP_1)
	v_sub_nc_u64_e32 v[22:23], v[24:25], v[22:23]
.LBB24_192:                             ;   in Loop: Header=BB24_190 Depth=1
	s_and_not1_saveexec_b32 s1, s54
	s_cbranch_execz .LBB24_189
; %bb.193:                              ;   in Loop: Header=BB24_190 Depth=1
	v_cvt_f32_u32_e32 v17, s26
	s_sub_co_i32 s24, 0, s26
	s_delay_alu instid0(VALU_DEP_1) | instskip(SKIP_1) | instid1(TRANS32_DEP_1)
	v_rcp_iflag_f32_e32 v17, v17
	v_nop
	v_mul_f32_e32 v17, 0x4f7ffffe, v17
	s_delay_alu instid0(VALU_DEP_1) | instskip(NEXT) | instid1(VALU_DEP_1)
	v_cvt_u32_f32_e32 v17, v17
	v_mul_lo_u32 v22, s24, v17
	s_delay_alu instid0(VALU_DEP_1) | instskip(NEXT) | instid1(VALU_DEP_1)
	v_mul_hi_u32 v22, v17, v22
	v_add_nc_u32_e32 v17, v17, v22
	s_delay_alu instid0(VALU_DEP_1) | instskip(NEXT) | instid1(VALU_DEP_1)
	v_mul_hi_u32 v17, v18, v17
	v_mul_lo_u32 v22, v17, s26
	s_delay_alu instid0(VALU_DEP_1) | instskip(NEXT) | instid1(VALU_DEP_1)
	v_dual_add_nc_u32 v23, 1, v17 :: v_dual_sub_nc_u32 v22, v18, v22
	v_subrev_nc_u32_e32 v24, s26, v22
	v_cmp_le_u32_e32 vcc_lo, s26, v22
	s_delay_alu instid0(VALU_DEP_2) | instskip(NEXT) | instid1(VALU_DEP_1)
	v_dual_cndmask_b32 v22, v22, v24 :: v_dual_cndmask_b32 v17, v17, v23
	v_cmp_le_u32_e32 vcc_lo, s26, v22
	s_delay_alu instid0(VALU_DEP_2) | instskip(NEXT) | instid1(VALU_DEP_1)
	v_add_nc_u32_e32 v23, 1, v17
	v_dual_cndmask_b32 v22, v17, v23 :: v_dual_mov_b32 v23, v16
	s_branch .LBB24_189
.LBB24_194:
	s_or_b32 exec_lo, exec_lo, s53
	s_mov_b32 s7, -1
	s_mov_b32 s21, 0
	s_mov_b32 s1, exec_lo
	v_cmpx_gt_i64_e64 v[14:15], v[12:13]
	s_cbranch_execz .LBB24_200
; %bb.195:
	s_delay_alu instid0(VALU_DEP_2) | instskip(SKIP_2) | instid1(VALU_DEP_1)
	v_lshlrev_b64_e32 v[16:17], 3, v[20:21]
	s_mov_b32 s7, 0
	s_xor_b32 s21, s15, -1
                                        ; implicit-def: $sgpr20
                                        ; implicit-def: $sgpr23
                                        ; implicit-def: $sgpr22
	v_lshl_add_u64 v[12:13], v[12:13], 3, v[16:17]
	v_add_nc_u64_e32 v[16:17], s[2:3], v[16:17]
	s_delay_alu instid0(VALU_DEP_2) | instskip(NEXT) | instid1(VALU_DEP_2)
	v_add_nc_u64_e32 v[12:13], s[2:3], v[12:13]
	v_lshl_add_u64 v[14:15], v[14:15], 3, v[16:17]
	s_delay_alu instid0(VALU_DEP_2)
	v_add_nc_u64_e32 v[12:13], 8, v[12:13]
	s_branch .LBB24_197
.LBB24_196:                             ;   in Loop: Header=BB24_197 Depth=1
	s_or_b32 exec_lo, exec_lo, s24
	s_delay_alu instid0(SALU_CYCLE_1) | instskip(NEXT) | instid1(SALU_CYCLE_1)
	s_and_b32 s24, exec_lo, s23
	s_or_b32 s7, s24, s7
	s_and_not1_b32 s20, s20, exec_lo
	s_and_b32 s24, s22, exec_lo
	s_delay_alu instid0(SALU_CYCLE_1)
	s_or_b32 s20, s20, s24
	s_and_not1_b32 exec_lo, exec_lo, s7
	s_cbranch_execz .LBB24_199
.LBB24_197:                             ; =>This Inner Loop Header: Depth=1
	s_or_b32 s22, s22, exec_lo
	s_or_b32 s23, s23, exec_lo
	s_mov_b32 s24, exec_lo
	s_delay_alu instid0(VALU_DEP_1)
	v_cmpx_lt_u64_e64 v[12:13], v[14:15]
	s_cbranch_execz .LBB24_196
; %bb.198:                              ;   in Loop: Header=BB24_197 Depth=1
	s_wait_loadcnt 0x0
	global_load_b128 v[16:19], v[12:13], off offset:-8
	s_wait_xcnt 0x0
	v_add_nc_u64_e32 v[12:13], 8, v[12:13]
	s_and_not1_b32 s23, s23, exec_lo
	s_and_not1_b32 s22, s22, exec_lo
	s_wait_loadcnt 0x0
	v_cmp_ge_i64_e32 vcc_lo, v[16:17], v[18:19]
	s_or_b32 s25, s21, vcc_lo
	s_delay_alu instid0(SALU_CYCLE_1) | instskip(NEXT) | instid1(SALU_CYCLE_1)
	s_and_b32 s25, s25, exec_lo
	s_or_b32 s23, s23, s25
	s_branch .LBB24_196
.LBB24_199:
	s_or_b32 exec_lo, exec_lo, s7
	s_delay_alu instid0(SALU_CYCLE_1)
	s_mov_b32 s21, exec_lo
	s_or_not1_b32 s7, s20, exec_lo
.LBB24_200:
	s_or_b32 exec_lo, exec_lo, s1
	s_delay_alu instid0(SALU_CYCLE_1)
	s_and_b32 s1, s21, exec_lo
	s_xor_b32 s20, exec_lo, -1
	s_and_b32 s7, s7, exec_lo
.LBB24_201:
	s_or_b32 exec_lo, exec_lo, s52
	s_delay_alu instid0(SALU_CYCLE_1)
	s_and_not1_b32 s21, s45, exec_lo
	s_and_b32 s20, s20, exec_lo
	s_and_b32 s22, s1, exec_lo
	s_or_b32 s21, s21, s20
	s_xor_b32 s1, exec_lo, -1
	s_and_b32 s20, s7, exec_lo
.LBB24_202:
	s_or_b32 exec_lo, exec_lo, s51
	s_delay_alu instid0(SALU_CYCLE_1)
	s_and_b32 s7, s22, exec_lo
	s_and_not1_b32 s22, s45, exec_lo
	s_and_b32 s21, s21, exec_lo
	s_and_not1_b32 s23, s46, exec_lo
	s_and_b32 s1, s1, exec_lo
	s_or_b32 s21, s22, s21
	s_or_b32 s23, s23, s1
	s_xor_b32 s1, exec_lo, -1
	s_and_b32 s22, s20, exec_lo
.LBB24_203:
	s_or_b32 exec_lo, exec_lo, s50
	s_delay_alu instid0(SALU_CYCLE_1)
	s_and_not1_b32 s20, s45, exec_lo
	s_and_b32 s24, s21, exec_lo
	s_and_b32 s21, s7, exec_lo
	s_or_b32 s7, s20, s24
	s_and_not1_b32 s20, s46, exec_lo
	s_and_b32 s23, s23, exec_lo
	s_and_not1_b32 s24, s44, exec_lo
	s_and_b32 s1, s1, exec_lo
	s_or_b32 s20, s20, s23
	s_or_b32 s1, s24, s1
	s_or_not1_b32 s23, s22, exec_lo
.LBB24_204:
	s_or_b32 exec_lo, exec_lo, s49
	s_mov_b32 s24, 0
	s_and_saveexec_b32 s22, s23
	s_cbranch_execz .LBB24_208
; %bb.205:
	v_or_b32_e32 v12, 0x300, v0
	s_mov_b32 s23, 0
	s_mov_b32 s24, -1
	s_mov_b32 s25, s1
	s_mov_b32 s26, exec_lo
	v_cmpx_gt_i32_e64 s33, v12
	s_xor_b32 s26, exec_lo, s26
	s_cbranch_execz .LBB24_207
; %bb.206:
	s_wait_loadcnt 0x3
	v_cmp_ne_u64_e32 vcc_lo, s[8:9], v[10:11]
	s_xor_b32 s8, s38, -1
	s_and_not1_b32 s9, s1, exec_lo
	s_mov_b32 s23, exec_lo
	s_xor_b32 s24, exec_lo, -1
	s_or_b32 s8, s8, vcc_lo
	s_delay_alu instid0(SALU_CYCLE_1) | instskip(NEXT) | instid1(SALU_CYCLE_1)
	s_and_b32 s8, s8, exec_lo
	s_or_b32 s25, s9, s8
.LBB24_207:
	s_or_b32 exec_lo, exec_lo, s26
	s_delay_alu instid0(SALU_CYCLE_1)
	s_and_not1_b32 s1, s1, exec_lo
	s_and_b32 s8, s25, exec_lo
	s_and_b32 s24, s24, exec_lo
	s_and_not1_b32 s21, s21, exec_lo
	s_and_b32 s48, s23, exec_lo
	s_or_b32 s1, s1, s8
.LBB24_208:
	s_or_b32 exec_lo, exec_lo, s22
	s_delay_alu instid0(SALU_CYCLE_1)
	s_and_not1_b32 s8, s40, exec_lo
	s_and_b32 s9, s21, exec_lo
	s_and_b32 s7, s7, exec_lo
	s_or_b32 s40, s8, s9
	s_and_not1_b32 s8, s45, exec_lo
	s_and_not1_b32 s9, s46, exec_lo
	s_and_b32 s20, s20, exec_lo
	s_or_b32 s45, s8, s7
	s_and_not1_b32 s7, s44, exec_lo
	s_and_b32 s1, s1, exec_lo
	s_and_b32 s21, s24, exec_lo
	s_or_b32 s46, s9, s20
	s_and_b32 s48, s48, exec_lo
	s_or_b32 s44, s7, s1
.LBB24_209:
	s_or_b32 exec_lo, exec_lo, s47
	s_delay_alu instid0(SALU_CYCLE_1)
	s_and_not1_b32 s1, s37, exec_lo
	s_and_b32 s7, s40, exec_lo
	s_and_not1_b32 s8, s41, exec_lo
	s_or_b32 s37, s1, s7
	s_and_not1_b32 s1, s39, exec_lo
	s_and_b32 s7, s45, exec_lo
	s_and_b32 s9, s46, exec_lo
	s_or_b32 s39, s1, s7
	s_and_not1_b32 s1, s42, exec_lo
	s_and_b32 s7, s44, exec_lo
	s_and_b32 s40, s21, exec_lo
	s_or_b32 s41, s8, s9
	s_and_b32 s44, s48, exec_lo
	s_or_b32 s42, s1, s7
	s_or_b32 exec_lo, exec_lo, s43
	s_and_saveexec_b32 s1, s42
	s_cbranch_execz .LBB24_87
.LBB24_210:
	s_or_b32 s17, s17, exec_lo
	s_and_not1_b32 s44, s44, exec_lo
	s_trap 2
	s_branch .LBB24_87
.LBB24_211:
	s_mov_b32 s17, exec_lo
	s_and_not1_b32 s28, s28, exec_lo
	s_trap 2
	s_branch .LBB24_65
.LBB24_212:
	s_or_b32 s17, s17, exec_lo
	s_and_not1_b32 s29, s29, exec_lo
	s_trap 2
	s_branch .LBB24_68
.LBB24_213:
	s_or_b32 s17, s17, exec_lo
	s_and_not1_b32 s1, s1, exec_lo
	s_trap 2
	s_branch .LBB24_90
	.section	.rodata,"a",@progbits
	.p2align	6, 0x0
	.amdhsa_kernel _ZN2at6native29vectorized_elementwise_kernelILi16EZZZNS0_12_GLOBAL__N_142_validate_compressed_sparse_indices_kernelILNS2_8CDimNameE0ENS2_18CUDAKernelLauncherENS2_14EmptyVecKernelENS2_8DummyVecELm8EEEvRKNS_6TensorESA_lllENKUlvE1_clEvENKUlvE0_clEvEUllllllE_St5arrayIPcLm6EEEEviT0_T1_
		.amdhsa_group_segment_fixed_size 0
		.amdhsa_private_segment_fixed_size 0
		.amdhsa_kernarg_size 224
		.amdhsa_user_sgpr_count 2
		.amdhsa_user_sgpr_dispatch_ptr 0
		.amdhsa_user_sgpr_queue_ptr 0
		.amdhsa_user_sgpr_kernarg_segment_ptr 1
		.amdhsa_user_sgpr_dispatch_id 0
		.amdhsa_user_sgpr_kernarg_preload_length 0
		.amdhsa_user_sgpr_kernarg_preload_offset 0
		.amdhsa_user_sgpr_private_segment_size 0
		.amdhsa_wavefront_size32 1
		.amdhsa_uses_dynamic_stack 0
		.amdhsa_enable_private_segment 0
		.amdhsa_system_sgpr_workgroup_id_x 1
		.amdhsa_system_sgpr_workgroup_id_y 0
		.amdhsa_system_sgpr_workgroup_id_z 0
		.amdhsa_system_sgpr_workgroup_info 0
		.amdhsa_system_vgpr_workitem_id 0
		.amdhsa_next_free_vgpr 60
		.amdhsa_next_free_sgpr 69
		.amdhsa_named_barrier_count 0
		.amdhsa_reserve_vcc 1
		.amdhsa_float_round_mode_32 0
		.amdhsa_float_round_mode_16_64 0
		.amdhsa_float_denorm_mode_32 3
		.amdhsa_float_denorm_mode_16_64 3
		.amdhsa_fp16_overflow 0
		.amdhsa_memory_ordered 1
		.amdhsa_forward_progress 1
		.amdhsa_inst_pref_size 103
		.amdhsa_round_robin_scheduling 0
		.amdhsa_exception_fp_ieee_invalid_op 0
		.amdhsa_exception_fp_denorm_src 0
		.amdhsa_exception_fp_ieee_div_zero 0
		.amdhsa_exception_fp_ieee_overflow 0
		.amdhsa_exception_fp_ieee_underflow 0
		.amdhsa_exception_fp_ieee_inexact 0
		.amdhsa_exception_int_div_zero 0
	.end_amdhsa_kernel
	.section	.text._ZN2at6native29vectorized_elementwise_kernelILi16EZZZNS0_12_GLOBAL__N_142_validate_compressed_sparse_indices_kernelILNS2_8CDimNameE0ENS2_18CUDAKernelLauncherENS2_14EmptyVecKernelENS2_8DummyVecELm8EEEvRKNS_6TensorESA_lllENKUlvE1_clEvENKUlvE0_clEvEUllllllE_St5arrayIPcLm6EEEEviT0_T1_,"axG",@progbits,_ZN2at6native29vectorized_elementwise_kernelILi16EZZZNS0_12_GLOBAL__N_142_validate_compressed_sparse_indices_kernelILNS2_8CDimNameE0ENS2_18CUDAKernelLauncherENS2_14EmptyVecKernelENS2_8DummyVecELm8EEEvRKNS_6TensorESA_lllENKUlvE1_clEvENKUlvE0_clEvEUllllllE_St5arrayIPcLm6EEEEviT0_T1_,comdat
.Lfunc_end24:
	.size	_ZN2at6native29vectorized_elementwise_kernelILi16EZZZNS0_12_GLOBAL__N_142_validate_compressed_sparse_indices_kernelILNS2_8CDimNameE0ENS2_18CUDAKernelLauncherENS2_14EmptyVecKernelENS2_8DummyVecELm8EEEvRKNS_6TensorESA_lllENKUlvE1_clEvENKUlvE0_clEvEUllllllE_St5arrayIPcLm6EEEEviT0_T1_, .Lfunc_end24-_ZN2at6native29vectorized_elementwise_kernelILi16EZZZNS0_12_GLOBAL__N_142_validate_compressed_sparse_indices_kernelILNS2_8CDimNameE0ENS2_18CUDAKernelLauncherENS2_14EmptyVecKernelENS2_8DummyVecELm8EEEvRKNS_6TensorESA_lllENKUlvE1_clEvENKUlvE0_clEvEUllllllE_St5arrayIPcLm6EEEEviT0_T1_
                                        ; -- End function
	.set _ZN2at6native29vectorized_elementwise_kernelILi16EZZZNS0_12_GLOBAL__N_142_validate_compressed_sparse_indices_kernelILNS2_8CDimNameE0ENS2_18CUDAKernelLauncherENS2_14EmptyVecKernelENS2_8DummyVecELm8EEEvRKNS_6TensorESA_lllENKUlvE1_clEvENKUlvE0_clEvEUllllllE_St5arrayIPcLm6EEEEviT0_T1_.num_vgpr, 60
	.set _ZN2at6native29vectorized_elementwise_kernelILi16EZZZNS0_12_GLOBAL__N_142_validate_compressed_sparse_indices_kernelILNS2_8CDimNameE0ENS2_18CUDAKernelLauncherENS2_14EmptyVecKernelENS2_8DummyVecELm8EEEvRKNS_6TensorESA_lllENKUlvE1_clEvENKUlvE0_clEvEUllllllE_St5arrayIPcLm6EEEEviT0_T1_.num_agpr, 0
	.set _ZN2at6native29vectorized_elementwise_kernelILi16EZZZNS0_12_GLOBAL__N_142_validate_compressed_sparse_indices_kernelILNS2_8CDimNameE0ENS2_18CUDAKernelLauncherENS2_14EmptyVecKernelENS2_8DummyVecELm8EEEvRKNS_6TensorESA_lllENKUlvE1_clEvENKUlvE0_clEvEUllllllE_St5arrayIPcLm6EEEEviT0_T1_.numbered_sgpr, 69
	.set _ZN2at6native29vectorized_elementwise_kernelILi16EZZZNS0_12_GLOBAL__N_142_validate_compressed_sparse_indices_kernelILNS2_8CDimNameE0ENS2_18CUDAKernelLauncherENS2_14EmptyVecKernelENS2_8DummyVecELm8EEEvRKNS_6TensorESA_lllENKUlvE1_clEvENKUlvE0_clEvEUllllllE_St5arrayIPcLm6EEEEviT0_T1_.num_named_barrier, 0
	.set _ZN2at6native29vectorized_elementwise_kernelILi16EZZZNS0_12_GLOBAL__N_142_validate_compressed_sparse_indices_kernelILNS2_8CDimNameE0ENS2_18CUDAKernelLauncherENS2_14EmptyVecKernelENS2_8DummyVecELm8EEEvRKNS_6TensorESA_lllENKUlvE1_clEvENKUlvE0_clEvEUllllllE_St5arrayIPcLm6EEEEviT0_T1_.private_seg_size, 0
	.set _ZN2at6native29vectorized_elementwise_kernelILi16EZZZNS0_12_GLOBAL__N_142_validate_compressed_sparse_indices_kernelILNS2_8CDimNameE0ENS2_18CUDAKernelLauncherENS2_14EmptyVecKernelENS2_8DummyVecELm8EEEvRKNS_6TensorESA_lllENKUlvE1_clEvENKUlvE0_clEvEUllllllE_St5arrayIPcLm6EEEEviT0_T1_.uses_vcc, 1
	.set _ZN2at6native29vectorized_elementwise_kernelILi16EZZZNS0_12_GLOBAL__N_142_validate_compressed_sparse_indices_kernelILNS2_8CDimNameE0ENS2_18CUDAKernelLauncherENS2_14EmptyVecKernelENS2_8DummyVecELm8EEEvRKNS_6TensorESA_lllENKUlvE1_clEvENKUlvE0_clEvEUllllllE_St5arrayIPcLm6EEEEviT0_T1_.uses_flat_scratch, 0
	.set _ZN2at6native29vectorized_elementwise_kernelILi16EZZZNS0_12_GLOBAL__N_142_validate_compressed_sparse_indices_kernelILNS2_8CDimNameE0ENS2_18CUDAKernelLauncherENS2_14EmptyVecKernelENS2_8DummyVecELm8EEEvRKNS_6TensorESA_lllENKUlvE1_clEvENKUlvE0_clEvEUllllllE_St5arrayIPcLm6EEEEviT0_T1_.has_dyn_sized_stack, 0
	.set _ZN2at6native29vectorized_elementwise_kernelILi16EZZZNS0_12_GLOBAL__N_142_validate_compressed_sparse_indices_kernelILNS2_8CDimNameE0ENS2_18CUDAKernelLauncherENS2_14EmptyVecKernelENS2_8DummyVecELm8EEEvRKNS_6TensorESA_lllENKUlvE1_clEvENKUlvE0_clEvEUllllllE_St5arrayIPcLm6EEEEviT0_T1_.has_recursion, 0
	.set _ZN2at6native29vectorized_elementwise_kernelILi16EZZZNS0_12_GLOBAL__N_142_validate_compressed_sparse_indices_kernelILNS2_8CDimNameE0ENS2_18CUDAKernelLauncherENS2_14EmptyVecKernelENS2_8DummyVecELm8EEEvRKNS_6TensorESA_lllENKUlvE1_clEvENKUlvE0_clEvEUllllllE_St5arrayIPcLm6EEEEviT0_T1_.has_indirect_call, 0
	.section	.AMDGPU.csdata,"",@progbits
; Kernel info:
; codeLenInByte = 13140
; TotalNumSgprs: 71
; NumVgprs: 60
; ScratchSize: 0
; MemoryBound: 1
; FloatMode: 240
; IeeeMode: 1
; LDSByteSize: 0 bytes/workgroup (compile time only)
; SGPRBlocks: 0
; VGPRBlocks: 3
; NumSGPRsForWavesPerEU: 71
; NumVGPRsForWavesPerEU: 60
; NamedBarCnt: 0
; Occupancy: 16
; WaveLimiterHint : 1
; COMPUTE_PGM_RSRC2:SCRATCH_EN: 0
; COMPUTE_PGM_RSRC2:USER_SGPR: 2
; COMPUTE_PGM_RSRC2:TRAP_HANDLER: 0
; COMPUTE_PGM_RSRC2:TGID_X_EN: 1
; COMPUTE_PGM_RSRC2:TGID_Y_EN: 0
; COMPUTE_PGM_RSRC2:TGID_Z_EN: 0
; COMPUTE_PGM_RSRC2:TIDIG_COMP_CNT: 0
	.section	.text._ZN2at6native29vectorized_elementwise_kernelILi8EZZZNS0_12_GLOBAL__N_142_validate_compressed_sparse_indices_kernelILNS2_8CDimNameE0ENS2_18CUDAKernelLauncherENS2_14EmptyVecKernelENS2_8DummyVecELm8EEEvRKNS_6TensorESA_lllENKUlvE1_clEvENKUlvE0_clEvEUllllllE_St5arrayIPcLm6EEEEviT0_T1_,"axG",@progbits,_ZN2at6native29vectorized_elementwise_kernelILi8EZZZNS0_12_GLOBAL__N_142_validate_compressed_sparse_indices_kernelILNS2_8CDimNameE0ENS2_18CUDAKernelLauncherENS2_14EmptyVecKernelENS2_8DummyVecELm8EEEvRKNS_6TensorESA_lllENKUlvE1_clEvENKUlvE0_clEvEUllllllE_St5arrayIPcLm6EEEEviT0_T1_,comdat
	.globl	_ZN2at6native29vectorized_elementwise_kernelILi8EZZZNS0_12_GLOBAL__N_142_validate_compressed_sparse_indices_kernelILNS2_8CDimNameE0ENS2_18CUDAKernelLauncherENS2_14EmptyVecKernelENS2_8DummyVecELm8EEEvRKNS_6TensorESA_lllENKUlvE1_clEvENKUlvE0_clEvEUllllllE_St5arrayIPcLm6EEEEviT0_T1_ ; -- Begin function _ZN2at6native29vectorized_elementwise_kernelILi8EZZZNS0_12_GLOBAL__N_142_validate_compressed_sparse_indices_kernelILNS2_8CDimNameE0ENS2_18CUDAKernelLauncherENS2_14EmptyVecKernelENS2_8DummyVecELm8EEEvRKNS_6TensorESA_lllENKUlvE1_clEvENKUlvE0_clEvEUllllllE_St5arrayIPcLm6EEEEviT0_T1_
	.p2align	8
	.type	_ZN2at6native29vectorized_elementwise_kernelILi8EZZZNS0_12_GLOBAL__N_142_validate_compressed_sparse_indices_kernelILNS2_8CDimNameE0ENS2_18CUDAKernelLauncherENS2_14EmptyVecKernelENS2_8DummyVecELm8EEEvRKNS_6TensorESA_lllENKUlvE1_clEvENKUlvE0_clEvEUllllllE_St5arrayIPcLm6EEEEviT0_T1_,@function
_ZN2at6native29vectorized_elementwise_kernelILi8EZZZNS0_12_GLOBAL__N_142_validate_compressed_sparse_indices_kernelILNS2_8CDimNameE0ENS2_18CUDAKernelLauncherENS2_14EmptyVecKernelENS2_8DummyVecELm8EEEvRKNS_6TensorESA_lllENKUlvE1_clEvENKUlvE0_clEvEUllllllE_St5arrayIPcLm6EEEEviT0_T1_: ; @_ZN2at6native29vectorized_elementwise_kernelILi8EZZZNS0_12_GLOBAL__N_142_validate_compressed_sparse_indices_kernelILNS2_8CDimNameE0ENS2_18CUDAKernelLauncherENS2_14EmptyVecKernelENS2_8DummyVecELm8EEEvRKNS_6TensorESA_lllENKUlvE1_clEvENKUlvE0_clEvEUllllllE_St5arrayIPcLm6EEEEviT0_T1_
; %bb.0:
	s_clause 0x2
	s_load_b32 s2, s[0:1], 0x0
	s_load_b128 s[12:15], s[0:1], 0xd0
	s_load_b256 s[4:11], s[0:1], 0xb0
	s_bfe_u32 s3, ttmp6, 0x4000c
	s_and_b32 s16, ttmp6, 15
	s_add_co_i32 s3, s3, 1
	s_getreg_b32 s17, hwreg(HW_REG_IB_STS2, 6, 4)
	s_mul_i32 s3, ttmp9, s3
	s_or_b64 s[18:19], s[0:1], 8
	s_add_co_i32 s16, s16, s3
	s_cmp_eq_u32 s17, 0
	s_mov_b32 s40, 0
	s_wait_xcnt 0x0
	s_cselect_b32 s0, ttmp9, s16
	s_mov_b32 s17, 0
	s_lshl_b32 s16, s0, 10
	s_mov_b32 s0, -1
	s_get_pc_i64 s[20:21]
	s_add_nc_u64 s[20:21], s[20:21], .str.1@rel64+4
	s_wait_kmcnt 0x0
	s_sub_co_i32 s33, s2, s16
	s_delay_alu instid0(SALU_CYCLE_1)
	s_cmp_gt_i32 s33, 0x3ff
	s_cbranch_scc0 .LBB25_75
; %bb.1:
	s_ashr_i32 s17, s16, 31
	v_lshlrev_b32_e32 v1, 5, v0
	s_lshl_b64 s[22:23], s[16:17], 3
	s_cmp_lg_u64 s[20:21], 0
	s_add_nc_u64 s[0:1], s[6:7], s[22:23]
	s_mov_b32 s29, -1
	s_clause 0x1
	global_load_b128 v[38:41], v1, s[0:1]
	global_load_b128 v[42:45], v1, s[0:1] offset:16
	s_wait_xcnt 0x0
	s_load_b128 s[0:3], s[18:19], 0x0
	s_mov_b32 s17, 0
	s_mov_b32 s28, 0
	;; [unrolled: 1-line block ×4, first 2 shown]
                                        ; implicit-def: $sgpr42
                                        ; implicit-def: $sgpr26
                                        ; implicit-def: $sgpr41
                                        ; implicit-def: $sgpr24_sgpr25
                                        ; implicit-def: $vgpr18_vgpr19_vgpr20_vgpr21_vgpr22_vgpr23_vgpr24_vgpr25
                                        ; implicit-def: $vgpr2_vgpr3_vgpr4_vgpr5_vgpr6_vgpr7_vgpr8_vgpr9
                                        ; implicit-def: $vgpr10_vgpr11_vgpr12_vgpr13_vgpr14_vgpr15_vgpr16_vgpr17
                                        ; implicit-def: $vgpr34_vgpr35
                                        ; implicit-def: $vgpr26_vgpr27_vgpr28_vgpr29_vgpr30_vgpr31_vgpr32_vgpr33
	s_wait_loadcnt 0x1
	s_wait_kmcnt 0x0
	v_cmp_eq_u64_e32 vcc_lo, s[0:1], v[38:39]
	s_cselect_b32 s1, -1, 0
	s_mov_b32 s0, 0
	s_and_b32 s30, s1, vcc_lo
                                        ; implicit-def: $sgpr1
	s_delay_alu instid0(SALU_CYCLE_1)
	s_and_saveexec_b32 s43, s30
	s_cbranch_execz .LBB25_64
; %bb.2:
	s_add_nc_u64 s[0:1], s[8:9], s[22:23]
	s_get_pc_i64 s[24:25]
	s_add_nc_u64 s[24:25], s[24:25], .str.2@rel64+4
	s_clause 0x1
	global_load_b128 v[34:37], v1, s[0:1]
	global_load_b128 v[30:33], v1, s[0:1] offset:16
	s_wait_xcnt 0x0
	s_load_b64 s[0:1], s[18:19], 0x10
	s_cmp_lg_u64 s[24:25], 0
	s_mov_b32 s29, 0
	s_mov_b32 s30, 0
                                        ; implicit-def: $sgpr31
                                        ; implicit-def: $sgpr42
                                        ; implicit-def: $sgpr26
                                        ; implicit-def: $sgpr41
                                        ; implicit-def: $sgpr24_sgpr25
                                        ; implicit-def: $vgpr18_vgpr19_vgpr20_vgpr21_vgpr22_vgpr23_vgpr24_vgpr25
                                        ; implicit-def: $vgpr2_vgpr3_vgpr4_vgpr5_vgpr6_vgpr7_vgpr8_vgpr9
                                        ; implicit-def: $vgpr10_vgpr11_vgpr12_vgpr13_vgpr14_vgpr15_vgpr16_vgpr17
	s_wait_loadcnt 0x1
	s_wait_kmcnt 0x0
	v_cmp_eq_u64_e32 vcc_lo, s[0:1], v[34:35]
	s_cselect_b32 s1, -1, 0
	s_mov_b32 s0, -1
	s_and_b32 s1, s1, vcc_lo
	s_delay_alu instid0(SALU_CYCLE_1)
	s_and_saveexec_b32 s44, s1
	s_cbranch_execz .LBB25_63
; %bb.3:
	s_add_nc_u64 s[0:1], s[12:13], s[22:23]
	s_add_nc_u64 s[24:25], s[10:11], s[22:23]
	s_clause 0x3
	global_load_b128 v[2:5], v1, s[0:1]
	global_load_b128 v[10:13], v1, s[24:25]
	global_load_b128 v[14:17], v1, s[24:25] offset:16
	global_load_b128 v[6:9], v1, s[0:1] offset:16
	s_wait_xcnt 0x1
	s_get_pc_i64 s[24:25]
	s_add_nc_u64 s[24:25], s[24:25], .str.3@rel64+4
	s_wait_xcnt 0x0
	s_mov_b32 s1, -1
	s_cmp_lg_u64 s[24:25], 0
	s_mov_b32 s34, 0
	s_cselect_b32 s24, -1, 0
                                        ; implicit-def: $sgpr30
                                        ; implicit-def: $sgpr42
                                        ; implicit-def: $sgpr26
                                        ; implicit-def: $sgpr41
	s_wait_loadcnt 0x2
	v_sub_nc_u64_e32 v[18:19], v[2:3], v[10:11]
	s_delay_alu instid0(VALU_DEP_1) | instskip(SKIP_2) | instid1(SALU_CYCLE_1)
	v_cmp_le_i64_e32 vcc_lo, v[38:39], v[18:19]
	v_cmp_ge_i64_e64 s0, s[2:3], v[18:19]
                                        ; implicit-def: $vgpr18_vgpr19_vgpr20_vgpr21_vgpr22_vgpr23_vgpr24_vgpr25
	s_and_b32 s0, vcc_lo, s0
	s_and_b32 s0, s24, s0
                                        ; implicit-def: $sgpr24_sgpr25
	s_delay_alu instid0(SALU_CYCLE_1)
	s_and_saveexec_b32 s45, s0
	s_cbranch_execz .LBB25_62
; %bb.4:
	s_add_nc_u64 s[0:1], s[14:15], s[22:23]
	v_cmp_lt_i64_e32 vcc_lo, 0, v[34:35]
	s_clause 0x1
	global_load_b128 v[22:25], v1, s[0:1] offset:16
	global_load_b128 v[18:21], v1, s[0:1]
	s_clause 0x1
	s_load_b32 s41, s[18:19], 0x18
	s_load_b64 s[24:25], s[18:19], 0xa0
	v_mov_b64_e32 v[26:27], 0
	s_wait_kmcnt 0x0
	s_add_co_i32 s26, s41, -1
	s_delay_alu instid0(SALU_CYCLE_1) | instskip(SKIP_1) | instid1(SALU_CYCLE_1)
	s_cmp_gt_i32 s26, -1
	s_cselect_b32 s0, -1, 0
	s_and_b32 s46, vcc_lo, s0
	s_delay_alu instid0(SALU_CYCLE_1)
	s_and_saveexec_b32 s42, s46
	s_cbranch_execz .LBB25_11
; %bb.5:
	s_wait_loadcnt 0x0
	v_mul_u64_e32 v[28:29], v[18:19], v[34:35]
	s_ashr_i32 s27, s26, 31
	v_mov_b64_e32 v[26:27], 0
	s_lshl_b64 s[0:1], s[26:27], 3
	v_mov_b32_e32 v18, 0
	s_add_nc_u64 s[0:1], s[18:19], s[0:1]
	s_mov_b64 s[28:29], 0xffffffff
	s_add_nc_u64 s[30:31], s[0:1], 32
	s_mov_b32 s1, 0
	s_mov_b32 s27, s41
	s_branch .LBB25_7
.LBB25_6:                               ;   in Loop: Header=BB25_7 Depth=1
	s_or_b32 exec_lo, exec_lo, s0
	s_delay_alu instid0(VALU_DEP_1)
	v_mul_u64_e32 v[48:49], s[34:35], v[46:47]
	s_load_b64 s[34:35], s[30:31], 0x40
	s_add_co_i32 s27, s27, -1
	s_wait_xcnt 0x0
	s_add_nc_u64 s[30:31], s[30:31], -8
	s_cmp_eq_u32 s27, 0
	s_delay_alu instid0(VALU_DEP_1) | instskip(SKIP_1) | instid1(VALU_DEP_1)
	v_sub_nc_u64_e32 v[28:29], v[28:29], v[48:49]
	s_wait_kmcnt 0x0
	v_mad_nc_u64_u32 v[26:27], v28, s34, v[26:27]
	s_delay_alu instid0(VALU_DEP_1) | instskip(NEXT) | instid1(VALU_DEP_1)
	v_mad_u32 v19, v29, s34, v27
	v_mad_u32 v27, v28, s35, v19
	v_mov_b64_e32 v[28:29], v[46:47]
	s_cbranch_scc1 .LBB25_11
.LBB25_7:                               ; =>This Inner Loop Header: Depth=1
	s_load_b64 s[34:35], s[30:31], 0x0
                                        ; implicit-def: $vgpr46_vgpr47
	s_mov_b32 s0, exec_lo
	s_wait_kmcnt 0x0
	s_delay_alu instid0(VALU_DEP_1) | instskip(NEXT) | instid1(VALU_DEP_1)
	v_or_b32_e32 v19, s35, v29
	v_cmpx_ne_u64_e32 0, v[18:19]
	s_xor_b32 s47, exec_lo, s0
	s_cbranch_execz .LBB25_9
; %bb.8:                                ;   in Loop: Header=BB25_7 Depth=1
	s_ashr_i32 s36, s35, 31
	v_dual_mov_b32 v51, v18 :: v_dual_ashrrev_i32 v46, 31, v29
	s_mov_b32 s37, s36
	v_mov_b32_e32 v59, v18
	s_add_nc_u64 s[38:39], s[34:35], s[36:37]
	s_delay_alu instid0(VALU_DEP_2) | instskip(SKIP_1) | instid1(SALU_CYCLE_1)
	v_mov_b32_e32 v47, v46
	s_xor_b64 s[38:39], s[38:39], s[36:37]
	s_cvt_f32_u32 s0, s38
	s_cvt_f32_u32 s37, s39
	s_sub_nc_u64 s[50:51], 0, s[38:39]
	v_add_nc_u64_e32 v[48:49], v[28:29], v[46:47]
	v_mov_b32_e32 v55, v18
	s_fmamk_f32 s0, s37, 0x4f800000, s0
	s_delay_alu instid0(SALU_CYCLE_3) | instskip(NEXT) | instid1(VALU_DEP_2)
	v_s_rcp_f32 s0, s0
	v_xor_b32_e32 v50, v48, v46
	s_delay_alu instid0(VALU_DEP_3) | instskip(NEXT) | instid1(TRANS32_DEP_1)
	v_xor_b32_e32 v54, v49, v46
	s_mul_f32 s0, s0, 0x5f7ffffc
	s_delay_alu instid0(SALU_CYCLE_3) | instskip(NEXT) | instid1(SALU_CYCLE_3)
	s_mul_f32 s37, s0, 0x2f800000
	s_trunc_f32 s37, s37
	s_delay_alu instid0(SALU_CYCLE_3) | instskip(SKIP_1) | instid1(SALU_CYCLE_2)
	s_fmamk_f32 s0, s37, 0xcf800000, s0
	s_cvt_u32_f32 s49, s37
	s_cvt_u32_f32 s48, s0
	s_delay_alu instid0(SALU_CYCLE_3) | instskip(NEXT) | instid1(SALU_CYCLE_1)
	s_mul_u64 s[52:53], s[50:51], s[48:49]
	s_mul_hi_u32 s55, s48, s53
	s_mul_i32 s54, s48, s53
	s_mul_hi_u32 s0, s48, s52
	s_mul_i32 s56, s49, s52
	s_add_nc_u64 s[54:55], s[0:1], s[54:55]
	s_mul_hi_u32 s37, s49, s52
	s_mul_hi_u32 s57, s49, s53
	s_add_co_u32 s0, s54, s56
	s_add_co_ci_u32 s0, s55, s37
	s_mul_i32 s52, s49, s53
	s_add_co_ci_u32 s53, s57, 0
	s_delay_alu instid0(SALU_CYCLE_1) | instskip(NEXT) | instid1(SALU_CYCLE_1)
	s_add_nc_u64 s[52:53], s[0:1], s[52:53]
	s_add_co_u32 s48, s48, s52
	s_cselect_b32 s0, -1, 0
	s_delay_alu instid0(SALU_CYCLE_1) | instskip(SKIP_1) | instid1(SALU_CYCLE_1)
	s_cmp_lg_u32 s0, 0
	s_add_co_ci_u32 s49, s49, s53
	s_mul_u64 s[50:51], s[50:51], s[48:49]
	s_delay_alu instid0(SALU_CYCLE_1)
	s_mul_hi_u32 s53, s48, s51
	s_mul_i32 s52, s48, s51
	s_mul_hi_u32 s0, s48, s50
	s_mul_i32 s54, s49, s50
	s_add_nc_u64 s[52:53], s[0:1], s[52:53]
	s_mul_hi_u32 s37, s49, s50
	s_mul_hi_u32 s55, s49, s51
	s_add_co_u32 s0, s52, s54
	s_add_co_ci_u32 s0, s53, s37
	s_mul_i32 s50, s49, s51
	s_add_co_ci_u32 s51, s55, 0
	s_delay_alu instid0(SALU_CYCLE_1) | instskip(NEXT) | instid1(SALU_CYCLE_1)
	s_add_nc_u64 s[50:51], s[0:1], s[50:51]
	s_add_co_u32 s48, s48, s50
	s_cselect_b32 s0, -1, 0
	v_mul_hi_u32 v58, v50, s48
	s_cmp_lg_u32 s0, 0
	s_add_co_ci_u32 s0, s49, s51
	s_and_b64 s[50:51], s[48:49], s[28:29]
	v_mul_u64_e32 v[52:53], s[0:1], v[50:51]
	v_mul_u64_e32 v[48:49], s[50:51], v[54:55]
	v_mul_u64_e32 v[56:57], s[0:1], v[54:55]
	s_delay_alu instid0(VALU_DEP_3) | instskip(NEXT) | instid1(VALU_DEP_1)
	v_add_nc_u64_e32 v[52:53], v[58:59], v[52:53]
	v_add_co_u32 v19, vcc_lo, v52, v48
	s_delay_alu instid0(VALU_DEP_2) | instskip(NEXT) | instid1(VALU_DEP_4)
	v_add_co_ci_u32_e32 v58, vcc_lo, v53, v49, vcc_lo
	v_add_co_ci_u32_e32 v57, vcc_lo, 0, v57, vcc_lo
	s_delay_alu instid0(VALU_DEP_1) | instskip(NEXT) | instid1(VALU_DEP_1)
	v_add_nc_u64_e32 v[48:49], v[58:59], v[56:57]
	v_mul_u64_e32 v[52:53], s[38:39], v[48:49]
	s_delay_alu instid0(VALU_DEP_1) | instskip(NEXT) | instid1(VALU_DEP_2)
	v_sub_nc_u32_e32 v19, v54, v53
	v_sub_co_u32 v47, vcc_lo, v50, v52
	s_delay_alu instid0(VALU_DEP_1) | instskip(NEXT) | instid1(VALU_DEP_3)
	v_sub_co_ci_u32_e64 v54, null, v54, v53, vcc_lo
	v_subrev_co_ci_u32_e64 v19, null, s39, v19, vcc_lo
	s_delay_alu instid0(VALU_DEP_3) | instskip(SKIP_1) | instid1(VALU_DEP_3)
	v_sub_co_u32 v50, s0, v47, s38
	v_add_nc_u64_e32 v[52:53], 1, v[48:49]
	v_subrev_co_ci_u32_e64 v19, null, 0, v19, s0
	s_delay_alu instid0(VALU_DEP_3) | instskip(SKIP_1) | instid1(VALU_DEP_3)
	v_cmp_le_u32_e32 vcc_lo, s38, v50
	v_cndmask_b32_e64 v50, 0, -1, vcc_lo
	v_cmp_le_u32_e32 vcc_lo, s39, v19
	v_cndmask_b32_e64 v51, 0, -1, vcc_lo
	;; [unrolled: 2-line block ×4, first 2 shown]
	v_cmp_eq_u32_e32 vcc_lo, s39, v19
	v_cndmask_b32_e32 v19, v51, v50, vcc_lo
	v_cmp_eq_u32_e32 vcc_lo, s39, v54
	v_add_nc_u64_e32 v[50:51], 2, v[48:49]
	v_cndmask_b32_e32 v47, v55, v47, vcc_lo
	s_delay_alu instid0(VALU_DEP_4) | instskip(NEXT) | instid1(VALU_DEP_2)
	v_cmp_ne_u32_e32 vcc_lo, 0, v19
	v_cmp_ne_u32_e64 s0, 0, v47
	s_delay_alu instid0(VALU_DEP_4) | instskip(NEXT) | instid1(VALU_DEP_1)
	v_dual_cndmask_b32 v19, v53, v51, vcc_lo :: v_dual_cndmask_b32 v47, v52, v50, vcc_lo
	v_dual_cndmask_b32 v19, v49, v19, s0 :: v_dual_bitop2_b32 v46, s36, v46 bitop3:0x14
	s_delay_alu instid0(VALU_DEP_1) | instskip(NEXT) | instid1(VALU_DEP_2)
	v_dual_cndmask_b32 v48, v48, v47, s0 :: v_dual_mov_b32 v47, v46
	v_xor_b32_e32 v49, v19, v46
	s_delay_alu instid0(VALU_DEP_2) | instskip(NEXT) | instid1(VALU_DEP_1)
	v_xor_b32_e32 v48, v48, v46
	v_sub_nc_u64_e32 v[46:47], v[48:49], v[46:47]
.LBB25_9:                               ;   in Loop: Header=BB25_7 Depth=1
	s_and_not1_saveexec_b32 s0, s47
	s_cbranch_execz .LBB25_6
; %bb.10:                               ;   in Loop: Header=BB25_7 Depth=1
	v_cvt_f32_u32_e32 v19, s34
	s_sub_co_i32 s36, 0, s34
	s_delay_alu instid0(VALU_DEP_1) | instskip(SKIP_1) | instid1(TRANS32_DEP_1)
	v_rcp_iflag_f32_e32 v19, v19
	v_nop
	v_mul_f32_e32 v19, 0x4f7ffffe, v19
	s_delay_alu instid0(VALU_DEP_1) | instskip(NEXT) | instid1(VALU_DEP_1)
	v_cvt_u32_f32_e32 v19, v19
	v_mul_lo_u32 v46, s36, v19
	s_delay_alu instid0(VALU_DEP_1) | instskip(NEXT) | instid1(VALU_DEP_1)
	v_mul_hi_u32 v46, v19, v46
	v_add_nc_u32_e32 v19, v19, v46
	s_delay_alu instid0(VALU_DEP_1) | instskip(NEXT) | instid1(VALU_DEP_1)
	v_mul_hi_u32 v19, v28, v19
	v_mul_lo_u32 v46, v19, s34
	s_delay_alu instid0(VALU_DEP_1) | instskip(NEXT) | instid1(VALU_DEP_1)
	v_dual_add_nc_u32 v47, 1, v19 :: v_dual_sub_nc_u32 v46, v28, v46
	v_subrev_nc_u32_e32 v48, s34, v46
	v_cmp_le_u32_e32 vcc_lo, s34, v46
	s_delay_alu instid0(VALU_DEP_2) | instskip(NEXT) | instid1(VALU_DEP_1)
	v_dual_cndmask_b32 v46, v46, v48 :: v_dual_cndmask_b32 v19, v19, v47
	v_cmp_le_u32_e32 vcc_lo, s34, v46
	s_delay_alu instid0(VALU_DEP_2) | instskip(NEXT) | instid1(VALU_DEP_1)
	v_add_nc_u32_e32 v47, 1, v19
	v_dual_cndmask_b32 v46, v19, v47 :: v_dual_mov_b32 v47, v18
	s_branch .LBB25_6
.LBB25_11:
	s_or_b32 exec_lo, exec_lo, s42
	s_get_pc_i64 s[0:1]
	s_add_nc_u64 s[0:1], s[0:1], .str.4@rel64+4
	s_mov_b32 s27, -1
	s_cmp_lg_u64 s[0:1], 0
	s_mov_b32 s0, 0
	s_cselect_b32 s42, -1, 0
	s_mov_b32 s47, 0
	s_mov_b32 s1, exec_lo
	v_cmpx_gt_i64_e64 v[2:3], v[10:11]
	s_cbranch_execz .LBB25_17
; %bb.12:
	s_wait_loadcnt 0x0
	v_lshlrev_b64_e32 v[18:19], 3, v[26:27]
	s_mov_b32 s27, 0
	s_xor_b32 s29, s42, -1
                                        ; implicit-def: $sgpr28
                                        ; implicit-def: $sgpr31
                                        ; implicit-def: $sgpr30
	s_delay_alu instid0(VALU_DEP_1) | instskip(SKIP_1) | instid1(VALU_DEP_2)
	v_lshl_add_u64 v[10:11], v[10:11], 3, v[18:19]
	v_add_nc_u64_e32 v[18:19], s[24:25], v[18:19]
	v_add_nc_u64_e32 v[10:11], s[24:25], v[10:11]
	s_delay_alu instid0(VALU_DEP_2) | instskip(NEXT) | instid1(VALU_DEP_2)
	v_lshl_add_u64 v[2:3], v[2:3], 3, v[18:19]
	v_add_nc_u64_e32 v[10:11], 8, v[10:11]
	s_branch .LBB25_14
.LBB25_13:                              ;   in Loop: Header=BB25_14 Depth=1
	s_or_b32 exec_lo, exec_lo, s34
	s_delay_alu instid0(SALU_CYCLE_1) | instskip(NEXT) | instid1(SALU_CYCLE_1)
	s_and_b32 s34, exec_lo, s31
	s_or_b32 s27, s34, s27
	s_and_not1_b32 s28, s28, exec_lo
	s_and_b32 s34, s30, exec_lo
	s_delay_alu instid0(SALU_CYCLE_1)
	s_or_b32 s28, s28, s34
	s_and_not1_b32 exec_lo, exec_lo, s27
	s_cbranch_execz .LBB25_16
.LBB25_14:                              ; =>This Inner Loop Header: Depth=1
	s_or_b32 s30, s30, exec_lo
	s_or_b32 s31, s31, exec_lo
	s_mov_b32 s34, exec_lo
	s_delay_alu instid0(VALU_DEP_1)
	v_cmpx_lt_u64_e64 v[10:11], v[2:3]
	s_cbranch_execz .LBB25_13
; %bb.15:                               ;   in Loop: Header=BB25_14 Depth=1
	global_load_b128 v[26:29], v[10:11], off offset:-8
	s_wait_xcnt 0x0
	v_add_nc_u64_e32 v[10:11], 8, v[10:11]
	s_and_not1_b32 s31, s31, exec_lo
	s_and_not1_b32 s30, s30, exec_lo
	s_wait_loadcnt 0x0
	v_cmp_ge_i64_e32 vcc_lo, v[26:27], v[28:29]
	s_or_b32 s35, s29, vcc_lo
	s_delay_alu instid0(SALU_CYCLE_1) | instskip(NEXT) | instid1(SALU_CYCLE_1)
	s_and_b32 s35, s35, exec_lo
	s_or_b32 s31, s31, s35
	s_branch .LBB25_13
.LBB25_16:
	s_or_b32 exec_lo, exec_lo, s27
	s_delay_alu instid0(SALU_CYCLE_1)
	s_mov_b32 s47, exec_lo
	s_or_not1_b32 s27, s28, exec_lo
.LBB25_17:
	s_or_b32 exec_lo, exec_lo, s1
	s_mov_b32 s28, 0
	s_mov_b32 s29, 0
	;; [unrolled: 1-line block ×3, first 2 shown]
	s_and_saveexec_b32 s48, s27
	s_cbranch_execz .LBB25_61
; %bb.18:
	s_mov_b32 s0, -1
	s_mov_b32 s1, 0
	s_mov_b32 s27, 0
	;; [unrolled: 1-line block ×3, first 2 shown]
	s_mov_b32 s49, exec_lo
	v_cmpx_eq_u64_e64 v[40:41], v[38:39]
	s_cbranch_execz .LBB25_60
; %bb.19:
	s_mov_b32 s1, -1
	s_mov_b32 s0, 0
	s_mov_b32 s50, exec_lo
	v_cmpx_eq_u64_e64 v[36:37], v[34:35]
	s_cbranch_execz .LBB25_59
; %bb.20:
	v_sub_nc_u64_e32 v[2:3], v[4:5], v[12:13]
	s_delay_alu instid0(VALU_DEP_1) | instskip(SKIP_2) | instid1(SALU_CYCLE_1)
	v_cmp_le_i64_e32 vcc_lo, v[38:39], v[2:3]
	v_cmp_ge_i64_e64 s0, s[2:3], v[2:3]
	s_and_b32 s0, vcc_lo, s0
	s_and_saveexec_b32 s51, s0
	s_cbranch_execz .LBB25_58
; %bb.21:
	v_mov_b64_e32 v[2:3], 0
	s_and_saveexec_b32 s52, s46
	s_cbranch_execz .LBB25_28
; %bb.22:
	s_wait_loadcnt 0x0
	v_mul_u64_e32 v[18:19], v[20:21], v[34:35]
	s_ashr_i32 s27, s26, 31
	v_mov_b64_e32 v[2:3], 0
	s_lshl_b64 s[0:1], s[26:27], 3
	v_mov_b32_e32 v10, 0
	s_add_nc_u64 s[0:1], s[18:19], s[0:1]
	s_mov_b64 s[28:29], 0xffffffff
	s_add_nc_u64 s[30:31], s[0:1], 32
	s_mov_b32 s1, 0
	s_mov_b32 s27, s41
	s_branch .LBB25_24
.LBB25_23:                              ;   in Loop: Header=BB25_24 Depth=1
	s_or_b32 exec_lo, exec_lo, s0
	s_delay_alu instid0(VALU_DEP_1)
	v_mul_u64_e32 v[26:27], s[34:35], v[20:21]
	s_load_b64 s[34:35], s[30:31], 0x40
	s_add_co_i32 s27, s27, -1
	s_wait_xcnt 0x0
	s_add_nc_u64 s[30:31], s[30:31], -8
	s_cmp_lg_u32 s27, 0
	s_delay_alu instid0(VALU_DEP_1) | instskip(SKIP_1) | instid1(VALU_DEP_1)
	v_sub_nc_u64_e32 v[18:19], v[18:19], v[26:27]
	s_wait_kmcnt 0x0
	v_mad_nc_u64_u32 v[2:3], v18, s34, v[2:3]
	s_delay_alu instid0(VALU_DEP_1) | instskip(NEXT) | instid1(VALU_DEP_1)
	v_mad_u32 v3, v19, s34, v3
	v_mad_u32 v3, v18, s35, v3
	v_mov_b64_e32 v[18:19], v[20:21]
	s_cbranch_scc0 .LBB25_28
.LBB25_24:                              ; =>This Inner Loop Header: Depth=1
	s_load_b64 s[34:35], s[30:31], 0x0
                                        ; implicit-def: $vgpr20_vgpr21
	s_mov_b32 s0, exec_lo
	s_wait_kmcnt 0x0
	s_delay_alu instid0(VALU_DEP_1) | instskip(NEXT) | instid1(VALU_DEP_1)
	v_or_b32_e32 v11, s35, v19
	v_cmpx_ne_u64_e32 0, v[10:11]
	s_xor_b32 s53, exec_lo, s0
	s_cbranch_execz .LBB25_26
; %bb.25:                               ;   in Loop: Header=BB25_24 Depth=1
	s_ashr_i32 s36, s35, 31
	v_dual_mov_b32 v29, v10 :: v_dual_ashrrev_i32 v20, 31, v19
	s_mov_b32 s37, s36
	s_delay_alu instid0(SALU_CYCLE_1) | instskip(NEXT) | instid1(VALU_DEP_1)
	s_add_nc_u64 s[38:39], s[34:35], s[36:37]
	v_mov_b32_e32 v21, v20
	s_xor_b64 s[38:39], s[38:39], s[36:37]
	s_delay_alu instid0(SALU_CYCLE_1)
	s_cvt_f32_u32 s0, s38
	s_cvt_f32_u32 s37, s39
	s_sub_nc_u64 s[56:57], 0, s[38:39]
	v_add_nc_u64_e32 v[26:27], v[18:19], v[20:21]
	v_mov_b32_e32 v41, v10
	s_fmamk_f32 s0, s37, 0x4f800000, s0
	s_delay_alu instid0(SALU_CYCLE_3) | instskip(NEXT) | instid1(VALU_DEP_2)
	v_s_rcp_f32 s0, s0
	v_xor_b32_e32 v28, v26, v20
	s_delay_alu instid0(VALU_DEP_3) | instskip(SKIP_1) | instid1(TRANS32_DEP_1)
	v_dual_mov_b32 v49, v10 :: v_dual_bitop2_b32 v40, v27, v20 bitop3:0x14
	v_xor_b32_e32 v20, s36, v20
	s_mul_f32 s0, s0, 0x5f7ffffc
	s_delay_alu instid0(SALU_CYCLE_3) | instskip(NEXT) | instid1(SALU_CYCLE_3)
	s_mul_f32 s37, s0, 0x2f800000
	s_trunc_f32 s37, s37
	s_delay_alu instid0(SALU_CYCLE_3) | instskip(SKIP_1) | instid1(SALU_CYCLE_2)
	s_fmamk_f32 s0, s37, 0xcf800000, s0
	s_cvt_u32_f32 s55, s37
	s_cvt_u32_f32 s54, s0
	s_delay_alu instid0(SALU_CYCLE_3) | instskip(NEXT) | instid1(SALU_CYCLE_1)
	s_mul_u64 s[58:59], s[56:57], s[54:55]
	s_mul_hi_u32 s61, s54, s59
	s_mul_i32 s60, s54, s59
	s_mul_hi_u32 s0, s54, s58
	s_mul_i32 s62, s55, s58
	s_add_nc_u64 s[60:61], s[0:1], s[60:61]
	s_mul_hi_u32 s37, s55, s58
	s_mul_hi_u32 s63, s55, s59
	s_add_co_u32 s0, s60, s62
	s_add_co_ci_u32 s0, s61, s37
	s_mul_i32 s58, s55, s59
	s_add_co_ci_u32 s59, s63, 0
	s_delay_alu instid0(SALU_CYCLE_1) | instskip(NEXT) | instid1(SALU_CYCLE_1)
	s_add_nc_u64 s[58:59], s[0:1], s[58:59]
	s_add_co_u32 s54, s54, s58
	s_cselect_b32 s0, -1, 0
	s_delay_alu instid0(SALU_CYCLE_1) | instskip(SKIP_1) | instid1(SALU_CYCLE_1)
	s_cmp_lg_u32 s0, 0
	s_add_co_ci_u32 s55, s55, s59
	s_mul_u64 s[56:57], s[56:57], s[54:55]
	s_delay_alu instid0(SALU_CYCLE_1)
	s_mul_hi_u32 s59, s54, s57
	s_mul_i32 s58, s54, s57
	s_mul_hi_u32 s0, s54, s56
	s_mul_i32 s60, s55, s56
	s_add_nc_u64 s[58:59], s[0:1], s[58:59]
	s_mul_hi_u32 s37, s55, s56
	s_mul_hi_u32 s61, s55, s57
	s_add_co_u32 s0, s58, s60
	s_add_co_ci_u32 s0, s59, s37
	s_mul_i32 s56, s55, s57
	s_add_co_ci_u32 s57, s61, 0
	s_delay_alu instid0(SALU_CYCLE_1) | instskip(NEXT) | instid1(SALU_CYCLE_1)
	s_add_nc_u64 s[56:57], s[0:1], s[56:57]
	s_add_co_u32 s54, s54, s56
	s_cselect_b32 s0, -1, 0
	v_mul_hi_u32 v48, v28, s54
	s_cmp_lg_u32 s0, 0
	s_add_co_ci_u32 s0, s55, s57
	s_and_b64 s[56:57], s[54:55], s[28:29]
	v_mul_u64_e32 v[36:37], s[0:1], v[28:29]
	v_mul_u64_e32 v[26:27], s[56:57], v[40:41]
	;; [unrolled: 1-line block ×3, first 2 shown]
	s_delay_alu instid0(VALU_DEP_3) | instskip(NEXT) | instid1(VALU_DEP_1)
	v_add_nc_u64_e32 v[36:37], v[48:49], v[36:37]
	v_add_co_u32 v11, vcc_lo, v36, v26
	s_delay_alu instid0(VALU_DEP_2) | instskip(NEXT) | instid1(VALU_DEP_4)
	v_add_co_ci_u32_e32 v48, vcc_lo, v37, v27, vcc_lo
	v_add_co_ci_u32_e32 v47, vcc_lo, 0, v47, vcc_lo
	s_delay_alu instid0(VALU_DEP_1) | instskip(NEXT) | instid1(VALU_DEP_1)
	v_add_nc_u64_e32 v[26:27], v[48:49], v[46:47]
	v_mul_u64_e32 v[36:37], s[38:39], v[26:27]
	s_delay_alu instid0(VALU_DEP_1) | instskip(NEXT) | instid1(VALU_DEP_2)
	v_sub_nc_u32_e32 v11, v40, v37
	v_sub_co_u32 v21, vcc_lo, v28, v36
	s_delay_alu instid0(VALU_DEP_1) | instskip(NEXT) | instid1(VALU_DEP_3)
	v_sub_co_ci_u32_e64 v40, null, v40, v37, vcc_lo
	v_subrev_co_ci_u32_e64 v11, null, s39, v11, vcc_lo
	s_delay_alu instid0(VALU_DEP_3) | instskip(SKIP_1) | instid1(VALU_DEP_3)
	v_sub_co_u32 v28, s0, v21, s38
	v_add_nc_u64_e32 v[36:37], 1, v[26:27]
	v_subrev_co_ci_u32_e64 v11, null, 0, v11, s0
	s_delay_alu instid0(VALU_DEP_3) | instskip(SKIP_1) | instid1(VALU_DEP_3)
	v_cmp_le_u32_e32 vcc_lo, s38, v28
	v_cndmask_b32_e64 v28, 0, -1, vcc_lo
	v_cmp_le_u32_e32 vcc_lo, s39, v11
	v_cndmask_b32_e64 v29, 0, -1, vcc_lo
	v_cmp_le_u32_e32 vcc_lo, s38, v21
	v_cndmask_b32_e64 v21, 0, -1, vcc_lo
	v_cmp_le_u32_e32 vcc_lo, s39, v40
	v_cndmask_b32_e64 v41, 0, -1, vcc_lo
	v_cmp_eq_u32_e32 vcc_lo, s39, v11
	v_cndmask_b32_e32 v11, v29, v28, vcc_lo
	v_cmp_eq_u32_e32 vcc_lo, s39, v40
	v_add_nc_u64_e32 v[28:29], 2, v[26:27]
	v_cndmask_b32_e32 v21, v41, v21, vcc_lo
	s_delay_alu instid0(VALU_DEP_4) | instskip(NEXT) | instid1(VALU_DEP_2)
	v_cmp_ne_u32_e32 vcc_lo, 0, v11
	v_cmp_ne_u32_e64 s0, 0, v21
	s_delay_alu instid0(VALU_DEP_4) | instskip(NEXT) | instid1(VALU_DEP_1)
	v_dual_cndmask_b32 v11, v37, v29, vcc_lo :: v_dual_cndmask_b32 v21, v36, v28, vcc_lo
	v_dual_cndmask_b32 v26, v26, v21, s0 :: v_dual_mov_b32 v21, v20
	s_delay_alu instid0(VALU_DEP_1) | instskip(NEXT) | instid1(VALU_DEP_1)
	v_dual_cndmask_b32 v11, v27, v11, s0 :: v_dual_bitop2_b32 v26, v26, v20 bitop3:0x14
	v_xor_b32_e32 v27, v11, v20
	s_delay_alu instid0(VALU_DEP_1)
	v_sub_nc_u64_e32 v[20:21], v[26:27], v[20:21]
.LBB25_26:                              ;   in Loop: Header=BB25_24 Depth=1
	s_and_not1_saveexec_b32 s0, s53
	s_cbranch_execz .LBB25_23
; %bb.27:                               ;   in Loop: Header=BB25_24 Depth=1
	v_cvt_f32_u32_e32 v11, s34
	s_sub_co_i32 s36, 0, s34
	s_delay_alu instid0(VALU_DEP_1) | instskip(SKIP_1) | instid1(TRANS32_DEP_1)
	v_rcp_iflag_f32_e32 v11, v11
	v_nop
	v_mul_f32_e32 v11, 0x4f7ffffe, v11
	s_delay_alu instid0(VALU_DEP_1) | instskip(NEXT) | instid1(VALU_DEP_1)
	v_cvt_u32_f32_e32 v11, v11
	v_mul_lo_u32 v20, s36, v11
	s_delay_alu instid0(VALU_DEP_1) | instskip(NEXT) | instid1(VALU_DEP_1)
	v_mul_hi_u32 v20, v11, v20
	v_add_nc_u32_e32 v11, v11, v20
	s_delay_alu instid0(VALU_DEP_1) | instskip(NEXT) | instid1(VALU_DEP_1)
	v_mul_hi_u32 v11, v18, v11
	v_mul_lo_u32 v20, v11, s34
	s_delay_alu instid0(VALU_DEP_1) | instskip(NEXT) | instid1(VALU_DEP_1)
	v_dual_add_nc_u32 v21, 1, v11 :: v_dual_sub_nc_u32 v20, v18, v20
	v_subrev_nc_u32_e32 v26, s34, v20
	v_cmp_le_u32_e32 vcc_lo, s34, v20
	s_delay_alu instid0(VALU_DEP_2) | instskip(NEXT) | instid1(VALU_DEP_1)
	v_dual_cndmask_b32 v20, v20, v26 :: v_dual_cndmask_b32 v11, v11, v21
	v_cmp_le_u32_e32 vcc_lo, s34, v20
	s_delay_alu instid0(VALU_DEP_2) | instskip(NEXT) | instid1(VALU_DEP_1)
	v_add_nc_u32_e32 v21, 1, v11
	v_dual_cndmask_b32 v20, v11, v21 :: v_dual_mov_b32 v21, v10
	s_branch .LBB25_23
.LBB25_28:
	s_or_b32 exec_lo, exec_lo, s52
	s_mov_b32 s30, -1
	s_mov_b32 s0, 0
	s_mov_b32 s52, 0
	s_mov_b32 s1, exec_lo
	v_cmpx_gt_i64_e64 v[4:5], v[12:13]
	s_cbranch_execz .LBB25_34
; %bb.29:
	s_delay_alu instid0(VALU_DEP_2) | instskip(SKIP_2) | instid1(VALU_DEP_1)
	v_lshlrev_b64_e32 v[2:3], 3, v[2:3]
	s_mov_b32 s27, 0
	s_xor_b32 s29, s42, -1
                                        ; implicit-def: $sgpr28
                                        ; implicit-def: $sgpr31
                                        ; implicit-def: $sgpr30
	v_lshl_add_u64 v[10:11], v[12:13], 3, v[2:3]
	v_add_nc_u64_e32 v[12:13], s[24:25], v[2:3]
	s_delay_alu instid0(VALU_DEP_2) | instskip(NEXT) | instid1(VALU_DEP_2)
	v_add_nc_u64_e32 v[10:11], s[24:25], v[10:11]
	v_lshl_add_u64 v[4:5], v[4:5], 3, v[12:13]
	s_delay_alu instid0(VALU_DEP_2)
	v_add_nc_u64_e32 v[2:3], 8, v[10:11]
	s_branch .LBB25_31
.LBB25_30:                              ;   in Loop: Header=BB25_31 Depth=1
	s_or_b32 exec_lo, exec_lo, s34
	s_delay_alu instid0(SALU_CYCLE_1) | instskip(NEXT) | instid1(SALU_CYCLE_1)
	s_and_b32 s34, exec_lo, s31
	s_or_b32 s27, s34, s27
	s_and_not1_b32 s28, s28, exec_lo
	s_and_b32 s34, s30, exec_lo
	s_delay_alu instid0(SALU_CYCLE_1)
	s_or_b32 s28, s28, s34
	s_and_not1_b32 exec_lo, exec_lo, s27
	s_cbranch_execz .LBB25_33
.LBB25_31:                              ; =>This Inner Loop Header: Depth=1
	s_or_b32 s30, s30, exec_lo
	s_or_b32 s31, s31, exec_lo
	s_mov_b32 s34, exec_lo
	s_delay_alu instid0(VALU_DEP_1)
	v_cmpx_lt_u64_e64 v[2:3], v[4:5]
	s_cbranch_execz .LBB25_30
; %bb.32:                               ;   in Loop: Header=BB25_31 Depth=1
	global_load_b128 v[10:13], v[2:3], off offset:-8
	s_and_not1_b32 s31, s31, exec_lo
	s_wait_xcnt 0x0
	v_add_nc_u64_e32 v[2:3], 8, v[2:3]
	s_and_not1_b32 s30, s30, exec_lo
	s_wait_loadcnt 0x0
	v_cmp_ge_i64_e32 vcc_lo, v[10:11], v[12:13]
	s_or_b32 s35, s29, vcc_lo
	s_delay_alu instid0(SALU_CYCLE_1) | instskip(NEXT) | instid1(SALU_CYCLE_1)
	s_and_b32 s35, s35, exec_lo
	s_or_b32 s31, s31, s35
	s_branch .LBB25_30
.LBB25_33:
	s_or_b32 exec_lo, exec_lo, s27
	s_delay_alu instid0(SALU_CYCLE_1)
	s_mov_b32 s52, exec_lo
	s_or_not1_b32 s30, s28, exec_lo
.LBB25_34:
	s_or_b32 exec_lo, exec_lo, s1
	s_mov_b32 s27, 0
	s_mov_b32 s28, 0
	;; [unrolled: 1-line block ×3, first 2 shown]
	s_and_saveexec_b32 s53, s30
	s_cbranch_execz .LBB25_57
; %bb.35:
	s_mov_b32 s0, -1
	s_mov_b32 s1, 0
	s_mov_b32 s30, 0
	s_mov_b32 s54, exec_lo
	v_cmpx_eq_u64_e64 v[42:43], v[38:39]
	s_cbranch_execz .LBB25_56
; %bb.36:
	s_mov_b32 s1, -1
	s_mov_b32 s0, 0
	s_mov_b32 s55, exec_lo
	v_cmpx_eq_u64_e64 v[30:31], v[34:35]
	s_cbranch_execz .LBB25_55
; %bb.37:
	s_wait_loadcnt 0x2
	v_sub_nc_u64_e32 v[2:3], v[6:7], v[14:15]
	s_delay_alu instid0(VALU_DEP_1) | instskip(SKIP_2) | instid1(SALU_CYCLE_1)
	v_cmp_le_i64_e32 vcc_lo, v[38:39], v[2:3]
	v_cmp_ge_i64_e64 s0, s[2:3], v[2:3]
	s_and_b32 s0, vcc_lo, s0
	s_and_saveexec_b32 s56, s0
	s_cbranch_execz .LBB25_54
; %bb.38:
	v_mov_b64_e32 v[2:3], 0
	s_and_saveexec_b32 s57, s46
	s_cbranch_execz .LBB25_45
; %bb.39:
	s_wait_loadcnt 0x1
	v_mul_u64_e32 v[10:11], v[22:23], v[34:35]
	s_ashr_i32 s27, s26, 31
	v_mov_b64_e32 v[2:3], 0
	s_lshl_b64 s[0:1], s[26:27], 3
	v_mov_b32_e32 v4, 0
	s_add_nc_u64 s[0:1], s[18:19], s[0:1]
	s_mov_b64 s[28:29], 0xffffffff
	s_add_nc_u64 s[30:31], s[0:1], 32
	s_mov_b32 s1, 0
	s_mov_b32 s27, s41
	s_branch .LBB25_41
.LBB25_40:                              ;   in Loop: Header=BB25_41 Depth=1
	s_or_b32 exec_lo, exec_lo, s0
	s_wait_loadcnt 0x0
	s_delay_alu instid0(VALU_DEP_1)
	v_mul_u64_e32 v[18:19], s[34:35], v[12:13]
	s_load_b64 s[34:35], s[30:31], 0x40
	s_add_co_i32 s27, s27, -1
	s_wait_xcnt 0x0
	s_add_nc_u64 s[30:31], s[30:31], -8
	s_cmp_lg_u32 s27, 0
	s_delay_alu instid0(VALU_DEP_1) | instskip(SKIP_1) | instid1(VALU_DEP_1)
	v_sub_nc_u64_e32 v[10:11], v[10:11], v[18:19]
	s_wait_kmcnt 0x0
	v_mad_nc_u64_u32 v[2:3], v10, s34, v[2:3]
	s_delay_alu instid0(VALU_DEP_1) | instskip(NEXT) | instid1(VALU_DEP_1)
	v_mad_u32 v3, v11, s34, v3
	v_mad_u32 v3, v10, s35, v3
	v_mov_b64_e32 v[10:11], v[12:13]
	s_cbranch_scc0 .LBB25_45
.LBB25_41:                              ; =>This Inner Loop Header: Depth=1
	s_load_b64 s[34:35], s[30:31], 0x0
                                        ; implicit-def: $vgpr12_vgpr13
	s_mov_b32 s0, exec_lo
	s_wait_kmcnt 0x0
	s_delay_alu instid0(VALU_DEP_1) | instskip(NEXT) | instid1(VALU_DEP_1)
	v_or_b32_e32 v5, s35, v11
	v_cmpx_ne_u64_e32 0, v[4:5]
	s_xor_b32 s58, exec_lo, s0
	s_cbranch_execz .LBB25_43
; %bb.42:                               ;   in Loop: Header=BB25_41 Depth=1
	s_ashr_i32 s36, s35, 31
	s_wait_loadcnt 0x0
	v_dual_mov_b32 v21, v4 :: v_dual_ashrrev_i32 v12, 31, v11
	s_mov_b32 s37, s36
	s_delay_alu instid0(SALU_CYCLE_1) | instskip(NEXT) | instid1(VALU_DEP_1)
	s_add_nc_u64 s[38:39], s[34:35], s[36:37]
	v_mov_b32_e32 v13, v12
	s_xor_b64 s[38:39], s[38:39], s[36:37]
	s_delay_alu instid0(SALU_CYCLE_1)
	s_cvt_f32_u32 s0, s38
	s_cvt_f32_u32 s37, s39
	s_sub_nc_u64 s[62:63], 0, s[38:39]
	v_add_nc_u64_e32 v[18:19], v[10:11], v[12:13]
	v_mov_b32_e32 v27, v4
	s_fmamk_f32 s0, s37, 0x4f800000, s0
	s_delay_alu instid0(SALU_CYCLE_3) | instskip(NEXT) | instid1(VALU_DEP_2)
	v_s_rcp_f32 s0, s0
	v_xor_b32_e32 v20, v18, v12
	s_delay_alu instid0(VALU_DEP_3) | instskip(NEXT) | instid1(TRANS32_DEP_1)
	v_dual_mov_b32 v31, v4 :: v_dual_bitop2_b32 v26, v19, v12 bitop3:0x14
	s_mul_f32 s0, s0, 0x5f7ffffc
	s_delay_alu instid0(SALU_CYCLE_3) | instskip(NEXT) | instid1(SALU_CYCLE_3)
	s_mul_f32 s37, s0, 0x2f800000
	s_trunc_f32 s37, s37
	s_delay_alu instid0(SALU_CYCLE_3) | instskip(SKIP_1) | instid1(SALU_CYCLE_2)
	s_fmamk_f32 s0, s37, 0xcf800000, s0
	s_cvt_u32_f32 s61, s37
	s_cvt_u32_f32 s60, s0
	s_delay_alu instid0(SALU_CYCLE_3) | instskip(NEXT) | instid1(SALU_CYCLE_1)
	s_mul_u64 s[64:65], s[62:63], s[60:61]
	s_mul_hi_u32 s67, s60, s65
	s_mul_i32 s66, s60, s65
	s_mul_hi_u32 s0, s60, s64
	s_mul_i32 s59, s61, s64
	s_add_nc_u64 s[66:67], s[0:1], s[66:67]
	s_mul_hi_u32 s37, s61, s64
	s_mul_hi_u32 s68, s61, s65
	s_add_co_u32 s0, s66, s59
	s_add_co_ci_u32 s0, s67, s37
	s_mul_i32 s64, s61, s65
	s_add_co_ci_u32 s65, s68, 0
	s_delay_alu instid0(SALU_CYCLE_1) | instskip(NEXT) | instid1(SALU_CYCLE_1)
	s_add_nc_u64 s[64:65], s[0:1], s[64:65]
	s_add_co_u32 s60, s60, s64
	s_cselect_b32 s0, -1, 0
	s_delay_alu instid0(SALU_CYCLE_1) | instskip(SKIP_1) | instid1(SALU_CYCLE_1)
	s_cmp_lg_u32 s0, 0
	s_add_co_ci_u32 s61, s61, s65
	s_mul_u64 s[62:63], s[62:63], s[60:61]
	s_delay_alu instid0(SALU_CYCLE_1)
	s_mul_hi_u32 s65, s60, s63
	s_mul_i32 s64, s60, s63
	s_mul_hi_u32 s0, s60, s62
	s_mul_i32 s59, s61, s62
	s_add_nc_u64 s[64:65], s[0:1], s[64:65]
	s_mul_hi_u32 s37, s61, s62
	s_mul_hi_u32 s66, s61, s63
	s_add_co_u32 s0, s64, s59
	s_add_co_ci_u32 s0, s65, s37
	s_mul_i32 s62, s61, s63
	s_add_co_ci_u32 s63, s66, 0
	s_delay_alu instid0(SALU_CYCLE_1) | instskip(NEXT) | instid1(SALU_CYCLE_1)
	s_add_nc_u64 s[62:63], s[0:1], s[62:63]
	s_add_co_u32 s60, s60, s62
	s_cselect_b32 s0, -1, 0
	v_mul_hi_u32 v30, v20, s60
	s_cmp_lg_u32 s0, 0
	s_add_co_ci_u32 s0, s61, s63
	s_and_b64 s[62:63], s[60:61], s[28:29]
	v_mul_u64_e32 v[22:23], s[0:1], v[20:21]
	v_mul_u64_e32 v[18:19], s[62:63], v[26:27]
	v_mul_u64_e32 v[28:29], s[0:1], v[26:27]
	s_delay_alu instid0(VALU_DEP_3) | instskip(NEXT) | instid1(VALU_DEP_1)
	v_add_nc_u64_e32 v[22:23], v[30:31], v[22:23]
	v_add_co_u32 v5, vcc_lo, v22, v18
	s_delay_alu instid0(VALU_DEP_2) | instskip(NEXT) | instid1(VALU_DEP_4)
	v_add_co_ci_u32_e32 v30, vcc_lo, v23, v19, vcc_lo
	v_add_co_ci_u32_e32 v29, vcc_lo, 0, v29, vcc_lo
	s_delay_alu instid0(VALU_DEP_1) | instskip(NEXT) | instid1(VALU_DEP_1)
	v_add_nc_u64_e32 v[18:19], v[30:31], v[28:29]
	v_mul_u64_e32 v[22:23], s[38:39], v[18:19]
	s_delay_alu instid0(VALU_DEP_1) | instskip(NEXT) | instid1(VALU_DEP_2)
	v_sub_nc_u32_e32 v5, v26, v23
	v_sub_co_u32 v13, vcc_lo, v20, v22
	s_delay_alu instid0(VALU_DEP_1) | instskip(NEXT) | instid1(VALU_DEP_3)
	v_sub_co_ci_u32_e64 v26, null, v26, v23, vcc_lo
	v_subrev_co_ci_u32_e64 v5, null, s39, v5, vcc_lo
	s_delay_alu instid0(VALU_DEP_3) | instskip(SKIP_1) | instid1(VALU_DEP_3)
	v_sub_co_u32 v20, s0, v13, s38
	v_add_nc_u64_e32 v[22:23], 1, v[18:19]
	v_subrev_co_ci_u32_e64 v5, null, 0, v5, s0
	s_delay_alu instid0(VALU_DEP_3) | instskip(SKIP_1) | instid1(VALU_DEP_3)
	v_cmp_le_u32_e32 vcc_lo, s38, v20
	v_cndmask_b32_e64 v20, 0, -1, vcc_lo
	v_cmp_le_u32_e32 vcc_lo, s39, v5
	v_cndmask_b32_e64 v21, 0, -1, vcc_lo
	;; [unrolled: 2-line block ×4, first 2 shown]
	v_cmp_eq_u32_e32 vcc_lo, s39, v5
	v_cndmask_b32_e32 v5, v21, v20, vcc_lo
	v_cmp_eq_u32_e32 vcc_lo, s39, v26
	v_add_nc_u64_e32 v[20:21], 2, v[18:19]
	v_cndmask_b32_e32 v13, v27, v13, vcc_lo
	s_delay_alu instid0(VALU_DEP_4) | instskip(NEXT) | instid1(VALU_DEP_2)
	v_cmp_ne_u32_e32 vcc_lo, 0, v5
	v_cmp_ne_u32_e64 s0, 0, v13
	s_delay_alu instid0(VALU_DEP_4) | instskip(NEXT) | instid1(VALU_DEP_1)
	v_dual_cndmask_b32 v5, v23, v21, vcc_lo :: v_dual_cndmask_b32 v13, v22, v20, vcc_lo
	v_dual_cndmask_b32 v5, v19, v5, s0 :: v_dual_bitop2_b32 v12, s36, v12 bitop3:0x14
	s_delay_alu instid0(VALU_DEP_1) | instskip(NEXT) | instid1(VALU_DEP_2)
	v_dual_cndmask_b32 v18, v18, v13, s0 :: v_dual_mov_b32 v13, v12
	v_xor_b32_e32 v19, v5, v12
	s_delay_alu instid0(VALU_DEP_2) | instskip(NEXT) | instid1(VALU_DEP_1)
	v_xor_b32_e32 v18, v18, v12
	v_sub_nc_u64_e32 v[12:13], v[18:19], v[12:13]
.LBB25_43:                              ;   in Loop: Header=BB25_41 Depth=1
	s_and_not1_saveexec_b32 s0, s58
	s_cbranch_execz .LBB25_40
; %bb.44:                               ;   in Loop: Header=BB25_41 Depth=1
	v_cvt_f32_u32_e32 v5, s34
	s_sub_co_i32 s36, 0, s34
	s_delay_alu instid0(VALU_DEP_1) | instskip(SKIP_1) | instid1(TRANS32_DEP_1)
	v_rcp_iflag_f32_e32 v5, v5
	v_nop
	v_mul_f32_e32 v5, 0x4f7ffffe, v5
	s_delay_alu instid0(VALU_DEP_1) | instskip(NEXT) | instid1(VALU_DEP_1)
	v_cvt_u32_f32_e32 v5, v5
	v_mul_lo_u32 v12, s36, v5
	s_delay_alu instid0(VALU_DEP_1) | instskip(NEXT) | instid1(VALU_DEP_1)
	v_mul_hi_u32 v12, v5, v12
	v_add_nc_u32_e32 v5, v5, v12
	s_delay_alu instid0(VALU_DEP_1) | instskip(NEXT) | instid1(VALU_DEP_1)
	v_mul_hi_u32 v5, v10, v5
	v_mul_lo_u32 v12, v5, s34
	s_delay_alu instid0(VALU_DEP_1) | instskip(SKIP_1) | instid1(VALU_DEP_1)
	v_dual_add_nc_u32 v13, 1, v5 :: v_dual_sub_nc_u32 v12, v10, v12
	s_wait_loadcnt 0x0
	v_subrev_nc_u32_e32 v18, s34, v12
	v_cmp_le_u32_e32 vcc_lo, s34, v12
	s_delay_alu instid0(VALU_DEP_2) | instskip(NEXT) | instid1(VALU_DEP_1)
	v_dual_cndmask_b32 v12, v12, v18 :: v_dual_cndmask_b32 v5, v5, v13
	v_cmp_le_u32_e32 vcc_lo, s34, v12
	s_delay_alu instid0(VALU_DEP_2) | instskip(NEXT) | instid1(VALU_DEP_1)
	v_add_nc_u32_e32 v13, 1, v5
	v_dual_cndmask_b32 v12, v5, v13 :: v_dual_mov_b32 v13, v4
	s_branch .LBB25_40
.LBB25_45:
	s_or_b32 exec_lo, exec_lo, s57
	s_mov_b32 s29, -1
	s_mov_b32 s0, 0
	s_mov_b32 s27, 0
	s_mov_b32 s1, exec_lo
	v_cmpx_gt_i64_e64 v[6:7], v[14:15]
	s_cbranch_execz .LBB25_51
; %bb.46:
	s_delay_alu instid0(VALU_DEP_2) | instskip(SKIP_1) | instid1(VALU_DEP_1)
	v_lshlrev_b64_e32 v[2:3], 3, v[2:3]
	s_xor_b32 s29, s42, -1
                                        ; implicit-def: $sgpr28
                                        ; implicit-def: $sgpr31
                                        ; implicit-def: $sgpr30
	v_lshl_add_u64 v[4:5], v[14:15], 3, v[2:3]
	v_add_nc_u64_e32 v[10:11], s[24:25], v[2:3]
	s_delay_alu instid0(VALU_DEP_2) | instskip(NEXT) | instid1(VALU_DEP_1)
	v_add_nc_u64_e32 v[4:5], s[24:25], v[4:5]
	v_add_nc_u64_e32 v[2:3], 8, v[4:5]
	s_delay_alu instid0(VALU_DEP_3)
	v_lshl_add_u64 v[4:5], v[6:7], 3, v[10:11]
	s_branch .LBB25_48
.LBB25_47:                              ;   in Loop: Header=BB25_48 Depth=1
	s_or_b32 exec_lo, exec_lo, s34
	s_delay_alu instid0(SALU_CYCLE_1) | instskip(NEXT) | instid1(SALU_CYCLE_1)
	s_and_b32 s34, exec_lo, s31
	s_or_b32 s27, s34, s27
	s_and_not1_b32 s28, s28, exec_lo
	s_and_b32 s34, s30, exec_lo
	s_delay_alu instid0(SALU_CYCLE_1)
	s_or_b32 s28, s28, s34
	s_and_not1_b32 exec_lo, exec_lo, s27
	s_cbranch_execz .LBB25_50
.LBB25_48:                              ; =>This Inner Loop Header: Depth=1
	s_or_b32 s30, s30, exec_lo
	s_or_b32 s31, s31, exec_lo
	s_mov_b32 s34, exec_lo
	s_delay_alu instid0(VALU_DEP_2)
	v_cmpx_lt_u64_e64 v[2:3], v[4:5]
	s_cbranch_execz .LBB25_47
; %bb.49:                               ;   in Loop: Header=BB25_48 Depth=1
	global_load_b128 v[10:13], v[2:3], off offset:-8
	s_and_not1_b32 s31, s31, exec_lo
	s_wait_xcnt 0x0
	v_add_nc_u64_e32 v[2:3], 8, v[2:3]
	s_and_not1_b32 s30, s30, exec_lo
	s_wait_loadcnt 0x0
	v_cmp_ge_i64_e32 vcc_lo, v[10:11], v[12:13]
	s_or_b32 s35, s29, vcc_lo
	s_delay_alu instid0(SALU_CYCLE_1) | instskip(NEXT) | instid1(SALU_CYCLE_1)
	s_and_b32 s35, s35, exec_lo
	s_or_b32 s31, s31, s35
	s_branch .LBB25_47
.LBB25_50:
	s_or_b32 exec_lo, exec_lo, s27
	s_delay_alu instid0(SALU_CYCLE_1)
	s_mov_b32 s27, exec_lo
	s_or_not1_b32 s29, s28, exec_lo
.LBB25_51:
	s_or_b32 exec_lo, exec_lo, s1
	s_mov_b32 s28, 0
	s_and_saveexec_b32 s1, s29
	s_delay_alu instid0(SALU_CYCLE_1)
	s_xor_b32 s1, exec_lo, s1
; %bb.52:
	v_cmp_ne_u64_e32 vcc_lo, v[44:45], v[38:39]
	s_mov_b32 s28, exec_lo
	s_and_not1_b32 s27, s27, exec_lo
	s_and_b32 s0, vcc_lo, exec_lo
; %bb.53:
	s_or_b32 exec_lo, exec_lo, s1
	s_delay_alu instid0(SALU_CYCLE_1)
	s_and_b32 s29, s27, exec_lo
	s_xor_b32 s1, exec_lo, -1
	s_and_b32 s27, s28, exec_lo
	s_and_b32 s28, s0, exec_lo
.LBB25_54:
	s_or_b32 exec_lo, exec_lo, s56
	s_delay_alu instid0(SALU_CYCLE_1)
	s_and_b32 s30, s29, exec_lo
	s_and_b32 s29, s1, exec_lo
	s_xor_b32 s1, exec_lo, -1
	s_and_b32 s27, s27, exec_lo
	s_and_b32 s0, s28, exec_lo
.LBB25_55:
	s_or_b32 exec_lo, exec_lo, s55
	s_delay_alu instid0(SALU_CYCLE_1)
	s_and_b32 s30, s30, exec_lo
	s_and_b32 s29, s29, exec_lo
	;; [unrolled: 1-line block ×4, first 2 shown]
	s_or_not1_b32 s0, s0, exec_lo
.LBB25_56:
	s_or_b32 exec_lo, exec_lo, s54
	s_delay_alu instid0(SALU_CYCLE_1)
	s_and_not1_b32 s27, s52, exec_lo
	s_and_b32 s30, s30, exec_lo
	s_and_b32 s29, s29, exec_lo
	s_or_b32 s52, s27, s30
	s_and_b32 s28, s28, exec_lo
	s_and_b32 s27, s1, exec_lo
	;; [unrolled: 1-line block ×3, first 2 shown]
.LBB25_57:
	s_or_b32 exec_lo, exec_lo, s53
	s_delay_alu instid0(SALU_CYCLE_1)
	s_and_b32 s30, s52, exec_lo
	s_or_not1_b32 s1, s29, exec_lo
	s_and_b32 s29, s28, exec_lo
	s_and_b32 s28, s27, exec_lo
	;; [unrolled: 1-line block ×3, first 2 shown]
.LBB25_58:
	s_or_b32 exec_lo, exec_lo, s51
	s_delay_alu instid0(SALU_CYCLE_1)
	s_and_b32 s30, s30, exec_lo
	s_and_b32 s31, s1, exec_lo
	s_or_not1_b32 s1, s29, exec_lo
	s_and_b32 s28, s28, exec_lo
	s_and_b32 s0, s27, exec_lo
.LBB25_59:
	s_or_b32 exec_lo, exec_lo, s50
	s_delay_alu instid0(SALU_CYCLE_1)
	s_and_b32 s30, s30, exec_lo
	s_and_b32 s29, s31, exec_lo
	;; [unrolled: 1-line block ×4, first 2 shown]
	s_or_not1_b32 s0, s0, exec_lo
.LBB25_60:
	s_or_b32 exec_lo, exec_lo, s49
	s_delay_alu instid0(SALU_CYCLE_1)
	s_and_not1_b32 s28, s47, exec_lo
	s_and_b32 s30, s30, exec_lo
	s_and_b32 s31, s29, exec_lo
	s_or_b32 s47, s28, s30
	s_and_b32 s29, s27, exec_lo
	s_and_b32 s28, s1, exec_lo
	;; [unrolled: 1-line block ×3, first 2 shown]
.LBB25_61:
	s_or_b32 exec_lo, exec_lo, s48
	s_delay_alu instid0(SALU_CYCLE_1)
	s_and_b32 s30, s46, exec_lo
	s_and_b32 s27, s47, exec_lo
	s_or_not1_b32 s1, s31, exec_lo
	s_and_b32 s34, s29, exec_lo
	s_and_b32 s28, s28, exec_lo
	;; [unrolled: 1-line block ×3, first 2 shown]
.LBB25_62:
	s_or_b32 exec_lo, exec_lo, s45
	s_delay_alu instid0(SALU_CYCLE_1)
	s_and_b32 s31, s30, exec_lo
	s_and_b32 s30, s27, exec_lo
	s_and_b32 s27, s1, exec_lo
	s_or_not1_b32 s0, s34, exec_lo
	s_and_b32 s28, s28, exec_lo
	s_and_b32 s29, s29, exec_lo
.LBB25_63:
	s_or_b32 exec_lo, exec_lo, s44
	s_delay_alu instid0(SALU_CYCLE_1)
	s_and_b32 s1, s31, exec_lo
	s_and_b32 s36, s30, exec_lo
	;; [unrolled: 1-line block ×5, first 2 shown]
	s_or_not1_b32 s29, s29, exec_lo
.LBB25_64:
	s_or_b32 exec_lo, exec_lo, s43
	s_and_saveexec_b32 s30, s29
	s_cbranch_execnz .LBB25_211
.LBB25_65:
	s_or_b32 exec_lo, exec_lo, s30
	s_mov_b32 s29, 0
	s_and_saveexec_b32 s30, s28
	s_delay_alu instid0(SALU_CYCLE_1)
	s_xor_b32 s28, exec_lo, s30
	s_cbranch_execz .LBB25_67
; %bb.66:
	s_wait_loadcnt 0x0
	v_cmp_ne_u64_e32 vcc_lo, v[32:33], v[34:35]
	s_and_not1_b32 s0, s0, exec_lo
	s_mov_b32 s29, exec_lo
	s_and_b32 s30, vcc_lo, exec_lo
	s_delay_alu instid0(SALU_CYCLE_1)
	s_or_b32 s0, s0, s30
.LBB25_67:
	s_or_b32 exec_lo, exec_lo, s28
	s_and_saveexec_b32 s28, s0
	s_cbranch_execnz .LBB25_212
.LBB25_68:
	s_or_b32 exec_lo, exec_lo, s28
	s_mov_b32 s28, 0
	s_and_saveexec_b32 s0, s29
	s_delay_alu instid0(SALU_CYCLE_1)
	s_xor_b32 s29, exec_lo, s0
	s_cbranch_execnz .LBB25_104
; %bb.69:
	s_or_b32 exec_lo, exec_lo, s29
	s_and_saveexec_b32 s0, s27
	s_cbranch_execnz .LBB25_105
.LBB25_70:
	s_or_b32 exec_lo, exec_lo, s0
	s_mov_b32 s0, 0
	s_and_saveexec_b32 s37, s28
	s_cbranch_execnz .LBB25_106
.LBB25_71:
	s_or_b32 exec_lo, exec_lo, s37
	s_and_saveexec_b32 s1, s36
	s_cbranch_execnz .LBB25_152
.LBB25_72:
	s_or_b32 exec_lo, exec_lo, s1
	s_and_saveexec_b32 s1, s0
	s_delay_alu instid0(SALU_CYCLE_1)
	s_xor_b32 s0, exec_lo, s1
	s_cbranch_execz .LBB25_74
.LBB25_73:
	s_mov_b32 s24, 0
	s_add_nc_u64 s[2:3], s[4:5], s[22:23]
	s_mov_b32 s25, s24
	s_mov_b32 s26, s24
	;; [unrolled: 1-line block ×3, first 2 shown]
	v_mov_b64_e32 v[2:3], s[24:25]
	v_mov_b64_e32 v[4:5], s[26:27]
	s_clause 0x1
	global_store_b128 v1, v[2:5], s[2:3]
	global_store_b128 v1, v[2:5], s[2:3] offset:16
.LBB25_74:
	s_wait_xcnt 0x0
	s_or_b32 exec_lo, exec_lo, s0
	s_mov_b32 s0, 0
.LBB25_75:
	s_delay_alu instid0(SALU_CYCLE_1)
	s_and_b32 vcc_lo, exec_lo, s0
	s_cbranch_vccz .LBB25_95
; %bb.76:
	v_mov_b64_e32 v[26:27], 0
	v_mov_b64_e32 v[36:37], 0
	;; [unrolled: 1-line block ×3, first 2 shown]
	s_wait_loadcnt 0x0
	v_mov_b64_e32 v[32:33], 0
	v_mov_b64_e32 v[34:35], 0
	;; [unrolled: 1-line block ×3, first 2 shown]
	v_cmp_gt_i32_e64 s0, s33, v0
	v_or_b32_e32 v1, 0x100, v0
	v_mov_b32_e32 v42, v0
	s_and_saveexec_b32 s1, s0
	s_cbranch_execz .LBB25_78
; %bb.77:
	v_or_b32_e32 v2, s16, v0
	v_or_b32_e32 v42, 0x100, v0
	s_clause 0x4
	global_load_b64 v[32:33], v2, s[10:11] scale_offset
	global_load_b64 v[36:37], v2, s[6:7] scale_offset
	;; [unrolled: 1-line block ×5, first 2 shown]
.LBB25_78:
	s_wait_xcnt 0x0
	s_or_b32 exec_lo, exec_lo, s1
	v_mov_b64_e32 v[28:29], 0
	v_mov_b64_e32 v[22:23], 0
	v_mov_b64_e32 v[24:25], 0
	v_mov_b64_e32 v[30:31], 0
	s_mov_b32 s1, exec_lo
	v_cmpx_gt_i32_e64 s33, v42
	s_cbranch_execz .LBB25_80
; %bb.79:
	v_add_nc_u32_e32 v2, s16, v42
	v_add_nc_u32_e32 v42, 0x100, v42
	s_clause 0x4
	global_load_b64 v[22:23], v2, s[10:11] scale_offset
	global_load_b64 v[26:27], v2, s[6:7] scale_offset
	;; [unrolled: 1-line block ×5, first 2 shown]
.LBB25_80:
	s_wait_xcnt 0x0
	s_or_b32 exec_lo, exec_lo, s1
	v_mov_b64_e32 v[10:11], 0
	v_mov_b64_e32 v[20:21], 0
	;; [unrolled: 1-line block ×6, first 2 shown]
	s_mov_b32 s1, exec_lo
	v_cmpx_gt_i32_e64 s33, v42
	s_cbranch_execz .LBB25_82
; %bb.81:
	v_add_nc_u32_e32 v2, s16, v42
	v_add_nc_u32_e32 v42, 0x100, v42
	s_clause 0x4
	global_load_b64 v[12:13], v2, s[10:11] scale_offset
	global_load_b64 v[20:21], v2, s[6:7] scale_offset
	;; [unrolled: 1-line block ×5, first 2 shown]
.LBB25_82:
	s_wait_xcnt 0x0
	s_or_b32 exec_lo, exec_lo, s1
	v_mov_b64_e32 v[6:7], 0
	v_mov_b64_e32 v[2:3], 0
	;; [unrolled: 1-line block ×4, first 2 shown]
	s_mov_b32 s1, exec_lo
	v_cmpx_gt_i32_e64 s33, v42
	s_cbranch_execz .LBB25_84
; %bb.83:
	v_add_nc_u32_e32 v42, s16, v42
	s_clause 0x4
	global_load_b64 v[2:3], v42, s[10:11] scale_offset
	global_load_b64 v[10:11], v42, s[6:7] scale_offset
	global_load_b64 v[6:7], v42, s[8:9] scale_offset
	global_load_b64 v[4:5], v42, s[12:13] scale_offset
	global_load_b64 v[8:9], v42, s[14:15] scale_offset
.LBB25_84:
	s_wait_xcnt 0x0
	s_or_b32 exec_lo, exec_lo, s1
	s_clause 0x1
	s_load_b256 s[8:15], s[18:19], 0x0
	s_load_b64 s[2:3], s[18:19], 0xa0
	s_cmp_lg_u64 s[20:21], 0
	s_get_pc_i64 s[6:7]
	s_add_nc_u64 s[6:7], s[6:7], .str.2@rel64+4
	s_get_pc_i64 s[20:21]
	s_add_nc_u64 s[20:21], s[20:21], .str.3@rel64+4
	s_cselect_b32 s38, -1, 0
	s_cmp_lg_u64 s[6:7], 0
	s_get_pc_i64 s[22:23]
	s_add_nc_u64 s[22:23], s[22:23], .str.4@rel64+4
	s_cselect_b32 s36, -1, 0
	s_cmp_lg_u64 s[20:21], 0
	s_mov_b32 s1, -1
	s_cselect_b32 s35, -1, 0
	s_mov_b32 s44, 0
	s_mov_b32 s42, 0
	;; [unrolled: 1-line block ×5, first 2 shown]
	s_wait_kmcnt 0x0
	s_add_co_i32 s6, s14, -1
	s_delay_alu instid0(SALU_CYCLE_1)
	s_cmp_gt_i32 s6, -1
	s_cselect_b32 s34, -1, 0
	s_cmp_lg_u64 s[22:23], 0
	s_cselect_b32 s15, -1, 0
	s_and_saveexec_b32 s40, s0
	s_cbranch_execnz .LBB25_113
; %bb.85:
	s_or_b32 exec_lo, exec_lo, s40
	s_mov_b32 s40, 0
	s_and_saveexec_b32 s43, s1
	s_cbranch_execnz .LBB25_161
.LBB25_86:
	s_or_b32 exec_lo, exec_lo, s43
	s_and_saveexec_b32 s1, s42
	s_cbranch_execnz .LBB25_210
.LBB25_87:
	s_or_b32 exec_lo, exec_lo, s1
	s_mov_b32 s1, 0
	s_and_saveexec_b32 s7, s44
	s_delay_alu instid0(SALU_CYCLE_1)
	s_xor_b32 s7, exec_lo, s7
	s_cbranch_execz .LBB25_89
; %bb.88:
	s_wait_loadcnt 0x2
	v_cmp_ne_u64_e32 vcc_lo, s[12:13], v[6:7]
	s_xor_b32 s8, s36, -1
	s_and_not1_b32 s9, s41, exec_lo
	s_mov_b32 s1, exec_lo
	s_or_b32 s8, s8, vcc_lo
	s_delay_alu instid0(SALU_CYCLE_1) | instskip(NEXT) | instid1(SALU_CYCLE_1)
	s_and_b32 s8, s8, exec_lo
	s_or_b32 s41, s9, s8
.LBB25_89:
	s_or_b32 exec_lo, exec_lo, s7
	s_and_saveexec_b32 s7, s41
	s_cbranch_execnz .LBB25_213
.LBB25_90:
	s_or_b32 exec_lo, exec_lo, s7
	s_mov_b32 s7, 0
	s_and_saveexec_b32 s8, s1
	s_delay_alu instid0(SALU_CYCLE_1)
	s_xor_b32 s8, exec_lo, s8
	s_cbranch_execnz .LBB25_123
; %bb.91:
	s_or_b32 exec_lo, exec_lo, s8
	s_and_saveexec_b32 s1, s39
	s_cbranch_execnz .LBB25_124
.LBB25_92:
	s_or_b32 exec_lo, exec_lo, s1
	s_and_saveexec_b32 s22, s7
	s_cbranch_execnz .LBB25_125
.LBB25_93:
	s_or_b32 exec_lo, exec_lo, s22
	s_and_saveexec_b32 s1, s37
	s_cbranch_execnz .LBB25_155
.LBB25_94:
	s_or_b32 exec_lo, exec_lo, s1
	s_and_saveexec_b32 s1, s17
	s_cbranch_execnz .LBB25_96
	s_branch .LBB25_97
.LBB25_95:
                                        ; implicit-def: $sgpr0
                                        ; implicit-def: $vgpr1
                                        ; implicit-def: $vgpr0
	s_and_saveexec_b32 s1, s17
.LBB25_96:
	; divergent unreachable
.LBB25_97:
	s_delay_alu instid0(SALU_CYCLE_1) | instskip(SKIP_1) | instid1(SALU_CYCLE_1)
	s_or_b32 exec_lo, exec_lo, s1
	s_and_saveexec_b32 s1, s40
	s_xor_b32 s1, exec_lo, s1
	s_cbranch_execz .LBB25_103
; %bb.98:
	s_and_saveexec_b32 s1, s0
	s_delay_alu instid0(SALU_CYCLE_1)
	s_xor_b32 s0, exec_lo, s1
	s_cbranch_execnz .LBB25_132
; %bb.99:
	s_or_b32 exec_lo, exec_lo, s0
	s_delay_alu instid0(SALU_CYCLE_1)
	s_mov_b32 s0, exec_lo
	v_cmpx_gt_i32_e64 s33, v0
	s_cbranch_execnz .LBB25_133
.LBB25_100:
	s_or_b32 exec_lo, exec_lo, s0
	s_delay_alu instid0(SALU_CYCLE_1)
	s_mov_b32 s0, exec_lo
	v_cmpx_gt_i32_e64 s33, v0
	s_cbranch_execnz .LBB25_134
.LBB25_101:
	s_or_b32 exec_lo, exec_lo, s0
	s_delay_alu instid0(SALU_CYCLE_1)
	s_mov_b32 s0, exec_lo
	v_cmpx_gt_i32_e64 s33, v0
	s_cbranch_execz .LBB25_103
.LBB25_102:
	s_wait_loadcnt 0x4
	v_mov_b64_e32 v[2:3], 0
	v_add_nc_u32_e32 v0, s16, v0
	global_store_b64 v0, v[2:3], s[4:5] scale_offset
.LBB25_103:
	s_endpgm
.LBB25_104:
	s_wait_loadcnt 0x0
	v_sub_nc_u64_e32 v[2:3], v[8:9], v[16:17]
	s_mov_b32 s28, exec_lo
	s_delay_alu instid0(VALU_DEP_1) | instskip(SKIP_3) | instid1(SALU_CYCLE_1)
	v_cmp_gt_i64_e32 vcc_lo, v[38:39], v[2:3]
	v_cmp_lt_i64_e64 s0, s[2:3], v[2:3]
	s_and_not1_b32 s2, s27, exec_lo
	s_or_b32 s0, vcc_lo, s0
	s_and_b32 s0, s0, exec_lo
	s_delay_alu instid0(SALU_CYCLE_1)
	s_or_b32 s27, s2, s0
	s_or_b32 exec_lo, exec_lo, s29
	s_and_saveexec_b32 s0, s27
	s_cbranch_execz .LBB25_70
.LBB25_105:
	s_or_b32 s17, s17, exec_lo
	s_and_not1_b32 s28, s28, exec_lo
	s_trap 2
	s_or_b32 exec_lo, exec_lo, s0
	s_mov_b32 s0, 0
	s_and_saveexec_b32 s37, s28
	s_cbranch_execz .LBB25_71
.LBB25_106:
	v_mov_b64_e32 v[2:3], 0
	s_and_saveexec_b32 s38, s1
	s_cbranch_execz .LBB25_135
; %bb.107:
	s_wait_loadcnt 0x0
	v_mul_u64_e32 v[6:7], v[24:25], v[34:35]
	s_ashr_i32 s27, s26, 31
	v_mov_b64_e32 v[2:3], 0
	s_lshl_b64 s[0:1], s[26:27], 3
	v_mov_b32_e32 v4, 0
	s_add_nc_u64 s[0:1], s[18:19], s[0:1]
	s_mov_b64 s[2:3], 0xffffffff
	s_add_nc_u64 s[26:27], s[0:1], 32
	s_mov_b32 s1, 0
	s_branch .LBB25_109
.LBB25_108:                             ;   in Loop: Header=BB25_109 Depth=1
	s_or_b32 exec_lo, exec_lo, s0
	s_delay_alu instid0(VALU_DEP_1)
	v_mul_u64_e32 v[12:13], s[28:29], v[10:11]
	s_load_b64 s[28:29], s[26:27], 0x40
	s_add_co_i32 s41, s41, -1
	s_wait_xcnt 0x0
	s_add_nc_u64 s[26:27], s[26:27], -8
	s_cmp_lg_u32 s41, 0
	s_delay_alu instid0(VALU_DEP_1) | instskip(SKIP_1) | instid1(VALU_DEP_1)
	v_sub_nc_u64_e32 v[6:7], v[6:7], v[12:13]
	s_wait_kmcnt 0x0
	v_mad_nc_u64_u32 v[2:3], v6, s28, v[2:3]
	s_delay_alu instid0(VALU_DEP_1) | instskip(NEXT) | instid1(VALU_DEP_1)
	v_mad_u32 v3, v7, s28, v3
	v_mad_u32 v3, v6, s29, v3
	v_mov_b64_e32 v[6:7], v[10:11]
	s_cbranch_scc0 .LBB25_135
.LBB25_109:                             ; =>This Inner Loop Header: Depth=1
	s_load_b64 s[28:29], s[26:27], 0x0
                                        ; implicit-def: $vgpr10_vgpr11
	s_mov_b32 s0, exec_lo
	s_wait_kmcnt 0x0
	s_delay_alu instid0(VALU_DEP_1) | instskip(NEXT) | instid1(VALU_DEP_1)
	v_or_b32_e32 v5, s29, v7
	v_cmpx_ne_u64_e32 0, v[4:5]
	s_xor_b32 s39, exec_lo, s0
	s_cbranch_execz .LBB25_111
; %bb.110:                              ;   in Loop: Header=BB25_109 Depth=1
	s_ashr_i32 s30, s29, 31
	v_dual_mov_b32 v15, v4 :: v_dual_ashrrev_i32 v10, 31, v7
	s_mov_b32 s31, s30
	v_mov_b32_e32 v25, v4
	s_add_nc_u64 s[34:35], s[28:29], s[30:31]
	s_delay_alu instid0(VALU_DEP_2) | instskip(SKIP_1) | instid1(SALU_CYCLE_1)
	v_mov_b32_e32 v11, v10
	s_xor_b64 s[34:35], s[34:35], s[30:31]
	s_cvt_f32_u32 s0, s34
	s_cvt_f32_u32 s31, s35
	s_sub_nc_u64 s[46:47], 0, s[34:35]
	v_add_nc_u64_e32 v[12:13], v[6:7], v[10:11]
	v_mov_b32_e32 v21, v4
	s_fmamk_f32 s0, s31, 0x4f800000, s0
	s_delay_alu instid0(SALU_CYCLE_3) | instskip(NEXT) | instid1(VALU_DEP_2)
	v_s_rcp_f32 s0, s0
	v_xor_b32_e32 v14, v12, v10
	s_delay_alu instid0(VALU_DEP_3) | instskip(SKIP_1) | instid1(TRANS32_DEP_1)
	v_xor_b32_e32 v20, v13, v10
	v_xor_b32_e32 v10, s30, v10
	s_mul_f32 s0, s0, 0x5f7ffffc
	s_delay_alu instid0(SALU_CYCLE_3) | instskip(NEXT) | instid1(SALU_CYCLE_3)
	s_mul_f32 s31, s0, 0x2f800000
	s_trunc_f32 s31, s31
	s_delay_alu instid0(SALU_CYCLE_3) | instskip(SKIP_1) | instid1(SALU_CYCLE_2)
	s_fmamk_f32 s0, s31, 0xcf800000, s0
	s_cvt_u32_f32 s45, s31
	s_cvt_u32_f32 s44, s0
	s_delay_alu instid0(SALU_CYCLE_3) | instskip(NEXT) | instid1(SALU_CYCLE_1)
	s_mul_u64 s[48:49], s[46:47], s[44:45]
	s_mul_hi_u32 s51, s44, s49
	s_mul_i32 s50, s44, s49
	s_mul_hi_u32 s0, s44, s48
	s_mul_i32 s43, s45, s48
	s_add_nc_u64 s[50:51], s[0:1], s[50:51]
	s_mul_hi_u32 s31, s45, s48
	s_mul_hi_u32 s52, s45, s49
	s_add_co_u32 s0, s50, s43
	s_add_co_ci_u32 s0, s51, s31
	s_mul_i32 s48, s45, s49
	s_add_co_ci_u32 s49, s52, 0
	s_delay_alu instid0(SALU_CYCLE_1) | instskip(NEXT) | instid1(SALU_CYCLE_1)
	s_add_nc_u64 s[48:49], s[0:1], s[48:49]
	s_add_co_u32 s44, s44, s48
	s_cselect_b32 s0, -1, 0
	s_delay_alu instid0(SALU_CYCLE_1) | instskip(SKIP_1) | instid1(SALU_CYCLE_1)
	s_cmp_lg_u32 s0, 0
	s_add_co_ci_u32 s45, s45, s49
	s_mul_u64 s[46:47], s[46:47], s[44:45]
	s_delay_alu instid0(SALU_CYCLE_1)
	s_mul_hi_u32 s49, s44, s47
	s_mul_i32 s48, s44, s47
	s_mul_hi_u32 s0, s44, s46
	s_mul_i32 s43, s45, s46
	s_add_nc_u64 s[48:49], s[0:1], s[48:49]
	s_mul_hi_u32 s31, s45, s46
	s_mul_hi_u32 s50, s45, s47
	s_add_co_u32 s0, s48, s43
	s_add_co_ci_u32 s0, s49, s31
	s_mul_i32 s46, s45, s47
	s_add_co_ci_u32 s47, s50, 0
	s_delay_alu instid0(SALU_CYCLE_1) | instskip(NEXT) | instid1(SALU_CYCLE_1)
	s_add_nc_u64 s[46:47], s[0:1], s[46:47]
	s_add_co_u32 s44, s44, s46
	s_cselect_b32 s0, -1, 0
	v_mul_hi_u32 v24, v14, s44
	s_cmp_lg_u32 s0, 0
	s_add_co_ci_u32 s0, s45, s47
	s_and_b64 s[46:47], s[44:45], s[2:3]
	v_mul_u64_e32 v[18:19], s[0:1], v[14:15]
	v_mul_u64_e32 v[12:13], s[46:47], v[20:21]
	;; [unrolled: 1-line block ×3, first 2 shown]
	s_delay_alu instid0(VALU_DEP_3) | instskip(NEXT) | instid1(VALU_DEP_1)
	v_add_nc_u64_e32 v[18:19], v[24:25], v[18:19]
	v_add_co_u32 v5, vcc_lo, v18, v12
	s_delay_alu instid0(VALU_DEP_2) | instskip(NEXT) | instid1(VALU_DEP_4)
	v_add_co_ci_u32_e32 v24, vcc_lo, v19, v13, vcc_lo
	v_add_co_ci_u32_e32 v23, vcc_lo, 0, v23, vcc_lo
	s_delay_alu instid0(VALU_DEP_1) | instskip(NEXT) | instid1(VALU_DEP_1)
	v_add_nc_u64_e32 v[12:13], v[24:25], v[22:23]
	v_mul_u64_e32 v[18:19], s[34:35], v[12:13]
	s_delay_alu instid0(VALU_DEP_1) | instskip(NEXT) | instid1(VALU_DEP_2)
	v_sub_nc_u32_e32 v5, v20, v19
	v_sub_co_u32 v11, vcc_lo, v14, v18
	s_delay_alu instid0(VALU_DEP_1) | instskip(NEXT) | instid1(VALU_DEP_3)
	v_sub_co_ci_u32_e64 v20, null, v20, v19, vcc_lo
	v_subrev_co_ci_u32_e64 v5, null, s35, v5, vcc_lo
	s_delay_alu instid0(VALU_DEP_3) | instskip(SKIP_1) | instid1(VALU_DEP_3)
	v_sub_co_u32 v14, s0, v11, s34
	v_add_nc_u64_e32 v[18:19], 1, v[12:13]
	v_subrev_co_ci_u32_e64 v5, null, 0, v5, s0
	s_delay_alu instid0(VALU_DEP_3) | instskip(SKIP_1) | instid1(VALU_DEP_3)
	v_cmp_le_u32_e32 vcc_lo, s34, v14
	v_cndmask_b32_e64 v14, 0, -1, vcc_lo
	v_cmp_le_u32_e32 vcc_lo, s35, v5
	v_cndmask_b32_e64 v15, 0, -1, vcc_lo
	;; [unrolled: 2-line block ×4, first 2 shown]
	v_cmp_eq_u32_e32 vcc_lo, s35, v5
	v_cndmask_b32_e32 v5, v15, v14, vcc_lo
	v_cmp_eq_u32_e32 vcc_lo, s35, v20
	v_add_nc_u64_e32 v[14:15], 2, v[12:13]
	v_cndmask_b32_e32 v11, v21, v11, vcc_lo
	s_delay_alu instid0(VALU_DEP_4) | instskip(NEXT) | instid1(VALU_DEP_2)
	v_cmp_ne_u32_e32 vcc_lo, 0, v5
	v_cmp_ne_u32_e64 s0, 0, v11
	s_delay_alu instid0(VALU_DEP_4) | instskip(NEXT) | instid1(VALU_DEP_1)
	v_dual_cndmask_b32 v5, v19, v15, vcc_lo :: v_dual_cndmask_b32 v11, v18, v14, vcc_lo
	v_dual_cndmask_b32 v12, v12, v11, s0 :: v_dual_mov_b32 v11, v10
	s_delay_alu instid0(VALU_DEP_1) | instskip(NEXT) | instid1(VALU_DEP_1)
	v_dual_cndmask_b32 v5, v13, v5, s0 :: v_dual_bitop2_b32 v12, v12, v10 bitop3:0x14
	v_xor_b32_e32 v13, v5, v10
	s_delay_alu instid0(VALU_DEP_1)
	v_sub_nc_u64_e32 v[10:11], v[12:13], v[10:11]
.LBB25_111:                             ;   in Loop: Header=BB25_109 Depth=1
	s_and_not1_saveexec_b32 s0, s39
	s_cbranch_execz .LBB25_108
; %bb.112:                              ;   in Loop: Header=BB25_109 Depth=1
	v_cvt_f32_u32_e32 v5, s28
	s_sub_co_i32 s30, 0, s28
	s_delay_alu instid0(VALU_DEP_1) | instskip(SKIP_1) | instid1(TRANS32_DEP_1)
	v_rcp_iflag_f32_e32 v5, v5
	v_nop
	v_mul_f32_e32 v5, 0x4f7ffffe, v5
	s_delay_alu instid0(VALU_DEP_1) | instskip(NEXT) | instid1(VALU_DEP_1)
	v_cvt_u32_f32_e32 v5, v5
	v_mul_lo_u32 v10, s30, v5
	s_delay_alu instid0(VALU_DEP_1) | instskip(NEXT) | instid1(VALU_DEP_1)
	v_mul_hi_u32 v10, v5, v10
	v_add_nc_u32_e32 v5, v5, v10
	s_delay_alu instid0(VALU_DEP_1) | instskip(NEXT) | instid1(VALU_DEP_1)
	v_mul_hi_u32 v5, v6, v5
	v_mul_lo_u32 v10, v5, s28
	s_delay_alu instid0(VALU_DEP_1) | instskip(NEXT) | instid1(VALU_DEP_1)
	v_dual_add_nc_u32 v11, 1, v5 :: v_dual_sub_nc_u32 v10, v6, v10
	v_subrev_nc_u32_e32 v12, s28, v10
	v_cmp_le_u32_e32 vcc_lo, s28, v10
	s_delay_alu instid0(VALU_DEP_2) | instskip(NEXT) | instid1(VALU_DEP_1)
	v_dual_cndmask_b32 v10, v10, v12 :: v_dual_cndmask_b32 v5, v5, v11
	v_cmp_le_u32_e32 vcc_lo, s28, v10
	s_delay_alu instid0(VALU_DEP_2) | instskip(NEXT) | instid1(VALU_DEP_1)
	v_add_nc_u32_e32 v11, 1, v5
	v_dual_cndmask_b32 v10, v5, v11 :: v_dual_mov_b32 v11, v4
	s_branch .LBB25_108
.LBB25_113:
	s_wait_loadcnt 0x3
	v_cmp_eq_u64_e32 vcc_lo, s[8:9], v[36:37]
	s_mov_b32 s7, -1
	s_mov_b32 s1, 0
	s_mov_b32 s20, 0
	;; [unrolled: 1-line block ×4, first 2 shown]
	s_and_b32 s23, s38, vcc_lo
	s_delay_alu instid0(SALU_CYCLE_1)
	s_and_saveexec_b32 s37, s23
	s_cbranch_execz .LBB25_160
; %bb.114:
	s_wait_loadcnt 0x2
	v_cmp_eq_u64_e32 vcc_lo, s[12:13], v[38:39]
	s_and_b32 s22, s36, vcc_lo
	s_delay_alu instid0(SALU_CYCLE_1)
	s_and_saveexec_b32 s39, s22
	s_cbranch_execz .LBB25_159
; %bb.115:
	s_wait_loadcnt 0x1
	v_sub_nc_u64_e32 v[42:43], v[34:35], v[32:33]
	s_delay_alu instid0(VALU_DEP_1)
	v_cmp_le_i64_e32 vcc_lo, v[36:37], v[42:43]
	v_cmp_ge_i64_e64 s1, s[10:11], v[42:43]
	s_and_b32 s20, vcc_lo, s1
	s_mov_b32 s1, 0
	s_and_b32 s21, s35, s20
	s_mov_b32 s20, 0
	s_and_saveexec_b32 s41, s21
	s_cbranch_execz .LBB25_158
; %bb.116:
	v_cmp_lt_i64_e32 vcc_lo, 0, v[38:39]
	v_mov_b64_e32 v[36:37], 0
	s_and_b32 s1, vcc_lo, s34
	s_delay_alu instid0(SALU_CYCLE_1)
	s_and_saveexec_b32 s42, s1
	s_cbranch_execz .LBB25_145
; %bb.117:
	s_wait_loadcnt 0x0
	v_mul_u64_e32 v[40:41], v[40:41], v[38:39]
	s_ashr_i32 s7, s6, 31
	v_mov_b64_e32 v[36:37], 0
	s_lshl_b64 s[22:23], s[6:7], 3
	v_mov_b32_e32 v38, 0
	s_add_nc_u64 s[22:23], s[18:19], s[22:23]
	s_mov_b64 s[20:21], 0xffffffff
	s_add_nc_u64 s[22:23], s[22:23], 32
	s_mov_b32 s25, 0
	s_mov_b32 s7, s14
	s_branch .LBB25_119
.LBB25_118:                             ;   in Loop: Header=BB25_119 Depth=1
	s_or_b32 exec_lo, exec_lo, s1
	s_delay_alu instid0(VALU_DEP_1)
	v_mul_u64_e32 v[44:45], s[26:27], v[42:43]
	s_load_b64 s[26:27], s[22:23], 0x40
	s_add_co_i32 s7, s7, -1
	s_wait_xcnt 0x0
	s_add_nc_u64 s[22:23], s[22:23], -8
	s_cmp_eq_u32 s7, 0
	s_delay_alu instid0(VALU_DEP_1) | instskip(SKIP_1) | instid1(VALU_DEP_1)
	v_sub_nc_u64_e32 v[40:41], v[40:41], v[44:45]
	s_wait_kmcnt 0x0
	v_mad_nc_u64_u32 v[36:37], v40, s26, v[36:37]
	s_delay_alu instid0(VALU_DEP_1) | instskip(NEXT) | instid1(VALU_DEP_1)
	v_mad_u32 v37, v41, s26, v37
	v_mad_u32 v37, v40, s27, v37
	v_mov_b64_e32 v[40:41], v[42:43]
	s_cbranch_scc1 .LBB25_145
.LBB25_119:                             ; =>This Inner Loop Header: Depth=1
	s_load_b64 s[26:27], s[22:23], 0x0
                                        ; implicit-def: $vgpr42_vgpr43
	s_mov_b32 s1, exec_lo
	s_wait_kmcnt 0x0
	s_delay_alu instid0(VALU_DEP_1) | instskip(NEXT) | instid1(VALU_DEP_1)
	v_or_b32_e32 v39, s27, v41
	v_cmpx_ne_u64_e32 0, v[38:39]
	s_xor_b32 s43, exec_lo, s1
	s_cbranch_execz .LBB25_121
; %bb.120:                              ;   in Loop: Header=BB25_119 Depth=1
	s_ashr_i32 s28, s27, 31
	v_dual_mov_b32 v47, v38 :: v_dual_ashrrev_i32 v42, 31, v41
	s_mov_b32 s29, s28
	v_mov_b32_e32 v55, v38
	s_add_nc_u64 s[30:31], s[26:27], s[28:29]
	s_delay_alu instid0(VALU_DEP_2) | instskip(SKIP_1) | instid1(SALU_CYCLE_1)
	v_mov_b32_e32 v43, v42
	s_xor_b64 s[30:31], s[30:31], s[28:29]
	s_cvt_f32_u32 s1, s30
	s_cvt_f32_u32 s24, s31
	s_sub_nc_u64 s[48:49], 0, s[30:31]
	v_add_nc_u64_e32 v[44:45], v[40:41], v[42:43]
	v_mov_b32_e32 v51, v38
	s_fmamk_f32 s1, s24, 0x4f800000, s1
	s_delay_alu instid0(SALU_CYCLE_3) | instskip(NEXT) | instid1(VALU_DEP_2)
	v_s_rcp_f32 s1, s1
	v_xor_b32_e32 v46, v44, v42
	s_delay_alu instid0(VALU_DEP_3) | instskip(NEXT) | instid1(TRANS32_DEP_1)
	v_xor_b32_e32 v50, v45, v42
	s_mul_f32 s1, s1, 0x5f7ffffc
	s_delay_alu instid0(SALU_CYCLE_3) | instskip(NEXT) | instid1(SALU_CYCLE_3)
	s_mul_f32 s24, s1, 0x2f800000
	s_trunc_f32 s24, s24
	s_delay_alu instid0(SALU_CYCLE_3) | instskip(SKIP_1) | instid1(SALU_CYCLE_2)
	s_fmamk_f32 s1, s24, 0xcf800000, s1
	s_cvt_u32_f32 s47, s24
	s_cvt_u32_f32 s46, s1
	s_delay_alu instid0(SALU_CYCLE_3) | instskip(NEXT) | instid1(SALU_CYCLE_1)
	s_mul_u64 s[50:51], s[48:49], s[46:47]
	s_mul_hi_u32 s53, s46, s51
	s_mul_i32 s52, s46, s51
	s_mul_hi_u32 s24, s46, s50
	s_mul_i32 s29, s47, s50
	s_add_nc_u64 s[52:53], s[24:25], s[52:53]
	s_mul_hi_u32 s1, s47, s50
	s_mul_hi_u32 s45, s47, s51
	s_add_co_u32 s24, s52, s29
	s_add_co_ci_u32 s24, s53, s1
	s_mul_i32 s50, s47, s51
	s_add_co_ci_u32 s51, s45, 0
	s_delay_alu instid0(SALU_CYCLE_1) | instskip(NEXT) | instid1(SALU_CYCLE_1)
	s_add_nc_u64 s[50:51], s[24:25], s[50:51]
	s_add_co_u32 s46, s46, s50
	s_cselect_b32 s1, -1, 0
	s_delay_alu instid0(SALU_CYCLE_1) | instskip(SKIP_1) | instid1(SALU_CYCLE_1)
	s_cmp_lg_u32 s1, 0
	s_add_co_ci_u32 s47, s47, s51
	s_mul_u64 s[48:49], s[48:49], s[46:47]
	s_delay_alu instid0(SALU_CYCLE_1)
	s_mul_hi_u32 s51, s46, s49
	s_mul_i32 s50, s46, s49
	s_mul_hi_u32 s24, s46, s48
	s_mul_i32 s29, s47, s48
	s_add_nc_u64 s[50:51], s[24:25], s[50:51]
	s_mul_hi_u32 s1, s47, s48
	s_mul_hi_u32 s45, s47, s49
	s_add_co_u32 s24, s50, s29
	s_add_co_ci_u32 s24, s51, s1
	s_mul_i32 s48, s47, s49
	s_add_co_ci_u32 s49, s45, 0
	s_delay_alu instid0(SALU_CYCLE_1) | instskip(NEXT) | instid1(SALU_CYCLE_1)
	s_add_nc_u64 s[48:49], s[24:25], s[48:49]
	s_add_co_u32 s46, s46, s48
	s_cselect_b32 s1, -1, 0
	v_mul_hi_u32 v54, v46, s46
	s_cmp_lg_u32 s1, 0
	s_add_co_ci_u32 s24, s47, s49
	s_and_b64 s[48:49], s[46:47], s[20:21]
	v_mul_u64_e32 v[48:49], s[24:25], v[46:47]
	v_mul_u64_e32 v[44:45], s[48:49], v[50:51]
	;; [unrolled: 1-line block ×3, first 2 shown]
	s_delay_alu instid0(VALU_DEP_3) | instskip(NEXT) | instid1(VALU_DEP_1)
	v_add_nc_u64_e32 v[48:49], v[54:55], v[48:49]
	v_add_co_u32 v39, vcc_lo, v48, v44
	s_delay_alu instid0(VALU_DEP_2) | instskip(NEXT) | instid1(VALU_DEP_4)
	v_add_co_ci_u32_e32 v54, vcc_lo, v49, v45, vcc_lo
	v_add_co_ci_u32_e32 v53, vcc_lo, 0, v53, vcc_lo
	s_delay_alu instid0(VALU_DEP_1) | instskip(NEXT) | instid1(VALU_DEP_1)
	v_add_nc_u64_e32 v[44:45], v[54:55], v[52:53]
	v_mul_u64_e32 v[48:49], s[30:31], v[44:45]
	s_delay_alu instid0(VALU_DEP_1) | instskip(NEXT) | instid1(VALU_DEP_2)
	v_sub_nc_u32_e32 v39, v50, v49
	v_sub_co_u32 v43, vcc_lo, v46, v48
	s_delay_alu instid0(VALU_DEP_1) | instskip(NEXT) | instid1(VALU_DEP_3)
	v_sub_co_ci_u32_e64 v50, null, v50, v49, vcc_lo
	v_subrev_co_ci_u32_e64 v39, null, s31, v39, vcc_lo
	s_delay_alu instid0(VALU_DEP_3) | instskip(SKIP_1) | instid1(VALU_DEP_3)
	v_sub_co_u32 v46, s1, v43, s30
	v_add_nc_u64_e32 v[48:49], 1, v[44:45]
	v_subrev_co_ci_u32_e64 v39, null, 0, v39, s1
	s_delay_alu instid0(VALU_DEP_3) | instskip(SKIP_1) | instid1(VALU_DEP_3)
	v_cmp_le_u32_e32 vcc_lo, s30, v46
	v_cndmask_b32_e64 v46, 0, -1, vcc_lo
	v_cmp_le_u32_e32 vcc_lo, s31, v39
	v_cndmask_b32_e64 v47, 0, -1, vcc_lo
	;; [unrolled: 2-line block ×4, first 2 shown]
	v_cmp_eq_u32_e32 vcc_lo, s31, v39
	v_cndmask_b32_e32 v39, v47, v46, vcc_lo
	v_cmp_eq_u32_e32 vcc_lo, s31, v50
	v_add_nc_u64_e32 v[46:47], 2, v[44:45]
	v_cndmask_b32_e32 v43, v51, v43, vcc_lo
	s_delay_alu instid0(VALU_DEP_4) | instskip(NEXT) | instid1(VALU_DEP_2)
	v_cmp_ne_u32_e32 vcc_lo, 0, v39
	v_cmp_ne_u32_e64 s1, 0, v43
	s_delay_alu instid0(VALU_DEP_4) | instskip(NEXT) | instid1(VALU_DEP_1)
	v_dual_cndmask_b32 v39, v49, v47, vcc_lo :: v_dual_cndmask_b32 v43, v48, v46, vcc_lo
	v_dual_cndmask_b32 v39, v45, v39, s1 :: v_dual_bitop2_b32 v42, s28, v42 bitop3:0x14
	s_delay_alu instid0(VALU_DEP_1) | instskip(NEXT) | instid1(VALU_DEP_2)
	v_dual_cndmask_b32 v44, v44, v43, s1 :: v_dual_mov_b32 v43, v42
	v_xor_b32_e32 v45, v39, v42
	s_delay_alu instid0(VALU_DEP_2) | instskip(NEXT) | instid1(VALU_DEP_1)
	v_xor_b32_e32 v44, v44, v42
	v_sub_nc_u64_e32 v[42:43], v[44:45], v[42:43]
.LBB25_121:                             ;   in Loop: Header=BB25_119 Depth=1
	s_and_not1_saveexec_b32 s1, s43
	s_cbranch_execz .LBB25_118
; %bb.122:                              ;   in Loop: Header=BB25_119 Depth=1
	v_cvt_f32_u32_e32 v39, s26
	s_sub_co_i32 s24, 0, s26
	s_delay_alu instid0(VALU_DEP_1) | instskip(SKIP_1) | instid1(TRANS32_DEP_1)
	v_rcp_iflag_f32_e32 v39, v39
	v_nop
	v_mul_f32_e32 v39, 0x4f7ffffe, v39
	s_delay_alu instid0(VALU_DEP_1) | instskip(NEXT) | instid1(VALU_DEP_1)
	v_cvt_u32_f32_e32 v39, v39
	v_mul_lo_u32 v42, s24, v39
	s_delay_alu instid0(VALU_DEP_1) | instskip(NEXT) | instid1(VALU_DEP_1)
	v_mul_hi_u32 v42, v39, v42
	v_add_nc_u32_e32 v39, v39, v42
	s_delay_alu instid0(VALU_DEP_1) | instskip(NEXT) | instid1(VALU_DEP_1)
	v_mul_hi_u32 v39, v40, v39
	v_mul_lo_u32 v42, v39, s26
	s_delay_alu instid0(VALU_DEP_1) | instskip(NEXT) | instid1(VALU_DEP_1)
	v_dual_add_nc_u32 v43, 1, v39 :: v_dual_sub_nc_u32 v42, v40, v42
	v_subrev_nc_u32_e32 v44, s26, v42
	v_cmp_le_u32_e32 vcc_lo, s26, v42
	s_delay_alu instid0(VALU_DEP_2) | instskip(NEXT) | instid1(VALU_DEP_1)
	v_dual_cndmask_b32 v42, v42, v44 :: v_dual_cndmask_b32 v39, v39, v43
	v_cmp_le_u32_e32 vcc_lo, s26, v42
	s_delay_alu instid0(VALU_DEP_2) | instskip(NEXT) | instid1(VALU_DEP_1)
	v_add_nc_u32_e32 v43, 1, v39
	v_dual_cndmask_b32 v42, v39, v43 :: v_dual_mov_b32 v43, v38
	s_branch .LBB25_118
.LBB25_123:
	s_wait_loadcnt 0x1
	v_sub_nc_u64_e32 v[12:13], v[4:5], v[2:3]
	s_and_not1_b32 s9, s39, exec_lo
	s_mov_b32 s7, exec_lo
	s_delay_alu instid0(VALU_DEP_1) | instskip(SKIP_2) | instid1(SALU_CYCLE_1)
	v_cmp_le_i64_e32 vcc_lo, v[10:11], v[12:13]
	v_cmp_ge_i64_e64 s1, s[10:11], v[12:13]
	s_and_b32 s1, vcc_lo, s1
	s_and_b32 s1, s35, s1
	s_delay_alu instid0(SALU_CYCLE_1) | instskip(NEXT) | instid1(SALU_CYCLE_1)
	s_xor_b32 s1, s1, -1
	s_and_b32 s1, s1, exec_lo
	s_delay_alu instid0(SALU_CYCLE_1)
	s_or_b32 s39, s9, s1
	s_or_b32 exec_lo, exec_lo, s8
	s_and_saveexec_b32 s1, s39
	s_cbranch_execz .LBB25_92
.LBB25_124:
	s_or_b32 s17, s17, exec_lo
	s_and_not1_b32 s7, s7, exec_lo
	s_trap 2
	s_or_b32 exec_lo, exec_lo, s1
	s_and_saveexec_b32 s22, s7
	s_cbranch_execz .LBB25_93
.LBB25_125:
	s_wait_loadcnt 0x2
	v_cmp_lt_i64_e32 vcc_lo, 0, v[6:7]
	v_mov_b64_e32 v[10:11], 0
	s_and_b32 s1, vcc_lo, s34
	s_delay_alu instid0(SALU_CYCLE_1)
	s_and_saveexec_b32 s23, s1
	s_cbranch_execz .LBB25_140
; %bb.126:
	s_wait_loadcnt 0x0
	v_mul_u64_e32 v[8:9], v[8:9], v[6:7]
	s_ashr_i32 s7, s6, 31
	v_mov_b64_e32 v[10:11], 0
	s_lshl_b64 s[8:9], s[6:7], 3
	v_mov_b32_e32 v6, 0
	s_add_nc_u64 s[8:9], s[18:19], s[8:9]
	s_mov_b64 s[6:7], 0xffffffff
	s_add_nc_u64 s[8:9], s[8:9], 32
	s_mov_b32 s11, 0
	s_branch .LBB25_128
.LBB25_127:                             ;   in Loop: Header=BB25_128 Depth=1
	s_or_b32 exec_lo, exec_lo, s1
	s_delay_alu instid0(VALU_DEP_1)
	v_mul_u64_e32 v[14:15], s[12:13], v[12:13]
	s_load_b64 s[12:13], s[8:9], 0x40
	s_add_co_i32 s14, s14, -1
	s_wait_xcnt 0x0
	s_add_nc_u64 s[8:9], s[8:9], -8
	s_cmp_lg_u32 s14, 0
	s_delay_alu instid0(VALU_DEP_1) | instskip(SKIP_1) | instid1(VALU_DEP_1)
	v_sub_nc_u64_e32 v[8:9], v[8:9], v[14:15]
	s_wait_kmcnt 0x0
	v_mad_nc_u64_u32 v[10:11], v8, s12, v[10:11]
	s_delay_alu instid0(VALU_DEP_1) | instskip(NEXT) | instid1(VALU_DEP_1)
	v_mad_u32 v7, v9, s12, v11
	v_mad_u32 v11, v8, s13, v7
	v_mov_b64_e32 v[8:9], v[12:13]
	s_cbranch_scc0 .LBB25_140
.LBB25_128:                             ; =>This Inner Loop Header: Depth=1
	s_load_b64 s[12:13], s[8:9], 0x0
                                        ; implicit-def: $vgpr12_vgpr13
	s_mov_b32 s1, exec_lo
	s_wait_kmcnt 0x0
	s_delay_alu instid0(VALU_DEP_1) | instskip(NEXT) | instid1(VALU_DEP_1)
	v_or_b32_e32 v7, s13, v9
	v_cmpx_ne_u64_e32 0, v[6:7]
	s_xor_b32 s24, exec_lo, s1
	s_cbranch_execz .LBB25_130
; %bb.129:                              ;   in Loop: Header=BB25_128 Depth=1
	s_ashr_i32 s18, s13, 31
	v_dual_mov_b32 v17, v6 :: v_dual_ashrrev_i32 v12, 31, v9
	s_mov_b32 s19, s18
	s_delay_alu instid0(SALU_CYCLE_1) | instskip(NEXT) | instid1(VALU_DEP_1)
	s_add_nc_u64 s[20:21], s[12:13], s[18:19]
	v_mov_b32_e32 v13, v12
	s_xor_b64 s[20:21], s[20:21], s[18:19]
	s_delay_alu instid0(SALU_CYCLE_1)
	s_cvt_f32_u32 s1, s20
	s_cvt_f32_u32 s10, s21
	s_sub_nc_u64 s[28:29], 0, s[20:21]
	v_add_nc_u64_e32 v[14:15], v[8:9], v[12:13]
	v_mov_b32_e32 v21, v6
	s_fmamk_f32 s1, s10, 0x4f800000, s1
	s_delay_alu instid0(SALU_CYCLE_3) | instskip(NEXT) | instid1(VALU_DEP_2)
	v_s_rcp_f32 s1, s1
	v_xor_b32_e32 v16, v14, v12
	s_delay_alu instid0(VALU_DEP_3) | instskip(SKIP_1) | instid1(TRANS32_DEP_1)
	v_dual_mov_b32 v25, v6 :: v_dual_bitop2_b32 v20, v15, v12 bitop3:0x14
	v_xor_b32_e32 v12, s18, v12
	s_mul_f32 s1, s1, 0x5f7ffffc
	s_delay_alu instid0(SALU_CYCLE_3) | instskip(NEXT) | instid1(SALU_CYCLE_3)
	s_mul_f32 s10, s1, 0x2f800000
	s_trunc_f32 s10, s10
	s_delay_alu instid0(SALU_CYCLE_3) | instskip(SKIP_1) | instid1(SALU_CYCLE_2)
	s_fmamk_f32 s1, s10, 0xcf800000, s1
	s_cvt_u32_f32 s27, s10
	s_cvt_u32_f32 s26, s1
	s_delay_alu instid0(SALU_CYCLE_3) | instskip(NEXT) | instid1(SALU_CYCLE_1)
	s_mul_u64 s[30:31], s[28:29], s[26:27]
	s_mul_hi_u32 s35, s26, s31
	s_mul_i32 s34, s26, s31
	s_mul_hi_u32 s10, s26, s30
	s_mul_i32 s19, s27, s30
	s_add_nc_u64 s[34:35], s[10:11], s[34:35]
	s_mul_hi_u32 s1, s27, s30
	s_mul_hi_u32 s25, s27, s31
	s_add_co_u32 s10, s34, s19
	s_add_co_ci_u32 s10, s35, s1
	s_mul_i32 s30, s27, s31
	s_add_co_ci_u32 s31, s25, 0
	s_delay_alu instid0(SALU_CYCLE_1) | instskip(NEXT) | instid1(SALU_CYCLE_1)
	s_add_nc_u64 s[30:31], s[10:11], s[30:31]
	s_add_co_u32 s26, s26, s30
	s_cselect_b32 s1, -1, 0
	s_delay_alu instid0(SALU_CYCLE_1) | instskip(SKIP_1) | instid1(SALU_CYCLE_1)
	s_cmp_lg_u32 s1, 0
	s_add_co_ci_u32 s27, s27, s31
	s_mul_u64 s[28:29], s[28:29], s[26:27]
	s_delay_alu instid0(SALU_CYCLE_1)
	s_mul_hi_u32 s31, s26, s29
	s_mul_i32 s30, s26, s29
	s_mul_hi_u32 s10, s26, s28
	s_mul_i32 s19, s27, s28
	s_add_nc_u64 s[30:31], s[10:11], s[30:31]
	s_mul_hi_u32 s1, s27, s28
	s_mul_hi_u32 s25, s27, s29
	s_add_co_u32 s10, s30, s19
	s_add_co_ci_u32 s10, s31, s1
	s_mul_i32 s28, s27, s29
	s_add_co_ci_u32 s29, s25, 0
	s_delay_alu instid0(SALU_CYCLE_1) | instskip(NEXT) | instid1(SALU_CYCLE_1)
	s_add_nc_u64 s[28:29], s[10:11], s[28:29]
	s_add_co_u32 s26, s26, s28
	s_cselect_b32 s1, -1, 0
	v_mul_hi_u32 v24, v16, s26
	s_cmp_lg_u32 s1, 0
	s_add_co_ci_u32 s10, s27, s29
	s_and_b64 s[28:29], s[26:27], s[6:7]
	v_mul_u64_e32 v[18:19], s[10:11], v[16:17]
	v_mul_u64_e32 v[14:15], s[28:29], v[20:21]
	;; [unrolled: 1-line block ×3, first 2 shown]
	s_delay_alu instid0(VALU_DEP_3) | instskip(NEXT) | instid1(VALU_DEP_1)
	v_add_nc_u64_e32 v[18:19], v[24:25], v[18:19]
	v_add_co_u32 v7, vcc_lo, v18, v14
	s_delay_alu instid0(VALU_DEP_2) | instskip(NEXT) | instid1(VALU_DEP_4)
	v_add_co_ci_u32_e32 v24, vcc_lo, v19, v15, vcc_lo
	v_add_co_ci_u32_e32 v23, vcc_lo, 0, v23, vcc_lo
	s_delay_alu instid0(VALU_DEP_1) | instskip(NEXT) | instid1(VALU_DEP_1)
	v_add_nc_u64_e32 v[14:15], v[24:25], v[22:23]
	v_mul_u64_e32 v[18:19], s[20:21], v[14:15]
	s_delay_alu instid0(VALU_DEP_1) | instskip(NEXT) | instid1(VALU_DEP_2)
	v_sub_nc_u32_e32 v7, v20, v19
	v_sub_co_u32 v13, vcc_lo, v16, v18
	s_delay_alu instid0(VALU_DEP_1) | instskip(NEXT) | instid1(VALU_DEP_3)
	v_sub_co_ci_u32_e64 v20, null, v20, v19, vcc_lo
	v_subrev_co_ci_u32_e64 v7, null, s21, v7, vcc_lo
	s_delay_alu instid0(VALU_DEP_3) | instskip(SKIP_1) | instid1(VALU_DEP_3)
	v_sub_co_u32 v16, s1, v13, s20
	v_add_nc_u64_e32 v[18:19], 1, v[14:15]
	v_subrev_co_ci_u32_e64 v7, null, 0, v7, s1
	s_delay_alu instid0(VALU_DEP_3) | instskip(SKIP_1) | instid1(VALU_DEP_3)
	v_cmp_le_u32_e32 vcc_lo, s20, v16
	v_cndmask_b32_e64 v16, 0, -1, vcc_lo
	v_cmp_le_u32_e32 vcc_lo, s21, v7
	v_cndmask_b32_e64 v17, 0, -1, vcc_lo
	;; [unrolled: 2-line block ×4, first 2 shown]
	v_cmp_eq_u32_e32 vcc_lo, s21, v7
	v_cndmask_b32_e32 v7, v17, v16, vcc_lo
	v_cmp_eq_u32_e32 vcc_lo, s21, v20
	v_add_nc_u64_e32 v[16:17], 2, v[14:15]
	v_cndmask_b32_e32 v13, v21, v13, vcc_lo
	s_delay_alu instid0(VALU_DEP_4) | instskip(NEXT) | instid1(VALU_DEP_2)
	v_cmp_ne_u32_e32 vcc_lo, 0, v7
	v_cmp_ne_u32_e64 s1, 0, v13
	s_delay_alu instid0(VALU_DEP_4) | instskip(NEXT) | instid1(VALU_DEP_1)
	v_dual_cndmask_b32 v7, v19, v17, vcc_lo :: v_dual_cndmask_b32 v13, v18, v16, vcc_lo
	v_dual_cndmask_b32 v14, v14, v13, s1 :: v_dual_mov_b32 v13, v12
	s_delay_alu instid0(VALU_DEP_1) | instskip(NEXT) | instid1(VALU_DEP_1)
	v_dual_cndmask_b32 v7, v15, v7, s1 :: v_dual_bitop2_b32 v14, v14, v12 bitop3:0x14
	v_xor_b32_e32 v15, v7, v12
	s_delay_alu instid0(VALU_DEP_1)
	v_sub_nc_u64_e32 v[12:13], v[14:15], v[12:13]
.LBB25_130:                             ;   in Loop: Header=BB25_128 Depth=1
	s_and_not1_saveexec_b32 s1, s24
	s_cbranch_execz .LBB25_127
; %bb.131:                              ;   in Loop: Header=BB25_128 Depth=1
	v_cvt_f32_u32_e32 v7, s12
	s_sub_co_i32 s10, 0, s12
	s_delay_alu instid0(VALU_DEP_1) | instskip(SKIP_1) | instid1(TRANS32_DEP_1)
	v_rcp_iflag_f32_e32 v7, v7
	v_nop
	v_mul_f32_e32 v7, 0x4f7ffffe, v7
	s_delay_alu instid0(VALU_DEP_1) | instskip(NEXT) | instid1(VALU_DEP_1)
	v_cvt_u32_f32_e32 v7, v7
	v_mul_lo_u32 v12, s10, v7
	s_delay_alu instid0(VALU_DEP_1) | instskip(NEXT) | instid1(VALU_DEP_1)
	v_mul_hi_u32 v12, v7, v12
	v_add_nc_u32_e32 v7, v7, v12
	s_delay_alu instid0(VALU_DEP_1) | instskip(NEXT) | instid1(VALU_DEP_1)
	v_mul_hi_u32 v7, v8, v7
	v_mul_lo_u32 v12, v7, s12
	s_delay_alu instid0(VALU_DEP_1) | instskip(NEXT) | instid1(VALU_DEP_1)
	v_dual_add_nc_u32 v13, 1, v7 :: v_dual_sub_nc_u32 v12, v8, v12
	v_subrev_nc_u32_e32 v14, s12, v12
	v_cmp_le_u32_e32 vcc_lo, s12, v12
	s_delay_alu instid0(VALU_DEP_2) | instskip(NEXT) | instid1(VALU_DEP_1)
	v_dual_cndmask_b32 v12, v12, v14 :: v_dual_cndmask_b32 v7, v7, v13
	v_cmp_le_u32_e32 vcc_lo, s12, v12
	s_delay_alu instid0(VALU_DEP_2) | instskip(NEXT) | instid1(VALU_DEP_1)
	v_add_nc_u32_e32 v13, 1, v7
	v_dual_cndmask_b32 v12, v7, v13 :: v_dual_mov_b32 v13, v6
	s_branch .LBB25_127
.LBB25_132:
	s_wait_loadcnt 0x4
	v_mov_b64_e32 v[2:3], 0
	s_wait_loadcnt 0x1
	v_dual_mov_b32 v0, v1 :: v_dual_bitop2_b32 v4, s16, v0 bitop3:0x54
	global_store_b64 v4, v[2:3], s[4:5] scale_offset
	s_wait_xcnt 0x0
	s_or_b32 exec_lo, exec_lo, s0
	s_delay_alu instid0(SALU_CYCLE_1)
	s_mov_b32 s0, exec_lo
	v_cmpx_gt_i32_e64 s33, v0
	s_cbranch_execz .LBB25_100
.LBB25_133:
	s_wait_loadcnt 0x4
	v_mov_b64_e32 v[2:3], 0
	v_add_nc_u32_e32 v1, s16, v0
	v_add_nc_u32_e32 v0, 0x100, v0
	global_store_b64 v1, v[2:3], s[4:5] scale_offset
	s_wait_xcnt 0x0
	s_or_b32 exec_lo, exec_lo, s0
	s_delay_alu instid0(SALU_CYCLE_1)
	s_mov_b32 s0, exec_lo
	v_cmpx_gt_i32_e64 s33, v0
	s_cbranch_execz .LBB25_101
.LBB25_134:
	s_wait_loadcnt 0x4
	v_mov_b64_e32 v[2:3], 0
	v_add_nc_u32_e32 v1, s16, v0
	v_add_nc_u32_e32 v0, 0x100, v0
	global_store_b64 v1, v[2:3], s[4:5] scale_offset
	s_wait_xcnt 0x0
	s_or_b32 exec_lo, exec_lo, s0
	s_delay_alu instid0(SALU_CYCLE_1)
	s_mov_b32 s0, exec_lo
	v_cmpx_gt_i32_e64 s33, v0
	s_cbranch_execnz .LBB25_102
	s_branch .LBB25_103
.LBB25_135:
	s_or_b32 exec_lo, exec_lo, s38
	s_mov_b32 s1, s36
	s_mov_b32 s0, exec_lo
	s_wait_loadcnt 0x0
	v_cmpx_gt_i64_e64 v[8:9], v[16:17]
	s_cbranch_execz .LBB25_151
; %bb.136:
	s_delay_alu instid0(VALU_DEP_2) | instskip(SKIP_2) | instid1(VALU_DEP_1)
	v_lshlrev_b64_e32 v[2:3], 3, v[2:3]
	s_mov_b32 s1, 0
	s_xor_b32 s3, s42, -1
                                        ; implicit-def: $sgpr2
	v_lshl_add_u64 v[4:5], v[16:17], 3, v[2:3]
	v_add_nc_u64_e32 v[6:7], s[24:25], v[2:3]
	s_delay_alu instid0(VALU_DEP_2) | instskip(NEXT) | instid1(VALU_DEP_1)
	v_add_nc_u64_e32 v[4:5], s[24:25], v[4:5]
                                        ; implicit-def: $sgpr25
                                        ; implicit-def: $sgpr24
	v_add_nc_u64_e32 v[2:3], 8, v[4:5]
	s_delay_alu instid0(VALU_DEP_3)
	v_lshl_add_u64 v[4:5], v[8:9], 3, v[6:7]
	s_branch .LBB25_138
.LBB25_137:                             ;   in Loop: Header=BB25_138 Depth=1
	s_or_b32 exec_lo, exec_lo, s26
	s_xor_b32 s26, s24, -1
	s_and_b32 s27, exec_lo, s25
	s_delay_alu instid0(SALU_CYCLE_1) | instskip(SKIP_2) | instid1(SALU_CYCLE_1)
	s_or_b32 s1, s27, s1
	s_and_not1_b32 s2, s2, exec_lo
	s_and_b32 s26, s26, exec_lo
	s_or_b32 s2, s2, s26
	s_and_not1_b32 exec_lo, exec_lo, s1
	s_cbranch_execz .LBB25_150
.LBB25_138:                             ; =>This Inner Loop Header: Depth=1
	s_or_b32 s24, s24, exec_lo
	s_or_b32 s25, s25, exec_lo
	s_mov_b32 s26, exec_lo
	s_delay_alu instid0(VALU_DEP_2)
	v_cmpx_lt_u64_e64 v[2:3], v[4:5]
	s_cbranch_execz .LBB25_137
; %bb.139:                              ;   in Loop: Header=BB25_138 Depth=1
	global_load_b128 v[6:9], v[2:3], off offset:-8
	s_wait_xcnt 0x0
	v_add_nc_u64_e32 v[2:3], 8, v[2:3]
	s_and_not1_b32 s25, s25, exec_lo
	s_and_not1_b32 s24, s24, exec_lo
	s_wait_loadcnt 0x0
	v_cmp_ge_i64_e32 vcc_lo, v[6:7], v[8:9]
	s_or_b32 s27, s3, vcc_lo
	s_delay_alu instid0(SALU_CYCLE_1) | instskip(NEXT) | instid1(SALU_CYCLE_1)
	s_and_b32 s27, s27, exec_lo
	s_or_b32 s25, s25, s27
	s_branch .LBB25_137
.LBB25_140:
	s_or_b32 exec_lo, exec_lo, s23
	s_mov_b32 s6, s37
	s_mov_b32 s1, exec_lo
	s_wait_loadcnt 0x1
	v_cmpx_gt_i64_e64 v[4:5], v[2:3]
	s_cbranch_execz .LBB25_154
; %bb.141:
	s_delay_alu instid0(VALU_DEP_2) | instskip(SKIP_1) | instid1(VALU_DEP_1)
	v_lshlrev_b64_e32 v[6:7], 3, v[10:11]
	s_xor_b32 s6, s15, -1
                                        ; implicit-def: $sgpr8
                                        ; implicit-def: $sgpr7
	v_lshl_add_u64 v[2:3], v[2:3], 3, v[6:7]
	v_add_nc_u64_e32 v[6:7], s[2:3], v[6:7]
	s_delay_alu instid0(VALU_DEP_2) | instskip(SKIP_1) | instid1(VALU_DEP_2)
	v_add_nc_u64_e32 v[2:3], s[2:3], v[2:3]
	s_mov_b32 s2, 0
                                        ; implicit-def: $sgpr3
	v_lshl_add_u64 v[4:5], v[4:5], 3, v[6:7]
	s_delay_alu instid0(VALU_DEP_2)
	v_add_nc_u64_e32 v[2:3], 8, v[2:3]
	s_branch .LBB25_143
.LBB25_142:                             ;   in Loop: Header=BB25_143 Depth=1
	s_or_b32 exec_lo, exec_lo, s9
	s_xor_b32 s9, s7, -1
	s_and_b32 s10, exec_lo, s8
	s_delay_alu instid0(SALU_CYCLE_1) | instskip(SKIP_2) | instid1(SALU_CYCLE_1)
	s_or_b32 s2, s10, s2
	s_and_not1_b32 s3, s3, exec_lo
	s_and_b32 s9, s9, exec_lo
	s_or_b32 s3, s3, s9
	s_and_not1_b32 exec_lo, exec_lo, s2
	s_cbranch_execz .LBB25_153
.LBB25_143:                             ; =>This Inner Loop Header: Depth=1
	s_or_b32 s7, s7, exec_lo
	s_or_b32 s8, s8, exec_lo
	s_mov_b32 s9, exec_lo
	s_delay_alu instid0(VALU_DEP_1)
	v_cmpx_lt_u64_e64 v[2:3], v[4:5]
	s_cbranch_execz .LBB25_142
; %bb.144:                              ;   in Loop: Header=BB25_143 Depth=1
	s_wait_loadcnt 0x0
	global_load_b128 v[6:9], v[2:3], off offset:-8
	s_wait_xcnt 0x0
	v_add_nc_u64_e32 v[2:3], 8, v[2:3]
	s_and_not1_b32 s8, s8, exec_lo
	s_and_not1_b32 s7, s7, exec_lo
	s_wait_loadcnt 0x0
	v_cmp_ge_i64_e32 vcc_lo, v[6:7], v[8:9]
	s_or_b32 s10, s6, vcc_lo
	s_delay_alu instid0(SALU_CYCLE_1) | instskip(NEXT) | instid1(SALU_CYCLE_1)
	s_and_b32 s10, s10, exec_lo
	s_or_b32 s8, s8, s10
	s_branch .LBB25_142
.LBB25_145:
	s_or_b32 exec_lo, exec_lo, s42
	s_mov_b32 s21, -1
	s_mov_b32 s7, 0
	s_mov_b32 s1, exec_lo
	v_cmpx_gt_i64_e64 v[34:35], v[32:33]
	s_cbranch_execz .LBB25_157
; %bb.146:
	s_delay_alu instid0(VALU_DEP_2) | instskip(SKIP_1) | instid1(VALU_DEP_1)
	v_lshlrev_b64_e32 v[36:37], 3, v[36:37]
	s_xor_b32 s21, s15, -1
                                        ; implicit-def: $sgpr20
                                        ; implicit-def: $sgpr23
                                        ; implicit-def: $sgpr22
	v_lshl_add_u64 v[32:33], v[32:33], 3, v[36:37]
	v_add_nc_u64_e32 v[36:37], s[2:3], v[36:37]
	s_delay_alu instid0(VALU_DEP_2) | instskip(NEXT) | instid1(VALU_DEP_2)
	v_add_nc_u64_e32 v[32:33], s[2:3], v[32:33]
	v_lshl_add_u64 v[34:35], v[34:35], 3, v[36:37]
	s_delay_alu instid0(VALU_DEP_2)
	v_add_nc_u64_e32 v[32:33], 8, v[32:33]
	s_branch .LBB25_148
.LBB25_147:                             ;   in Loop: Header=BB25_148 Depth=1
	s_or_b32 exec_lo, exec_lo, s24
	s_delay_alu instid0(SALU_CYCLE_1) | instskip(NEXT) | instid1(SALU_CYCLE_1)
	s_and_b32 s24, exec_lo, s23
	s_or_b32 s7, s24, s7
	s_and_not1_b32 s20, s20, exec_lo
	s_and_b32 s24, s22, exec_lo
	s_delay_alu instid0(SALU_CYCLE_1)
	s_or_b32 s20, s20, s24
	s_and_not1_b32 exec_lo, exec_lo, s7
	s_cbranch_execz .LBB25_156
.LBB25_148:                             ; =>This Inner Loop Header: Depth=1
	s_or_b32 s22, s22, exec_lo
	s_or_b32 s23, s23, exec_lo
	s_mov_b32 s24, exec_lo
	s_delay_alu instid0(VALU_DEP_1)
	v_cmpx_lt_u64_e64 v[32:33], v[34:35]
	s_cbranch_execz .LBB25_147
; %bb.149:                              ;   in Loop: Header=BB25_148 Depth=1
	global_load_b128 v[36:39], v[32:33], off offset:-8
	s_wait_xcnt 0x0
	v_add_nc_u64_e32 v[32:33], 8, v[32:33]
	s_and_not1_b32 s23, s23, exec_lo
	s_and_not1_b32 s22, s22, exec_lo
	s_wait_loadcnt 0x0
	v_cmp_ge_i64_e32 vcc_lo, v[36:37], v[38:39]
	s_or_b32 s25, s21, vcc_lo
	s_delay_alu instid0(SALU_CYCLE_1) | instskip(NEXT) | instid1(SALU_CYCLE_1)
	s_and_b32 s25, s25, exec_lo
	s_or_b32 s23, s23, s25
	s_branch .LBB25_147
.LBB25_150:
	s_or_b32 exec_lo, exec_lo, s1
	s_delay_alu instid0(SALU_CYCLE_1) | instskip(SKIP_1) | instid1(SALU_CYCLE_1)
	s_and_not1_b32 s1, s36, exec_lo
	s_and_b32 s2, s2, exec_lo
	s_or_b32 s1, s1, s2
.LBB25_151:
	s_or_b32 exec_lo, exec_lo, s0
	s_delay_alu instid0(SALU_CYCLE_1)
	s_and_not1_b32 s2, s36, exec_lo
	s_and_b32 s1, s1, exec_lo
	s_mov_b32 s0, exec_lo
	s_or_b32 s36, s2, s1
	s_or_b32 exec_lo, exec_lo, s37
	s_and_saveexec_b32 s1, s36
	s_cbranch_execz .LBB25_72
.LBB25_152:
	s_or_b32 s17, s17, exec_lo
	s_and_not1_b32 s0, s0, exec_lo
	s_trap 2
	s_or_b32 exec_lo, exec_lo, s1
	s_and_saveexec_b32 s1, s0
	s_delay_alu instid0(SALU_CYCLE_1)
	s_xor_b32 s0, exec_lo, s1
	s_cbranch_execnz .LBB25_73
	s_branch .LBB25_74
.LBB25_153:
	s_or_b32 exec_lo, exec_lo, s2
	s_delay_alu instid0(SALU_CYCLE_1) | instskip(SKIP_1) | instid1(SALU_CYCLE_1)
	s_and_not1_b32 s2, s37, exec_lo
	s_and_b32 s3, s3, exec_lo
	s_or_b32 s6, s2, s3
.LBB25_154:
	s_or_b32 exec_lo, exec_lo, s1
	s_delay_alu instid0(SALU_CYCLE_1)
	s_and_not1_b32 s1, s37, exec_lo
	s_and_b32 s2, s6, exec_lo
	s_or_b32 s40, s40, exec_lo
	s_or_b32 s37, s1, s2
	s_or_b32 exec_lo, exec_lo, s22
	s_and_saveexec_b32 s1, s37
	s_cbranch_execz .LBB25_94
.LBB25_155:
	s_and_not1_b32 s40, s40, exec_lo
	s_or_b32 s17, s17, exec_lo
	s_trap 2
	s_or_b32 exec_lo, exec_lo, s1
	s_and_saveexec_b32 s1, s17
	s_cbranch_execnz .LBB25_96
	s_branch .LBB25_97
.LBB25_156:
	s_or_b32 exec_lo, exec_lo, s7
	s_delay_alu instid0(SALU_CYCLE_1)
	s_mov_b32 s7, exec_lo
	s_or_not1_b32 s21, s20, exec_lo
.LBB25_157:
	s_or_b32 exec_lo, exec_lo, s1
	s_delay_alu instid0(SALU_CYCLE_1)
	s_and_b32 s20, s7, exec_lo
	s_xor_b32 s7, exec_lo, -1
	s_and_b32 s1, s21, exec_lo
.LBB25_158:
	s_or_b32 exec_lo, exec_lo, s41
	s_delay_alu instid0(SALU_CYCLE_1)
	s_and_b32 s21, s20, exec_lo
	s_and_b32 s20, s7, exec_lo
	s_xor_b32 s7, exec_lo, -1
	s_and_b32 s1, s1, exec_lo
.LBB25_159:
	s_or_b32 exec_lo, exec_lo, s39
	s_delay_alu instid0(SALU_CYCLE_1)
	s_and_b32 s22, s21, exec_lo
	s_and_b32 s21, s20, exec_lo
	s_and_b32 s20, s7, exec_lo
	s_xor_b32 s7, exec_lo, -1
	s_and_b32 s1, s1, exec_lo
.LBB25_160:
	s_or_b32 exec_lo, exec_lo, s37
	s_delay_alu instid0(SALU_CYCLE_1)
	s_and_b32 s37, s22, exec_lo
	s_and_b32 s39, s21, exec_lo
	;; [unrolled: 1-line block ×4, first 2 shown]
	s_or_not1_b32 s1, s1, exec_lo
	s_or_b32 exec_lo, exec_lo, s40
	s_mov_b32 s40, 0
	s_and_saveexec_b32 s43, s1
	s_cbranch_execz .LBB25_86
.LBB25_161:
	s_mov_b32 s1, -1
	s_mov_b32 s48, 0
	s_mov_b32 s44, s42
	;; [unrolled: 1-line block ×4, first 2 shown]
	s_mov_b32 s47, exec_lo
	v_cmpx_gt_i32_e64 s33, v1
	s_cbranch_execz .LBB25_182
; %bb.162:
	s_wait_loadcnt 0x3
	v_cmp_eq_u64_e32 vcc_lo, s[8:9], v[26:27]
	s_mov_b32 s7, -1
	s_mov_b32 s1, 0
	s_mov_b32 s21, s41
	;; [unrolled: 1-line block ×4, first 2 shown]
	s_and_b32 s23, s38, vcc_lo
	s_delay_alu instid0(SALU_CYCLE_1)
	s_and_saveexec_b32 s40, s23
	s_cbranch_execz .LBB25_181
; %bb.163:
	s_wait_loadcnt 0x2
	v_cmp_eq_u64_e32 vcc_lo, s[12:13], v[28:29]
	s_mov_b32 s21, s39
	s_and_b32 s22, s36, vcc_lo
	s_delay_alu instid0(SALU_CYCLE_1)
	s_and_saveexec_b32 s44, s22
	s_cbranch_execz .LBB25_180
; %bb.164:
	s_wait_loadcnt 0x1
	v_sub_nc_u64_e32 v[32:33], v[24:25], v[22:23]
	s_delay_alu instid0(VALU_DEP_1)
	v_cmp_le_i64_e32 vcc_lo, v[26:27], v[32:33]
	v_cmp_ge_i64_e64 s1, s[10:11], v[32:33]
	s_and_b32 s20, vcc_lo, s1
	s_mov_b32 s1, 0
	s_and_b32 s21, s35, s20
	s_mov_b32 s20, 0
	s_and_saveexec_b32 s45, s21
	s_cbranch_execz .LBB25_179
; %bb.165:
	v_cmp_lt_i64_e32 vcc_lo, 0, v[28:29]
	v_mov_b64_e32 v[26:27], 0
	s_and_b32 s1, vcc_lo, s34
	s_delay_alu instid0(SALU_CYCLE_1)
	s_and_saveexec_b32 s46, s1
	s_cbranch_execz .LBB25_172
; %bb.166:
	s_wait_loadcnt 0x0
	v_mul_u64_e32 v[30:31], v[30:31], v[28:29]
	s_ashr_i32 s7, s6, 31
	v_mov_b64_e32 v[26:27], 0
	s_lshl_b64 s[22:23], s[6:7], 3
	v_mov_b32_e32 v28, 0
	s_add_nc_u64 s[22:23], s[18:19], s[22:23]
	s_mov_b64 s[20:21], 0xffffffff
	s_add_nc_u64 s[22:23], s[22:23], 32
	s_mov_b32 s25, 0
	s_mov_b32 s7, s14
	s_branch .LBB25_168
.LBB25_167:                             ;   in Loop: Header=BB25_168 Depth=1
	s_or_b32 exec_lo, exec_lo, s1
	s_delay_alu instid0(VALU_DEP_1)
	v_mul_u64_e32 v[34:35], s[26:27], v[32:33]
	s_load_b64 s[26:27], s[22:23], 0x40
	s_add_co_i32 s7, s7, -1
	s_wait_xcnt 0x0
	s_add_nc_u64 s[22:23], s[22:23], -8
	s_cmp_lg_u32 s7, 0
	s_delay_alu instid0(VALU_DEP_1) | instskip(SKIP_1) | instid1(VALU_DEP_1)
	v_sub_nc_u64_e32 v[30:31], v[30:31], v[34:35]
	s_wait_kmcnt 0x0
	v_mad_nc_u64_u32 v[26:27], v30, s26, v[26:27]
	s_delay_alu instid0(VALU_DEP_1) | instskip(NEXT) | instid1(VALU_DEP_1)
	v_mad_u32 v27, v31, s26, v27
	v_mad_u32 v27, v30, s27, v27
	v_mov_b64_e32 v[30:31], v[32:33]
	s_cbranch_scc0 .LBB25_172
.LBB25_168:                             ; =>This Inner Loop Header: Depth=1
	s_load_b64 s[26:27], s[22:23], 0x0
                                        ; implicit-def: $vgpr32_vgpr33
	s_mov_b32 s1, exec_lo
	s_wait_kmcnt 0x0
	s_delay_alu instid0(VALU_DEP_1) | instskip(NEXT) | instid1(VALU_DEP_1)
	v_or_b32_e32 v29, s27, v31
	v_cmpx_ne_u64_e32 0, v[28:29]
	s_xor_b32 s49, exec_lo, s1
	s_cbranch_execz .LBB25_170
; %bb.169:                              ;   in Loop: Header=BB25_168 Depth=1
	s_ashr_i32 s28, s27, 31
	v_dual_mov_b32 v37, v28 :: v_dual_ashrrev_i32 v32, 31, v31
	s_mov_b32 s29, s28
	v_mov_b32_e32 v45, v28
	s_add_nc_u64 s[30:31], s[26:27], s[28:29]
	s_delay_alu instid0(VALU_DEP_2) | instskip(SKIP_1) | instid1(SALU_CYCLE_1)
	v_mov_b32_e32 v33, v32
	s_xor_b64 s[30:31], s[30:31], s[28:29]
	s_cvt_f32_u32 s1, s30
	s_cvt_f32_u32 s24, s31
	s_sub_nc_u64 s[52:53], 0, s[30:31]
	v_add_nc_u64_e32 v[34:35], v[30:31], v[32:33]
	v_mov_b32_e32 v41, v28
	s_fmamk_f32 s1, s24, 0x4f800000, s1
	s_delay_alu instid0(SALU_CYCLE_3) | instskip(NEXT) | instid1(VALU_DEP_2)
	v_s_rcp_f32 s1, s1
	v_xor_b32_e32 v36, v34, v32
	s_delay_alu instid0(VALU_DEP_3) | instskip(NEXT) | instid1(TRANS32_DEP_1)
	v_xor_b32_e32 v40, v35, v32
	s_mul_f32 s1, s1, 0x5f7ffffc
	s_delay_alu instid0(SALU_CYCLE_3) | instskip(NEXT) | instid1(SALU_CYCLE_3)
	s_mul_f32 s24, s1, 0x2f800000
	s_trunc_f32 s24, s24
	s_delay_alu instid0(SALU_CYCLE_3) | instskip(SKIP_1) | instid1(SALU_CYCLE_2)
	s_fmamk_f32 s1, s24, 0xcf800000, s1
	s_cvt_u32_f32 s51, s24
	s_cvt_u32_f32 s50, s1
	s_delay_alu instid0(SALU_CYCLE_3) | instskip(NEXT) | instid1(SALU_CYCLE_1)
	s_mul_u64 s[54:55], s[52:53], s[50:51]
	s_mul_hi_u32 s57, s50, s55
	s_mul_i32 s56, s50, s55
	s_mul_hi_u32 s24, s50, s54
	s_mul_i32 s29, s51, s54
	s_add_nc_u64 s[56:57], s[24:25], s[56:57]
	s_mul_hi_u32 s1, s51, s54
	s_mul_hi_u32 s58, s51, s55
	s_add_co_u32 s24, s56, s29
	s_add_co_ci_u32 s24, s57, s1
	s_mul_i32 s54, s51, s55
	s_add_co_ci_u32 s55, s58, 0
	s_delay_alu instid0(SALU_CYCLE_1) | instskip(NEXT) | instid1(SALU_CYCLE_1)
	s_add_nc_u64 s[54:55], s[24:25], s[54:55]
	s_add_co_u32 s50, s50, s54
	s_cselect_b32 s1, -1, 0
	s_delay_alu instid0(SALU_CYCLE_1) | instskip(SKIP_1) | instid1(SALU_CYCLE_1)
	s_cmp_lg_u32 s1, 0
	s_add_co_ci_u32 s51, s51, s55
	s_mul_u64 s[52:53], s[52:53], s[50:51]
	s_delay_alu instid0(SALU_CYCLE_1)
	s_mul_hi_u32 s55, s50, s53
	s_mul_i32 s54, s50, s53
	s_mul_hi_u32 s24, s50, s52
	s_mul_i32 s29, s51, s52
	s_add_nc_u64 s[54:55], s[24:25], s[54:55]
	s_mul_hi_u32 s1, s51, s52
	s_mul_hi_u32 s56, s51, s53
	s_add_co_u32 s24, s54, s29
	s_add_co_ci_u32 s24, s55, s1
	s_mul_i32 s52, s51, s53
	s_add_co_ci_u32 s53, s56, 0
	s_delay_alu instid0(SALU_CYCLE_1) | instskip(NEXT) | instid1(SALU_CYCLE_1)
	s_add_nc_u64 s[52:53], s[24:25], s[52:53]
	s_add_co_u32 s50, s50, s52
	s_cselect_b32 s1, -1, 0
	v_mul_hi_u32 v44, v36, s50
	s_cmp_lg_u32 s1, 0
	s_add_co_ci_u32 s24, s51, s53
	s_and_b64 s[52:53], s[50:51], s[20:21]
	v_mul_u64_e32 v[38:39], s[24:25], v[36:37]
	v_mul_u64_e32 v[34:35], s[52:53], v[40:41]
	;; [unrolled: 1-line block ×3, first 2 shown]
	s_delay_alu instid0(VALU_DEP_3) | instskip(NEXT) | instid1(VALU_DEP_1)
	v_add_nc_u64_e32 v[38:39], v[44:45], v[38:39]
	v_add_co_u32 v29, vcc_lo, v38, v34
	s_delay_alu instid0(VALU_DEP_2) | instskip(NEXT) | instid1(VALU_DEP_4)
	v_add_co_ci_u32_e32 v44, vcc_lo, v39, v35, vcc_lo
	v_add_co_ci_u32_e32 v43, vcc_lo, 0, v43, vcc_lo
	s_delay_alu instid0(VALU_DEP_1) | instskip(NEXT) | instid1(VALU_DEP_1)
	v_add_nc_u64_e32 v[34:35], v[44:45], v[42:43]
	v_mul_u64_e32 v[38:39], s[30:31], v[34:35]
	s_delay_alu instid0(VALU_DEP_1) | instskip(NEXT) | instid1(VALU_DEP_2)
	v_sub_nc_u32_e32 v29, v40, v39
	v_sub_co_u32 v33, vcc_lo, v36, v38
	s_delay_alu instid0(VALU_DEP_1) | instskip(NEXT) | instid1(VALU_DEP_3)
	v_sub_co_ci_u32_e64 v40, null, v40, v39, vcc_lo
	v_subrev_co_ci_u32_e64 v29, null, s31, v29, vcc_lo
	s_delay_alu instid0(VALU_DEP_3) | instskip(SKIP_1) | instid1(VALU_DEP_3)
	v_sub_co_u32 v36, s1, v33, s30
	v_add_nc_u64_e32 v[38:39], 1, v[34:35]
	v_subrev_co_ci_u32_e64 v29, null, 0, v29, s1
	s_delay_alu instid0(VALU_DEP_3) | instskip(SKIP_1) | instid1(VALU_DEP_3)
	v_cmp_le_u32_e32 vcc_lo, s30, v36
	v_cndmask_b32_e64 v36, 0, -1, vcc_lo
	v_cmp_le_u32_e32 vcc_lo, s31, v29
	v_cndmask_b32_e64 v37, 0, -1, vcc_lo
	;; [unrolled: 2-line block ×4, first 2 shown]
	v_cmp_eq_u32_e32 vcc_lo, s31, v29
	v_cndmask_b32_e32 v29, v37, v36, vcc_lo
	v_cmp_eq_u32_e32 vcc_lo, s31, v40
	v_add_nc_u64_e32 v[36:37], 2, v[34:35]
	v_cndmask_b32_e32 v33, v41, v33, vcc_lo
	s_delay_alu instid0(VALU_DEP_4) | instskip(NEXT) | instid1(VALU_DEP_2)
	v_cmp_ne_u32_e32 vcc_lo, 0, v29
	v_cmp_ne_u32_e64 s1, 0, v33
	s_delay_alu instid0(VALU_DEP_4) | instskip(NEXT) | instid1(VALU_DEP_1)
	v_dual_cndmask_b32 v29, v39, v37, vcc_lo :: v_dual_cndmask_b32 v33, v38, v36, vcc_lo
	v_dual_cndmask_b32 v29, v35, v29, s1 :: v_dual_bitop2_b32 v32, s28, v32 bitop3:0x14
	s_delay_alu instid0(VALU_DEP_1) | instskip(NEXT) | instid1(VALU_DEP_2)
	v_dual_cndmask_b32 v34, v34, v33, s1 :: v_dual_mov_b32 v33, v32
	v_xor_b32_e32 v35, v29, v32
	s_delay_alu instid0(VALU_DEP_2) | instskip(NEXT) | instid1(VALU_DEP_1)
	v_xor_b32_e32 v34, v34, v32
	v_sub_nc_u64_e32 v[32:33], v[34:35], v[32:33]
.LBB25_170:                             ;   in Loop: Header=BB25_168 Depth=1
	s_and_not1_saveexec_b32 s1, s49
	s_cbranch_execz .LBB25_167
; %bb.171:                              ;   in Loop: Header=BB25_168 Depth=1
	v_cvt_f32_u32_e32 v29, s26
	s_sub_co_i32 s24, 0, s26
	s_delay_alu instid0(VALU_DEP_1) | instskip(SKIP_1) | instid1(TRANS32_DEP_1)
	v_rcp_iflag_f32_e32 v29, v29
	v_nop
	v_mul_f32_e32 v29, 0x4f7ffffe, v29
	s_delay_alu instid0(VALU_DEP_1) | instskip(NEXT) | instid1(VALU_DEP_1)
	v_cvt_u32_f32_e32 v29, v29
	v_mul_lo_u32 v32, s24, v29
	s_delay_alu instid0(VALU_DEP_1) | instskip(NEXT) | instid1(VALU_DEP_1)
	v_mul_hi_u32 v32, v29, v32
	v_add_nc_u32_e32 v29, v29, v32
	s_delay_alu instid0(VALU_DEP_1) | instskip(NEXT) | instid1(VALU_DEP_1)
	v_mul_hi_u32 v29, v30, v29
	v_mul_lo_u32 v32, v29, s26
	s_delay_alu instid0(VALU_DEP_1) | instskip(NEXT) | instid1(VALU_DEP_1)
	v_dual_add_nc_u32 v33, 1, v29 :: v_dual_sub_nc_u32 v32, v30, v32
	v_subrev_nc_u32_e32 v34, s26, v32
	v_cmp_le_u32_e32 vcc_lo, s26, v32
	s_delay_alu instid0(VALU_DEP_2) | instskip(NEXT) | instid1(VALU_DEP_1)
	v_dual_cndmask_b32 v32, v32, v34 :: v_dual_cndmask_b32 v29, v29, v33
	v_cmp_le_u32_e32 vcc_lo, s26, v32
	s_delay_alu instid0(VALU_DEP_2) | instskip(NEXT) | instid1(VALU_DEP_1)
	v_add_nc_u32_e32 v33, 1, v29
	v_dual_cndmask_b32 v32, v29, v33 :: v_dual_mov_b32 v33, v28
	s_branch .LBB25_167
.LBB25_172:
	s_or_b32 exec_lo, exec_lo, s46
	s_mov_b32 s21, -1
	s_mov_b32 s7, 0
	s_mov_b32 s1, exec_lo
	v_cmpx_gt_i64_e64 v[24:25], v[22:23]
	s_cbranch_execz .LBB25_178
; %bb.173:
	s_delay_alu instid0(VALU_DEP_2) | instskip(SKIP_1) | instid1(VALU_DEP_1)
	v_lshlrev_b64_e32 v[26:27], 3, v[26:27]
	s_xor_b32 s21, s15, -1
                                        ; implicit-def: $sgpr20
                                        ; implicit-def: $sgpr23
                                        ; implicit-def: $sgpr22
	v_lshl_add_u64 v[22:23], v[22:23], 3, v[26:27]
	v_add_nc_u64_e32 v[26:27], s[2:3], v[26:27]
	s_delay_alu instid0(VALU_DEP_2) | instskip(NEXT) | instid1(VALU_DEP_2)
	v_add_nc_u64_e32 v[22:23], s[2:3], v[22:23]
	v_lshl_add_u64 v[24:25], v[24:25], 3, v[26:27]
	s_delay_alu instid0(VALU_DEP_2)
	v_add_nc_u64_e32 v[22:23], 8, v[22:23]
	s_branch .LBB25_175
.LBB25_174:                             ;   in Loop: Header=BB25_175 Depth=1
	s_or_b32 exec_lo, exec_lo, s24
	s_delay_alu instid0(SALU_CYCLE_1) | instskip(NEXT) | instid1(SALU_CYCLE_1)
	s_and_b32 s24, exec_lo, s23
	s_or_b32 s7, s24, s7
	s_and_not1_b32 s20, s20, exec_lo
	s_and_b32 s24, s22, exec_lo
	s_delay_alu instid0(SALU_CYCLE_1)
	s_or_b32 s20, s20, s24
	s_and_not1_b32 exec_lo, exec_lo, s7
	s_cbranch_execz .LBB25_177
.LBB25_175:                             ; =>This Inner Loop Header: Depth=1
	s_or_b32 s22, s22, exec_lo
	s_or_b32 s23, s23, exec_lo
	s_mov_b32 s24, exec_lo
	s_delay_alu instid0(VALU_DEP_1)
	v_cmpx_lt_u64_e64 v[22:23], v[24:25]
	s_cbranch_execz .LBB25_174
; %bb.176:                              ;   in Loop: Header=BB25_175 Depth=1
	global_load_b128 v[26:29], v[22:23], off offset:-8
	s_wait_xcnt 0x0
	v_add_nc_u64_e32 v[22:23], 8, v[22:23]
	s_and_not1_b32 s23, s23, exec_lo
	s_and_not1_b32 s22, s22, exec_lo
	s_wait_loadcnt 0x0
	v_cmp_ge_i64_e32 vcc_lo, v[26:27], v[28:29]
	s_or_b32 s25, s21, vcc_lo
	s_delay_alu instid0(SALU_CYCLE_1) | instskip(NEXT) | instid1(SALU_CYCLE_1)
	s_and_b32 s25, s25, exec_lo
	s_or_b32 s23, s23, s25
	s_branch .LBB25_174
.LBB25_177:
	s_or_b32 exec_lo, exec_lo, s7
	s_delay_alu instid0(SALU_CYCLE_1)
	s_mov_b32 s7, exec_lo
	s_or_not1_b32 s21, s20, exec_lo
.LBB25_178:
	s_or_b32 exec_lo, exec_lo, s1
	s_delay_alu instid0(SALU_CYCLE_1)
	s_and_b32 s20, s7, exec_lo
	s_xor_b32 s7, exec_lo, -1
	s_and_b32 s1, s21, exec_lo
.LBB25_179:
	s_or_b32 exec_lo, exec_lo, s45
	s_delay_alu instid0(SALU_CYCLE_1)
	s_and_not1_b32 s21, s39, exec_lo
	s_and_b32 s7, s7, exec_lo
	s_and_b32 s20, s20, exec_lo
	s_or_b32 s21, s21, s7
	s_xor_b32 s7, exec_lo, -1
	s_and_b32 s1, s1, exec_lo
.LBB25_180:
	s_or_b32 exec_lo, exec_lo, s44
	s_delay_alu instid0(SALU_CYCLE_1)
	s_and_not1_b32 s22, s39, exec_lo
	s_and_b32 s21, s21, exec_lo
	s_and_not1_b32 s23, s41, exec_lo
	s_and_b32 s7, s7, exec_lo
	s_and_b32 s20, s20, exec_lo
	s_or_b32 s22, s22, s21
	s_or_b32 s21, s23, s7
	s_xor_b32 s7, exec_lo, -1
	s_and_b32 s1, s1, exec_lo
.LBB25_181:
	s_or_b32 exec_lo, exec_lo, s40
	s_delay_alu instid0(SALU_CYCLE_1)
	s_and_not1_b32 s23, s39, exec_lo
	s_and_b32 s22, s22, exec_lo
	s_and_b32 s40, s20, exec_lo
	s_or_b32 s45, s23, s22
	s_and_not1_b32 s20, s41, exec_lo
	s_and_b32 s21, s21, exec_lo
	s_and_not1_b32 s22, s42, exec_lo
	s_and_b32 s7, s7, exec_lo
	s_or_b32 s46, s20, s21
	s_or_b32 s44, s22, s7
	s_or_not1_b32 s1, s1, exec_lo
.LBB25_182:
	s_or_b32 exec_lo, exec_lo, s47
	s_mov_b32 s21, 0
	s_and_saveexec_b32 s47, s1
	s_cbranch_execz .LBB25_209
; %bb.183:
	s_wait_loadcnt 0x4
	v_or_b32_e32 v22, 0x200, v0
	s_mov_b32 s23, -1
	s_mov_b32 s48, 0
	s_mov_b32 s1, s44
	;; [unrolled: 1-line block ×4, first 2 shown]
	s_mov_b32 s49, exec_lo
	v_cmpx_gt_i32_e64 s33, v22
	s_cbranch_execz .LBB25_204
; %bb.184:
	s_wait_loadcnt 0x3
	v_cmp_eq_u64_e32 vcc_lo, s[8:9], v[20:21]
	s_mov_b32 s1, -1
	s_mov_b32 s22, 0
	s_mov_b32 s23, s46
	;; [unrolled: 1-line block ×4, first 2 shown]
	s_and_b32 s20, s38, vcc_lo
	s_delay_alu instid0(SALU_CYCLE_1)
	s_and_saveexec_b32 s50, s20
	s_cbranch_execz .LBB25_203
; %bb.185:
	s_wait_loadcnt 0x2
	v_cmp_eq_u64_e32 vcc_lo, s[12:13], v[16:17]
	s_mov_b32 s20, 0
	s_mov_b32 s21, s45
	s_and_b32 s7, s36, vcc_lo
	s_delay_alu instid0(SALU_CYCLE_1)
	s_and_saveexec_b32 s51, s7
	s_cbranch_execz .LBB25_202
; %bb.186:
	s_wait_loadcnt 0x1
	v_sub_nc_u64_e32 v[22:23], v[14:15], v[12:13]
	s_mov_b32 s20, -1
	s_mov_b32 s7, 0
	s_delay_alu instid0(VALU_DEP_1) | instskip(SKIP_2) | instid1(SALU_CYCLE_1)
	v_cmp_le_i64_e32 vcc_lo, v[20:21], v[22:23]
	v_cmp_ge_i64_e64 s1, s[10:11], v[22:23]
	s_and_b32 s1, vcc_lo, s1
	s_and_b32 s21, s35, s1
	s_mov_b32 s1, 0
	s_and_saveexec_b32 s52, s21
	s_cbranch_execz .LBB25_201
; %bb.187:
	v_cmp_lt_i64_e32 vcc_lo, 0, v[16:17]
	v_mov_b64_e32 v[20:21], 0
	s_and_b32 s1, vcc_lo, s34
	s_delay_alu instid0(SALU_CYCLE_1)
	s_and_saveexec_b32 s53, s1
	s_cbranch_execz .LBB25_194
; %bb.188:
	s_wait_loadcnt 0x0
	v_mul_u64_e32 v[18:19], v[18:19], v[16:17]
	s_ashr_i32 s7, s6, 31
	v_mov_b64_e32 v[20:21], 0
	s_lshl_b64 s[22:23], s[6:7], 3
	v_mov_b32_e32 v16, 0
	s_add_nc_u64 s[22:23], s[18:19], s[22:23]
	s_mov_b64 s[20:21], 0xffffffff
	s_add_nc_u64 s[22:23], s[22:23], 32
	s_mov_b32 s25, 0
	s_mov_b32 s7, s14
	s_branch .LBB25_190
.LBB25_189:                             ;   in Loop: Header=BB25_190 Depth=1
	s_or_b32 exec_lo, exec_lo, s1
	s_delay_alu instid0(VALU_DEP_1)
	v_mul_u64_e32 v[24:25], s[26:27], v[22:23]
	s_load_b64 s[26:27], s[22:23], 0x40
	s_add_co_i32 s7, s7, -1
	s_wait_xcnt 0x0
	s_add_nc_u64 s[22:23], s[22:23], -8
	s_cmp_lg_u32 s7, 0
	s_delay_alu instid0(VALU_DEP_1) | instskip(SKIP_1) | instid1(VALU_DEP_1)
	v_sub_nc_u64_e32 v[18:19], v[18:19], v[24:25]
	s_wait_kmcnt 0x0
	v_mad_nc_u64_u32 v[20:21], v18, s26, v[20:21]
	s_delay_alu instid0(VALU_DEP_1) | instskip(NEXT) | instid1(VALU_DEP_1)
	v_mad_u32 v17, v19, s26, v21
	v_mad_u32 v21, v18, s27, v17
	v_mov_b64_e32 v[18:19], v[22:23]
	s_cbranch_scc0 .LBB25_194
.LBB25_190:                             ; =>This Inner Loop Header: Depth=1
	s_load_b64 s[26:27], s[22:23], 0x0
                                        ; implicit-def: $vgpr22_vgpr23
	s_mov_b32 s1, exec_lo
	s_wait_kmcnt 0x0
	s_delay_alu instid0(VALU_DEP_1) | instskip(NEXT) | instid1(VALU_DEP_1)
	v_or_b32_e32 v17, s27, v19
	v_cmpx_ne_u64_e32 0, v[16:17]
	s_xor_b32 s54, exec_lo, s1
	s_cbranch_execz .LBB25_192
; %bb.191:                              ;   in Loop: Header=BB25_190 Depth=1
	s_ashr_i32 s28, s27, 31
	v_dual_mov_b32 v27, v16 :: v_dual_ashrrev_i32 v22, 31, v19
	s_mov_b32 s29, s28
	s_delay_alu instid0(SALU_CYCLE_1) | instskip(NEXT) | instid1(VALU_DEP_1)
	s_add_nc_u64 s[30:31], s[26:27], s[28:29]
	v_mov_b32_e32 v23, v22
	s_xor_b64 s[30:31], s[30:31], s[28:29]
	s_delay_alu instid0(SALU_CYCLE_1)
	s_cvt_f32_u32 s1, s30
	s_cvt_f32_u32 s24, s31
	s_sub_nc_u64 s[58:59], 0, s[30:31]
	v_add_nc_u64_e32 v[24:25], v[18:19], v[22:23]
	v_mov_b32_e32 v31, v16
	s_fmamk_f32 s1, s24, 0x4f800000, s1
	s_delay_alu instid0(SALU_CYCLE_3) | instskip(NEXT) | instid1(VALU_DEP_2)
	v_s_rcp_f32 s1, s1
	v_xor_b32_e32 v26, v24, v22
	s_delay_alu instid0(VALU_DEP_3) | instskip(SKIP_1) | instid1(TRANS32_DEP_1)
	v_dual_mov_b32 v35, v16 :: v_dual_bitop2_b32 v30, v25, v22 bitop3:0x14
	v_xor_b32_e32 v22, s28, v22
	s_mul_f32 s1, s1, 0x5f7ffffc
	s_delay_alu instid0(SALU_CYCLE_3) | instskip(NEXT) | instid1(SALU_CYCLE_3)
	s_mul_f32 s24, s1, 0x2f800000
	s_trunc_f32 s24, s24
	s_delay_alu instid0(SALU_CYCLE_3) | instskip(SKIP_1) | instid1(SALU_CYCLE_2)
	s_fmamk_f32 s1, s24, 0xcf800000, s1
	s_cvt_u32_f32 s57, s24
	s_cvt_u32_f32 s56, s1
	s_delay_alu instid0(SALU_CYCLE_3) | instskip(NEXT) | instid1(SALU_CYCLE_1)
	s_mul_u64 s[60:61], s[58:59], s[56:57]
	s_mul_hi_u32 s63, s56, s61
	s_mul_i32 s62, s56, s61
	s_mul_hi_u32 s24, s56, s60
	s_mul_i32 s29, s57, s60
	s_add_nc_u64 s[62:63], s[24:25], s[62:63]
	s_mul_hi_u32 s1, s57, s60
	s_mul_hi_u32 s55, s57, s61
	s_add_co_u32 s24, s62, s29
	s_add_co_ci_u32 s24, s63, s1
	s_mul_i32 s60, s57, s61
	s_add_co_ci_u32 s61, s55, 0
	s_delay_alu instid0(SALU_CYCLE_1) | instskip(NEXT) | instid1(SALU_CYCLE_1)
	s_add_nc_u64 s[60:61], s[24:25], s[60:61]
	s_add_co_u32 s56, s56, s60
	s_cselect_b32 s1, -1, 0
	s_delay_alu instid0(SALU_CYCLE_1) | instskip(SKIP_1) | instid1(SALU_CYCLE_1)
	s_cmp_lg_u32 s1, 0
	s_add_co_ci_u32 s57, s57, s61
	s_mul_u64 s[58:59], s[58:59], s[56:57]
	s_delay_alu instid0(SALU_CYCLE_1)
	s_mul_hi_u32 s61, s56, s59
	s_mul_i32 s60, s56, s59
	s_mul_hi_u32 s24, s56, s58
	s_mul_i32 s29, s57, s58
	s_add_nc_u64 s[60:61], s[24:25], s[60:61]
	s_mul_hi_u32 s1, s57, s58
	s_mul_hi_u32 s55, s57, s59
	s_add_co_u32 s24, s60, s29
	s_add_co_ci_u32 s24, s61, s1
	s_mul_i32 s58, s57, s59
	s_add_co_ci_u32 s59, s55, 0
	s_delay_alu instid0(SALU_CYCLE_1) | instskip(NEXT) | instid1(SALU_CYCLE_1)
	s_add_nc_u64 s[58:59], s[24:25], s[58:59]
	s_add_co_u32 s56, s56, s58
	s_cselect_b32 s1, -1, 0
	v_mul_hi_u32 v34, v26, s56
	s_cmp_lg_u32 s1, 0
	s_add_co_ci_u32 s24, s57, s59
	s_and_b64 s[58:59], s[56:57], s[20:21]
	v_mul_u64_e32 v[28:29], s[24:25], v[26:27]
	v_mul_u64_e32 v[24:25], s[58:59], v[30:31]
	;; [unrolled: 1-line block ×3, first 2 shown]
	s_delay_alu instid0(VALU_DEP_3) | instskip(NEXT) | instid1(VALU_DEP_1)
	v_add_nc_u64_e32 v[28:29], v[34:35], v[28:29]
	v_add_co_u32 v17, vcc_lo, v28, v24
	s_delay_alu instid0(VALU_DEP_2) | instskip(NEXT) | instid1(VALU_DEP_4)
	v_add_co_ci_u32_e32 v34, vcc_lo, v29, v25, vcc_lo
	v_add_co_ci_u32_e32 v33, vcc_lo, 0, v33, vcc_lo
	s_delay_alu instid0(VALU_DEP_1) | instskip(NEXT) | instid1(VALU_DEP_1)
	v_add_nc_u64_e32 v[24:25], v[34:35], v[32:33]
	v_mul_u64_e32 v[28:29], s[30:31], v[24:25]
	s_delay_alu instid0(VALU_DEP_1) | instskip(NEXT) | instid1(VALU_DEP_2)
	v_sub_nc_u32_e32 v17, v30, v29
	v_sub_co_u32 v23, vcc_lo, v26, v28
	s_delay_alu instid0(VALU_DEP_1) | instskip(NEXT) | instid1(VALU_DEP_3)
	v_sub_co_ci_u32_e64 v30, null, v30, v29, vcc_lo
	v_subrev_co_ci_u32_e64 v17, null, s31, v17, vcc_lo
	s_delay_alu instid0(VALU_DEP_3) | instskip(SKIP_1) | instid1(VALU_DEP_3)
	v_sub_co_u32 v26, s1, v23, s30
	v_add_nc_u64_e32 v[28:29], 1, v[24:25]
	v_subrev_co_ci_u32_e64 v17, null, 0, v17, s1
	s_delay_alu instid0(VALU_DEP_3) | instskip(SKIP_1) | instid1(VALU_DEP_3)
	v_cmp_le_u32_e32 vcc_lo, s30, v26
	v_cndmask_b32_e64 v26, 0, -1, vcc_lo
	v_cmp_le_u32_e32 vcc_lo, s31, v17
	v_cndmask_b32_e64 v27, 0, -1, vcc_lo
	;; [unrolled: 2-line block ×4, first 2 shown]
	v_cmp_eq_u32_e32 vcc_lo, s31, v17
	v_cndmask_b32_e32 v17, v27, v26, vcc_lo
	v_cmp_eq_u32_e32 vcc_lo, s31, v30
	v_add_nc_u64_e32 v[26:27], 2, v[24:25]
	v_cndmask_b32_e32 v23, v31, v23, vcc_lo
	s_delay_alu instid0(VALU_DEP_4) | instskip(NEXT) | instid1(VALU_DEP_2)
	v_cmp_ne_u32_e32 vcc_lo, 0, v17
	v_cmp_ne_u32_e64 s1, 0, v23
	s_delay_alu instid0(VALU_DEP_4) | instskip(NEXT) | instid1(VALU_DEP_1)
	v_dual_cndmask_b32 v17, v29, v27, vcc_lo :: v_dual_cndmask_b32 v23, v28, v26, vcc_lo
	v_dual_cndmask_b32 v24, v24, v23, s1 :: v_dual_mov_b32 v23, v22
	s_delay_alu instid0(VALU_DEP_1) | instskip(NEXT) | instid1(VALU_DEP_1)
	v_dual_cndmask_b32 v17, v25, v17, s1 :: v_dual_bitop2_b32 v24, v24, v22 bitop3:0x14
	v_xor_b32_e32 v25, v17, v22
	s_delay_alu instid0(VALU_DEP_1)
	v_sub_nc_u64_e32 v[22:23], v[24:25], v[22:23]
.LBB25_192:                             ;   in Loop: Header=BB25_190 Depth=1
	s_and_not1_saveexec_b32 s1, s54
	s_cbranch_execz .LBB25_189
; %bb.193:                              ;   in Loop: Header=BB25_190 Depth=1
	v_cvt_f32_u32_e32 v17, s26
	s_sub_co_i32 s24, 0, s26
	s_delay_alu instid0(VALU_DEP_1) | instskip(SKIP_1) | instid1(TRANS32_DEP_1)
	v_rcp_iflag_f32_e32 v17, v17
	v_nop
	v_mul_f32_e32 v17, 0x4f7ffffe, v17
	s_delay_alu instid0(VALU_DEP_1) | instskip(NEXT) | instid1(VALU_DEP_1)
	v_cvt_u32_f32_e32 v17, v17
	v_mul_lo_u32 v22, s24, v17
	s_delay_alu instid0(VALU_DEP_1) | instskip(NEXT) | instid1(VALU_DEP_1)
	v_mul_hi_u32 v22, v17, v22
	v_add_nc_u32_e32 v17, v17, v22
	s_delay_alu instid0(VALU_DEP_1) | instskip(NEXT) | instid1(VALU_DEP_1)
	v_mul_hi_u32 v17, v18, v17
	v_mul_lo_u32 v22, v17, s26
	s_delay_alu instid0(VALU_DEP_1) | instskip(NEXT) | instid1(VALU_DEP_1)
	v_dual_add_nc_u32 v23, 1, v17 :: v_dual_sub_nc_u32 v22, v18, v22
	v_subrev_nc_u32_e32 v24, s26, v22
	v_cmp_le_u32_e32 vcc_lo, s26, v22
	s_delay_alu instid0(VALU_DEP_2) | instskip(NEXT) | instid1(VALU_DEP_1)
	v_dual_cndmask_b32 v22, v22, v24 :: v_dual_cndmask_b32 v17, v17, v23
	v_cmp_le_u32_e32 vcc_lo, s26, v22
	s_delay_alu instid0(VALU_DEP_2) | instskip(NEXT) | instid1(VALU_DEP_1)
	v_add_nc_u32_e32 v23, 1, v17
	v_dual_cndmask_b32 v22, v17, v23 :: v_dual_mov_b32 v23, v16
	s_branch .LBB25_189
.LBB25_194:
	s_or_b32 exec_lo, exec_lo, s53
	s_mov_b32 s7, -1
	s_mov_b32 s21, 0
	s_mov_b32 s1, exec_lo
	v_cmpx_gt_i64_e64 v[14:15], v[12:13]
	s_cbranch_execz .LBB25_200
; %bb.195:
	s_delay_alu instid0(VALU_DEP_2) | instskip(SKIP_2) | instid1(VALU_DEP_1)
	v_lshlrev_b64_e32 v[16:17], 3, v[20:21]
	s_mov_b32 s7, 0
	s_xor_b32 s21, s15, -1
                                        ; implicit-def: $sgpr20
                                        ; implicit-def: $sgpr23
                                        ; implicit-def: $sgpr22
	v_lshl_add_u64 v[12:13], v[12:13], 3, v[16:17]
	v_add_nc_u64_e32 v[16:17], s[2:3], v[16:17]
	s_delay_alu instid0(VALU_DEP_2) | instskip(NEXT) | instid1(VALU_DEP_2)
	v_add_nc_u64_e32 v[12:13], s[2:3], v[12:13]
	v_lshl_add_u64 v[14:15], v[14:15], 3, v[16:17]
	s_delay_alu instid0(VALU_DEP_2)
	v_add_nc_u64_e32 v[12:13], 8, v[12:13]
	s_branch .LBB25_197
.LBB25_196:                             ;   in Loop: Header=BB25_197 Depth=1
	s_or_b32 exec_lo, exec_lo, s24
	s_delay_alu instid0(SALU_CYCLE_1) | instskip(NEXT) | instid1(SALU_CYCLE_1)
	s_and_b32 s24, exec_lo, s23
	s_or_b32 s7, s24, s7
	s_and_not1_b32 s20, s20, exec_lo
	s_and_b32 s24, s22, exec_lo
	s_delay_alu instid0(SALU_CYCLE_1)
	s_or_b32 s20, s20, s24
	s_and_not1_b32 exec_lo, exec_lo, s7
	s_cbranch_execz .LBB25_199
.LBB25_197:                             ; =>This Inner Loop Header: Depth=1
	s_or_b32 s22, s22, exec_lo
	s_or_b32 s23, s23, exec_lo
	s_mov_b32 s24, exec_lo
	s_delay_alu instid0(VALU_DEP_1)
	v_cmpx_lt_u64_e64 v[12:13], v[14:15]
	s_cbranch_execz .LBB25_196
; %bb.198:                              ;   in Loop: Header=BB25_197 Depth=1
	s_wait_loadcnt 0x0
	global_load_b128 v[16:19], v[12:13], off offset:-8
	s_wait_xcnt 0x0
	v_add_nc_u64_e32 v[12:13], 8, v[12:13]
	s_and_not1_b32 s23, s23, exec_lo
	s_and_not1_b32 s22, s22, exec_lo
	s_wait_loadcnt 0x0
	v_cmp_ge_i64_e32 vcc_lo, v[16:17], v[18:19]
	s_or_b32 s25, s21, vcc_lo
	s_delay_alu instid0(SALU_CYCLE_1) | instskip(NEXT) | instid1(SALU_CYCLE_1)
	s_and_b32 s25, s25, exec_lo
	s_or_b32 s23, s23, s25
	s_branch .LBB25_196
.LBB25_199:
	s_or_b32 exec_lo, exec_lo, s7
	s_delay_alu instid0(SALU_CYCLE_1)
	s_mov_b32 s21, exec_lo
	s_or_not1_b32 s7, s20, exec_lo
.LBB25_200:
	s_or_b32 exec_lo, exec_lo, s1
	s_delay_alu instid0(SALU_CYCLE_1)
	s_and_b32 s1, s21, exec_lo
	s_xor_b32 s20, exec_lo, -1
	s_and_b32 s7, s7, exec_lo
.LBB25_201:
	s_or_b32 exec_lo, exec_lo, s52
	s_delay_alu instid0(SALU_CYCLE_1)
	s_and_not1_b32 s21, s45, exec_lo
	s_and_b32 s20, s20, exec_lo
	s_and_b32 s22, s1, exec_lo
	s_or_b32 s21, s21, s20
	s_xor_b32 s1, exec_lo, -1
	s_and_b32 s20, s7, exec_lo
.LBB25_202:
	s_or_b32 exec_lo, exec_lo, s51
	s_delay_alu instid0(SALU_CYCLE_1)
	s_and_b32 s7, s22, exec_lo
	s_and_not1_b32 s22, s45, exec_lo
	s_and_b32 s21, s21, exec_lo
	s_and_not1_b32 s23, s46, exec_lo
	s_and_b32 s1, s1, exec_lo
	s_or_b32 s21, s22, s21
	s_or_b32 s23, s23, s1
	s_xor_b32 s1, exec_lo, -1
	s_and_b32 s22, s20, exec_lo
.LBB25_203:
	s_or_b32 exec_lo, exec_lo, s50
	s_delay_alu instid0(SALU_CYCLE_1)
	s_and_not1_b32 s20, s45, exec_lo
	s_and_b32 s24, s21, exec_lo
	s_and_b32 s21, s7, exec_lo
	s_or_b32 s7, s20, s24
	s_and_not1_b32 s20, s46, exec_lo
	s_and_b32 s23, s23, exec_lo
	s_and_not1_b32 s24, s44, exec_lo
	s_and_b32 s1, s1, exec_lo
	s_or_b32 s20, s20, s23
	s_or_b32 s1, s24, s1
	s_or_not1_b32 s23, s22, exec_lo
.LBB25_204:
	s_or_b32 exec_lo, exec_lo, s49
	s_mov_b32 s24, 0
	s_and_saveexec_b32 s22, s23
	s_cbranch_execz .LBB25_208
; %bb.205:
	v_or_b32_e32 v12, 0x300, v0
	s_mov_b32 s23, 0
	s_mov_b32 s24, -1
	s_mov_b32 s25, s1
	s_mov_b32 s26, exec_lo
	v_cmpx_gt_i32_e64 s33, v12
	s_xor_b32 s26, exec_lo, s26
	s_cbranch_execz .LBB25_207
; %bb.206:
	s_wait_loadcnt 0x3
	v_cmp_ne_u64_e32 vcc_lo, s[8:9], v[10:11]
	s_xor_b32 s8, s38, -1
	s_and_not1_b32 s9, s1, exec_lo
	s_mov_b32 s23, exec_lo
	s_xor_b32 s24, exec_lo, -1
	s_or_b32 s8, s8, vcc_lo
	s_delay_alu instid0(SALU_CYCLE_1) | instskip(NEXT) | instid1(SALU_CYCLE_1)
	s_and_b32 s8, s8, exec_lo
	s_or_b32 s25, s9, s8
.LBB25_207:
	s_or_b32 exec_lo, exec_lo, s26
	s_delay_alu instid0(SALU_CYCLE_1)
	s_and_not1_b32 s1, s1, exec_lo
	s_and_b32 s8, s25, exec_lo
	s_and_b32 s24, s24, exec_lo
	s_and_not1_b32 s21, s21, exec_lo
	s_and_b32 s48, s23, exec_lo
	s_or_b32 s1, s1, s8
.LBB25_208:
	s_or_b32 exec_lo, exec_lo, s22
	s_delay_alu instid0(SALU_CYCLE_1)
	s_and_not1_b32 s8, s40, exec_lo
	s_and_b32 s9, s21, exec_lo
	s_and_b32 s7, s7, exec_lo
	s_or_b32 s40, s8, s9
	s_and_not1_b32 s8, s45, exec_lo
	s_and_not1_b32 s9, s46, exec_lo
	s_and_b32 s20, s20, exec_lo
	s_or_b32 s45, s8, s7
	s_and_not1_b32 s7, s44, exec_lo
	s_and_b32 s1, s1, exec_lo
	s_and_b32 s21, s24, exec_lo
	s_or_b32 s46, s9, s20
	s_and_b32 s48, s48, exec_lo
	s_or_b32 s44, s7, s1
.LBB25_209:
	s_or_b32 exec_lo, exec_lo, s47
	s_delay_alu instid0(SALU_CYCLE_1)
	s_and_not1_b32 s1, s37, exec_lo
	s_and_b32 s7, s40, exec_lo
	s_and_not1_b32 s8, s41, exec_lo
	s_or_b32 s37, s1, s7
	s_and_not1_b32 s1, s39, exec_lo
	s_and_b32 s7, s45, exec_lo
	s_and_b32 s9, s46, exec_lo
	s_or_b32 s39, s1, s7
	s_and_not1_b32 s1, s42, exec_lo
	s_and_b32 s7, s44, exec_lo
	s_and_b32 s40, s21, exec_lo
	s_or_b32 s41, s8, s9
	s_and_b32 s44, s48, exec_lo
	s_or_b32 s42, s1, s7
	s_or_b32 exec_lo, exec_lo, s43
	s_and_saveexec_b32 s1, s42
	s_cbranch_execz .LBB25_87
.LBB25_210:
	s_or_b32 s17, s17, exec_lo
	s_and_not1_b32 s44, s44, exec_lo
	s_trap 2
	s_branch .LBB25_87
.LBB25_211:
	s_mov_b32 s17, exec_lo
	s_and_not1_b32 s28, s28, exec_lo
	s_trap 2
	s_branch .LBB25_65
.LBB25_212:
	s_or_b32 s17, s17, exec_lo
	s_and_not1_b32 s29, s29, exec_lo
	s_trap 2
	s_branch .LBB25_68
.LBB25_213:
	s_or_b32 s17, s17, exec_lo
	s_and_not1_b32 s1, s1, exec_lo
	s_trap 2
	s_branch .LBB25_90
	.section	.rodata,"a",@progbits
	.p2align	6, 0x0
	.amdhsa_kernel _ZN2at6native29vectorized_elementwise_kernelILi8EZZZNS0_12_GLOBAL__N_142_validate_compressed_sparse_indices_kernelILNS2_8CDimNameE0ENS2_18CUDAKernelLauncherENS2_14EmptyVecKernelENS2_8DummyVecELm8EEEvRKNS_6TensorESA_lllENKUlvE1_clEvENKUlvE0_clEvEUllllllE_St5arrayIPcLm6EEEEviT0_T1_
		.amdhsa_group_segment_fixed_size 0
		.amdhsa_private_segment_fixed_size 0
		.amdhsa_kernarg_size 224
		.amdhsa_user_sgpr_count 2
		.amdhsa_user_sgpr_dispatch_ptr 0
		.amdhsa_user_sgpr_queue_ptr 0
		.amdhsa_user_sgpr_kernarg_segment_ptr 1
		.amdhsa_user_sgpr_dispatch_id 0
		.amdhsa_user_sgpr_kernarg_preload_length 0
		.amdhsa_user_sgpr_kernarg_preload_offset 0
		.amdhsa_user_sgpr_private_segment_size 0
		.amdhsa_wavefront_size32 1
		.amdhsa_uses_dynamic_stack 0
		.amdhsa_enable_private_segment 0
		.amdhsa_system_sgpr_workgroup_id_x 1
		.amdhsa_system_sgpr_workgroup_id_y 0
		.amdhsa_system_sgpr_workgroup_id_z 0
		.amdhsa_system_sgpr_workgroup_info 0
		.amdhsa_system_vgpr_workitem_id 0
		.amdhsa_next_free_vgpr 60
		.amdhsa_next_free_sgpr 69
		.amdhsa_named_barrier_count 0
		.amdhsa_reserve_vcc 1
		.amdhsa_float_round_mode_32 0
		.amdhsa_float_round_mode_16_64 0
		.amdhsa_float_denorm_mode_32 3
		.amdhsa_float_denorm_mode_16_64 3
		.amdhsa_fp16_overflow 0
		.amdhsa_memory_ordered 1
		.amdhsa_forward_progress 1
		.amdhsa_inst_pref_size 103
		.amdhsa_round_robin_scheduling 0
		.amdhsa_exception_fp_ieee_invalid_op 0
		.amdhsa_exception_fp_denorm_src 0
		.amdhsa_exception_fp_ieee_div_zero 0
		.amdhsa_exception_fp_ieee_overflow 0
		.amdhsa_exception_fp_ieee_underflow 0
		.amdhsa_exception_fp_ieee_inexact 0
		.amdhsa_exception_int_div_zero 0
	.end_amdhsa_kernel
	.section	.text._ZN2at6native29vectorized_elementwise_kernelILi8EZZZNS0_12_GLOBAL__N_142_validate_compressed_sparse_indices_kernelILNS2_8CDimNameE0ENS2_18CUDAKernelLauncherENS2_14EmptyVecKernelENS2_8DummyVecELm8EEEvRKNS_6TensorESA_lllENKUlvE1_clEvENKUlvE0_clEvEUllllllE_St5arrayIPcLm6EEEEviT0_T1_,"axG",@progbits,_ZN2at6native29vectorized_elementwise_kernelILi8EZZZNS0_12_GLOBAL__N_142_validate_compressed_sparse_indices_kernelILNS2_8CDimNameE0ENS2_18CUDAKernelLauncherENS2_14EmptyVecKernelENS2_8DummyVecELm8EEEvRKNS_6TensorESA_lllENKUlvE1_clEvENKUlvE0_clEvEUllllllE_St5arrayIPcLm6EEEEviT0_T1_,comdat
.Lfunc_end25:
	.size	_ZN2at6native29vectorized_elementwise_kernelILi8EZZZNS0_12_GLOBAL__N_142_validate_compressed_sparse_indices_kernelILNS2_8CDimNameE0ENS2_18CUDAKernelLauncherENS2_14EmptyVecKernelENS2_8DummyVecELm8EEEvRKNS_6TensorESA_lllENKUlvE1_clEvENKUlvE0_clEvEUllllllE_St5arrayIPcLm6EEEEviT0_T1_, .Lfunc_end25-_ZN2at6native29vectorized_elementwise_kernelILi8EZZZNS0_12_GLOBAL__N_142_validate_compressed_sparse_indices_kernelILNS2_8CDimNameE0ENS2_18CUDAKernelLauncherENS2_14EmptyVecKernelENS2_8DummyVecELm8EEEvRKNS_6TensorESA_lllENKUlvE1_clEvENKUlvE0_clEvEUllllllE_St5arrayIPcLm6EEEEviT0_T1_
                                        ; -- End function
	.set _ZN2at6native29vectorized_elementwise_kernelILi8EZZZNS0_12_GLOBAL__N_142_validate_compressed_sparse_indices_kernelILNS2_8CDimNameE0ENS2_18CUDAKernelLauncherENS2_14EmptyVecKernelENS2_8DummyVecELm8EEEvRKNS_6TensorESA_lllENKUlvE1_clEvENKUlvE0_clEvEUllllllE_St5arrayIPcLm6EEEEviT0_T1_.num_vgpr, 60
	.set _ZN2at6native29vectorized_elementwise_kernelILi8EZZZNS0_12_GLOBAL__N_142_validate_compressed_sparse_indices_kernelILNS2_8CDimNameE0ENS2_18CUDAKernelLauncherENS2_14EmptyVecKernelENS2_8DummyVecELm8EEEvRKNS_6TensorESA_lllENKUlvE1_clEvENKUlvE0_clEvEUllllllE_St5arrayIPcLm6EEEEviT0_T1_.num_agpr, 0
	.set _ZN2at6native29vectorized_elementwise_kernelILi8EZZZNS0_12_GLOBAL__N_142_validate_compressed_sparse_indices_kernelILNS2_8CDimNameE0ENS2_18CUDAKernelLauncherENS2_14EmptyVecKernelENS2_8DummyVecELm8EEEvRKNS_6TensorESA_lllENKUlvE1_clEvENKUlvE0_clEvEUllllllE_St5arrayIPcLm6EEEEviT0_T1_.numbered_sgpr, 69
	.set _ZN2at6native29vectorized_elementwise_kernelILi8EZZZNS0_12_GLOBAL__N_142_validate_compressed_sparse_indices_kernelILNS2_8CDimNameE0ENS2_18CUDAKernelLauncherENS2_14EmptyVecKernelENS2_8DummyVecELm8EEEvRKNS_6TensorESA_lllENKUlvE1_clEvENKUlvE0_clEvEUllllllE_St5arrayIPcLm6EEEEviT0_T1_.num_named_barrier, 0
	.set _ZN2at6native29vectorized_elementwise_kernelILi8EZZZNS0_12_GLOBAL__N_142_validate_compressed_sparse_indices_kernelILNS2_8CDimNameE0ENS2_18CUDAKernelLauncherENS2_14EmptyVecKernelENS2_8DummyVecELm8EEEvRKNS_6TensorESA_lllENKUlvE1_clEvENKUlvE0_clEvEUllllllE_St5arrayIPcLm6EEEEviT0_T1_.private_seg_size, 0
	.set _ZN2at6native29vectorized_elementwise_kernelILi8EZZZNS0_12_GLOBAL__N_142_validate_compressed_sparse_indices_kernelILNS2_8CDimNameE0ENS2_18CUDAKernelLauncherENS2_14EmptyVecKernelENS2_8DummyVecELm8EEEvRKNS_6TensorESA_lllENKUlvE1_clEvENKUlvE0_clEvEUllllllE_St5arrayIPcLm6EEEEviT0_T1_.uses_vcc, 1
	.set _ZN2at6native29vectorized_elementwise_kernelILi8EZZZNS0_12_GLOBAL__N_142_validate_compressed_sparse_indices_kernelILNS2_8CDimNameE0ENS2_18CUDAKernelLauncherENS2_14EmptyVecKernelENS2_8DummyVecELm8EEEvRKNS_6TensorESA_lllENKUlvE1_clEvENKUlvE0_clEvEUllllllE_St5arrayIPcLm6EEEEviT0_T1_.uses_flat_scratch, 0
	.set _ZN2at6native29vectorized_elementwise_kernelILi8EZZZNS0_12_GLOBAL__N_142_validate_compressed_sparse_indices_kernelILNS2_8CDimNameE0ENS2_18CUDAKernelLauncherENS2_14EmptyVecKernelENS2_8DummyVecELm8EEEvRKNS_6TensorESA_lllENKUlvE1_clEvENKUlvE0_clEvEUllllllE_St5arrayIPcLm6EEEEviT0_T1_.has_dyn_sized_stack, 0
	.set _ZN2at6native29vectorized_elementwise_kernelILi8EZZZNS0_12_GLOBAL__N_142_validate_compressed_sparse_indices_kernelILNS2_8CDimNameE0ENS2_18CUDAKernelLauncherENS2_14EmptyVecKernelENS2_8DummyVecELm8EEEvRKNS_6TensorESA_lllENKUlvE1_clEvENKUlvE0_clEvEUllllllE_St5arrayIPcLm6EEEEviT0_T1_.has_recursion, 0
	.set _ZN2at6native29vectorized_elementwise_kernelILi8EZZZNS0_12_GLOBAL__N_142_validate_compressed_sparse_indices_kernelILNS2_8CDimNameE0ENS2_18CUDAKernelLauncherENS2_14EmptyVecKernelENS2_8DummyVecELm8EEEvRKNS_6TensorESA_lllENKUlvE1_clEvENKUlvE0_clEvEUllllllE_St5arrayIPcLm6EEEEviT0_T1_.has_indirect_call, 0
	.section	.AMDGPU.csdata,"",@progbits
; Kernel info:
; codeLenInByte = 13140
; TotalNumSgprs: 71
; NumVgprs: 60
; ScratchSize: 0
; MemoryBound: 1
; FloatMode: 240
; IeeeMode: 1
; LDSByteSize: 0 bytes/workgroup (compile time only)
; SGPRBlocks: 0
; VGPRBlocks: 3
; NumSGPRsForWavesPerEU: 71
; NumVGPRsForWavesPerEU: 60
; NamedBarCnt: 0
; Occupancy: 16
; WaveLimiterHint : 1
; COMPUTE_PGM_RSRC2:SCRATCH_EN: 0
; COMPUTE_PGM_RSRC2:USER_SGPR: 2
; COMPUTE_PGM_RSRC2:TRAP_HANDLER: 0
; COMPUTE_PGM_RSRC2:TGID_X_EN: 1
; COMPUTE_PGM_RSRC2:TGID_Y_EN: 0
; COMPUTE_PGM_RSRC2:TGID_Z_EN: 0
; COMPUTE_PGM_RSRC2:TIDIG_COMP_CNT: 0
	.section	.text._ZN2at6native29vectorized_elementwise_kernelILi4EZZZNS0_12_GLOBAL__N_142_validate_compressed_sparse_indices_kernelILNS2_8CDimNameE0ENS2_18CUDAKernelLauncherENS2_14EmptyVecKernelENS2_8DummyVecELm8EEEvRKNS_6TensorESA_lllENKUlvE1_clEvENKUlvE0_clEvEUllllllE_St5arrayIPcLm6EEEEviT0_T1_,"axG",@progbits,_ZN2at6native29vectorized_elementwise_kernelILi4EZZZNS0_12_GLOBAL__N_142_validate_compressed_sparse_indices_kernelILNS2_8CDimNameE0ENS2_18CUDAKernelLauncherENS2_14EmptyVecKernelENS2_8DummyVecELm8EEEvRKNS_6TensorESA_lllENKUlvE1_clEvENKUlvE0_clEvEUllllllE_St5arrayIPcLm6EEEEviT0_T1_,comdat
	.globl	_ZN2at6native29vectorized_elementwise_kernelILi4EZZZNS0_12_GLOBAL__N_142_validate_compressed_sparse_indices_kernelILNS2_8CDimNameE0ENS2_18CUDAKernelLauncherENS2_14EmptyVecKernelENS2_8DummyVecELm8EEEvRKNS_6TensorESA_lllENKUlvE1_clEvENKUlvE0_clEvEUllllllE_St5arrayIPcLm6EEEEviT0_T1_ ; -- Begin function _ZN2at6native29vectorized_elementwise_kernelILi4EZZZNS0_12_GLOBAL__N_142_validate_compressed_sparse_indices_kernelILNS2_8CDimNameE0ENS2_18CUDAKernelLauncherENS2_14EmptyVecKernelENS2_8DummyVecELm8EEEvRKNS_6TensorESA_lllENKUlvE1_clEvENKUlvE0_clEvEUllllllE_St5arrayIPcLm6EEEEviT0_T1_
	.p2align	8
	.type	_ZN2at6native29vectorized_elementwise_kernelILi4EZZZNS0_12_GLOBAL__N_142_validate_compressed_sparse_indices_kernelILNS2_8CDimNameE0ENS2_18CUDAKernelLauncherENS2_14EmptyVecKernelENS2_8DummyVecELm8EEEvRKNS_6TensorESA_lllENKUlvE1_clEvENKUlvE0_clEvEUllllllE_St5arrayIPcLm6EEEEviT0_T1_,@function
_ZN2at6native29vectorized_elementwise_kernelILi4EZZZNS0_12_GLOBAL__N_142_validate_compressed_sparse_indices_kernelILNS2_8CDimNameE0ENS2_18CUDAKernelLauncherENS2_14EmptyVecKernelENS2_8DummyVecELm8EEEvRKNS_6TensorESA_lllENKUlvE1_clEvENKUlvE0_clEvEUllllllE_St5arrayIPcLm6EEEEviT0_T1_: ; @_ZN2at6native29vectorized_elementwise_kernelILi4EZZZNS0_12_GLOBAL__N_142_validate_compressed_sparse_indices_kernelILNS2_8CDimNameE0ENS2_18CUDAKernelLauncherENS2_14EmptyVecKernelENS2_8DummyVecELm8EEEvRKNS_6TensorESA_lllENKUlvE1_clEvENKUlvE0_clEvEUllllllE_St5arrayIPcLm6EEEEviT0_T1_
; %bb.0:
	s_clause 0x2
	s_load_b32 s2, s[0:1], 0x0
	s_load_b128 s[12:15], s[0:1], 0xd0
	s_load_b256 s[4:11], s[0:1], 0xb0
	s_bfe_u32 s3, ttmp6, 0x4000c
	s_and_b32 s16, ttmp6, 15
	s_add_co_i32 s3, s3, 1
	s_getreg_b32 s17, hwreg(HW_REG_IB_STS2, 6, 4)
	s_mul_i32 s3, ttmp9, s3
	s_or_b64 s[18:19], s[0:1], 8
	s_add_co_i32 s16, s16, s3
	s_cmp_eq_u32 s17, 0
	s_mov_b32 s40, 0
	s_wait_xcnt 0x0
	s_cselect_b32 s0, ttmp9, s16
	s_mov_b32 s17, 0
	s_lshl_b32 s16, s0, 10
	s_mov_b32 s0, -1
	s_get_pc_i64 s[20:21]
	s_add_nc_u64 s[20:21], s[20:21], .str.1@rel64+4
	s_wait_kmcnt 0x0
	s_sub_co_i32 s33, s2, s16
	s_delay_alu instid0(SALU_CYCLE_1)
	s_cmp_gt_i32 s33, 0x3ff
	s_cbranch_scc0 .LBB26_75
; %bb.1:
	s_ashr_i32 s17, s16, 31
	v_lshlrev_b32_e32 v1, 5, v0
	s_lshl_b64 s[22:23], s[16:17], 3
	s_cmp_lg_u64 s[20:21], 0
	s_add_nc_u64 s[0:1], s[6:7], s[22:23]
	s_mov_b32 s29, -1
	s_clause 0x1
	global_load_b128 v[38:41], v1, s[0:1]
	global_load_b128 v[42:45], v1, s[0:1] offset:16
	s_wait_xcnt 0x0
	s_load_b128 s[0:3], s[18:19], 0x0
	s_mov_b32 s17, 0
	s_mov_b32 s28, 0
	;; [unrolled: 1-line block ×4, first 2 shown]
                                        ; implicit-def: $sgpr42
                                        ; implicit-def: $sgpr26
                                        ; implicit-def: $sgpr41
                                        ; implicit-def: $sgpr24_sgpr25
                                        ; implicit-def: $vgpr18_vgpr19_vgpr20_vgpr21_vgpr22_vgpr23_vgpr24_vgpr25
                                        ; implicit-def: $vgpr2_vgpr3_vgpr4_vgpr5_vgpr6_vgpr7_vgpr8_vgpr9
                                        ; implicit-def: $vgpr10_vgpr11_vgpr12_vgpr13_vgpr14_vgpr15_vgpr16_vgpr17
                                        ; implicit-def: $vgpr34_vgpr35
                                        ; implicit-def: $vgpr26_vgpr27_vgpr28_vgpr29_vgpr30_vgpr31_vgpr32_vgpr33
	s_wait_loadcnt 0x1
	s_wait_kmcnt 0x0
	v_cmp_eq_u64_e32 vcc_lo, s[0:1], v[38:39]
	s_cselect_b32 s1, -1, 0
	s_mov_b32 s0, 0
	s_and_b32 s30, s1, vcc_lo
                                        ; implicit-def: $sgpr1
	s_delay_alu instid0(SALU_CYCLE_1)
	s_and_saveexec_b32 s43, s30
	s_cbranch_execz .LBB26_64
; %bb.2:
	s_add_nc_u64 s[0:1], s[8:9], s[22:23]
	s_get_pc_i64 s[24:25]
	s_add_nc_u64 s[24:25], s[24:25], .str.2@rel64+4
	s_clause 0x1
	global_load_b128 v[34:37], v1, s[0:1]
	global_load_b128 v[30:33], v1, s[0:1] offset:16
	s_wait_xcnt 0x0
	s_load_b64 s[0:1], s[18:19], 0x10
	s_cmp_lg_u64 s[24:25], 0
	s_mov_b32 s29, 0
	s_mov_b32 s30, 0
                                        ; implicit-def: $sgpr31
                                        ; implicit-def: $sgpr42
                                        ; implicit-def: $sgpr26
                                        ; implicit-def: $sgpr41
                                        ; implicit-def: $sgpr24_sgpr25
                                        ; implicit-def: $vgpr18_vgpr19_vgpr20_vgpr21_vgpr22_vgpr23_vgpr24_vgpr25
                                        ; implicit-def: $vgpr2_vgpr3_vgpr4_vgpr5_vgpr6_vgpr7_vgpr8_vgpr9
                                        ; implicit-def: $vgpr10_vgpr11_vgpr12_vgpr13_vgpr14_vgpr15_vgpr16_vgpr17
	s_wait_loadcnt 0x1
	s_wait_kmcnt 0x0
	v_cmp_eq_u64_e32 vcc_lo, s[0:1], v[34:35]
	s_cselect_b32 s1, -1, 0
	s_mov_b32 s0, -1
	s_and_b32 s1, s1, vcc_lo
	s_delay_alu instid0(SALU_CYCLE_1)
	s_and_saveexec_b32 s44, s1
	s_cbranch_execz .LBB26_63
; %bb.3:
	s_add_nc_u64 s[0:1], s[12:13], s[22:23]
	s_add_nc_u64 s[24:25], s[10:11], s[22:23]
	s_clause 0x3
	global_load_b128 v[2:5], v1, s[0:1]
	global_load_b128 v[10:13], v1, s[24:25]
	global_load_b128 v[14:17], v1, s[24:25] offset:16
	global_load_b128 v[6:9], v1, s[0:1] offset:16
	s_wait_xcnt 0x1
	s_get_pc_i64 s[24:25]
	s_add_nc_u64 s[24:25], s[24:25], .str.3@rel64+4
	s_wait_xcnt 0x0
	s_mov_b32 s1, -1
	s_cmp_lg_u64 s[24:25], 0
	s_mov_b32 s34, 0
	s_cselect_b32 s24, -1, 0
                                        ; implicit-def: $sgpr30
                                        ; implicit-def: $sgpr42
                                        ; implicit-def: $sgpr26
                                        ; implicit-def: $sgpr41
	s_wait_loadcnt 0x2
	v_sub_nc_u64_e32 v[18:19], v[2:3], v[10:11]
	s_delay_alu instid0(VALU_DEP_1) | instskip(SKIP_2) | instid1(SALU_CYCLE_1)
	v_cmp_le_i64_e32 vcc_lo, v[38:39], v[18:19]
	v_cmp_ge_i64_e64 s0, s[2:3], v[18:19]
                                        ; implicit-def: $vgpr18_vgpr19_vgpr20_vgpr21_vgpr22_vgpr23_vgpr24_vgpr25
	s_and_b32 s0, vcc_lo, s0
	s_and_b32 s0, s24, s0
                                        ; implicit-def: $sgpr24_sgpr25
	s_delay_alu instid0(SALU_CYCLE_1)
	s_and_saveexec_b32 s45, s0
	s_cbranch_execz .LBB26_62
; %bb.4:
	s_add_nc_u64 s[0:1], s[14:15], s[22:23]
	v_cmp_lt_i64_e32 vcc_lo, 0, v[34:35]
	s_clause 0x1
	global_load_b128 v[22:25], v1, s[0:1] offset:16
	global_load_b128 v[18:21], v1, s[0:1]
	s_clause 0x1
	s_load_b32 s41, s[18:19], 0x18
	s_load_b64 s[24:25], s[18:19], 0xa0
	v_mov_b64_e32 v[26:27], 0
	s_wait_kmcnt 0x0
	s_add_co_i32 s26, s41, -1
	s_delay_alu instid0(SALU_CYCLE_1) | instskip(SKIP_1) | instid1(SALU_CYCLE_1)
	s_cmp_gt_i32 s26, -1
	s_cselect_b32 s0, -1, 0
	s_and_b32 s46, vcc_lo, s0
	s_delay_alu instid0(SALU_CYCLE_1)
	s_and_saveexec_b32 s42, s46
	s_cbranch_execz .LBB26_11
; %bb.5:
	s_wait_loadcnt 0x0
	v_mul_u64_e32 v[28:29], v[18:19], v[34:35]
	s_ashr_i32 s27, s26, 31
	v_mov_b64_e32 v[26:27], 0
	s_lshl_b64 s[0:1], s[26:27], 3
	v_mov_b32_e32 v18, 0
	s_add_nc_u64 s[0:1], s[18:19], s[0:1]
	s_mov_b64 s[28:29], 0xffffffff
	s_add_nc_u64 s[30:31], s[0:1], 32
	s_mov_b32 s1, 0
	s_mov_b32 s27, s41
	s_branch .LBB26_7
.LBB26_6:                               ;   in Loop: Header=BB26_7 Depth=1
	s_or_b32 exec_lo, exec_lo, s0
	s_delay_alu instid0(VALU_DEP_1)
	v_mul_u64_e32 v[48:49], s[34:35], v[46:47]
	s_load_b64 s[34:35], s[30:31], 0x40
	s_add_co_i32 s27, s27, -1
	s_wait_xcnt 0x0
	s_add_nc_u64 s[30:31], s[30:31], -8
	s_cmp_eq_u32 s27, 0
	s_delay_alu instid0(VALU_DEP_1) | instskip(SKIP_1) | instid1(VALU_DEP_1)
	v_sub_nc_u64_e32 v[28:29], v[28:29], v[48:49]
	s_wait_kmcnt 0x0
	v_mad_nc_u64_u32 v[26:27], v28, s34, v[26:27]
	s_delay_alu instid0(VALU_DEP_1) | instskip(NEXT) | instid1(VALU_DEP_1)
	v_mad_u32 v19, v29, s34, v27
	v_mad_u32 v27, v28, s35, v19
	v_mov_b64_e32 v[28:29], v[46:47]
	s_cbranch_scc1 .LBB26_11
.LBB26_7:                               ; =>This Inner Loop Header: Depth=1
	s_load_b64 s[34:35], s[30:31], 0x0
                                        ; implicit-def: $vgpr46_vgpr47
	s_mov_b32 s0, exec_lo
	s_wait_kmcnt 0x0
	s_delay_alu instid0(VALU_DEP_1) | instskip(NEXT) | instid1(VALU_DEP_1)
	v_or_b32_e32 v19, s35, v29
	v_cmpx_ne_u64_e32 0, v[18:19]
	s_xor_b32 s47, exec_lo, s0
	s_cbranch_execz .LBB26_9
; %bb.8:                                ;   in Loop: Header=BB26_7 Depth=1
	s_ashr_i32 s36, s35, 31
	v_dual_mov_b32 v51, v18 :: v_dual_ashrrev_i32 v46, 31, v29
	s_mov_b32 s37, s36
	v_mov_b32_e32 v59, v18
	s_add_nc_u64 s[38:39], s[34:35], s[36:37]
	s_delay_alu instid0(VALU_DEP_2) | instskip(SKIP_1) | instid1(SALU_CYCLE_1)
	v_mov_b32_e32 v47, v46
	s_xor_b64 s[38:39], s[38:39], s[36:37]
	s_cvt_f32_u32 s0, s38
	s_cvt_f32_u32 s37, s39
	s_sub_nc_u64 s[50:51], 0, s[38:39]
	v_add_nc_u64_e32 v[48:49], v[28:29], v[46:47]
	v_mov_b32_e32 v55, v18
	s_fmamk_f32 s0, s37, 0x4f800000, s0
	s_delay_alu instid0(SALU_CYCLE_3) | instskip(NEXT) | instid1(VALU_DEP_2)
	v_s_rcp_f32 s0, s0
	v_xor_b32_e32 v50, v48, v46
	s_delay_alu instid0(VALU_DEP_3) | instskip(NEXT) | instid1(TRANS32_DEP_1)
	v_xor_b32_e32 v54, v49, v46
	s_mul_f32 s0, s0, 0x5f7ffffc
	s_delay_alu instid0(SALU_CYCLE_3) | instskip(NEXT) | instid1(SALU_CYCLE_3)
	s_mul_f32 s37, s0, 0x2f800000
	s_trunc_f32 s37, s37
	s_delay_alu instid0(SALU_CYCLE_3) | instskip(SKIP_1) | instid1(SALU_CYCLE_2)
	s_fmamk_f32 s0, s37, 0xcf800000, s0
	s_cvt_u32_f32 s49, s37
	s_cvt_u32_f32 s48, s0
	s_delay_alu instid0(SALU_CYCLE_3) | instskip(NEXT) | instid1(SALU_CYCLE_1)
	s_mul_u64 s[52:53], s[50:51], s[48:49]
	s_mul_hi_u32 s55, s48, s53
	s_mul_i32 s54, s48, s53
	s_mul_hi_u32 s0, s48, s52
	s_mul_i32 s56, s49, s52
	s_add_nc_u64 s[54:55], s[0:1], s[54:55]
	s_mul_hi_u32 s37, s49, s52
	s_mul_hi_u32 s57, s49, s53
	s_add_co_u32 s0, s54, s56
	s_add_co_ci_u32 s0, s55, s37
	s_mul_i32 s52, s49, s53
	s_add_co_ci_u32 s53, s57, 0
	s_delay_alu instid0(SALU_CYCLE_1) | instskip(NEXT) | instid1(SALU_CYCLE_1)
	s_add_nc_u64 s[52:53], s[0:1], s[52:53]
	s_add_co_u32 s48, s48, s52
	s_cselect_b32 s0, -1, 0
	s_delay_alu instid0(SALU_CYCLE_1) | instskip(SKIP_1) | instid1(SALU_CYCLE_1)
	s_cmp_lg_u32 s0, 0
	s_add_co_ci_u32 s49, s49, s53
	s_mul_u64 s[50:51], s[50:51], s[48:49]
	s_delay_alu instid0(SALU_CYCLE_1)
	s_mul_hi_u32 s53, s48, s51
	s_mul_i32 s52, s48, s51
	s_mul_hi_u32 s0, s48, s50
	s_mul_i32 s54, s49, s50
	s_add_nc_u64 s[52:53], s[0:1], s[52:53]
	s_mul_hi_u32 s37, s49, s50
	s_mul_hi_u32 s55, s49, s51
	s_add_co_u32 s0, s52, s54
	s_add_co_ci_u32 s0, s53, s37
	s_mul_i32 s50, s49, s51
	s_add_co_ci_u32 s51, s55, 0
	s_delay_alu instid0(SALU_CYCLE_1) | instskip(NEXT) | instid1(SALU_CYCLE_1)
	s_add_nc_u64 s[50:51], s[0:1], s[50:51]
	s_add_co_u32 s48, s48, s50
	s_cselect_b32 s0, -1, 0
	v_mul_hi_u32 v58, v50, s48
	s_cmp_lg_u32 s0, 0
	s_add_co_ci_u32 s0, s49, s51
	s_and_b64 s[50:51], s[48:49], s[28:29]
	v_mul_u64_e32 v[52:53], s[0:1], v[50:51]
	v_mul_u64_e32 v[48:49], s[50:51], v[54:55]
	;; [unrolled: 1-line block ×3, first 2 shown]
	s_delay_alu instid0(VALU_DEP_3) | instskip(NEXT) | instid1(VALU_DEP_1)
	v_add_nc_u64_e32 v[52:53], v[58:59], v[52:53]
	v_add_co_u32 v19, vcc_lo, v52, v48
	s_delay_alu instid0(VALU_DEP_2) | instskip(NEXT) | instid1(VALU_DEP_4)
	v_add_co_ci_u32_e32 v58, vcc_lo, v53, v49, vcc_lo
	v_add_co_ci_u32_e32 v57, vcc_lo, 0, v57, vcc_lo
	s_delay_alu instid0(VALU_DEP_1) | instskip(NEXT) | instid1(VALU_DEP_1)
	v_add_nc_u64_e32 v[48:49], v[58:59], v[56:57]
	v_mul_u64_e32 v[52:53], s[38:39], v[48:49]
	s_delay_alu instid0(VALU_DEP_1) | instskip(NEXT) | instid1(VALU_DEP_2)
	v_sub_nc_u32_e32 v19, v54, v53
	v_sub_co_u32 v47, vcc_lo, v50, v52
	s_delay_alu instid0(VALU_DEP_1) | instskip(NEXT) | instid1(VALU_DEP_3)
	v_sub_co_ci_u32_e64 v54, null, v54, v53, vcc_lo
	v_subrev_co_ci_u32_e64 v19, null, s39, v19, vcc_lo
	s_delay_alu instid0(VALU_DEP_3) | instskip(SKIP_1) | instid1(VALU_DEP_3)
	v_sub_co_u32 v50, s0, v47, s38
	v_add_nc_u64_e32 v[52:53], 1, v[48:49]
	v_subrev_co_ci_u32_e64 v19, null, 0, v19, s0
	s_delay_alu instid0(VALU_DEP_3) | instskip(SKIP_1) | instid1(VALU_DEP_3)
	v_cmp_le_u32_e32 vcc_lo, s38, v50
	v_cndmask_b32_e64 v50, 0, -1, vcc_lo
	v_cmp_le_u32_e32 vcc_lo, s39, v19
	v_cndmask_b32_e64 v51, 0, -1, vcc_lo
	;; [unrolled: 2-line block ×4, first 2 shown]
	v_cmp_eq_u32_e32 vcc_lo, s39, v19
	v_cndmask_b32_e32 v19, v51, v50, vcc_lo
	v_cmp_eq_u32_e32 vcc_lo, s39, v54
	v_add_nc_u64_e32 v[50:51], 2, v[48:49]
	v_cndmask_b32_e32 v47, v55, v47, vcc_lo
	s_delay_alu instid0(VALU_DEP_4) | instskip(NEXT) | instid1(VALU_DEP_2)
	v_cmp_ne_u32_e32 vcc_lo, 0, v19
	v_cmp_ne_u32_e64 s0, 0, v47
	s_delay_alu instid0(VALU_DEP_4) | instskip(NEXT) | instid1(VALU_DEP_1)
	v_dual_cndmask_b32 v19, v53, v51, vcc_lo :: v_dual_cndmask_b32 v47, v52, v50, vcc_lo
	v_dual_cndmask_b32 v19, v49, v19, s0 :: v_dual_bitop2_b32 v46, s36, v46 bitop3:0x14
	s_delay_alu instid0(VALU_DEP_1) | instskip(NEXT) | instid1(VALU_DEP_2)
	v_dual_cndmask_b32 v48, v48, v47, s0 :: v_dual_mov_b32 v47, v46
	v_xor_b32_e32 v49, v19, v46
	s_delay_alu instid0(VALU_DEP_2) | instskip(NEXT) | instid1(VALU_DEP_1)
	v_xor_b32_e32 v48, v48, v46
	v_sub_nc_u64_e32 v[46:47], v[48:49], v[46:47]
.LBB26_9:                               ;   in Loop: Header=BB26_7 Depth=1
	s_and_not1_saveexec_b32 s0, s47
	s_cbranch_execz .LBB26_6
; %bb.10:                               ;   in Loop: Header=BB26_7 Depth=1
	v_cvt_f32_u32_e32 v19, s34
	s_sub_co_i32 s36, 0, s34
	s_delay_alu instid0(VALU_DEP_1) | instskip(SKIP_1) | instid1(TRANS32_DEP_1)
	v_rcp_iflag_f32_e32 v19, v19
	v_nop
	v_mul_f32_e32 v19, 0x4f7ffffe, v19
	s_delay_alu instid0(VALU_DEP_1) | instskip(NEXT) | instid1(VALU_DEP_1)
	v_cvt_u32_f32_e32 v19, v19
	v_mul_lo_u32 v46, s36, v19
	s_delay_alu instid0(VALU_DEP_1) | instskip(NEXT) | instid1(VALU_DEP_1)
	v_mul_hi_u32 v46, v19, v46
	v_add_nc_u32_e32 v19, v19, v46
	s_delay_alu instid0(VALU_DEP_1) | instskip(NEXT) | instid1(VALU_DEP_1)
	v_mul_hi_u32 v19, v28, v19
	v_mul_lo_u32 v46, v19, s34
	s_delay_alu instid0(VALU_DEP_1) | instskip(NEXT) | instid1(VALU_DEP_1)
	v_dual_add_nc_u32 v47, 1, v19 :: v_dual_sub_nc_u32 v46, v28, v46
	v_subrev_nc_u32_e32 v48, s34, v46
	v_cmp_le_u32_e32 vcc_lo, s34, v46
	s_delay_alu instid0(VALU_DEP_2) | instskip(NEXT) | instid1(VALU_DEP_1)
	v_dual_cndmask_b32 v46, v46, v48 :: v_dual_cndmask_b32 v19, v19, v47
	v_cmp_le_u32_e32 vcc_lo, s34, v46
	s_delay_alu instid0(VALU_DEP_2) | instskip(NEXT) | instid1(VALU_DEP_1)
	v_add_nc_u32_e32 v47, 1, v19
	v_dual_cndmask_b32 v46, v19, v47 :: v_dual_mov_b32 v47, v18
	s_branch .LBB26_6
.LBB26_11:
	s_or_b32 exec_lo, exec_lo, s42
	s_get_pc_i64 s[0:1]
	s_add_nc_u64 s[0:1], s[0:1], .str.4@rel64+4
	s_mov_b32 s27, -1
	s_cmp_lg_u64 s[0:1], 0
	s_mov_b32 s0, 0
	s_cselect_b32 s42, -1, 0
	s_mov_b32 s47, 0
	s_mov_b32 s1, exec_lo
	v_cmpx_gt_i64_e64 v[2:3], v[10:11]
	s_cbranch_execz .LBB26_17
; %bb.12:
	s_wait_loadcnt 0x0
	v_lshlrev_b64_e32 v[18:19], 3, v[26:27]
	s_mov_b32 s27, 0
	s_xor_b32 s29, s42, -1
                                        ; implicit-def: $sgpr28
                                        ; implicit-def: $sgpr31
                                        ; implicit-def: $sgpr30
	s_delay_alu instid0(VALU_DEP_1) | instskip(SKIP_1) | instid1(VALU_DEP_2)
	v_lshl_add_u64 v[10:11], v[10:11], 3, v[18:19]
	v_add_nc_u64_e32 v[18:19], s[24:25], v[18:19]
	v_add_nc_u64_e32 v[10:11], s[24:25], v[10:11]
	s_delay_alu instid0(VALU_DEP_2) | instskip(NEXT) | instid1(VALU_DEP_2)
	v_lshl_add_u64 v[2:3], v[2:3], 3, v[18:19]
	v_add_nc_u64_e32 v[10:11], 8, v[10:11]
	s_branch .LBB26_14
.LBB26_13:                              ;   in Loop: Header=BB26_14 Depth=1
	s_or_b32 exec_lo, exec_lo, s34
	s_delay_alu instid0(SALU_CYCLE_1) | instskip(NEXT) | instid1(SALU_CYCLE_1)
	s_and_b32 s34, exec_lo, s31
	s_or_b32 s27, s34, s27
	s_and_not1_b32 s28, s28, exec_lo
	s_and_b32 s34, s30, exec_lo
	s_delay_alu instid0(SALU_CYCLE_1)
	s_or_b32 s28, s28, s34
	s_and_not1_b32 exec_lo, exec_lo, s27
	s_cbranch_execz .LBB26_16
.LBB26_14:                              ; =>This Inner Loop Header: Depth=1
	s_or_b32 s30, s30, exec_lo
	s_or_b32 s31, s31, exec_lo
	s_mov_b32 s34, exec_lo
	s_delay_alu instid0(VALU_DEP_1)
	v_cmpx_lt_u64_e64 v[10:11], v[2:3]
	s_cbranch_execz .LBB26_13
; %bb.15:                               ;   in Loop: Header=BB26_14 Depth=1
	global_load_b128 v[26:29], v[10:11], off offset:-8
	s_wait_xcnt 0x0
	v_add_nc_u64_e32 v[10:11], 8, v[10:11]
	s_and_not1_b32 s31, s31, exec_lo
	s_and_not1_b32 s30, s30, exec_lo
	s_wait_loadcnt 0x0
	v_cmp_ge_i64_e32 vcc_lo, v[26:27], v[28:29]
	s_or_b32 s35, s29, vcc_lo
	s_delay_alu instid0(SALU_CYCLE_1) | instskip(NEXT) | instid1(SALU_CYCLE_1)
	s_and_b32 s35, s35, exec_lo
	s_or_b32 s31, s31, s35
	s_branch .LBB26_13
.LBB26_16:
	s_or_b32 exec_lo, exec_lo, s27
	s_delay_alu instid0(SALU_CYCLE_1)
	s_mov_b32 s47, exec_lo
	s_or_not1_b32 s27, s28, exec_lo
.LBB26_17:
	s_or_b32 exec_lo, exec_lo, s1
	s_mov_b32 s28, 0
	s_mov_b32 s29, 0
	;; [unrolled: 1-line block ×3, first 2 shown]
	s_and_saveexec_b32 s48, s27
	s_cbranch_execz .LBB26_61
; %bb.18:
	s_mov_b32 s0, -1
	s_mov_b32 s1, 0
	s_mov_b32 s27, 0
	;; [unrolled: 1-line block ×3, first 2 shown]
	s_mov_b32 s49, exec_lo
	v_cmpx_eq_u64_e64 v[40:41], v[38:39]
	s_cbranch_execz .LBB26_60
; %bb.19:
	s_mov_b32 s1, -1
	s_mov_b32 s0, 0
	s_mov_b32 s50, exec_lo
	v_cmpx_eq_u64_e64 v[36:37], v[34:35]
	s_cbranch_execz .LBB26_59
; %bb.20:
	v_sub_nc_u64_e32 v[2:3], v[4:5], v[12:13]
	s_delay_alu instid0(VALU_DEP_1) | instskip(SKIP_2) | instid1(SALU_CYCLE_1)
	v_cmp_le_i64_e32 vcc_lo, v[38:39], v[2:3]
	v_cmp_ge_i64_e64 s0, s[2:3], v[2:3]
	s_and_b32 s0, vcc_lo, s0
	s_and_saveexec_b32 s51, s0
	s_cbranch_execz .LBB26_58
; %bb.21:
	v_mov_b64_e32 v[2:3], 0
	s_and_saveexec_b32 s52, s46
	s_cbranch_execz .LBB26_28
; %bb.22:
	s_wait_loadcnt 0x0
	v_mul_u64_e32 v[18:19], v[20:21], v[34:35]
	s_ashr_i32 s27, s26, 31
	v_mov_b64_e32 v[2:3], 0
	s_lshl_b64 s[0:1], s[26:27], 3
	v_mov_b32_e32 v10, 0
	s_add_nc_u64 s[0:1], s[18:19], s[0:1]
	s_mov_b64 s[28:29], 0xffffffff
	s_add_nc_u64 s[30:31], s[0:1], 32
	s_mov_b32 s1, 0
	s_mov_b32 s27, s41
	s_branch .LBB26_24
.LBB26_23:                              ;   in Loop: Header=BB26_24 Depth=1
	s_or_b32 exec_lo, exec_lo, s0
	s_delay_alu instid0(VALU_DEP_1)
	v_mul_u64_e32 v[26:27], s[34:35], v[20:21]
	s_load_b64 s[34:35], s[30:31], 0x40
	s_add_co_i32 s27, s27, -1
	s_wait_xcnt 0x0
	s_add_nc_u64 s[30:31], s[30:31], -8
	s_cmp_lg_u32 s27, 0
	s_delay_alu instid0(VALU_DEP_1) | instskip(SKIP_1) | instid1(VALU_DEP_1)
	v_sub_nc_u64_e32 v[18:19], v[18:19], v[26:27]
	s_wait_kmcnt 0x0
	v_mad_nc_u64_u32 v[2:3], v18, s34, v[2:3]
	s_delay_alu instid0(VALU_DEP_1) | instskip(NEXT) | instid1(VALU_DEP_1)
	v_mad_u32 v3, v19, s34, v3
	v_mad_u32 v3, v18, s35, v3
	v_mov_b64_e32 v[18:19], v[20:21]
	s_cbranch_scc0 .LBB26_28
.LBB26_24:                              ; =>This Inner Loop Header: Depth=1
	s_load_b64 s[34:35], s[30:31], 0x0
                                        ; implicit-def: $vgpr20_vgpr21
	s_mov_b32 s0, exec_lo
	s_wait_kmcnt 0x0
	s_delay_alu instid0(VALU_DEP_1) | instskip(NEXT) | instid1(VALU_DEP_1)
	v_or_b32_e32 v11, s35, v19
	v_cmpx_ne_u64_e32 0, v[10:11]
	s_xor_b32 s53, exec_lo, s0
	s_cbranch_execz .LBB26_26
; %bb.25:                               ;   in Loop: Header=BB26_24 Depth=1
	s_ashr_i32 s36, s35, 31
	v_dual_mov_b32 v29, v10 :: v_dual_ashrrev_i32 v20, 31, v19
	s_mov_b32 s37, s36
	s_delay_alu instid0(SALU_CYCLE_1) | instskip(NEXT) | instid1(VALU_DEP_1)
	s_add_nc_u64 s[38:39], s[34:35], s[36:37]
	v_mov_b32_e32 v21, v20
	s_xor_b64 s[38:39], s[38:39], s[36:37]
	s_delay_alu instid0(SALU_CYCLE_1)
	s_cvt_f32_u32 s0, s38
	s_cvt_f32_u32 s37, s39
	s_sub_nc_u64 s[56:57], 0, s[38:39]
	v_add_nc_u64_e32 v[26:27], v[18:19], v[20:21]
	v_mov_b32_e32 v41, v10
	s_fmamk_f32 s0, s37, 0x4f800000, s0
	s_delay_alu instid0(SALU_CYCLE_3) | instskip(NEXT) | instid1(VALU_DEP_2)
	v_s_rcp_f32 s0, s0
	v_xor_b32_e32 v28, v26, v20
	s_delay_alu instid0(VALU_DEP_3) | instskip(SKIP_1) | instid1(TRANS32_DEP_1)
	v_dual_mov_b32 v49, v10 :: v_dual_bitop2_b32 v40, v27, v20 bitop3:0x14
	v_xor_b32_e32 v20, s36, v20
	s_mul_f32 s0, s0, 0x5f7ffffc
	s_delay_alu instid0(SALU_CYCLE_3) | instskip(NEXT) | instid1(SALU_CYCLE_3)
	s_mul_f32 s37, s0, 0x2f800000
	s_trunc_f32 s37, s37
	s_delay_alu instid0(SALU_CYCLE_3) | instskip(SKIP_1) | instid1(SALU_CYCLE_2)
	s_fmamk_f32 s0, s37, 0xcf800000, s0
	s_cvt_u32_f32 s55, s37
	s_cvt_u32_f32 s54, s0
	s_delay_alu instid0(SALU_CYCLE_3) | instskip(NEXT) | instid1(SALU_CYCLE_1)
	s_mul_u64 s[58:59], s[56:57], s[54:55]
	s_mul_hi_u32 s61, s54, s59
	s_mul_i32 s60, s54, s59
	s_mul_hi_u32 s0, s54, s58
	s_mul_i32 s62, s55, s58
	s_add_nc_u64 s[60:61], s[0:1], s[60:61]
	s_mul_hi_u32 s37, s55, s58
	s_mul_hi_u32 s63, s55, s59
	s_add_co_u32 s0, s60, s62
	s_add_co_ci_u32 s0, s61, s37
	s_mul_i32 s58, s55, s59
	s_add_co_ci_u32 s59, s63, 0
	s_delay_alu instid0(SALU_CYCLE_1) | instskip(NEXT) | instid1(SALU_CYCLE_1)
	s_add_nc_u64 s[58:59], s[0:1], s[58:59]
	s_add_co_u32 s54, s54, s58
	s_cselect_b32 s0, -1, 0
	s_delay_alu instid0(SALU_CYCLE_1) | instskip(SKIP_1) | instid1(SALU_CYCLE_1)
	s_cmp_lg_u32 s0, 0
	s_add_co_ci_u32 s55, s55, s59
	s_mul_u64 s[56:57], s[56:57], s[54:55]
	s_delay_alu instid0(SALU_CYCLE_1)
	s_mul_hi_u32 s59, s54, s57
	s_mul_i32 s58, s54, s57
	s_mul_hi_u32 s0, s54, s56
	s_mul_i32 s60, s55, s56
	s_add_nc_u64 s[58:59], s[0:1], s[58:59]
	s_mul_hi_u32 s37, s55, s56
	s_mul_hi_u32 s61, s55, s57
	s_add_co_u32 s0, s58, s60
	s_add_co_ci_u32 s0, s59, s37
	s_mul_i32 s56, s55, s57
	s_add_co_ci_u32 s57, s61, 0
	s_delay_alu instid0(SALU_CYCLE_1) | instskip(NEXT) | instid1(SALU_CYCLE_1)
	s_add_nc_u64 s[56:57], s[0:1], s[56:57]
	s_add_co_u32 s54, s54, s56
	s_cselect_b32 s0, -1, 0
	v_mul_hi_u32 v48, v28, s54
	s_cmp_lg_u32 s0, 0
	s_add_co_ci_u32 s0, s55, s57
	s_and_b64 s[56:57], s[54:55], s[28:29]
	v_mul_u64_e32 v[36:37], s[0:1], v[28:29]
	v_mul_u64_e32 v[26:27], s[56:57], v[40:41]
	;; [unrolled: 1-line block ×3, first 2 shown]
	s_delay_alu instid0(VALU_DEP_3) | instskip(NEXT) | instid1(VALU_DEP_1)
	v_add_nc_u64_e32 v[36:37], v[48:49], v[36:37]
	v_add_co_u32 v11, vcc_lo, v36, v26
	s_delay_alu instid0(VALU_DEP_2) | instskip(NEXT) | instid1(VALU_DEP_4)
	v_add_co_ci_u32_e32 v48, vcc_lo, v37, v27, vcc_lo
	v_add_co_ci_u32_e32 v47, vcc_lo, 0, v47, vcc_lo
	s_delay_alu instid0(VALU_DEP_1) | instskip(NEXT) | instid1(VALU_DEP_1)
	v_add_nc_u64_e32 v[26:27], v[48:49], v[46:47]
	v_mul_u64_e32 v[36:37], s[38:39], v[26:27]
	s_delay_alu instid0(VALU_DEP_1) | instskip(NEXT) | instid1(VALU_DEP_2)
	v_sub_nc_u32_e32 v11, v40, v37
	v_sub_co_u32 v21, vcc_lo, v28, v36
	s_delay_alu instid0(VALU_DEP_1) | instskip(NEXT) | instid1(VALU_DEP_3)
	v_sub_co_ci_u32_e64 v40, null, v40, v37, vcc_lo
	v_subrev_co_ci_u32_e64 v11, null, s39, v11, vcc_lo
	s_delay_alu instid0(VALU_DEP_3) | instskip(SKIP_1) | instid1(VALU_DEP_3)
	v_sub_co_u32 v28, s0, v21, s38
	v_add_nc_u64_e32 v[36:37], 1, v[26:27]
	v_subrev_co_ci_u32_e64 v11, null, 0, v11, s0
	s_delay_alu instid0(VALU_DEP_3) | instskip(SKIP_1) | instid1(VALU_DEP_3)
	v_cmp_le_u32_e32 vcc_lo, s38, v28
	v_cndmask_b32_e64 v28, 0, -1, vcc_lo
	v_cmp_le_u32_e32 vcc_lo, s39, v11
	v_cndmask_b32_e64 v29, 0, -1, vcc_lo
	;; [unrolled: 2-line block ×4, first 2 shown]
	v_cmp_eq_u32_e32 vcc_lo, s39, v11
	v_cndmask_b32_e32 v11, v29, v28, vcc_lo
	v_cmp_eq_u32_e32 vcc_lo, s39, v40
	v_add_nc_u64_e32 v[28:29], 2, v[26:27]
	v_cndmask_b32_e32 v21, v41, v21, vcc_lo
	s_delay_alu instid0(VALU_DEP_4) | instskip(NEXT) | instid1(VALU_DEP_2)
	v_cmp_ne_u32_e32 vcc_lo, 0, v11
	v_cmp_ne_u32_e64 s0, 0, v21
	s_delay_alu instid0(VALU_DEP_4) | instskip(NEXT) | instid1(VALU_DEP_1)
	v_dual_cndmask_b32 v11, v37, v29, vcc_lo :: v_dual_cndmask_b32 v21, v36, v28, vcc_lo
	v_dual_cndmask_b32 v26, v26, v21, s0 :: v_dual_mov_b32 v21, v20
	s_delay_alu instid0(VALU_DEP_1) | instskip(NEXT) | instid1(VALU_DEP_1)
	v_dual_cndmask_b32 v11, v27, v11, s0 :: v_dual_bitop2_b32 v26, v26, v20 bitop3:0x14
	v_xor_b32_e32 v27, v11, v20
	s_delay_alu instid0(VALU_DEP_1)
	v_sub_nc_u64_e32 v[20:21], v[26:27], v[20:21]
.LBB26_26:                              ;   in Loop: Header=BB26_24 Depth=1
	s_and_not1_saveexec_b32 s0, s53
	s_cbranch_execz .LBB26_23
; %bb.27:                               ;   in Loop: Header=BB26_24 Depth=1
	v_cvt_f32_u32_e32 v11, s34
	s_sub_co_i32 s36, 0, s34
	s_delay_alu instid0(VALU_DEP_1) | instskip(SKIP_1) | instid1(TRANS32_DEP_1)
	v_rcp_iflag_f32_e32 v11, v11
	v_nop
	v_mul_f32_e32 v11, 0x4f7ffffe, v11
	s_delay_alu instid0(VALU_DEP_1) | instskip(NEXT) | instid1(VALU_DEP_1)
	v_cvt_u32_f32_e32 v11, v11
	v_mul_lo_u32 v20, s36, v11
	s_delay_alu instid0(VALU_DEP_1) | instskip(NEXT) | instid1(VALU_DEP_1)
	v_mul_hi_u32 v20, v11, v20
	v_add_nc_u32_e32 v11, v11, v20
	s_delay_alu instid0(VALU_DEP_1) | instskip(NEXT) | instid1(VALU_DEP_1)
	v_mul_hi_u32 v11, v18, v11
	v_mul_lo_u32 v20, v11, s34
	s_delay_alu instid0(VALU_DEP_1) | instskip(NEXT) | instid1(VALU_DEP_1)
	v_dual_add_nc_u32 v21, 1, v11 :: v_dual_sub_nc_u32 v20, v18, v20
	v_subrev_nc_u32_e32 v26, s34, v20
	v_cmp_le_u32_e32 vcc_lo, s34, v20
	s_delay_alu instid0(VALU_DEP_2) | instskip(NEXT) | instid1(VALU_DEP_1)
	v_dual_cndmask_b32 v20, v20, v26 :: v_dual_cndmask_b32 v11, v11, v21
	v_cmp_le_u32_e32 vcc_lo, s34, v20
	s_delay_alu instid0(VALU_DEP_2) | instskip(NEXT) | instid1(VALU_DEP_1)
	v_add_nc_u32_e32 v21, 1, v11
	v_dual_cndmask_b32 v20, v11, v21 :: v_dual_mov_b32 v21, v10
	s_branch .LBB26_23
.LBB26_28:
	s_or_b32 exec_lo, exec_lo, s52
	s_mov_b32 s30, -1
	s_mov_b32 s0, 0
	s_mov_b32 s52, 0
	s_mov_b32 s1, exec_lo
	v_cmpx_gt_i64_e64 v[4:5], v[12:13]
	s_cbranch_execz .LBB26_34
; %bb.29:
	s_delay_alu instid0(VALU_DEP_2) | instskip(SKIP_2) | instid1(VALU_DEP_1)
	v_lshlrev_b64_e32 v[2:3], 3, v[2:3]
	s_mov_b32 s27, 0
	s_xor_b32 s29, s42, -1
                                        ; implicit-def: $sgpr28
                                        ; implicit-def: $sgpr31
                                        ; implicit-def: $sgpr30
	v_lshl_add_u64 v[10:11], v[12:13], 3, v[2:3]
	v_add_nc_u64_e32 v[12:13], s[24:25], v[2:3]
	s_delay_alu instid0(VALU_DEP_2) | instskip(NEXT) | instid1(VALU_DEP_2)
	v_add_nc_u64_e32 v[10:11], s[24:25], v[10:11]
	v_lshl_add_u64 v[4:5], v[4:5], 3, v[12:13]
	s_delay_alu instid0(VALU_DEP_2)
	v_add_nc_u64_e32 v[2:3], 8, v[10:11]
	s_branch .LBB26_31
.LBB26_30:                              ;   in Loop: Header=BB26_31 Depth=1
	s_or_b32 exec_lo, exec_lo, s34
	s_delay_alu instid0(SALU_CYCLE_1) | instskip(NEXT) | instid1(SALU_CYCLE_1)
	s_and_b32 s34, exec_lo, s31
	s_or_b32 s27, s34, s27
	s_and_not1_b32 s28, s28, exec_lo
	s_and_b32 s34, s30, exec_lo
	s_delay_alu instid0(SALU_CYCLE_1)
	s_or_b32 s28, s28, s34
	s_and_not1_b32 exec_lo, exec_lo, s27
	s_cbranch_execz .LBB26_33
.LBB26_31:                              ; =>This Inner Loop Header: Depth=1
	s_or_b32 s30, s30, exec_lo
	s_or_b32 s31, s31, exec_lo
	s_mov_b32 s34, exec_lo
	s_delay_alu instid0(VALU_DEP_1)
	v_cmpx_lt_u64_e64 v[2:3], v[4:5]
	s_cbranch_execz .LBB26_30
; %bb.32:                               ;   in Loop: Header=BB26_31 Depth=1
	global_load_b128 v[10:13], v[2:3], off offset:-8
	s_and_not1_b32 s31, s31, exec_lo
	s_wait_xcnt 0x0
	v_add_nc_u64_e32 v[2:3], 8, v[2:3]
	s_and_not1_b32 s30, s30, exec_lo
	s_wait_loadcnt 0x0
	v_cmp_ge_i64_e32 vcc_lo, v[10:11], v[12:13]
	s_or_b32 s35, s29, vcc_lo
	s_delay_alu instid0(SALU_CYCLE_1) | instskip(NEXT) | instid1(SALU_CYCLE_1)
	s_and_b32 s35, s35, exec_lo
	s_or_b32 s31, s31, s35
	s_branch .LBB26_30
.LBB26_33:
	s_or_b32 exec_lo, exec_lo, s27
	s_delay_alu instid0(SALU_CYCLE_1)
	s_mov_b32 s52, exec_lo
	s_or_not1_b32 s30, s28, exec_lo
.LBB26_34:
	s_or_b32 exec_lo, exec_lo, s1
	s_mov_b32 s27, 0
	s_mov_b32 s28, 0
	;; [unrolled: 1-line block ×3, first 2 shown]
	s_and_saveexec_b32 s53, s30
	s_cbranch_execz .LBB26_57
; %bb.35:
	s_mov_b32 s0, -1
	s_mov_b32 s1, 0
	s_mov_b32 s30, 0
	s_mov_b32 s54, exec_lo
	v_cmpx_eq_u64_e64 v[42:43], v[38:39]
	s_cbranch_execz .LBB26_56
; %bb.36:
	s_mov_b32 s1, -1
	s_mov_b32 s0, 0
	s_mov_b32 s55, exec_lo
	v_cmpx_eq_u64_e64 v[30:31], v[34:35]
	s_cbranch_execz .LBB26_55
; %bb.37:
	s_wait_loadcnt 0x2
	v_sub_nc_u64_e32 v[2:3], v[6:7], v[14:15]
	s_delay_alu instid0(VALU_DEP_1) | instskip(SKIP_2) | instid1(SALU_CYCLE_1)
	v_cmp_le_i64_e32 vcc_lo, v[38:39], v[2:3]
	v_cmp_ge_i64_e64 s0, s[2:3], v[2:3]
	s_and_b32 s0, vcc_lo, s0
	s_and_saveexec_b32 s56, s0
	s_cbranch_execz .LBB26_54
; %bb.38:
	v_mov_b64_e32 v[2:3], 0
	s_and_saveexec_b32 s57, s46
	s_cbranch_execz .LBB26_45
; %bb.39:
	s_wait_loadcnt 0x1
	v_mul_u64_e32 v[10:11], v[22:23], v[34:35]
	s_ashr_i32 s27, s26, 31
	v_mov_b64_e32 v[2:3], 0
	s_lshl_b64 s[0:1], s[26:27], 3
	v_mov_b32_e32 v4, 0
	s_add_nc_u64 s[0:1], s[18:19], s[0:1]
	s_mov_b64 s[28:29], 0xffffffff
	s_add_nc_u64 s[30:31], s[0:1], 32
	s_mov_b32 s1, 0
	s_mov_b32 s27, s41
	s_branch .LBB26_41
.LBB26_40:                              ;   in Loop: Header=BB26_41 Depth=1
	s_or_b32 exec_lo, exec_lo, s0
	s_wait_loadcnt 0x0
	s_delay_alu instid0(VALU_DEP_1)
	v_mul_u64_e32 v[18:19], s[34:35], v[12:13]
	s_load_b64 s[34:35], s[30:31], 0x40
	s_add_co_i32 s27, s27, -1
	s_wait_xcnt 0x0
	s_add_nc_u64 s[30:31], s[30:31], -8
	s_cmp_lg_u32 s27, 0
	s_delay_alu instid0(VALU_DEP_1) | instskip(SKIP_1) | instid1(VALU_DEP_1)
	v_sub_nc_u64_e32 v[10:11], v[10:11], v[18:19]
	s_wait_kmcnt 0x0
	v_mad_nc_u64_u32 v[2:3], v10, s34, v[2:3]
	s_delay_alu instid0(VALU_DEP_1) | instskip(NEXT) | instid1(VALU_DEP_1)
	v_mad_u32 v3, v11, s34, v3
	v_mad_u32 v3, v10, s35, v3
	v_mov_b64_e32 v[10:11], v[12:13]
	s_cbranch_scc0 .LBB26_45
.LBB26_41:                              ; =>This Inner Loop Header: Depth=1
	s_load_b64 s[34:35], s[30:31], 0x0
                                        ; implicit-def: $vgpr12_vgpr13
	s_mov_b32 s0, exec_lo
	s_wait_kmcnt 0x0
	s_delay_alu instid0(VALU_DEP_1) | instskip(NEXT) | instid1(VALU_DEP_1)
	v_or_b32_e32 v5, s35, v11
	v_cmpx_ne_u64_e32 0, v[4:5]
	s_xor_b32 s58, exec_lo, s0
	s_cbranch_execz .LBB26_43
; %bb.42:                               ;   in Loop: Header=BB26_41 Depth=1
	s_ashr_i32 s36, s35, 31
	s_wait_loadcnt 0x0
	v_dual_mov_b32 v21, v4 :: v_dual_ashrrev_i32 v12, 31, v11
	s_mov_b32 s37, s36
	s_delay_alu instid0(SALU_CYCLE_1) | instskip(NEXT) | instid1(VALU_DEP_1)
	s_add_nc_u64 s[38:39], s[34:35], s[36:37]
	v_mov_b32_e32 v13, v12
	s_xor_b64 s[38:39], s[38:39], s[36:37]
	s_delay_alu instid0(SALU_CYCLE_1)
	s_cvt_f32_u32 s0, s38
	s_cvt_f32_u32 s37, s39
	s_sub_nc_u64 s[62:63], 0, s[38:39]
	v_add_nc_u64_e32 v[18:19], v[10:11], v[12:13]
	v_mov_b32_e32 v27, v4
	s_fmamk_f32 s0, s37, 0x4f800000, s0
	s_delay_alu instid0(SALU_CYCLE_3) | instskip(NEXT) | instid1(VALU_DEP_2)
	v_s_rcp_f32 s0, s0
	v_xor_b32_e32 v20, v18, v12
	s_delay_alu instid0(VALU_DEP_3) | instskip(NEXT) | instid1(TRANS32_DEP_1)
	v_dual_mov_b32 v31, v4 :: v_dual_bitop2_b32 v26, v19, v12 bitop3:0x14
	s_mul_f32 s0, s0, 0x5f7ffffc
	s_delay_alu instid0(SALU_CYCLE_3) | instskip(NEXT) | instid1(SALU_CYCLE_3)
	s_mul_f32 s37, s0, 0x2f800000
	s_trunc_f32 s37, s37
	s_delay_alu instid0(SALU_CYCLE_3) | instskip(SKIP_1) | instid1(SALU_CYCLE_2)
	s_fmamk_f32 s0, s37, 0xcf800000, s0
	s_cvt_u32_f32 s61, s37
	s_cvt_u32_f32 s60, s0
	s_delay_alu instid0(SALU_CYCLE_3) | instskip(NEXT) | instid1(SALU_CYCLE_1)
	s_mul_u64 s[64:65], s[62:63], s[60:61]
	s_mul_hi_u32 s67, s60, s65
	s_mul_i32 s66, s60, s65
	s_mul_hi_u32 s0, s60, s64
	s_mul_i32 s59, s61, s64
	s_add_nc_u64 s[66:67], s[0:1], s[66:67]
	s_mul_hi_u32 s37, s61, s64
	s_mul_hi_u32 s68, s61, s65
	s_add_co_u32 s0, s66, s59
	s_add_co_ci_u32 s0, s67, s37
	s_mul_i32 s64, s61, s65
	s_add_co_ci_u32 s65, s68, 0
	s_delay_alu instid0(SALU_CYCLE_1) | instskip(NEXT) | instid1(SALU_CYCLE_1)
	s_add_nc_u64 s[64:65], s[0:1], s[64:65]
	s_add_co_u32 s60, s60, s64
	s_cselect_b32 s0, -1, 0
	s_delay_alu instid0(SALU_CYCLE_1) | instskip(SKIP_1) | instid1(SALU_CYCLE_1)
	s_cmp_lg_u32 s0, 0
	s_add_co_ci_u32 s61, s61, s65
	s_mul_u64 s[62:63], s[62:63], s[60:61]
	s_delay_alu instid0(SALU_CYCLE_1)
	s_mul_hi_u32 s65, s60, s63
	s_mul_i32 s64, s60, s63
	s_mul_hi_u32 s0, s60, s62
	s_mul_i32 s59, s61, s62
	s_add_nc_u64 s[64:65], s[0:1], s[64:65]
	s_mul_hi_u32 s37, s61, s62
	s_mul_hi_u32 s66, s61, s63
	s_add_co_u32 s0, s64, s59
	s_add_co_ci_u32 s0, s65, s37
	s_mul_i32 s62, s61, s63
	s_add_co_ci_u32 s63, s66, 0
	s_delay_alu instid0(SALU_CYCLE_1) | instskip(NEXT) | instid1(SALU_CYCLE_1)
	s_add_nc_u64 s[62:63], s[0:1], s[62:63]
	s_add_co_u32 s60, s60, s62
	s_cselect_b32 s0, -1, 0
	v_mul_hi_u32 v30, v20, s60
	s_cmp_lg_u32 s0, 0
	s_add_co_ci_u32 s0, s61, s63
	s_and_b64 s[62:63], s[60:61], s[28:29]
	v_mul_u64_e32 v[22:23], s[0:1], v[20:21]
	v_mul_u64_e32 v[18:19], s[62:63], v[26:27]
	;; [unrolled: 1-line block ×3, first 2 shown]
	s_delay_alu instid0(VALU_DEP_3) | instskip(NEXT) | instid1(VALU_DEP_1)
	v_add_nc_u64_e32 v[22:23], v[30:31], v[22:23]
	v_add_co_u32 v5, vcc_lo, v22, v18
	s_delay_alu instid0(VALU_DEP_2) | instskip(NEXT) | instid1(VALU_DEP_4)
	v_add_co_ci_u32_e32 v30, vcc_lo, v23, v19, vcc_lo
	v_add_co_ci_u32_e32 v29, vcc_lo, 0, v29, vcc_lo
	s_delay_alu instid0(VALU_DEP_1) | instskip(NEXT) | instid1(VALU_DEP_1)
	v_add_nc_u64_e32 v[18:19], v[30:31], v[28:29]
	v_mul_u64_e32 v[22:23], s[38:39], v[18:19]
	s_delay_alu instid0(VALU_DEP_1) | instskip(NEXT) | instid1(VALU_DEP_2)
	v_sub_nc_u32_e32 v5, v26, v23
	v_sub_co_u32 v13, vcc_lo, v20, v22
	s_delay_alu instid0(VALU_DEP_1) | instskip(NEXT) | instid1(VALU_DEP_3)
	v_sub_co_ci_u32_e64 v26, null, v26, v23, vcc_lo
	v_subrev_co_ci_u32_e64 v5, null, s39, v5, vcc_lo
	s_delay_alu instid0(VALU_DEP_3) | instskip(SKIP_1) | instid1(VALU_DEP_3)
	v_sub_co_u32 v20, s0, v13, s38
	v_add_nc_u64_e32 v[22:23], 1, v[18:19]
	v_subrev_co_ci_u32_e64 v5, null, 0, v5, s0
	s_delay_alu instid0(VALU_DEP_3) | instskip(SKIP_1) | instid1(VALU_DEP_3)
	v_cmp_le_u32_e32 vcc_lo, s38, v20
	v_cndmask_b32_e64 v20, 0, -1, vcc_lo
	v_cmp_le_u32_e32 vcc_lo, s39, v5
	v_cndmask_b32_e64 v21, 0, -1, vcc_lo
	;; [unrolled: 2-line block ×4, first 2 shown]
	v_cmp_eq_u32_e32 vcc_lo, s39, v5
	v_cndmask_b32_e32 v5, v21, v20, vcc_lo
	v_cmp_eq_u32_e32 vcc_lo, s39, v26
	v_add_nc_u64_e32 v[20:21], 2, v[18:19]
	v_cndmask_b32_e32 v13, v27, v13, vcc_lo
	s_delay_alu instid0(VALU_DEP_4) | instskip(NEXT) | instid1(VALU_DEP_2)
	v_cmp_ne_u32_e32 vcc_lo, 0, v5
	v_cmp_ne_u32_e64 s0, 0, v13
	s_delay_alu instid0(VALU_DEP_4) | instskip(NEXT) | instid1(VALU_DEP_1)
	v_dual_cndmask_b32 v5, v23, v21, vcc_lo :: v_dual_cndmask_b32 v13, v22, v20, vcc_lo
	v_dual_cndmask_b32 v5, v19, v5, s0 :: v_dual_bitop2_b32 v12, s36, v12 bitop3:0x14
	s_delay_alu instid0(VALU_DEP_1) | instskip(NEXT) | instid1(VALU_DEP_2)
	v_dual_cndmask_b32 v18, v18, v13, s0 :: v_dual_mov_b32 v13, v12
	v_xor_b32_e32 v19, v5, v12
	s_delay_alu instid0(VALU_DEP_2) | instskip(NEXT) | instid1(VALU_DEP_1)
	v_xor_b32_e32 v18, v18, v12
	v_sub_nc_u64_e32 v[12:13], v[18:19], v[12:13]
.LBB26_43:                              ;   in Loop: Header=BB26_41 Depth=1
	s_and_not1_saveexec_b32 s0, s58
	s_cbranch_execz .LBB26_40
; %bb.44:                               ;   in Loop: Header=BB26_41 Depth=1
	v_cvt_f32_u32_e32 v5, s34
	s_sub_co_i32 s36, 0, s34
	s_delay_alu instid0(VALU_DEP_1) | instskip(SKIP_1) | instid1(TRANS32_DEP_1)
	v_rcp_iflag_f32_e32 v5, v5
	v_nop
	v_mul_f32_e32 v5, 0x4f7ffffe, v5
	s_delay_alu instid0(VALU_DEP_1) | instskip(NEXT) | instid1(VALU_DEP_1)
	v_cvt_u32_f32_e32 v5, v5
	v_mul_lo_u32 v12, s36, v5
	s_delay_alu instid0(VALU_DEP_1) | instskip(NEXT) | instid1(VALU_DEP_1)
	v_mul_hi_u32 v12, v5, v12
	v_add_nc_u32_e32 v5, v5, v12
	s_delay_alu instid0(VALU_DEP_1) | instskip(NEXT) | instid1(VALU_DEP_1)
	v_mul_hi_u32 v5, v10, v5
	v_mul_lo_u32 v12, v5, s34
	s_delay_alu instid0(VALU_DEP_1) | instskip(SKIP_1) | instid1(VALU_DEP_1)
	v_dual_add_nc_u32 v13, 1, v5 :: v_dual_sub_nc_u32 v12, v10, v12
	s_wait_loadcnt 0x0
	v_subrev_nc_u32_e32 v18, s34, v12
	v_cmp_le_u32_e32 vcc_lo, s34, v12
	s_delay_alu instid0(VALU_DEP_2) | instskip(NEXT) | instid1(VALU_DEP_1)
	v_dual_cndmask_b32 v12, v12, v18 :: v_dual_cndmask_b32 v5, v5, v13
	v_cmp_le_u32_e32 vcc_lo, s34, v12
	s_delay_alu instid0(VALU_DEP_2) | instskip(NEXT) | instid1(VALU_DEP_1)
	v_add_nc_u32_e32 v13, 1, v5
	v_dual_cndmask_b32 v12, v5, v13 :: v_dual_mov_b32 v13, v4
	s_branch .LBB26_40
.LBB26_45:
	s_or_b32 exec_lo, exec_lo, s57
	s_mov_b32 s29, -1
	s_mov_b32 s0, 0
	s_mov_b32 s27, 0
	s_mov_b32 s1, exec_lo
	v_cmpx_gt_i64_e64 v[6:7], v[14:15]
	s_cbranch_execz .LBB26_51
; %bb.46:
	s_delay_alu instid0(VALU_DEP_2) | instskip(SKIP_1) | instid1(VALU_DEP_1)
	v_lshlrev_b64_e32 v[2:3], 3, v[2:3]
	s_xor_b32 s29, s42, -1
                                        ; implicit-def: $sgpr28
                                        ; implicit-def: $sgpr31
                                        ; implicit-def: $sgpr30
	v_lshl_add_u64 v[4:5], v[14:15], 3, v[2:3]
	v_add_nc_u64_e32 v[10:11], s[24:25], v[2:3]
	s_delay_alu instid0(VALU_DEP_2) | instskip(NEXT) | instid1(VALU_DEP_1)
	v_add_nc_u64_e32 v[4:5], s[24:25], v[4:5]
	v_add_nc_u64_e32 v[2:3], 8, v[4:5]
	s_delay_alu instid0(VALU_DEP_3)
	v_lshl_add_u64 v[4:5], v[6:7], 3, v[10:11]
	s_branch .LBB26_48
.LBB26_47:                              ;   in Loop: Header=BB26_48 Depth=1
	s_or_b32 exec_lo, exec_lo, s34
	s_delay_alu instid0(SALU_CYCLE_1) | instskip(NEXT) | instid1(SALU_CYCLE_1)
	s_and_b32 s34, exec_lo, s31
	s_or_b32 s27, s34, s27
	s_and_not1_b32 s28, s28, exec_lo
	s_and_b32 s34, s30, exec_lo
	s_delay_alu instid0(SALU_CYCLE_1)
	s_or_b32 s28, s28, s34
	s_and_not1_b32 exec_lo, exec_lo, s27
	s_cbranch_execz .LBB26_50
.LBB26_48:                              ; =>This Inner Loop Header: Depth=1
	s_or_b32 s30, s30, exec_lo
	s_or_b32 s31, s31, exec_lo
	s_mov_b32 s34, exec_lo
	s_delay_alu instid0(VALU_DEP_2)
	v_cmpx_lt_u64_e64 v[2:3], v[4:5]
	s_cbranch_execz .LBB26_47
; %bb.49:                               ;   in Loop: Header=BB26_48 Depth=1
	global_load_b128 v[10:13], v[2:3], off offset:-8
	s_and_not1_b32 s31, s31, exec_lo
	s_wait_xcnt 0x0
	v_add_nc_u64_e32 v[2:3], 8, v[2:3]
	s_and_not1_b32 s30, s30, exec_lo
	s_wait_loadcnt 0x0
	v_cmp_ge_i64_e32 vcc_lo, v[10:11], v[12:13]
	s_or_b32 s35, s29, vcc_lo
	s_delay_alu instid0(SALU_CYCLE_1) | instskip(NEXT) | instid1(SALU_CYCLE_1)
	s_and_b32 s35, s35, exec_lo
	s_or_b32 s31, s31, s35
	s_branch .LBB26_47
.LBB26_50:
	s_or_b32 exec_lo, exec_lo, s27
	s_delay_alu instid0(SALU_CYCLE_1)
	s_mov_b32 s27, exec_lo
	s_or_not1_b32 s29, s28, exec_lo
.LBB26_51:
	s_or_b32 exec_lo, exec_lo, s1
	s_mov_b32 s28, 0
	s_and_saveexec_b32 s1, s29
	s_delay_alu instid0(SALU_CYCLE_1)
	s_xor_b32 s1, exec_lo, s1
; %bb.52:
	v_cmp_ne_u64_e32 vcc_lo, v[44:45], v[38:39]
	s_mov_b32 s28, exec_lo
	s_and_not1_b32 s27, s27, exec_lo
	s_and_b32 s0, vcc_lo, exec_lo
; %bb.53:
	s_or_b32 exec_lo, exec_lo, s1
	s_delay_alu instid0(SALU_CYCLE_1)
	s_and_b32 s29, s27, exec_lo
	s_xor_b32 s1, exec_lo, -1
	s_and_b32 s27, s28, exec_lo
	s_and_b32 s28, s0, exec_lo
.LBB26_54:
	s_or_b32 exec_lo, exec_lo, s56
	s_delay_alu instid0(SALU_CYCLE_1)
	s_and_b32 s30, s29, exec_lo
	s_and_b32 s29, s1, exec_lo
	s_xor_b32 s1, exec_lo, -1
	s_and_b32 s27, s27, exec_lo
	s_and_b32 s0, s28, exec_lo
.LBB26_55:
	s_or_b32 exec_lo, exec_lo, s55
	s_delay_alu instid0(SALU_CYCLE_1)
	s_and_b32 s30, s30, exec_lo
	s_and_b32 s29, s29, exec_lo
	;; [unrolled: 1-line block ×4, first 2 shown]
	s_or_not1_b32 s0, s0, exec_lo
.LBB26_56:
	s_or_b32 exec_lo, exec_lo, s54
	s_delay_alu instid0(SALU_CYCLE_1)
	s_and_not1_b32 s27, s52, exec_lo
	s_and_b32 s30, s30, exec_lo
	s_and_b32 s29, s29, exec_lo
	s_or_b32 s52, s27, s30
	s_and_b32 s28, s28, exec_lo
	s_and_b32 s27, s1, exec_lo
	;; [unrolled: 1-line block ×3, first 2 shown]
.LBB26_57:
	s_or_b32 exec_lo, exec_lo, s53
	s_delay_alu instid0(SALU_CYCLE_1)
	s_and_b32 s30, s52, exec_lo
	s_or_not1_b32 s1, s29, exec_lo
	s_and_b32 s29, s28, exec_lo
	s_and_b32 s28, s27, exec_lo
	;; [unrolled: 1-line block ×3, first 2 shown]
.LBB26_58:
	s_or_b32 exec_lo, exec_lo, s51
	s_delay_alu instid0(SALU_CYCLE_1)
	s_and_b32 s30, s30, exec_lo
	s_and_b32 s31, s1, exec_lo
	s_or_not1_b32 s1, s29, exec_lo
	s_and_b32 s28, s28, exec_lo
	s_and_b32 s0, s27, exec_lo
.LBB26_59:
	s_or_b32 exec_lo, exec_lo, s50
	s_delay_alu instid0(SALU_CYCLE_1)
	s_and_b32 s30, s30, exec_lo
	s_and_b32 s29, s31, exec_lo
	;; [unrolled: 1-line block ×4, first 2 shown]
	s_or_not1_b32 s0, s0, exec_lo
.LBB26_60:
	s_or_b32 exec_lo, exec_lo, s49
	s_delay_alu instid0(SALU_CYCLE_1)
	s_and_not1_b32 s28, s47, exec_lo
	s_and_b32 s30, s30, exec_lo
	s_and_b32 s31, s29, exec_lo
	s_or_b32 s47, s28, s30
	s_and_b32 s29, s27, exec_lo
	s_and_b32 s28, s1, exec_lo
	s_and_b32 s0, s0, exec_lo
.LBB26_61:
	s_or_b32 exec_lo, exec_lo, s48
	s_delay_alu instid0(SALU_CYCLE_1)
	s_and_b32 s30, s46, exec_lo
	s_and_b32 s27, s47, exec_lo
	s_or_not1_b32 s1, s31, exec_lo
	s_and_b32 s34, s29, exec_lo
	s_and_b32 s28, s28, exec_lo
	s_and_b32 s29, s0, exec_lo
.LBB26_62:
	s_or_b32 exec_lo, exec_lo, s45
	s_delay_alu instid0(SALU_CYCLE_1)
	s_and_b32 s31, s30, exec_lo
	s_and_b32 s30, s27, exec_lo
	;; [unrolled: 1-line block ×3, first 2 shown]
	s_or_not1_b32 s0, s34, exec_lo
	s_and_b32 s28, s28, exec_lo
	s_and_b32 s29, s29, exec_lo
.LBB26_63:
	s_or_b32 exec_lo, exec_lo, s44
	s_delay_alu instid0(SALU_CYCLE_1)
	s_and_b32 s1, s31, exec_lo
	s_and_b32 s36, s30, exec_lo
	;; [unrolled: 1-line block ×5, first 2 shown]
	s_or_not1_b32 s29, s29, exec_lo
.LBB26_64:
	s_or_b32 exec_lo, exec_lo, s43
	s_and_saveexec_b32 s30, s29
	s_cbranch_execnz .LBB26_211
.LBB26_65:
	s_or_b32 exec_lo, exec_lo, s30
	s_mov_b32 s29, 0
	s_and_saveexec_b32 s30, s28
	s_delay_alu instid0(SALU_CYCLE_1)
	s_xor_b32 s28, exec_lo, s30
	s_cbranch_execz .LBB26_67
; %bb.66:
	s_wait_loadcnt 0x0
	v_cmp_ne_u64_e32 vcc_lo, v[32:33], v[34:35]
	s_and_not1_b32 s0, s0, exec_lo
	s_mov_b32 s29, exec_lo
	s_and_b32 s30, vcc_lo, exec_lo
	s_delay_alu instid0(SALU_CYCLE_1)
	s_or_b32 s0, s0, s30
.LBB26_67:
	s_or_b32 exec_lo, exec_lo, s28
	s_and_saveexec_b32 s28, s0
	s_cbranch_execnz .LBB26_212
.LBB26_68:
	s_or_b32 exec_lo, exec_lo, s28
	s_mov_b32 s28, 0
	s_and_saveexec_b32 s0, s29
	s_delay_alu instid0(SALU_CYCLE_1)
	s_xor_b32 s29, exec_lo, s0
	s_cbranch_execnz .LBB26_104
; %bb.69:
	s_or_b32 exec_lo, exec_lo, s29
	s_and_saveexec_b32 s0, s27
	s_cbranch_execnz .LBB26_105
.LBB26_70:
	s_or_b32 exec_lo, exec_lo, s0
	s_mov_b32 s0, 0
	s_and_saveexec_b32 s37, s28
	s_cbranch_execnz .LBB26_106
.LBB26_71:
	s_or_b32 exec_lo, exec_lo, s37
	s_and_saveexec_b32 s1, s36
	s_cbranch_execnz .LBB26_152
.LBB26_72:
	s_or_b32 exec_lo, exec_lo, s1
	s_and_saveexec_b32 s1, s0
	s_delay_alu instid0(SALU_CYCLE_1)
	s_xor_b32 s0, exec_lo, s1
	s_cbranch_execz .LBB26_74
.LBB26_73:
	s_mov_b32 s24, 0
	s_add_nc_u64 s[2:3], s[4:5], s[22:23]
	s_mov_b32 s25, s24
	s_mov_b32 s26, s24
	;; [unrolled: 1-line block ×3, first 2 shown]
	v_mov_b64_e32 v[2:3], s[24:25]
	v_mov_b64_e32 v[4:5], s[26:27]
	s_clause 0x1
	global_store_b128 v1, v[2:5], s[2:3]
	global_store_b128 v1, v[2:5], s[2:3] offset:16
.LBB26_74:
	s_wait_xcnt 0x0
	s_or_b32 exec_lo, exec_lo, s0
	s_mov_b32 s0, 0
.LBB26_75:
	s_delay_alu instid0(SALU_CYCLE_1)
	s_and_b32 vcc_lo, exec_lo, s0
	s_cbranch_vccz .LBB26_95
; %bb.76:
	v_mov_b64_e32 v[26:27], 0
	v_mov_b64_e32 v[36:37], 0
	;; [unrolled: 1-line block ×3, first 2 shown]
	s_wait_loadcnt 0x0
	v_mov_b64_e32 v[32:33], 0
	v_mov_b64_e32 v[34:35], 0
	;; [unrolled: 1-line block ×3, first 2 shown]
	v_cmp_gt_i32_e64 s0, s33, v0
	v_or_b32_e32 v1, 0x100, v0
	v_mov_b32_e32 v42, v0
	s_and_saveexec_b32 s1, s0
	s_cbranch_execz .LBB26_78
; %bb.77:
	v_or_b32_e32 v2, s16, v0
	v_or_b32_e32 v42, 0x100, v0
	s_clause 0x4
	global_load_b64 v[32:33], v2, s[10:11] scale_offset
	global_load_b64 v[36:37], v2, s[6:7] scale_offset
	;; [unrolled: 1-line block ×5, first 2 shown]
.LBB26_78:
	s_wait_xcnt 0x0
	s_or_b32 exec_lo, exec_lo, s1
	v_mov_b64_e32 v[28:29], 0
	v_mov_b64_e32 v[22:23], 0
	;; [unrolled: 1-line block ×4, first 2 shown]
	s_mov_b32 s1, exec_lo
	v_cmpx_gt_i32_e64 s33, v42
	s_cbranch_execz .LBB26_80
; %bb.79:
	v_add_nc_u32_e32 v2, s16, v42
	v_add_nc_u32_e32 v42, 0x100, v42
	s_clause 0x4
	global_load_b64 v[22:23], v2, s[10:11] scale_offset
	global_load_b64 v[26:27], v2, s[6:7] scale_offset
	;; [unrolled: 1-line block ×5, first 2 shown]
.LBB26_80:
	s_wait_xcnt 0x0
	s_or_b32 exec_lo, exec_lo, s1
	v_mov_b64_e32 v[10:11], 0
	v_mov_b64_e32 v[20:21], 0
	;; [unrolled: 1-line block ×6, first 2 shown]
	s_mov_b32 s1, exec_lo
	v_cmpx_gt_i32_e64 s33, v42
	s_cbranch_execz .LBB26_82
; %bb.81:
	v_add_nc_u32_e32 v2, s16, v42
	v_add_nc_u32_e32 v42, 0x100, v42
	s_clause 0x4
	global_load_b64 v[12:13], v2, s[10:11] scale_offset
	global_load_b64 v[20:21], v2, s[6:7] scale_offset
	;; [unrolled: 1-line block ×5, first 2 shown]
.LBB26_82:
	s_wait_xcnt 0x0
	s_or_b32 exec_lo, exec_lo, s1
	v_mov_b64_e32 v[6:7], 0
	v_mov_b64_e32 v[2:3], 0
	v_mov_b64_e32 v[4:5], 0
	v_mov_b64_e32 v[8:9], 0
	s_mov_b32 s1, exec_lo
	v_cmpx_gt_i32_e64 s33, v42
	s_cbranch_execz .LBB26_84
; %bb.83:
	v_add_nc_u32_e32 v42, s16, v42
	s_clause 0x4
	global_load_b64 v[2:3], v42, s[10:11] scale_offset
	global_load_b64 v[10:11], v42, s[6:7] scale_offset
	;; [unrolled: 1-line block ×5, first 2 shown]
.LBB26_84:
	s_wait_xcnt 0x0
	s_or_b32 exec_lo, exec_lo, s1
	s_clause 0x1
	s_load_b256 s[8:15], s[18:19], 0x0
	s_load_b64 s[2:3], s[18:19], 0xa0
	s_cmp_lg_u64 s[20:21], 0
	s_get_pc_i64 s[6:7]
	s_add_nc_u64 s[6:7], s[6:7], .str.2@rel64+4
	s_get_pc_i64 s[20:21]
	s_add_nc_u64 s[20:21], s[20:21], .str.3@rel64+4
	s_cselect_b32 s38, -1, 0
	s_cmp_lg_u64 s[6:7], 0
	s_get_pc_i64 s[22:23]
	s_add_nc_u64 s[22:23], s[22:23], .str.4@rel64+4
	s_cselect_b32 s36, -1, 0
	s_cmp_lg_u64 s[20:21], 0
	s_mov_b32 s1, -1
	s_cselect_b32 s35, -1, 0
	s_mov_b32 s44, 0
	s_mov_b32 s42, 0
	;; [unrolled: 1-line block ×5, first 2 shown]
	s_wait_kmcnt 0x0
	s_add_co_i32 s6, s14, -1
	s_delay_alu instid0(SALU_CYCLE_1)
	s_cmp_gt_i32 s6, -1
	s_cselect_b32 s34, -1, 0
	s_cmp_lg_u64 s[22:23], 0
	s_cselect_b32 s15, -1, 0
	s_and_saveexec_b32 s40, s0
	s_cbranch_execnz .LBB26_113
; %bb.85:
	s_or_b32 exec_lo, exec_lo, s40
	s_mov_b32 s40, 0
	s_and_saveexec_b32 s43, s1
	s_cbranch_execnz .LBB26_161
.LBB26_86:
	s_or_b32 exec_lo, exec_lo, s43
	s_and_saveexec_b32 s1, s42
	s_cbranch_execnz .LBB26_210
.LBB26_87:
	s_or_b32 exec_lo, exec_lo, s1
	s_mov_b32 s1, 0
	s_and_saveexec_b32 s7, s44
	s_delay_alu instid0(SALU_CYCLE_1)
	s_xor_b32 s7, exec_lo, s7
	s_cbranch_execz .LBB26_89
; %bb.88:
	s_wait_loadcnt 0x2
	v_cmp_ne_u64_e32 vcc_lo, s[12:13], v[6:7]
	s_xor_b32 s8, s36, -1
	s_and_not1_b32 s9, s41, exec_lo
	s_mov_b32 s1, exec_lo
	s_or_b32 s8, s8, vcc_lo
	s_delay_alu instid0(SALU_CYCLE_1) | instskip(NEXT) | instid1(SALU_CYCLE_1)
	s_and_b32 s8, s8, exec_lo
	s_or_b32 s41, s9, s8
.LBB26_89:
	s_or_b32 exec_lo, exec_lo, s7
	s_and_saveexec_b32 s7, s41
	s_cbranch_execnz .LBB26_213
.LBB26_90:
	s_or_b32 exec_lo, exec_lo, s7
	s_mov_b32 s7, 0
	s_and_saveexec_b32 s8, s1
	s_delay_alu instid0(SALU_CYCLE_1)
	s_xor_b32 s8, exec_lo, s8
	s_cbranch_execnz .LBB26_123
; %bb.91:
	s_or_b32 exec_lo, exec_lo, s8
	s_and_saveexec_b32 s1, s39
	s_cbranch_execnz .LBB26_124
.LBB26_92:
	s_or_b32 exec_lo, exec_lo, s1
	s_and_saveexec_b32 s22, s7
	s_cbranch_execnz .LBB26_125
.LBB26_93:
	s_or_b32 exec_lo, exec_lo, s22
	s_and_saveexec_b32 s1, s37
	s_cbranch_execnz .LBB26_155
.LBB26_94:
	s_or_b32 exec_lo, exec_lo, s1
	s_and_saveexec_b32 s1, s17
	s_cbranch_execnz .LBB26_96
	s_branch .LBB26_97
.LBB26_95:
                                        ; implicit-def: $sgpr0
                                        ; implicit-def: $vgpr1
                                        ; implicit-def: $vgpr0
	s_and_saveexec_b32 s1, s17
.LBB26_96:
	; divergent unreachable
.LBB26_97:
	s_delay_alu instid0(SALU_CYCLE_1) | instskip(SKIP_1) | instid1(SALU_CYCLE_1)
	s_or_b32 exec_lo, exec_lo, s1
	s_and_saveexec_b32 s1, s40
	s_xor_b32 s1, exec_lo, s1
	s_cbranch_execz .LBB26_103
; %bb.98:
	s_and_saveexec_b32 s1, s0
	s_delay_alu instid0(SALU_CYCLE_1)
	s_xor_b32 s0, exec_lo, s1
	s_cbranch_execnz .LBB26_132
; %bb.99:
	s_or_b32 exec_lo, exec_lo, s0
	s_delay_alu instid0(SALU_CYCLE_1)
	s_mov_b32 s0, exec_lo
	v_cmpx_gt_i32_e64 s33, v0
	s_cbranch_execnz .LBB26_133
.LBB26_100:
	s_or_b32 exec_lo, exec_lo, s0
	s_delay_alu instid0(SALU_CYCLE_1)
	s_mov_b32 s0, exec_lo
	v_cmpx_gt_i32_e64 s33, v0
	s_cbranch_execnz .LBB26_134
.LBB26_101:
	s_or_b32 exec_lo, exec_lo, s0
	s_delay_alu instid0(SALU_CYCLE_1)
	s_mov_b32 s0, exec_lo
	v_cmpx_gt_i32_e64 s33, v0
	s_cbranch_execz .LBB26_103
.LBB26_102:
	s_wait_loadcnt 0x4
	v_mov_b64_e32 v[2:3], 0
	v_add_nc_u32_e32 v0, s16, v0
	global_store_b64 v0, v[2:3], s[4:5] scale_offset
.LBB26_103:
	s_endpgm
.LBB26_104:
	s_wait_loadcnt 0x0
	v_sub_nc_u64_e32 v[2:3], v[8:9], v[16:17]
	s_mov_b32 s28, exec_lo
	s_delay_alu instid0(VALU_DEP_1) | instskip(SKIP_3) | instid1(SALU_CYCLE_1)
	v_cmp_gt_i64_e32 vcc_lo, v[38:39], v[2:3]
	v_cmp_lt_i64_e64 s0, s[2:3], v[2:3]
	s_and_not1_b32 s2, s27, exec_lo
	s_or_b32 s0, vcc_lo, s0
	s_and_b32 s0, s0, exec_lo
	s_delay_alu instid0(SALU_CYCLE_1)
	s_or_b32 s27, s2, s0
	s_or_b32 exec_lo, exec_lo, s29
	s_and_saveexec_b32 s0, s27
	s_cbranch_execz .LBB26_70
.LBB26_105:
	s_or_b32 s17, s17, exec_lo
	s_and_not1_b32 s28, s28, exec_lo
	s_trap 2
	s_or_b32 exec_lo, exec_lo, s0
	s_mov_b32 s0, 0
	s_and_saveexec_b32 s37, s28
	s_cbranch_execz .LBB26_71
.LBB26_106:
	v_mov_b64_e32 v[2:3], 0
	s_and_saveexec_b32 s38, s1
	s_cbranch_execz .LBB26_135
; %bb.107:
	s_wait_loadcnt 0x0
	v_mul_u64_e32 v[6:7], v[24:25], v[34:35]
	s_ashr_i32 s27, s26, 31
	v_mov_b64_e32 v[2:3], 0
	s_lshl_b64 s[0:1], s[26:27], 3
	v_mov_b32_e32 v4, 0
	s_add_nc_u64 s[0:1], s[18:19], s[0:1]
	s_mov_b64 s[2:3], 0xffffffff
	s_add_nc_u64 s[26:27], s[0:1], 32
	s_mov_b32 s1, 0
	s_branch .LBB26_109
.LBB26_108:                             ;   in Loop: Header=BB26_109 Depth=1
	s_or_b32 exec_lo, exec_lo, s0
	s_delay_alu instid0(VALU_DEP_1)
	v_mul_u64_e32 v[12:13], s[28:29], v[10:11]
	s_load_b64 s[28:29], s[26:27], 0x40
	s_add_co_i32 s41, s41, -1
	s_wait_xcnt 0x0
	s_add_nc_u64 s[26:27], s[26:27], -8
	s_cmp_lg_u32 s41, 0
	s_delay_alu instid0(VALU_DEP_1) | instskip(SKIP_1) | instid1(VALU_DEP_1)
	v_sub_nc_u64_e32 v[6:7], v[6:7], v[12:13]
	s_wait_kmcnt 0x0
	v_mad_nc_u64_u32 v[2:3], v6, s28, v[2:3]
	s_delay_alu instid0(VALU_DEP_1) | instskip(NEXT) | instid1(VALU_DEP_1)
	v_mad_u32 v3, v7, s28, v3
	v_mad_u32 v3, v6, s29, v3
	v_mov_b64_e32 v[6:7], v[10:11]
	s_cbranch_scc0 .LBB26_135
.LBB26_109:                             ; =>This Inner Loop Header: Depth=1
	s_load_b64 s[28:29], s[26:27], 0x0
                                        ; implicit-def: $vgpr10_vgpr11
	s_mov_b32 s0, exec_lo
	s_wait_kmcnt 0x0
	s_delay_alu instid0(VALU_DEP_1) | instskip(NEXT) | instid1(VALU_DEP_1)
	v_or_b32_e32 v5, s29, v7
	v_cmpx_ne_u64_e32 0, v[4:5]
	s_xor_b32 s39, exec_lo, s0
	s_cbranch_execz .LBB26_111
; %bb.110:                              ;   in Loop: Header=BB26_109 Depth=1
	s_ashr_i32 s30, s29, 31
	v_dual_mov_b32 v15, v4 :: v_dual_ashrrev_i32 v10, 31, v7
	s_mov_b32 s31, s30
	v_mov_b32_e32 v25, v4
	s_add_nc_u64 s[34:35], s[28:29], s[30:31]
	s_delay_alu instid0(VALU_DEP_2) | instskip(SKIP_1) | instid1(SALU_CYCLE_1)
	v_mov_b32_e32 v11, v10
	s_xor_b64 s[34:35], s[34:35], s[30:31]
	s_cvt_f32_u32 s0, s34
	s_cvt_f32_u32 s31, s35
	s_sub_nc_u64 s[46:47], 0, s[34:35]
	v_add_nc_u64_e32 v[12:13], v[6:7], v[10:11]
	v_mov_b32_e32 v21, v4
	s_fmamk_f32 s0, s31, 0x4f800000, s0
	s_delay_alu instid0(SALU_CYCLE_3) | instskip(NEXT) | instid1(VALU_DEP_2)
	v_s_rcp_f32 s0, s0
	v_xor_b32_e32 v14, v12, v10
	s_delay_alu instid0(VALU_DEP_3) | instskip(SKIP_1) | instid1(TRANS32_DEP_1)
	v_xor_b32_e32 v20, v13, v10
	v_xor_b32_e32 v10, s30, v10
	s_mul_f32 s0, s0, 0x5f7ffffc
	s_delay_alu instid0(SALU_CYCLE_3) | instskip(NEXT) | instid1(SALU_CYCLE_3)
	s_mul_f32 s31, s0, 0x2f800000
	s_trunc_f32 s31, s31
	s_delay_alu instid0(SALU_CYCLE_3) | instskip(SKIP_1) | instid1(SALU_CYCLE_2)
	s_fmamk_f32 s0, s31, 0xcf800000, s0
	s_cvt_u32_f32 s45, s31
	s_cvt_u32_f32 s44, s0
	s_delay_alu instid0(SALU_CYCLE_3) | instskip(NEXT) | instid1(SALU_CYCLE_1)
	s_mul_u64 s[48:49], s[46:47], s[44:45]
	s_mul_hi_u32 s51, s44, s49
	s_mul_i32 s50, s44, s49
	s_mul_hi_u32 s0, s44, s48
	s_mul_i32 s43, s45, s48
	s_add_nc_u64 s[50:51], s[0:1], s[50:51]
	s_mul_hi_u32 s31, s45, s48
	s_mul_hi_u32 s52, s45, s49
	s_add_co_u32 s0, s50, s43
	s_add_co_ci_u32 s0, s51, s31
	s_mul_i32 s48, s45, s49
	s_add_co_ci_u32 s49, s52, 0
	s_delay_alu instid0(SALU_CYCLE_1) | instskip(NEXT) | instid1(SALU_CYCLE_1)
	s_add_nc_u64 s[48:49], s[0:1], s[48:49]
	s_add_co_u32 s44, s44, s48
	s_cselect_b32 s0, -1, 0
	s_delay_alu instid0(SALU_CYCLE_1) | instskip(SKIP_1) | instid1(SALU_CYCLE_1)
	s_cmp_lg_u32 s0, 0
	s_add_co_ci_u32 s45, s45, s49
	s_mul_u64 s[46:47], s[46:47], s[44:45]
	s_delay_alu instid0(SALU_CYCLE_1)
	s_mul_hi_u32 s49, s44, s47
	s_mul_i32 s48, s44, s47
	s_mul_hi_u32 s0, s44, s46
	s_mul_i32 s43, s45, s46
	s_add_nc_u64 s[48:49], s[0:1], s[48:49]
	s_mul_hi_u32 s31, s45, s46
	s_mul_hi_u32 s50, s45, s47
	s_add_co_u32 s0, s48, s43
	s_add_co_ci_u32 s0, s49, s31
	s_mul_i32 s46, s45, s47
	s_add_co_ci_u32 s47, s50, 0
	s_delay_alu instid0(SALU_CYCLE_1) | instskip(NEXT) | instid1(SALU_CYCLE_1)
	s_add_nc_u64 s[46:47], s[0:1], s[46:47]
	s_add_co_u32 s44, s44, s46
	s_cselect_b32 s0, -1, 0
	v_mul_hi_u32 v24, v14, s44
	s_cmp_lg_u32 s0, 0
	s_add_co_ci_u32 s0, s45, s47
	s_and_b64 s[46:47], s[44:45], s[2:3]
	v_mul_u64_e32 v[18:19], s[0:1], v[14:15]
	v_mul_u64_e32 v[12:13], s[46:47], v[20:21]
	v_mul_u64_e32 v[22:23], s[0:1], v[20:21]
	s_delay_alu instid0(VALU_DEP_3) | instskip(NEXT) | instid1(VALU_DEP_1)
	v_add_nc_u64_e32 v[18:19], v[24:25], v[18:19]
	v_add_co_u32 v5, vcc_lo, v18, v12
	s_delay_alu instid0(VALU_DEP_2) | instskip(NEXT) | instid1(VALU_DEP_4)
	v_add_co_ci_u32_e32 v24, vcc_lo, v19, v13, vcc_lo
	v_add_co_ci_u32_e32 v23, vcc_lo, 0, v23, vcc_lo
	s_delay_alu instid0(VALU_DEP_1) | instskip(NEXT) | instid1(VALU_DEP_1)
	v_add_nc_u64_e32 v[12:13], v[24:25], v[22:23]
	v_mul_u64_e32 v[18:19], s[34:35], v[12:13]
	s_delay_alu instid0(VALU_DEP_1) | instskip(NEXT) | instid1(VALU_DEP_2)
	v_sub_nc_u32_e32 v5, v20, v19
	v_sub_co_u32 v11, vcc_lo, v14, v18
	s_delay_alu instid0(VALU_DEP_1) | instskip(NEXT) | instid1(VALU_DEP_3)
	v_sub_co_ci_u32_e64 v20, null, v20, v19, vcc_lo
	v_subrev_co_ci_u32_e64 v5, null, s35, v5, vcc_lo
	s_delay_alu instid0(VALU_DEP_3) | instskip(SKIP_1) | instid1(VALU_DEP_3)
	v_sub_co_u32 v14, s0, v11, s34
	v_add_nc_u64_e32 v[18:19], 1, v[12:13]
	v_subrev_co_ci_u32_e64 v5, null, 0, v5, s0
	s_delay_alu instid0(VALU_DEP_3) | instskip(SKIP_1) | instid1(VALU_DEP_3)
	v_cmp_le_u32_e32 vcc_lo, s34, v14
	v_cndmask_b32_e64 v14, 0, -1, vcc_lo
	v_cmp_le_u32_e32 vcc_lo, s35, v5
	v_cndmask_b32_e64 v15, 0, -1, vcc_lo
	;; [unrolled: 2-line block ×4, first 2 shown]
	v_cmp_eq_u32_e32 vcc_lo, s35, v5
	v_cndmask_b32_e32 v5, v15, v14, vcc_lo
	v_cmp_eq_u32_e32 vcc_lo, s35, v20
	v_add_nc_u64_e32 v[14:15], 2, v[12:13]
	v_cndmask_b32_e32 v11, v21, v11, vcc_lo
	s_delay_alu instid0(VALU_DEP_4) | instskip(NEXT) | instid1(VALU_DEP_2)
	v_cmp_ne_u32_e32 vcc_lo, 0, v5
	v_cmp_ne_u32_e64 s0, 0, v11
	s_delay_alu instid0(VALU_DEP_4) | instskip(NEXT) | instid1(VALU_DEP_1)
	v_dual_cndmask_b32 v5, v19, v15, vcc_lo :: v_dual_cndmask_b32 v11, v18, v14, vcc_lo
	v_dual_cndmask_b32 v12, v12, v11, s0 :: v_dual_mov_b32 v11, v10
	s_delay_alu instid0(VALU_DEP_1) | instskip(NEXT) | instid1(VALU_DEP_1)
	v_dual_cndmask_b32 v5, v13, v5, s0 :: v_dual_bitop2_b32 v12, v12, v10 bitop3:0x14
	v_xor_b32_e32 v13, v5, v10
	s_delay_alu instid0(VALU_DEP_1)
	v_sub_nc_u64_e32 v[10:11], v[12:13], v[10:11]
.LBB26_111:                             ;   in Loop: Header=BB26_109 Depth=1
	s_and_not1_saveexec_b32 s0, s39
	s_cbranch_execz .LBB26_108
; %bb.112:                              ;   in Loop: Header=BB26_109 Depth=1
	v_cvt_f32_u32_e32 v5, s28
	s_sub_co_i32 s30, 0, s28
	s_delay_alu instid0(VALU_DEP_1) | instskip(SKIP_1) | instid1(TRANS32_DEP_1)
	v_rcp_iflag_f32_e32 v5, v5
	v_nop
	v_mul_f32_e32 v5, 0x4f7ffffe, v5
	s_delay_alu instid0(VALU_DEP_1) | instskip(NEXT) | instid1(VALU_DEP_1)
	v_cvt_u32_f32_e32 v5, v5
	v_mul_lo_u32 v10, s30, v5
	s_delay_alu instid0(VALU_DEP_1) | instskip(NEXT) | instid1(VALU_DEP_1)
	v_mul_hi_u32 v10, v5, v10
	v_add_nc_u32_e32 v5, v5, v10
	s_delay_alu instid0(VALU_DEP_1) | instskip(NEXT) | instid1(VALU_DEP_1)
	v_mul_hi_u32 v5, v6, v5
	v_mul_lo_u32 v10, v5, s28
	s_delay_alu instid0(VALU_DEP_1) | instskip(NEXT) | instid1(VALU_DEP_1)
	v_dual_add_nc_u32 v11, 1, v5 :: v_dual_sub_nc_u32 v10, v6, v10
	v_subrev_nc_u32_e32 v12, s28, v10
	v_cmp_le_u32_e32 vcc_lo, s28, v10
	s_delay_alu instid0(VALU_DEP_2) | instskip(NEXT) | instid1(VALU_DEP_1)
	v_dual_cndmask_b32 v10, v10, v12 :: v_dual_cndmask_b32 v5, v5, v11
	v_cmp_le_u32_e32 vcc_lo, s28, v10
	s_delay_alu instid0(VALU_DEP_2) | instskip(NEXT) | instid1(VALU_DEP_1)
	v_add_nc_u32_e32 v11, 1, v5
	v_dual_cndmask_b32 v10, v5, v11 :: v_dual_mov_b32 v11, v4
	s_branch .LBB26_108
.LBB26_113:
	s_wait_loadcnt 0x3
	v_cmp_eq_u64_e32 vcc_lo, s[8:9], v[36:37]
	s_mov_b32 s7, -1
	s_mov_b32 s1, 0
	s_mov_b32 s20, 0
	;; [unrolled: 1-line block ×4, first 2 shown]
	s_and_b32 s23, s38, vcc_lo
	s_delay_alu instid0(SALU_CYCLE_1)
	s_and_saveexec_b32 s37, s23
	s_cbranch_execz .LBB26_160
; %bb.114:
	s_wait_loadcnt 0x2
	v_cmp_eq_u64_e32 vcc_lo, s[12:13], v[38:39]
	s_and_b32 s22, s36, vcc_lo
	s_delay_alu instid0(SALU_CYCLE_1)
	s_and_saveexec_b32 s39, s22
	s_cbranch_execz .LBB26_159
; %bb.115:
	s_wait_loadcnt 0x1
	v_sub_nc_u64_e32 v[42:43], v[34:35], v[32:33]
	s_delay_alu instid0(VALU_DEP_1)
	v_cmp_le_i64_e32 vcc_lo, v[36:37], v[42:43]
	v_cmp_ge_i64_e64 s1, s[10:11], v[42:43]
	s_and_b32 s20, vcc_lo, s1
	s_mov_b32 s1, 0
	s_and_b32 s21, s35, s20
	s_mov_b32 s20, 0
	s_and_saveexec_b32 s41, s21
	s_cbranch_execz .LBB26_158
; %bb.116:
	v_cmp_lt_i64_e32 vcc_lo, 0, v[38:39]
	v_mov_b64_e32 v[36:37], 0
	s_and_b32 s1, vcc_lo, s34
	s_delay_alu instid0(SALU_CYCLE_1)
	s_and_saveexec_b32 s42, s1
	s_cbranch_execz .LBB26_145
; %bb.117:
	s_wait_loadcnt 0x0
	v_mul_u64_e32 v[40:41], v[40:41], v[38:39]
	s_ashr_i32 s7, s6, 31
	v_mov_b64_e32 v[36:37], 0
	s_lshl_b64 s[22:23], s[6:7], 3
	v_mov_b32_e32 v38, 0
	s_add_nc_u64 s[22:23], s[18:19], s[22:23]
	s_mov_b64 s[20:21], 0xffffffff
	s_add_nc_u64 s[22:23], s[22:23], 32
	s_mov_b32 s25, 0
	s_mov_b32 s7, s14
	s_branch .LBB26_119
.LBB26_118:                             ;   in Loop: Header=BB26_119 Depth=1
	s_or_b32 exec_lo, exec_lo, s1
	s_delay_alu instid0(VALU_DEP_1)
	v_mul_u64_e32 v[44:45], s[26:27], v[42:43]
	s_load_b64 s[26:27], s[22:23], 0x40
	s_add_co_i32 s7, s7, -1
	s_wait_xcnt 0x0
	s_add_nc_u64 s[22:23], s[22:23], -8
	s_cmp_eq_u32 s7, 0
	s_delay_alu instid0(VALU_DEP_1) | instskip(SKIP_1) | instid1(VALU_DEP_1)
	v_sub_nc_u64_e32 v[40:41], v[40:41], v[44:45]
	s_wait_kmcnt 0x0
	v_mad_nc_u64_u32 v[36:37], v40, s26, v[36:37]
	s_delay_alu instid0(VALU_DEP_1) | instskip(NEXT) | instid1(VALU_DEP_1)
	v_mad_u32 v37, v41, s26, v37
	v_mad_u32 v37, v40, s27, v37
	v_mov_b64_e32 v[40:41], v[42:43]
	s_cbranch_scc1 .LBB26_145
.LBB26_119:                             ; =>This Inner Loop Header: Depth=1
	s_load_b64 s[26:27], s[22:23], 0x0
                                        ; implicit-def: $vgpr42_vgpr43
	s_mov_b32 s1, exec_lo
	s_wait_kmcnt 0x0
	s_delay_alu instid0(VALU_DEP_1) | instskip(NEXT) | instid1(VALU_DEP_1)
	v_or_b32_e32 v39, s27, v41
	v_cmpx_ne_u64_e32 0, v[38:39]
	s_xor_b32 s43, exec_lo, s1
	s_cbranch_execz .LBB26_121
; %bb.120:                              ;   in Loop: Header=BB26_119 Depth=1
	s_ashr_i32 s28, s27, 31
	v_dual_mov_b32 v47, v38 :: v_dual_ashrrev_i32 v42, 31, v41
	s_mov_b32 s29, s28
	v_mov_b32_e32 v55, v38
	s_add_nc_u64 s[30:31], s[26:27], s[28:29]
	s_delay_alu instid0(VALU_DEP_2) | instskip(SKIP_1) | instid1(SALU_CYCLE_1)
	v_mov_b32_e32 v43, v42
	s_xor_b64 s[30:31], s[30:31], s[28:29]
	s_cvt_f32_u32 s1, s30
	s_cvt_f32_u32 s24, s31
	s_sub_nc_u64 s[48:49], 0, s[30:31]
	v_add_nc_u64_e32 v[44:45], v[40:41], v[42:43]
	v_mov_b32_e32 v51, v38
	s_fmamk_f32 s1, s24, 0x4f800000, s1
	s_delay_alu instid0(SALU_CYCLE_3) | instskip(NEXT) | instid1(VALU_DEP_2)
	v_s_rcp_f32 s1, s1
	v_xor_b32_e32 v46, v44, v42
	s_delay_alu instid0(VALU_DEP_3) | instskip(NEXT) | instid1(TRANS32_DEP_1)
	v_xor_b32_e32 v50, v45, v42
	s_mul_f32 s1, s1, 0x5f7ffffc
	s_delay_alu instid0(SALU_CYCLE_3) | instskip(NEXT) | instid1(SALU_CYCLE_3)
	s_mul_f32 s24, s1, 0x2f800000
	s_trunc_f32 s24, s24
	s_delay_alu instid0(SALU_CYCLE_3) | instskip(SKIP_1) | instid1(SALU_CYCLE_2)
	s_fmamk_f32 s1, s24, 0xcf800000, s1
	s_cvt_u32_f32 s47, s24
	s_cvt_u32_f32 s46, s1
	s_delay_alu instid0(SALU_CYCLE_3) | instskip(NEXT) | instid1(SALU_CYCLE_1)
	s_mul_u64 s[50:51], s[48:49], s[46:47]
	s_mul_hi_u32 s53, s46, s51
	s_mul_i32 s52, s46, s51
	s_mul_hi_u32 s24, s46, s50
	s_mul_i32 s29, s47, s50
	s_add_nc_u64 s[52:53], s[24:25], s[52:53]
	s_mul_hi_u32 s1, s47, s50
	s_mul_hi_u32 s45, s47, s51
	s_add_co_u32 s24, s52, s29
	s_add_co_ci_u32 s24, s53, s1
	s_mul_i32 s50, s47, s51
	s_add_co_ci_u32 s51, s45, 0
	s_delay_alu instid0(SALU_CYCLE_1) | instskip(NEXT) | instid1(SALU_CYCLE_1)
	s_add_nc_u64 s[50:51], s[24:25], s[50:51]
	s_add_co_u32 s46, s46, s50
	s_cselect_b32 s1, -1, 0
	s_delay_alu instid0(SALU_CYCLE_1) | instskip(SKIP_1) | instid1(SALU_CYCLE_1)
	s_cmp_lg_u32 s1, 0
	s_add_co_ci_u32 s47, s47, s51
	s_mul_u64 s[48:49], s[48:49], s[46:47]
	s_delay_alu instid0(SALU_CYCLE_1)
	s_mul_hi_u32 s51, s46, s49
	s_mul_i32 s50, s46, s49
	s_mul_hi_u32 s24, s46, s48
	s_mul_i32 s29, s47, s48
	s_add_nc_u64 s[50:51], s[24:25], s[50:51]
	s_mul_hi_u32 s1, s47, s48
	s_mul_hi_u32 s45, s47, s49
	s_add_co_u32 s24, s50, s29
	s_add_co_ci_u32 s24, s51, s1
	s_mul_i32 s48, s47, s49
	s_add_co_ci_u32 s49, s45, 0
	s_delay_alu instid0(SALU_CYCLE_1) | instskip(NEXT) | instid1(SALU_CYCLE_1)
	s_add_nc_u64 s[48:49], s[24:25], s[48:49]
	s_add_co_u32 s46, s46, s48
	s_cselect_b32 s1, -1, 0
	v_mul_hi_u32 v54, v46, s46
	s_cmp_lg_u32 s1, 0
	s_add_co_ci_u32 s24, s47, s49
	s_and_b64 s[48:49], s[46:47], s[20:21]
	v_mul_u64_e32 v[48:49], s[24:25], v[46:47]
	v_mul_u64_e32 v[44:45], s[48:49], v[50:51]
	;; [unrolled: 1-line block ×3, first 2 shown]
	s_delay_alu instid0(VALU_DEP_3) | instskip(NEXT) | instid1(VALU_DEP_1)
	v_add_nc_u64_e32 v[48:49], v[54:55], v[48:49]
	v_add_co_u32 v39, vcc_lo, v48, v44
	s_delay_alu instid0(VALU_DEP_2) | instskip(NEXT) | instid1(VALU_DEP_4)
	v_add_co_ci_u32_e32 v54, vcc_lo, v49, v45, vcc_lo
	v_add_co_ci_u32_e32 v53, vcc_lo, 0, v53, vcc_lo
	s_delay_alu instid0(VALU_DEP_1) | instskip(NEXT) | instid1(VALU_DEP_1)
	v_add_nc_u64_e32 v[44:45], v[54:55], v[52:53]
	v_mul_u64_e32 v[48:49], s[30:31], v[44:45]
	s_delay_alu instid0(VALU_DEP_1) | instskip(NEXT) | instid1(VALU_DEP_2)
	v_sub_nc_u32_e32 v39, v50, v49
	v_sub_co_u32 v43, vcc_lo, v46, v48
	s_delay_alu instid0(VALU_DEP_1) | instskip(NEXT) | instid1(VALU_DEP_3)
	v_sub_co_ci_u32_e64 v50, null, v50, v49, vcc_lo
	v_subrev_co_ci_u32_e64 v39, null, s31, v39, vcc_lo
	s_delay_alu instid0(VALU_DEP_3) | instskip(SKIP_1) | instid1(VALU_DEP_3)
	v_sub_co_u32 v46, s1, v43, s30
	v_add_nc_u64_e32 v[48:49], 1, v[44:45]
	v_subrev_co_ci_u32_e64 v39, null, 0, v39, s1
	s_delay_alu instid0(VALU_DEP_3) | instskip(SKIP_1) | instid1(VALU_DEP_3)
	v_cmp_le_u32_e32 vcc_lo, s30, v46
	v_cndmask_b32_e64 v46, 0, -1, vcc_lo
	v_cmp_le_u32_e32 vcc_lo, s31, v39
	v_cndmask_b32_e64 v47, 0, -1, vcc_lo
	;; [unrolled: 2-line block ×4, first 2 shown]
	v_cmp_eq_u32_e32 vcc_lo, s31, v39
	v_cndmask_b32_e32 v39, v47, v46, vcc_lo
	v_cmp_eq_u32_e32 vcc_lo, s31, v50
	v_add_nc_u64_e32 v[46:47], 2, v[44:45]
	v_cndmask_b32_e32 v43, v51, v43, vcc_lo
	s_delay_alu instid0(VALU_DEP_4) | instskip(NEXT) | instid1(VALU_DEP_2)
	v_cmp_ne_u32_e32 vcc_lo, 0, v39
	v_cmp_ne_u32_e64 s1, 0, v43
	s_delay_alu instid0(VALU_DEP_4) | instskip(NEXT) | instid1(VALU_DEP_1)
	v_dual_cndmask_b32 v39, v49, v47, vcc_lo :: v_dual_cndmask_b32 v43, v48, v46, vcc_lo
	v_dual_cndmask_b32 v39, v45, v39, s1 :: v_dual_bitop2_b32 v42, s28, v42 bitop3:0x14
	s_delay_alu instid0(VALU_DEP_1) | instskip(NEXT) | instid1(VALU_DEP_2)
	v_dual_cndmask_b32 v44, v44, v43, s1 :: v_dual_mov_b32 v43, v42
	v_xor_b32_e32 v45, v39, v42
	s_delay_alu instid0(VALU_DEP_2) | instskip(NEXT) | instid1(VALU_DEP_1)
	v_xor_b32_e32 v44, v44, v42
	v_sub_nc_u64_e32 v[42:43], v[44:45], v[42:43]
.LBB26_121:                             ;   in Loop: Header=BB26_119 Depth=1
	s_and_not1_saveexec_b32 s1, s43
	s_cbranch_execz .LBB26_118
; %bb.122:                              ;   in Loop: Header=BB26_119 Depth=1
	v_cvt_f32_u32_e32 v39, s26
	s_sub_co_i32 s24, 0, s26
	s_delay_alu instid0(VALU_DEP_1) | instskip(SKIP_1) | instid1(TRANS32_DEP_1)
	v_rcp_iflag_f32_e32 v39, v39
	v_nop
	v_mul_f32_e32 v39, 0x4f7ffffe, v39
	s_delay_alu instid0(VALU_DEP_1) | instskip(NEXT) | instid1(VALU_DEP_1)
	v_cvt_u32_f32_e32 v39, v39
	v_mul_lo_u32 v42, s24, v39
	s_delay_alu instid0(VALU_DEP_1) | instskip(NEXT) | instid1(VALU_DEP_1)
	v_mul_hi_u32 v42, v39, v42
	v_add_nc_u32_e32 v39, v39, v42
	s_delay_alu instid0(VALU_DEP_1) | instskip(NEXT) | instid1(VALU_DEP_1)
	v_mul_hi_u32 v39, v40, v39
	v_mul_lo_u32 v42, v39, s26
	s_delay_alu instid0(VALU_DEP_1) | instskip(NEXT) | instid1(VALU_DEP_1)
	v_dual_add_nc_u32 v43, 1, v39 :: v_dual_sub_nc_u32 v42, v40, v42
	v_subrev_nc_u32_e32 v44, s26, v42
	v_cmp_le_u32_e32 vcc_lo, s26, v42
	s_delay_alu instid0(VALU_DEP_2) | instskip(NEXT) | instid1(VALU_DEP_1)
	v_dual_cndmask_b32 v42, v42, v44 :: v_dual_cndmask_b32 v39, v39, v43
	v_cmp_le_u32_e32 vcc_lo, s26, v42
	s_delay_alu instid0(VALU_DEP_2) | instskip(NEXT) | instid1(VALU_DEP_1)
	v_add_nc_u32_e32 v43, 1, v39
	v_dual_cndmask_b32 v42, v39, v43 :: v_dual_mov_b32 v43, v38
	s_branch .LBB26_118
.LBB26_123:
	s_wait_loadcnt 0x1
	v_sub_nc_u64_e32 v[12:13], v[4:5], v[2:3]
	s_and_not1_b32 s9, s39, exec_lo
	s_mov_b32 s7, exec_lo
	s_delay_alu instid0(VALU_DEP_1) | instskip(SKIP_2) | instid1(SALU_CYCLE_1)
	v_cmp_le_i64_e32 vcc_lo, v[10:11], v[12:13]
	v_cmp_ge_i64_e64 s1, s[10:11], v[12:13]
	s_and_b32 s1, vcc_lo, s1
	s_and_b32 s1, s35, s1
	s_delay_alu instid0(SALU_CYCLE_1) | instskip(NEXT) | instid1(SALU_CYCLE_1)
	s_xor_b32 s1, s1, -1
	s_and_b32 s1, s1, exec_lo
	s_delay_alu instid0(SALU_CYCLE_1)
	s_or_b32 s39, s9, s1
	s_or_b32 exec_lo, exec_lo, s8
	s_and_saveexec_b32 s1, s39
	s_cbranch_execz .LBB26_92
.LBB26_124:
	s_or_b32 s17, s17, exec_lo
	s_and_not1_b32 s7, s7, exec_lo
	s_trap 2
	s_or_b32 exec_lo, exec_lo, s1
	s_and_saveexec_b32 s22, s7
	s_cbranch_execz .LBB26_93
.LBB26_125:
	s_wait_loadcnt 0x2
	v_cmp_lt_i64_e32 vcc_lo, 0, v[6:7]
	v_mov_b64_e32 v[10:11], 0
	s_and_b32 s1, vcc_lo, s34
	s_delay_alu instid0(SALU_CYCLE_1)
	s_and_saveexec_b32 s23, s1
	s_cbranch_execz .LBB26_140
; %bb.126:
	s_wait_loadcnt 0x0
	v_mul_u64_e32 v[8:9], v[8:9], v[6:7]
	s_ashr_i32 s7, s6, 31
	v_mov_b64_e32 v[10:11], 0
	s_lshl_b64 s[8:9], s[6:7], 3
	v_mov_b32_e32 v6, 0
	s_add_nc_u64 s[8:9], s[18:19], s[8:9]
	s_mov_b64 s[6:7], 0xffffffff
	s_add_nc_u64 s[8:9], s[8:9], 32
	s_mov_b32 s11, 0
	s_branch .LBB26_128
.LBB26_127:                             ;   in Loop: Header=BB26_128 Depth=1
	s_or_b32 exec_lo, exec_lo, s1
	s_delay_alu instid0(VALU_DEP_1)
	v_mul_u64_e32 v[14:15], s[12:13], v[12:13]
	s_load_b64 s[12:13], s[8:9], 0x40
	s_add_co_i32 s14, s14, -1
	s_wait_xcnt 0x0
	s_add_nc_u64 s[8:9], s[8:9], -8
	s_cmp_lg_u32 s14, 0
	s_delay_alu instid0(VALU_DEP_1) | instskip(SKIP_1) | instid1(VALU_DEP_1)
	v_sub_nc_u64_e32 v[8:9], v[8:9], v[14:15]
	s_wait_kmcnt 0x0
	v_mad_nc_u64_u32 v[10:11], v8, s12, v[10:11]
	s_delay_alu instid0(VALU_DEP_1) | instskip(NEXT) | instid1(VALU_DEP_1)
	v_mad_u32 v7, v9, s12, v11
	v_mad_u32 v11, v8, s13, v7
	v_mov_b64_e32 v[8:9], v[12:13]
	s_cbranch_scc0 .LBB26_140
.LBB26_128:                             ; =>This Inner Loop Header: Depth=1
	s_load_b64 s[12:13], s[8:9], 0x0
                                        ; implicit-def: $vgpr12_vgpr13
	s_mov_b32 s1, exec_lo
	s_wait_kmcnt 0x0
	s_delay_alu instid0(VALU_DEP_1) | instskip(NEXT) | instid1(VALU_DEP_1)
	v_or_b32_e32 v7, s13, v9
	v_cmpx_ne_u64_e32 0, v[6:7]
	s_xor_b32 s24, exec_lo, s1
	s_cbranch_execz .LBB26_130
; %bb.129:                              ;   in Loop: Header=BB26_128 Depth=1
	s_ashr_i32 s18, s13, 31
	v_dual_mov_b32 v17, v6 :: v_dual_ashrrev_i32 v12, 31, v9
	s_mov_b32 s19, s18
	s_delay_alu instid0(SALU_CYCLE_1) | instskip(NEXT) | instid1(VALU_DEP_1)
	s_add_nc_u64 s[20:21], s[12:13], s[18:19]
	v_mov_b32_e32 v13, v12
	s_xor_b64 s[20:21], s[20:21], s[18:19]
	s_delay_alu instid0(SALU_CYCLE_1)
	s_cvt_f32_u32 s1, s20
	s_cvt_f32_u32 s10, s21
	s_sub_nc_u64 s[28:29], 0, s[20:21]
	v_add_nc_u64_e32 v[14:15], v[8:9], v[12:13]
	v_mov_b32_e32 v21, v6
	s_fmamk_f32 s1, s10, 0x4f800000, s1
	s_delay_alu instid0(SALU_CYCLE_3) | instskip(NEXT) | instid1(VALU_DEP_2)
	v_s_rcp_f32 s1, s1
	v_xor_b32_e32 v16, v14, v12
	s_delay_alu instid0(VALU_DEP_3) | instskip(SKIP_1) | instid1(TRANS32_DEP_1)
	v_dual_mov_b32 v25, v6 :: v_dual_bitop2_b32 v20, v15, v12 bitop3:0x14
	v_xor_b32_e32 v12, s18, v12
	s_mul_f32 s1, s1, 0x5f7ffffc
	s_delay_alu instid0(SALU_CYCLE_3) | instskip(NEXT) | instid1(SALU_CYCLE_3)
	s_mul_f32 s10, s1, 0x2f800000
	s_trunc_f32 s10, s10
	s_delay_alu instid0(SALU_CYCLE_3) | instskip(SKIP_1) | instid1(SALU_CYCLE_2)
	s_fmamk_f32 s1, s10, 0xcf800000, s1
	s_cvt_u32_f32 s27, s10
	s_cvt_u32_f32 s26, s1
	s_delay_alu instid0(SALU_CYCLE_3) | instskip(NEXT) | instid1(SALU_CYCLE_1)
	s_mul_u64 s[30:31], s[28:29], s[26:27]
	s_mul_hi_u32 s35, s26, s31
	s_mul_i32 s34, s26, s31
	s_mul_hi_u32 s10, s26, s30
	s_mul_i32 s19, s27, s30
	s_add_nc_u64 s[34:35], s[10:11], s[34:35]
	s_mul_hi_u32 s1, s27, s30
	s_mul_hi_u32 s25, s27, s31
	s_add_co_u32 s10, s34, s19
	s_add_co_ci_u32 s10, s35, s1
	s_mul_i32 s30, s27, s31
	s_add_co_ci_u32 s31, s25, 0
	s_delay_alu instid0(SALU_CYCLE_1) | instskip(NEXT) | instid1(SALU_CYCLE_1)
	s_add_nc_u64 s[30:31], s[10:11], s[30:31]
	s_add_co_u32 s26, s26, s30
	s_cselect_b32 s1, -1, 0
	s_delay_alu instid0(SALU_CYCLE_1) | instskip(SKIP_1) | instid1(SALU_CYCLE_1)
	s_cmp_lg_u32 s1, 0
	s_add_co_ci_u32 s27, s27, s31
	s_mul_u64 s[28:29], s[28:29], s[26:27]
	s_delay_alu instid0(SALU_CYCLE_1)
	s_mul_hi_u32 s31, s26, s29
	s_mul_i32 s30, s26, s29
	s_mul_hi_u32 s10, s26, s28
	s_mul_i32 s19, s27, s28
	s_add_nc_u64 s[30:31], s[10:11], s[30:31]
	s_mul_hi_u32 s1, s27, s28
	s_mul_hi_u32 s25, s27, s29
	s_add_co_u32 s10, s30, s19
	s_add_co_ci_u32 s10, s31, s1
	s_mul_i32 s28, s27, s29
	s_add_co_ci_u32 s29, s25, 0
	s_delay_alu instid0(SALU_CYCLE_1) | instskip(NEXT) | instid1(SALU_CYCLE_1)
	s_add_nc_u64 s[28:29], s[10:11], s[28:29]
	s_add_co_u32 s26, s26, s28
	s_cselect_b32 s1, -1, 0
	v_mul_hi_u32 v24, v16, s26
	s_cmp_lg_u32 s1, 0
	s_add_co_ci_u32 s10, s27, s29
	s_and_b64 s[28:29], s[26:27], s[6:7]
	v_mul_u64_e32 v[18:19], s[10:11], v[16:17]
	v_mul_u64_e32 v[14:15], s[28:29], v[20:21]
	;; [unrolled: 1-line block ×3, first 2 shown]
	s_delay_alu instid0(VALU_DEP_3) | instskip(NEXT) | instid1(VALU_DEP_1)
	v_add_nc_u64_e32 v[18:19], v[24:25], v[18:19]
	v_add_co_u32 v7, vcc_lo, v18, v14
	s_delay_alu instid0(VALU_DEP_2) | instskip(NEXT) | instid1(VALU_DEP_4)
	v_add_co_ci_u32_e32 v24, vcc_lo, v19, v15, vcc_lo
	v_add_co_ci_u32_e32 v23, vcc_lo, 0, v23, vcc_lo
	s_delay_alu instid0(VALU_DEP_1) | instskip(NEXT) | instid1(VALU_DEP_1)
	v_add_nc_u64_e32 v[14:15], v[24:25], v[22:23]
	v_mul_u64_e32 v[18:19], s[20:21], v[14:15]
	s_delay_alu instid0(VALU_DEP_1) | instskip(NEXT) | instid1(VALU_DEP_2)
	v_sub_nc_u32_e32 v7, v20, v19
	v_sub_co_u32 v13, vcc_lo, v16, v18
	s_delay_alu instid0(VALU_DEP_1) | instskip(NEXT) | instid1(VALU_DEP_3)
	v_sub_co_ci_u32_e64 v20, null, v20, v19, vcc_lo
	v_subrev_co_ci_u32_e64 v7, null, s21, v7, vcc_lo
	s_delay_alu instid0(VALU_DEP_3) | instskip(SKIP_1) | instid1(VALU_DEP_3)
	v_sub_co_u32 v16, s1, v13, s20
	v_add_nc_u64_e32 v[18:19], 1, v[14:15]
	v_subrev_co_ci_u32_e64 v7, null, 0, v7, s1
	s_delay_alu instid0(VALU_DEP_3) | instskip(SKIP_1) | instid1(VALU_DEP_3)
	v_cmp_le_u32_e32 vcc_lo, s20, v16
	v_cndmask_b32_e64 v16, 0, -1, vcc_lo
	v_cmp_le_u32_e32 vcc_lo, s21, v7
	v_cndmask_b32_e64 v17, 0, -1, vcc_lo
	;; [unrolled: 2-line block ×4, first 2 shown]
	v_cmp_eq_u32_e32 vcc_lo, s21, v7
	v_cndmask_b32_e32 v7, v17, v16, vcc_lo
	v_cmp_eq_u32_e32 vcc_lo, s21, v20
	v_add_nc_u64_e32 v[16:17], 2, v[14:15]
	v_cndmask_b32_e32 v13, v21, v13, vcc_lo
	s_delay_alu instid0(VALU_DEP_4) | instskip(NEXT) | instid1(VALU_DEP_2)
	v_cmp_ne_u32_e32 vcc_lo, 0, v7
	v_cmp_ne_u32_e64 s1, 0, v13
	s_delay_alu instid0(VALU_DEP_4) | instskip(NEXT) | instid1(VALU_DEP_1)
	v_dual_cndmask_b32 v7, v19, v17, vcc_lo :: v_dual_cndmask_b32 v13, v18, v16, vcc_lo
	v_dual_cndmask_b32 v14, v14, v13, s1 :: v_dual_mov_b32 v13, v12
	s_delay_alu instid0(VALU_DEP_1) | instskip(NEXT) | instid1(VALU_DEP_1)
	v_dual_cndmask_b32 v7, v15, v7, s1 :: v_dual_bitop2_b32 v14, v14, v12 bitop3:0x14
	v_xor_b32_e32 v15, v7, v12
	s_delay_alu instid0(VALU_DEP_1)
	v_sub_nc_u64_e32 v[12:13], v[14:15], v[12:13]
.LBB26_130:                             ;   in Loop: Header=BB26_128 Depth=1
	s_and_not1_saveexec_b32 s1, s24
	s_cbranch_execz .LBB26_127
; %bb.131:                              ;   in Loop: Header=BB26_128 Depth=1
	v_cvt_f32_u32_e32 v7, s12
	s_sub_co_i32 s10, 0, s12
	s_delay_alu instid0(VALU_DEP_1) | instskip(SKIP_1) | instid1(TRANS32_DEP_1)
	v_rcp_iflag_f32_e32 v7, v7
	v_nop
	v_mul_f32_e32 v7, 0x4f7ffffe, v7
	s_delay_alu instid0(VALU_DEP_1) | instskip(NEXT) | instid1(VALU_DEP_1)
	v_cvt_u32_f32_e32 v7, v7
	v_mul_lo_u32 v12, s10, v7
	s_delay_alu instid0(VALU_DEP_1) | instskip(NEXT) | instid1(VALU_DEP_1)
	v_mul_hi_u32 v12, v7, v12
	v_add_nc_u32_e32 v7, v7, v12
	s_delay_alu instid0(VALU_DEP_1) | instskip(NEXT) | instid1(VALU_DEP_1)
	v_mul_hi_u32 v7, v8, v7
	v_mul_lo_u32 v12, v7, s12
	s_delay_alu instid0(VALU_DEP_1) | instskip(NEXT) | instid1(VALU_DEP_1)
	v_dual_add_nc_u32 v13, 1, v7 :: v_dual_sub_nc_u32 v12, v8, v12
	v_subrev_nc_u32_e32 v14, s12, v12
	v_cmp_le_u32_e32 vcc_lo, s12, v12
	s_delay_alu instid0(VALU_DEP_2) | instskip(NEXT) | instid1(VALU_DEP_1)
	v_dual_cndmask_b32 v12, v12, v14 :: v_dual_cndmask_b32 v7, v7, v13
	v_cmp_le_u32_e32 vcc_lo, s12, v12
	s_delay_alu instid0(VALU_DEP_2) | instskip(NEXT) | instid1(VALU_DEP_1)
	v_add_nc_u32_e32 v13, 1, v7
	v_dual_cndmask_b32 v12, v7, v13 :: v_dual_mov_b32 v13, v6
	s_branch .LBB26_127
.LBB26_132:
	s_wait_loadcnt 0x4
	v_mov_b64_e32 v[2:3], 0
	s_wait_loadcnt 0x1
	v_dual_mov_b32 v0, v1 :: v_dual_bitop2_b32 v4, s16, v0 bitop3:0x54
	global_store_b64 v4, v[2:3], s[4:5] scale_offset
	s_wait_xcnt 0x0
	s_or_b32 exec_lo, exec_lo, s0
	s_delay_alu instid0(SALU_CYCLE_1)
	s_mov_b32 s0, exec_lo
	v_cmpx_gt_i32_e64 s33, v0
	s_cbranch_execz .LBB26_100
.LBB26_133:
	s_wait_loadcnt 0x4
	v_mov_b64_e32 v[2:3], 0
	v_add_nc_u32_e32 v1, s16, v0
	v_add_nc_u32_e32 v0, 0x100, v0
	global_store_b64 v1, v[2:3], s[4:5] scale_offset
	s_wait_xcnt 0x0
	s_or_b32 exec_lo, exec_lo, s0
	s_delay_alu instid0(SALU_CYCLE_1)
	s_mov_b32 s0, exec_lo
	v_cmpx_gt_i32_e64 s33, v0
	s_cbranch_execz .LBB26_101
.LBB26_134:
	s_wait_loadcnt 0x4
	v_mov_b64_e32 v[2:3], 0
	v_add_nc_u32_e32 v1, s16, v0
	v_add_nc_u32_e32 v0, 0x100, v0
	global_store_b64 v1, v[2:3], s[4:5] scale_offset
	s_wait_xcnt 0x0
	s_or_b32 exec_lo, exec_lo, s0
	s_delay_alu instid0(SALU_CYCLE_1)
	s_mov_b32 s0, exec_lo
	v_cmpx_gt_i32_e64 s33, v0
	s_cbranch_execnz .LBB26_102
	s_branch .LBB26_103
.LBB26_135:
	s_or_b32 exec_lo, exec_lo, s38
	s_mov_b32 s1, s36
	s_mov_b32 s0, exec_lo
	s_wait_loadcnt 0x0
	v_cmpx_gt_i64_e64 v[8:9], v[16:17]
	s_cbranch_execz .LBB26_151
; %bb.136:
	s_delay_alu instid0(VALU_DEP_2) | instskip(SKIP_2) | instid1(VALU_DEP_1)
	v_lshlrev_b64_e32 v[2:3], 3, v[2:3]
	s_mov_b32 s1, 0
	s_xor_b32 s3, s42, -1
                                        ; implicit-def: $sgpr2
	v_lshl_add_u64 v[4:5], v[16:17], 3, v[2:3]
	v_add_nc_u64_e32 v[6:7], s[24:25], v[2:3]
	s_delay_alu instid0(VALU_DEP_2) | instskip(NEXT) | instid1(VALU_DEP_1)
	v_add_nc_u64_e32 v[4:5], s[24:25], v[4:5]
                                        ; implicit-def: $sgpr25
                                        ; implicit-def: $sgpr24
	v_add_nc_u64_e32 v[2:3], 8, v[4:5]
	s_delay_alu instid0(VALU_DEP_3)
	v_lshl_add_u64 v[4:5], v[8:9], 3, v[6:7]
	s_branch .LBB26_138
.LBB26_137:                             ;   in Loop: Header=BB26_138 Depth=1
	s_or_b32 exec_lo, exec_lo, s26
	s_xor_b32 s26, s24, -1
	s_and_b32 s27, exec_lo, s25
	s_delay_alu instid0(SALU_CYCLE_1) | instskip(SKIP_2) | instid1(SALU_CYCLE_1)
	s_or_b32 s1, s27, s1
	s_and_not1_b32 s2, s2, exec_lo
	s_and_b32 s26, s26, exec_lo
	s_or_b32 s2, s2, s26
	s_and_not1_b32 exec_lo, exec_lo, s1
	s_cbranch_execz .LBB26_150
.LBB26_138:                             ; =>This Inner Loop Header: Depth=1
	s_or_b32 s24, s24, exec_lo
	s_or_b32 s25, s25, exec_lo
	s_mov_b32 s26, exec_lo
	s_delay_alu instid0(VALU_DEP_2)
	v_cmpx_lt_u64_e64 v[2:3], v[4:5]
	s_cbranch_execz .LBB26_137
; %bb.139:                              ;   in Loop: Header=BB26_138 Depth=1
	global_load_b128 v[6:9], v[2:3], off offset:-8
	s_wait_xcnt 0x0
	v_add_nc_u64_e32 v[2:3], 8, v[2:3]
	s_and_not1_b32 s25, s25, exec_lo
	s_and_not1_b32 s24, s24, exec_lo
	s_wait_loadcnt 0x0
	v_cmp_ge_i64_e32 vcc_lo, v[6:7], v[8:9]
	s_or_b32 s27, s3, vcc_lo
	s_delay_alu instid0(SALU_CYCLE_1) | instskip(NEXT) | instid1(SALU_CYCLE_1)
	s_and_b32 s27, s27, exec_lo
	s_or_b32 s25, s25, s27
	s_branch .LBB26_137
.LBB26_140:
	s_or_b32 exec_lo, exec_lo, s23
	s_mov_b32 s6, s37
	s_mov_b32 s1, exec_lo
	s_wait_loadcnt 0x1
	v_cmpx_gt_i64_e64 v[4:5], v[2:3]
	s_cbranch_execz .LBB26_154
; %bb.141:
	s_delay_alu instid0(VALU_DEP_2) | instskip(SKIP_1) | instid1(VALU_DEP_1)
	v_lshlrev_b64_e32 v[6:7], 3, v[10:11]
	s_xor_b32 s6, s15, -1
                                        ; implicit-def: $sgpr8
                                        ; implicit-def: $sgpr7
	v_lshl_add_u64 v[2:3], v[2:3], 3, v[6:7]
	v_add_nc_u64_e32 v[6:7], s[2:3], v[6:7]
	s_delay_alu instid0(VALU_DEP_2) | instskip(SKIP_1) | instid1(VALU_DEP_2)
	v_add_nc_u64_e32 v[2:3], s[2:3], v[2:3]
	s_mov_b32 s2, 0
                                        ; implicit-def: $sgpr3
	v_lshl_add_u64 v[4:5], v[4:5], 3, v[6:7]
	s_delay_alu instid0(VALU_DEP_2)
	v_add_nc_u64_e32 v[2:3], 8, v[2:3]
	s_branch .LBB26_143
.LBB26_142:                             ;   in Loop: Header=BB26_143 Depth=1
	s_or_b32 exec_lo, exec_lo, s9
	s_xor_b32 s9, s7, -1
	s_and_b32 s10, exec_lo, s8
	s_delay_alu instid0(SALU_CYCLE_1) | instskip(SKIP_2) | instid1(SALU_CYCLE_1)
	s_or_b32 s2, s10, s2
	s_and_not1_b32 s3, s3, exec_lo
	s_and_b32 s9, s9, exec_lo
	s_or_b32 s3, s3, s9
	s_and_not1_b32 exec_lo, exec_lo, s2
	s_cbranch_execz .LBB26_153
.LBB26_143:                             ; =>This Inner Loop Header: Depth=1
	s_or_b32 s7, s7, exec_lo
	s_or_b32 s8, s8, exec_lo
	s_mov_b32 s9, exec_lo
	s_delay_alu instid0(VALU_DEP_1)
	v_cmpx_lt_u64_e64 v[2:3], v[4:5]
	s_cbranch_execz .LBB26_142
; %bb.144:                              ;   in Loop: Header=BB26_143 Depth=1
	s_wait_loadcnt 0x0
	global_load_b128 v[6:9], v[2:3], off offset:-8
	s_wait_xcnt 0x0
	v_add_nc_u64_e32 v[2:3], 8, v[2:3]
	s_and_not1_b32 s8, s8, exec_lo
	s_and_not1_b32 s7, s7, exec_lo
	s_wait_loadcnt 0x0
	v_cmp_ge_i64_e32 vcc_lo, v[6:7], v[8:9]
	s_or_b32 s10, s6, vcc_lo
	s_delay_alu instid0(SALU_CYCLE_1) | instskip(NEXT) | instid1(SALU_CYCLE_1)
	s_and_b32 s10, s10, exec_lo
	s_or_b32 s8, s8, s10
	s_branch .LBB26_142
.LBB26_145:
	s_or_b32 exec_lo, exec_lo, s42
	s_mov_b32 s21, -1
	s_mov_b32 s7, 0
	s_mov_b32 s1, exec_lo
	v_cmpx_gt_i64_e64 v[34:35], v[32:33]
	s_cbranch_execz .LBB26_157
; %bb.146:
	s_delay_alu instid0(VALU_DEP_2) | instskip(SKIP_1) | instid1(VALU_DEP_1)
	v_lshlrev_b64_e32 v[36:37], 3, v[36:37]
	s_xor_b32 s21, s15, -1
                                        ; implicit-def: $sgpr20
                                        ; implicit-def: $sgpr23
                                        ; implicit-def: $sgpr22
	v_lshl_add_u64 v[32:33], v[32:33], 3, v[36:37]
	v_add_nc_u64_e32 v[36:37], s[2:3], v[36:37]
	s_delay_alu instid0(VALU_DEP_2) | instskip(NEXT) | instid1(VALU_DEP_2)
	v_add_nc_u64_e32 v[32:33], s[2:3], v[32:33]
	v_lshl_add_u64 v[34:35], v[34:35], 3, v[36:37]
	s_delay_alu instid0(VALU_DEP_2)
	v_add_nc_u64_e32 v[32:33], 8, v[32:33]
	s_branch .LBB26_148
.LBB26_147:                             ;   in Loop: Header=BB26_148 Depth=1
	s_or_b32 exec_lo, exec_lo, s24
	s_delay_alu instid0(SALU_CYCLE_1) | instskip(NEXT) | instid1(SALU_CYCLE_1)
	s_and_b32 s24, exec_lo, s23
	s_or_b32 s7, s24, s7
	s_and_not1_b32 s20, s20, exec_lo
	s_and_b32 s24, s22, exec_lo
	s_delay_alu instid0(SALU_CYCLE_1)
	s_or_b32 s20, s20, s24
	s_and_not1_b32 exec_lo, exec_lo, s7
	s_cbranch_execz .LBB26_156
.LBB26_148:                             ; =>This Inner Loop Header: Depth=1
	s_or_b32 s22, s22, exec_lo
	s_or_b32 s23, s23, exec_lo
	s_mov_b32 s24, exec_lo
	s_delay_alu instid0(VALU_DEP_1)
	v_cmpx_lt_u64_e64 v[32:33], v[34:35]
	s_cbranch_execz .LBB26_147
; %bb.149:                              ;   in Loop: Header=BB26_148 Depth=1
	global_load_b128 v[36:39], v[32:33], off offset:-8
	s_wait_xcnt 0x0
	v_add_nc_u64_e32 v[32:33], 8, v[32:33]
	s_and_not1_b32 s23, s23, exec_lo
	s_and_not1_b32 s22, s22, exec_lo
	s_wait_loadcnt 0x0
	v_cmp_ge_i64_e32 vcc_lo, v[36:37], v[38:39]
	s_or_b32 s25, s21, vcc_lo
	s_delay_alu instid0(SALU_CYCLE_1) | instskip(NEXT) | instid1(SALU_CYCLE_1)
	s_and_b32 s25, s25, exec_lo
	s_or_b32 s23, s23, s25
	s_branch .LBB26_147
.LBB26_150:
	s_or_b32 exec_lo, exec_lo, s1
	s_delay_alu instid0(SALU_CYCLE_1) | instskip(SKIP_1) | instid1(SALU_CYCLE_1)
	s_and_not1_b32 s1, s36, exec_lo
	s_and_b32 s2, s2, exec_lo
	s_or_b32 s1, s1, s2
.LBB26_151:
	s_or_b32 exec_lo, exec_lo, s0
	s_delay_alu instid0(SALU_CYCLE_1)
	s_and_not1_b32 s2, s36, exec_lo
	s_and_b32 s1, s1, exec_lo
	s_mov_b32 s0, exec_lo
	s_or_b32 s36, s2, s1
	s_or_b32 exec_lo, exec_lo, s37
	s_and_saveexec_b32 s1, s36
	s_cbranch_execz .LBB26_72
.LBB26_152:
	s_or_b32 s17, s17, exec_lo
	s_and_not1_b32 s0, s0, exec_lo
	s_trap 2
	s_or_b32 exec_lo, exec_lo, s1
	s_and_saveexec_b32 s1, s0
	s_delay_alu instid0(SALU_CYCLE_1)
	s_xor_b32 s0, exec_lo, s1
	s_cbranch_execnz .LBB26_73
	s_branch .LBB26_74
.LBB26_153:
	s_or_b32 exec_lo, exec_lo, s2
	s_delay_alu instid0(SALU_CYCLE_1) | instskip(SKIP_1) | instid1(SALU_CYCLE_1)
	s_and_not1_b32 s2, s37, exec_lo
	s_and_b32 s3, s3, exec_lo
	s_or_b32 s6, s2, s3
.LBB26_154:
	s_or_b32 exec_lo, exec_lo, s1
	s_delay_alu instid0(SALU_CYCLE_1)
	s_and_not1_b32 s1, s37, exec_lo
	s_and_b32 s2, s6, exec_lo
	s_or_b32 s40, s40, exec_lo
	s_or_b32 s37, s1, s2
	s_or_b32 exec_lo, exec_lo, s22
	s_and_saveexec_b32 s1, s37
	s_cbranch_execz .LBB26_94
.LBB26_155:
	s_and_not1_b32 s40, s40, exec_lo
	s_or_b32 s17, s17, exec_lo
	s_trap 2
	s_or_b32 exec_lo, exec_lo, s1
	s_and_saveexec_b32 s1, s17
	s_cbranch_execnz .LBB26_96
	s_branch .LBB26_97
.LBB26_156:
	s_or_b32 exec_lo, exec_lo, s7
	s_delay_alu instid0(SALU_CYCLE_1)
	s_mov_b32 s7, exec_lo
	s_or_not1_b32 s21, s20, exec_lo
.LBB26_157:
	s_or_b32 exec_lo, exec_lo, s1
	s_delay_alu instid0(SALU_CYCLE_1)
	s_and_b32 s20, s7, exec_lo
	s_xor_b32 s7, exec_lo, -1
	s_and_b32 s1, s21, exec_lo
.LBB26_158:
	s_or_b32 exec_lo, exec_lo, s41
	s_delay_alu instid0(SALU_CYCLE_1)
	s_and_b32 s21, s20, exec_lo
	s_and_b32 s20, s7, exec_lo
	s_xor_b32 s7, exec_lo, -1
	s_and_b32 s1, s1, exec_lo
.LBB26_159:
	s_or_b32 exec_lo, exec_lo, s39
	s_delay_alu instid0(SALU_CYCLE_1)
	s_and_b32 s22, s21, exec_lo
	s_and_b32 s21, s20, exec_lo
	;; [unrolled: 1-line block ×3, first 2 shown]
	s_xor_b32 s7, exec_lo, -1
	s_and_b32 s1, s1, exec_lo
.LBB26_160:
	s_or_b32 exec_lo, exec_lo, s37
	s_delay_alu instid0(SALU_CYCLE_1)
	s_and_b32 s37, s22, exec_lo
	s_and_b32 s39, s21, exec_lo
	;; [unrolled: 1-line block ×4, first 2 shown]
	s_or_not1_b32 s1, s1, exec_lo
	s_or_b32 exec_lo, exec_lo, s40
	s_mov_b32 s40, 0
	s_and_saveexec_b32 s43, s1
	s_cbranch_execz .LBB26_86
.LBB26_161:
	s_mov_b32 s1, -1
	s_mov_b32 s48, 0
	s_mov_b32 s44, s42
	s_mov_b32 s46, s41
	s_mov_b32 s45, s39
	s_mov_b32 s47, exec_lo
	v_cmpx_gt_i32_e64 s33, v1
	s_cbranch_execz .LBB26_182
; %bb.162:
	s_wait_loadcnt 0x3
	v_cmp_eq_u64_e32 vcc_lo, s[8:9], v[26:27]
	s_mov_b32 s7, -1
	s_mov_b32 s1, 0
	s_mov_b32 s21, s41
	;; [unrolled: 1-line block ×4, first 2 shown]
	s_and_b32 s23, s38, vcc_lo
	s_delay_alu instid0(SALU_CYCLE_1)
	s_and_saveexec_b32 s40, s23
	s_cbranch_execz .LBB26_181
; %bb.163:
	s_wait_loadcnt 0x2
	v_cmp_eq_u64_e32 vcc_lo, s[12:13], v[28:29]
	s_mov_b32 s21, s39
	s_and_b32 s22, s36, vcc_lo
	s_delay_alu instid0(SALU_CYCLE_1)
	s_and_saveexec_b32 s44, s22
	s_cbranch_execz .LBB26_180
; %bb.164:
	s_wait_loadcnt 0x1
	v_sub_nc_u64_e32 v[32:33], v[24:25], v[22:23]
	s_delay_alu instid0(VALU_DEP_1)
	v_cmp_le_i64_e32 vcc_lo, v[26:27], v[32:33]
	v_cmp_ge_i64_e64 s1, s[10:11], v[32:33]
	s_and_b32 s20, vcc_lo, s1
	s_mov_b32 s1, 0
	s_and_b32 s21, s35, s20
	s_mov_b32 s20, 0
	s_and_saveexec_b32 s45, s21
	s_cbranch_execz .LBB26_179
; %bb.165:
	v_cmp_lt_i64_e32 vcc_lo, 0, v[28:29]
	v_mov_b64_e32 v[26:27], 0
	s_and_b32 s1, vcc_lo, s34
	s_delay_alu instid0(SALU_CYCLE_1)
	s_and_saveexec_b32 s46, s1
	s_cbranch_execz .LBB26_172
; %bb.166:
	s_wait_loadcnt 0x0
	v_mul_u64_e32 v[30:31], v[30:31], v[28:29]
	s_ashr_i32 s7, s6, 31
	v_mov_b64_e32 v[26:27], 0
	s_lshl_b64 s[22:23], s[6:7], 3
	v_mov_b32_e32 v28, 0
	s_add_nc_u64 s[22:23], s[18:19], s[22:23]
	s_mov_b64 s[20:21], 0xffffffff
	s_add_nc_u64 s[22:23], s[22:23], 32
	s_mov_b32 s25, 0
	s_mov_b32 s7, s14
	s_branch .LBB26_168
.LBB26_167:                             ;   in Loop: Header=BB26_168 Depth=1
	s_or_b32 exec_lo, exec_lo, s1
	s_delay_alu instid0(VALU_DEP_1)
	v_mul_u64_e32 v[34:35], s[26:27], v[32:33]
	s_load_b64 s[26:27], s[22:23], 0x40
	s_add_co_i32 s7, s7, -1
	s_wait_xcnt 0x0
	s_add_nc_u64 s[22:23], s[22:23], -8
	s_cmp_lg_u32 s7, 0
	s_delay_alu instid0(VALU_DEP_1) | instskip(SKIP_1) | instid1(VALU_DEP_1)
	v_sub_nc_u64_e32 v[30:31], v[30:31], v[34:35]
	s_wait_kmcnt 0x0
	v_mad_nc_u64_u32 v[26:27], v30, s26, v[26:27]
	s_delay_alu instid0(VALU_DEP_1) | instskip(NEXT) | instid1(VALU_DEP_1)
	v_mad_u32 v27, v31, s26, v27
	v_mad_u32 v27, v30, s27, v27
	v_mov_b64_e32 v[30:31], v[32:33]
	s_cbranch_scc0 .LBB26_172
.LBB26_168:                             ; =>This Inner Loop Header: Depth=1
	s_load_b64 s[26:27], s[22:23], 0x0
                                        ; implicit-def: $vgpr32_vgpr33
	s_mov_b32 s1, exec_lo
	s_wait_kmcnt 0x0
	s_delay_alu instid0(VALU_DEP_1) | instskip(NEXT) | instid1(VALU_DEP_1)
	v_or_b32_e32 v29, s27, v31
	v_cmpx_ne_u64_e32 0, v[28:29]
	s_xor_b32 s49, exec_lo, s1
	s_cbranch_execz .LBB26_170
; %bb.169:                              ;   in Loop: Header=BB26_168 Depth=1
	s_ashr_i32 s28, s27, 31
	v_dual_mov_b32 v37, v28 :: v_dual_ashrrev_i32 v32, 31, v31
	s_mov_b32 s29, s28
	v_mov_b32_e32 v45, v28
	s_add_nc_u64 s[30:31], s[26:27], s[28:29]
	s_delay_alu instid0(VALU_DEP_2) | instskip(SKIP_1) | instid1(SALU_CYCLE_1)
	v_mov_b32_e32 v33, v32
	s_xor_b64 s[30:31], s[30:31], s[28:29]
	s_cvt_f32_u32 s1, s30
	s_cvt_f32_u32 s24, s31
	s_sub_nc_u64 s[52:53], 0, s[30:31]
	v_add_nc_u64_e32 v[34:35], v[30:31], v[32:33]
	v_mov_b32_e32 v41, v28
	s_fmamk_f32 s1, s24, 0x4f800000, s1
	s_delay_alu instid0(SALU_CYCLE_3) | instskip(NEXT) | instid1(VALU_DEP_2)
	v_s_rcp_f32 s1, s1
	v_xor_b32_e32 v36, v34, v32
	s_delay_alu instid0(VALU_DEP_3) | instskip(NEXT) | instid1(TRANS32_DEP_1)
	v_xor_b32_e32 v40, v35, v32
	s_mul_f32 s1, s1, 0x5f7ffffc
	s_delay_alu instid0(SALU_CYCLE_3) | instskip(NEXT) | instid1(SALU_CYCLE_3)
	s_mul_f32 s24, s1, 0x2f800000
	s_trunc_f32 s24, s24
	s_delay_alu instid0(SALU_CYCLE_3) | instskip(SKIP_1) | instid1(SALU_CYCLE_2)
	s_fmamk_f32 s1, s24, 0xcf800000, s1
	s_cvt_u32_f32 s51, s24
	s_cvt_u32_f32 s50, s1
	s_delay_alu instid0(SALU_CYCLE_3) | instskip(NEXT) | instid1(SALU_CYCLE_1)
	s_mul_u64 s[54:55], s[52:53], s[50:51]
	s_mul_hi_u32 s57, s50, s55
	s_mul_i32 s56, s50, s55
	s_mul_hi_u32 s24, s50, s54
	s_mul_i32 s29, s51, s54
	s_add_nc_u64 s[56:57], s[24:25], s[56:57]
	s_mul_hi_u32 s1, s51, s54
	s_mul_hi_u32 s58, s51, s55
	s_add_co_u32 s24, s56, s29
	s_add_co_ci_u32 s24, s57, s1
	s_mul_i32 s54, s51, s55
	s_add_co_ci_u32 s55, s58, 0
	s_delay_alu instid0(SALU_CYCLE_1) | instskip(NEXT) | instid1(SALU_CYCLE_1)
	s_add_nc_u64 s[54:55], s[24:25], s[54:55]
	s_add_co_u32 s50, s50, s54
	s_cselect_b32 s1, -1, 0
	s_delay_alu instid0(SALU_CYCLE_1) | instskip(SKIP_1) | instid1(SALU_CYCLE_1)
	s_cmp_lg_u32 s1, 0
	s_add_co_ci_u32 s51, s51, s55
	s_mul_u64 s[52:53], s[52:53], s[50:51]
	s_delay_alu instid0(SALU_CYCLE_1)
	s_mul_hi_u32 s55, s50, s53
	s_mul_i32 s54, s50, s53
	s_mul_hi_u32 s24, s50, s52
	s_mul_i32 s29, s51, s52
	s_add_nc_u64 s[54:55], s[24:25], s[54:55]
	s_mul_hi_u32 s1, s51, s52
	s_mul_hi_u32 s56, s51, s53
	s_add_co_u32 s24, s54, s29
	s_add_co_ci_u32 s24, s55, s1
	s_mul_i32 s52, s51, s53
	s_add_co_ci_u32 s53, s56, 0
	s_delay_alu instid0(SALU_CYCLE_1) | instskip(NEXT) | instid1(SALU_CYCLE_1)
	s_add_nc_u64 s[52:53], s[24:25], s[52:53]
	s_add_co_u32 s50, s50, s52
	s_cselect_b32 s1, -1, 0
	v_mul_hi_u32 v44, v36, s50
	s_cmp_lg_u32 s1, 0
	s_add_co_ci_u32 s24, s51, s53
	s_and_b64 s[52:53], s[50:51], s[20:21]
	v_mul_u64_e32 v[38:39], s[24:25], v[36:37]
	v_mul_u64_e32 v[34:35], s[52:53], v[40:41]
	;; [unrolled: 1-line block ×3, first 2 shown]
	s_delay_alu instid0(VALU_DEP_3) | instskip(NEXT) | instid1(VALU_DEP_1)
	v_add_nc_u64_e32 v[38:39], v[44:45], v[38:39]
	v_add_co_u32 v29, vcc_lo, v38, v34
	s_delay_alu instid0(VALU_DEP_2) | instskip(NEXT) | instid1(VALU_DEP_4)
	v_add_co_ci_u32_e32 v44, vcc_lo, v39, v35, vcc_lo
	v_add_co_ci_u32_e32 v43, vcc_lo, 0, v43, vcc_lo
	s_delay_alu instid0(VALU_DEP_1) | instskip(NEXT) | instid1(VALU_DEP_1)
	v_add_nc_u64_e32 v[34:35], v[44:45], v[42:43]
	v_mul_u64_e32 v[38:39], s[30:31], v[34:35]
	s_delay_alu instid0(VALU_DEP_1) | instskip(NEXT) | instid1(VALU_DEP_2)
	v_sub_nc_u32_e32 v29, v40, v39
	v_sub_co_u32 v33, vcc_lo, v36, v38
	s_delay_alu instid0(VALU_DEP_1) | instskip(NEXT) | instid1(VALU_DEP_3)
	v_sub_co_ci_u32_e64 v40, null, v40, v39, vcc_lo
	v_subrev_co_ci_u32_e64 v29, null, s31, v29, vcc_lo
	s_delay_alu instid0(VALU_DEP_3) | instskip(SKIP_1) | instid1(VALU_DEP_3)
	v_sub_co_u32 v36, s1, v33, s30
	v_add_nc_u64_e32 v[38:39], 1, v[34:35]
	v_subrev_co_ci_u32_e64 v29, null, 0, v29, s1
	s_delay_alu instid0(VALU_DEP_3) | instskip(SKIP_1) | instid1(VALU_DEP_3)
	v_cmp_le_u32_e32 vcc_lo, s30, v36
	v_cndmask_b32_e64 v36, 0, -1, vcc_lo
	v_cmp_le_u32_e32 vcc_lo, s31, v29
	v_cndmask_b32_e64 v37, 0, -1, vcc_lo
	;; [unrolled: 2-line block ×4, first 2 shown]
	v_cmp_eq_u32_e32 vcc_lo, s31, v29
	v_cndmask_b32_e32 v29, v37, v36, vcc_lo
	v_cmp_eq_u32_e32 vcc_lo, s31, v40
	v_add_nc_u64_e32 v[36:37], 2, v[34:35]
	v_cndmask_b32_e32 v33, v41, v33, vcc_lo
	s_delay_alu instid0(VALU_DEP_4) | instskip(NEXT) | instid1(VALU_DEP_2)
	v_cmp_ne_u32_e32 vcc_lo, 0, v29
	v_cmp_ne_u32_e64 s1, 0, v33
	s_delay_alu instid0(VALU_DEP_4) | instskip(NEXT) | instid1(VALU_DEP_1)
	v_dual_cndmask_b32 v29, v39, v37, vcc_lo :: v_dual_cndmask_b32 v33, v38, v36, vcc_lo
	v_dual_cndmask_b32 v29, v35, v29, s1 :: v_dual_bitop2_b32 v32, s28, v32 bitop3:0x14
	s_delay_alu instid0(VALU_DEP_1) | instskip(NEXT) | instid1(VALU_DEP_2)
	v_dual_cndmask_b32 v34, v34, v33, s1 :: v_dual_mov_b32 v33, v32
	v_xor_b32_e32 v35, v29, v32
	s_delay_alu instid0(VALU_DEP_2) | instskip(NEXT) | instid1(VALU_DEP_1)
	v_xor_b32_e32 v34, v34, v32
	v_sub_nc_u64_e32 v[32:33], v[34:35], v[32:33]
.LBB26_170:                             ;   in Loop: Header=BB26_168 Depth=1
	s_and_not1_saveexec_b32 s1, s49
	s_cbranch_execz .LBB26_167
; %bb.171:                              ;   in Loop: Header=BB26_168 Depth=1
	v_cvt_f32_u32_e32 v29, s26
	s_sub_co_i32 s24, 0, s26
	s_delay_alu instid0(VALU_DEP_1) | instskip(SKIP_1) | instid1(TRANS32_DEP_1)
	v_rcp_iflag_f32_e32 v29, v29
	v_nop
	v_mul_f32_e32 v29, 0x4f7ffffe, v29
	s_delay_alu instid0(VALU_DEP_1) | instskip(NEXT) | instid1(VALU_DEP_1)
	v_cvt_u32_f32_e32 v29, v29
	v_mul_lo_u32 v32, s24, v29
	s_delay_alu instid0(VALU_DEP_1) | instskip(NEXT) | instid1(VALU_DEP_1)
	v_mul_hi_u32 v32, v29, v32
	v_add_nc_u32_e32 v29, v29, v32
	s_delay_alu instid0(VALU_DEP_1) | instskip(NEXT) | instid1(VALU_DEP_1)
	v_mul_hi_u32 v29, v30, v29
	v_mul_lo_u32 v32, v29, s26
	s_delay_alu instid0(VALU_DEP_1) | instskip(NEXT) | instid1(VALU_DEP_1)
	v_dual_add_nc_u32 v33, 1, v29 :: v_dual_sub_nc_u32 v32, v30, v32
	v_subrev_nc_u32_e32 v34, s26, v32
	v_cmp_le_u32_e32 vcc_lo, s26, v32
	s_delay_alu instid0(VALU_DEP_2) | instskip(NEXT) | instid1(VALU_DEP_1)
	v_dual_cndmask_b32 v32, v32, v34 :: v_dual_cndmask_b32 v29, v29, v33
	v_cmp_le_u32_e32 vcc_lo, s26, v32
	s_delay_alu instid0(VALU_DEP_2) | instskip(NEXT) | instid1(VALU_DEP_1)
	v_add_nc_u32_e32 v33, 1, v29
	v_dual_cndmask_b32 v32, v29, v33 :: v_dual_mov_b32 v33, v28
	s_branch .LBB26_167
.LBB26_172:
	s_or_b32 exec_lo, exec_lo, s46
	s_mov_b32 s21, -1
	s_mov_b32 s7, 0
	s_mov_b32 s1, exec_lo
	v_cmpx_gt_i64_e64 v[24:25], v[22:23]
	s_cbranch_execz .LBB26_178
; %bb.173:
	s_delay_alu instid0(VALU_DEP_2) | instskip(SKIP_1) | instid1(VALU_DEP_1)
	v_lshlrev_b64_e32 v[26:27], 3, v[26:27]
	s_xor_b32 s21, s15, -1
                                        ; implicit-def: $sgpr20
                                        ; implicit-def: $sgpr23
                                        ; implicit-def: $sgpr22
	v_lshl_add_u64 v[22:23], v[22:23], 3, v[26:27]
	v_add_nc_u64_e32 v[26:27], s[2:3], v[26:27]
	s_delay_alu instid0(VALU_DEP_2) | instskip(NEXT) | instid1(VALU_DEP_2)
	v_add_nc_u64_e32 v[22:23], s[2:3], v[22:23]
	v_lshl_add_u64 v[24:25], v[24:25], 3, v[26:27]
	s_delay_alu instid0(VALU_DEP_2)
	v_add_nc_u64_e32 v[22:23], 8, v[22:23]
	s_branch .LBB26_175
.LBB26_174:                             ;   in Loop: Header=BB26_175 Depth=1
	s_or_b32 exec_lo, exec_lo, s24
	s_delay_alu instid0(SALU_CYCLE_1) | instskip(NEXT) | instid1(SALU_CYCLE_1)
	s_and_b32 s24, exec_lo, s23
	s_or_b32 s7, s24, s7
	s_and_not1_b32 s20, s20, exec_lo
	s_and_b32 s24, s22, exec_lo
	s_delay_alu instid0(SALU_CYCLE_1)
	s_or_b32 s20, s20, s24
	s_and_not1_b32 exec_lo, exec_lo, s7
	s_cbranch_execz .LBB26_177
.LBB26_175:                             ; =>This Inner Loop Header: Depth=1
	s_or_b32 s22, s22, exec_lo
	s_or_b32 s23, s23, exec_lo
	s_mov_b32 s24, exec_lo
	s_delay_alu instid0(VALU_DEP_1)
	v_cmpx_lt_u64_e64 v[22:23], v[24:25]
	s_cbranch_execz .LBB26_174
; %bb.176:                              ;   in Loop: Header=BB26_175 Depth=1
	global_load_b128 v[26:29], v[22:23], off offset:-8
	s_wait_xcnt 0x0
	v_add_nc_u64_e32 v[22:23], 8, v[22:23]
	s_and_not1_b32 s23, s23, exec_lo
	s_and_not1_b32 s22, s22, exec_lo
	s_wait_loadcnt 0x0
	v_cmp_ge_i64_e32 vcc_lo, v[26:27], v[28:29]
	s_or_b32 s25, s21, vcc_lo
	s_delay_alu instid0(SALU_CYCLE_1) | instskip(NEXT) | instid1(SALU_CYCLE_1)
	s_and_b32 s25, s25, exec_lo
	s_or_b32 s23, s23, s25
	s_branch .LBB26_174
.LBB26_177:
	s_or_b32 exec_lo, exec_lo, s7
	s_delay_alu instid0(SALU_CYCLE_1)
	s_mov_b32 s7, exec_lo
	s_or_not1_b32 s21, s20, exec_lo
.LBB26_178:
	s_or_b32 exec_lo, exec_lo, s1
	s_delay_alu instid0(SALU_CYCLE_1)
	s_and_b32 s20, s7, exec_lo
	s_xor_b32 s7, exec_lo, -1
	s_and_b32 s1, s21, exec_lo
.LBB26_179:
	s_or_b32 exec_lo, exec_lo, s45
	s_delay_alu instid0(SALU_CYCLE_1)
	s_and_not1_b32 s21, s39, exec_lo
	s_and_b32 s7, s7, exec_lo
	s_and_b32 s20, s20, exec_lo
	s_or_b32 s21, s21, s7
	s_xor_b32 s7, exec_lo, -1
	s_and_b32 s1, s1, exec_lo
.LBB26_180:
	s_or_b32 exec_lo, exec_lo, s44
	s_delay_alu instid0(SALU_CYCLE_1)
	s_and_not1_b32 s22, s39, exec_lo
	s_and_b32 s21, s21, exec_lo
	s_and_not1_b32 s23, s41, exec_lo
	s_and_b32 s7, s7, exec_lo
	s_and_b32 s20, s20, exec_lo
	s_or_b32 s22, s22, s21
	s_or_b32 s21, s23, s7
	s_xor_b32 s7, exec_lo, -1
	s_and_b32 s1, s1, exec_lo
.LBB26_181:
	s_or_b32 exec_lo, exec_lo, s40
	s_delay_alu instid0(SALU_CYCLE_1)
	s_and_not1_b32 s23, s39, exec_lo
	s_and_b32 s22, s22, exec_lo
	s_and_b32 s40, s20, exec_lo
	s_or_b32 s45, s23, s22
	s_and_not1_b32 s20, s41, exec_lo
	s_and_b32 s21, s21, exec_lo
	s_and_not1_b32 s22, s42, exec_lo
	s_and_b32 s7, s7, exec_lo
	s_or_b32 s46, s20, s21
	s_or_b32 s44, s22, s7
	s_or_not1_b32 s1, s1, exec_lo
.LBB26_182:
	s_or_b32 exec_lo, exec_lo, s47
	s_mov_b32 s21, 0
	s_and_saveexec_b32 s47, s1
	s_cbranch_execz .LBB26_209
; %bb.183:
	s_wait_loadcnt 0x4
	v_or_b32_e32 v22, 0x200, v0
	s_mov_b32 s23, -1
	s_mov_b32 s48, 0
	s_mov_b32 s1, s44
	;; [unrolled: 1-line block ×4, first 2 shown]
	s_mov_b32 s49, exec_lo
	v_cmpx_gt_i32_e64 s33, v22
	s_cbranch_execz .LBB26_204
; %bb.184:
	s_wait_loadcnt 0x3
	v_cmp_eq_u64_e32 vcc_lo, s[8:9], v[20:21]
	s_mov_b32 s1, -1
	s_mov_b32 s22, 0
	s_mov_b32 s23, s46
	;; [unrolled: 1-line block ×4, first 2 shown]
	s_and_b32 s20, s38, vcc_lo
	s_delay_alu instid0(SALU_CYCLE_1)
	s_and_saveexec_b32 s50, s20
	s_cbranch_execz .LBB26_203
; %bb.185:
	s_wait_loadcnt 0x2
	v_cmp_eq_u64_e32 vcc_lo, s[12:13], v[16:17]
	s_mov_b32 s20, 0
	s_mov_b32 s21, s45
	s_and_b32 s7, s36, vcc_lo
	s_delay_alu instid0(SALU_CYCLE_1)
	s_and_saveexec_b32 s51, s7
	s_cbranch_execz .LBB26_202
; %bb.186:
	s_wait_loadcnt 0x1
	v_sub_nc_u64_e32 v[22:23], v[14:15], v[12:13]
	s_mov_b32 s20, -1
	s_mov_b32 s7, 0
	s_delay_alu instid0(VALU_DEP_1) | instskip(SKIP_2) | instid1(SALU_CYCLE_1)
	v_cmp_le_i64_e32 vcc_lo, v[20:21], v[22:23]
	v_cmp_ge_i64_e64 s1, s[10:11], v[22:23]
	s_and_b32 s1, vcc_lo, s1
	s_and_b32 s21, s35, s1
	s_mov_b32 s1, 0
	s_and_saveexec_b32 s52, s21
	s_cbranch_execz .LBB26_201
; %bb.187:
	v_cmp_lt_i64_e32 vcc_lo, 0, v[16:17]
	v_mov_b64_e32 v[20:21], 0
	s_and_b32 s1, vcc_lo, s34
	s_delay_alu instid0(SALU_CYCLE_1)
	s_and_saveexec_b32 s53, s1
	s_cbranch_execz .LBB26_194
; %bb.188:
	s_wait_loadcnt 0x0
	v_mul_u64_e32 v[18:19], v[18:19], v[16:17]
	s_ashr_i32 s7, s6, 31
	v_mov_b64_e32 v[20:21], 0
	s_lshl_b64 s[22:23], s[6:7], 3
	v_mov_b32_e32 v16, 0
	s_add_nc_u64 s[22:23], s[18:19], s[22:23]
	s_mov_b64 s[20:21], 0xffffffff
	s_add_nc_u64 s[22:23], s[22:23], 32
	s_mov_b32 s25, 0
	s_mov_b32 s7, s14
	s_branch .LBB26_190
.LBB26_189:                             ;   in Loop: Header=BB26_190 Depth=1
	s_or_b32 exec_lo, exec_lo, s1
	s_delay_alu instid0(VALU_DEP_1)
	v_mul_u64_e32 v[24:25], s[26:27], v[22:23]
	s_load_b64 s[26:27], s[22:23], 0x40
	s_add_co_i32 s7, s7, -1
	s_wait_xcnt 0x0
	s_add_nc_u64 s[22:23], s[22:23], -8
	s_cmp_lg_u32 s7, 0
	s_delay_alu instid0(VALU_DEP_1) | instskip(SKIP_1) | instid1(VALU_DEP_1)
	v_sub_nc_u64_e32 v[18:19], v[18:19], v[24:25]
	s_wait_kmcnt 0x0
	v_mad_nc_u64_u32 v[20:21], v18, s26, v[20:21]
	s_delay_alu instid0(VALU_DEP_1) | instskip(NEXT) | instid1(VALU_DEP_1)
	v_mad_u32 v17, v19, s26, v21
	v_mad_u32 v21, v18, s27, v17
	v_mov_b64_e32 v[18:19], v[22:23]
	s_cbranch_scc0 .LBB26_194
.LBB26_190:                             ; =>This Inner Loop Header: Depth=1
	s_load_b64 s[26:27], s[22:23], 0x0
                                        ; implicit-def: $vgpr22_vgpr23
	s_mov_b32 s1, exec_lo
	s_wait_kmcnt 0x0
	s_delay_alu instid0(VALU_DEP_1) | instskip(NEXT) | instid1(VALU_DEP_1)
	v_or_b32_e32 v17, s27, v19
	v_cmpx_ne_u64_e32 0, v[16:17]
	s_xor_b32 s54, exec_lo, s1
	s_cbranch_execz .LBB26_192
; %bb.191:                              ;   in Loop: Header=BB26_190 Depth=1
	s_ashr_i32 s28, s27, 31
	v_dual_mov_b32 v27, v16 :: v_dual_ashrrev_i32 v22, 31, v19
	s_mov_b32 s29, s28
	s_delay_alu instid0(SALU_CYCLE_1) | instskip(NEXT) | instid1(VALU_DEP_1)
	s_add_nc_u64 s[30:31], s[26:27], s[28:29]
	v_mov_b32_e32 v23, v22
	s_xor_b64 s[30:31], s[30:31], s[28:29]
	s_delay_alu instid0(SALU_CYCLE_1)
	s_cvt_f32_u32 s1, s30
	s_cvt_f32_u32 s24, s31
	s_sub_nc_u64 s[58:59], 0, s[30:31]
	v_add_nc_u64_e32 v[24:25], v[18:19], v[22:23]
	v_mov_b32_e32 v31, v16
	s_fmamk_f32 s1, s24, 0x4f800000, s1
	s_delay_alu instid0(SALU_CYCLE_3) | instskip(NEXT) | instid1(VALU_DEP_2)
	v_s_rcp_f32 s1, s1
	v_xor_b32_e32 v26, v24, v22
	s_delay_alu instid0(VALU_DEP_3) | instskip(SKIP_1) | instid1(TRANS32_DEP_1)
	v_dual_mov_b32 v35, v16 :: v_dual_bitop2_b32 v30, v25, v22 bitop3:0x14
	v_xor_b32_e32 v22, s28, v22
	s_mul_f32 s1, s1, 0x5f7ffffc
	s_delay_alu instid0(SALU_CYCLE_3) | instskip(NEXT) | instid1(SALU_CYCLE_3)
	s_mul_f32 s24, s1, 0x2f800000
	s_trunc_f32 s24, s24
	s_delay_alu instid0(SALU_CYCLE_3) | instskip(SKIP_1) | instid1(SALU_CYCLE_2)
	s_fmamk_f32 s1, s24, 0xcf800000, s1
	s_cvt_u32_f32 s57, s24
	s_cvt_u32_f32 s56, s1
	s_delay_alu instid0(SALU_CYCLE_3) | instskip(NEXT) | instid1(SALU_CYCLE_1)
	s_mul_u64 s[60:61], s[58:59], s[56:57]
	s_mul_hi_u32 s63, s56, s61
	s_mul_i32 s62, s56, s61
	s_mul_hi_u32 s24, s56, s60
	s_mul_i32 s29, s57, s60
	s_add_nc_u64 s[62:63], s[24:25], s[62:63]
	s_mul_hi_u32 s1, s57, s60
	s_mul_hi_u32 s55, s57, s61
	s_add_co_u32 s24, s62, s29
	s_add_co_ci_u32 s24, s63, s1
	s_mul_i32 s60, s57, s61
	s_add_co_ci_u32 s61, s55, 0
	s_delay_alu instid0(SALU_CYCLE_1) | instskip(NEXT) | instid1(SALU_CYCLE_1)
	s_add_nc_u64 s[60:61], s[24:25], s[60:61]
	s_add_co_u32 s56, s56, s60
	s_cselect_b32 s1, -1, 0
	s_delay_alu instid0(SALU_CYCLE_1) | instskip(SKIP_1) | instid1(SALU_CYCLE_1)
	s_cmp_lg_u32 s1, 0
	s_add_co_ci_u32 s57, s57, s61
	s_mul_u64 s[58:59], s[58:59], s[56:57]
	s_delay_alu instid0(SALU_CYCLE_1)
	s_mul_hi_u32 s61, s56, s59
	s_mul_i32 s60, s56, s59
	s_mul_hi_u32 s24, s56, s58
	s_mul_i32 s29, s57, s58
	s_add_nc_u64 s[60:61], s[24:25], s[60:61]
	s_mul_hi_u32 s1, s57, s58
	s_mul_hi_u32 s55, s57, s59
	s_add_co_u32 s24, s60, s29
	s_add_co_ci_u32 s24, s61, s1
	s_mul_i32 s58, s57, s59
	s_add_co_ci_u32 s59, s55, 0
	s_delay_alu instid0(SALU_CYCLE_1) | instskip(NEXT) | instid1(SALU_CYCLE_1)
	s_add_nc_u64 s[58:59], s[24:25], s[58:59]
	s_add_co_u32 s56, s56, s58
	s_cselect_b32 s1, -1, 0
	v_mul_hi_u32 v34, v26, s56
	s_cmp_lg_u32 s1, 0
	s_add_co_ci_u32 s24, s57, s59
	s_and_b64 s[58:59], s[56:57], s[20:21]
	v_mul_u64_e32 v[28:29], s[24:25], v[26:27]
	v_mul_u64_e32 v[24:25], s[58:59], v[30:31]
	;; [unrolled: 1-line block ×3, first 2 shown]
	s_delay_alu instid0(VALU_DEP_3) | instskip(NEXT) | instid1(VALU_DEP_1)
	v_add_nc_u64_e32 v[28:29], v[34:35], v[28:29]
	v_add_co_u32 v17, vcc_lo, v28, v24
	s_delay_alu instid0(VALU_DEP_2) | instskip(NEXT) | instid1(VALU_DEP_4)
	v_add_co_ci_u32_e32 v34, vcc_lo, v29, v25, vcc_lo
	v_add_co_ci_u32_e32 v33, vcc_lo, 0, v33, vcc_lo
	s_delay_alu instid0(VALU_DEP_1) | instskip(NEXT) | instid1(VALU_DEP_1)
	v_add_nc_u64_e32 v[24:25], v[34:35], v[32:33]
	v_mul_u64_e32 v[28:29], s[30:31], v[24:25]
	s_delay_alu instid0(VALU_DEP_1) | instskip(NEXT) | instid1(VALU_DEP_2)
	v_sub_nc_u32_e32 v17, v30, v29
	v_sub_co_u32 v23, vcc_lo, v26, v28
	s_delay_alu instid0(VALU_DEP_1) | instskip(NEXT) | instid1(VALU_DEP_3)
	v_sub_co_ci_u32_e64 v30, null, v30, v29, vcc_lo
	v_subrev_co_ci_u32_e64 v17, null, s31, v17, vcc_lo
	s_delay_alu instid0(VALU_DEP_3) | instskip(SKIP_1) | instid1(VALU_DEP_3)
	v_sub_co_u32 v26, s1, v23, s30
	v_add_nc_u64_e32 v[28:29], 1, v[24:25]
	v_subrev_co_ci_u32_e64 v17, null, 0, v17, s1
	s_delay_alu instid0(VALU_DEP_3) | instskip(SKIP_1) | instid1(VALU_DEP_3)
	v_cmp_le_u32_e32 vcc_lo, s30, v26
	v_cndmask_b32_e64 v26, 0, -1, vcc_lo
	v_cmp_le_u32_e32 vcc_lo, s31, v17
	v_cndmask_b32_e64 v27, 0, -1, vcc_lo
	v_cmp_le_u32_e32 vcc_lo, s30, v23
	v_cndmask_b32_e64 v23, 0, -1, vcc_lo
	v_cmp_le_u32_e32 vcc_lo, s31, v30
	v_cndmask_b32_e64 v31, 0, -1, vcc_lo
	v_cmp_eq_u32_e32 vcc_lo, s31, v17
	v_cndmask_b32_e32 v17, v27, v26, vcc_lo
	v_cmp_eq_u32_e32 vcc_lo, s31, v30
	v_add_nc_u64_e32 v[26:27], 2, v[24:25]
	v_cndmask_b32_e32 v23, v31, v23, vcc_lo
	s_delay_alu instid0(VALU_DEP_4) | instskip(NEXT) | instid1(VALU_DEP_2)
	v_cmp_ne_u32_e32 vcc_lo, 0, v17
	v_cmp_ne_u32_e64 s1, 0, v23
	s_delay_alu instid0(VALU_DEP_4) | instskip(NEXT) | instid1(VALU_DEP_1)
	v_dual_cndmask_b32 v17, v29, v27, vcc_lo :: v_dual_cndmask_b32 v23, v28, v26, vcc_lo
	v_dual_cndmask_b32 v24, v24, v23, s1 :: v_dual_mov_b32 v23, v22
	s_delay_alu instid0(VALU_DEP_1) | instskip(NEXT) | instid1(VALU_DEP_1)
	v_dual_cndmask_b32 v17, v25, v17, s1 :: v_dual_bitop2_b32 v24, v24, v22 bitop3:0x14
	v_xor_b32_e32 v25, v17, v22
	s_delay_alu instid0(VALU_DEP_1)
	v_sub_nc_u64_e32 v[22:23], v[24:25], v[22:23]
.LBB26_192:                             ;   in Loop: Header=BB26_190 Depth=1
	s_and_not1_saveexec_b32 s1, s54
	s_cbranch_execz .LBB26_189
; %bb.193:                              ;   in Loop: Header=BB26_190 Depth=1
	v_cvt_f32_u32_e32 v17, s26
	s_sub_co_i32 s24, 0, s26
	s_delay_alu instid0(VALU_DEP_1) | instskip(SKIP_1) | instid1(TRANS32_DEP_1)
	v_rcp_iflag_f32_e32 v17, v17
	v_nop
	v_mul_f32_e32 v17, 0x4f7ffffe, v17
	s_delay_alu instid0(VALU_DEP_1) | instskip(NEXT) | instid1(VALU_DEP_1)
	v_cvt_u32_f32_e32 v17, v17
	v_mul_lo_u32 v22, s24, v17
	s_delay_alu instid0(VALU_DEP_1) | instskip(NEXT) | instid1(VALU_DEP_1)
	v_mul_hi_u32 v22, v17, v22
	v_add_nc_u32_e32 v17, v17, v22
	s_delay_alu instid0(VALU_DEP_1) | instskip(NEXT) | instid1(VALU_DEP_1)
	v_mul_hi_u32 v17, v18, v17
	v_mul_lo_u32 v22, v17, s26
	s_delay_alu instid0(VALU_DEP_1) | instskip(NEXT) | instid1(VALU_DEP_1)
	v_dual_add_nc_u32 v23, 1, v17 :: v_dual_sub_nc_u32 v22, v18, v22
	v_subrev_nc_u32_e32 v24, s26, v22
	v_cmp_le_u32_e32 vcc_lo, s26, v22
	s_delay_alu instid0(VALU_DEP_2) | instskip(NEXT) | instid1(VALU_DEP_1)
	v_dual_cndmask_b32 v22, v22, v24 :: v_dual_cndmask_b32 v17, v17, v23
	v_cmp_le_u32_e32 vcc_lo, s26, v22
	s_delay_alu instid0(VALU_DEP_2) | instskip(NEXT) | instid1(VALU_DEP_1)
	v_add_nc_u32_e32 v23, 1, v17
	v_dual_cndmask_b32 v22, v17, v23 :: v_dual_mov_b32 v23, v16
	s_branch .LBB26_189
.LBB26_194:
	s_or_b32 exec_lo, exec_lo, s53
	s_mov_b32 s7, -1
	s_mov_b32 s21, 0
	s_mov_b32 s1, exec_lo
	v_cmpx_gt_i64_e64 v[14:15], v[12:13]
	s_cbranch_execz .LBB26_200
; %bb.195:
	s_delay_alu instid0(VALU_DEP_2) | instskip(SKIP_2) | instid1(VALU_DEP_1)
	v_lshlrev_b64_e32 v[16:17], 3, v[20:21]
	s_mov_b32 s7, 0
	s_xor_b32 s21, s15, -1
                                        ; implicit-def: $sgpr20
                                        ; implicit-def: $sgpr23
                                        ; implicit-def: $sgpr22
	v_lshl_add_u64 v[12:13], v[12:13], 3, v[16:17]
	v_add_nc_u64_e32 v[16:17], s[2:3], v[16:17]
	s_delay_alu instid0(VALU_DEP_2) | instskip(NEXT) | instid1(VALU_DEP_2)
	v_add_nc_u64_e32 v[12:13], s[2:3], v[12:13]
	v_lshl_add_u64 v[14:15], v[14:15], 3, v[16:17]
	s_delay_alu instid0(VALU_DEP_2)
	v_add_nc_u64_e32 v[12:13], 8, v[12:13]
	s_branch .LBB26_197
.LBB26_196:                             ;   in Loop: Header=BB26_197 Depth=1
	s_or_b32 exec_lo, exec_lo, s24
	s_delay_alu instid0(SALU_CYCLE_1) | instskip(NEXT) | instid1(SALU_CYCLE_1)
	s_and_b32 s24, exec_lo, s23
	s_or_b32 s7, s24, s7
	s_and_not1_b32 s20, s20, exec_lo
	s_and_b32 s24, s22, exec_lo
	s_delay_alu instid0(SALU_CYCLE_1)
	s_or_b32 s20, s20, s24
	s_and_not1_b32 exec_lo, exec_lo, s7
	s_cbranch_execz .LBB26_199
.LBB26_197:                             ; =>This Inner Loop Header: Depth=1
	s_or_b32 s22, s22, exec_lo
	s_or_b32 s23, s23, exec_lo
	s_mov_b32 s24, exec_lo
	s_delay_alu instid0(VALU_DEP_1)
	v_cmpx_lt_u64_e64 v[12:13], v[14:15]
	s_cbranch_execz .LBB26_196
; %bb.198:                              ;   in Loop: Header=BB26_197 Depth=1
	s_wait_loadcnt 0x0
	global_load_b128 v[16:19], v[12:13], off offset:-8
	s_wait_xcnt 0x0
	v_add_nc_u64_e32 v[12:13], 8, v[12:13]
	s_and_not1_b32 s23, s23, exec_lo
	s_and_not1_b32 s22, s22, exec_lo
	s_wait_loadcnt 0x0
	v_cmp_ge_i64_e32 vcc_lo, v[16:17], v[18:19]
	s_or_b32 s25, s21, vcc_lo
	s_delay_alu instid0(SALU_CYCLE_1) | instskip(NEXT) | instid1(SALU_CYCLE_1)
	s_and_b32 s25, s25, exec_lo
	s_or_b32 s23, s23, s25
	s_branch .LBB26_196
.LBB26_199:
	s_or_b32 exec_lo, exec_lo, s7
	s_delay_alu instid0(SALU_CYCLE_1)
	s_mov_b32 s21, exec_lo
	s_or_not1_b32 s7, s20, exec_lo
.LBB26_200:
	s_or_b32 exec_lo, exec_lo, s1
	s_delay_alu instid0(SALU_CYCLE_1)
	s_and_b32 s1, s21, exec_lo
	s_xor_b32 s20, exec_lo, -1
	s_and_b32 s7, s7, exec_lo
.LBB26_201:
	s_or_b32 exec_lo, exec_lo, s52
	s_delay_alu instid0(SALU_CYCLE_1)
	s_and_not1_b32 s21, s45, exec_lo
	s_and_b32 s20, s20, exec_lo
	s_and_b32 s22, s1, exec_lo
	s_or_b32 s21, s21, s20
	s_xor_b32 s1, exec_lo, -1
	s_and_b32 s20, s7, exec_lo
.LBB26_202:
	s_or_b32 exec_lo, exec_lo, s51
	s_delay_alu instid0(SALU_CYCLE_1)
	s_and_b32 s7, s22, exec_lo
	s_and_not1_b32 s22, s45, exec_lo
	s_and_b32 s21, s21, exec_lo
	s_and_not1_b32 s23, s46, exec_lo
	s_and_b32 s1, s1, exec_lo
	s_or_b32 s21, s22, s21
	s_or_b32 s23, s23, s1
	s_xor_b32 s1, exec_lo, -1
	s_and_b32 s22, s20, exec_lo
.LBB26_203:
	s_or_b32 exec_lo, exec_lo, s50
	s_delay_alu instid0(SALU_CYCLE_1)
	s_and_not1_b32 s20, s45, exec_lo
	s_and_b32 s24, s21, exec_lo
	s_and_b32 s21, s7, exec_lo
	s_or_b32 s7, s20, s24
	s_and_not1_b32 s20, s46, exec_lo
	s_and_b32 s23, s23, exec_lo
	s_and_not1_b32 s24, s44, exec_lo
	s_and_b32 s1, s1, exec_lo
	s_or_b32 s20, s20, s23
	s_or_b32 s1, s24, s1
	s_or_not1_b32 s23, s22, exec_lo
.LBB26_204:
	s_or_b32 exec_lo, exec_lo, s49
	s_mov_b32 s24, 0
	s_and_saveexec_b32 s22, s23
	s_cbranch_execz .LBB26_208
; %bb.205:
	v_or_b32_e32 v12, 0x300, v0
	s_mov_b32 s23, 0
	s_mov_b32 s24, -1
	s_mov_b32 s25, s1
	s_mov_b32 s26, exec_lo
	v_cmpx_gt_i32_e64 s33, v12
	s_xor_b32 s26, exec_lo, s26
	s_cbranch_execz .LBB26_207
; %bb.206:
	s_wait_loadcnt 0x3
	v_cmp_ne_u64_e32 vcc_lo, s[8:9], v[10:11]
	s_xor_b32 s8, s38, -1
	s_and_not1_b32 s9, s1, exec_lo
	s_mov_b32 s23, exec_lo
	s_xor_b32 s24, exec_lo, -1
	s_or_b32 s8, s8, vcc_lo
	s_delay_alu instid0(SALU_CYCLE_1) | instskip(NEXT) | instid1(SALU_CYCLE_1)
	s_and_b32 s8, s8, exec_lo
	s_or_b32 s25, s9, s8
.LBB26_207:
	s_or_b32 exec_lo, exec_lo, s26
	s_delay_alu instid0(SALU_CYCLE_1)
	s_and_not1_b32 s1, s1, exec_lo
	s_and_b32 s8, s25, exec_lo
	s_and_b32 s24, s24, exec_lo
	s_and_not1_b32 s21, s21, exec_lo
	s_and_b32 s48, s23, exec_lo
	s_or_b32 s1, s1, s8
.LBB26_208:
	s_or_b32 exec_lo, exec_lo, s22
	s_delay_alu instid0(SALU_CYCLE_1)
	s_and_not1_b32 s8, s40, exec_lo
	s_and_b32 s9, s21, exec_lo
	s_and_b32 s7, s7, exec_lo
	s_or_b32 s40, s8, s9
	s_and_not1_b32 s8, s45, exec_lo
	s_and_not1_b32 s9, s46, exec_lo
	s_and_b32 s20, s20, exec_lo
	s_or_b32 s45, s8, s7
	s_and_not1_b32 s7, s44, exec_lo
	s_and_b32 s1, s1, exec_lo
	s_and_b32 s21, s24, exec_lo
	s_or_b32 s46, s9, s20
	s_and_b32 s48, s48, exec_lo
	s_or_b32 s44, s7, s1
.LBB26_209:
	s_or_b32 exec_lo, exec_lo, s47
	s_delay_alu instid0(SALU_CYCLE_1)
	s_and_not1_b32 s1, s37, exec_lo
	s_and_b32 s7, s40, exec_lo
	s_and_not1_b32 s8, s41, exec_lo
	s_or_b32 s37, s1, s7
	s_and_not1_b32 s1, s39, exec_lo
	s_and_b32 s7, s45, exec_lo
	s_and_b32 s9, s46, exec_lo
	s_or_b32 s39, s1, s7
	s_and_not1_b32 s1, s42, exec_lo
	s_and_b32 s7, s44, exec_lo
	s_and_b32 s40, s21, exec_lo
	s_or_b32 s41, s8, s9
	s_and_b32 s44, s48, exec_lo
	s_or_b32 s42, s1, s7
	s_or_b32 exec_lo, exec_lo, s43
	s_and_saveexec_b32 s1, s42
	s_cbranch_execz .LBB26_87
.LBB26_210:
	s_or_b32 s17, s17, exec_lo
	s_and_not1_b32 s44, s44, exec_lo
	s_trap 2
	s_branch .LBB26_87
.LBB26_211:
	s_mov_b32 s17, exec_lo
	s_and_not1_b32 s28, s28, exec_lo
	s_trap 2
	s_branch .LBB26_65
.LBB26_212:
	s_or_b32 s17, s17, exec_lo
	s_and_not1_b32 s29, s29, exec_lo
	s_trap 2
	s_branch .LBB26_68
.LBB26_213:
	s_or_b32 s17, s17, exec_lo
	s_and_not1_b32 s1, s1, exec_lo
	s_trap 2
	s_branch .LBB26_90
	.section	.rodata,"a",@progbits
	.p2align	6, 0x0
	.amdhsa_kernel _ZN2at6native29vectorized_elementwise_kernelILi4EZZZNS0_12_GLOBAL__N_142_validate_compressed_sparse_indices_kernelILNS2_8CDimNameE0ENS2_18CUDAKernelLauncherENS2_14EmptyVecKernelENS2_8DummyVecELm8EEEvRKNS_6TensorESA_lllENKUlvE1_clEvENKUlvE0_clEvEUllllllE_St5arrayIPcLm6EEEEviT0_T1_
		.amdhsa_group_segment_fixed_size 0
		.amdhsa_private_segment_fixed_size 0
		.amdhsa_kernarg_size 224
		.amdhsa_user_sgpr_count 2
		.amdhsa_user_sgpr_dispatch_ptr 0
		.amdhsa_user_sgpr_queue_ptr 0
		.amdhsa_user_sgpr_kernarg_segment_ptr 1
		.amdhsa_user_sgpr_dispatch_id 0
		.amdhsa_user_sgpr_kernarg_preload_length 0
		.amdhsa_user_sgpr_kernarg_preload_offset 0
		.amdhsa_user_sgpr_private_segment_size 0
		.amdhsa_wavefront_size32 1
		.amdhsa_uses_dynamic_stack 0
		.amdhsa_enable_private_segment 0
		.amdhsa_system_sgpr_workgroup_id_x 1
		.amdhsa_system_sgpr_workgroup_id_y 0
		.amdhsa_system_sgpr_workgroup_id_z 0
		.amdhsa_system_sgpr_workgroup_info 0
		.amdhsa_system_vgpr_workitem_id 0
		.amdhsa_next_free_vgpr 60
		.amdhsa_next_free_sgpr 69
		.amdhsa_named_barrier_count 0
		.amdhsa_reserve_vcc 1
		.amdhsa_float_round_mode_32 0
		.amdhsa_float_round_mode_16_64 0
		.amdhsa_float_denorm_mode_32 3
		.amdhsa_float_denorm_mode_16_64 3
		.amdhsa_fp16_overflow 0
		.amdhsa_memory_ordered 1
		.amdhsa_forward_progress 1
		.amdhsa_inst_pref_size 103
		.amdhsa_round_robin_scheduling 0
		.amdhsa_exception_fp_ieee_invalid_op 0
		.amdhsa_exception_fp_denorm_src 0
		.amdhsa_exception_fp_ieee_div_zero 0
		.amdhsa_exception_fp_ieee_overflow 0
		.amdhsa_exception_fp_ieee_underflow 0
		.amdhsa_exception_fp_ieee_inexact 0
		.amdhsa_exception_int_div_zero 0
	.end_amdhsa_kernel
	.section	.text._ZN2at6native29vectorized_elementwise_kernelILi4EZZZNS0_12_GLOBAL__N_142_validate_compressed_sparse_indices_kernelILNS2_8CDimNameE0ENS2_18CUDAKernelLauncherENS2_14EmptyVecKernelENS2_8DummyVecELm8EEEvRKNS_6TensorESA_lllENKUlvE1_clEvENKUlvE0_clEvEUllllllE_St5arrayIPcLm6EEEEviT0_T1_,"axG",@progbits,_ZN2at6native29vectorized_elementwise_kernelILi4EZZZNS0_12_GLOBAL__N_142_validate_compressed_sparse_indices_kernelILNS2_8CDimNameE0ENS2_18CUDAKernelLauncherENS2_14EmptyVecKernelENS2_8DummyVecELm8EEEvRKNS_6TensorESA_lllENKUlvE1_clEvENKUlvE0_clEvEUllllllE_St5arrayIPcLm6EEEEviT0_T1_,comdat
.Lfunc_end26:
	.size	_ZN2at6native29vectorized_elementwise_kernelILi4EZZZNS0_12_GLOBAL__N_142_validate_compressed_sparse_indices_kernelILNS2_8CDimNameE0ENS2_18CUDAKernelLauncherENS2_14EmptyVecKernelENS2_8DummyVecELm8EEEvRKNS_6TensorESA_lllENKUlvE1_clEvENKUlvE0_clEvEUllllllE_St5arrayIPcLm6EEEEviT0_T1_, .Lfunc_end26-_ZN2at6native29vectorized_elementwise_kernelILi4EZZZNS0_12_GLOBAL__N_142_validate_compressed_sparse_indices_kernelILNS2_8CDimNameE0ENS2_18CUDAKernelLauncherENS2_14EmptyVecKernelENS2_8DummyVecELm8EEEvRKNS_6TensorESA_lllENKUlvE1_clEvENKUlvE0_clEvEUllllllE_St5arrayIPcLm6EEEEviT0_T1_
                                        ; -- End function
	.set _ZN2at6native29vectorized_elementwise_kernelILi4EZZZNS0_12_GLOBAL__N_142_validate_compressed_sparse_indices_kernelILNS2_8CDimNameE0ENS2_18CUDAKernelLauncherENS2_14EmptyVecKernelENS2_8DummyVecELm8EEEvRKNS_6TensorESA_lllENKUlvE1_clEvENKUlvE0_clEvEUllllllE_St5arrayIPcLm6EEEEviT0_T1_.num_vgpr, 60
	.set _ZN2at6native29vectorized_elementwise_kernelILi4EZZZNS0_12_GLOBAL__N_142_validate_compressed_sparse_indices_kernelILNS2_8CDimNameE0ENS2_18CUDAKernelLauncherENS2_14EmptyVecKernelENS2_8DummyVecELm8EEEvRKNS_6TensorESA_lllENKUlvE1_clEvENKUlvE0_clEvEUllllllE_St5arrayIPcLm6EEEEviT0_T1_.num_agpr, 0
	.set _ZN2at6native29vectorized_elementwise_kernelILi4EZZZNS0_12_GLOBAL__N_142_validate_compressed_sparse_indices_kernelILNS2_8CDimNameE0ENS2_18CUDAKernelLauncherENS2_14EmptyVecKernelENS2_8DummyVecELm8EEEvRKNS_6TensorESA_lllENKUlvE1_clEvENKUlvE0_clEvEUllllllE_St5arrayIPcLm6EEEEviT0_T1_.numbered_sgpr, 69
	.set _ZN2at6native29vectorized_elementwise_kernelILi4EZZZNS0_12_GLOBAL__N_142_validate_compressed_sparse_indices_kernelILNS2_8CDimNameE0ENS2_18CUDAKernelLauncherENS2_14EmptyVecKernelENS2_8DummyVecELm8EEEvRKNS_6TensorESA_lllENKUlvE1_clEvENKUlvE0_clEvEUllllllE_St5arrayIPcLm6EEEEviT0_T1_.num_named_barrier, 0
	.set _ZN2at6native29vectorized_elementwise_kernelILi4EZZZNS0_12_GLOBAL__N_142_validate_compressed_sparse_indices_kernelILNS2_8CDimNameE0ENS2_18CUDAKernelLauncherENS2_14EmptyVecKernelENS2_8DummyVecELm8EEEvRKNS_6TensorESA_lllENKUlvE1_clEvENKUlvE0_clEvEUllllllE_St5arrayIPcLm6EEEEviT0_T1_.private_seg_size, 0
	.set _ZN2at6native29vectorized_elementwise_kernelILi4EZZZNS0_12_GLOBAL__N_142_validate_compressed_sparse_indices_kernelILNS2_8CDimNameE0ENS2_18CUDAKernelLauncherENS2_14EmptyVecKernelENS2_8DummyVecELm8EEEvRKNS_6TensorESA_lllENKUlvE1_clEvENKUlvE0_clEvEUllllllE_St5arrayIPcLm6EEEEviT0_T1_.uses_vcc, 1
	.set _ZN2at6native29vectorized_elementwise_kernelILi4EZZZNS0_12_GLOBAL__N_142_validate_compressed_sparse_indices_kernelILNS2_8CDimNameE0ENS2_18CUDAKernelLauncherENS2_14EmptyVecKernelENS2_8DummyVecELm8EEEvRKNS_6TensorESA_lllENKUlvE1_clEvENKUlvE0_clEvEUllllllE_St5arrayIPcLm6EEEEviT0_T1_.uses_flat_scratch, 0
	.set _ZN2at6native29vectorized_elementwise_kernelILi4EZZZNS0_12_GLOBAL__N_142_validate_compressed_sparse_indices_kernelILNS2_8CDimNameE0ENS2_18CUDAKernelLauncherENS2_14EmptyVecKernelENS2_8DummyVecELm8EEEvRKNS_6TensorESA_lllENKUlvE1_clEvENKUlvE0_clEvEUllllllE_St5arrayIPcLm6EEEEviT0_T1_.has_dyn_sized_stack, 0
	.set _ZN2at6native29vectorized_elementwise_kernelILi4EZZZNS0_12_GLOBAL__N_142_validate_compressed_sparse_indices_kernelILNS2_8CDimNameE0ENS2_18CUDAKernelLauncherENS2_14EmptyVecKernelENS2_8DummyVecELm8EEEvRKNS_6TensorESA_lllENKUlvE1_clEvENKUlvE0_clEvEUllllllE_St5arrayIPcLm6EEEEviT0_T1_.has_recursion, 0
	.set _ZN2at6native29vectorized_elementwise_kernelILi4EZZZNS0_12_GLOBAL__N_142_validate_compressed_sparse_indices_kernelILNS2_8CDimNameE0ENS2_18CUDAKernelLauncherENS2_14EmptyVecKernelENS2_8DummyVecELm8EEEvRKNS_6TensorESA_lllENKUlvE1_clEvENKUlvE0_clEvEUllllllE_St5arrayIPcLm6EEEEviT0_T1_.has_indirect_call, 0
	.section	.AMDGPU.csdata,"",@progbits
; Kernel info:
; codeLenInByte = 13140
; TotalNumSgprs: 71
; NumVgprs: 60
; ScratchSize: 0
; MemoryBound: 1
; FloatMode: 240
; IeeeMode: 1
; LDSByteSize: 0 bytes/workgroup (compile time only)
; SGPRBlocks: 0
; VGPRBlocks: 3
; NumSGPRsForWavesPerEU: 71
; NumVGPRsForWavesPerEU: 60
; NamedBarCnt: 0
; Occupancy: 16
; WaveLimiterHint : 1
; COMPUTE_PGM_RSRC2:SCRATCH_EN: 0
; COMPUTE_PGM_RSRC2:USER_SGPR: 2
; COMPUTE_PGM_RSRC2:TRAP_HANDLER: 0
; COMPUTE_PGM_RSRC2:TGID_X_EN: 1
; COMPUTE_PGM_RSRC2:TGID_Y_EN: 0
; COMPUTE_PGM_RSRC2:TGID_Z_EN: 0
; COMPUTE_PGM_RSRC2:TIDIG_COMP_CNT: 0
	.section	.text._ZN2at6native29vectorized_elementwise_kernelILi2EZZZNS0_12_GLOBAL__N_142_validate_compressed_sparse_indices_kernelILNS2_8CDimNameE0ENS2_18CUDAKernelLauncherENS2_14EmptyVecKernelENS2_8DummyVecELm8EEEvRKNS_6TensorESA_lllENKUlvE1_clEvENKUlvE0_clEvEUllllllE_St5arrayIPcLm6EEEEviT0_T1_,"axG",@progbits,_ZN2at6native29vectorized_elementwise_kernelILi2EZZZNS0_12_GLOBAL__N_142_validate_compressed_sparse_indices_kernelILNS2_8CDimNameE0ENS2_18CUDAKernelLauncherENS2_14EmptyVecKernelENS2_8DummyVecELm8EEEvRKNS_6TensorESA_lllENKUlvE1_clEvENKUlvE0_clEvEUllllllE_St5arrayIPcLm6EEEEviT0_T1_,comdat
	.globl	_ZN2at6native29vectorized_elementwise_kernelILi2EZZZNS0_12_GLOBAL__N_142_validate_compressed_sparse_indices_kernelILNS2_8CDimNameE0ENS2_18CUDAKernelLauncherENS2_14EmptyVecKernelENS2_8DummyVecELm8EEEvRKNS_6TensorESA_lllENKUlvE1_clEvENKUlvE0_clEvEUllllllE_St5arrayIPcLm6EEEEviT0_T1_ ; -- Begin function _ZN2at6native29vectorized_elementwise_kernelILi2EZZZNS0_12_GLOBAL__N_142_validate_compressed_sparse_indices_kernelILNS2_8CDimNameE0ENS2_18CUDAKernelLauncherENS2_14EmptyVecKernelENS2_8DummyVecELm8EEEvRKNS_6TensorESA_lllENKUlvE1_clEvENKUlvE0_clEvEUllllllE_St5arrayIPcLm6EEEEviT0_T1_
	.p2align	8
	.type	_ZN2at6native29vectorized_elementwise_kernelILi2EZZZNS0_12_GLOBAL__N_142_validate_compressed_sparse_indices_kernelILNS2_8CDimNameE0ENS2_18CUDAKernelLauncherENS2_14EmptyVecKernelENS2_8DummyVecELm8EEEvRKNS_6TensorESA_lllENKUlvE1_clEvENKUlvE0_clEvEUllllllE_St5arrayIPcLm6EEEEviT0_T1_,@function
_ZN2at6native29vectorized_elementwise_kernelILi2EZZZNS0_12_GLOBAL__N_142_validate_compressed_sparse_indices_kernelILNS2_8CDimNameE0ENS2_18CUDAKernelLauncherENS2_14EmptyVecKernelENS2_8DummyVecELm8EEEvRKNS_6TensorESA_lllENKUlvE1_clEvENKUlvE0_clEvEUllllllE_St5arrayIPcLm6EEEEviT0_T1_: ; @_ZN2at6native29vectorized_elementwise_kernelILi2EZZZNS0_12_GLOBAL__N_142_validate_compressed_sparse_indices_kernelILNS2_8CDimNameE0ENS2_18CUDAKernelLauncherENS2_14EmptyVecKernelENS2_8DummyVecELm8EEEvRKNS_6TensorESA_lllENKUlvE1_clEvENKUlvE0_clEvEUllllllE_St5arrayIPcLm6EEEEviT0_T1_
; %bb.0:
	s_clause 0x2
	s_load_b32 s2, s[0:1], 0x0
	s_load_b128 s[12:15], s[0:1], 0xd0
	s_load_b256 s[4:11], s[0:1], 0xb0
	s_bfe_u32 s3, ttmp6, 0x4000c
	s_and_b32 s16, ttmp6, 15
	s_add_co_i32 s3, s3, 1
	s_getreg_b32 s17, hwreg(HW_REG_IB_STS2, 6, 4)
	s_mul_i32 s3, ttmp9, s3
	s_or_b64 s[18:19], s[0:1], 8
	s_add_co_i32 s16, s16, s3
	s_cmp_eq_u32 s17, 0
	s_mov_b32 s40, 0
	s_wait_xcnt 0x0
	s_cselect_b32 s0, ttmp9, s16
	s_mov_b32 s17, 0
	s_lshl_b32 s16, s0, 10
	s_mov_b32 s0, -1
	s_get_pc_i64 s[20:21]
	s_add_nc_u64 s[20:21], s[20:21], .str.1@rel64+4
	s_wait_kmcnt 0x0
	s_sub_co_i32 s33, s2, s16
	s_delay_alu instid0(SALU_CYCLE_1)
	s_cmp_gt_i32 s33, 0x3ff
	s_cbranch_scc0 .LBB27_75
; %bb.1:
	s_ashr_i32 s17, s16, 31
	s_load_b128 s[0:3], s[18:19], 0x0
	s_lshl_b64 s[22:23], s[16:17], 3
	s_cmp_lg_u64 s[20:21], 0
	s_add_nc_u64 s[28:29], s[6:7], s[22:23]
	v_mov_b32_e32 v27, 0
	global_load_b128 v[14:17], v0, s[28:29] scale_offset
	s_mov_b32 s31, -1
	s_mov_b32 s17, 0
	s_mov_b32 s30, 0
	;; [unrolled: 1-line block ×4, first 2 shown]
                                        ; implicit-def: $sgpr42
                                        ; implicit-def: $sgpr26
                                        ; implicit-def: $sgpr41
                                        ; implicit-def: $sgpr24_sgpr25
                                        ; implicit-def: $vgpr18_vgpr19_vgpr20_vgpr21
                                        ; implicit-def: $vgpr2_vgpr3_vgpr4_vgpr5
                                        ; implicit-def: $vgpr6_vgpr7_vgpr8_vgpr9
                                        ; implicit-def: $vgpr22_vgpr23_vgpr24_vgpr25
                                        ; implicit-def: $vgpr10_vgpr11
	s_wait_loadcnt 0x0
	s_wait_kmcnt 0x0
	v_cmp_eq_u64_e32 vcc_lo, s[0:1], v[14:15]
	s_cselect_b32 s1, -1, 0
	s_mov_b32 s0, 0
	s_and_b32 s34, s1, vcc_lo
                                        ; implicit-def: $sgpr1
	s_delay_alu instid0(SALU_CYCLE_1)
	s_and_saveexec_b32 s43, s34
	s_cbranch_execz .LBB27_64
; %bb.2:
	s_add_nc_u64 s[30:31], s[8:9], s[22:23]
	s_load_b64 s[0:1], s[18:19], 0x10
	global_load_b128 v[10:13], v0, s[30:31] scale_offset
	s_get_pc_i64 s[24:25]
	s_add_nc_u64 s[24:25], s[24:25], .str.2@rel64+4
	s_mov_b32 s34, 0
	s_cmp_lg_u64 s[24:25], 0
	s_mov_b32 s35, 0
	s_mov_b32 s37, 0
                                        ; implicit-def: $sgpr45
                                        ; implicit-def: $sgpr42
                                        ; implicit-def: $sgpr26
                                        ; implicit-def: $sgpr41
                                        ; implicit-def: $sgpr24_sgpr25
                                        ; implicit-def: $vgpr18_vgpr19_vgpr20_vgpr21
                                        ; implicit-def: $vgpr2_vgpr3_vgpr4_vgpr5
                                        ; implicit-def: $vgpr6_vgpr7_vgpr8_vgpr9
                                        ; implicit-def: $vgpr22_vgpr23_vgpr24_vgpr25
	s_wait_loadcnt 0x0
	s_wait_kmcnt 0x0
	v_cmp_eq_u64_e32 vcc_lo, s[0:1], v[10:11]
	s_cselect_b32 s1, -1, 0
	s_mov_b32 s0, -1
	s_and_b32 s1, s1, vcc_lo
	s_delay_alu instid0(SALU_CYCLE_1)
	s_and_saveexec_b32 s44, s1
	s_cbranch_execz .LBB27_63
; %bb.3:
	s_add_nc_u64 s[34:35], s[10:11], s[22:23]
	s_add_nc_u64 s[36:37], s[12:13], s[22:23]
	s_clause 0x1
	global_load_b128 v[34:37], v0, s[34:35] scale_offset
	global_load_b128 v[30:33], v0, s[36:37] scale_offset
	s_get_pc_i64 s[24:25]
	s_add_nc_u64 s[24:25], s[24:25], .str.3@rel64+4
	s_mov_b32 s1, -1
	s_cmp_lg_u64 s[24:25], 0
	s_mov_b32 s38, 0
	s_cselect_b32 s24, -1, 0
	s_mov_b32 s39, 0
	s_mov_b32 s46, 0
                                        ; implicit-def: $sgpr48
                                        ; implicit-def: $sgpr42
                                        ; implicit-def: $sgpr26
                                        ; implicit-def: $sgpr41
                                        ; implicit-def: $vgpr18_vgpr19_vgpr20_vgpr21
                                        ; implicit-def: $vgpr6_vgpr7_vgpr8_vgpr9
                                        ; implicit-def: $vgpr22_vgpr23_vgpr24_vgpr25
	s_wait_loadcnt 0x0
	v_sub_nc_u64_e32 v[2:3], v[30:31], v[34:35]
	s_delay_alu instid0(VALU_DEP_1) | instskip(SKIP_2) | instid1(SALU_CYCLE_1)
	v_cmp_le_i64_e32 vcc_lo, v[14:15], v[2:3]
	v_cmp_ge_i64_e64 s0, s[2:3], v[2:3]
                                        ; implicit-def: $vgpr2_vgpr3_vgpr4_vgpr5
	s_and_b32 s0, vcc_lo, s0
	s_and_b32 s0, s24, s0
                                        ; implicit-def: $sgpr24_sgpr25
	s_delay_alu instid0(SALU_CYCLE_1)
	s_and_saveexec_b32 s45, s0
	s_cbranch_execz .LBB27_62
; %bb.4:
	v_dual_lshlrev_b32 v26, 4, v0 :: v_dual_mov_b32 v42, 0
	s_add_nc_u64 s[0:1], s[14:15], s[22:23]
	v_cmp_lt_i64_e32 vcc_lo, 0, v[10:11]
	s_delay_alu instid0(VALU_DEP_2) | instskip(SKIP_2) | instid1(VALU_DEP_1)
	v_add_nc_u64_e32 v[44:45], s[28:29], v[26:27]
	v_add_nc_u64_e32 v[46:47], s[30:31], v[26:27]
	v_mov_b32_e32 v27, v42
	v_add_nc_u64_e32 v[48:49], s[34:35], v[26:27]
	v_add_nc_u64_e32 v[50:51], s[36:37], v[26:27]
	global_load_b128 v[26:29], v[44:45], off offset:4096
	global_load_b128 v[22:25], v[46:47], off offset:4096
	;; [unrolled: 1-line block ×4, first 2 shown]
	s_clause 0x1
	global_load_b128 v[38:41], v0, s[0:1] scale_offset
	global_load_b128 v[18:21], v0, s[0:1] offset:4096 scale_offset
	s_clause 0x1
	s_load_b32 s41, s[18:19], 0x18
	s_load_b64 s[24:25], s[18:19], 0xa0
	v_mov_b64_e32 v[44:45], 0
	s_wait_kmcnt 0x0
	s_add_co_i32 s26, s41, -1
	s_delay_alu instid0(SALU_CYCLE_1) | instskip(SKIP_1) | instid1(SALU_CYCLE_1)
	s_cmp_gt_i32 s26, -1
	s_cselect_b32 s0, -1, 0
	s_and_b32 s46, vcc_lo, s0
	s_delay_alu instid0(SALU_CYCLE_1)
	s_and_saveexec_b32 s42, s46
	s_cbranch_execz .LBB27_11
; %bb.5:
	s_wait_loadcnt 0x1
	v_mul_u64_e32 v[38:39], v[38:39], v[10:11]
	s_ashr_i32 s27, s26, 31
	v_mov_b64_e32 v[44:45], 0
	s_lshl_b64 s[0:1], s[26:27], 3
	s_mov_b64 s[28:29], 0xffffffff
	s_add_nc_u64 s[0:1], s[18:19], s[0:1]
	s_mov_b32 s27, s41
	s_add_nc_u64 s[30:31], s[0:1], 32
	s_mov_b32 s1, 0
	s_branch .LBB27_7
.LBB27_6:                               ;   in Loop: Header=BB27_7 Depth=1
	s_or_b32 exec_lo, exec_lo, s0
	s_delay_alu instid0(VALU_DEP_1)
	v_mul_u64_e32 v[48:49], s[34:35], v[46:47]
	s_load_b64 s[34:35], s[30:31], 0x40
	s_add_co_i32 s27, s27, -1
	s_wait_xcnt 0x0
	s_add_nc_u64 s[30:31], s[30:31], -8
	s_cmp_eq_u32 s27, 0
	s_delay_alu instid0(VALU_DEP_1) | instskip(SKIP_1) | instid1(VALU_DEP_1)
	v_sub_nc_u64_e32 v[38:39], v[38:39], v[48:49]
	s_wait_kmcnt 0x0
	v_mad_nc_u64_u32 v[44:45], v38, s34, v[44:45]
	s_delay_alu instid0(VALU_DEP_1) | instskip(NEXT) | instid1(VALU_DEP_1)
	v_mad_u32 v1, v39, s34, v45
	v_mad_u32 v45, v38, s35, v1
	v_mov_b64_e32 v[38:39], v[46:47]
	s_cbranch_scc1 .LBB27_11
.LBB27_7:                               ; =>This Inner Loop Header: Depth=1
	s_load_b64 s[34:35], s[30:31], 0x0
                                        ; implicit-def: $vgpr46_vgpr47
	s_mov_b32 s0, exec_lo
	s_wait_kmcnt 0x0
	s_delay_alu instid0(VALU_DEP_1) | instskip(NEXT) | instid1(VALU_DEP_1)
	v_or_b32_e32 v43, s35, v39
	v_cmpx_ne_u64_e32 0, v[42:43]
	s_xor_b32 s47, exec_lo, s0
	s_cbranch_execz .LBB27_9
; %bb.8:                                ;   in Loop: Header=BB27_7 Depth=1
	s_ashr_i32 s36, s35, 31
	v_dual_mov_b32 v51, v42 :: v_dual_ashrrev_i32 v46, 31, v39
	s_mov_b32 s37, s36
	v_mov_b32_e32 v59, v42
	s_add_nc_u64 s[38:39], s[34:35], s[36:37]
	s_delay_alu instid0(VALU_DEP_2) | instskip(SKIP_1) | instid1(SALU_CYCLE_1)
	v_mov_b32_e32 v47, v46
	s_xor_b64 s[38:39], s[38:39], s[36:37]
	s_cvt_f32_u32 s0, s38
	s_cvt_f32_u32 s37, s39
	s_sub_nc_u64 s[50:51], 0, s[38:39]
	v_add_nc_u64_e32 v[48:49], v[38:39], v[46:47]
	v_mov_b32_e32 v55, v42
	s_fmamk_f32 s0, s37, 0x4f800000, s0
	s_delay_alu instid0(SALU_CYCLE_3) | instskip(NEXT) | instid1(VALU_DEP_2)
	v_s_rcp_f32 s0, s0
	v_xor_b32_e32 v50, v48, v46
	s_delay_alu instid0(VALU_DEP_3) | instskip(SKIP_1) | instid1(TRANS32_DEP_1)
	v_xor_b32_e32 v54, v49, v46
	v_xor_b32_e32 v46, s36, v46
	s_mul_f32 s0, s0, 0x5f7ffffc
	s_delay_alu instid0(SALU_CYCLE_3) | instskip(NEXT) | instid1(SALU_CYCLE_3)
	s_mul_f32 s37, s0, 0x2f800000
	s_trunc_f32 s37, s37
	s_delay_alu instid0(SALU_CYCLE_3) | instskip(SKIP_1) | instid1(SALU_CYCLE_2)
	s_fmamk_f32 s0, s37, 0xcf800000, s0
	s_cvt_u32_f32 s49, s37
	s_cvt_u32_f32 s48, s0
	s_delay_alu instid0(SALU_CYCLE_3) | instskip(NEXT) | instid1(SALU_CYCLE_1)
	s_mul_u64 s[52:53], s[50:51], s[48:49]
	s_mul_hi_u32 s55, s48, s53
	s_mul_i32 s54, s48, s53
	s_mul_hi_u32 s0, s48, s52
	s_mul_i32 s56, s49, s52
	s_add_nc_u64 s[54:55], s[0:1], s[54:55]
	s_mul_hi_u32 s37, s49, s52
	s_mul_hi_u32 s57, s49, s53
	s_add_co_u32 s0, s54, s56
	s_add_co_ci_u32 s0, s55, s37
	s_mul_i32 s52, s49, s53
	s_add_co_ci_u32 s53, s57, 0
	s_delay_alu instid0(SALU_CYCLE_1) | instskip(NEXT) | instid1(SALU_CYCLE_1)
	s_add_nc_u64 s[52:53], s[0:1], s[52:53]
	s_add_co_u32 s48, s48, s52
	s_cselect_b32 s0, -1, 0
	s_delay_alu instid0(SALU_CYCLE_1) | instskip(SKIP_1) | instid1(SALU_CYCLE_1)
	s_cmp_lg_u32 s0, 0
	s_add_co_ci_u32 s49, s49, s53
	s_mul_u64 s[50:51], s[50:51], s[48:49]
	s_delay_alu instid0(SALU_CYCLE_1)
	s_mul_hi_u32 s53, s48, s51
	s_mul_i32 s52, s48, s51
	s_mul_hi_u32 s0, s48, s50
	s_mul_i32 s54, s49, s50
	s_add_nc_u64 s[52:53], s[0:1], s[52:53]
	s_mul_hi_u32 s37, s49, s50
	s_mul_hi_u32 s55, s49, s51
	s_add_co_u32 s0, s52, s54
	s_add_co_ci_u32 s0, s53, s37
	s_mul_i32 s50, s49, s51
	s_add_co_ci_u32 s51, s55, 0
	s_delay_alu instid0(SALU_CYCLE_1) | instskip(NEXT) | instid1(SALU_CYCLE_1)
	s_add_nc_u64 s[50:51], s[0:1], s[50:51]
	s_add_co_u32 s48, s48, s50
	s_cselect_b32 s0, -1, 0
	v_mul_hi_u32 v58, v50, s48
	s_cmp_lg_u32 s0, 0
	s_add_co_ci_u32 s0, s49, s51
	s_and_b64 s[50:51], s[48:49], s[28:29]
	v_mul_u64_e32 v[52:53], s[0:1], v[50:51]
	v_mul_u64_e32 v[48:49], s[50:51], v[54:55]
	;; [unrolled: 1-line block ×3, first 2 shown]
	s_delay_alu instid0(VALU_DEP_3) | instskip(NEXT) | instid1(VALU_DEP_1)
	v_add_nc_u64_e32 v[52:53], v[58:59], v[52:53]
	v_add_co_u32 v1, vcc_lo, v52, v48
	s_delay_alu instid0(VALU_DEP_2) | instskip(NEXT) | instid1(VALU_DEP_4)
	v_add_co_ci_u32_e32 v58, vcc_lo, v53, v49, vcc_lo
	v_add_co_ci_u32_e32 v57, vcc_lo, 0, v57, vcc_lo
	s_delay_alu instid0(VALU_DEP_1) | instskip(NEXT) | instid1(VALU_DEP_1)
	v_add_nc_u64_e32 v[48:49], v[58:59], v[56:57]
	v_mul_u64_e32 v[52:53], s[38:39], v[48:49]
	s_delay_alu instid0(VALU_DEP_1) | instskip(NEXT) | instid1(VALU_DEP_2)
	v_sub_nc_u32_e32 v1, v54, v53
	v_sub_co_u32 v43, vcc_lo, v50, v52
	s_delay_alu instid0(VALU_DEP_1) | instskip(NEXT) | instid1(VALU_DEP_3)
	v_sub_co_ci_u32_e64 v54, null, v54, v53, vcc_lo
	v_subrev_co_ci_u32_e64 v1, null, s39, v1, vcc_lo
	s_delay_alu instid0(VALU_DEP_3) | instskip(SKIP_1) | instid1(VALU_DEP_3)
	v_sub_co_u32 v47, s0, v43, s38
	v_add_nc_u64_e32 v[52:53], 1, v[48:49]
	v_subrev_co_ci_u32_e64 v1, null, 0, v1, s0
	s_delay_alu instid0(VALU_DEP_3) | instskip(SKIP_1) | instid1(VALU_DEP_3)
	v_cmp_le_u32_e32 vcc_lo, s38, v47
	v_cndmask_b32_e64 v47, 0, -1, vcc_lo
	v_cmp_le_u32_e32 vcc_lo, s39, v1
	v_cndmask_b32_e64 v50, 0, -1, vcc_lo
	;; [unrolled: 2-line block ×4, first 2 shown]
	v_cmp_eq_u32_e32 vcc_lo, s39, v1
	v_cndmask_b32_e32 v1, v50, v47, vcc_lo
	v_cmp_eq_u32_e32 vcc_lo, s39, v54
	v_add_nc_u64_e32 v[50:51], 2, v[48:49]
	v_dual_mov_b32 v47, v46 :: v_dual_cndmask_b32 v43, v55, v43, vcc_lo
	s_delay_alu instid0(VALU_DEP_4) | instskip(NEXT) | instid1(VALU_DEP_2)
	v_cmp_ne_u32_e32 vcc_lo, 0, v1
	v_cmp_ne_u32_e64 s0, 0, v43
	s_delay_alu instid0(VALU_DEP_4) | instskip(NEXT) | instid1(VALU_DEP_1)
	v_dual_cndmask_b32 v1, v53, v51, vcc_lo :: v_dual_cndmask_b32 v43, v52, v50, vcc_lo
	v_dual_cndmask_b32 v1, v49, v1, s0 :: v_dual_cndmask_b32 v43, v48, v43, s0
	s_delay_alu instid0(VALU_DEP_1) | instskip(NEXT) | instid1(VALU_DEP_2)
	v_xor_b32_e32 v49, v1, v46
	v_xor_b32_e32 v48, v43, v46
	s_delay_alu instid0(VALU_DEP_1)
	v_sub_nc_u64_e32 v[46:47], v[48:49], v[46:47]
.LBB27_9:                               ;   in Loop: Header=BB27_7 Depth=1
	s_and_not1_saveexec_b32 s0, s47
	s_cbranch_execz .LBB27_6
; %bb.10:                               ;   in Loop: Header=BB27_7 Depth=1
	v_cvt_f32_u32_e32 v1, s34
	s_sub_co_i32 s36, 0, s34
	s_delay_alu instid0(VALU_DEP_1) | instskip(SKIP_1) | instid1(TRANS32_DEP_1)
	v_rcp_iflag_f32_e32 v1, v1
	v_nop
	v_mul_f32_e32 v1, 0x4f7ffffe, v1
	s_delay_alu instid0(VALU_DEP_1) | instskip(NEXT) | instid1(VALU_DEP_1)
	v_cvt_u32_f32_e32 v1, v1
	v_mul_lo_u32 v43, s36, v1
	s_delay_alu instid0(VALU_DEP_1) | instskip(NEXT) | instid1(VALU_DEP_1)
	v_mul_hi_u32 v43, v1, v43
	v_add_nc_u32_e32 v1, v1, v43
	s_delay_alu instid0(VALU_DEP_1) | instskip(NEXT) | instid1(VALU_DEP_1)
	v_mul_hi_u32 v1, v38, v1
	v_mul_lo_u32 v43, v1, s34
	s_delay_alu instid0(VALU_DEP_1) | instskip(NEXT) | instid1(VALU_DEP_1)
	v_sub_nc_u32_e32 v43, v38, v43
	v_subrev_nc_u32_e32 v47, s34, v43
	v_cmp_le_u32_e32 vcc_lo, s34, v43
	s_delay_alu instid0(VALU_DEP_2) | instskip(NEXT) | instid1(VALU_DEP_1)
	v_dual_cndmask_b32 v43, v43, v47 :: v_dual_add_nc_u32 v46, 1, v1
	v_dual_cndmask_b32 v1, v1, v46, vcc_lo :: v_dual_mov_b32 v47, v42
	s_delay_alu instid0(VALU_DEP_2) | instskip(NEXT) | instid1(VALU_DEP_2)
	v_cmp_le_u32_e32 vcc_lo, s34, v43
	v_add_nc_u32_e32 v46, 1, v1
	s_delay_alu instid0(VALU_DEP_1)
	v_cndmask_b32_e32 v46, v1, v46, vcc_lo
	s_branch .LBB27_6
.LBB27_11:
	s_or_b32 exec_lo, exec_lo, s42
	s_get_pc_i64 s[0:1]
	s_add_nc_u64 s[0:1], s[0:1], .str.4@rel64+4
	s_mov_b32 s30, -1
	s_cmp_lg_u64 s[0:1], 0
	s_mov_b32 s0, 0
	s_cselect_b32 s42, -1, 0
	s_mov_b32 s47, 0
	s_mov_b32 s1, exec_lo
	v_cmpx_gt_i64_e64 v[30:31], v[34:35]
	s_cbranch_execz .LBB27_17
; %bb.12:
	s_wait_loadcnt 0x1
	v_lshlrev_b64_e32 v[38:39], 3, v[44:45]
	s_mov_b32 s27, 0
	s_xor_b32 s29, s42, -1
                                        ; implicit-def: $sgpr28
                                        ; implicit-def: $sgpr31
                                        ; implicit-def: $sgpr30
	s_delay_alu instid0(VALU_DEP_1) | instskip(SKIP_1) | instid1(VALU_DEP_2)
	v_lshl_add_u64 v[34:35], v[34:35], 3, v[38:39]
	v_add_nc_u64_e32 v[38:39], s[24:25], v[38:39]
	v_add_nc_u64_e32 v[34:35], s[24:25], v[34:35]
	s_delay_alu instid0(VALU_DEP_2) | instskip(NEXT) | instid1(VALU_DEP_2)
	v_lshl_add_u64 v[30:31], v[30:31], 3, v[38:39]
	v_add_nc_u64_e32 v[34:35], 8, v[34:35]
	s_branch .LBB27_14
.LBB27_13:                              ;   in Loop: Header=BB27_14 Depth=1
	s_or_b32 exec_lo, exec_lo, s34
	s_delay_alu instid0(SALU_CYCLE_1) | instskip(NEXT) | instid1(SALU_CYCLE_1)
	s_and_b32 s34, exec_lo, s31
	s_or_b32 s27, s34, s27
	s_and_not1_b32 s28, s28, exec_lo
	s_and_b32 s34, s30, exec_lo
	s_delay_alu instid0(SALU_CYCLE_1)
	s_or_b32 s28, s28, s34
	s_and_not1_b32 exec_lo, exec_lo, s27
	s_cbranch_execz .LBB27_16
.LBB27_14:                              ; =>This Inner Loop Header: Depth=1
	s_or_b32 s30, s30, exec_lo
	s_or_b32 s31, s31, exec_lo
	s_mov_b32 s34, exec_lo
	s_delay_alu instid0(VALU_DEP_1)
	v_cmpx_lt_u64_e64 v[34:35], v[30:31]
	s_cbranch_execz .LBB27_13
; %bb.15:                               ;   in Loop: Header=BB27_14 Depth=1
	global_load_b128 v[42:45], v[34:35], off offset:-8
	s_wait_xcnt 0x0
	v_add_nc_u64_e32 v[34:35], 8, v[34:35]
	s_and_not1_b32 s31, s31, exec_lo
	s_and_not1_b32 s30, s30, exec_lo
	s_wait_loadcnt 0x0
	v_cmp_ge_i64_e32 vcc_lo, v[42:43], v[44:45]
	s_or_b32 s35, s29, vcc_lo
	s_delay_alu instid0(SALU_CYCLE_1) | instskip(NEXT) | instid1(SALU_CYCLE_1)
	s_and_b32 s35, s35, exec_lo
	s_or_b32 s31, s31, s35
	s_branch .LBB27_13
.LBB27_16:
	s_or_b32 exec_lo, exec_lo, s27
	s_delay_alu instid0(SALU_CYCLE_1)
	s_mov_b32 s47, exec_lo
	s_or_not1_b32 s30, s28, exec_lo
.LBB27_17:
	s_or_b32 exec_lo, exec_lo, s1
	s_mov_b32 s27, 0
	s_mov_b32 s28, 0
	;; [unrolled: 1-line block ×3, first 2 shown]
	s_and_saveexec_b32 s48, s30
	s_cbranch_execz .LBB27_61
; %bb.18:
	s_mov_b32 s0, -1
	s_mov_b32 s1, 0
	s_mov_b32 s30, 0
	s_mov_b32 s49, exec_lo
	v_cmpx_eq_u64_e64 v[16:17], v[14:15]
	s_cbranch_execz .LBB27_60
; %bb.19:
	s_mov_b32 s1, -1
	s_mov_b32 s0, 0
	s_mov_b32 s31, 0
	s_mov_b32 s50, exec_lo
	v_cmpx_eq_u64_e64 v[12:13], v[10:11]
	s_cbranch_execz .LBB27_59
; %bb.20:
	v_sub_nc_u64_e32 v[12:13], v[32:33], v[36:37]
	s_delay_alu instid0(VALU_DEP_1) | instskip(SKIP_2) | instid1(SALU_CYCLE_1)
	v_cmp_le_i64_e32 vcc_lo, v[14:15], v[12:13]
	v_cmp_ge_i64_e64 s0, s[2:3], v[12:13]
	s_and_b32 s0, vcc_lo, s0
	s_and_saveexec_b32 s51, s0
	s_cbranch_execz .LBB27_58
; %bb.21:
	v_mov_b64_e32 v[12:13], 0
	s_and_saveexec_b32 s52, s46
	s_cbranch_execz .LBB27_28
; %bb.22:
	s_wait_loadcnt 0x1
	v_mul_u64_e32 v[30:31], v[40:41], v[10:11]
	s_ashr_i32 s27, s26, 31
	v_mov_b64_e32 v[12:13], 0
	s_lshl_b64 s[0:1], s[26:27], 3
	v_mov_b32_e32 v16, 0
	s_add_nc_u64 s[0:1], s[18:19], s[0:1]
	s_mov_b64 s[28:29], 0xffffffff
	s_add_nc_u64 s[30:31], s[0:1], 32
	s_mov_b32 s1, 0
	s_mov_b32 s27, s41
	s_branch .LBB27_24
.LBB27_23:                              ;   in Loop: Header=BB27_24 Depth=1
	s_or_b32 exec_lo, exec_lo, s0
	s_delay_alu instid0(VALU_DEP_1)
	v_mul_u64_e32 v[38:39], s[34:35], v[34:35]
	s_load_b64 s[34:35], s[30:31], 0x40
	s_add_co_i32 s27, s27, -1
	s_wait_xcnt 0x0
	s_add_nc_u64 s[30:31], s[30:31], -8
	s_cmp_lg_u32 s27, 0
	s_delay_alu instid0(VALU_DEP_1) | instskip(SKIP_1) | instid1(VALU_DEP_1)
	v_sub_nc_u64_e32 v[30:31], v[30:31], v[38:39]
	s_wait_kmcnt 0x0
	v_mad_nc_u64_u32 v[12:13], v30, s34, v[12:13]
	s_delay_alu instid0(VALU_DEP_1) | instskip(NEXT) | instid1(VALU_DEP_1)
	v_mad_u32 v1, v31, s34, v13
	v_mad_u32 v13, v30, s35, v1
	v_mov_b64_e32 v[30:31], v[34:35]
	s_cbranch_scc0 .LBB27_28
.LBB27_24:                              ; =>This Inner Loop Header: Depth=1
	s_load_b64 s[34:35], s[30:31], 0x0
                                        ; implicit-def: $vgpr34_vgpr35
	s_mov_b32 s0, exec_lo
	s_wait_kmcnt 0x0
	s_delay_alu instid0(VALU_DEP_1) | instskip(NEXT) | instid1(VALU_DEP_1)
	v_or_b32_e32 v17, s35, v31
	v_cmpx_ne_u64_e32 0, v[16:17]
	s_xor_b32 s53, exec_lo, s0
	s_cbranch_execz .LBB27_26
; %bb.25:                               ;   in Loop: Header=BB27_24 Depth=1
	s_ashr_i32 s36, s35, 31
	v_dual_mov_b32 v41, v16 :: v_dual_ashrrev_i32 v34, 31, v31
	s_mov_b32 s37, s36
	v_mov_b32_e32 v45, v16
	s_add_nc_u64 s[38:39], s[34:35], s[36:37]
	s_delay_alu instid0(VALU_DEP_2)
	v_mov_b32_e32 v35, v34
	s_xor_b64 s[38:39], s[38:39], s[36:37]
	v_mov_b32_e32 v49, v16
	s_cvt_f32_u32 s0, s38
	s_cvt_f32_u32 s37, s39
	s_sub_nc_u64 s[56:57], 0, s[38:39]
	v_add_nc_u64_e32 v[38:39], v[30:31], v[34:35]
	s_delay_alu instid0(SALU_CYCLE_1) | instskip(NEXT) | instid1(SALU_CYCLE_3)
	s_fmamk_f32 s0, s37, 0x4f800000, s0
	v_s_rcp_f32 s0, s0
	s_delay_alu instid0(VALU_DEP_1) | instskip(NEXT) | instid1(VALU_DEP_2)
	v_xor_b32_e32 v40, v38, v34
	v_xor_b32_e32 v44, v39, v34
	s_delay_alu instid0(TRANS32_DEP_1) | instskip(NEXT) | instid1(SALU_CYCLE_3)
	s_mul_f32 s0, s0, 0x5f7ffffc
	s_mul_f32 s37, s0, 0x2f800000
	s_delay_alu instid0(SALU_CYCLE_3) | instskip(NEXT) | instid1(SALU_CYCLE_3)
	s_trunc_f32 s37, s37
	s_fmamk_f32 s0, s37, 0xcf800000, s0
	s_cvt_u32_f32 s55, s37
	s_delay_alu instid0(SALU_CYCLE_2) | instskip(NEXT) | instid1(SALU_CYCLE_3)
	s_cvt_u32_f32 s54, s0
	s_mul_u64 s[58:59], s[56:57], s[54:55]
	s_delay_alu instid0(SALU_CYCLE_1)
	s_mul_hi_u32 s61, s54, s59
	s_mul_i32 s60, s54, s59
	s_mul_hi_u32 s0, s54, s58
	s_mul_i32 s62, s55, s58
	s_add_nc_u64 s[60:61], s[0:1], s[60:61]
	s_mul_hi_u32 s37, s55, s58
	s_mul_hi_u32 s63, s55, s59
	s_add_co_u32 s0, s60, s62
	s_add_co_ci_u32 s0, s61, s37
	s_mul_i32 s58, s55, s59
	s_add_co_ci_u32 s59, s63, 0
	s_delay_alu instid0(SALU_CYCLE_1) | instskip(NEXT) | instid1(SALU_CYCLE_1)
	s_add_nc_u64 s[58:59], s[0:1], s[58:59]
	s_add_co_u32 s54, s54, s58
	s_cselect_b32 s0, -1, 0
	s_delay_alu instid0(SALU_CYCLE_1) | instskip(SKIP_1) | instid1(SALU_CYCLE_1)
	s_cmp_lg_u32 s0, 0
	s_add_co_ci_u32 s55, s55, s59
	s_mul_u64 s[56:57], s[56:57], s[54:55]
	s_delay_alu instid0(SALU_CYCLE_1)
	s_mul_hi_u32 s59, s54, s57
	s_mul_i32 s58, s54, s57
	s_mul_hi_u32 s0, s54, s56
	s_mul_i32 s60, s55, s56
	s_add_nc_u64 s[58:59], s[0:1], s[58:59]
	s_mul_hi_u32 s37, s55, s56
	s_mul_hi_u32 s61, s55, s57
	s_add_co_u32 s0, s58, s60
	s_add_co_ci_u32 s0, s59, s37
	s_mul_i32 s56, s55, s57
	s_add_co_ci_u32 s57, s61, 0
	s_delay_alu instid0(SALU_CYCLE_1) | instskip(NEXT) | instid1(SALU_CYCLE_1)
	s_add_nc_u64 s[56:57], s[0:1], s[56:57]
	s_add_co_u32 s54, s54, s56
	s_cselect_b32 s0, -1, 0
	v_mul_hi_u32 v48, v40, s54
	s_cmp_lg_u32 s0, 0
	s_add_co_ci_u32 s0, s55, s57
	s_and_b64 s[56:57], s[54:55], s[28:29]
	v_mul_u64_e32 v[42:43], s[0:1], v[40:41]
	v_mul_u64_e32 v[38:39], s[56:57], v[44:45]
	;; [unrolled: 1-line block ×3, first 2 shown]
	s_delay_alu instid0(VALU_DEP_3) | instskip(NEXT) | instid1(VALU_DEP_1)
	v_add_nc_u64_e32 v[42:43], v[48:49], v[42:43]
	v_add_co_u32 v1, vcc_lo, v42, v38
	s_delay_alu instid0(VALU_DEP_2) | instskip(NEXT) | instid1(VALU_DEP_4)
	v_add_co_ci_u32_e32 v48, vcc_lo, v43, v39, vcc_lo
	v_add_co_ci_u32_e32 v47, vcc_lo, 0, v47, vcc_lo
	s_delay_alu instid0(VALU_DEP_1) | instskip(NEXT) | instid1(VALU_DEP_1)
	v_add_nc_u64_e32 v[38:39], v[48:49], v[46:47]
	v_mul_u64_e32 v[42:43], s[38:39], v[38:39]
	s_delay_alu instid0(VALU_DEP_1) | instskip(NEXT) | instid1(VALU_DEP_2)
	v_sub_nc_u32_e32 v1, v44, v43
	v_sub_co_u32 v17, vcc_lo, v40, v42
	s_delay_alu instid0(VALU_DEP_1) | instskip(NEXT) | instid1(VALU_DEP_3)
	v_sub_co_ci_u32_e64 v44, null, v44, v43, vcc_lo
	v_subrev_co_ci_u32_e64 v1, null, s39, v1, vcc_lo
	s_delay_alu instid0(VALU_DEP_3) | instskip(SKIP_1) | instid1(VALU_DEP_3)
	v_sub_co_u32 v35, s0, v17, s38
	v_add_nc_u64_e32 v[42:43], 1, v[38:39]
	v_subrev_co_ci_u32_e64 v1, null, 0, v1, s0
	s_delay_alu instid0(VALU_DEP_3) | instskip(SKIP_1) | instid1(VALU_DEP_3)
	v_cmp_le_u32_e32 vcc_lo, s38, v35
	v_cndmask_b32_e64 v35, 0, -1, vcc_lo
	v_cmp_le_u32_e32 vcc_lo, s39, v1
	v_cndmask_b32_e64 v40, 0, -1, vcc_lo
	;; [unrolled: 2-line block ×4, first 2 shown]
	v_cmp_eq_u32_e32 vcc_lo, s39, v1
	v_cndmask_b32_e32 v1, v40, v35, vcc_lo
	v_cmp_eq_u32_e32 vcc_lo, s39, v44
	v_add_nc_u64_e32 v[40:41], 2, v[38:39]
	v_cndmask_b32_e32 v17, v45, v17, vcc_lo
	s_delay_alu instid0(VALU_DEP_4) | instskip(NEXT) | instid1(VALU_DEP_2)
	v_cmp_ne_u32_e32 vcc_lo, 0, v1
	v_cmp_ne_u32_e64 s0, 0, v17
	s_delay_alu instid0(VALU_DEP_4) | instskip(NEXT) | instid1(VALU_DEP_1)
	v_dual_cndmask_b32 v1, v43, v41, vcc_lo :: v_dual_cndmask_b32 v17, v42, v40, vcc_lo
	v_dual_cndmask_b32 v1, v39, v1, s0 :: v_dual_bitop2_b32 v34, s36, v34 bitop3:0x14
	s_delay_alu instid0(VALU_DEP_1) | instskip(NEXT) | instid1(VALU_DEP_1)
	v_dual_cndmask_b32 v17, v38, v17, s0 :: v_dual_bitop2_b32 v39, v1, v34 bitop3:0x14
	v_dual_mov_b32 v35, v34 :: v_dual_bitop2_b32 v38, v17, v34 bitop3:0x14
	s_delay_alu instid0(VALU_DEP_1)
	v_sub_nc_u64_e32 v[34:35], v[38:39], v[34:35]
.LBB27_26:                              ;   in Loop: Header=BB27_24 Depth=1
	s_and_not1_saveexec_b32 s0, s53
	s_cbranch_execz .LBB27_23
; %bb.27:                               ;   in Loop: Header=BB27_24 Depth=1
	v_cvt_f32_u32_e32 v1, s34
	s_sub_co_i32 s36, 0, s34
	s_delay_alu instid0(VALU_DEP_1) | instskip(SKIP_1) | instid1(TRANS32_DEP_1)
	v_rcp_iflag_f32_e32 v1, v1
	v_nop
	v_mul_f32_e32 v1, 0x4f7ffffe, v1
	s_delay_alu instid0(VALU_DEP_1) | instskip(NEXT) | instid1(VALU_DEP_1)
	v_cvt_u32_f32_e32 v1, v1
	v_mul_lo_u32 v17, s36, v1
	s_delay_alu instid0(VALU_DEP_1) | instskip(NEXT) | instid1(VALU_DEP_1)
	v_mul_hi_u32 v17, v1, v17
	v_add_nc_u32_e32 v1, v1, v17
	s_delay_alu instid0(VALU_DEP_1) | instskip(NEXT) | instid1(VALU_DEP_1)
	v_mul_hi_u32 v1, v30, v1
	v_mul_lo_u32 v17, v1, s34
	s_delay_alu instid0(VALU_DEP_1) | instskip(NEXT) | instid1(VALU_DEP_1)
	v_sub_nc_u32_e32 v17, v30, v17
	v_subrev_nc_u32_e32 v35, s34, v17
	v_cmp_le_u32_e32 vcc_lo, s34, v17
	s_delay_alu instid0(VALU_DEP_2) | instskip(NEXT) | instid1(VALU_DEP_1)
	v_dual_cndmask_b32 v17, v17, v35 :: v_dual_add_nc_u32 v34, 1, v1
	v_dual_cndmask_b32 v1, v1, v34, vcc_lo :: v_dual_mov_b32 v35, v16
	s_delay_alu instid0(VALU_DEP_2) | instskip(NEXT) | instid1(VALU_DEP_2)
	v_cmp_le_u32_e32 vcc_lo, s34, v17
	v_add_nc_u32_e32 v34, 1, v1
	s_delay_alu instid0(VALU_DEP_1)
	v_cndmask_b32_e32 v34, v1, v34, vcc_lo
	s_branch .LBB27_23
.LBB27_28:
	s_or_b32 exec_lo, exec_lo, s52
	s_mov_b32 s30, -1
	s_mov_b32 s0, 0
	s_mov_b32 s52, 0
	s_mov_b32 s1, exec_lo
	v_cmpx_gt_i64_e64 v[32:33], v[36:37]
	s_cbranch_execz .LBB27_34
; %bb.29:
	s_delay_alu instid0(VALU_DEP_2) | instskip(SKIP_2) | instid1(VALU_DEP_1)
	v_lshlrev_b64_e32 v[12:13], 3, v[12:13]
	s_mov_b32 s27, 0
	s_xor_b32 s29, s42, -1
                                        ; implicit-def: $sgpr28
                                        ; implicit-def: $sgpr31
                                        ; implicit-def: $sgpr30
	v_lshl_add_u64 v[16:17], v[36:37], 3, v[12:13]
	v_add_nc_u64_e32 v[30:31], s[24:25], v[12:13]
	s_delay_alu instid0(VALU_DEP_2) | instskip(NEXT) | instid1(VALU_DEP_1)
	v_add_nc_u64_e32 v[16:17], s[24:25], v[16:17]
	v_add_nc_u64_e32 v[12:13], 8, v[16:17]
	s_delay_alu instid0(VALU_DEP_3)
	v_lshl_add_u64 v[16:17], v[32:33], 3, v[30:31]
	s_branch .LBB27_31
.LBB27_30:                              ;   in Loop: Header=BB27_31 Depth=1
	s_or_b32 exec_lo, exec_lo, s34
	s_delay_alu instid0(SALU_CYCLE_1) | instskip(NEXT) | instid1(SALU_CYCLE_1)
	s_and_b32 s34, exec_lo, s31
	s_or_b32 s27, s34, s27
	s_and_not1_b32 s28, s28, exec_lo
	s_and_b32 s34, s30, exec_lo
	s_delay_alu instid0(SALU_CYCLE_1)
	s_or_b32 s28, s28, s34
	s_and_not1_b32 exec_lo, exec_lo, s27
	s_cbranch_execz .LBB27_33
.LBB27_31:                              ; =>This Inner Loop Header: Depth=1
	s_or_b32 s30, s30, exec_lo
	s_or_b32 s31, s31, exec_lo
	s_mov_b32 s34, exec_lo
	s_delay_alu instid0(VALU_DEP_2)
	v_cmpx_lt_u64_e64 v[12:13], v[16:17]
	s_cbranch_execz .LBB27_30
; %bb.32:                               ;   in Loop: Header=BB27_31 Depth=1
	global_load_b128 v[30:33], v[12:13], off offset:-8
	s_and_not1_b32 s31, s31, exec_lo
	s_wait_xcnt 0x0
	v_add_nc_u64_e32 v[12:13], 8, v[12:13]
	s_and_not1_b32 s30, s30, exec_lo
	s_wait_loadcnt 0x0
	v_cmp_ge_i64_e32 vcc_lo, v[30:31], v[32:33]
	s_or_b32 s35, s29, vcc_lo
	s_delay_alu instid0(SALU_CYCLE_1) | instskip(NEXT) | instid1(SALU_CYCLE_1)
	s_and_b32 s35, s35, exec_lo
	s_or_b32 s31, s31, s35
	s_branch .LBB27_30
.LBB27_33:
	s_or_b32 exec_lo, exec_lo, s27
	s_delay_alu instid0(SALU_CYCLE_1)
	s_mov_b32 s52, exec_lo
	s_or_not1_b32 s30, s28, exec_lo
.LBB27_34:
	s_or_b32 exec_lo, exec_lo, s1
	s_mov_b32 s27, 0
	s_mov_b32 s28, 0
	;; [unrolled: 1-line block ×3, first 2 shown]
	s_and_saveexec_b32 s53, s30
	s_cbranch_execz .LBB27_57
; %bb.35:
	s_mov_b32 s0, -1
	s_mov_b32 s1, 0
	s_mov_b32 s30, 0
	s_mov_b32 s54, exec_lo
	s_wait_loadcnt 0x5
	v_cmpx_eq_u64_e64 v[26:27], v[14:15]
	s_cbranch_execz .LBB27_56
; %bb.36:
	s_mov_b32 s1, -1
	s_mov_b32 s0, 0
	s_mov_b32 s55, exec_lo
	s_wait_loadcnt 0x4
	v_cmpx_eq_u64_e64 v[22:23], v[10:11]
	s_cbranch_execz .LBB27_55
; %bb.37:
	s_wait_loadcnt 0x2
	v_sub_nc_u64_e32 v[12:13], v[2:3], v[6:7]
	s_delay_alu instid0(VALU_DEP_1) | instskip(SKIP_2) | instid1(SALU_CYCLE_1)
	v_cmp_le_i64_e32 vcc_lo, v[14:15], v[12:13]
	v_cmp_ge_i64_e64 s0, s[2:3], v[12:13]
	s_and_b32 s0, vcc_lo, s0
	s_and_saveexec_b32 s56, s0
	s_cbranch_execz .LBB27_54
; %bb.38:
	v_mov_b64_e32 v[12:13], 0
	s_and_saveexec_b32 s57, s46
	s_cbranch_execz .LBB27_45
; %bb.39:
	s_wait_loadcnt 0x0
	v_mul_u64_e32 v[18:19], v[18:19], v[10:11]
	s_ashr_i32 s27, s26, 31
	v_mov_b64_e32 v[12:13], 0
	s_lshl_b64 s[0:1], s[26:27], 3
	v_mov_b32_e32 v16, 0
	s_add_nc_u64 s[0:1], s[18:19], s[0:1]
	s_mov_b64 s[28:29], 0xffffffff
	s_add_nc_u64 s[30:31], s[0:1], 32
	s_mov_b32 s1, 0
	s_mov_b32 s27, s41
	s_branch .LBB27_41
.LBB27_40:                              ;   in Loop: Header=BB27_41 Depth=1
	s_or_b32 exec_lo, exec_lo, s0
	s_delay_alu instid0(VALU_DEP_1)
	v_mul_u64_e32 v[26:27], s[34:35], v[22:23]
	s_load_b64 s[34:35], s[30:31], 0x40
	s_add_co_i32 s27, s27, -1
	s_wait_xcnt 0x0
	s_add_nc_u64 s[30:31], s[30:31], -8
	s_cmp_lg_u32 s27, 0
	s_delay_alu instid0(VALU_DEP_1) | instskip(SKIP_1) | instid1(VALU_DEP_1)
	v_sub_nc_u64_e32 v[18:19], v[18:19], v[26:27]
	s_wait_kmcnt 0x0
	v_mad_nc_u64_u32 v[12:13], v18, s34, v[12:13]
	s_delay_alu instid0(VALU_DEP_1) | instskip(NEXT) | instid1(VALU_DEP_1)
	v_mad_u32 v1, v19, s34, v13
	v_mad_u32 v13, v18, s35, v1
	v_mov_b64_e32 v[18:19], v[22:23]
	s_cbranch_scc0 .LBB27_45
.LBB27_41:                              ; =>This Inner Loop Header: Depth=1
	s_load_b64 s[34:35], s[30:31], 0x0
                                        ; implicit-def: $vgpr22_vgpr23
	s_mov_b32 s0, exec_lo
	s_wait_kmcnt 0x0
	s_delay_alu instid0(VALU_DEP_1) | instskip(NEXT) | instid1(VALU_DEP_1)
	v_or_b32_e32 v17, s35, v19
	v_cmpx_ne_u64_e32 0, v[16:17]
	s_xor_b32 s58, exec_lo, s0
	s_cbranch_execz .LBB27_43
; %bb.42:                               ;   in Loop: Header=BB27_41 Depth=1
	s_ashr_i32 s36, s35, 31
	v_dual_mov_b32 v31, v16 :: v_dual_ashrrev_i32 v22, 31, v19
	s_mov_b32 s37, s36
	v_mov_b32_e32 v35, v16
	s_add_nc_u64 s[38:39], s[34:35], s[36:37]
	s_delay_alu instid0(VALU_DEP_2)
	v_mov_b32_e32 v23, v22
	s_xor_b64 s[38:39], s[38:39], s[36:37]
	v_mov_b32_e32 v39, v16
	s_cvt_f32_u32 s0, s38
	s_cvt_f32_u32 s37, s39
	s_sub_nc_u64 s[62:63], 0, s[38:39]
	v_add_nc_u64_e32 v[26:27], v[18:19], v[22:23]
	s_delay_alu instid0(SALU_CYCLE_1) | instskip(NEXT) | instid1(SALU_CYCLE_3)
	s_fmamk_f32 s0, s37, 0x4f800000, s0
	v_s_rcp_f32 s0, s0
	s_delay_alu instid0(VALU_DEP_1) | instskip(NEXT) | instid1(VALU_DEP_2)
	v_xor_b32_e32 v30, v26, v22
	v_xor_b32_e32 v34, v27, v22
	s_delay_alu instid0(TRANS32_DEP_1) | instskip(NEXT) | instid1(SALU_CYCLE_3)
	s_mul_f32 s0, s0, 0x5f7ffffc
	s_mul_f32 s37, s0, 0x2f800000
	s_delay_alu instid0(SALU_CYCLE_3) | instskip(NEXT) | instid1(SALU_CYCLE_3)
	s_trunc_f32 s37, s37
	s_fmamk_f32 s0, s37, 0xcf800000, s0
	s_cvt_u32_f32 s61, s37
	s_delay_alu instid0(SALU_CYCLE_2) | instskip(NEXT) | instid1(SALU_CYCLE_3)
	s_cvt_u32_f32 s60, s0
	s_mul_u64 s[64:65], s[62:63], s[60:61]
	s_delay_alu instid0(SALU_CYCLE_1)
	s_mul_hi_u32 s67, s60, s65
	s_mul_i32 s66, s60, s65
	s_mul_hi_u32 s0, s60, s64
	s_mul_i32 s59, s61, s64
	s_add_nc_u64 s[66:67], s[0:1], s[66:67]
	s_mul_hi_u32 s37, s61, s64
	s_mul_hi_u32 s68, s61, s65
	s_add_co_u32 s0, s66, s59
	s_add_co_ci_u32 s0, s67, s37
	s_mul_i32 s64, s61, s65
	s_add_co_ci_u32 s65, s68, 0
	s_delay_alu instid0(SALU_CYCLE_1) | instskip(NEXT) | instid1(SALU_CYCLE_1)
	s_add_nc_u64 s[64:65], s[0:1], s[64:65]
	s_add_co_u32 s60, s60, s64
	s_cselect_b32 s0, -1, 0
	s_delay_alu instid0(SALU_CYCLE_1) | instskip(SKIP_1) | instid1(SALU_CYCLE_1)
	s_cmp_lg_u32 s0, 0
	s_add_co_ci_u32 s61, s61, s65
	s_mul_u64 s[62:63], s[62:63], s[60:61]
	s_delay_alu instid0(SALU_CYCLE_1)
	s_mul_hi_u32 s65, s60, s63
	s_mul_i32 s64, s60, s63
	s_mul_hi_u32 s0, s60, s62
	s_mul_i32 s59, s61, s62
	s_add_nc_u64 s[64:65], s[0:1], s[64:65]
	s_mul_hi_u32 s37, s61, s62
	s_mul_hi_u32 s66, s61, s63
	s_add_co_u32 s0, s64, s59
	s_add_co_ci_u32 s0, s65, s37
	s_mul_i32 s62, s61, s63
	s_add_co_ci_u32 s63, s66, 0
	s_delay_alu instid0(SALU_CYCLE_1) | instskip(NEXT) | instid1(SALU_CYCLE_1)
	s_add_nc_u64 s[62:63], s[0:1], s[62:63]
	s_add_co_u32 s60, s60, s62
	s_cselect_b32 s0, -1, 0
	v_mul_hi_u32 v38, v30, s60
	s_cmp_lg_u32 s0, 0
	s_add_co_ci_u32 s0, s61, s63
	s_and_b64 s[62:63], s[60:61], s[28:29]
	v_mul_u64_e32 v[32:33], s[0:1], v[30:31]
	v_mul_u64_e32 v[26:27], s[62:63], v[34:35]
	;; [unrolled: 1-line block ×3, first 2 shown]
	s_delay_alu instid0(VALU_DEP_3) | instskip(NEXT) | instid1(VALU_DEP_1)
	v_add_nc_u64_e32 v[32:33], v[38:39], v[32:33]
	v_add_co_u32 v1, vcc_lo, v32, v26
	s_delay_alu instid0(VALU_DEP_2) | instskip(NEXT) | instid1(VALU_DEP_4)
	v_add_co_ci_u32_e32 v38, vcc_lo, v33, v27, vcc_lo
	v_add_co_ci_u32_e32 v37, vcc_lo, 0, v37, vcc_lo
	s_delay_alu instid0(VALU_DEP_1) | instskip(NEXT) | instid1(VALU_DEP_1)
	v_add_nc_u64_e32 v[26:27], v[38:39], v[36:37]
	v_mul_u64_e32 v[32:33], s[38:39], v[26:27]
	s_delay_alu instid0(VALU_DEP_1) | instskip(NEXT) | instid1(VALU_DEP_2)
	v_sub_nc_u32_e32 v1, v34, v33
	v_sub_co_u32 v17, vcc_lo, v30, v32
	s_delay_alu instid0(VALU_DEP_1) | instskip(NEXT) | instid1(VALU_DEP_3)
	v_sub_co_ci_u32_e64 v34, null, v34, v33, vcc_lo
	v_subrev_co_ci_u32_e64 v1, null, s39, v1, vcc_lo
	s_delay_alu instid0(VALU_DEP_3) | instskip(SKIP_1) | instid1(VALU_DEP_3)
	v_sub_co_u32 v23, s0, v17, s38
	v_add_nc_u64_e32 v[32:33], 1, v[26:27]
	v_subrev_co_ci_u32_e64 v1, null, 0, v1, s0
	s_delay_alu instid0(VALU_DEP_3) | instskip(SKIP_1) | instid1(VALU_DEP_3)
	v_cmp_le_u32_e32 vcc_lo, s38, v23
	v_cndmask_b32_e64 v23, 0, -1, vcc_lo
	v_cmp_le_u32_e32 vcc_lo, s39, v1
	v_cndmask_b32_e64 v30, 0, -1, vcc_lo
	;; [unrolled: 2-line block ×4, first 2 shown]
	v_cmp_eq_u32_e32 vcc_lo, s39, v1
	v_cndmask_b32_e32 v1, v30, v23, vcc_lo
	v_cmp_eq_u32_e32 vcc_lo, s39, v34
	v_add_nc_u64_e32 v[30:31], 2, v[26:27]
	v_cndmask_b32_e32 v17, v35, v17, vcc_lo
	s_delay_alu instid0(VALU_DEP_4) | instskip(NEXT) | instid1(VALU_DEP_3)
	v_cmp_ne_u32_e32 vcc_lo, 0, v1
	v_cndmask_b32_e32 v1, v33, v31, vcc_lo
	s_delay_alu instid0(VALU_DEP_3) | instskip(SKIP_1) | instid1(VALU_DEP_2)
	v_cmp_ne_u32_e64 s0, 0, v17
	v_cndmask_b32_e32 v17, v32, v30, vcc_lo
	v_dual_cndmask_b32 v1, v27, v1, s0 :: v_dual_bitop2_b32 v22, s36, v22 bitop3:0x14
	s_delay_alu instid0(VALU_DEP_1) | instskip(NEXT) | instid1(VALU_DEP_1)
	v_dual_cndmask_b32 v17, v26, v17, s0 :: v_dual_bitop2_b32 v27, v1, v22 bitop3:0x14
	v_dual_mov_b32 v23, v22 :: v_dual_bitop2_b32 v26, v17, v22 bitop3:0x14
	s_delay_alu instid0(VALU_DEP_1)
	v_sub_nc_u64_e32 v[22:23], v[26:27], v[22:23]
.LBB27_43:                              ;   in Loop: Header=BB27_41 Depth=1
	s_and_not1_saveexec_b32 s0, s58
	s_cbranch_execz .LBB27_40
; %bb.44:                               ;   in Loop: Header=BB27_41 Depth=1
	v_cvt_f32_u32_e32 v1, s34
	s_sub_co_i32 s36, 0, s34
	s_delay_alu instid0(VALU_DEP_1) | instskip(SKIP_1) | instid1(TRANS32_DEP_1)
	v_rcp_iflag_f32_e32 v1, v1
	v_nop
	v_mul_f32_e32 v1, 0x4f7ffffe, v1
	s_delay_alu instid0(VALU_DEP_1) | instskip(NEXT) | instid1(VALU_DEP_1)
	v_cvt_u32_f32_e32 v1, v1
	v_mul_lo_u32 v17, s36, v1
	s_delay_alu instid0(VALU_DEP_1) | instskip(NEXT) | instid1(VALU_DEP_1)
	v_mul_hi_u32 v17, v1, v17
	v_add_nc_u32_e32 v1, v1, v17
	s_delay_alu instid0(VALU_DEP_1) | instskip(NEXT) | instid1(VALU_DEP_1)
	v_mul_hi_u32 v1, v18, v1
	v_mul_lo_u32 v17, v1, s34
	s_delay_alu instid0(VALU_DEP_1) | instskip(NEXT) | instid1(VALU_DEP_1)
	v_sub_nc_u32_e32 v17, v18, v17
	v_subrev_nc_u32_e32 v23, s34, v17
	v_cmp_le_u32_e32 vcc_lo, s34, v17
	s_delay_alu instid0(VALU_DEP_2) | instskip(NEXT) | instid1(VALU_DEP_1)
	v_dual_cndmask_b32 v17, v17, v23 :: v_dual_add_nc_u32 v22, 1, v1
	v_dual_cndmask_b32 v1, v1, v22, vcc_lo :: v_dual_mov_b32 v23, v16
	s_delay_alu instid0(VALU_DEP_2) | instskip(NEXT) | instid1(VALU_DEP_2)
	v_cmp_le_u32_e32 vcc_lo, s34, v17
	v_add_nc_u32_e32 v22, 1, v1
	s_delay_alu instid0(VALU_DEP_1)
	v_cndmask_b32_e32 v22, v1, v22, vcc_lo
	s_branch .LBB27_40
.LBB27_45:
	s_or_b32 exec_lo, exec_lo, s57
	s_mov_b32 s29, -1
	s_mov_b32 s0, 0
	s_mov_b32 s27, 0
	s_mov_b32 s1, exec_lo
	v_cmpx_gt_i64_e64 v[2:3], v[6:7]
	s_cbranch_execz .LBB27_51
; %bb.46:
	s_delay_alu instid0(VALU_DEP_2) | instskip(SKIP_1) | instid1(VALU_DEP_1)
	v_lshlrev_b64_e32 v[12:13], 3, v[12:13]
	s_xor_b32 s29, s42, -1
                                        ; implicit-def: $sgpr28
                                        ; implicit-def: $sgpr31
                                        ; implicit-def: $sgpr30
	v_lshl_add_u64 v[6:7], v[6:7], 3, v[12:13]
	v_add_nc_u64_e32 v[12:13], s[24:25], v[12:13]
	s_delay_alu instid0(VALU_DEP_2) | instskip(NEXT) | instid1(VALU_DEP_2)
	v_add_nc_u64_e32 v[6:7], s[24:25], v[6:7]
	v_lshl_add_u64 v[2:3], v[2:3], 3, v[12:13]
	s_delay_alu instid0(VALU_DEP_2)
	v_add_nc_u64_e32 v[6:7], 8, v[6:7]
	s_branch .LBB27_48
.LBB27_47:                              ;   in Loop: Header=BB27_48 Depth=1
	s_or_b32 exec_lo, exec_lo, s34
	s_delay_alu instid0(SALU_CYCLE_1) | instskip(NEXT) | instid1(SALU_CYCLE_1)
	s_and_b32 s34, exec_lo, s31
	s_or_b32 s27, s34, s27
	s_and_not1_b32 s28, s28, exec_lo
	s_and_b32 s34, s30, exec_lo
	s_delay_alu instid0(SALU_CYCLE_1)
	s_or_b32 s28, s28, s34
	s_and_not1_b32 exec_lo, exec_lo, s27
	s_cbranch_execz .LBB27_50
.LBB27_48:                              ; =>This Inner Loop Header: Depth=1
	s_or_b32 s30, s30, exec_lo
	s_or_b32 s31, s31, exec_lo
	s_mov_b32 s34, exec_lo
	s_delay_alu instid0(VALU_DEP_1)
	v_cmpx_lt_u64_e64 v[6:7], v[2:3]
	s_cbranch_execz .LBB27_47
; %bb.49:                               ;   in Loop: Header=BB27_48 Depth=1
	s_wait_loadcnt 0x0
	global_load_b128 v[16:19], v[6:7], off offset:-8
	s_and_not1_b32 s31, s31, exec_lo
	s_wait_xcnt 0x0
	v_add_nc_u64_e32 v[6:7], 8, v[6:7]
	s_and_not1_b32 s30, s30, exec_lo
	s_wait_loadcnt 0x0
	v_cmp_ge_i64_e32 vcc_lo, v[16:17], v[18:19]
	s_or_b32 s35, s29, vcc_lo
	s_delay_alu instid0(SALU_CYCLE_1) | instskip(NEXT) | instid1(SALU_CYCLE_1)
	s_and_b32 s35, s35, exec_lo
	s_or_b32 s31, s31, s35
	s_branch .LBB27_47
.LBB27_50:
	s_or_b32 exec_lo, exec_lo, s27
	s_delay_alu instid0(SALU_CYCLE_1)
	s_mov_b32 s27, exec_lo
	s_or_not1_b32 s29, s28, exec_lo
.LBB27_51:
	s_or_b32 exec_lo, exec_lo, s1
	s_mov_b32 s28, 0
	s_and_saveexec_b32 s1, s29
	s_delay_alu instid0(SALU_CYCLE_1)
	s_xor_b32 s1, exec_lo, s1
; %bb.52:
	v_cmp_ne_u64_e32 vcc_lo, v[28:29], v[14:15]
	s_mov_b32 s28, exec_lo
	s_and_not1_b32 s27, s27, exec_lo
	s_and_b32 s0, vcc_lo, exec_lo
; %bb.53:
	s_or_b32 exec_lo, exec_lo, s1
	s_delay_alu instid0(SALU_CYCLE_1)
	s_and_b32 s29, s27, exec_lo
	s_xor_b32 s1, exec_lo, -1
	s_and_b32 s27, s28, exec_lo
	s_and_b32 s28, s0, exec_lo
.LBB27_54:
	s_or_b32 exec_lo, exec_lo, s56
	s_delay_alu instid0(SALU_CYCLE_1)
	s_and_b32 s30, s29, exec_lo
	s_and_b32 s29, s1, exec_lo
	s_xor_b32 s1, exec_lo, -1
	s_and_b32 s27, s27, exec_lo
	s_and_b32 s0, s28, exec_lo
.LBB27_55:
	s_or_b32 exec_lo, exec_lo, s55
	s_delay_alu instid0(SALU_CYCLE_1)
	s_and_b32 s30, s30, exec_lo
	s_and_b32 s29, s29, exec_lo
	;; [unrolled: 1-line block ×4, first 2 shown]
	s_or_not1_b32 s0, s0, exec_lo
.LBB27_56:
	s_or_b32 exec_lo, exec_lo, s54
	s_delay_alu instid0(SALU_CYCLE_1)
	s_and_not1_b32 s27, s52, exec_lo
	s_and_b32 s30, s30, exec_lo
	s_and_b32 s29, s29, exec_lo
	s_or_b32 s52, s27, s30
	s_and_b32 s28, s28, exec_lo
	s_and_b32 s27, s1, exec_lo
	;; [unrolled: 1-line block ×3, first 2 shown]
.LBB27_57:
	s_or_b32 exec_lo, exec_lo, s53
	s_delay_alu instid0(SALU_CYCLE_1)
	s_and_b32 s30, s52, exec_lo
	s_or_not1_b32 s1, s29, exec_lo
	s_and_b32 s29, s28, exec_lo
	s_and_b32 s28, s27, exec_lo
	s_and_b32 s27, s0, exec_lo
.LBB27_58:
	s_or_b32 exec_lo, exec_lo, s51
	s_delay_alu instid0(SALU_CYCLE_1)
	s_and_b32 s30, s30, exec_lo
	s_and_b32 s31, s1, exec_lo
	s_or_not1_b32 s1, s29, exec_lo
	s_and_b32 s28, s28, exec_lo
	s_and_b32 s0, s27, exec_lo
.LBB27_59:
	s_or_b32 exec_lo, exec_lo, s50
	s_delay_alu instid0(SALU_CYCLE_1)
	s_and_b32 s30, s30, exec_lo
	s_and_b32 s29, s31, exec_lo
	;; [unrolled: 1-line block ×4, first 2 shown]
	s_or_not1_b32 s0, s0, exec_lo
.LBB27_60:
	s_or_b32 exec_lo, exec_lo, s49
	s_delay_alu instid0(SALU_CYCLE_1)
	s_and_not1_b32 s28, s47, exec_lo
	s_and_b32 s30, s30, exec_lo
	s_and_b32 s29, s29, exec_lo
	s_or_b32 s47, s28, s30
	s_and_b32 s28, s27, exec_lo
	s_and_b32 s27, s1, exec_lo
	s_and_b32 s0, s0, exec_lo
.LBB27_61:
	s_or_b32 exec_lo, exec_lo, s48
	s_delay_alu instid0(SALU_CYCLE_1)
	s_and_b32 s48, s46, exec_lo
	s_and_b32 s46, s47, exec_lo
	s_or_not1_b32 s1, s29, exec_lo
	s_and_b32 s39, s28, exec_lo
	s_and_b32 s38, s27, exec_lo
	;; [unrolled: 1-line block ×3, first 2 shown]
.LBB27_62:
	s_or_b32 exec_lo, exec_lo, s45
	s_delay_alu instid0(SALU_CYCLE_1)
	s_and_b32 s45, s48, exec_lo
	s_and_b32 s36, s46, exec_lo
	;; [unrolled: 1-line block ×3, first 2 shown]
	s_or_not1_b32 s0, s39, exec_lo
	s_and_b32 s35, s38, exec_lo
	s_and_b32 s34, s27, exec_lo
.LBB27_63:
	s_or_b32 exec_lo, exec_lo, s44
	s_delay_alu instid0(SALU_CYCLE_1)
	s_and_b32 s1, s45, exec_lo
	s_and_b32 s36, s36, exec_lo
	;; [unrolled: 1-line block ×5, first 2 shown]
	s_or_not1_b32 s31, s34, exec_lo
.LBB27_64:
	s_or_b32 exec_lo, exec_lo, s43
	s_and_saveexec_b32 s28, s31
	s_cbranch_execnz .LBB27_211
.LBB27_65:
	s_or_b32 exec_lo, exec_lo, s28
	s_mov_b32 s29, 0
	s_and_saveexec_b32 s28, s30
	s_delay_alu instid0(SALU_CYCLE_1)
	s_xor_b32 s28, exec_lo, s28
	s_cbranch_execz .LBB27_67
; %bb.66:
	s_wait_loadcnt 0x4
	v_cmp_ne_u64_e32 vcc_lo, v[24:25], v[10:11]
	s_and_not1_b32 s0, s0, exec_lo
	s_mov_b32 s29, exec_lo
	s_and_b32 s30, vcc_lo, exec_lo
	s_delay_alu instid0(SALU_CYCLE_1)
	s_or_b32 s0, s0, s30
.LBB27_67:
	s_or_b32 exec_lo, exec_lo, s28
	s_and_saveexec_b32 s28, s0
	s_cbranch_execnz .LBB27_212
.LBB27_68:
	s_or_b32 exec_lo, exec_lo, s28
	s_mov_b32 s28, 0
	s_and_saveexec_b32 s0, s29
	s_delay_alu instid0(SALU_CYCLE_1)
	s_xor_b32 s29, exec_lo, s0
	s_cbranch_execnz .LBB27_104
; %bb.69:
	s_or_b32 exec_lo, exec_lo, s29
	s_and_saveexec_b32 s0, s27
	s_cbranch_execnz .LBB27_105
.LBB27_70:
	s_or_b32 exec_lo, exec_lo, s0
	s_mov_b32 s0, 0
	s_and_saveexec_b32 s37, s28
	s_cbranch_execnz .LBB27_106
.LBB27_71:
	s_or_b32 exec_lo, exec_lo, s37
	s_and_saveexec_b32 s1, s36
	s_cbranch_execnz .LBB27_152
.LBB27_72:
	s_or_b32 exec_lo, exec_lo, s1
	s_and_saveexec_b32 s1, s0
	s_delay_alu instid0(SALU_CYCLE_1)
	s_xor_b32 s0, exec_lo, s1
	s_cbranch_execz .LBB27_74
.LBB27_73:
	s_mov_b32 s24, 0
	s_add_nc_u64 s[2:3], s[4:5], s[22:23]
	s_mov_b32 s25, s24
	s_mov_b32 s26, s24
	;; [unrolled: 1-line block ×3, first 2 shown]
	s_wait_loadcnt 0x2
	v_mov_b64_e32 v[2:3], s[24:25]
	v_mov_b64_e32 v[4:5], s[26:27]
	s_clause 0x1
	global_store_b128 v0, v[2:5], s[2:3] scale_offset
	global_store_b128 v0, v[2:5], s[2:3] offset:4096 scale_offset
.LBB27_74:
	s_wait_xcnt 0x0
	s_or_b32 exec_lo, exec_lo, s0
	s_mov_b32 s0, 0
.LBB27_75:
	s_delay_alu instid0(SALU_CYCLE_1)
	s_and_b32 vcc_lo, exec_lo, s0
	s_cbranch_vccz .LBB27_95
; %bb.76:
	s_wait_loadcnt 0x5
	v_mov_b64_e32 v[26:27], 0
	v_mov_b64_e32 v[36:37], 0
	s_wait_loadcnt 0x1
	v_mov_b64_e32 v[38:39], 0
	v_mov_b64_e32 v[32:33], 0
	;; [unrolled: 1-line block ×4, first 2 shown]
	v_cmp_gt_i32_e64 s0, s33, v0
	v_or_b32_e32 v1, 0x100, v0
	v_mov_b32_e32 v42, v0
	s_and_saveexec_b32 s1, s0
	s_cbranch_execz .LBB27_78
; %bb.77:
	v_or_b32_e32 v2, s16, v0
	v_or_b32_e32 v42, 0x100, v0
	s_clause 0x4
	global_load_b64 v[32:33], v2, s[10:11] scale_offset
	global_load_b64 v[36:37], v2, s[6:7] scale_offset
	;; [unrolled: 1-line block ×5, first 2 shown]
.LBB27_78:
	s_wait_xcnt 0x0
	s_or_b32 exec_lo, exec_lo, s1
	v_mov_b64_e32 v[28:29], 0
	v_mov_b64_e32 v[22:23], 0
	;; [unrolled: 1-line block ×4, first 2 shown]
	s_mov_b32 s1, exec_lo
	v_cmpx_gt_i32_e64 s33, v42
	s_cbranch_execz .LBB27_80
; %bb.79:
	v_add_nc_u32_e32 v2, s16, v42
	v_add_nc_u32_e32 v42, 0x100, v42
	s_clause 0x4
	global_load_b64 v[22:23], v2, s[10:11] scale_offset
	global_load_b64 v[26:27], v2, s[6:7] scale_offset
	;; [unrolled: 1-line block ×5, first 2 shown]
.LBB27_80:
	s_wait_xcnt 0x0
	s_or_b32 exec_lo, exec_lo, s1
	v_mov_b64_e32 v[10:11], 0
	s_wait_loadcnt 0x0
	v_mov_b64_e32 v[20:21], 0
	v_mov_b64_e32 v[16:17], 0
	;; [unrolled: 1-line block ×5, first 2 shown]
	s_mov_b32 s1, exec_lo
	v_cmpx_gt_i32_e64 s33, v42
	s_cbranch_execz .LBB27_82
; %bb.81:
	v_add_nc_u32_e32 v2, s16, v42
	v_add_nc_u32_e32 v42, 0x100, v42
	s_clause 0x4
	global_load_b64 v[12:13], v2, s[10:11] scale_offset
	global_load_b64 v[20:21], v2, s[6:7] scale_offset
	;; [unrolled: 1-line block ×5, first 2 shown]
.LBB27_82:
	s_wait_xcnt 0x0
	s_or_b32 exec_lo, exec_lo, s1
	v_mov_b64_e32 v[6:7], 0
	v_mov_b64_e32 v[2:3], 0
	;; [unrolled: 1-line block ×4, first 2 shown]
	s_mov_b32 s1, exec_lo
	v_cmpx_gt_i32_e64 s33, v42
	s_cbranch_execz .LBB27_84
; %bb.83:
	v_add_nc_u32_e32 v42, s16, v42
	s_clause 0x4
	global_load_b64 v[2:3], v42, s[10:11] scale_offset
	global_load_b64 v[10:11], v42, s[6:7] scale_offset
	;; [unrolled: 1-line block ×5, first 2 shown]
.LBB27_84:
	s_wait_xcnt 0x0
	s_or_b32 exec_lo, exec_lo, s1
	s_clause 0x1
	s_load_b256 s[8:15], s[18:19], 0x0
	s_load_b64 s[2:3], s[18:19], 0xa0
	s_cmp_lg_u64 s[20:21], 0
	s_get_pc_i64 s[6:7]
	s_add_nc_u64 s[6:7], s[6:7], .str.2@rel64+4
	s_get_pc_i64 s[20:21]
	s_add_nc_u64 s[20:21], s[20:21], .str.3@rel64+4
	s_cselect_b32 s38, -1, 0
	s_cmp_lg_u64 s[6:7], 0
	s_get_pc_i64 s[22:23]
	s_add_nc_u64 s[22:23], s[22:23], .str.4@rel64+4
	s_cselect_b32 s36, -1, 0
	s_cmp_lg_u64 s[20:21], 0
	s_mov_b32 s1, -1
	s_cselect_b32 s35, -1, 0
	s_mov_b32 s44, 0
	s_mov_b32 s42, 0
	;; [unrolled: 1-line block ×5, first 2 shown]
	s_wait_kmcnt 0x0
	s_add_co_i32 s6, s14, -1
	s_delay_alu instid0(SALU_CYCLE_1)
	s_cmp_gt_i32 s6, -1
	s_cselect_b32 s34, -1, 0
	s_cmp_lg_u64 s[22:23], 0
	s_cselect_b32 s15, -1, 0
	s_and_saveexec_b32 s40, s0
	s_cbranch_execnz .LBB27_113
; %bb.85:
	s_or_b32 exec_lo, exec_lo, s40
	s_mov_b32 s40, 0
	s_and_saveexec_b32 s43, s1
	s_cbranch_execnz .LBB27_161
.LBB27_86:
	s_or_b32 exec_lo, exec_lo, s43
	s_and_saveexec_b32 s1, s42
	s_cbranch_execnz .LBB27_210
.LBB27_87:
	s_or_b32 exec_lo, exec_lo, s1
	s_mov_b32 s1, 0
	s_and_saveexec_b32 s7, s44
	s_delay_alu instid0(SALU_CYCLE_1)
	s_xor_b32 s7, exec_lo, s7
	s_cbranch_execz .LBB27_89
; %bb.88:
	s_wait_loadcnt 0x2
	v_cmp_ne_u64_e32 vcc_lo, s[12:13], v[6:7]
	s_xor_b32 s8, s36, -1
	s_and_not1_b32 s9, s41, exec_lo
	s_mov_b32 s1, exec_lo
	s_or_b32 s8, s8, vcc_lo
	s_delay_alu instid0(SALU_CYCLE_1) | instskip(NEXT) | instid1(SALU_CYCLE_1)
	s_and_b32 s8, s8, exec_lo
	s_or_b32 s41, s9, s8
.LBB27_89:
	s_or_b32 exec_lo, exec_lo, s7
	s_and_saveexec_b32 s7, s41
	s_cbranch_execnz .LBB27_213
.LBB27_90:
	s_or_b32 exec_lo, exec_lo, s7
	s_mov_b32 s7, 0
	s_and_saveexec_b32 s8, s1
	s_delay_alu instid0(SALU_CYCLE_1)
	s_xor_b32 s8, exec_lo, s8
	s_cbranch_execnz .LBB27_123
; %bb.91:
	s_or_b32 exec_lo, exec_lo, s8
	s_and_saveexec_b32 s1, s39
	s_cbranch_execnz .LBB27_124
.LBB27_92:
	s_or_b32 exec_lo, exec_lo, s1
	s_and_saveexec_b32 s22, s7
	s_cbranch_execnz .LBB27_125
.LBB27_93:
	s_or_b32 exec_lo, exec_lo, s22
	s_and_saveexec_b32 s1, s37
	s_cbranch_execnz .LBB27_155
.LBB27_94:
	s_or_b32 exec_lo, exec_lo, s1
	s_and_saveexec_b32 s1, s17
	s_cbranch_execnz .LBB27_96
	s_branch .LBB27_97
.LBB27_95:
                                        ; implicit-def: $sgpr0
                                        ; implicit-def: $vgpr1
                                        ; implicit-def: $vgpr0
	s_and_saveexec_b32 s1, s17
.LBB27_96:
	; divergent unreachable
.LBB27_97:
	s_delay_alu instid0(SALU_CYCLE_1) | instskip(SKIP_1) | instid1(SALU_CYCLE_1)
	s_or_b32 exec_lo, exec_lo, s1
	s_and_saveexec_b32 s1, s40
	s_xor_b32 s1, exec_lo, s1
	s_cbranch_execz .LBB27_103
; %bb.98:
	s_and_saveexec_b32 s1, s0
	s_delay_alu instid0(SALU_CYCLE_1)
	s_xor_b32 s0, exec_lo, s1
	s_cbranch_execnz .LBB27_132
; %bb.99:
	s_or_b32 exec_lo, exec_lo, s0
	s_delay_alu instid0(SALU_CYCLE_1)
	s_mov_b32 s0, exec_lo
	v_cmpx_gt_i32_e64 s33, v0
	s_cbranch_execnz .LBB27_133
.LBB27_100:
	s_or_b32 exec_lo, exec_lo, s0
	s_delay_alu instid0(SALU_CYCLE_1)
	s_mov_b32 s0, exec_lo
	v_cmpx_gt_i32_e64 s33, v0
	s_cbranch_execnz .LBB27_134
.LBB27_101:
	s_or_b32 exec_lo, exec_lo, s0
	s_delay_alu instid0(SALU_CYCLE_1)
	s_mov_b32 s0, exec_lo
	v_cmpx_gt_i32_e64 s33, v0
	s_cbranch_execz .LBB27_103
.LBB27_102:
	s_wait_loadcnt 0x2
	v_mov_b64_e32 v[2:3], 0
	v_add_nc_u32_e32 v0, s16, v0
	global_store_b64 v0, v[2:3], s[4:5] scale_offset
.LBB27_103:
	s_endpgm
.LBB27_104:
	s_wait_loadcnt 0x2
	v_sub_nc_u64_e32 v[2:3], v[4:5], v[8:9]
	s_mov_b32 s28, exec_lo
	s_delay_alu instid0(VALU_DEP_1) | instskip(SKIP_3) | instid1(SALU_CYCLE_1)
	v_cmp_gt_i64_e32 vcc_lo, v[14:15], v[2:3]
	v_cmp_lt_i64_e64 s0, s[2:3], v[2:3]
	s_and_not1_b32 s2, s27, exec_lo
	s_or_b32 s0, vcc_lo, s0
	s_and_b32 s0, s0, exec_lo
	s_delay_alu instid0(SALU_CYCLE_1)
	s_or_b32 s27, s2, s0
	s_or_b32 exec_lo, exec_lo, s29
	s_and_saveexec_b32 s0, s27
	s_cbranch_execz .LBB27_70
.LBB27_105:
	s_or_b32 s17, s17, exec_lo
	s_and_not1_b32 s28, s28, exec_lo
	s_trap 2
	s_or_b32 exec_lo, exec_lo, s0
	s_mov_b32 s0, 0
	s_and_saveexec_b32 s37, s28
	s_cbranch_execz .LBB27_71
.LBB27_106:
	s_wait_loadcnt 0x2
	v_mov_b64_e32 v[2:3], 0
	s_and_saveexec_b32 s38, s1
	s_cbranch_execz .LBB27_135
; %bb.107:
	s_wait_loadcnt 0x0
	v_mul_u64_e32 v[10:11], v[20:21], v[10:11]
	s_ashr_i32 s27, s26, 31
	v_mov_b64_e32 v[2:3], 0
	s_lshl_b64 s[0:1], s[26:27], 3
	v_mov_b32_e32 v6, 0
	s_add_nc_u64 s[0:1], s[18:19], s[0:1]
	s_mov_b64 s[2:3], 0xffffffff
	s_add_nc_u64 s[26:27], s[0:1], 32
	s_mov_b32 s1, 0
	s_branch .LBB27_109
.LBB27_108:                             ;   in Loop: Header=BB27_109 Depth=1
	s_or_b32 exec_lo, exec_lo, s0
	s_delay_alu instid0(VALU_DEP_1)
	v_mul_u64_e32 v[14:15], s[28:29], v[12:13]
	s_load_b64 s[28:29], s[26:27], 0x40
	s_add_co_i32 s41, s41, -1
	s_wait_xcnt 0x0
	s_add_nc_u64 s[26:27], s[26:27], -8
	s_cmp_lg_u32 s41, 0
	s_delay_alu instid0(VALU_DEP_1) | instskip(SKIP_1) | instid1(VALU_DEP_1)
	v_sub_nc_u64_e32 v[10:11], v[10:11], v[14:15]
	s_wait_kmcnt 0x0
	v_mad_nc_u64_u32 v[2:3], v10, s28, v[2:3]
	s_delay_alu instid0(VALU_DEP_1) | instskip(NEXT) | instid1(VALU_DEP_1)
	v_mad_u32 v1, v11, s28, v3
	v_mad_u32 v3, v10, s29, v1
	v_mov_b64_e32 v[10:11], v[12:13]
	s_cbranch_scc0 .LBB27_135
.LBB27_109:                             ; =>This Inner Loop Header: Depth=1
	s_load_b64 s[28:29], s[26:27], 0x0
                                        ; implicit-def: $vgpr12_vgpr13
	s_mov_b32 s0, exec_lo
	s_wait_kmcnt 0x0
	s_delay_alu instid0(VALU_DEP_1) | instskip(NEXT) | instid1(VALU_DEP_1)
	v_or_b32_e32 v7, s29, v11
	v_cmpx_ne_u64_e32 0, v[6:7]
	s_xor_b32 s39, exec_lo, s0
	s_cbranch_execz .LBB27_111
; %bb.110:                              ;   in Loop: Header=BB27_109 Depth=1
	s_ashr_i32 s30, s29, 31
	v_dual_mov_b32 v17, v6 :: v_dual_ashrrev_i32 v12, 31, v11
	s_mov_b32 s31, s30
	s_delay_alu instid0(SALU_CYCLE_1) | instskip(NEXT) | instid1(VALU_DEP_1)
	s_add_nc_u64 s[34:35], s[28:29], s[30:31]
	v_mov_b32_e32 v13, v12
	s_xor_b64 s[34:35], s[34:35], s[30:31]
	s_delay_alu instid0(SALU_CYCLE_1)
	s_cvt_f32_u32 s0, s34
	s_cvt_f32_u32 s31, s35
	s_sub_nc_u64 s[46:47], 0, s[34:35]
	v_add_nc_u64_e32 v[14:15], v[10:11], v[12:13]
	v_mov_b32_e32 v21, v6
	s_fmamk_f32 s0, s31, 0x4f800000, s0
	s_delay_alu instid0(SALU_CYCLE_3) | instskip(NEXT) | instid1(VALU_DEP_2)
	v_s_rcp_f32 s0, s0
	v_xor_b32_e32 v16, v14, v12
	s_delay_alu instid0(VALU_DEP_3) | instskip(NEXT) | instid1(TRANS32_DEP_1)
	v_dual_mov_b32 v25, v6 :: v_dual_bitop2_b32 v20, v15, v12 bitop3:0x14
	s_mul_f32 s0, s0, 0x5f7ffffc
	s_delay_alu instid0(SALU_CYCLE_3) | instskip(NEXT) | instid1(SALU_CYCLE_3)
	s_mul_f32 s31, s0, 0x2f800000
	s_trunc_f32 s31, s31
	s_delay_alu instid0(SALU_CYCLE_3) | instskip(SKIP_1) | instid1(SALU_CYCLE_2)
	s_fmamk_f32 s0, s31, 0xcf800000, s0
	s_cvt_u32_f32 s45, s31
	s_cvt_u32_f32 s44, s0
	s_delay_alu instid0(SALU_CYCLE_3) | instskip(NEXT) | instid1(SALU_CYCLE_1)
	s_mul_u64 s[48:49], s[46:47], s[44:45]
	s_mul_hi_u32 s51, s44, s49
	s_mul_i32 s50, s44, s49
	s_mul_hi_u32 s0, s44, s48
	s_mul_i32 s43, s45, s48
	s_add_nc_u64 s[50:51], s[0:1], s[50:51]
	s_mul_hi_u32 s31, s45, s48
	s_mul_hi_u32 s52, s45, s49
	s_add_co_u32 s0, s50, s43
	s_add_co_ci_u32 s0, s51, s31
	s_mul_i32 s48, s45, s49
	s_add_co_ci_u32 s49, s52, 0
	s_delay_alu instid0(SALU_CYCLE_1) | instskip(NEXT) | instid1(SALU_CYCLE_1)
	s_add_nc_u64 s[48:49], s[0:1], s[48:49]
	s_add_co_u32 s44, s44, s48
	s_cselect_b32 s0, -1, 0
	s_delay_alu instid0(SALU_CYCLE_1) | instskip(SKIP_1) | instid1(SALU_CYCLE_1)
	s_cmp_lg_u32 s0, 0
	s_add_co_ci_u32 s45, s45, s49
	s_mul_u64 s[46:47], s[46:47], s[44:45]
	s_delay_alu instid0(SALU_CYCLE_1)
	s_mul_hi_u32 s49, s44, s47
	s_mul_i32 s48, s44, s47
	s_mul_hi_u32 s0, s44, s46
	s_mul_i32 s43, s45, s46
	s_add_nc_u64 s[48:49], s[0:1], s[48:49]
	s_mul_hi_u32 s31, s45, s46
	s_mul_hi_u32 s50, s45, s47
	s_add_co_u32 s0, s48, s43
	s_add_co_ci_u32 s0, s49, s31
	s_mul_i32 s46, s45, s47
	s_add_co_ci_u32 s47, s50, 0
	s_delay_alu instid0(SALU_CYCLE_1) | instskip(NEXT) | instid1(SALU_CYCLE_1)
	s_add_nc_u64 s[46:47], s[0:1], s[46:47]
	s_add_co_u32 s44, s44, s46
	s_cselect_b32 s0, -1, 0
	v_mul_hi_u32 v24, v16, s44
	s_cmp_lg_u32 s0, 0
	s_add_co_ci_u32 s0, s45, s47
	s_and_b64 s[46:47], s[44:45], s[2:3]
	v_mul_u64_e32 v[18:19], s[0:1], v[16:17]
	v_mul_u64_e32 v[14:15], s[46:47], v[20:21]
	;; [unrolled: 1-line block ×3, first 2 shown]
	s_delay_alu instid0(VALU_DEP_3) | instskip(NEXT) | instid1(VALU_DEP_1)
	v_add_nc_u64_e32 v[18:19], v[24:25], v[18:19]
	v_add_co_u32 v1, vcc_lo, v18, v14
	s_delay_alu instid0(VALU_DEP_2) | instskip(NEXT) | instid1(VALU_DEP_4)
	v_add_co_ci_u32_e32 v24, vcc_lo, v19, v15, vcc_lo
	v_add_co_ci_u32_e32 v23, vcc_lo, 0, v23, vcc_lo
	s_delay_alu instid0(VALU_DEP_1) | instskip(NEXT) | instid1(VALU_DEP_1)
	v_add_nc_u64_e32 v[14:15], v[24:25], v[22:23]
	v_mul_u64_e32 v[18:19], s[34:35], v[14:15]
	s_delay_alu instid0(VALU_DEP_1) | instskip(NEXT) | instid1(VALU_DEP_2)
	v_sub_nc_u32_e32 v1, v20, v19
	v_sub_co_u32 v7, vcc_lo, v16, v18
	s_delay_alu instid0(VALU_DEP_1) | instskip(NEXT) | instid1(VALU_DEP_3)
	v_sub_co_ci_u32_e64 v20, null, v20, v19, vcc_lo
	v_subrev_co_ci_u32_e64 v1, null, s35, v1, vcc_lo
	s_delay_alu instid0(VALU_DEP_3) | instskip(SKIP_1) | instid1(VALU_DEP_3)
	v_sub_co_u32 v13, s0, v7, s34
	v_add_nc_u64_e32 v[18:19], 1, v[14:15]
	v_subrev_co_ci_u32_e64 v1, null, 0, v1, s0
	s_delay_alu instid0(VALU_DEP_3) | instskip(SKIP_1) | instid1(VALU_DEP_3)
	v_cmp_le_u32_e32 vcc_lo, s34, v13
	v_cndmask_b32_e64 v13, 0, -1, vcc_lo
	v_cmp_le_u32_e32 vcc_lo, s35, v1
	v_cndmask_b32_e64 v16, 0, -1, vcc_lo
	;; [unrolled: 2-line block ×4, first 2 shown]
	v_cmp_eq_u32_e32 vcc_lo, s35, v1
	v_cndmask_b32_e32 v1, v16, v13, vcc_lo
	v_cmp_eq_u32_e32 vcc_lo, s35, v20
	v_add_nc_u64_e32 v[16:17], 2, v[14:15]
	v_cndmask_b32_e32 v7, v21, v7, vcc_lo
	s_delay_alu instid0(VALU_DEP_4) | instskip(NEXT) | instid1(VALU_DEP_2)
	v_cmp_ne_u32_e32 vcc_lo, 0, v1
	v_cmp_ne_u32_e64 s0, 0, v7
	s_delay_alu instid0(VALU_DEP_4) | instskip(NEXT) | instid1(VALU_DEP_1)
	v_dual_cndmask_b32 v1, v19, v17, vcc_lo :: v_dual_cndmask_b32 v7, v18, v16, vcc_lo
	v_dual_cndmask_b32 v1, v15, v1, s0 :: v_dual_bitop2_b32 v12, s30, v12 bitop3:0x14
	s_delay_alu instid0(VALU_DEP_1) | instskip(NEXT) | instid1(VALU_DEP_2)
	v_dual_cndmask_b32 v7, v14, v7, s0 :: v_dual_mov_b32 v13, v12
	v_xor_b32_e32 v15, v1, v12
	s_delay_alu instid0(VALU_DEP_2) | instskip(NEXT) | instid1(VALU_DEP_1)
	v_xor_b32_e32 v14, v7, v12
	v_sub_nc_u64_e32 v[12:13], v[14:15], v[12:13]
.LBB27_111:                             ;   in Loop: Header=BB27_109 Depth=1
	s_and_not1_saveexec_b32 s0, s39
	s_cbranch_execz .LBB27_108
; %bb.112:                              ;   in Loop: Header=BB27_109 Depth=1
	v_cvt_f32_u32_e32 v1, s28
	s_sub_co_i32 s30, 0, s28
	s_delay_alu instid0(VALU_DEP_1) | instskip(SKIP_1) | instid1(TRANS32_DEP_1)
	v_rcp_iflag_f32_e32 v1, v1
	v_nop
	v_mul_f32_e32 v1, 0x4f7ffffe, v1
	s_delay_alu instid0(VALU_DEP_1) | instskip(NEXT) | instid1(VALU_DEP_1)
	v_cvt_u32_f32_e32 v1, v1
	v_mul_lo_u32 v7, s30, v1
	s_delay_alu instid0(VALU_DEP_1) | instskip(NEXT) | instid1(VALU_DEP_1)
	v_mul_hi_u32 v7, v1, v7
	v_add_nc_u32_e32 v1, v1, v7
	s_delay_alu instid0(VALU_DEP_1) | instskip(NEXT) | instid1(VALU_DEP_1)
	v_mul_hi_u32 v1, v10, v1
	v_mul_lo_u32 v7, v1, s28
	s_delay_alu instid0(VALU_DEP_1) | instskip(NEXT) | instid1(VALU_DEP_1)
	v_dual_add_nc_u32 v12, 1, v1 :: v_dual_sub_nc_u32 v7, v10, v7
	v_subrev_nc_u32_e32 v13, s28, v7
	v_cmp_le_u32_e32 vcc_lo, s28, v7
	s_delay_alu instid0(VALU_DEP_2) | instskip(NEXT) | instid1(VALU_DEP_4)
	v_dual_cndmask_b32 v7, v7, v13, vcc_lo :: v_dual_mov_b32 v13, v6
	v_cndmask_b32_e32 v1, v1, v12, vcc_lo
	s_delay_alu instid0(VALU_DEP_2) | instskip(NEXT) | instid1(VALU_DEP_2)
	v_cmp_le_u32_e32 vcc_lo, s28, v7
	v_add_nc_u32_e32 v12, 1, v1
	s_delay_alu instid0(VALU_DEP_1)
	v_cndmask_b32_e32 v12, v1, v12, vcc_lo
	s_branch .LBB27_108
.LBB27_113:
	v_cmp_eq_u64_e32 vcc_lo, s[8:9], v[36:37]
	s_mov_b32 s7, -1
	s_mov_b32 s1, 0
	s_mov_b32 s20, 0
	;; [unrolled: 1-line block ×4, first 2 shown]
	s_and_b32 s23, s38, vcc_lo
	s_delay_alu instid0(SALU_CYCLE_1)
	s_and_saveexec_b32 s37, s23
	s_cbranch_execz .LBB27_160
; %bb.114:
	v_cmp_eq_u64_e32 vcc_lo, s[12:13], v[38:39]
	s_and_b32 s22, s36, vcc_lo
	s_delay_alu instid0(SALU_CYCLE_1)
	s_and_saveexec_b32 s39, s22
	s_cbranch_execz .LBB27_159
; %bb.115:
	v_sub_nc_u64_e32 v[42:43], v[34:35], v[32:33]
	s_delay_alu instid0(VALU_DEP_1)
	v_cmp_le_i64_e32 vcc_lo, v[36:37], v[42:43]
	v_cmp_ge_i64_e64 s1, s[10:11], v[42:43]
	s_and_b32 s20, vcc_lo, s1
	s_mov_b32 s1, 0
	s_and_b32 s21, s35, s20
	s_mov_b32 s20, 0
	s_and_saveexec_b32 s41, s21
	s_cbranch_execz .LBB27_158
; %bb.116:
	v_cmp_lt_i64_e32 vcc_lo, 0, v[38:39]
	v_mov_b64_e32 v[36:37], 0
	s_and_b32 s1, vcc_lo, s34
	s_delay_alu instid0(SALU_CYCLE_1)
	s_and_saveexec_b32 s42, s1
	s_cbranch_execz .LBB27_145
; %bb.117:
	v_mul_u64_e32 v[40:41], v[40:41], v[38:39]
	s_ashr_i32 s7, s6, 31
	v_mov_b64_e32 v[36:37], 0
	s_lshl_b64 s[22:23], s[6:7], 3
	v_mov_b32_e32 v38, 0
	s_add_nc_u64 s[22:23], s[18:19], s[22:23]
	s_mov_b64 s[20:21], 0xffffffff
	s_add_nc_u64 s[22:23], s[22:23], 32
	s_mov_b32 s25, 0
	s_mov_b32 s7, s14
	s_branch .LBB27_119
.LBB27_118:                             ;   in Loop: Header=BB27_119 Depth=1
	s_or_b32 exec_lo, exec_lo, s1
	s_delay_alu instid0(VALU_DEP_1)
	v_mul_u64_e32 v[44:45], s[26:27], v[42:43]
	s_load_b64 s[26:27], s[22:23], 0x40
	s_add_co_i32 s7, s7, -1
	s_wait_xcnt 0x0
	s_add_nc_u64 s[22:23], s[22:23], -8
	s_cmp_eq_u32 s7, 0
	s_delay_alu instid0(VALU_DEP_1) | instskip(SKIP_1) | instid1(VALU_DEP_1)
	v_sub_nc_u64_e32 v[40:41], v[40:41], v[44:45]
	s_wait_kmcnt 0x0
	v_mad_nc_u64_u32 v[36:37], v40, s26, v[36:37]
	s_delay_alu instid0(VALU_DEP_1) | instskip(NEXT) | instid1(VALU_DEP_1)
	v_mad_u32 v37, v41, s26, v37
	v_mad_u32 v37, v40, s27, v37
	v_mov_b64_e32 v[40:41], v[42:43]
	s_cbranch_scc1 .LBB27_145
.LBB27_119:                             ; =>This Inner Loop Header: Depth=1
	s_load_b64 s[26:27], s[22:23], 0x0
                                        ; implicit-def: $vgpr42_vgpr43
	s_mov_b32 s1, exec_lo
	s_wait_kmcnt 0x0
	s_delay_alu instid0(VALU_DEP_1) | instskip(NEXT) | instid1(VALU_DEP_1)
	v_or_b32_e32 v39, s27, v41
	v_cmpx_ne_u64_e32 0, v[38:39]
	s_xor_b32 s43, exec_lo, s1
	s_cbranch_execz .LBB27_121
; %bb.120:                              ;   in Loop: Header=BB27_119 Depth=1
	s_ashr_i32 s28, s27, 31
	v_dual_mov_b32 v47, v38 :: v_dual_ashrrev_i32 v42, 31, v41
	s_mov_b32 s29, s28
	v_mov_b32_e32 v55, v38
	s_add_nc_u64 s[30:31], s[26:27], s[28:29]
	s_delay_alu instid0(VALU_DEP_2) | instskip(SKIP_1) | instid1(SALU_CYCLE_1)
	v_mov_b32_e32 v43, v42
	s_xor_b64 s[30:31], s[30:31], s[28:29]
	s_cvt_f32_u32 s1, s30
	s_cvt_f32_u32 s24, s31
	s_sub_nc_u64 s[48:49], 0, s[30:31]
	v_add_nc_u64_e32 v[44:45], v[40:41], v[42:43]
	v_mov_b32_e32 v51, v38
	s_fmamk_f32 s1, s24, 0x4f800000, s1
	s_delay_alu instid0(SALU_CYCLE_3) | instskip(NEXT) | instid1(VALU_DEP_2)
	v_s_rcp_f32 s1, s1
	v_xor_b32_e32 v46, v44, v42
	s_delay_alu instid0(VALU_DEP_3) | instskip(NEXT) | instid1(TRANS32_DEP_1)
	v_xor_b32_e32 v50, v45, v42
	s_mul_f32 s1, s1, 0x5f7ffffc
	s_delay_alu instid0(SALU_CYCLE_3) | instskip(NEXT) | instid1(SALU_CYCLE_3)
	s_mul_f32 s24, s1, 0x2f800000
	s_trunc_f32 s24, s24
	s_delay_alu instid0(SALU_CYCLE_3) | instskip(SKIP_1) | instid1(SALU_CYCLE_2)
	s_fmamk_f32 s1, s24, 0xcf800000, s1
	s_cvt_u32_f32 s47, s24
	s_cvt_u32_f32 s46, s1
	s_delay_alu instid0(SALU_CYCLE_3) | instskip(NEXT) | instid1(SALU_CYCLE_1)
	s_mul_u64 s[50:51], s[48:49], s[46:47]
	s_mul_hi_u32 s53, s46, s51
	s_mul_i32 s52, s46, s51
	s_mul_hi_u32 s24, s46, s50
	s_mul_i32 s29, s47, s50
	s_add_nc_u64 s[52:53], s[24:25], s[52:53]
	s_mul_hi_u32 s1, s47, s50
	s_mul_hi_u32 s45, s47, s51
	s_add_co_u32 s24, s52, s29
	s_add_co_ci_u32 s24, s53, s1
	s_mul_i32 s50, s47, s51
	s_add_co_ci_u32 s51, s45, 0
	s_delay_alu instid0(SALU_CYCLE_1) | instskip(NEXT) | instid1(SALU_CYCLE_1)
	s_add_nc_u64 s[50:51], s[24:25], s[50:51]
	s_add_co_u32 s46, s46, s50
	s_cselect_b32 s1, -1, 0
	s_delay_alu instid0(SALU_CYCLE_1) | instskip(SKIP_1) | instid1(SALU_CYCLE_1)
	s_cmp_lg_u32 s1, 0
	s_add_co_ci_u32 s47, s47, s51
	s_mul_u64 s[48:49], s[48:49], s[46:47]
	s_delay_alu instid0(SALU_CYCLE_1)
	s_mul_hi_u32 s51, s46, s49
	s_mul_i32 s50, s46, s49
	s_mul_hi_u32 s24, s46, s48
	s_mul_i32 s29, s47, s48
	s_add_nc_u64 s[50:51], s[24:25], s[50:51]
	s_mul_hi_u32 s1, s47, s48
	s_mul_hi_u32 s45, s47, s49
	s_add_co_u32 s24, s50, s29
	s_add_co_ci_u32 s24, s51, s1
	s_mul_i32 s48, s47, s49
	s_add_co_ci_u32 s49, s45, 0
	s_delay_alu instid0(SALU_CYCLE_1) | instskip(NEXT) | instid1(SALU_CYCLE_1)
	s_add_nc_u64 s[48:49], s[24:25], s[48:49]
	s_add_co_u32 s46, s46, s48
	s_cselect_b32 s1, -1, 0
	v_mul_hi_u32 v54, v46, s46
	s_cmp_lg_u32 s1, 0
	s_add_co_ci_u32 s24, s47, s49
	s_and_b64 s[48:49], s[46:47], s[20:21]
	v_mul_u64_e32 v[48:49], s[24:25], v[46:47]
	v_mul_u64_e32 v[44:45], s[48:49], v[50:51]
	;; [unrolled: 1-line block ×3, first 2 shown]
	s_delay_alu instid0(VALU_DEP_3) | instskip(NEXT) | instid1(VALU_DEP_1)
	v_add_nc_u64_e32 v[48:49], v[54:55], v[48:49]
	v_add_co_u32 v39, vcc_lo, v48, v44
	s_delay_alu instid0(VALU_DEP_2) | instskip(NEXT) | instid1(VALU_DEP_4)
	v_add_co_ci_u32_e32 v54, vcc_lo, v49, v45, vcc_lo
	v_add_co_ci_u32_e32 v53, vcc_lo, 0, v53, vcc_lo
	s_delay_alu instid0(VALU_DEP_1) | instskip(NEXT) | instid1(VALU_DEP_1)
	v_add_nc_u64_e32 v[44:45], v[54:55], v[52:53]
	v_mul_u64_e32 v[48:49], s[30:31], v[44:45]
	s_delay_alu instid0(VALU_DEP_1) | instskip(NEXT) | instid1(VALU_DEP_2)
	v_sub_nc_u32_e32 v39, v50, v49
	v_sub_co_u32 v43, vcc_lo, v46, v48
	s_delay_alu instid0(VALU_DEP_1) | instskip(NEXT) | instid1(VALU_DEP_3)
	v_sub_co_ci_u32_e64 v50, null, v50, v49, vcc_lo
	v_subrev_co_ci_u32_e64 v39, null, s31, v39, vcc_lo
	s_delay_alu instid0(VALU_DEP_3) | instskip(SKIP_1) | instid1(VALU_DEP_3)
	v_sub_co_u32 v46, s1, v43, s30
	v_add_nc_u64_e32 v[48:49], 1, v[44:45]
	v_subrev_co_ci_u32_e64 v39, null, 0, v39, s1
	s_delay_alu instid0(VALU_DEP_3) | instskip(SKIP_1) | instid1(VALU_DEP_3)
	v_cmp_le_u32_e32 vcc_lo, s30, v46
	v_cndmask_b32_e64 v46, 0, -1, vcc_lo
	v_cmp_le_u32_e32 vcc_lo, s31, v39
	v_cndmask_b32_e64 v47, 0, -1, vcc_lo
	;; [unrolled: 2-line block ×4, first 2 shown]
	v_cmp_eq_u32_e32 vcc_lo, s31, v39
	v_cndmask_b32_e32 v39, v47, v46, vcc_lo
	v_cmp_eq_u32_e32 vcc_lo, s31, v50
	v_add_nc_u64_e32 v[46:47], 2, v[44:45]
	v_cndmask_b32_e32 v43, v51, v43, vcc_lo
	s_delay_alu instid0(VALU_DEP_4) | instskip(NEXT) | instid1(VALU_DEP_2)
	v_cmp_ne_u32_e32 vcc_lo, 0, v39
	v_cmp_ne_u32_e64 s1, 0, v43
	s_delay_alu instid0(VALU_DEP_4) | instskip(NEXT) | instid1(VALU_DEP_1)
	v_dual_cndmask_b32 v39, v49, v47, vcc_lo :: v_dual_cndmask_b32 v43, v48, v46, vcc_lo
	v_dual_cndmask_b32 v39, v45, v39, s1 :: v_dual_bitop2_b32 v42, s28, v42 bitop3:0x14
	s_delay_alu instid0(VALU_DEP_1) | instskip(NEXT) | instid1(VALU_DEP_2)
	v_dual_cndmask_b32 v44, v44, v43, s1 :: v_dual_mov_b32 v43, v42
	v_xor_b32_e32 v45, v39, v42
	s_delay_alu instid0(VALU_DEP_2) | instskip(NEXT) | instid1(VALU_DEP_1)
	v_xor_b32_e32 v44, v44, v42
	v_sub_nc_u64_e32 v[42:43], v[44:45], v[42:43]
.LBB27_121:                             ;   in Loop: Header=BB27_119 Depth=1
	s_and_not1_saveexec_b32 s1, s43
	s_cbranch_execz .LBB27_118
; %bb.122:                              ;   in Loop: Header=BB27_119 Depth=1
	v_cvt_f32_u32_e32 v39, s26
	s_sub_co_i32 s24, 0, s26
	s_delay_alu instid0(VALU_DEP_1) | instskip(SKIP_1) | instid1(TRANS32_DEP_1)
	v_rcp_iflag_f32_e32 v39, v39
	v_nop
	v_mul_f32_e32 v39, 0x4f7ffffe, v39
	s_delay_alu instid0(VALU_DEP_1) | instskip(NEXT) | instid1(VALU_DEP_1)
	v_cvt_u32_f32_e32 v39, v39
	v_mul_lo_u32 v42, s24, v39
	s_delay_alu instid0(VALU_DEP_1) | instskip(NEXT) | instid1(VALU_DEP_1)
	v_mul_hi_u32 v42, v39, v42
	v_add_nc_u32_e32 v39, v39, v42
	s_delay_alu instid0(VALU_DEP_1) | instskip(NEXT) | instid1(VALU_DEP_1)
	v_mul_hi_u32 v39, v40, v39
	v_mul_lo_u32 v42, v39, s26
	s_delay_alu instid0(VALU_DEP_1) | instskip(NEXT) | instid1(VALU_DEP_1)
	v_dual_add_nc_u32 v43, 1, v39 :: v_dual_sub_nc_u32 v42, v40, v42
	v_subrev_nc_u32_e32 v44, s26, v42
	v_cmp_le_u32_e32 vcc_lo, s26, v42
	s_delay_alu instid0(VALU_DEP_2) | instskip(NEXT) | instid1(VALU_DEP_1)
	v_dual_cndmask_b32 v42, v42, v44 :: v_dual_cndmask_b32 v39, v39, v43
	v_cmp_le_u32_e32 vcc_lo, s26, v42
	s_delay_alu instid0(VALU_DEP_2) | instskip(NEXT) | instid1(VALU_DEP_1)
	v_add_nc_u32_e32 v43, 1, v39
	v_dual_cndmask_b32 v42, v39, v43 :: v_dual_mov_b32 v43, v38
	s_branch .LBB27_118
.LBB27_123:
	s_wait_loadcnt 0x1
	v_sub_nc_u64_e32 v[12:13], v[4:5], v[2:3]
	s_and_not1_b32 s9, s39, exec_lo
	s_mov_b32 s7, exec_lo
	s_delay_alu instid0(VALU_DEP_1) | instskip(SKIP_2) | instid1(SALU_CYCLE_1)
	v_cmp_le_i64_e32 vcc_lo, v[10:11], v[12:13]
	v_cmp_ge_i64_e64 s1, s[10:11], v[12:13]
	s_and_b32 s1, vcc_lo, s1
	s_and_b32 s1, s35, s1
	s_delay_alu instid0(SALU_CYCLE_1) | instskip(NEXT) | instid1(SALU_CYCLE_1)
	s_xor_b32 s1, s1, -1
	s_and_b32 s1, s1, exec_lo
	s_delay_alu instid0(SALU_CYCLE_1)
	s_or_b32 s39, s9, s1
	s_or_b32 exec_lo, exec_lo, s8
	s_and_saveexec_b32 s1, s39
	s_cbranch_execz .LBB27_92
.LBB27_124:
	s_or_b32 s17, s17, exec_lo
	s_and_not1_b32 s7, s7, exec_lo
	s_trap 2
	s_or_b32 exec_lo, exec_lo, s1
	s_and_saveexec_b32 s22, s7
	s_cbranch_execz .LBB27_93
.LBB27_125:
	s_wait_loadcnt 0x2
	v_cmp_lt_i64_e32 vcc_lo, 0, v[6:7]
	v_mov_b64_e32 v[10:11], 0
	s_and_b32 s1, vcc_lo, s34
	s_delay_alu instid0(SALU_CYCLE_1)
	s_and_saveexec_b32 s23, s1
	s_cbranch_execz .LBB27_140
; %bb.126:
	s_wait_loadcnt 0x0
	v_mul_u64_e32 v[8:9], v[8:9], v[6:7]
	s_ashr_i32 s7, s6, 31
	v_mov_b64_e32 v[10:11], 0
	s_lshl_b64 s[8:9], s[6:7], 3
	v_mov_b32_e32 v6, 0
	s_add_nc_u64 s[8:9], s[18:19], s[8:9]
	s_mov_b64 s[6:7], 0xffffffff
	s_add_nc_u64 s[8:9], s[8:9], 32
	s_mov_b32 s11, 0
	s_branch .LBB27_128
.LBB27_127:                             ;   in Loop: Header=BB27_128 Depth=1
	s_or_b32 exec_lo, exec_lo, s1
	s_delay_alu instid0(VALU_DEP_1)
	v_mul_u64_e32 v[14:15], s[12:13], v[12:13]
	s_load_b64 s[12:13], s[8:9], 0x40
	s_add_co_i32 s14, s14, -1
	s_wait_xcnt 0x0
	s_add_nc_u64 s[8:9], s[8:9], -8
	s_cmp_lg_u32 s14, 0
	s_delay_alu instid0(VALU_DEP_1) | instskip(SKIP_1) | instid1(VALU_DEP_1)
	v_sub_nc_u64_e32 v[8:9], v[8:9], v[14:15]
	s_wait_kmcnt 0x0
	v_mad_nc_u64_u32 v[10:11], v8, s12, v[10:11]
	s_delay_alu instid0(VALU_DEP_1) | instskip(NEXT) | instid1(VALU_DEP_1)
	v_mad_u32 v7, v9, s12, v11
	v_mad_u32 v11, v8, s13, v7
	v_mov_b64_e32 v[8:9], v[12:13]
	s_cbranch_scc0 .LBB27_140
.LBB27_128:                             ; =>This Inner Loop Header: Depth=1
	s_load_b64 s[12:13], s[8:9], 0x0
                                        ; implicit-def: $vgpr12_vgpr13
	s_mov_b32 s1, exec_lo
	s_wait_kmcnt 0x0
	s_delay_alu instid0(VALU_DEP_1) | instskip(NEXT) | instid1(VALU_DEP_1)
	v_or_b32_e32 v7, s13, v9
	v_cmpx_ne_u64_e32 0, v[6:7]
	s_xor_b32 s24, exec_lo, s1
	s_cbranch_execz .LBB27_130
; %bb.129:                              ;   in Loop: Header=BB27_128 Depth=1
	s_ashr_i32 s18, s13, 31
	v_dual_mov_b32 v17, v6 :: v_dual_ashrrev_i32 v12, 31, v9
	s_mov_b32 s19, s18
	s_delay_alu instid0(SALU_CYCLE_1) | instskip(NEXT) | instid1(VALU_DEP_1)
	s_add_nc_u64 s[20:21], s[12:13], s[18:19]
	v_mov_b32_e32 v13, v12
	s_xor_b64 s[20:21], s[20:21], s[18:19]
	s_delay_alu instid0(SALU_CYCLE_1)
	s_cvt_f32_u32 s1, s20
	s_cvt_f32_u32 s10, s21
	s_sub_nc_u64 s[28:29], 0, s[20:21]
	v_add_nc_u64_e32 v[14:15], v[8:9], v[12:13]
	v_mov_b32_e32 v21, v6
	s_fmamk_f32 s1, s10, 0x4f800000, s1
	s_delay_alu instid0(SALU_CYCLE_3) | instskip(NEXT) | instid1(VALU_DEP_2)
	v_s_rcp_f32 s1, s1
	v_xor_b32_e32 v16, v14, v12
	s_delay_alu instid0(VALU_DEP_3) | instskip(SKIP_1) | instid1(TRANS32_DEP_1)
	v_dual_mov_b32 v25, v6 :: v_dual_bitop2_b32 v20, v15, v12 bitop3:0x14
	v_xor_b32_e32 v12, s18, v12
	s_mul_f32 s1, s1, 0x5f7ffffc
	s_delay_alu instid0(SALU_CYCLE_3) | instskip(NEXT) | instid1(SALU_CYCLE_3)
	s_mul_f32 s10, s1, 0x2f800000
	s_trunc_f32 s10, s10
	s_delay_alu instid0(SALU_CYCLE_3) | instskip(SKIP_1) | instid1(SALU_CYCLE_2)
	s_fmamk_f32 s1, s10, 0xcf800000, s1
	s_cvt_u32_f32 s27, s10
	s_cvt_u32_f32 s26, s1
	s_delay_alu instid0(SALU_CYCLE_3) | instskip(NEXT) | instid1(SALU_CYCLE_1)
	s_mul_u64 s[30:31], s[28:29], s[26:27]
	s_mul_hi_u32 s35, s26, s31
	s_mul_i32 s34, s26, s31
	s_mul_hi_u32 s10, s26, s30
	s_mul_i32 s19, s27, s30
	s_add_nc_u64 s[34:35], s[10:11], s[34:35]
	s_mul_hi_u32 s1, s27, s30
	s_mul_hi_u32 s25, s27, s31
	s_add_co_u32 s10, s34, s19
	s_add_co_ci_u32 s10, s35, s1
	s_mul_i32 s30, s27, s31
	s_add_co_ci_u32 s31, s25, 0
	s_delay_alu instid0(SALU_CYCLE_1) | instskip(NEXT) | instid1(SALU_CYCLE_1)
	s_add_nc_u64 s[30:31], s[10:11], s[30:31]
	s_add_co_u32 s26, s26, s30
	s_cselect_b32 s1, -1, 0
	s_delay_alu instid0(SALU_CYCLE_1) | instskip(SKIP_1) | instid1(SALU_CYCLE_1)
	s_cmp_lg_u32 s1, 0
	s_add_co_ci_u32 s27, s27, s31
	s_mul_u64 s[28:29], s[28:29], s[26:27]
	s_delay_alu instid0(SALU_CYCLE_1)
	s_mul_hi_u32 s31, s26, s29
	s_mul_i32 s30, s26, s29
	s_mul_hi_u32 s10, s26, s28
	s_mul_i32 s19, s27, s28
	s_add_nc_u64 s[30:31], s[10:11], s[30:31]
	s_mul_hi_u32 s1, s27, s28
	s_mul_hi_u32 s25, s27, s29
	s_add_co_u32 s10, s30, s19
	s_add_co_ci_u32 s10, s31, s1
	s_mul_i32 s28, s27, s29
	s_add_co_ci_u32 s29, s25, 0
	s_delay_alu instid0(SALU_CYCLE_1) | instskip(NEXT) | instid1(SALU_CYCLE_1)
	s_add_nc_u64 s[28:29], s[10:11], s[28:29]
	s_add_co_u32 s26, s26, s28
	s_cselect_b32 s1, -1, 0
	v_mul_hi_u32 v24, v16, s26
	s_cmp_lg_u32 s1, 0
	s_add_co_ci_u32 s10, s27, s29
	s_and_b64 s[28:29], s[26:27], s[6:7]
	v_mul_u64_e32 v[18:19], s[10:11], v[16:17]
	v_mul_u64_e32 v[14:15], s[28:29], v[20:21]
	;; [unrolled: 1-line block ×3, first 2 shown]
	s_delay_alu instid0(VALU_DEP_3) | instskip(NEXT) | instid1(VALU_DEP_1)
	v_add_nc_u64_e32 v[18:19], v[24:25], v[18:19]
	v_add_co_u32 v7, vcc_lo, v18, v14
	s_delay_alu instid0(VALU_DEP_2) | instskip(NEXT) | instid1(VALU_DEP_4)
	v_add_co_ci_u32_e32 v24, vcc_lo, v19, v15, vcc_lo
	v_add_co_ci_u32_e32 v23, vcc_lo, 0, v23, vcc_lo
	s_delay_alu instid0(VALU_DEP_1) | instskip(NEXT) | instid1(VALU_DEP_1)
	v_add_nc_u64_e32 v[14:15], v[24:25], v[22:23]
	v_mul_u64_e32 v[18:19], s[20:21], v[14:15]
	s_delay_alu instid0(VALU_DEP_1) | instskip(NEXT) | instid1(VALU_DEP_2)
	v_sub_nc_u32_e32 v7, v20, v19
	v_sub_co_u32 v13, vcc_lo, v16, v18
	s_delay_alu instid0(VALU_DEP_1) | instskip(NEXT) | instid1(VALU_DEP_3)
	v_sub_co_ci_u32_e64 v20, null, v20, v19, vcc_lo
	v_subrev_co_ci_u32_e64 v7, null, s21, v7, vcc_lo
	s_delay_alu instid0(VALU_DEP_3) | instskip(SKIP_1) | instid1(VALU_DEP_3)
	v_sub_co_u32 v16, s1, v13, s20
	v_add_nc_u64_e32 v[18:19], 1, v[14:15]
	v_subrev_co_ci_u32_e64 v7, null, 0, v7, s1
	s_delay_alu instid0(VALU_DEP_3) | instskip(SKIP_1) | instid1(VALU_DEP_3)
	v_cmp_le_u32_e32 vcc_lo, s20, v16
	v_cndmask_b32_e64 v16, 0, -1, vcc_lo
	v_cmp_le_u32_e32 vcc_lo, s21, v7
	v_cndmask_b32_e64 v17, 0, -1, vcc_lo
	v_cmp_le_u32_e32 vcc_lo, s20, v13
	v_cndmask_b32_e64 v13, 0, -1, vcc_lo
	v_cmp_le_u32_e32 vcc_lo, s21, v20
	v_cndmask_b32_e64 v21, 0, -1, vcc_lo
	v_cmp_eq_u32_e32 vcc_lo, s21, v7
	v_cndmask_b32_e32 v7, v17, v16, vcc_lo
	v_cmp_eq_u32_e32 vcc_lo, s21, v20
	v_add_nc_u64_e32 v[16:17], 2, v[14:15]
	v_cndmask_b32_e32 v13, v21, v13, vcc_lo
	s_delay_alu instid0(VALU_DEP_4) | instskip(NEXT) | instid1(VALU_DEP_2)
	v_cmp_ne_u32_e32 vcc_lo, 0, v7
	v_cmp_ne_u32_e64 s1, 0, v13
	s_delay_alu instid0(VALU_DEP_4) | instskip(NEXT) | instid1(VALU_DEP_1)
	v_dual_cndmask_b32 v7, v19, v17, vcc_lo :: v_dual_cndmask_b32 v13, v18, v16, vcc_lo
	v_dual_cndmask_b32 v14, v14, v13, s1 :: v_dual_mov_b32 v13, v12
	s_delay_alu instid0(VALU_DEP_1) | instskip(NEXT) | instid1(VALU_DEP_1)
	v_dual_cndmask_b32 v7, v15, v7, s1 :: v_dual_bitop2_b32 v14, v14, v12 bitop3:0x14
	v_xor_b32_e32 v15, v7, v12
	s_delay_alu instid0(VALU_DEP_1)
	v_sub_nc_u64_e32 v[12:13], v[14:15], v[12:13]
.LBB27_130:                             ;   in Loop: Header=BB27_128 Depth=1
	s_and_not1_saveexec_b32 s1, s24
	s_cbranch_execz .LBB27_127
; %bb.131:                              ;   in Loop: Header=BB27_128 Depth=1
	v_cvt_f32_u32_e32 v7, s12
	s_sub_co_i32 s10, 0, s12
	s_delay_alu instid0(VALU_DEP_1) | instskip(SKIP_1) | instid1(TRANS32_DEP_1)
	v_rcp_iflag_f32_e32 v7, v7
	v_nop
	v_mul_f32_e32 v7, 0x4f7ffffe, v7
	s_delay_alu instid0(VALU_DEP_1) | instskip(NEXT) | instid1(VALU_DEP_1)
	v_cvt_u32_f32_e32 v7, v7
	v_mul_lo_u32 v12, s10, v7
	s_delay_alu instid0(VALU_DEP_1) | instskip(NEXT) | instid1(VALU_DEP_1)
	v_mul_hi_u32 v12, v7, v12
	v_add_nc_u32_e32 v7, v7, v12
	s_delay_alu instid0(VALU_DEP_1) | instskip(NEXT) | instid1(VALU_DEP_1)
	v_mul_hi_u32 v7, v8, v7
	v_mul_lo_u32 v12, v7, s12
	s_delay_alu instid0(VALU_DEP_1) | instskip(NEXT) | instid1(VALU_DEP_1)
	v_dual_add_nc_u32 v13, 1, v7 :: v_dual_sub_nc_u32 v12, v8, v12
	v_subrev_nc_u32_e32 v14, s12, v12
	v_cmp_le_u32_e32 vcc_lo, s12, v12
	s_delay_alu instid0(VALU_DEP_2) | instskip(NEXT) | instid1(VALU_DEP_1)
	v_dual_cndmask_b32 v12, v12, v14 :: v_dual_cndmask_b32 v7, v7, v13
	v_cmp_le_u32_e32 vcc_lo, s12, v12
	s_delay_alu instid0(VALU_DEP_2) | instskip(NEXT) | instid1(VALU_DEP_1)
	v_add_nc_u32_e32 v13, 1, v7
	v_dual_cndmask_b32 v12, v7, v13 :: v_dual_mov_b32 v13, v6
	s_branch .LBB27_127
.LBB27_132:
	s_wait_loadcnt 0x2
	v_mov_b64_e32 v[2:3], 0
	s_wait_loadcnt 0x1
	v_dual_mov_b32 v0, v1 :: v_dual_bitop2_b32 v4, s16, v0 bitop3:0x54
	global_store_b64 v4, v[2:3], s[4:5] scale_offset
	s_wait_xcnt 0x0
	s_or_b32 exec_lo, exec_lo, s0
	s_delay_alu instid0(SALU_CYCLE_1)
	s_mov_b32 s0, exec_lo
	v_cmpx_gt_i32_e64 s33, v0
	s_cbranch_execz .LBB27_100
.LBB27_133:
	s_wait_loadcnt 0x2
	v_mov_b64_e32 v[2:3], 0
	v_add_nc_u32_e32 v1, s16, v0
	v_add_nc_u32_e32 v0, 0x100, v0
	global_store_b64 v1, v[2:3], s[4:5] scale_offset
	s_wait_xcnt 0x0
	s_or_b32 exec_lo, exec_lo, s0
	s_delay_alu instid0(SALU_CYCLE_1)
	s_mov_b32 s0, exec_lo
	v_cmpx_gt_i32_e64 s33, v0
	s_cbranch_execz .LBB27_101
.LBB27_134:
	s_wait_loadcnt 0x2
	v_mov_b64_e32 v[2:3], 0
	v_add_nc_u32_e32 v1, s16, v0
	v_add_nc_u32_e32 v0, 0x100, v0
	global_store_b64 v1, v[2:3], s[4:5] scale_offset
	s_wait_xcnt 0x0
	s_or_b32 exec_lo, exec_lo, s0
	s_delay_alu instid0(SALU_CYCLE_1)
	s_mov_b32 s0, exec_lo
	v_cmpx_gt_i32_e64 s33, v0
	s_cbranch_execnz .LBB27_102
	s_branch .LBB27_103
.LBB27_135:
	s_or_b32 exec_lo, exec_lo, s38
	s_mov_b32 s1, s36
	s_mov_b32 s0, exec_lo
	v_cmpx_gt_i64_e64 v[4:5], v[8:9]
	s_cbranch_execz .LBB27_151
; %bb.136:
	s_delay_alu instid0(VALU_DEP_2) | instskip(SKIP_2) | instid1(VALU_DEP_1)
	v_lshlrev_b64_e32 v[2:3], 3, v[2:3]
	s_mov_b32 s1, 0
	s_xor_b32 s3, s42, -1
                                        ; implicit-def: $sgpr2
	v_lshl_add_u64 v[6:7], v[8:9], 3, v[2:3]
	v_add_nc_u64_e32 v[8:9], s[24:25], v[2:3]
	s_delay_alu instid0(VALU_DEP_2) | instskip(NEXT) | instid1(VALU_DEP_2)
	v_add_nc_u64_e32 v[6:7], s[24:25], v[6:7]
                                        ; implicit-def: $sgpr25
                                        ; implicit-def: $sgpr24
	v_lshl_add_u64 v[4:5], v[4:5], 3, v[8:9]
	s_delay_alu instid0(VALU_DEP_2)
	v_add_nc_u64_e32 v[2:3], 8, v[6:7]
	s_branch .LBB27_138
.LBB27_137:                             ;   in Loop: Header=BB27_138 Depth=1
	s_or_b32 exec_lo, exec_lo, s26
	s_xor_b32 s26, s24, -1
	s_and_b32 s27, exec_lo, s25
	s_delay_alu instid0(SALU_CYCLE_1) | instskip(SKIP_2) | instid1(SALU_CYCLE_1)
	s_or_b32 s1, s27, s1
	s_and_not1_b32 s2, s2, exec_lo
	s_and_b32 s26, s26, exec_lo
	s_or_b32 s2, s2, s26
	s_and_not1_b32 exec_lo, exec_lo, s1
	s_cbranch_execz .LBB27_150
.LBB27_138:                             ; =>This Inner Loop Header: Depth=1
	s_or_b32 s24, s24, exec_lo
	s_or_b32 s25, s25, exec_lo
	s_mov_b32 s26, exec_lo
	s_delay_alu instid0(VALU_DEP_1)
	v_cmpx_lt_u64_e64 v[2:3], v[4:5]
	s_cbranch_execz .LBB27_137
; %bb.139:                              ;   in Loop: Header=BB27_138 Depth=1
	global_load_b128 v[6:9], v[2:3], off offset:-8
	s_wait_xcnt 0x0
	v_add_nc_u64_e32 v[2:3], 8, v[2:3]
	s_and_not1_b32 s25, s25, exec_lo
	s_and_not1_b32 s24, s24, exec_lo
	s_wait_loadcnt 0x0
	v_cmp_ge_i64_e32 vcc_lo, v[6:7], v[8:9]
	s_or_b32 s27, s3, vcc_lo
	s_delay_alu instid0(SALU_CYCLE_1) | instskip(NEXT) | instid1(SALU_CYCLE_1)
	s_and_b32 s27, s27, exec_lo
	s_or_b32 s25, s25, s27
	s_branch .LBB27_137
.LBB27_140:
	s_or_b32 exec_lo, exec_lo, s23
	s_mov_b32 s6, s37
	s_mov_b32 s1, exec_lo
	s_wait_loadcnt 0x1
	v_cmpx_gt_i64_e64 v[4:5], v[2:3]
	s_cbranch_execz .LBB27_154
; %bb.141:
	s_delay_alu instid0(VALU_DEP_2) | instskip(SKIP_1) | instid1(VALU_DEP_1)
	v_lshlrev_b64_e32 v[6:7], 3, v[10:11]
	s_xor_b32 s6, s15, -1
                                        ; implicit-def: $sgpr8
                                        ; implicit-def: $sgpr7
	v_lshl_add_u64 v[2:3], v[2:3], 3, v[6:7]
	v_add_nc_u64_e32 v[6:7], s[2:3], v[6:7]
	s_delay_alu instid0(VALU_DEP_2) | instskip(SKIP_1) | instid1(VALU_DEP_2)
	v_add_nc_u64_e32 v[2:3], s[2:3], v[2:3]
	s_mov_b32 s2, 0
                                        ; implicit-def: $sgpr3
	v_lshl_add_u64 v[4:5], v[4:5], 3, v[6:7]
	s_delay_alu instid0(VALU_DEP_2)
	v_add_nc_u64_e32 v[2:3], 8, v[2:3]
	s_branch .LBB27_143
.LBB27_142:                             ;   in Loop: Header=BB27_143 Depth=1
	s_or_b32 exec_lo, exec_lo, s9
	s_xor_b32 s9, s7, -1
	s_and_b32 s10, exec_lo, s8
	s_delay_alu instid0(SALU_CYCLE_1) | instskip(SKIP_2) | instid1(SALU_CYCLE_1)
	s_or_b32 s2, s10, s2
	s_and_not1_b32 s3, s3, exec_lo
	s_and_b32 s9, s9, exec_lo
	s_or_b32 s3, s3, s9
	s_and_not1_b32 exec_lo, exec_lo, s2
	s_cbranch_execz .LBB27_153
.LBB27_143:                             ; =>This Inner Loop Header: Depth=1
	s_or_b32 s7, s7, exec_lo
	s_or_b32 s8, s8, exec_lo
	s_mov_b32 s9, exec_lo
	s_delay_alu instid0(VALU_DEP_1)
	v_cmpx_lt_u64_e64 v[2:3], v[4:5]
	s_cbranch_execz .LBB27_142
; %bb.144:                              ;   in Loop: Header=BB27_143 Depth=1
	s_wait_loadcnt 0x0
	global_load_b128 v[6:9], v[2:3], off offset:-8
	s_wait_xcnt 0x0
	v_add_nc_u64_e32 v[2:3], 8, v[2:3]
	s_and_not1_b32 s8, s8, exec_lo
	s_and_not1_b32 s7, s7, exec_lo
	s_wait_loadcnt 0x0
	v_cmp_ge_i64_e32 vcc_lo, v[6:7], v[8:9]
	s_or_b32 s10, s6, vcc_lo
	s_delay_alu instid0(SALU_CYCLE_1) | instskip(NEXT) | instid1(SALU_CYCLE_1)
	s_and_b32 s10, s10, exec_lo
	s_or_b32 s8, s8, s10
	s_branch .LBB27_142
.LBB27_145:
	s_or_b32 exec_lo, exec_lo, s42
	s_mov_b32 s21, -1
	s_mov_b32 s7, 0
	s_mov_b32 s1, exec_lo
	v_cmpx_gt_i64_e64 v[34:35], v[32:33]
	s_cbranch_execz .LBB27_157
; %bb.146:
	s_delay_alu instid0(VALU_DEP_2) | instskip(SKIP_1) | instid1(VALU_DEP_1)
	v_lshlrev_b64_e32 v[36:37], 3, v[36:37]
	s_xor_b32 s21, s15, -1
                                        ; implicit-def: $sgpr20
                                        ; implicit-def: $sgpr23
                                        ; implicit-def: $sgpr22
	v_lshl_add_u64 v[32:33], v[32:33], 3, v[36:37]
	v_add_nc_u64_e32 v[36:37], s[2:3], v[36:37]
	s_delay_alu instid0(VALU_DEP_2) | instskip(NEXT) | instid1(VALU_DEP_2)
	v_add_nc_u64_e32 v[32:33], s[2:3], v[32:33]
	v_lshl_add_u64 v[34:35], v[34:35], 3, v[36:37]
	s_delay_alu instid0(VALU_DEP_2)
	v_add_nc_u64_e32 v[32:33], 8, v[32:33]
	s_branch .LBB27_148
.LBB27_147:                             ;   in Loop: Header=BB27_148 Depth=1
	s_or_b32 exec_lo, exec_lo, s24
	s_delay_alu instid0(SALU_CYCLE_1) | instskip(NEXT) | instid1(SALU_CYCLE_1)
	s_and_b32 s24, exec_lo, s23
	s_or_b32 s7, s24, s7
	s_and_not1_b32 s20, s20, exec_lo
	s_and_b32 s24, s22, exec_lo
	s_delay_alu instid0(SALU_CYCLE_1)
	s_or_b32 s20, s20, s24
	s_and_not1_b32 exec_lo, exec_lo, s7
	s_cbranch_execz .LBB27_156
.LBB27_148:                             ; =>This Inner Loop Header: Depth=1
	s_or_b32 s22, s22, exec_lo
	s_or_b32 s23, s23, exec_lo
	s_mov_b32 s24, exec_lo
	s_delay_alu instid0(VALU_DEP_1)
	v_cmpx_lt_u64_e64 v[32:33], v[34:35]
	s_cbranch_execz .LBB27_147
; %bb.149:                              ;   in Loop: Header=BB27_148 Depth=1
	global_load_b128 v[36:39], v[32:33], off offset:-8
	s_wait_xcnt 0x0
	v_add_nc_u64_e32 v[32:33], 8, v[32:33]
	s_and_not1_b32 s23, s23, exec_lo
	s_and_not1_b32 s22, s22, exec_lo
	s_wait_loadcnt 0x0
	v_cmp_ge_i64_e32 vcc_lo, v[36:37], v[38:39]
	s_or_b32 s25, s21, vcc_lo
	s_delay_alu instid0(SALU_CYCLE_1) | instskip(NEXT) | instid1(SALU_CYCLE_1)
	s_and_b32 s25, s25, exec_lo
	s_or_b32 s23, s23, s25
	s_branch .LBB27_147
.LBB27_150:
	s_or_b32 exec_lo, exec_lo, s1
	s_delay_alu instid0(SALU_CYCLE_1) | instskip(SKIP_1) | instid1(SALU_CYCLE_1)
	s_and_not1_b32 s1, s36, exec_lo
	s_and_b32 s2, s2, exec_lo
	s_or_b32 s1, s1, s2
.LBB27_151:
	s_or_b32 exec_lo, exec_lo, s0
	s_delay_alu instid0(SALU_CYCLE_1)
	s_and_not1_b32 s2, s36, exec_lo
	s_and_b32 s1, s1, exec_lo
	s_mov_b32 s0, exec_lo
	s_or_b32 s36, s2, s1
	s_or_b32 exec_lo, exec_lo, s37
	s_and_saveexec_b32 s1, s36
	s_cbranch_execz .LBB27_72
.LBB27_152:
	s_or_b32 s17, s17, exec_lo
	s_and_not1_b32 s0, s0, exec_lo
	s_trap 2
	s_or_b32 exec_lo, exec_lo, s1
	s_and_saveexec_b32 s1, s0
	s_delay_alu instid0(SALU_CYCLE_1)
	s_xor_b32 s0, exec_lo, s1
	s_cbranch_execnz .LBB27_73
	s_branch .LBB27_74
.LBB27_153:
	s_or_b32 exec_lo, exec_lo, s2
	s_delay_alu instid0(SALU_CYCLE_1) | instskip(SKIP_1) | instid1(SALU_CYCLE_1)
	s_and_not1_b32 s2, s37, exec_lo
	s_and_b32 s3, s3, exec_lo
	s_or_b32 s6, s2, s3
.LBB27_154:
	s_or_b32 exec_lo, exec_lo, s1
	s_delay_alu instid0(SALU_CYCLE_1)
	s_and_not1_b32 s1, s37, exec_lo
	s_and_b32 s2, s6, exec_lo
	s_or_b32 s40, s40, exec_lo
	s_or_b32 s37, s1, s2
	s_or_b32 exec_lo, exec_lo, s22
	s_and_saveexec_b32 s1, s37
	s_cbranch_execz .LBB27_94
.LBB27_155:
	s_and_not1_b32 s40, s40, exec_lo
	s_or_b32 s17, s17, exec_lo
	s_trap 2
	s_or_b32 exec_lo, exec_lo, s1
	s_and_saveexec_b32 s1, s17
	s_cbranch_execnz .LBB27_96
	s_branch .LBB27_97
.LBB27_156:
	s_or_b32 exec_lo, exec_lo, s7
	s_delay_alu instid0(SALU_CYCLE_1)
	s_mov_b32 s7, exec_lo
	s_or_not1_b32 s21, s20, exec_lo
.LBB27_157:
	s_or_b32 exec_lo, exec_lo, s1
	s_delay_alu instid0(SALU_CYCLE_1)
	s_and_b32 s20, s7, exec_lo
	s_xor_b32 s7, exec_lo, -1
	s_and_b32 s1, s21, exec_lo
.LBB27_158:
	s_or_b32 exec_lo, exec_lo, s41
	s_delay_alu instid0(SALU_CYCLE_1)
	s_and_b32 s21, s20, exec_lo
	s_and_b32 s20, s7, exec_lo
	s_xor_b32 s7, exec_lo, -1
	s_and_b32 s1, s1, exec_lo
.LBB27_159:
	s_or_b32 exec_lo, exec_lo, s39
	s_delay_alu instid0(SALU_CYCLE_1)
	s_and_b32 s22, s21, exec_lo
	s_and_b32 s21, s20, exec_lo
	;; [unrolled: 1-line block ×3, first 2 shown]
	s_xor_b32 s7, exec_lo, -1
	s_and_b32 s1, s1, exec_lo
.LBB27_160:
	s_or_b32 exec_lo, exec_lo, s37
	s_delay_alu instid0(SALU_CYCLE_1)
	s_and_b32 s37, s22, exec_lo
	s_and_b32 s39, s21, exec_lo
	;; [unrolled: 1-line block ×4, first 2 shown]
	s_or_not1_b32 s1, s1, exec_lo
	s_or_b32 exec_lo, exec_lo, s40
	s_mov_b32 s40, 0
	s_and_saveexec_b32 s43, s1
	s_cbranch_execz .LBB27_86
.LBB27_161:
	s_mov_b32 s1, -1
	s_mov_b32 s48, 0
	s_mov_b32 s44, s42
	s_mov_b32 s46, s41
	s_mov_b32 s45, s39
	s_mov_b32 s47, exec_lo
	v_cmpx_gt_i32_e64 s33, v1
	s_cbranch_execz .LBB27_182
; %bb.162:
	v_cmp_eq_u64_e32 vcc_lo, s[8:9], v[26:27]
	s_mov_b32 s7, -1
	s_mov_b32 s1, 0
	s_mov_b32 s21, s41
	;; [unrolled: 1-line block ×4, first 2 shown]
	s_and_b32 s23, s38, vcc_lo
	s_delay_alu instid0(SALU_CYCLE_1)
	s_and_saveexec_b32 s40, s23
	s_cbranch_execz .LBB27_181
; %bb.163:
	v_cmp_eq_u64_e32 vcc_lo, s[12:13], v[28:29]
	s_mov_b32 s21, s39
	s_and_b32 s22, s36, vcc_lo
	s_delay_alu instid0(SALU_CYCLE_1)
	s_and_saveexec_b32 s44, s22
	s_cbranch_execz .LBB27_180
; %bb.164:
	v_sub_nc_u64_e32 v[32:33], v[24:25], v[22:23]
	s_delay_alu instid0(VALU_DEP_1)
	v_cmp_le_i64_e32 vcc_lo, v[26:27], v[32:33]
	v_cmp_ge_i64_e64 s1, s[10:11], v[32:33]
	s_and_b32 s20, vcc_lo, s1
	s_mov_b32 s1, 0
	s_and_b32 s21, s35, s20
	s_mov_b32 s20, 0
	s_and_saveexec_b32 s45, s21
	s_cbranch_execz .LBB27_179
; %bb.165:
	v_cmp_lt_i64_e32 vcc_lo, 0, v[28:29]
	v_mov_b64_e32 v[26:27], 0
	s_and_b32 s1, vcc_lo, s34
	s_delay_alu instid0(SALU_CYCLE_1)
	s_and_saveexec_b32 s46, s1
	s_cbranch_execz .LBB27_172
; %bb.166:
	v_mul_u64_e32 v[30:31], v[30:31], v[28:29]
	s_ashr_i32 s7, s6, 31
	v_mov_b64_e32 v[26:27], 0
	s_lshl_b64 s[22:23], s[6:7], 3
	v_mov_b32_e32 v28, 0
	s_add_nc_u64 s[22:23], s[18:19], s[22:23]
	s_mov_b64 s[20:21], 0xffffffff
	s_add_nc_u64 s[22:23], s[22:23], 32
	s_mov_b32 s25, 0
	s_mov_b32 s7, s14
	s_branch .LBB27_168
.LBB27_167:                             ;   in Loop: Header=BB27_168 Depth=1
	s_or_b32 exec_lo, exec_lo, s1
	s_delay_alu instid0(VALU_DEP_1)
	v_mul_u64_e32 v[34:35], s[26:27], v[32:33]
	s_load_b64 s[26:27], s[22:23], 0x40
	s_add_co_i32 s7, s7, -1
	s_wait_xcnt 0x0
	s_add_nc_u64 s[22:23], s[22:23], -8
	s_cmp_lg_u32 s7, 0
	s_delay_alu instid0(VALU_DEP_1) | instskip(SKIP_1) | instid1(VALU_DEP_1)
	v_sub_nc_u64_e32 v[30:31], v[30:31], v[34:35]
	s_wait_kmcnt 0x0
	v_mad_nc_u64_u32 v[26:27], v30, s26, v[26:27]
	s_delay_alu instid0(VALU_DEP_1) | instskip(NEXT) | instid1(VALU_DEP_1)
	v_mad_u32 v27, v31, s26, v27
	v_mad_u32 v27, v30, s27, v27
	v_mov_b64_e32 v[30:31], v[32:33]
	s_cbranch_scc0 .LBB27_172
.LBB27_168:                             ; =>This Inner Loop Header: Depth=1
	s_load_b64 s[26:27], s[22:23], 0x0
                                        ; implicit-def: $vgpr32_vgpr33
	s_mov_b32 s1, exec_lo
	s_wait_kmcnt 0x0
	s_delay_alu instid0(VALU_DEP_1) | instskip(NEXT) | instid1(VALU_DEP_1)
	v_or_b32_e32 v29, s27, v31
	v_cmpx_ne_u64_e32 0, v[28:29]
	s_xor_b32 s49, exec_lo, s1
	s_cbranch_execz .LBB27_170
; %bb.169:                              ;   in Loop: Header=BB27_168 Depth=1
	s_ashr_i32 s28, s27, 31
	v_dual_mov_b32 v37, v28 :: v_dual_ashrrev_i32 v32, 31, v31
	s_mov_b32 s29, s28
	v_mov_b32_e32 v45, v28
	s_add_nc_u64 s[30:31], s[26:27], s[28:29]
	s_delay_alu instid0(VALU_DEP_2) | instskip(SKIP_1) | instid1(SALU_CYCLE_1)
	v_mov_b32_e32 v33, v32
	s_xor_b64 s[30:31], s[30:31], s[28:29]
	s_cvt_f32_u32 s1, s30
	s_cvt_f32_u32 s24, s31
	s_sub_nc_u64 s[52:53], 0, s[30:31]
	v_add_nc_u64_e32 v[34:35], v[30:31], v[32:33]
	v_mov_b32_e32 v41, v28
	s_fmamk_f32 s1, s24, 0x4f800000, s1
	s_delay_alu instid0(SALU_CYCLE_3) | instskip(NEXT) | instid1(VALU_DEP_2)
	v_s_rcp_f32 s1, s1
	v_xor_b32_e32 v36, v34, v32
	s_delay_alu instid0(VALU_DEP_3) | instskip(NEXT) | instid1(TRANS32_DEP_1)
	v_xor_b32_e32 v40, v35, v32
	s_mul_f32 s1, s1, 0x5f7ffffc
	s_delay_alu instid0(SALU_CYCLE_3) | instskip(NEXT) | instid1(SALU_CYCLE_3)
	s_mul_f32 s24, s1, 0x2f800000
	s_trunc_f32 s24, s24
	s_delay_alu instid0(SALU_CYCLE_3) | instskip(SKIP_1) | instid1(SALU_CYCLE_2)
	s_fmamk_f32 s1, s24, 0xcf800000, s1
	s_cvt_u32_f32 s51, s24
	s_cvt_u32_f32 s50, s1
	s_delay_alu instid0(SALU_CYCLE_3) | instskip(NEXT) | instid1(SALU_CYCLE_1)
	s_mul_u64 s[54:55], s[52:53], s[50:51]
	s_mul_hi_u32 s57, s50, s55
	s_mul_i32 s56, s50, s55
	s_mul_hi_u32 s24, s50, s54
	s_mul_i32 s29, s51, s54
	s_add_nc_u64 s[56:57], s[24:25], s[56:57]
	s_mul_hi_u32 s1, s51, s54
	s_mul_hi_u32 s58, s51, s55
	s_add_co_u32 s24, s56, s29
	s_add_co_ci_u32 s24, s57, s1
	s_mul_i32 s54, s51, s55
	s_add_co_ci_u32 s55, s58, 0
	s_delay_alu instid0(SALU_CYCLE_1) | instskip(NEXT) | instid1(SALU_CYCLE_1)
	s_add_nc_u64 s[54:55], s[24:25], s[54:55]
	s_add_co_u32 s50, s50, s54
	s_cselect_b32 s1, -1, 0
	s_delay_alu instid0(SALU_CYCLE_1) | instskip(SKIP_1) | instid1(SALU_CYCLE_1)
	s_cmp_lg_u32 s1, 0
	s_add_co_ci_u32 s51, s51, s55
	s_mul_u64 s[52:53], s[52:53], s[50:51]
	s_delay_alu instid0(SALU_CYCLE_1)
	s_mul_hi_u32 s55, s50, s53
	s_mul_i32 s54, s50, s53
	s_mul_hi_u32 s24, s50, s52
	s_mul_i32 s29, s51, s52
	s_add_nc_u64 s[54:55], s[24:25], s[54:55]
	s_mul_hi_u32 s1, s51, s52
	s_mul_hi_u32 s56, s51, s53
	s_add_co_u32 s24, s54, s29
	s_add_co_ci_u32 s24, s55, s1
	s_mul_i32 s52, s51, s53
	s_add_co_ci_u32 s53, s56, 0
	s_delay_alu instid0(SALU_CYCLE_1) | instskip(NEXT) | instid1(SALU_CYCLE_1)
	s_add_nc_u64 s[52:53], s[24:25], s[52:53]
	s_add_co_u32 s50, s50, s52
	s_cselect_b32 s1, -1, 0
	v_mul_hi_u32 v44, v36, s50
	s_cmp_lg_u32 s1, 0
	s_add_co_ci_u32 s24, s51, s53
	s_and_b64 s[52:53], s[50:51], s[20:21]
	v_mul_u64_e32 v[38:39], s[24:25], v[36:37]
	v_mul_u64_e32 v[34:35], s[52:53], v[40:41]
	v_mul_u64_e32 v[42:43], s[24:25], v[40:41]
	s_delay_alu instid0(VALU_DEP_3) | instskip(NEXT) | instid1(VALU_DEP_1)
	v_add_nc_u64_e32 v[38:39], v[44:45], v[38:39]
	v_add_co_u32 v29, vcc_lo, v38, v34
	s_delay_alu instid0(VALU_DEP_2) | instskip(NEXT) | instid1(VALU_DEP_4)
	v_add_co_ci_u32_e32 v44, vcc_lo, v39, v35, vcc_lo
	v_add_co_ci_u32_e32 v43, vcc_lo, 0, v43, vcc_lo
	s_delay_alu instid0(VALU_DEP_1) | instskip(NEXT) | instid1(VALU_DEP_1)
	v_add_nc_u64_e32 v[34:35], v[44:45], v[42:43]
	v_mul_u64_e32 v[38:39], s[30:31], v[34:35]
	s_delay_alu instid0(VALU_DEP_1) | instskip(NEXT) | instid1(VALU_DEP_2)
	v_sub_nc_u32_e32 v29, v40, v39
	v_sub_co_u32 v33, vcc_lo, v36, v38
	s_delay_alu instid0(VALU_DEP_1) | instskip(NEXT) | instid1(VALU_DEP_3)
	v_sub_co_ci_u32_e64 v40, null, v40, v39, vcc_lo
	v_subrev_co_ci_u32_e64 v29, null, s31, v29, vcc_lo
	s_delay_alu instid0(VALU_DEP_3) | instskip(SKIP_1) | instid1(VALU_DEP_3)
	v_sub_co_u32 v36, s1, v33, s30
	v_add_nc_u64_e32 v[38:39], 1, v[34:35]
	v_subrev_co_ci_u32_e64 v29, null, 0, v29, s1
	s_delay_alu instid0(VALU_DEP_3) | instskip(SKIP_1) | instid1(VALU_DEP_3)
	v_cmp_le_u32_e32 vcc_lo, s30, v36
	v_cndmask_b32_e64 v36, 0, -1, vcc_lo
	v_cmp_le_u32_e32 vcc_lo, s31, v29
	v_cndmask_b32_e64 v37, 0, -1, vcc_lo
	;; [unrolled: 2-line block ×4, first 2 shown]
	v_cmp_eq_u32_e32 vcc_lo, s31, v29
	v_cndmask_b32_e32 v29, v37, v36, vcc_lo
	v_cmp_eq_u32_e32 vcc_lo, s31, v40
	v_add_nc_u64_e32 v[36:37], 2, v[34:35]
	v_cndmask_b32_e32 v33, v41, v33, vcc_lo
	s_delay_alu instid0(VALU_DEP_4) | instskip(NEXT) | instid1(VALU_DEP_2)
	v_cmp_ne_u32_e32 vcc_lo, 0, v29
	v_cmp_ne_u32_e64 s1, 0, v33
	s_delay_alu instid0(VALU_DEP_4) | instskip(NEXT) | instid1(VALU_DEP_1)
	v_dual_cndmask_b32 v29, v39, v37, vcc_lo :: v_dual_cndmask_b32 v33, v38, v36, vcc_lo
	v_dual_cndmask_b32 v29, v35, v29, s1 :: v_dual_bitop2_b32 v32, s28, v32 bitop3:0x14
	s_delay_alu instid0(VALU_DEP_1) | instskip(NEXT) | instid1(VALU_DEP_2)
	v_dual_cndmask_b32 v34, v34, v33, s1 :: v_dual_mov_b32 v33, v32
	v_xor_b32_e32 v35, v29, v32
	s_delay_alu instid0(VALU_DEP_2) | instskip(NEXT) | instid1(VALU_DEP_1)
	v_xor_b32_e32 v34, v34, v32
	v_sub_nc_u64_e32 v[32:33], v[34:35], v[32:33]
.LBB27_170:                             ;   in Loop: Header=BB27_168 Depth=1
	s_and_not1_saveexec_b32 s1, s49
	s_cbranch_execz .LBB27_167
; %bb.171:                              ;   in Loop: Header=BB27_168 Depth=1
	v_cvt_f32_u32_e32 v29, s26
	s_sub_co_i32 s24, 0, s26
	s_delay_alu instid0(VALU_DEP_1) | instskip(SKIP_1) | instid1(TRANS32_DEP_1)
	v_rcp_iflag_f32_e32 v29, v29
	v_nop
	v_mul_f32_e32 v29, 0x4f7ffffe, v29
	s_delay_alu instid0(VALU_DEP_1) | instskip(NEXT) | instid1(VALU_DEP_1)
	v_cvt_u32_f32_e32 v29, v29
	v_mul_lo_u32 v32, s24, v29
	s_delay_alu instid0(VALU_DEP_1) | instskip(NEXT) | instid1(VALU_DEP_1)
	v_mul_hi_u32 v32, v29, v32
	v_add_nc_u32_e32 v29, v29, v32
	s_delay_alu instid0(VALU_DEP_1) | instskip(NEXT) | instid1(VALU_DEP_1)
	v_mul_hi_u32 v29, v30, v29
	v_mul_lo_u32 v32, v29, s26
	s_delay_alu instid0(VALU_DEP_1) | instskip(NEXT) | instid1(VALU_DEP_1)
	v_dual_add_nc_u32 v33, 1, v29 :: v_dual_sub_nc_u32 v32, v30, v32
	v_subrev_nc_u32_e32 v34, s26, v32
	v_cmp_le_u32_e32 vcc_lo, s26, v32
	s_delay_alu instid0(VALU_DEP_2) | instskip(NEXT) | instid1(VALU_DEP_1)
	v_dual_cndmask_b32 v32, v32, v34 :: v_dual_cndmask_b32 v29, v29, v33
	v_cmp_le_u32_e32 vcc_lo, s26, v32
	s_delay_alu instid0(VALU_DEP_2) | instskip(NEXT) | instid1(VALU_DEP_1)
	v_add_nc_u32_e32 v33, 1, v29
	v_dual_cndmask_b32 v32, v29, v33 :: v_dual_mov_b32 v33, v28
	s_branch .LBB27_167
.LBB27_172:
	s_or_b32 exec_lo, exec_lo, s46
	s_mov_b32 s21, -1
	s_mov_b32 s7, 0
	s_mov_b32 s1, exec_lo
	v_cmpx_gt_i64_e64 v[24:25], v[22:23]
	s_cbranch_execz .LBB27_178
; %bb.173:
	s_delay_alu instid0(VALU_DEP_2) | instskip(SKIP_1) | instid1(VALU_DEP_1)
	v_lshlrev_b64_e32 v[26:27], 3, v[26:27]
	s_xor_b32 s21, s15, -1
                                        ; implicit-def: $sgpr20
                                        ; implicit-def: $sgpr23
                                        ; implicit-def: $sgpr22
	v_lshl_add_u64 v[22:23], v[22:23], 3, v[26:27]
	v_add_nc_u64_e32 v[26:27], s[2:3], v[26:27]
	s_delay_alu instid0(VALU_DEP_2) | instskip(NEXT) | instid1(VALU_DEP_2)
	v_add_nc_u64_e32 v[22:23], s[2:3], v[22:23]
	v_lshl_add_u64 v[24:25], v[24:25], 3, v[26:27]
	s_delay_alu instid0(VALU_DEP_2)
	v_add_nc_u64_e32 v[22:23], 8, v[22:23]
	s_branch .LBB27_175
.LBB27_174:                             ;   in Loop: Header=BB27_175 Depth=1
	s_or_b32 exec_lo, exec_lo, s24
	s_delay_alu instid0(SALU_CYCLE_1) | instskip(NEXT) | instid1(SALU_CYCLE_1)
	s_and_b32 s24, exec_lo, s23
	s_or_b32 s7, s24, s7
	s_and_not1_b32 s20, s20, exec_lo
	s_and_b32 s24, s22, exec_lo
	s_delay_alu instid0(SALU_CYCLE_1)
	s_or_b32 s20, s20, s24
	s_and_not1_b32 exec_lo, exec_lo, s7
	s_cbranch_execz .LBB27_177
.LBB27_175:                             ; =>This Inner Loop Header: Depth=1
	s_or_b32 s22, s22, exec_lo
	s_or_b32 s23, s23, exec_lo
	s_mov_b32 s24, exec_lo
	s_delay_alu instid0(VALU_DEP_1)
	v_cmpx_lt_u64_e64 v[22:23], v[24:25]
	s_cbranch_execz .LBB27_174
; %bb.176:                              ;   in Loop: Header=BB27_175 Depth=1
	global_load_b128 v[26:29], v[22:23], off offset:-8
	s_wait_xcnt 0x0
	v_add_nc_u64_e32 v[22:23], 8, v[22:23]
	s_and_not1_b32 s23, s23, exec_lo
	s_and_not1_b32 s22, s22, exec_lo
	s_wait_loadcnt 0x0
	v_cmp_ge_i64_e32 vcc_lo, v[26:27], v[28:29]
	s_or_b32 s25, s21, vcc_lo
	s_delay_alu instid0(SALU_CYCLE_1) | instskip(NEXT) | instid1(SALU_CYCLE_1)
	s_and_b32 s25, s25, exec_lo
	s_or_b32 s23, s23, s25
	s_branch .LBB27_174
.LBB27_177:
	s_or_b32 exec_lo, exec_lo, s7
	s_delay_alu instid0(SALU_CYCLE_1)
	s_mov_b32 s7, exec_lo
	s_or_not1_b32 s21, s20, exec_lo
.LBB27_178:
	s_or_b32 exec_lo, exec_lo, s1
	s_delay_alu instid0(SALU_CYCLE_1)
	s_and_b32 s20, s7, exec_lo
	s_xor_b32 s7, exec_lo, -1
	s_and_b32 s1, s21, exec_lo
.LBB27_179:
	s_or_b32 exec_lo, exec_lo, s45
	s_delay_alu instid0(SALU_CYCLE_1)
	s_and_not1_b32 s21, s39, exec_lo
	s_and_b32 s7, s7, exec_lo
	s_and_b32 s20, s20, exec_lo
	s_or_b32 s21, s21, s7
	s_xor_b32 s7, exec_lo, -1
	s_and_b32 s1, s1, exec_lo
.LBB27_180:
	s_or_b32 exec_lo, exec_lo, s44
	s_delay_alu instid0(SALU_CYCLE_1)
	s_and_not1_b32 s22, s39, exec_lo
	s_and_b32 s21, s21, exec_lo
	s_and_not1_b32 s23, s41, exec_lo
	s_and_b32 s7, s7, exec_lo
	s_and_b32 s20, s20, exec_lo
	s_or_b32 s22, s22, s21
	s_or_b32 s21, s23, s7
	s_xor_b32 s7, exec_lo, -1
	s_and_b32 s1, s1, exec_lo
.LBB27_181:
	s_or_b32 exec_lo, exec_lo, s40
	s_delay_alu instid0(SALU_CYCLE_1)
	s_and_not1_b32 s23, s39, exec_lo
	s_and_b32 s22, s22, exec_lo
	s_and_b32 s40, s20, exec_lo
	s_or_b32 s45, s23, s22
	s_and_not1_b32 s20, s41, exec_lo
	s_and_b32 s21, s21, exec_lo
	s_and_not1_b32 s22, s42, exec_lo
	s_and_b32 s7, s7, exec_lo
	s_or_b32 s46, s20, s21
	s_or_b32 s44, s22, s7
	s_or_not1_b32 s1, s1, exec_lo
.LBB27_182:
	s_or_b32 exec_lo, exec_lo, s47
	s_mov_b32 s21, 0
	s_and_saveexec_b32 s47, s1
	s_cbranch_execz .LBB27_209
; %bb.183:
	v_or_b32_e32 v22, 0x200, v0
	s_mov_b32 s23, -1
	s_mov_b32 s48, 0
	s_mov_b32 s1, s44
	;; [unrolled: 1-line block ×4, first 2 shown]
	s_mov_b32 s49, exec_lo
	v_cmpx_gt_i32_e64 s33, v22
	s_cbranch_execz .LBB27_204
; %bb.184:
	s_wait_loadcnt 0x3
	v_cmp_eq_u64_e32 vcc_lo, s[8:9], v[20:21]
	s_mov_b32 s1, -1
	s_mov_b32 s22, 0
	s_mov_b32 s23, s46
	;; [unrolled: 1-line block ×4, first 2 shown]
	s_and_b32 s20, s38, vcc_lo
	s_delay_alu instid0(SALU_CYCLE_1)
	s_and_saveexec_b32 s50, s20
	s_cbranch_execz .LBB27_203
; %bb.185:
	s_wait_loadcnt 0x2
	v_cmp_eq_u64_e32 vcc_lo, s[12:13], v[16:17]
	s_mov_b32 s20, 0
	s_mov_b32 s21, s45
	s_and_b32 s7, s36, vcc_lo
	s_delay_alu instid0(SALU_CYCLE_1)
	s_and_saveexec_b32 s51, s7
	s_cbranch_execz .LBB27_202
; %bb.186:
	s_wait_loadcnt 0x1
	v_sub_nc_u64_e32 v[22:23], v[14:15], v[12:13]
	s_mov_b32 s20, -1
	s_mov_b32 s7, 0
	s_delay_alu instid0(VALU_DEP_1) | instskip(SKIP_2) | instid1(SALU_CYCLE_1)
	v_cmp_le_i64_e32 vcc_lo, v[20:21], v[22:23]
	v_cmp_ge_i64_e64 s1, s[10:11], v[22:23]
	s_and_b32 s1, vcc_lo, s1
	s_and_b32 s21, s35, s1
	s_mov_b32 s1, 0
	s_and_saveexec_b32 s52, s21
	s_cbranch_execz .LBB27_201
; %bb.187:
	v_cmp_lt_i64_e32 vcc_lo, 0, v[16:17]
	v_mov_b64_e32 v[20:21], 0
	s_and_b32 s1, vcc_lo, s34
	s_delay_alu instid0(SALU_CYCLE_1)
	s_and_saveexec_b32 s53, s1
	s_cbranch_execz .LBB27_194
; %bb.188:
	s_wait_loadcnt 0x0
	v_mul_u64_e32 v[18:19], v[18:19], v[16:17]
	s_ashr_i32 s7, s6, 31
	v_mov_b64_e32 v[20:21], 0
	s_lshl_b64 s[22:23], s[6:7], 3
	v_mov_b32_e32 v16, 0
	s_add_nc_u64 s[22:23], s[18:19], s[22:23]
	s_mov_b64 s[20:21], 0xffffffff
	s_add_nc_u64 s[22:23], s[22:23], 32
	s_mov_b32 s25, 0
	s_mov_b32 s7, s14
	s_branch .LBB27_190
.LBB27_189:                             ;   in Loop: Header=BB27_190 Depth=1
	s_or_b32 exec_lo, exec_lo, s1
	s_delay_alu instid0(VALU_DEP_1)
	v_mul_u64_e32 v[24:25], s[26:27], v[22:23]
	s_load_b64 s[26:27], s[22:23], 0x40
	s_add_co_i32 s7, s7, -1
	s_wait_xcnt 0x0
	s_add_nc_u64 s[22:23], s[22:23], -8
	s_cmp_lg_u32 s7, 0
	s_delay_alu instid0(VALU_DEP_1) | instskip(SKIP_1) | instid1(VALU_DEP_1)
	v_sub_nc_u64_e32 v[18:19], v[18:19], v[24:25]
	s_wait_kmcnt 0x0
	v_mad_nc_u64_u32 v[20:21], v18, s26, v[20:21]
	s_delay_alu instid0(VALU_DEP_1) | instskip(NEXT) | instid1(VALU_DEP_1)
	v_mad_u32 v17, v19, s26, v21
	v_mad_u32 v21, v18, s27, v17
	v_mov_b64_e32 v[18:19], v[22:23]
	s_cbranch_scc0 .LBB27_194
.LBB27_190:                             ; =>This Inner Loop Header: Depth=1
	s_load_b64 s[26:27], s[22:23], 0x0
                                        ; implicit-def: $vgpr22_vgpr23
	s_mov_b32 s1, exec_lo
	s_wait_kmcnt 0x0
	s_delay_alu instid0(VALU_DEP_1) | instskip(NEXT) | instid1(VALU_DEP_1)
	v_or_b32_e32 v17, s27, v19
	v_cmpx_ne_u64_e32 0, v[16:17]
	s_xor_b32 s54, exec_lo, s1
	s_cbranch_execz .LBB27_192
; %bb.191:                              ;   in Loop: Header=BB27_190 Depth=1
	s_ashr_i32 s28, s27, 31
	v_dual_mov_b32 v27, v16 :: v_dual_ashrrev_i32 v22, 31, v19
	s_mov_b32 s29, s28
	s_delay_alu instid0(SALU_CYCLE_1) | instskip(NEXT) | instid1(VALU_DEP_1)
	s_add_nc_u64 s[30:31], s[26:27], s[28:29]
	v_mov_b32_e32 v23, v22
	s_xor_b64 s[30:31], s[30:31], s[28:29]
	s_delay_alu instid0(SALU_CYCLE_1)
	s_cvt_f32_u32 s1, s30
	s_cvt_f32_u32 s24, s31
	s_sub_nc_u64 s[58:59], 0, s[30:31]
	v_add_nc_u64_e32 v[24:25], v[18:19], v[22:23]
	v_mov_b32_e32 v31, v16
	s_fmamk_f32 s1, s24, 0x4f800000, s1
	s_delay_alu instid0(SALU_CYCLE_3) | instskip(NEXT) | instid1(VALU_DEP_2)
	v_s_rcp_f32 s1, s1
	v_xor_b32_e32 v26, v24, v22
	s_delay_alu instid0(VALU_DEP_3) | instskip(SKIP_1) | instid1(TRANS32_DEP_1)
	v_dual_mov_b32 v35, v16 :: v_dual_bitop2_b32 v30, v25, v22 bitop3:0x14
	v_xor_b32_e32 v22, s28, v22
	s_mul_f32 s1, s1, 0x5f7ffffc
	s_delay_alu instid0(SALU_CYCLE_3) | instskip(NEXT) | instid1(SALU_CYCLE_3)
	s_mul_f32 s24, s1, 0x2f800000
	s_trunc_f32 s24, s24
	s_delay_alu instid0(SALU_CYCLE_3) | instskip(SKIP_1) | instid1(SALU_CYCLE_2)
	s_fmamk_f32 s1, s24, 0xcf800000, s1
	s_cvt_u32_f32 s57, s24
	s_cvt_u32_f32 s56, s1
	s_delay_alu instid0(SALU_CYCLE_3) | instskip(NEXT) | instid1(SALU_CYCLE_1)
	s_mul_u64 s[60:61], s[58:59], s[56:57]
	s_mul_hi_u32 s63, s56, s61
	s_mul_i32 s62, s56, s61
	s_mul_hi_u32 s24, s56, s60
	s_mul_i32 s29, s57, s60
	s_add_nc_u64 s[62:63], s[24:25], s[62:63]
	s_mul_hi_u32 s1, s57, s60
	s_mul_hi_u32 s55, s57, s61
	s_add_co_u32 s24, s62, s29
	s_add_co_ci_u32 s24, s63, s1
	s_mul_i32 s60, s57, s61
	s_add_co_ci_u32 s61, s55, 0
	s_delay_alu instid0(SALU_CYCLE_1) | instskip(NEXT) | instid1(SALU_CYCLE_1)
	s_add_nc_u64 s[60:61], s[24:25], s[60:61]
	s_add_co_u32 s56, s56, s60
	s_cselect_b32 s1, -1, 0
	s_delay_alu instid0(SALU_CYCLE_1) | instskip(SKIP_1) | instid1(SALU_CYCLE_1)
	s_cmp_lg_u32 s1, 0
	s_add_co_ci_u32 s57, s57, s61
	s_mul_u64 s[58:59], s[58:59], s[56:57]
	s_delay_alu instid0(SALU_CYCLE_1)
	s_mul_hi_u32 s61, s56, s59
	s_mul_i32 s60, s56, s59
	s_mul_hi_u32 s24, s56, s58
	s_mul_i32 s29, s57, s58
	s_add_nc_u64 s[60:61], s[24:25], s[60:61]
	s_mul_hi_u32 s1, s57, s58
	s_mul_hi_u32 s55, s57, s59
	s_add_co_u32 s24, s60, s29
	s_add_co_ci_u32 s24, s61, s1
	s_mul_i32 s58, s57, s59
	s_add_co_ci_u32 s59, s55, 0
	s_delay_alu instid0(SALU_CYCLE_1) | instskip(NEXT) | instid1(SALU_CYCLE_1)
	s_add_nc_u64 s[58:59], s[24:25], s[58:59]
	s_add_co_u32 s56, s56, s58
	s_cselect_b32 s1, -1, 0
	v_mul_hi_u32 v34, v26, s56
	s_cmp_lg_u32 s1, 0
	s_add_co_ci_u32 s24, s57, s59
	s_and_b64 s[58:59], s[56:57], s[20:21]
	v_mul_u64_e32 v[28:29], s[24:25], v[26:27]
	v_mul_u64_e32 v[24:25], s[58:59], v[30:31]
	v_mul_u64_e32 v[32:33], s[24:25], v[30:31]
	s_delay_alu instid0(VALU_DEP_3) | instskip(NEXT) | instid1(VALU_DEP_1)
	v_add_nc_u64_e32 v[28:29], v[34:35], v[28:29]
	v_add_co_u32 v17, vcc_lo, v28, v24
	s_delay_alu instid0(VALU_DEP_2) | instskip(NEXT) | instid1(VALU_DEP_4)
	v_add_co_ci_u32_e32 v34, vcc_lo, v29, v25, vcc_lo
	v_add_co_ci_u32_e32 v33, vcc_lo, 0, v33, vcc_lo
	s_delay_alu instid0(VALU_DEP_1) | instskip(NEXT) | instid1(VALU_DEP_1)
	v_add_nc_u64_e32 v[24:25], v[34:35], v[32:33]
	v_mul_u64_e32 v[28:29], s[30:31], v[24:25]
	s_delay_alu instid0(VALU_DEP_1) | instskip(NEXT) | instid1(VALU_DEP_2)
	v_sub_nc_u32_e32 v17, v30, v29
	v_sub_co_u32 v23, vcc_lo, v26, v28
	s_delay_alu instid0(VALU_DEP_1) | instskip(NEXT) | instid1(VALU_DEP_3)
	v_sub_co_ci_u32_e64 v30, null, v30, v29, vcc_lo
	v_subrev_co_ci_u32_e64 v17, null, s31, v17, vcc_lo
	s_delay_alu instid0(VALU_DEP_3) | instskip(SKIP_1) | instid1(VALU_DEP_3)
	v_sub_co_u32 v26, s1, v23, s30
	v_add_nc_u64_e32 v[28:29], 1, v[24:25]
	v_subrev_co_ci_u32_e64 v17, null, 0, v17, s1
	s_delay_alu instid0(VALU_DEP_3) | instskip(SKIP_1) | instid1(VALU_DEP_3)
	v_cmp_le_u32_e32 vcc_lo, s30, v26
	v_cndmask_b32_e64 v26, 0, -1, vcc_lo
	v_cmp_le_u32_e32 vcc_lo, s31, v17
	v_cndmask_b32_e64 v27, 0, -1, vcc_lo
	;; [unrolled: 2-line block ×4, first 2 shown]
	v_cmp_eq_u32_e32 vcc_lo, s31, v17
	v_cndmask_b32_e32 v17, v27, v26, vcc_lo
	v_cmp_eq_u32_e32 vcc_lo, s31, v30
	v_add_nc_u64_e32 v[26:27], 2, v[24:25]
	v_cndmask_b32_e32 v23, v31, v23, vcc_lo
	s_delay_alu instid0(VALU_DEP_4) | instskip(NEXT) | instid1(VALU_DEP_2)
	v_cmp_ne_u32_e32 vcc_lo, 0, v17
	v_cmp_ne_u32_e64 s1, 0, v23
	s_delay_alu instid0(VALU_DEP_4) | instskip(NEXT) | instid1(VALU_DEP_1)
	v_dual_cndmask_b32 v17, v29, v27, vcc_lo :: v_dual_cndmask_b32 v23, v28, v26, vcc_lo
	v_dual_cndmask_b32 v24, v24, v23, s1 :: v_dual_mov_b32 v23, v22
	s_delay_alu instid0(VALU_DEP_1) | instskip(NEXT) | instid1(VALU_DEP_1)
	v_dual_cndmask_b32 v17, v25, v17, s1 :: v_dual_bitop2_b32 v24, v24, v22 bitop3:0x14
	v_xor_b32_e32 v25, v17, v22
	s_delay_alu instid0(VALU_DEP_1)
	v_sub_nc_u64_e32 v[22:23], v[24:25], v[22:23]
.LBB27_192:                             ;   in Loop: Header=BB27_190 Depth=1
	s_and_not1_saveexec_b32 s1, s54
	s_cbranch_execz .LBB27_189
; %bb.193:                              ;   in Loop: Header=BB27_190 Depth=1
	v_cvt_f32_u32_e32 v17, s26
	s_sub_co_i32 s24, 0, s26
	s_delay_alu instid0(VALU_DEP_1) | instskip(SKIP_1) | instid1(TRANS32_DEP_1)
	v_rcp_iflag_f32_e32 v17, v17
	v_nop
	v_mul_f32_e32 v17, 0x4f7ffffe, v17
	s_delay_alu instid0(VALU_DEP_1) | instskip(NEXT) | instid1(VALU_DEP_1)
	v_cvt_u32_f32_e32 v17, v17
	v_mul_lo_u32 v22, s24, v17
	s_delay_alu instid0(VALU_DEP_1) | instskip(NEXT) | instid1(VALU_DEP_1)
	v_mul_hi_u32 v22, v17, v22
	v_add_nc_u32_e32 v17, v17, v22
	s_delay_alu instid0(VALU_DEP_1) | instskip(NEXT) | instid1(VALU_DEP_1)
	v_mul_hi_u32 v17, v18, v17
	v_mul_lo_u32 v22, v17, s26
	s_delay_alu instid0(VALU_DEP_1) | instskip(NEXT) | instid1(VALU_DEP_1)
	v_dual_add_nc_u32 v23, 1, v17 :: v_dual_sub_nc_u32 v22, v18, v22
	v_subrev_nc_u32_e32 v24, s26, v22
	v_cmp_le_u32_e32 vcc_lo, s26, v22
	s_delay_alu instid0(VALU_DEP_2) | instskip(NEXT) | instid1(VALU_DEP_1)
	v_dual_cndmask_b32 v22, v22, v24 :: v_dual_cndmask_b32 v17, v17, v23
	v_cmp_le_u32_e32 vcc_lo, s26, v22
	s_delay_alu instid0(VALU_DEP_2) | instskip(NEXT) | instid1(VALU_DEP_1)
	v_add_nc_u32_e32 v23, 1, v17
	v_dual_cndmask_b32 v22, v17, v23 :: v_dual_mov_b32 v23, v16
	s_branch .LBB27_189
.LBB27_194:
	s_or_b32 exec_lo, exec_lo, s53
	s_mov_b32 s7, -1
	s_mov_b32 s21, 0
	s_mov_b32 s1, exec_lo
	v_cmpx_gt_i64_e64 v[14:15], v[12:13]
	s_cbranch_execz .LBB27_200
; %bb.195:
	s_delay_alu instid0(VALU_DEP_2) | instskip(SKIP_2) | instid1(VALU_DEP_1)
	v_lshlrev_b64_e32 v[16:17], 3, v[20:21]
	s_mov_b32 s7, 0
	s_xor_b32 s21, s15, -1
                                        ; implicit-def: $sgpr20
                                        ; implicit-def: $sgpr23
                                        ; implicit-def: $sgpr22
	v_lshl_add_u64 v[12:13], v[12:13], 3, v[16:17]
	v_add_nc_u64_e32 v[16:17], s[2:3], v[16:17]
	s_delay_alu instid0(VALU_DEP_2) | instskip(NEXT) | instid1(VALU_DEP_2)
	v_add_nc_u64_e32 v[12:13], s[2:3], v[12:13]
	v_lshl_add_u64 v[14:15], v[14:15], 3, v[16:17]
	s_delay_alu instid0(VALU_DEP_2)
	v_add_nc_u64_e32 v[12:13], 8, v[12:13]
	s_branch .LBB27_197
.LBB27_196:                             ;   in Loop: Header=BB27_197 Depth=1
	s_or_b32 exec_lo, exec_lo, s24
	s_delay_alu instid0(SALU_CYCLE_1) | instskip(NEXT) | instid1(SALU_CYCLE_1)
	s_and_b32 s24, exec_lo, s23
	s_or_b32 s7, s24, s7
	s_and_not1_b32 s20, s20, exec_lo
	s_and_b32 s24, s22, exec_lo
	s_delay_alu instid0(SALU_CYCLE_1)
	s_or_b32 s20, s20, s24
	s_and_not1_b32 exec_lo, exec_lo, s7
	s_cbranch_execz .LBB27_199
.LBB27_197:                             ; =>This Inner Loop Header: Depth=1
	s_or_b32 s22, s22, exec_lo
	s_or_b32 s23, s23, exec_lo
	s_mov_b32 s24, exec_lo
	s_delay_alu instid0(VALU_DEP_1)
	v_cmpx_lt_u64_e64 v[12:13], v[14:15]
	s_cbranch_execz .LBB27_196
; %bb.198:                              ;   in Loop: Header=BB27_197 Depth=1
	s_wait_loadcnt 0x0
	global_load_b128 v[16:19], v[12:13], off offset:-8
	s_wait_xcnt 0x0
	v_add_nc_u64_e32 v[12:13], 8, v[12:13]
	s_and_not1_b32 s23, s23, exec_lo
	s_and_not1_b32 s22, s22, exec_lo
	s_wait_loadcnt 0x0
	v_cmp_ge_i64_e32 vcc_lo, v[16:17], v[18:19]
	s_or_b32 s25, s21, vcc_lo
	s_delay_alu instid0(SALU_CYCLE_1) | instskip(NEXT) | instid1(SALU_CYCLE_1)
	s_and_b32 s25, s25, exec_lo
	s_or_b32 s23, s23, s25
	s_branch .LBB27_196
.LBB27_199:
	s_or_b32 exec_lo, exec_lo, s7
	s_delay_alu instid0(SALU_CYCLE_1)
	s_mov_b32 s21, exec_lo
	s_or_not1_b32 s7, s20, exec_lo
.LBB27_200:
	s_or_b32 exec_lo, exec_lo, s1
	s_delay_alu instid0(SALU_CYCLE_1)
	s_and_b32 s1, s21, exec_lo
	s_xor_b32 s20, exec_lo, -1
	s_and_b32 s7, s7, exec_lo
.LBB27_201:
	s_or_b32 exec_lo, exec_lo, s52
	s_delay_alu instid0(SALU_CYCLE_1)
	s_and_not1_b32 s21, s45, exec_lo
	s_and_b32 s20, s20, exec_lo
	s_and_b32 s22, s1, exec_lo
	s_or_b32 s21, s21, s20
	s_xor_b32 s1, exec_lo, -1
	s_and_b32 s20, s7, exec_lo
.LBB27_202:
	s_or_b32 exec_lo, exec_lo, s51
	s_delay_alu instid0(SALU_CYCLE_1)
	s_and_b32 s7, s22, exec_lo
	s_and_not1_b32 s22, s45, exec_lo
	s_and_b32 s21, s21, exec_lo
	s_and_not1_b32 s23, s46, exec_lo
	s_and_b32 s1, s1, exec_lo
	s_or_b32 s21, s22, s21
	s_or_b32 s23, s23, s1
	s_xor_b32 s1, exec_lo, -1
	s_and_b32 s22, s20, exec_lo
.LBB27_203:
	s_or_b32 exec_lo, exec_lo, s50
	s_delay_alu instid0(SALU_CYCLE_1)
	s_and_not1_b32 s20, s45, exec_lo
	s_and_b32 s24, s21, exec_lo
	s_and_b32 s21, s7, exec_lo
	s_or_b32 s7, s20, s24
	s_and_not1_b32 s20, s46, exec_lo
	s_and_b32 s23, s23, exec_lo
	s_and_not1_b32 s24, s44, exec_lo
	s_and_b32 s1, s1, exec_lo
	s_or_b32 s20, s20, s23
	s_or_b32 s1, s24, s1
	s_or_not1_b32 s23, s22, exec_lo
.LBB27_204:
	s_or_b32 exec_lo, exec_lo, s49
	s_mov_b32 s24, 0
	s_and_saveexec_b32 s22, s23
	s_cbranch_execz .LBB27_208
; %bb.205:
	s_wait_loadcnt 0x4
	v_or_b32_e32 v12, 0x300, v0
	s_mov_b32 s23, 0
	s_mov_b32 s24, -1
	s_mov_b32 s25, s1
	s_mov_b32 s26, exec_lo
	v_cmpx_gt_i32_e64 s33, v12
	s_xor_b32 s26, exec_lo, s26
	s_cbranch_execz .LBB27_207
; %bb.206:
	s_wait_loadcnt 0x3
	v_cmp_ne_u64_e32 vcc_lo, s[8:9], v[10:11]
	s_xor_b32 s8, s38, -1
	s_and_not1_b32 s9, s1, exec_lo
	s_mov_b32 s23, exec_lo
	s_xor_b32 s24, exec_lo, -1
	s_or_b32 s8, s8, vcc_lo
	s_delay_alu instid0(SALU_CYCLE_1) | instskip(NEXT) | instid1(SALU_CYCLE_1)
	s_and_b32 s8, s8, exec_lo
	s_or_b32 s25, s9, s8
.LBB27_207:
	s_or_b32 exec_lo, exec_lo, s26
	s_delay_alu instid0(SALU_CYCLE_1)
	s_and_not1_b32 s1, s1, exec_lo
	s_and_b32 s8, s25, exec_lo
	s_and_b32 s24, s24, exec_lo
	s_and_not1_b32 s21, s21, exec_lo
	s_and_b32 s48, s23, exec_lo
	s_or_b32 s1, s1, s8
.LBB27_208:
	s_or_b32 exec_lo, exec_lo, s22
	s_delay_alu instid0(SALU_CYCLE_1)
	s_and_not1_b32 s8, s40, exec_lo
	s_and_b32 s9, s21, exec_lo
	s_and_b32 s7, s7, exec_lo
	s_or_b32 s40, s8, s9
	s_and_not1_b32 s8, s45, exec_lo
	s_and_not1_b32 s9, s46, exec_lo
	s_and_b32 s20, s20, exec_lo
	s_or_b32 s45, s8, s7
	s_and_not1_b32 s7, s44, exec_lo
	s_and_b32 s1, s1, exec_lo
	s_and_b32 s21, s24, exec_lo
	s_or_b32 s46, s9, s20
	s_and_b32 s48, s48, exec_lo
	s_or_b32 s44, s7, s1
.LBB27_209:
	s_or_b32 exec_lo, exec_lo, s47
	s_delay_alu instid0(SALU_CYCLE_1)
	s_and_not1_b32 s1, s37, exec_lo
	s_and_b32 s7, s40, exec_lo
	s_and_not1_b32 s8, s41, exec_lo
	s_or_b32 s37, s1, s7
	s_and_not1_b32 s1, s39, exec_lo
	s_and_b32 s7, s45, exec_lo
	s_and_b32 s9, s46, exec_lo
	s_or_b32 s39, s1, s7
	s_and_not1_b32 s1, s42, exec_lo
	s_and_b32 s7, s44, exec_lo
	s_and_b32 s40, s21, exec_lo
	s_or_b32 s41, s8, s9
	s_and_b32 s44, s48, exec_lo
	s_or_b32 s42, s1, s7
	s_or_b32 exec_lo, exec_lo, s43
	s_and_saveexec_b32 s1, s42
	s_cbranch_execz .LBB27_87
.LBB27_210:
	s_or_b32 s17, s17, exec_lo
	s_and_not1_b32 s44, s44, exec_lo
	s_trap 2
	s_branch .LBB27_87
.LBB27_211:
	s_mov_b32 s17, exec_lo
	s_and_not1_b32 s30, s30, exec_lo
	s_trap 2
	s_branch .LBB27_65
.LBB27_212:
	s_or_b32 s17, s17, exec_lo
	s_and_not1_b32 s29, s29, exec_lo
	s_trap 2
	s_branch .LBB27_68
.LBB27_213:
	s_or_b32 s17, s17, exec_lo
	s_and_not1_b32 s1, s1, exec_lo
	s_trap 2
	s_branch .LBB27_90
	.section	.rodata,"a",@progbits
	.p2align	6, 0x0
	.amdhsa_kernel _ZN2at6native29vectorized_elementwise_kernelILi2EZZZNS0_12_GLOBAL__N_142_validate_compressed_sparse_indices_kernelILNS2_8CDimNameE0ENS2_18CUDAKernelLauncherENS2_14EmptyVecKernelENS2_8DummyVecELm8EEEvRKNS_6TensorESA_lllENKUlvE1_clEvENKUlvE0_clEvEUllllllE_St5arrayIPcLm6EEEEviT0_T1_
		.amdhsa_group_segment_fixed_size 0
		.amdhsa_private_segment_fixed_size 0
		.amdhsa_kernarg_size 224
		.amdhsa_user_sgpr_count 2
		.amdhsa_user_sgpr_dispatch_ptr 0
		.amdhsa_user_sgpr_queue_ptr 0
		.amdhsa_user_sgpr_kernarg_segment_ptr 1
		.amdhsa_user_sgpr_dispatch_id 0
		.amdhsa_user_sgpr_kernarg_preload_length 0
		.amdhsa_user_sgpr_kernarg_preload_offset 0
		.amdhsa_user_sgpr_private_segment_size 0
		.amdhsa_wavefront_size32 1
		.amdhsa_uses_dynamic_stack 0
		.amdhsa_enable_private_segment 0
		.amdhsa_system_sgpr_workgroup_id_x 1
		.amdhsa_system_sgpr_workgroup_id_y 0
		.amdhsa_system_sgpr_workgroup_id_z 0
		.amdhsa_system_sgpr_workgroup_info 0
		.amdhsa_system_vgpr_workitem_id 0
		.amdhsa_next_free_vgpr 60
		.amdhsa_next_free_sgpr 69
		.amdhsa_named_barrier_count 0
		.amdhsa_reserve_vcc 1
		.amdhsa_float_round_mode_32 0
		.amdhsa_float_round_mode_16_64 0
		.amdhsa_float_denorm_mode_32 3
		.amdhsa_float_denorm_mode_16_64 3
		.amdhsa_fp16_overflow 0
		.amdhsa_memory_ordered 1
		.amdhsa_forward_progress 1
		.amdhsa_inst_pref_size 103
		.amdhsa_round_robin_scheduling 0
		.amdhsa_exception_fp_ieee_invalid_op 0
		.amdhsa_exception_fp_denorm_src 0
		.amdhsa_exception_fp_ieee_div_zero 0
		.amdhsa_exception_fp_ieee_overflow 0
		.amdhsa_exception_fp_ieee_underflow 0
		.amdhsa_exception_fp_ieee_inexact 0
		.amdhsa_exception_int_div_zero 0
	.end_amdhsa_kernel
	.section	.text._ZN2at6native29vectorized_elementwise_kernelILi2EZZZNS0_12_GLOBAL__N_142_validate_compressed_sparse_indices_kernelILNS2_8CDimNameE0ENS2_18CUDAKernelLauncherENS2_14EmptyVecKernelENS2_8DummyVecELm8EEEvRKNS_6TensorESA_lllENKUlvE1_clEvENKUlvE0_clEvEUllllllE_St5arrayIPcLm6EEEEviT0_T1_,"axG",@progbits,_ZN2at6native29vectorized_elementwise_kernelILi2EZZZNS0_12_GLOBAL__N_142_validate_compressed_sparse_indices_kernelILNS2_8CDimNameE0ENS2_18CUDAKernelLauncherENS2_14EmptyVecKernelENS2_8DummyVecELm8EEEvRKNS_6TensorESA_lllENKUlvE1_clEvENKUlvE0_clEvEUllllllE_St5arrayIPcLm6EEEEviT0_T1_,comdat
.Lfunc_end27:
	.size	_ZN2at6native29vectorized_elementwise_kernelILi2EZZZNS0_12_GLOBAL__N_142_validate_compressed_sparse_indices_kernelILNS2_8CDimNameE0ENS2_18CUDAKernelLauncherENS2_14EmptyVecKernelENS2_8DummyVecELm8EEEvRKNS_6TensorESA_lllENKUlvE1_clEvENKUlvE0_clEvEUllllllE_St5arrayIPcLm6EEEEviT0_T1_, .Lfunc_end27-_ZN2at6native29vectorized_elementwise_kernelILi2EZZZNS0_12_GLOBAL__N_142_validate_compressed_sparse_indices_kernelILNS2_8CDimNameE0ENS2_18CUDAKernelLauncherENS2_14EmptyVecKernelENS2_8DummyVecELm8EEEvRKNS_6TensorESA_lllENKUlvE1_clEvENKUlvE0_clEvEUllllllE_St5arrayIPcLm6EEEEviT0_T1_
                                        ; -- End function
	.set _ZN2at6native29vectorized_elementwise_kernelILi2EZZZNS0_12_GLOBAL__N_142_validate_compressed_sparse_indices_kernelILNS2_8CDimNameE0ENS2_18CUDAKernelLauncherENS2_14EmptyVecKernelENS2_8DummyVecELm8EEEvRKNS_6TensorESA_lllENKUlvE1_clEvENKUlvE0_clEvEUllllllE_St5arrayIPcLm6EEEEviT0_T1_.num_vgpr, 60
	.set _ZN2at6native29vectorized_elementwise_kernelILi2EZZZNS0_12_GLOBAL__N_142_validate_compressed_sparse_indices_kernelILNS2_8CDimNameE0ENS2_18CUDAKernelLauncherENS2_14EmptyVecKernelENS2_8DummyVecELm8EEEvRKNS_6TensorESA_lllENKUlvE1_clEvENKUlvE0_clEvEUllllllE_St5arrayIPcLm6EEEEviT0_T1_.num_agpr, 0
	.set _ZN2at6native29vectorized_elementwise_kernelILi2EZZZNS0_12_GLOBAL__N_142_validate_compressed_sparse_indices_kernelILNS2_8CDimNameE0ENS2_18CUDAKernelLauncherENS2_14EmptyVecKernelENS2_8DummyVecELm8EEEvRKNS_6TensorESA_lllENKUlvE1_clEvENKUlvE0_clEvEUllllllE_St5arrayIPcLm6EEEEviT0_T1_.numbered_sgpr, 69
	.set _ZN2at6native29vectorized_elementwise_kernelILi2EZZZNS0_12_GLOBAL__N_142_validate_compressed_sparse_indices_kernelILNS2_8CDimNameE0ENS2_18CUDAKernelLauncherENS2_14EmptyVecKernelENS2_8DummyVecELm8EEEvRKNS_6TensorESA_lllENKUlvE1_clEvENKUlvE0_clEvEUllllllE_St5arrayIPcLm6EEEEviT0_T1_.num_named_barrier, 0
	.set _ZN2at6native29vectorized_elementwise_kernelILi2EZZZNS0_12_GLOBAL__N_142_validate_compressed_sparse_indices_kernelILNS2_8CDimNameE0ENS2_18CUDAKernelLauncherENS2_14EmptyVecKernelENS2_8DummyVecELm8EEEvRKNS_6TensorESA_lllENKUlvE1_clEvENKUlvE0_clEvEUllllllE_St5arrayIPcLm6EEEEviT0_T1_.private_seg_size, 0
	.set _ZN2at6native29vectorized_elementwise_kernelILi2EZZZNS0_12_GLOBAL__N_142_validate_compressed_sparse_indices_kernelILNS2_8CDimNameE0ENS2_18CUDAKernelLauncherENS2_14EmptyVecKernelENS2_8DummyVecELm8EEEvRKNS_6TensorESA_lllENKUlvE1_clEvENKUlvE0_clEvEUllllllE_St5arrayIPcLm6EEEEviT0_T1_.uses_vcc, 1
	.set _ZN2at6native29vectorized_elementwise_kernelILi2EZZZNS0_12_GLOBAL__N_142_validate_compressed_sparse_indices_kernelILNS2_8CDimNameE0ENS2_18CUDAKernelLauncherENS2_14EmptyVecKernelENS2_8DummyVecELm8EEEvRKNS_6TensorESA_lllENKUlvE1_clEvENKUlvE0_clEvEUllllllE_St5arrayIPcLm6EEEEviT0_T1_.uses_flat_scratch, 0
	.set _ZN2at6native29vectorized_elementwise_kernelILi2EZZZNS0_12_GLOBAL__N_142_validate_compressed_sparse_indices_kernelILNS2_8CDimNameE0ENS2_18CUDAKernelLauncherENS2_14EmptyVecKernelENS2_8DummyVecELm8EEEvRKNS_6TensorESA_lllENKUlvE1_clEvENKUlvE0_clEvEUllllllE_St5arrayIPcLm6EEEEviT0_T1_.has_dyn_sized_stack, 0
	.set _ZN2at6native29vectorized_elementwise_kernelILi2EZZZNS0_12_GLOBAL__N_142_validate_compressed_sparse_indices_kernelILNS2_8CDimNameE0ENS2_18CUDAKernelLauncherENS2_14EmptyVecKernelENS2_8DummyVecELm8EEEvRKNS_6TensorESA_lllENKUlvE1_clEvENKUlvE0_clEvEUllllllE_St5arrayIPcLm6EEEEviT0_T1_.has_recursion, 0
	.set _ZN2at6native29vectorized_elementwise_kernelILi2EZZZNS0_12_GLOBAL__N_142_validate_compressed_sparse_indices_kernelILNS2_8CDimNameE0ENS2_18CUDAKernelLauncherENS2_14EmptyVecKernelENS2_8DummyVecELm8EEEvRKNS_6TensorESA_lllENKUlvE1_clEvENKUlvE0_clEvEUllllllE_St5arrayIPcLm6EEEEviT0_T1_.has_indirect_call, 0
	.section	.AMDGPU.csdata,"",@progbits
; Kernel info:
; codeLenInByte = 13164
; TotalNumSgprs: 71
; NumVgprs: 60
; ScratchSize: 0
; MemoryBound: 0
; FloatMode: 240
; IeeeMode: 1
; LDSByteSize: 0 bytes/workgroup (compile time only)
; SGPRBlocks: 0
; VGPRBlocks: 3
; NumSGPRsForWavesPerEU: 71
; NumVGPRsForWavesPerEU: 60
; NamedBarCnt: 0
; Occupancy: 16
; WaveLimiterHint : 1
; COMPUTE_PGM_RSRC2:SCRATCH_EN: 0
; COMPUTE_PGM_RSRC2:USER_SGPR: 2
; COMPUTE_PGM_RSRC2:TRAP_HANDLER: 0
; COMPUTE_PGM_RSRC2:TGID_X_EN: 1
; COMPUTE_PGM_RSRC2:TGID_Y_EN: 0
; COMPUTE_PGM_RSRC2:TGID_Z_EN: 0
; COMPUTE_PGM_RSRC2:TIDIG_COMP_CNT: 0
	.section	.text._ZN2at6native27unrolled_elementwise_kernelIZZZNS0_12_GLOBAL__N_142_validate_compressed_sparse_indices_kernelILNS2_8CDimNameE0ENS2_18CUDAKernelLauncherENS2_14EmptyVecKernelENS2_8DummyVecELm8EEEvRKNS_6TensorESA_lllENKUlvE1_clEvENKUlvE0_clEvEUllllllE_St5arrayIPcLm6EELi4E23TrivialOffsetCalculatorILi5EjESH_ILi1EjENS0_6memory15LoadWithoutCastENSK_16StoreWithoutCastEEEviT_T0_T2_T3_T4_T5_,"axG",@progbits,_ZN2at6native27unrolled_elementwise_kernelIZZZNS0_12_GLOBAL__N_142_validate_compressed_sparse_indices_kernelILNS2_8CDimNameE0ENS2_18CUDAKernelLauncherENS2_14EmptyVecKernelENS2_8DummyVecELm8EEEvRKNS_6TensorESA_lllENKUlvE1_clEvENKUlvE0_clEvEUllllllE_St5arrayIPcLm6EELi4E23TrivialOffsetCalculatorILi5EjESH_ILi1EjENS0_6memory15LoadWithoutCastENSK_16StoreWithoutCastEEEviT_T0_T2_T3_T4_T5_,comdat
	.globl	_ZN2at6native27unrolled_elementwise_kernelIZZZNS0_12_GLOBAL__N_142_validate_compressed_sparse_indices_kernelILNS2_8CDimNameE0ENS2_18CUDAKernelLauncherENS2_14EmptyVecKernelENS2_8DummyVecELm8EEEvRKNS_6TensorESA_lllENKUlvE1_clEvENKUlvE0_clEvEUllllllE_St5arrayIPcLm6EELi4E23TrivialOffsetCalculatorILi5EjESH_ILi1EjENS0_6memory15LoadWithoutCastENSK_16StoreWithoutCastEEEviT_T0_T2_T3_T4_T5_ ; -- Begin function _ZN2at6native27unrolled_elementwise_kernelIZZZNS0_12_GLOBAL__N_142_validate_compressed_sparse_indices_kernelILNS2_8CDimNameE0ENS2_18CUDAKernelLauncherENS2_14EmptyVecKernelENS2_8DummyVecELm8EEEvRKNS_6TensorESA_lllENKUlvE1_clEvENKUlvE0_clEvEUllllllE_St5arrayIPcLm6EELi4E23TrivialOffsetCalculatorILi5EjESH_ILi1EjENS0_6memory15LoadWithoutCastENSK_16StoreWithoutCastEEEviT_T0_T2_T3_T4_T5_
	.p2align	8
	.type	_ZN2at6native27unrolled_elementwise_kernelIZZZNS0_12_GLOBAL__N_142_validate_compressed_sparse_indices_kernelILNS2_8CDimNameE0ENS2_18CUDAKernelLauncherENS2_14EmptyVecKernelENS2_8DummyVecELm8EEEvRKNS_6TensorESA_lllENKUlvE1_clEvENKUlvE0_clEvEUllllllE_St5arrayIPcLm6EELi4E23TrivialOffsetCalculatorILi5EjESH_ILi1EjENS0_6memory15LoadWithoutCastENSK_16StoreWithoutCastEEEviT_T0_T2_T3_T4_T5_,@function
_ZN2at6native27unrolled_elementwise_kernelIZZZNS0_12_GLOBAL__N_142_validate_compressed_sparse_indices_kernelILNS2_8CDimNameE0ENS2_18CUDAKernelLauncherENS2_14EmptyVecKernelENS2_8DummyVecELm8EEEvRKNS_6TensorESA_lllENKUlvE1_clEvENKUlvE0_clEvEUllllllE_St5arrayIPcLm6EELi4E23TrivialOffsetCalculatorILi5EjESH_ILi1EjENS0_6memory15LoadWithoutCastENSK_16StoreWithoutCastEEEviT_T0_T2_T3_T4_T5_: ; @_ZN2at6native27unrolled_elementwise_kernelIZZZNS0_12_GLOBAL__N_142_validate_compressed_sparse_indices_kernelILNS2_8CDimNameE0ENS2_18CUDAKernelLauncherENS2_14EmptyVecKernelENS2_8DummyVecELm8EEEvRKNS_6TensorESA_lllENKUlvE1_clEvENKUlvE0_clEvEUllllllE_St5arrayIPcLm6EELi4E23TrivialOffsetCalculatorILi5EjESH_ILi1EjENS0_6memory15LoadWithoutCastENSK_16StoreWithoutCastEEEviT_T0_T2_T3_T4_T5_
; %bb.0:
	s_load_b32 s2, s[0:1], 0x0
	s_bfe_u32 s16, ttmp6, 0x4000c
	s_clause 0x1
	s_load_b128 s[12:15], s[0:1], 0xd0
	s_load_b256 s[4:11], s[0:1], 0xb0
	s_add_co_i32 s16, s16, 1
	s_and_b32 s3, ttmp6, 15
	s_mul_i32 s16, ttmp9, s16
	s_getreg_b32 s17, hwreg(HW_REG_IB_STS2, 6, 4)
	s_add_co_i32 s3, s3, s16
	s_cmp_eq_u32 s17, 0
	v_mov_b64_e32 v[26:27], 0
	s_cselect_b32 s3, ttmp9, s3
	v_mov_b64_e32 v[36:37], 0
	s_lshl_b32 s3, s3, 10
	v_mov_b64_e32 v[38:39], 0
	v_mov_b64_e32 v[32:33], 0
	;; [unrolled: 1-line block ×4, first 2 shown]
	v_or_b32_e32 v1, 0x100, v0
	v_mov_b32_e32 v42, v0
	s_wait_kmcnt 0x0
	s_sub_co_i32 s30, s2, s3
	s_delay_alu instid0(SALU_CYCLE_1)
	v_cmp_gt_i32_e64 s2, s30, v0
	s_and_saveexec_b32 s16, s2
	s_cbranch_execz .LBB28_2
; %bb.1:
	v_or_b32_e32 v2, s3, v0
	v_or_b32_e32 v42, 0x100, v0
	s_clause 0x4
	global_load_b64 v[32:33], v2, s[10:11] scale_offset
	global_load_b64 v[36:37], v2, s[6:7] scale_offset
	;; [unrolled: 1-line block ×5, first 2 shown]
.LBB28_2:
	s_wait_xcnt 0x0
	s_or_b32 exec_lo, exec_lo, s16
	v_mov_b64_e32 v[28:29], 0
	v_mov_b64_e32 v[22:23], 0
	;; [unrolled: 1-line block ×4, first 2 shown]
	s_mov_b32 s16, exec_lo
	v_cmpx_gt_i32_e64 s30, v42
	s_cbranch_execz .LBB28_4
; %bb.3:
	v_add_nc_u32_e32 v2, s3, v42
	v_add_nc_u32_e32 v42, 0x100, v42
	s_clause 0x4
	global_load_b64 v[22:23], v2, s[10:11] scale_offset
	global_load_b64 v[26:27], v2, s[6:7] scale_offset
	;; [unrolled: 1-line block ×5, first 2 shown]
.LBB28_4:
	s_wait_xcnt 0x0
	s_or_b32 exec_lo, exec_lo, s16
	v_mov_b64_e32 v[10:11], 0
	v_mov_b64_e32 v[20:21], 0
	;; [unrolled: 1-line block ×6, first 2 shown]
	s_mov_b32 s16, exec_lo
	v_cmpx_gt_i32_e64 s30, v42
	s_cbranch_execz .LBB28_6
; %bb.5:
	v_add_nc_u32_e32 v2, s3, v42
	v_add_nc_u32_e32 v42, 0x100, v42
	s_clause 0x4
	global_load_b64 v[12:13], v2, s[10:11] scale_offset
	global_load_b64 v[20:21], v2, s[6:7] scale_offset
	;; [unrolled: 1-line block ×5, first 2 shown]
.LBB28_6:
	s_wait_xcnt 0x0
	s_or_b32 exec_lo, exec_lo, s16
	v_mov_b64_e32 v[6:7], 0
	v_mov_b64_e32 v[2:3], 0
	;; [unrolled: 1-line block ×4, first 2 shown]
	s_mov_b32 s16, exec_lo
	v_cmpx_gt_i32_e64 s30, v42
	s_cbranch_execz .LBB28_8
; %bb.7:
	v_add_nc_u32_e32 v42, s3, v42
	s_clause 0x4
	global_load_b64 v[2:3], v42, s[10:11] scale_offset
	global_load_b64 v[10:11], v42, s[6:7] scale_offset
	;; [unrolled: 1-line block ×5, first 2 shown]
.LBB28_8:
	s_wait_xcnt 0x0
	s_or_b32 exec_lo, exec_lo, s16
	s_clause 0x1
	s_load_b256 s[8:15], s[0:1], 0x8
	s_load_b64 s[6:7], s[0:1], 0xa8
	s_get_pc_i64 s[18:19]
	s_add_nc_u64 s[18:19], s[18:19], .str.1@rel64+4
	s_get_pc_i64 s[20:21]
	s_add_nc_u64 s[20:21], s[20:21], .str.2@rel64+4
	s_cmp_lg_u64 s[18:19], 0
	s_get_pc_i64 s[22:23]
	s_add_nc_u64 s[22:23], s[22:23], .str.3@rel64+4
	s_cselect_b32 s36, -1, 0
	s_cmp_lg_u64 s[20:21], 0
	s_get_pc_i64 s[20:21]
	s_add_nc_u64 s[20:21], s[20:21], .str.4@rel64+4
	s_cselect_b32 s34, -1, 0
	s_cmp_lg_u64 s[22:23], 0
	s_add_nc_u64 s[16:17], s[0:1], 8
	s_cselect_b32 s33, -1, 0
	s_wait_xcnt 0x0
	s_mov_b32 s0, -1
	s_mov_b32 s41, 0
	s_mov_b32 s39, 0
	s_mov_b32 s38, 0
	s_mov_b32 s37, 0
	s_mov_b32 s35, 0
	s_wait_kmcnt 0x0
	s_add_co_i32 s18, s14, -1
	s_delay_alu instid0(SALU_CYCLE_1)
	s_cmp_gt_i32 s18, -1
	s_cselect_b32 s31, -1, 0
	s_cmp_lg_u64 s[20:21], 0
	s_cselect_b32 s15, -1, 0
	s_and_saveexec_b32 s40, s2
	s_cbranch_execz .LBB28_29
; %bb.9:
	s_wait_loadcnt 0x3
	v_cmp_eq_u64_e32 vcc_lo, s[8:9], v[36:37]
	s_mov_b32 s1, -1
	s_mov_b32 s0, 0
	s_mov_b32 s19, 0
	;; [unrolled: 1-line block ×4, first 2 shown]
	s_and_b32 s22, s36, vcc_lo
	s_delay_alu instid0(SALU_CYCLE_1)
	s_and_saveexec_b32 s35, s22
	s_cbranch_execz .LBB28_28
; %bb.10:
	s_wait_loadcnt 0x2
	v_cmp_eq_u64_e32 vcc_lo, s[12:13], v[38:39]
	s_and_b32 s21, s34, vcc_lo
	s_delay_alu instid0(SALU_CYCLE_1)
	s_and_saveexec_b32 s37, s21
	s_cbranch_execz .LBB28_27
; %bb.11:
	s_wait_loadcnt 0x1
	v_sub_nc_u64_e32 v[42:43], v[34:35], v[32:33]
	s_delay_alu instid0(VALU_DEP_1)
	v_cmp_le_i64_e32 vcc_lo, v[36:37], v[42:43]
	v_cmp_ge_i64_e64 s0, s[10:11], v[42:43]
	s_and_b32 s19, vcc_lo, s0
	s_mov_b32 s0, 0
	s_and_b32 s20, s33, s19
	s_mov_b32 s19, 0
	s_and_saveexec_b32 s38, s20
	s_cbranch_execz .LBB28_26
; %bb.12:
	v_cmp_lt_i64_e32 vcc_lo, 0, v[38:39]
	v_mov_b64_e32 v[36:37], 0
	s_and_b32 s0, vcc_lo, s31
	s_delay_alu instid0(SALU_CYCLE_1)
	s_and_saveexec_b32 s39, s0
	s_cbranch_execz .LBB28_19
; %bb.13:
	s_wait_loadcnt 0x0
	v_mul_u64_e32 v[40:41], v[40:41], v[38:39]
	s_ashr_i32 s19, s18, 31
	v_mov_b64_e32 v[36:37], 0
	s_lshl_b64 s[0:1], s[18:19], 3
	v_mov_b32_e32 v38, 0
	s_add_nc_u64 s[0:1], s[16:17], s[0:1]
	s_mov_b64 s[20:21], 0xffffffff
	s_add_nc_u64 s[22:23], s[0:1], 32
	s_mov_b32 s1, 0
	s_mov_b32 s19, s14
	s_branch .LBB28_15
.LBB28_14:                              ;   in Loop: Header=BB28_15 Depth=1
	s_or_b32 exec_lo, exec_lo, s0
	s_delay_alu instid0(VALU_DEP_1)
	v_mul_u64_e32 v[44:45], s[24:25], v[42:43]
	s_load_b64 s[24:25], s[22:23], 0x40
	s_add_co_i32 s19, s19, -1
	s_wait_xcnt 0x0
	s_add_nc_u64 s[22:23], s[22:23], -8
	s_cmp_eq_u32 s19, 0
	s_delay_alu instid0(VALU_DEP_1) | instskip(SKIP_1) | instid1(VALU_DEP_1)
	v_sub_nc_u64_e32 v[40:41], v[40:41], v[44:45]
	s_wait_kmcnt 0x0
	v_mad_nc_u64_u32 v[36:37], v40, s24, v[36:37]
	s_delay_alu instid0(VALU_DEP_1) | instskip(NEXT) | instid1(VALU_DEP_1)
	v_mad_u32 v37, v41, s24, v37
	v_mad_u32 v37, v40, s25, v37
	v_mov_b64_e32 v[40:41], v[42:43]
	s_cbranch_scc1 .LBB28_19
.LBB28_15:                              ; =>This Inner Loop Header: Depth=1
	s_load_b64 s[24:25], s[22:23], 0x0
                                        ; implicit-def: $vgpr42_vgpr43
	s_mov_b32 s0, exec_lo
	s_wait_kmcnt 0x0
	s_delay_alu instid0(VALU_DEP_1) | instskip(NEXT) | instid1(VALU_DEP_1)
	v_or_b32_e32 v39, s25, v41
	v_cmpx_ne_u64_e32 0, v[38:39]
	s_xor_b32 s42, exec_lo, s0
	s_cbranch_execz .LBB28_17
; %bb.16:                               ;   in Loop: Header=BB28_15 Depth=1
	s_ashr_i32 s26, s25, 31
	v_dual_mov_b32 v47, v38 :: v_dual_ashrrev_i32 v42, 31, v41
	s_mov_b32 s27, s26
	v_mov_b32_e32 v55, v38
	s_add_nc_u64 s[28:29], s[24:25], s[26:27]
	s_delay_alu instid0(VALU_DEP_2) | instskip(SKIP_1) | instid1(SALU_CYCLE_1)
	v_mov_b32_e32 v43, v42
	s_xor_b64 s[28:29], s[28:29], s[26:27]
	s_cvt_f32_u32 s0, s28
	s_cvt_f32_u32 s27, s29
	s_sub_nc_u64 s[46:47], 0, s[28:29]
	v_add_nc_u64_e32 v[44:45], v[40:41], v[42:43]
	v_mov_b32_e32 v51, v38
	s_fmamk_f32 s0, s27, 0x4f800000, s0
	s_delay_alu instid0(SALU_CYCLE_3) | instskip(NEXT) | instid1(VALU_DEP_2)
	v_s_rcp_f32 s0, s0
	v_xor_b32_e32 v46, v44, v42
	s_delay_alu instid0(VALU_DEP_3) | instskip(NEXT) | instid1(TRANS32_DEP_1)
	v_xor_b32_e32 v50, v45, v42
	s_mul_f32 s0, s0, 0x5f7ffffc
	s_delay_alu instid0(SALU_CYCLE_3) | instskip(NEXT) | instid1(SALU_CYCLE_3)
	s_mul_f32 s27, s0, 0x2f800000
	s_trunc_f32 s27, s27
	s_delay_alu instid0(SALU_CYCLE_3) | instskip(SKIP_1) | instid1(SALU_CYCLE_2)
	s_fmamk_f32 s0, s27, 0xcf800000, s0
	s_cvt_u32_f32 s45, s27
	s_cvt_u32_f32 s44, s0
	s_delay_alu instid0(SALU_CYCLE_3) | instskip(NEXT) | instid1(SALU_CYCLE_1)
	s_mul_u64 s[48:49], s[46:47], s[44:45]
	s_mul_hi_u32 s51, s44, s49
	s_mul_i32 s50, s44, s49
	s_mul_hi_u32 s0, s44, s48
	s_mul_i32 s43, s45, s48
	s_add_nc_u64 s[50:51], s[0:1], s[50:51]
	s_mul_hi_u32 s27, s45, s48
	s_mul_hi_u32 s52, s45, s49
	s_add_co_u32 s0, s50, s43
	s_add_co_ci_u32 s0, s51, s27
	s_mul_i32 s48, s45, s49
	s_add_co_ci_u32 s49, s52, 0
	s_delay_alu instid0(SALU_CYCLE_1) | instskip(NEXT) | instid1(SALU_CYCLE_1)
	s_add_nc_u64 s[48:49], s[0:1], s[48:49]
	s_add_co_u32 s44, s44, s48
	s_cselect_b32 s0, -1, 0
	s_delay_alu instid0(SALU_CYCLE_1) | instskip(SKIP_1) | instid1(SALU_CYCLE_1)
	s_cmp_lg_u32 s0, 0
	s_add_co_ci_u32 s45, s45, s49
	s_mul_u64 s[46:47], s[46:47], s[44:45]
	s_delay_alu instid0(SALU_CYCLE_1)
	s_mul_hi_u32 s49, s44, s47
	s_mul_i32 s48, s44, s47
	s_mul_hi_u32 s0, s44, s46
	s_mul_i32 s43, s45, s46
	s_add_nc_u64 s[48:49], s[0:1], s[48:49]
	s_mul_hi_u32 s27, s45, s46
	s_mul_hi_u32 s50, s45, s47
	s_add_co_u32 s0, s48, s43
	s_add_co_ci_u32 s0, s49, s27
	s_mul_i32 s46, s45, s47
	s_add_co_ci_u32 s47, s50, 0
	s_delay_alu instid0(SALU_CYCLE_1) | instskip(NEXT) | instid1(SALU_CYCLE_1)
	s_add_nc_u64 s[46:47], s[0:1], s[46:47]
	s_add_co_u32 s44, s44, s46
	s_cselect_b32 s0, -1, 0
	v_mul_hi_u32 v54, v46, s44
	s_cmp_lg_u32 s0, 0
	s_add_co_ci_u32 s0, s45, s47
	s_and_b64 s[46:47], s[44:45], s[20:21]
	v_mul_u64_e32 v[48:49], s[0:1], v[46:47]
	v_mul_u64_e32 v[44:45], s[46:47], v[50:51]
	;; [unrolled: 1-line block ×3, first 2 shown]
	s_delay_alu instid0(VALU_DEP_3) | instskip(NEXT) | instid1(VALU_DEP_1)
	v_add_nc_u64_e32 v[48:49], v[54:55], v[48:49]
	v_add_co_u32 v39, vcc_lo, v48, v44
	s_delay_alu instid0(VALU_DEP_2) | instskip(NEXT) | instid1(VALU_DEP_4)
	v_add_co_ci_u32_e32 v54, vcc_lo, v49, v45, vcc_lo
	v_add_co_ci_u32_e32 v53, vcc_lo, 0, v53, vcc_lo
	s_delay_alu instid0(VALU_DEP_1) | instskip(NEXT) | instid1(VALU_DEP_1)
	v_add_nc_u64_e32 v[44:45], v[54:55], v[52:53]
	v_mul_u64_e32 v[48:49], s[28:29], v[44:45]
	s_delay_alu instid0(VALU_DEP_1) | instskip(NEXT) | instid1(VALU_DEP_2)
	v_sub_nc_u32_e32 v39, v50, v49
	v_sub_co_u32 v43, vcc_lo, v46, v48
	s_delay_alu instid0(VALU_DEP_1) | instskip(NEXT) | instid1(VALU_DEP_3)
	v_sub_co_ci_u32_e64 v50, null, v50, v49, vcc_lo
	v_subrev_co_ci_u32_e64 v39, null, s29, v39, vcc_lo
	s_delay_alu instid0(VALU_DEP_3) | instskip(SKIP_1) | instid1(VALU_DEP_3)
	v_sub_co_u32 v46, s0, v43, s28
	v_add_nc_u64_e32 v[48:49], 1, v[44:45]
	v_subrev_co_ci_u32_e64 v39, null, 0, v39, s0
	s_delay_alu instid0(VALU_DEP_3) | instskip(SKIP_1) | instid1(VALU_DEP_3)
	v_cmp_le_u32_e32 vcc_lo, s28, v46
	v_cndmask_b32_e64 v46, 0, -1, vcc_lo
	v_cmp_le_u32_e32 vcc_lo, s29, v39
	v_cndmask_b32_e64 v47, 0, -1, vcc_lo
	;; [unrolled: 2-line block ×4, first 2 shown]
	v_cmp_eq_u32_e32 vcc_lo, s29, v39
	v_cndmask_b32_e32 v39, v47, v46, vcc_lo
	v_cmp_eq_u32_e32 vcc_lo, s29, v50
	v_add_nc_u64_e32 v[46:47], 2, v[44:45]
	v_cndmask_b32_e32 v43, v51, v43, vcc_lo
	s_delay_alu instid0(VALU_DEP_4) | instskip(NEXT) | instid1(VALU_DEP_2)
	v_cmp_ne_u32_e32 vcc_lo, 0, v39
	v_cmp_ne_u32_e64 s0, 0, v43
	s_delay_alu instid0(VALU_DEP_4) | instskip(NEXT) | instid1(VALU_DEP_1)
	v_dual_cndmask_b32 v39, v49, v47, vcc_lo :: v_dual_cndmask_b32 v43, v48, v46, vcc_lo
	v_dual_cndmask_b32 v39, v45, v39, s0 :: v_dual_bitop2_b32 v42, s26, v42 bitop3:0x14
	s_delay_alu instid0(VALU_DEP_1) | instskip(NEXT) | instid1(VALU_DEP_2)
	v_dual_cndmask_b32 v44, v44, v43, s0 :: v_dual_mov_b32 v43, v42
	v_xor_b32_e32 v45, v39, v42
	s_delay_alu instid0(VALU_DEP_2) | instskip(NEXT) | instid1(VALU_DEP_1)
	v_xor_b32_e32 v44, v44, v42
	v_sub_nc_u64_e32 v[42:43], v[44:45], v[42:43]
.LBB28_17:                              ;   in Loop: Header=BB28_15 Depth=1
	s_and_not1_saveexec_b32 s0, s42
	s_cbranch_execz .LBB28_14
; %bb.18:                               ;   in Loop: Header=BB28_15 Depth=1
	v_cvt_f32_u32_e32 v39, s24
	s_sub_co_i32 s26, 0, s24
	s_delay_alu instid0(VALU_DEP_1) | instskip(SKIP_1) | instid1(TRANS32_DEP_1)
	v_rcp_iflag_f32_e32 v39, v39
	v_nop
	v_mul_f32_e32 v39, 0x4f7ffffe, v39
	s_delay_alu instid0(VALU_DEP_1) | instskip(NEXT) | instid1(VALU_DEP_1)
	v_cvt_u32_f32_e32 v39, v39
	v_mul_lo_u32 v42, s26, v39
	s_delay_alu instid0(VALU_DEP_1) | instskip(NEXT) | instid1(VALU_DEP_1)
	v_mul_hi_u32 v42, v39, v42
	v_add_nc_u32_e32 v39, v39, v42
	s_delay_alu instid0(VALU_DEP_1) | instskip(NEXT) | instid1(VALU_DEP_1)
	v_mul_hi_u32 v39, v40, v39
	v_mul_lo_u32 v42, v39, s24
	s_delay_alu instid0(VALU_DEP_1) | instskip(NEXT) | instid1(VALU_DEP_1)
	v_dual_add_nc_u32 v43, 1, v39 :: v_dual_sub_nc_u32 v42, v40, v42
	v_subrev_nc_u32_e32 v44, s24, v42
	v_cmp_le_u32_e32 vcc_lo, s24, v42
	s_delay_alu instid0(VALU_DEP_2) | instskip(NEXT) | instid1(VALU_DEP_1)
	v_dual_cndmask_b32 v42, v42, v44 :: v_dual_cndmask_b32 v39, v39, v43
	v_cmp_le_u32_e32 vcc_lo, s24, v42
	s_delay_alu instid0(VALU_DEP_2) | instskip(NEXT) | instid1(VALU_DEP_1)
	v_add_nc_u32_e32 v43, 1, v39
	v_dual_cndmask_b32 v42, v39, v43 :: v_dual_mov_b32 v43, v38
	s_branch .LBB28_14
.LBB28_19:
	s_or_b32 exec_lo, exec_lo, s39
	s_mov_b32 s20, -1
	s_mov_b32 s1, 0
	s_mov_b32 s0, exec_lo
	v_cmpx_gt_i64_e64 v[34:35], v[32:33]
	s_cbranch_execz .LBB28_25
; %bb.20:
	s_delay_alu instid0(VALU_DEP_2) | instskip(SKIP_1) | instid1(VALU_DEP_1)
	v_lshlrev_b64_e32 v[36:37], 3, v[36:37]
	s_xor_b32 s20, s15, -1
                                        ; implicit-def: $sgpr19
                                        ; implicit-def: $sgpr22
                                        ; implicit-def: $sgpr21
	v_lshl_add_u64 v[32:33], v[32:33], 3, v[36:37]
	v_add_nc_u64_e32 v[36:37], s[6:7], v[36:37]
	s_delay_alu instid0(VALU_DEP_2) | instskip(NEXT) | instid1(VALU_DEP_2)
	v_add_nc_u64_e32 v[32:33], s[6:7], v[32:33]
	v_lshl_add_u64 v[34:35], v[34:35], 3, v[36:37]
	s_delay_alu instid0(VALU_DEP_2)
	v_add_nc_u64_e32 v[32:33], 8, v[32:33]
	s_branch .LBB28_22
.LBB28_21:                              ;   in Loop: Header=BB28_22 Depth=1
	s_or_b32 exec_lo, exec_lo, s23
	s_delay_alu instid0(SALU_CYCLE_1) | instskip(NEXT) | instid1(SALU_CYCLE_1)
	s_and_b32 s23, exec_lo, s22
	s_or_b32 s1, s23, s1
	s_and_not1_b32 s19, s19, exec_lo
	s_and_b32 s23, s21, exec_lo
	s_delay_alu instid0(SALU_CYCLE_1)
	s_or_b32 s19, s19, s23
	s_and_not1_b32 exec_lo, exec_lo, s1
	s_cbranch_execz .LBB28_24
.LBB28_22:                              ; =>This Inner Loop Header: Depth=1
	s_or_b32 s21, s21, exec_lo
	s_or_b32 s22, s22, exec_lo
	s_mov_b32 s23, exec_lo
	s_delay_alu instid0(VALU_DEP_1)
	v_cmpx_lt_u64_e64 v[32:33], v[34:35]
	s_cbranch_execz .LBB28_21
; %bb.23:                               ;   in Loop: Header=BB28_22 Depth=1
	global_load_b128 v[36:39], v[32:33], off offset:-8
	s_wait_xcnt 0x0
	v_add_nc_u64_e32 v[32:33], 8, v[32:33]
	s_and_not1_b32 s22, s22, exec_lo
	s_and_not1_b32 s21, s21, exec_lo
	s_wait_loadcnt 0x0
	v_cmp_ge_i64_e32 vcc_lo, v[36:37], v[38:39]
	s_or_b32 s24, s20, vcc_lo
	s_delay_alu instid0(SALU_CYCLE_1) | instskip(NEXT) | instid1(SALU_CYCLE_1)
	s_and_b32 s24, s24, exec_lo
	s_or_b32 s22, s22, s24
	s_branch .LBB28_21
.LBB28_24:
	s_or_b32 exec_lo, exec_lo, s1
	s_delay_alu instid0(SALU_CYCLE_1)
	s_mov_b32 s1, exec_lo
	s_or_not1_b32 s20, s19, exec_lo
.LBB28_25:
	s_or_b32 exec_lo, exec_lo, s0
	s_delay_alu instid0(SALU_CYCLE_1)
	s_and_b32 s19, s1, exec_lo
	s_xor_b32 s1, exec_lo, -1
	s_and_b32 s0, s20, exec_lo
.LBB28_26:
	s_or_b32 exec_lo, exec_lo, s38
	s_delay_alu instid0(SALU_CYCLE_1)
	s_and_b32 s20, s19, exec_lo
	s_and_b32 s19, s1, exec_lo
	s_xor_b32 s1, exec_lo, -1
	s_and_b32 s0, s0, exec_lo
.LBB28_27:
	s_or_b32 exec_lo, exec_lo, s37
	s_delay_alu instid0(SALU_CYCLE_1)
	s_and_b32 s21, s20, exec_lo
	s_and_b32 s20, s19, exec_lo
	;; [unrolled: 1-line block ×3, first 2 shown]
	s_xor_b32 s1, exec_lo, -1
	s_and_b32 s0, s0, exec_lo
.LBB28_28:
	s_or_b32 exec_lo, exec_lo, s35
	s_delay_alu instid0(SALU_CYCLE_1)
	s_and_b32 s35, s21, exec_lo
	s_and_b32 s37, s20, exec_lo
	;; [unrolled: 1-line block ×4, first 2 shown]
	s_or_not1_b32 s0, s0, exec_lo
.LBB28_29:
	s_or_b32 exec_lo, exec_lo, s40
	s_mov_b32 s20, 0
	s_and_saveexec_b32 s40, s0
	s_cbranch_execz .LBB28_79
; %bb.30:
	s_mov_b32 s0, -1
	s_mov_b32 s46, 0
	s_mov_b32 s41, s39
	;; [unrolled: 1-line block ×5, first 2 shown]
	s_mov_b32 s45, exec_lo
	v_cmpx_gt_i32_e64 s30, v1
	s_cbranch_execz .LBB28_51
; %bb.31:
	s_wait_loadcnt 0x3
	v_cmp_eq_u64_e32 vcc_lo, s[8:9], v[26:27]
	s_mov_b32 s1, -1
	s_mov_b32 s0, 0
	s_mov_b32 s20, s38
	;; [unrolled: 1-line block ×4, first 2 shown]
	s_and_b32 s22, s36, vcc_lo
	s_delay_alu instid0(SALU_CYCLE_1)
	s_and_saveexec_b32 s41, s22
	s_cbranch_execz .LBB28_50
; %bb.32:
	s_wait_loadcnt 0x2
	v_cmp_eq_u64_e32 vcc_lo, s[12:13], v[28:29]
	s_mov_b32 s20, s37
	s_and_b32 s21, s34, vcc_lo
	s_delay_alu instid0(SALU_CYCLE_1)
	s_and_saveexec_b32 s42, s21
	s_cbranch_execz .LBB28_49
; %bb.33:
	s_wait_loadcnt 0x1
	v_sub_nc_u64_e32 v[32:33], v[24:25], v[22:23]
	s_delay_alu instid0(VALU_DEP_1)
	v_cmp_le_i64_e32 vcc_lo, v[26:27], v[32:33]
	v_cmp_ge_i64_e64 s0, s[10:11], v[32:33]
	s_and_b32 s19, vcc_lo, s0
	s_mov_b32 s0, 0
	s_and_b32 s20, s33, s19
	s_mov_b32 s19, 0
	s_and_saveexec_b32 s43, s20
	s_cbranch_execz .LBB28_48
; %bb.34:
	v_cmp_lt_i64_e32 vcc_lo, 0, v[28:29]
	v_mov_b64_e32 v[26:27], 0
	s_and_b32 s0, vcc_lo, s31
	s_delay_alu instid0(SALU_CYCLE_1)
	s_and_saveexec_b32 s44, s0
	s_cbranch_execz .LBB28_41
; %bb.35:
	s_wait_loadcnt 0x0
	v_mul_u64_e32 v[30:31], v[30:31], v[28:29]
	s_ashr_i32 s19, s18, 31
	v_mov_b64_e32 v[26:27], 0
	s_lshl_b64 s[0:1], s[18:19], 3
	v_mov_b32_e32 v28, 0
	s_add_nc_u64 s[0:1], s[16:17], s[0:1]
	s_mov_b64 s[20:21], 0xffffffff
	s_add_nc_u64 s[22:23], s[0:1], 32
	s_mov_b32 s1, 0
	s_mov_b32 s19, s14
	s_branch .LBB28_37
.LBB28_36:                              ;   in Loop: Header=BB28_37 Depth=1
	s_or_b32 exec_lo, exec_lo, s0
	s_delay_alu instid0(VALU_DEP_1)
	v_mul_u64_e32 v[34:35], s[24:25], v[32:33]
	s_load_b64 s[24:25], s[22:23], 0x40
	s_add_co_i32 s19, s19, -1
	s_wait_xcnt 0x0
	s_add_nc_u64 s[22:23], s[22:23], -8
	s_cmp_lg_u32 s19, 0
	s_delay_alu instid0(VALU_DEP_1) | instskip(SKIP_1) | instid1(VALU_DEP_1)
	v_sub_nc_u64_e32 v[30:31], v[30:31], v[34:35]
	s_wait_kmcnt 0x0
	v_mad_nc_u64_u32 v[26:27], v30, s24, v[26:27]
	s_delay_alu instid0(VALU_DEP_1) | instskip(NEXT) | instid1(VALU_DEP_1)
	v_mad_u32 v27, v31, s24, v27
	v_mad_u32 v27, v30, s25, v27
	v_mov_b64_e32 v[30:31], v[32:33]
	s_cbranch_scc0 .LBB28_41
.LBB28_37:                              ; =>This Inner Loop Header: Depth=1
	s_load_b64 s[24:25], s[22:23], 0x0
                                        ; implicit-def: $vgpr32_vgpr33
	s_mov_b32 s0, exec_lo
	s_wait_kmcnt 0x0
	s_delay_alu instid0(VALU_DEP_1) | instskip(NEXT) | instid1(VALU_DEP_1)
	v_or_b32_e32 v29, s25, v31
	v_cmpx_ne_u64_e32 0, v[28:29]
	s_xor_b32 s47, exec_lo, s0
	s_cbranch_execz .LBB28_39
; %bb.38:                               ;   in Loop: Header=BB28_37 Depth=1
	s_ashr_i32 s26, s25, 31
	v_dual_mov_b32 v37, v28 :: v_dual_ashrrev_i32 v32, 31, v31
	s_mov_b32 s27, s26
	v_mov_b32_e32 v45, v28
	s_add_nc_u64 s[28:29], s[24:25], s[26:27]
	s_delay_alu instid0(VALU_DEP_2) | instskip(SKIP_1) | instid1(SALU_CYCLE_1)
	v_mov_b32_e32 v33, v32
	s_xor_b64 s[28:29], s[28:29], s[26:27]
	s_cvt_f32_u32 s0, s28
	s_cvt_f32_u32 s27, s29
	s_sub_nc_u64 s[50:51], 0, s[28:29]
	v_add_nc_u64_e32 v[34:35], v[30:31], v[32:33]
	v_mov_b32_e32 v41, v28
	s_fmamk_f32 s0, s27, 0x4f800000, s0
	s_delay_alu instid0(SALU_CYCLE_3) | instskip(NEXT) | instid1(VALU_DEP_2)
	v_s_rcp_f32 s0, s0
	v_xor_b32_e32 v36, v34, v32
	s_delay_alu instid0(VALU_DEP_3) | instskip(NEXT) | instid1(TRANS32_DEP_1)
	v_xor_b32_e32 v40, v35, v32
	s_mul_f32 s0, s0, 0x5f7ffffc
	s_delay_alu instid0(SALU_CYCLE_3) | instskip(NEXT) | instid1(SALU_CYCLE_3)
	s_mul_f32 s27, s0, 0x2f800000
	s_trunc_f32 s27, s27
	s_delay_alu instid0(SALU_CYCLE_3) | instskip(SKIP_1) | instid1(SALU_CYCLE_2)
	s_fmamk_f32 s0, s27, 0xcf800000, s0
	s_cvt_u32_f32 s49, s27
	s_cvt_u32_f32 s48, s0
	s_delay_alu instid0(SALU_CYCLE_3) | instskip(NEXT) | instid1(SALU_CYCLE_1)
	s_mul_u64 s[52:53], s[50:51], s[48:49]
	s_mul_hi_u32 s55, s48, s53
	s_mul_i32 s54, s48, s53
	s_mul_hi_u32 s0, s48, s52
	s_mul_i32 s56, s49, s52
	s_add_nc_u64 s[54:55], s[0:1], s[54:55]
	s_mul_hi_u32 s27, s49, s52
	s_mul_hi_u32 s57, s49, s53
	s_add_co_u32 s0, s54, s56
	s_add_co_ci_u32 s0, s55, s27
	s_mul_i32 s52, s49, s53
	s_add_co_ci_u32 s53, s57, 0
	s_delay_alu instid0(SALU_CYCLE_1) | instskip(NEXT) | instid1(SALU_CYCLE_1)
	s_add_nc_u64 s[52:53], s[0:1], s[52:53]
	s_add_co_u32 s48, s48, s52
	s_cselect_b32 s0, -1, 0
	s_delay_alu instid0(SALU_CYCLE_1) | instskip(SKIP_1) | instid1(SALU_CYCLE_1)
	s_cmp_lg_u32 s0, 0
	s_add_co_ci_u32 s49, s49, s53
	s_mul_u64 s[50:51], s[50:51], s[48:49]
	s_delay_alu instid0(SALU_CYCLE_1)
	s_mul_hi_u32 s53, s48, s51
	s_mul_i32 s52, s48, s51
	s_mul_hi_u32 s0, s48, s50
	s_mul_i32 s54, s49, s50
	s_add_nc_u64 s[52:53], s[0:1], s[52:53]
	s_mul_hi_u32 s27, s49, s50
	s_mul_hi_u32 s55, s49, s51
	s_add_co_u32 s0, s52, s54
	s_add_co_ci_u32 s0, s53, s27
	s_mul_i32 s50, s49, s51
	s_add_co_ci_u32 s51, s55, 0
	s_delay_alu instid0(SALU_CYCLE_1) | instskip(NEXT) | instid1(SALU_CYCLE_1)
	s_add_nc_u64 s[50:51], s[0:1], s[50:51]
	s_add_co_u32 s48, s48, s50
	s_cselect_b32 s0, -1, 0
	v_mul_hi_u32 v44, v36, s48
	s_cmp_lg_u32 s0, 0
	s_add_co_ci_u32 s0, s49, s51
	s_and_b64 s[50:51], s[48:49], s[20:21]
	v_mul_u64_e32 v[38:39], s[0:1], v[36:37]
	v_mul_u64_e32 v[34:35], s[50:51], v[40:41]
	;; [unrolled: 1-line block ×3, first 2 shown]
	s_delay_alu instid0(VALU_DEP_3) | instskip(NEXT) | instid1(VALU_DEP_1)
	v_add_nc_u64_e32 v[38:39], v[44:45], v[38:39]
	v_add_co_u32 v29, vcc_lo, v38, v34
	s_delay_alu instid0(VALU_DEP_2) | instskip(NEXT) | instid1(VALU_DEP_4)
	v_add_co_ci_u32_e32 v44, vcc_lo, v39, v35, vcc_lo
	v_add_co_ci_u32_e32 v43, vcc_lo, 0, v43, vcc_lo
	s_delay_alu instid0(VALU_DEP_1) | instskip(NEXT) | instid1(VALU_DEP_1)
	v_add_nc_u64_e32 v[34:35], v[44:45], v[42:43]
	v_mul_u64_e32 v[38:39], s[28:29], v[34:35]
	s_delay_alu instid0(VALU_DEP_1) | instskip(NEXT) | instid1(VALU_DEP_2)
	v_sub_nc_u32_e32 v29, v40, v39
	v_sub_co_u32 v33, vcc_lo, v36, v38
	s_delay_alu instid0(VALU_DEP_1) | instskip(NEXT) | instid1(VALU_DEP_3)
	v_sub_co_ci_u32_e64 v40, null, v40, v39, vcc_lo
	v_subrev_co_ci_u32_e64 v29, null, s29, v29, vcc_lo
	s_delay_alu instid0(VALU_DEP_3) | instskip(SKIP_1) | instid1(VALU_DEP_3)
	v_sub_co_u32 v36, s0, v33, s28
	v_add_nc_u64_e32 v[38:39], 1, v[34:35]
	v_subrev_co_ci_u32_e64 v29, null, 0, v29, s0
	s_delay_alu instid0(VALU_DEP_3) | instskip(SKIP_1) | instid1(VALU_DEP_3)
	v_cmp_le_u32_e32 vcc_lo, s28, v36
	v_cndmask_b32_e64 v36, 0, -1, vcc_lo
	v_cmp_le_u32_e32 vcc_lo, s29, v29
	v_cndmask_b32_e64 v37, 0, -1, vcc_lo
	;; [unrolled: 2-line block ×4, first 2 shown]
	v_cmp_eq_u32_e32 vcc_lo, s29, v29
	v_cndmask_b32_e32 v29, v37, v36, vcc_lo
	v_cmp_eq_u32_e32 vcc_lo, s29, v40
	v_add_nc_u64_e32 v[36:37], 2, v[34:35]
	v_cndmask_b32_e32 v33, v41, v33, vcc_lo
	s_delay_alu instid0(VALU_DEP_4) | instskip(NEXT) | instid1(VALU_DEP_2)
	v_cmp_ne_u32_e32 vcc_lo, 0, v29
	v_cmp_ne_u32_e64 s0, 0, v33
	s_delay_alu instid0(VALU_DEP_4) | instskip(NEXT) | instid1(VALU_DEP_1)
	v_dual_cndmask_b32 v29, v39, v37, vcc_lo :: v_dual_cndmask_b32 v33, v38, v36, vcc_lo
	v_dual_cndmask_b32 v29, v35, v29, s0 :: v_dual_bitop2_b32 v32, s26, v32 bitop3:0x14
	s_delay_alu instid0(VALU_DEP_1) | instskip(NEXT) | instid1(VALU_DEP_2)
	v_dual_cndmask_b32 v34, v34, v33, s0 :: v_dual_mov_b32 v33, v32
	v_xor_b32_e32 v35, v29, v32
	s_delay_alu instid0(VALU_DEP_2) | instskip(NEXT) | instid1(VALU_DEP_1)
	v_xor_b32_e32 v34, v34, v32
	v_sub_nc_u64_e32 v[32:33], v[34:35], v[32:33]
.LBB28_39:                              ;   in Loop: Header=BB28_37 Depth=1
	s_and_not1_saveexec_b32 s0, s47
	s_cbranch_execz .LBB28_36
; %bb.40:                               ;   in Loop: Header=BB28_37 Depth=1
	v_cvt_f32_u32_e32 v29, s24
	s_sub_co_i32 s26, 0, s24
	s_delay_alu instid0(VALU_DEP_1) | instskip(SKIP_1) | instid1(TRANS32_DEP_1)
	v_rcp_iflag_f32_e32 v29, v29
	v_nop
	v_mul_f32_e32 v29, 0x4f7ffffe, v29
	s_delay_alu instid0(VALU_DEP_1) | instskip(NEXT) | instid1(VALU_DEP_1)
	v_cvt_u32_f32_e32 v29, v29
	v_mul_lo_u32 v32, s26, v29
	s_delay_alu instid0(VALU_DEP_1) | instskip(NEXT) | instid1(VALU_DEP_1)
	v_mul_hi_u32 v32, v29, v32
	v_add_nc_u32_e32 v29, v29, v32
	s_delay_alu instid0(VALU_DEP_1) | instskip(NEXT) | instid1(VALU_DEP_1)
	v_mul_hi_u32 v29, v30, v29
	v_mul_lo_u32 v32, v29, s24
	s_delay_alu instid0(VALU_DEP_1) | instskip(NEXT) | instid1(VALU_DEP_1)
	v_dual_add_nc_u32 v33, 1, v29 :: v_dual_sub_nc_u32 v32, v30, v32
	v_subrev_nc_u32_e32 v34, s24, v32
	v_cmp_le_u32_e32 vcc_lo, s24, v32
	s_delay_alu instid0(VALU_DEP_2) | instskip(NEXT) | instid1(VALU_DEP_1)
	v_dual_cndmask_b32 v32, v32, v34 :: v_dual_cndmask_b32 v29, v29, v33
	v_cmp_le_u32_e32 vcc_lo, s24, v32
	s_delay_alu instid0(VALU_DEP_2) | instskip(NEXT) | instid1(VALU_DEP_1)
	v_add_nc_u32_e32 v33, 1, v29
	v_dual_cndmask_b32 v32, v29, v33 :: v_dual_mov_b32 v33, v28
	s_branch .LBB28_36
.LBB28_41:
	s_or_b32 exec_lo, exec_lo, s44
	s_mov_b32 s20, -1
	s_mov_b32 s1, 0
	s_mov_b32 s0, exec_lo
	v_cmpx_gt_i64_e64 v[24:25], v[22:23]
	s_cbranch_execz .LBB28_47
; %bb.42:
	s_delay_alu instid0(VALU_DEP_2) | instskip(SKIP_1) | instid1(VALU_DEP_1)
	v_lshlrev_b64_e32 v[26:27], 3, v[26:27]
	s_xor_b32 s20, s15, -1
                                        ; implicit-def: $sgpr19
                                        ; implicit-def: $sgpr22
                                        ; implicit-def: $sgpr21
	v_lshl_add_u64 v[22:23], v[22:23], 3, v[26:27]
	v_add_nc_u64_e32 v[26:27], s[6:7], v[26:27]
	s_delay_alu instid0(VALU_DEP_2) | instskip(NEXT) | instid1(VALU_DEP_2)
	v_add_nc_u64_e32 v[22:23], s[6:7], v[22:23]
	v_lshl_add_u64 v[24:25], v[24:25], 3, v[26:27]
	s_delay_alu instid0(VALU_DEP_2)
	v_add_nc_u64_e32 v[22:23], 8, v[22:23]
	s_branch .LBB28_44
.LBB28_43:                              ;   in Loop: Header=BB28_44 Depth=1
	s_or_b32 exec_lo, exec_lo, s23
	s_delay_alu instid0(SALU_CYCLE_1) | instskip(NEXT) | instid1(SALU_CYCLE_1)
	s_and_b32 s23, exec_lo, s22
	s_or_b32 s1, s23, s1
	s_and_not1_b32 s19, s19, exec_lo
	s_and_b32 s23, s21, exec_lo
	s_delay_alu instid0(SALU_CYCLE_1)
	s_or_b32 s19, s19, s23
	s_and_not1_b32 exec_lo, exec_lo, s1
	s_cbranch_execz .LBB28_46
.LBB28_44:                              ; =>This Inner Loop Header: Depth=1
	s_or_b32 s21, s21, exec_lo
	s_or_b32 s22, s22, exec_lo
	s_mov_b32 s23, exec_lo
	s_delay_alu instid0(VALU_DEP_1)
	v_cmpx_lt_u64_e64 v[22:23], v[24:25]
	s_cbranch_execz .LBB28_43
; %bb.45:                               ;   in Loop: Header=BB28_44 Depth=1
	global_load_b128 v[26:29], v[22:23], off offset:-8
	s_wait_xcnt 0x0
	v_add_nc_u64_e32 v[22:23], 8, v[22:23]
	s_and_not1_b32 s22, s22, exec_lo
	s_and_not1_b32 s21, s21, exec_lo
	s_wait_loadcnt 0x0
	v_cmp_ge_i64_e32 vcc_lo, v[26:27], v[28:29]
	s_or_b32 s24, s20, vcc_lo
	s_delay_alu instid0(SALU_CYCLE_1) | instskip(NEXT) | instid1(SALU_CYCLE_1)
	s_and_b32 s24, s24, exec_lo
	s_or_b32 s22, s22, s24
	s_branch .LBB28_43
.LBB28_46:
	s_or_b32 exec_lo, exec_lo, s1
	s_delay_alu instid0(SALU_CYCLE_1)
	s_mov_b32 s1, exec_lo
	s_or_not1_b32 s20, s19, exec_lo
.LBB28_47:
	s_or_b32 exec_lo, exec_lo, s0
	s_delay_alu instid0(SALU_CYCLE_1)
	s_and_b32 s19, s1, exec_lo
	s_xor_b32 s1, exec_lo, -1
	s_and_b32 s0, s20, exec_lo
.LBB28_48:
	s_or_b32 exec_lo, exec_lo, s43
	s_delay_alu instid0(SALU_CYCLE_1)
	s_and_not1_b32 s20, s37, exec_lo
	s_and_b32 s1, s1, exec_lo
	s_and_b32 s19, s19, exec_lo
	s_or_b32 s20, s20, s1
	s_xor_b32 s1, exec_lo, -1
	s_and_b32 s0, s0, exec_lo
.LBB28_49:
	s_or_b32 exec_lo, exec_lo, s42
	s_delay_alu instid0(SALU_CYCLE_1)
	s_and_not1_b32 s21, s37, exec_lo
	s_and_b32 s20, s20, exec_lo
	s_and_not1_b32 s22, s38, exec_lo
	s_and_b32 s1, s1, exec_lo
	s_and_b32 s19, s19, exec_lo
	s_or_b32 s21, s21, s20
	s_or_b32 s20, s22, s1
	s_xor_b32 s1, exec_lo, -1
	s_and_b32 s0, s0, exec_lo
.LBB28_50:
	s_or_b32 exec_lo, exec_lo, s41
	s_delay_alu instid0(SALU_CYCLE_1)
	s_and_not1_b32 s22, s37, exec_lo
	s_and_b32 s21, s21, exec_lo
	s_and_b32 s44, s19, exec_lo
	s_or_b32 s42, s22, s21
	s_and_not1_b32 s19, s38, exec_lo
	s_and_b32 s20, s20, exec_lo
	s_and_not1_b32 s21, s39, exec_lo
	s_and_b32 s1, s1, exec_lo
	s_or_b32 s43, s19, s20
	s_or_b32 s41, s21, s1
	s_or_not1_b32 s0, s0, exec_lo
.LBB28_51:
	s_or_b32 exec_lo, exec_lo, s45
	s_mov_b32 s20, 0
	s_and_saveexec_b32 s45, s0
	s_cbranch_execz .LBB28_78
; %bb.52:
	s_wait_loadcnt 0x4
	v_or_b32_e32 v22, 0x200, v0
	s_mov_b32 s22, -1
	s_mov_b32 s46, 0
	s_mov_b32 s0, s41
	s_mov_b32 s19, s43
	s_mov_b32 s1, s42
	s_mov_b32 s47, exec_lo
	v_cmpx_gt_i32_e64 s30, v22
	s_cbranch_execz .LBB28_73
; %bb.53:
	s_wait_loadcnt 0x3
	v_cmp_eq_u64_e32 vcc_lo, s[8:9], v[20:21]
	s_mov_b32 s0, -1
	s_mov_b32 s21, 0
	s_mov_b32 s22, s43
	;; [unrolled: 1-line block ×4, first 2 shown]
	s_and_b32 s19, s36, vcc_lo
	s_delay_alu instid0(SALU_CYCLE_1)
	s_and_saveexec_b32 s48, s19
	s_cbranch_execz .LBB28_72
; %bb.54:
	s_wait_loadcnt 0x2
	v_cmp_eq_u64_e32 vcc_lo, s[12:13], v[16:17]
	s_mov_b32 s19, 0
	s_mov_b32 s20, s42
	s_and_b32 s1, s34, vcc_lo
	s_delay_alu instid0(SALU_CYCLE_1)
	s_and_saveexec_b32 s49, s1
	s_cbranch_execz .LBB28_71
; %bb.55:
	s_wait_loadcnt 0x1
	v_sub_nc_u64_e32 v[22:23], v[14:15], v[12:13]
	s_mov_b32 s19, -1
	s_mov_b32 s1, 0
	s_delay_alu instid0(VALU_DEP_1) | instskip(SKIP_2) | instid1(SALU_CYCLE_1)
	v_cmp_le_i64_e32 vcc_lo, v[20:21], v[22:23]
	v_cmp_ge_i64_e64 s0, s[10:11], v[22:23]
	s_and_b32 s0, vcc_lo, s0
	s_and_b32 s20, s33, s0
	s_mov_b32 s0, 0
	s_and_saveexec_b32 s50, s20
	s_cbranch_execz .LBB28_70
; %bb.56:
	v_cmp_lt_i64_e32 vcc_lo, 0, v[16:17]
	v_mov_b64_e32 v[20:21], 0
	s_and_b32 s0, vcc_lo, s31
	s_delay_alu instid0(SALU_CYCLE_1)
	s_and_saveexec_b32 s51, s0
	s_cbranch_execz .LBB28_63
; %bb.57:
	s_wait_loadcnt 0x0
	v_mul_u64_e32 v[18:19], v[18:19], v[16:17]
	s_ashr_i32 s19, s18, 31
	v_mov_b64_e32 v[20:21], 0
	s_lshl_b64 s[0:1], s[18:19], 3
	v_mov_b32_e32 v16, 0
	s_add_nc_u64 s[0:1], s[16:17], s[0:1]
	s_mov_b64 s[20:21], 0xffffffff
	s_add_nc_u64 s[22:23], s[0:1], 32
	s_mov_b32 s1, 0
	s_mov_b32 s19, s14
	s_branch .LBB28_59
.LBB28_58:                              ;   in Loop: Header=BB28_59 Depth=1
	s_or_b32 exec_lo, exec_lo, s0
	s_delay_alu instid0(VALU_DEP_1)
	v_mul_u64_e32 v[24:25], s[24:25], v[22:23]
	s_load_b64 s[24:25], s[22:23], 0x40
	s_add_co_i32 s19, s19, -1
	s_wait_xcnt 0x0
	s_add_nc_u64 s[22:23], s[22:23], -8
	s_cmp_lg_u32 s19, 0
	s_delay_alu instid0(VALU_DEP_1) | instskip(SKIP_1) | instid1(VALU_DEP_1)
	v_sub_nc_u64_e32 v[18:19], v[18:19], v[24:25]
	s_wait_kmcnt 0x0
	v_mad_nc_u64_u32 v[20:21], v18, s24, v[20:21]
	s_delay_alu instid0(VALU_DEP_1) | instskip(NEXT) | instid1(VALU_DEP_1)
	v_mad_u32 v17, v19, s24, v21
	v_mad_u32 v21, v18, s25, v17
	v_mov_b64_e32 v[18:19], v[22:23]
	s_cbranch_scc0 .LBB28_63
.LBB28_59:                              ; =>This Inner Loop Header: Depth=1
	s_load_b64 s[24:25], s[22:23], 0x0
                                        ; implicit-def: $vgpr22_vgpr23
	s_mov_b32 s0, exec_lo
	s_wait_kmcnt 0x0
	s_delay_alu instid0(VALU_DEP_1) | instskip(NEXT) | instid1(VALU_DEP_1)
	v_or_b32_e32 v17, s25, v19
	v_cmpx_ne_u64_e32 0, v[16:17]
	s_xor_b32 s52, exec_lo, s0
	s_cbranch_execz .LBB28_61
; %bb.60:                               ;   in Loop: Header=BB28_59 Depth=1
	s_ashr_i32 s26, s25, 31
	v_dual_mov_b32 v27, v16 :: v_dual_ashrrev_i32 v22, 31, v19
	s_mov_b32 s27, s26
	s_delay_alu instid0(SALU_CYCLE_1) | instskip(NEXT) | instid1(VALU_DEP_1)
	s_add_nc_u64 s[28:29], s[24:25], s[26:27]
	v_mov_b32_e32 v23, v22
	s_xor_b64 s[28:29], s[28:29], s[26:27]
	s_delay_alu instid0(SALU_CYCLE_1)
	s_cvt_f32_u32 s0, s28
	s_cvt_f32_u32 s27, s29
	s_sub_nc_u64 s[56:57], 0, s[28:29]
	v_add_nc_u64_e32 v[24:25], v[18:19], v[22:23]
	v_mov_b32_e32 v31, v16
	s_fmamk_f32 s0, s27, 0x4f800000, s0
	s_delay_alu instid0(SALU_CYCLE_3) | instskip(NEXT) | instid1(VALU_DEP_2)
	v_s_rcp_f32 s0, s0
	v_xor_b32_e32 v26, v24, v22
	s_delay_alu instid0(VALU_DEP_3) | instskip(SKIP_1) | instid1(TRANS32_DEP_1)
	v_dual_mov_b32 v35, v16 :: v_dual_bitop2_b32 v30, v25, v22 bitop3:0x14
	v_xor_b32_e32 v22, s26, v22
	s_mul_f32 s0, s0, 0x5f7ffffc
	s_delay_alu instid0(SALU_CYCLE_3) | instskip(NEXT) | instid1(SALU_CYCLE_3)
	s_mul_f32 s27, s0, 0x2f800000
	s_trunc_f32 s27, s27
	s_delay_alu instid0(SALU_CYCLE_3) | instskip(SKIP_1) | instid1(SALU_CYCLE_2)
	s_fmamk_f32 s0, s27, 0xcf800000, s0
	s_cvt_u32_f32 s55, s27
	s_cvt_u32_f32 s54, s0
	s_delay_alu instid0(SALU_CYCLE_3) | instskip(NEXT) | instid1(SALU_CYCLE_1)
	s_mul_u64 s[58:59], s[56:57], s[54:55]
	s_mul_hi_u32 s61, s54, s59
	s_mul_i32 s60, s54, s59
	s_mul_hi_u32 s0, s54, s58
	s_mul_i32 s53, s55, s58
	s_add_nc_u64 s[60:61], s[0:1], s[60:61]
	s_mul_hi_u32 s27, s55, s58
	s_mul_hi_u32 s62, s55, s59
	s_add_co_u32 s0, s60, s53
	s_add_co_ci_u32 s0, s61, s27
	s_mul_i32 s58, s55, s59
	s_add_co_ci_u32 s59, s62, 0
	s_delay_alu instid0(SALU_CYCLE_1) | instskip(NEXT) | instid1(SALU_CYCLE_1)
	s_add_nc_u64 s[58:59], s[0:1], s[58:59]
	s_add_co_u32 s54, s54, s58
	s_cselect_b32 s0, -1, 0
	s_delay_alu instid0(SALU_CYCLE_1) | instskip(SKIP_1) | instid1(SALU_CYCLE_1)
	s_cmp_lg_u32 s0, 0
	s_add_co_ci_u32 s55, s55, s59
	s_mul_u64 s[56:57], s[56:57], s[54:55]
	s_delay_alu instid0(SALU_CYCLE_1)
	s_mul_hi_u32 s59, s54, s57
	s_mul_i32 s58, s54, s57
	s_mul_hi_u32 s0, s54, s56
	s_mul_i32 s53, s55, s56
	s_add_nc_u64 s[58:59], s[0:1], s[58:59]
	s_mul_hi_u32 s27, s55, s56
	s_mul_hi_u32 s60, s55, s57
	s_add_co_u32 s0, s58, s53
	s_add_co_ci_u32 s0, s59, s27
	s_mul_i32 s56, s55, s57
	s_add_co_ci_u32 s57, s60, 0
	s_delay_alu instid0(SALU_CYCLE_1) | instskip(NEXT) | instid1(SALU_CYCLE_1)
	s_add_nc_u64 s[56:57], s[0:1], s[56:57]
	s_add_co_u32 s54, s54, s56
	s_cselect_b32 s0, -1, 0
	v_mul_hi_u32 v34, v26, s54
	s_cmp_lg_u32 s0, 0
	s_add_co_ci_u32 s0, s55, s57
	s_and_b64 s[56:57], s[54:55], s[20:21]
	v_mul_u64_e32 v[28:29], s[0:1], v[26:27]
	v_mul_u64_e32 v[24:25], s[56:57], v[30:31]
	;; [unrolled: 1-line block ×3, first 2 shown]
	s_delay_alu instid0(VALU_DEP_3) | instskip(NEXT) | instid1(VALU_DEP_1)
	v_add_nc_u64_e32 v[28:29], v[34:35], v[28:29]
	v_add_co_u32 v17, vcc_lo, v28, v24
	s_delay_alu instid0(VALU_DEP_2) | instskip(NEXT) | instid1(VALU_DEP_4)
	v_add_co_ci_u32_e32 v34, vcc_lo, v29, v25, vcc_lo
	v_add_co_ci_u32_e32 v33, vcc_lo, 0, v33, vcc_lo
	s_delay_alu instid0(VALU_DEP_1) | instskip(NEXT) | instid1(VALU_DEP_1)
	v_add_nc_u64_e32 v[24:25], v[34:35], v[32:33]
	v_mul_u64_e32 v[28:29], s[28:29], v[24:25]
	s_delay_alu instid0(VALU_DEP_1) | instskip(NEXT) | instid1(VALU_DEP_2)
	v_sub_nc_u32_e32 v17, v30, v29
	v_sub_co_u32 v23, vcc_lo, v26, v28
	s_delay_alu instid0(VALU_DEP_1) | instskip(NEXT) | instid1(VALU_DEP_3)
	v_sub_co_ci_u32_e64 v30, null, v30, v29, vcc_lo
	v_subrev_co_ci_u32_e64 v17, null, s29, v17, vcc_lo
	s_delay_alu instid0(VALU_DEP_3) | instskip(SKIP_1) | instid1(VALU_DEP_3)
	v_sub_co_u32 v26, s0, v23, s28
	v_add_nc_u64_e32 v[28:29], 1, v[24:25]
	v_subrev_co_ci_u32_e64 v17, null, 0, v17, s0
	s_delay_alu instid0(VALU_DEP_3) | instskip(SKIP_1) | instid1(VALU_DEP_3)
	v_cmp_le_u32_e32 vcc_lo, s28, v26
	v_cndmask_b32_e64 v26, 0, -1, vcc_lo
	v_cmp_le_u32_e32 vcc_lo, s29, v17
	v_cndmask_b32_e64 v27, 0, -1, vcc_lo
	;; [unrolled: 2-line block ×4, first 2 shown]
	v_cmp_eq_u32_e32 vcc_lo, s29, v17
	v_cndmask_b32_e32 v17, v27, v26, vcc_lo
	v_cmp_eq_u32_e32 vcc_lo, s29, v30
	v_add_nc_u64_e32 v[26:27], 2, v[24:25]
	v_cndmask_b32_e32 v23, v31, v23, vcc_lo
	s_delay_alu instid0(VALU_DEP_4) | instskip(NEXT) | instid1(VALU_DEP_2)
	v_cmp_ne_u32_e32 vcc_lo, 0, v17
	v_cmp_ne_u32_e64 s0, 0, v23
	s_delay_alu instid0(VALU_DEP_4) | instskip(NEXT) | instid1(VALU_DEP_1)
	v_dual_cndmask_b32 v17, v29, v27, vcc_lo :: v_dual_cndmask_b32 v23, v28, v26, vcc_lo
	v_dual_cndmask_b32 v24, v24, v23, s0 :: v_dual_mov_b32 v23, v22
	s_delay_alu instid0(VALU_DEP_1) | instskip(NEXT) | instid1(VALU_DEP_1)
	v_dual_cndmask_b32 v17, v25, v17, s0 :: v_dual_bitop2_b32 v24, v24, v22 bitop3:0x14
	v_xor_b32_e32 v25, v17, v22
	s_delay_alu instid0(VALU_DEP_1)
	v_sub_nc_u64_e32 v[22:23], v[24:25], v[22:23]
.LBB28_61:                              ;   in Loop: Header=BB28_59 Depth=1
	s_and_not1_saveexec_b32 s0, s52
	s_cbranch_execz .LBB28_58
; %bb.62:                               ;   in Loop: Header=BB28_59 Depth=1
	v_cvt_f32_u32_e32 v17, s24
	s_sub_co_i32 s26, 0, s24
	s_delay_alu instid0(VALU_DEP_1) | instskip(SKIP_1) | instid1(TRANS32_DEP_1)
	v_rcp_iflag_f32_e32 v17, v17
	v_nop
	v_mul_f32_e32 v17, 0x4f7ffffe, v17
	s_delay_alu instid0(VALU_DEP_1) | instskip(NEXT) | instid1(VALU_DEP_1)
	v_cvt_u32_f32_e32 v17, v17
	v_mul_lo_u32 v22, s26, v17
	s_delay_alu instid0(VALU_DEP_1) | instskip(NEXT) | instid1(VALU_DEP_1)
	v_mul_hi_u32 v22, v17, v22
	v_add_nc_u32_e32 v17, v17, v22
	s_delay_alu instid0(VALU_DEP_1) | instskip(NEXT) | instid1(VALU_DEP_1)
	v_mul_hi_u32 v17, v18, v17
	v_mul_lo_u32 v22, v17, s24
	s_delay_alu instid0(VALU_DEP_1) | instskip(NEXT) | instid1(VALU_DEP_1)
	v_dual_add_nc_u32 v23, 1, v17 :: v_dual_sub_nc_u32 v22, v18, v22
	v_subrev_nc_u32_e32 v24, s24, v22
	v_cmp_le_u32_e32 vcc_lo, s24, v22
	s_delay_alu instid0(VALU_DEP_2) | instskip(NEXT) | instid1(VALU_DEP_1)
	v_dual_cndmask_b32 v22, v22, v24 :: v_dual_cndmask_b32 v17, v17, v23
	v_cmp_le_u32_e32 vcc_lo, s24, v22
	s_delay_alu instid0(VALU_DEP_2) | instskip(NEXT) | instid1(VALU_DEP_1)
	v_add_nc_u32_e32 v23, 1, v17
	v_dual_cndmask_b32 v22, v17, v23 :: v_dual_mov_b32 v23, v16
	s_branch .LBB28_58
.LBB28_63:
	s_or_b32 exec_lo, exec_lo, s51
	s_mov_b32 s1, -1
	s_mov_b32 s20, 0
	s_mov_b32 s0, exec_lo
	v_cmpx_gt_i64_e64 v[14:15], v[12:13]
	s_cbranch_execz .LBB28_69
; %bb.64:
	s_delay_alu instid0(VALU_DEP_2) | instskip(SKIP_2) | instid1(VALU_DEP_1)
	v_lshlrev_b64_e32 v[16:17], 3, v[20:21]
	s_mov_b32 s1, 0
	s_xor_b32 s20, s15, -1
                                        ; implicit-def: $sgpr19
                                        ; implicit-def: $sgpr22
                                        ; implicit-def: $sgpr21
	v_lshl_add_u64 v[12:13], v[12:13], 3, v[16:17]
	v_add_nc_u64_e32 v[16:17], s[6:7], v[16:17]
	s_delay_alu instid0(VALU_DEP_2) | instskip(NEXT) | instid1(VALU_DEP_2)
	v_add_nc_u64_e32 v[12:13], s[6:7], v[12:13]
	v_lshl_add_u64 v[14:15], v[14:15], 3, v[16:17]
	s_delay_alu instid0(VALU_DEP_2)
	v_add_nc_u64_e32 v[12:13], 8, v[12:13]
	s_branch .LBB28_66
.LBB28_65:                              ;   in Loop: Header=BB28_66 Depth=1
	s_or_b32 exec_lo, exec_lo, s23
	s_delay_alu instid0(SALU_CYCLE_1) | instskip(NEXT) | instid1(SALU_CYCLE_1)
	s_and_b32 s23, exec_lo, s22
	s_or_b32 s1, s23, s1
	s_and_not1_b32 s19, s19, exec_lo
	s_and_b32 s23, s21, exec_lo
	s_delay_alu instid0(SALU_CYCLE_1)
	s_or_b32 s19, s19, s23
	s_and_not1_b32 exec_lo, exec_lo, s1
	s_cbranch_execz .LBB28_68
.LBB28_66:                              ; =>This Inner Loop Header: Depth=1
	s_or_b32 s21, s21, exec_lo
	s_or_b32 s22, s22, exec_lo
	s_mov_b32 s23, exec_lo
	s_delay_alu instid0(VALU_DEP_1)
	v_cmpx_lt_u64_e64 v[12:13], v[14:15]
	s_cbranch_execz .LBB28_65
; %bb.67:                               ;   in Loop: Header=BB28_66 Depth=1
	s_wait_loadcnt 0x0
	global_load_b128 v[16:19], v[12:13], off offset:-8
	s_wait_xcnt 0x0
	v_add_nc_u64_e32 v[12:13], 8, v[12:13]
	s_and_not1_b32 s22, s22, exec_lo
	s_and_not1_b32 s21, s21, exec_lo
	s_wait_loadcnt 0x0
	v_cmp_ge_i64_e32 vcc_lo, v[16:17], v[18:19]
	s_or_b32 s24, s20, vcc_lo
	s_delay_alu instid0(SALU_CYCLE_1) | instskip(NEXT) | instid1(SALU_CYCLE_1)
	s_and_b32 s24, s24, exec_lo
	s_or_b32 s22, s22, s24
	s_branch .LBB28_65
.LBB28_68:
	s_or_b32 exec_lo, exec_lo, s1
	s_delay_alu instid0(SALU_CYCLE_1)
	s_mov_b32 s20, exec_lo
	s_or_not1_b32 s1, s19, exec_lo
.LBB28_69:
	s_or_b32 exec_lo, exec_lo, s0
	s_delay_alu instid0(SALU_CYCLE_1)
	s_and_b32 s0, s20, exec_lo
	s_xor_b32 s19, exec_lo, -1
	s_and_b32 s1, s1, exec_lo
.LBB28_70:
	s_or_b32 exec_lo, exec_lo, s50
	s_delay_alu instid0(SALU_CYCLE_1)
	s_and_not1_b32 s20, s42, exec_lo
	s_and_b32 s19, s19, exec_lo
	s_and_b32 s21, s0, exec_lo
	s_or_b32 s20, s20, s19
	s_xor_b32 s0, exec_lo, -1
	s_and_b32 s19, s1, exec_lo
.LBB28_71:
	s_or_b32 exec_lo, exec_lo, s49
	s_delay_alu instid0(SALU_CYCLE_1)
	s_and_b32 s1, s21, exec_lo
	s_and_not1_b32 s21, s42, exec_lo
	s_and_b32 s20, s20, exec_lo
	s_and_not1_b32 s22, s43, exec_lo
	s_and_b32 s0, s0, exec_lo
	s_or_b32 s20, s21, s20
	s_or_b32 s22, s22, s0
	s_xor_b32 s0, exec_lo, -1
	s_and_b32 s21, s19, exec_lo
.LBB28_72:
	s_or_b32 exec_lo, exec_lo, s48
	s_delay_alu instid0(SALU_CYCLE_1)
	s_and_not1_b32 s19, s42, exec_lo
	s_and_b32 s23, s20, exec_lo
	s_and_b32 s20, s1, exec_lo
	s_or_b32 s1, s19, s23
	s_and_not1_b32 s19, s43, exec_lo
	s_and_b32 s22, s22, exec_lo
	s_and_not1_b32 s23, s41, exec_lo
	s_and_b32 s0, s0, exec_lo
	s_or_b32 s19, s19, s22
	s_or_b32 s0, s23, s0
	s_or_not1_b32 s22, s21, exec_lo
.LBB28_73:
	s_or_b32 exec_lo, exec_lo, s47
	s_mov_b32 s23, 0
	s_and_saveexec_b32 s21, s22
	s_cbranch_execz .LBB28_77
; %bb.74:
	v_or_b32_e32 v12, 0x300, v0
	s_mov_b32 s22, 0
	s_mov_b32 s23, -1
	s_mov_b32 s24, s0
	s_mov_b32 s25, exec_lo
	v_cmpx_gt_i32_e64 s30, v12
	s_xor_b32 s25, exec_lo, s25
	s_cbranch_execz .LBB28_76
; %bb.75:
	s_wait_loadcnt 0x3
	v_cmp_ne_u64_e32 vcc_lo, s[8:9], v[10:11]
	s_xor_b32 s8, s36, -1
	s_and_not1_b32 s9, s0, exec_lo
	s_mov_b32 s22, exec_lo
	s_xor_b32 s23, exec_lo, -1
	s_or_b32 s8, s8, vcc_lo
	s_delay_alu instid0(SALU_CYCLE_1) | instskip(NEXT) | instid1(SALU_CYCLE_1)
	s_and_b32 s8, s8, exec_lo
	s_or_b32 s24, s9, s8
.LBB28_76:
	s_or_b32 exec_lo, exec_lo, s25
	s_delay_alu instid0(SALU_CYCLE_1)
	s_and_not1_b32 s0, s0, exec_lo
	s_and_b32 s8, s24, exec_lo
	s_and_b32 s23, s23, exec_lo
	s_and_not1_b32 s20, s20, exec_lo
	s_and_b32 s46, s22, exec_lo
	s_or_b32 s0, s0, s8
.LBB28_77:
	s_or_b32 exec_lo, exec_lo, s21
	s_delay_alu instid0(SALU_CYCLE_1)
	s_and_not1_b32 s8, s44, exec_lo
	s_and_b32 s9, s20, exec_lo
	s_and_b32 s1, s1, exec_lo
	s_or_b32 s44, s8, s9
	s_and_not1_b32 s8, s42, exec_lo
	s_and_not1_b32 s9, s43, exec_lo
	s_and_b32 s19, s19, exec_lo
	s_or_b32 s42, s8, s1
	s_and_not1_b32 s1, s41, exec_lo
	s_and_b32 s0, s0, exec_lo
	s_and_b32 s20, s23, exec_lo
	s_or_b32 s43, s9, s19
	s_and_b32 s46, s46, exec_lo
	s_or_b32 s41, s1, s0
.LBB28_78:
	s_or_b32 exec_lo, exec_lo, s45
	s_delay_alu instid0(SALU_CYCLE_1)
	s_and_not1_b32 s0, s35, exec_lo
	s_and_b32 s1, s44, exec_lo
	s_and_not1_b32 s8, s38, exec_lo
	s_or_b32 s35, s0, s1
	s_and_not1_b32 s0, s37, exec_lo
	s_and_b32 s1, s42, exec_lo
	s_and_b32 s9, s43, exec_lo
	s_or_b32 s37, s0, s1
	s_and_not1_b32 s0, s39, exec_lo
	s_and_b32 s1, s41, exec_lo
	s_and_b32 s20, s20, exec_lo
	s_or_b32 s38, s8, s9
	s_and_b32 s41, s46, exec_lo
	s_or_b32 s39, s0, s1
.LBB28_79:
	s_or_b32 exec_lo, exec_lo, s40
	s_mov_b32 s0, 0
	s_mov_b32 s21, 0
	s_and_saveexec_b32 s1, s39
	s_cbranch_execnz .LBB28_115
; %bb.80:
	s_or_b32 exec_lo, exec_lo, s1
	s_and_saveexec_b32 s1, s41
	s_delay_alu instid0(SALU_CYCLE_1)
	s_xor_b32 s1, exec_lo, s1
	s_cbranch_execnz .LBB28_116
.LBB28_81:
	s_or_b32 exec_lo, exec_lo, s1
	s_and_saveexec_b32 s1, s38
	s_cbranch_execnz .LBB28_117
.LBB28_82:
	s_or_b32 exec_lo, exec_lo, s1
	s_mov_b32 s1, 0
	s_and_saveexec_b32 s8, s0
	s_delay_alu instid0(SALU_CYCLE_1)
	s_xor_b32 s8, exec_lo, s8
	s_cbranch_execnz .LBB28_89
; %bb.83:
	s_or_b32 exec_lo, exec_lo, s8
	s_and_saveexec_b32 s0, s37
	s_cbranch_execnz .LBB28_90
.LBB28_84:
	s_or_b32 exec_lo, exec_lo, s0
	s_and_saveexec_b32 s22, s1
	s_cbranch_execnz .LBB28_91
.LBB28_85:
	s_or_b32 exec_lo, exec_lo, s22
	s_and_saveexec_b32 s0, s35
	s_cbranch_execnz .LBB28_105
.LBB28_86:
	s_or_b32 exec_lo, exec_lo, s0
	s_and_saveexec_b32 s0, s21
	s_delay_alu instid0(SALU_CYCLE_1)
	s_xor_b32 s0, exec_lo, s0
	s_cbranch_execnz .LBB28_106
.LBB28_87:
	s_or_b32 exec_lo, exec_lo, s0
	s_and_saveexec_b32 s0, s20
	s_delay_alu instid0(SALU_CYCLE_1)
	s_xor_b32 s0, exec_lo, s0
	s_cbranch_execnz .LBB28_107
.LBB28_88:
	s_endpgm
.LBB28_89:
	s_wait_loadcnt 0x1
	v_sub_nc_u64_e32 v[12:13], v[4:5], v[2:3]
	s_and_not1_b32 s9, s37, exec_lo
	s_mov_b32 s1, exec_lo
	s_delay_alu instid0(VALU_DEP_1) | instskip(SKIP_2) | instid1(SALU_CYCLE_1)
	v_cmp_le_i64_e32 vcc_lo, v[10:11], v[12:13]
	v_cmp_ge_i64_e64 s0, s[10:11], v[12:13]
	s_and_b32 s0, vcc_lo, s0
	s_and_b32 s0, s33, s0
	s_delay_alu instid0(SALU_CYCLE_1) | instskip(NEXT) | instid1(SALU_CYCLE_1)
	s_xor_b32 s0, s0, -1
	s_and_b32 s0, s0, exec_lo
	s_delay_alu instid0(SALU_CYCLE_1)
	s_or_b32 s37, s9, s0
	s_or_b32 exec_lo, exec_lo, s8
	s_and_saveexec_b32 s0, s37
	s_cbranch_execz .LBB28_84
.LBB28_90:
	s_or_b32 s21, s21, exec_lo
	s_and_not1_b32 s1, s1, exec_lo
	s_trap 2
	s_or_b32 exec_lo, exec_lo, s0
	s_and_saveexec_b32 s22, s1
	s_cbranch_execz .LBB28_85
.LBB28_91:
	s_wait_loadcnt 0x2
	v_cmp_lt_i64_e32 vcc_lo, 0, v[6:7]
	v_mov_b64_e32 v[10:11], 0
	s_and_b32 s0, vcc_lo, s31
	s_delay_alu instid0(SALU_CYCLE_1)
	s_and_saveexec_b32 s23, s0
	s_cbranch_execz .LBB28_98
; %bb.92:
	s_wait_loadcnt 0x0
	v_mul_u64_e32 v[8:9], v[8:9], v[6:7]
	s_ashr_i32 s19, s18, 31
	v_mov_b64_e32 v[10:11], 0
	s_lshl_b64 s[0:1], s[18:19], 3
	v_mov_b32_e32 v6, 0
	s_add_nc_u64 s[0:1], s[16:17], s[0:1]
	s_mov_b64 s[8:9], 0xffffffff
	s_add_nc_u64 s[10:11], s[0:1], 32
	s_mov_b32 s1, 0
	s_branch .LBB28_94
.LBB28_93:                              ;   in Loop: Header=BB28_94 Depth=1
	s_or_b32 exec_lo, exec_lo, s0
	s_delay_alu instid0(VALU_DEP_1)
	v_mul_u64_e32 v[14:15], s[12:13], v[12:13]
	s_load_b64 s[12:13], s[10:11], 0x40
	s_add_co_i32 s14, s14, -1
	s_wait_xcnt 0x0
	s_add_nc_u64 s[10:11], s[10:11], -8
	s_cmp_lg_u32 s14, 0
	s_delay_alu instid0(VALU_DEP_1) | instskip(SKIP_1) | instid1(VALU_DEP_1)
	v_sub_nc_u64_e32 v[8:9], v[8:9], v[14:15]
	s_wait_kmcnt 0x0
	v_mad_nc_u64_u32 v[10:11], v8, s12, v[10:11]
	s_delay_alu instid0(VALU_DEP_1) | instskip(NEXT) | instid1(VALU_DEP_1)
	v_mad_u32 v7, v9, s12, v11
	v_mad_u32 v11, v8, s13, v7
	v_mov_b64_e32 v[8:9], v[12:13]
	s_cbranch_scc0 .LBB28_98
.LBB28_94:                              ; =>This Inner Loop Header: Depth=1
	s_load_b64 s[12:13], s[10:11], 0x0
                                        ; implicit-def: $vgpr12_vgpr13
	s_mov_b32 s0, exec_lo
	s_wait_kmcnt 0x0
	s_delay_alu instid0(VALU_DEP_1) | instskip(NEXT) | instid1(VALU_DEP_1)
	v_or_b32_e32 v7, s13, v9
	v_cmpx_ne_u64_e32 0, v[6:7]
	s_xor_b32 s24, exec_lo, s0
	s_cbranch_execz .LBB28_96
; %bb.95:                               ;   in Loop: Header=BB28_94 Depth=1
	s_ashr_i32 s16, s13, 31
	v_dual_mov_b32 v17, v6 :: v_dual_ashrrev_i32 v12, 31, v9
	s_mov_b32 s17, s16
	s_delay_alu instid0(SALU_CYCLE_1) | instskip(NEXT) | instid1(VALU_DEP_1)
	s_add_nc_u64 s[18:19], s[12:13], s[16:17]
	v_mov_b32_e32 v13, v12
	s_xor_b64 s[18:19], s[18:19], s[16:17]
	s_delay_alu instid0(SALU_CYCLE_1)
	s_cvt_f32_u32 s0, s18
	s_cvt_f32_u32 s17, s19
	s_sub_nc_u64 s[28:29], 0, s[18:19]
	v_add_nc_u64_e32 v[14:15], v[8:9], v[12:13]
	v_mov_b32_e32 v21, v6
	s_fmamk_f32 s0, s17, 0x4f800000, s0
	s_delay_alu instid0(SALU_CYCLE_3) | instskip(NEXT) | instid1(VALU_DEP_2)
	v_s_rcp_f32 s0, s0
	v_xor_b32_e32 v16, v14, v12
	s_delay_alu instid0(VALU_DEP_3) | instskip(SKIP_1) | instid1(TRANS32_DEP_1)
	v_dual_mov_b32 v25, v6 :: v_dual_bitop2_b32 v20, v15, v12 bitop3:0x14
	v_xor_b32_e32 v12, s16, v12
	s_mul_f32 s0, s0, 0x5f7ffffc
	s_delay_alu instid0(SALU_CYCLE_3) | instskip(NEXT) | instid1(SALU_CYCLE_3)
	s_mul_f32 s17, s0, 0x2f800000
	s_trunc_f32 s17, s17
	s_delay_alu instid0(SALU_CYCLE_3) | instskip(SKIP_1) | instid1(SALU_CYCLE_2)
	s_fmamk_f32 s0, s17, 0xcf800000, s0
	s_cvt_u32_f32 s27, s17
	s_cvt_u32_f32 s26, s0
	s_delay_alu instid0(SALU_CYCLE_3) | instskip(NEXT) | instid1(SALU_CYCLE_1)
	s_mul_u64 s[36:37], s[28:29], s[26:27]
	s_mul_hi_u32 s39, s26, s37
	s_mul_i32 s38, s26, s37
	s_mul_hi_u32 s0, s26, s36
	s_mul_i32 s25, s27, s36
	s_add_nc_u64 s[38:39], s[0:1], s[38:39]
	s_mul_hi_u32 s17, s27, s36
	s_mul_hi_u32 s31, s27, s37
	s_add_co_u32 s0, s38, s25
	s_add_co_ci_u32 s0, s39, s17
	s_mul_i32 s36, s27, s37
	s_add_co_ci_u32 s37, s31, 0
	s_delay_alu instid0(SALU_CYCLE_1) | instskip(NEXT) | instid1(SALU_CYCLE_1)
	s_add_nc_u64 s[36:37], s[0:1], s[36:37]
	s_add_co_u32 s26, s26, s36
	s_cselect_b32 s0, -1, 0
	s_delay_alu instid0(SALU_CYCLE_1) | instskip(SKIP_1) | instid1(SALU_CYCLE_1)
	s_cmp_lg_u32 s0, 0
	s_add_co_ci_u32 s27, s27, s37
	s_mul_u64 s[28:29], s[28:29], s[26:27]
	s_delay_alu instid0(SALU_CYCLE_1)
	s_mul_hi_u32 s37, s26, s29
	s_mul_i32 s36, s26, s29
	s_mul_hi_u32 s0, s26, s28
	s_mul_i32 s25, s27, s28
	s_add_nc_u64 s[36:37], s[0:1], s[36:37]
	s_mul_hi_u32 s17, s27, s28
	s_mul_hi_u32 s31, s27, s29
	s_add_co_u32 s0, s36, s25
	s_add_co_ci_u32 s0, s37, s17
	s_mul_i32 s28, s27, s29
	s_add_co_ci_u32 s29, s31, 0
	s_delay_alu instid0(SALU_CYCLE_1) | instskip(NEXT) | instid1(SALU_CYCLE_1)
	s_add_nc_u64 s[28:29], s[0:1], s[28:29]
	s_add_co_u32 s26, s26, s28
	s_cselect_b32 s0, -1, 0
	v_mul_hi_u32 v24, v16, s26
	s_cmp_lg_u32 s0, 0
	s_add_co_ci_u32 s0, s27, s29
	s_and_b64 s[28:29], s[26:27], s[8:9]
	v_mul_u64_e32 v[18:19], s[0:1], v[16:17]
	v_mul_u64_e32 v[14:15], s[28:29], v[20:21]
	;; [unrolled: 1-line block ×3, first 2 shown]
	s_delay_alu instid0(VALU_DEP_3) | instskip(NEXT) | instid1(VALU_DEP_1)
	v_add_nc_u64_e32 v[18:19], v[24:25], v[18:19]
	v_add_co_u32 v7, vcc_lo, v18, v14
	s_delay_alu instid0(VALU_DEP_2) | instskip(NEXT) | instid1(VALU_DEP_4)
	v_add_co_ci_u32_e32 v24, vcc_lo, v19, v15, vcc_lo
	v_add_co_ci_u32_e32 v23, vcc_lo, 0, v23, vcc_lo
	s_delay_alu instid0(VALU_DEP_1) | instskip(NEXT) | instid1(VALU_DEP_1)
	v_add_nc_u64_e32 v[14:15], v[24:25], v[22:23]
	v_mul_u64_e32 v[18:19], s[18:19], v[14:15]
	s_delay_alu instid0(VALU_DEP_1) | instskip(NEXT) | instid1(VALU_DEP_2)
	v_sub_nc_u32_e32 v7, v20, v19
	v_sub_co_u32 v13, vcc_lo, v16, v18
	s_delay_alu instid0(VALU_DEP_1) | instskip(NEXT) | instid1(VALU_DEP_3)
	v_sub_co_ci_u32_e64 v20, null, v20, v19, vcc_lo
	v_subrev_co_ci_u32_e64 v7, null, s19, v7, vcc_lo
	s_delay_alu instid0(VALU_DEP_3) | instskip(SKIP_1) | instid1(VALU_DEP_3)
	v_sub_co_u32 v16, s0, v13, s18
	v_add_nc_u64_e32 v[18:19], 1, v[14:15]
	v_subrev_co_ci_u32_e64 v7, null, 0, v7, s0
	s_delay_alu instid0(VALU_DEP_3) | instskip(SKIP_1) | instid1(VALU_DEP_3)
	v_cmp_le_u32_e32 vcc_lo, s18, v16
	v_cndmask_b32_e64 v16, 0, -1, vcc_lo
	v_cmp_le_u32_e32 vcc_lo, s19, v7
	v_cndmask_b32_e64 v17, 0, -1, vcc_lo
	;; [unrolled: 2-line block ×4, first 2 shown]
	v_cmp_eq_u32_e32 vcc_lo, s19, v7
	v_cndmask_b32_e32 v7, v17, v16, vcc_lo
	v_cmp_eq_u32_e32 vcc_lo, s19, v20
	v_add_nc_u64_e32 v[16:17], 2, v[14:15]
	v_cndmask_b32_e32 v13, v21, v13, vcc_lo
	s_delay_alu instid0(VALU_DEP_4) | instskip(NEXT) | instid1(VALU_DEP_2)
	v_cmp_ne_u32_e32 vcc_lo, 0, v7
	v_cmp_ne_u32_e64 s0, 0, v13
	s_delay_alu instid0(VALU_DEP_4) | instskip(NEXT) | instid1(VALU_DEP_1)
	v_dual_cndmask_b32 v7, v19, v17, vcc_lo :: v_dual_cndmask_b32 v13, v18, v16, vcc_lo
	v_dual_cndmask_b32 v14, v14, v13, s0 :: v_dual_mov_b32 v13, v12
	s_delay_alu instid0(VALU_DEP_1) | instskip(NEXT) | instid1(VALU_DEP_1)
	v_dual_cndmask_b32 v7, v15, v7, s0 :: v_dual_bitop2_b32 v14, v14, v12 bitop3:0x14
	v_xor_b32_e32 v15, v7, v12
	s_delay_alu instid0(VALU_DEP_1)
	v_sub_nc_u64_e32 v[12:13], v[14:15], v[12:13]
.LBB28_96:                              ;   in Loop: Header=BB28_94 Depth=1
	s_and_not1_saveexec_b32 s0, s24
	s_cbranch_execz .LBB28_93
; %bb.97:                               ;   in Loop: Header=BB28_94 Depth=1
	v_cvt_f32_u32_e32 v7, s12
	s_sub_co_i32 s16, 0, s12
	s_delay_alu instid0(VALU_DEP_1) | instskip(SKIP_1) | instid1(TRANS32_DEP_1)
	v_rcp_iflag_f32_e32 v7, v7
	v_nop
	v_mul_f32_e32 v7, 0x4f7ffffe, v7
	s_delay_alu instid0(VALU_DEP_1) | instskip(NEXT) | instid1(VALU_DEP_1)
	v_cvt_u32_f32_e32 v7, v7
	v_mul_lo_u32 v12, s16, v7
	s_delay_alu instid0(VALU_DEP_1) | instskip(NEXT) | instid1(VALU_DEP_1)
	v_mul_hi_u32 v12, v7, v12
	v_add_nc_u32_e32 v7, v7, v12
	s_delay_alu instid0(VALU_DEP_1) | instskip(NEXT) | instid1(VALU_DEP_1)
	v_mul_hi_u32 v7, v8, v7
	v_mul_lo_u32 v12, v7, s12
	s_delay_alu instid0(VALU_DEP_1) | instskip(NEXT) | instid1(VALU_DEP_1)
	v_dual_add_nc_u32 v13, 1, v7 :: v_dual_sub_nc_u32 v12, v8, v12
	v_subrev_nc_u32_e32 v14, s12, v12
	v_cmp_le_u32_e32 vcc_lo, s12, v12
	s_delay_alu instid0(VALU_DEP_2) | instskip(NEXT) | instid1(VALU_DEP_1)
	v_dual_cndmask_b32 v12, v12, v14 :: v_dual_cndmask_b32 v7, v7, v13
	v_cmp_le_u32_e32 vcc_lo, s12, v12
	s_delay_alu instid0(VALU_DEP_2) | instskip(NEXT) | instid1(VALU_DEP_1)
	v_add_nc_u32_e32 v13, 1, v7
	v_dual_cndmask_b32 v12, v7, v13 :: v_dual_mov_b32 v13, v6
	s_branch .LBB28_93
.LBB28_98:
	s_or_b32 exec_lo, exec_lo, s23
	s_mov_b32 s1, s35
	s_mov_b32 s0, exec_lo
	s_wait_loadcnt 0x1
	v_cmpx_gt_i64_e64 v[4:5], v[2:3]
	s_cbranch_execz .LBB28_104
; %bb.99:
	s_delay_alu instid0(VALU_DEP_2) | instskip(SKIP_1) | instid1(VALU_DEP_1)
	v_lshlrev_b64_e32 v[6:7], 3, v[10:11]
	s_mov_b32 s1, 0
                                        ; implicit-def: $sgpr9
                                        ; implicit-def: $sgpr8
	v_lshl_add_u64 v[2:3], v[2:3], 3, v[6:7]
	v_add_nc_u64_e32 v[6:7], s[6:7], v[6:7]
	s_delay_alu instid0(VALU_DEP_2) | instskip(SKIP_1) | instid1(VALU_DEP_2)
	v_add_nc_u64_e32 v[2:3], s[6:7], v[2:3]
	s_xor_b32 s7, s15, -1
                                        ; implicit-def: $sgpr6
	v_lshl_add_u64 v[4:5], v[4:5], 3, v[6:7]
	s_delay_alu instid0(VALU_DEP_2)
	v_add_nc_u64_e32 v[2:3], 8, v[2:3]
	s_branch .LBB28_101
.LBB28_100:                             ;   in Loop: Header=BB28_101 Depth=1
	s_or_b32 exec_lo, exec_lo, s10
	s_xor_b32 s10, s8, -1
	s_and_b32 s11, exec_lo, s9
	s_delay_alu instid0(SALU_CYCLE_1) | instskip(SKIP_2) | instid1(SALU_CYCLE_1)
	s_or_b32 s1, s11, s1
	s_and_not1_b32 s6, s6, exec_lo
	s_and_b32 s10, s10, exec_lo
	s_or_b32 s6, s6, s10
	s_and_not1_b32 exec_lo, exec_lo, s1
	s_cbranch_execz .LBB28_103
.LBB28_101:                             ; =>This Inner Loop Header: Depth=1
	s_or_b32 s8, s8, exec_lo
	s_or_b32 s9, s9, exec_lo
	s_mov_b32 s10, exec_lo
	s_delay_alu instid0(VALU_DEP_1)
	v_cmpx_lt_u64_e64 v[2:3], v[4:5]
	s_cbranch_execz .LBB28_100
; %bb.102:                              ;   in Loop: Header=BB28_101 Depth=1
	s_wait_loadcnt 0x0
	global_load_b128 v[6:9], v[2:3], off offset:-8
	s_wait_xcnt 0x0
	v_add_nc_u64_e32 v[2:3], 8, v[2:3]
	s_and_not1_b32 s9, s9, exec_lo
	s_and_not1_b32 s8, s8, exec_lo
	s_wait_loadcnt 0x0
	v_cmp_ge_i64_e32 vcc_lo, v[6:7], v[8:9]
	s_or_b32 s11, s7, vcc_lo
	s_delay_alu instid0(SALU_CYCLE_1) | instskip(NEXT) | instid1(SALU_CYCLE_1)
	s_and_b32 s11, s11, exec_lo
	s_or_b32 s9, s9, s11
	s_branch .LBB28_100
.LBB28_103:
	s_or_b32 exec_lo, exec_lo, s1
	s_delay_alu instid0(SALU_CYCLE_1) | instskip(SKIP_1) | instid1(SALU_CYCLE_1)
	s_and_not1_b32 s1, s35, exec_lo
	s_and_b32 s6, s6, exec_lo
	s_or_b32 s1, s1, s6
.LBB28_104:
	s_or_b32 exec_lo, exec_lo, s0
	s_delay_alu instid0(SALU_CYCLE_1)
	s_and_not1_b32 s0, s35, exec_lo
	s_and_b32 s1, s1, exec_lo
	s_or_b32 s20, s20, exec_lo
	s_or_b32 s35, s0, s1
	s_or_b32 exec_lo, exec_lo, s22
	s_and_saveexec_b32 s0, s35
	s_cbranch_execz .LBB28_86
.LBB28_105:
	s_and_not1_b32 s20, s20, exec_lo
	s_or_b32 s21, s21, exec_lo
	s_trap 2
	s_or_b32 exec_lo, exec_lo, s0
	s_and_saveexec_b32 s0, s21
	s_delay_alu instid0(SALU_CYCLE_1)
	s_xor_b32 s0, exec_lo, s0
	s_cbranch_execz .LBB28_87
.LBB28_106:
	; divergent unreachable
	s_or_b32 exec_lo, exec_lo, s0
	s_and_saveexec_b32 s0, s20
	s_delay_alu instid0(SALU_CYCLE_1)
	s_xor_b32 s0, exec_lo, s0
	s_cbranch_execz .LBB28_88
.LBB28_107:
	s_and_saveexec_b32 s0, s2
	s_delay_alu instid0(SALU_CYCLE_1)
	s_xor_b32 s0, exec_lo, s0
	s_cbranch_execnz .LBB28_111
; %bb.108:
	s_or_b32 exec_lo, exec_lo, s0
	s_delay_alu instid0(SALU_CYCLE_1)
	s_mov_b32 s0, exec_lo
	v_cmpx_gt_i32_e64 s30, v0
	s_cbranch_execnz .LBB28_112
.LBB28_109:
	s_or_b32 exec_lo, exec_lo, s0
	s_delay_alu instid0(SALU_CYCLE_1)
	s_mov_b32 s0, exec_lo
	v_cmpx_gt_i32_e64 s30, v0
	s_cbranch_execnz .LBB28_113
.LBB28_110:
	s_or_b32 exec_lo, exec_lo, s0
	s_delay_alu instid0(SALU_CYCLE_1)
	s_mov_b32 s0, exec_lo
	v_cmpx_gt_i32_e64 s30, v0
	s_cbranch_execz .LBB28_88
	s_branch .LBB28_114
.LBB28_111:
	s_wait_loadcnt 0x4
	v_mov_b64_e32 v[2:3], 0
	s_wait_loadcnt 0x1
	v_dual_mov_b32 v0, v1 :: v_dual_bitop2_b32 v4, s3, v0 bitop3:0x54
	global_store_b64 v4, v[2:3], s[4:5] scale_offset
	s_wait_xcnt 0x0
	s_or_b32 exec_lo, exec_lo, s0
	s_delay_alu instid0(SALU_CYCLE_1)
	s_mov_b32 s0, exec_lo
	v_cmpx_gt_i32_e64 s30, v0
	s_cbranch_execz .LBB28_109
.LBB28_112:
	v_add_nc_u32_e32 v1, 0x100, v0
	s_wait_loadcnt 0x4
	v_mov_b64_e32 v[2:3], 0
	s_wait_loadcnt 0x1
	s_delay_alu instid0(VALU_DEP_2) | instskip(SKIP_3) | instid1(SALU_CYCLE_1)
	v_dual_add_nc_u32 v4, s3, v0 :: v_dual_mov_b32 v0, v1
	global_store_b64 v4, v[2:3], s[4:5] scale_offset
	s_wait_xcnt 0x0
	s_or_b32 exec_lo, exec_lo, s0
	s_mov_b32 s0, exec_lo
	v_cmpx_gt_i32_e64 s30, v0
	s_cbranch_execz .LBB28_110
.LBB28_113:
	v_add_nc_u32_e32 v1, 0x100, v0
	s_wait_loadcnt 0x4
	v_mov_b64_e32 v[2:3], 0
	s_wait_loadcnt 0x1
	s_delay_alu instid0(VALU_DEP_2) | instskip(SKIP_3) | instid1(SALU_CYCLE_1)
	v_dual_add_nc_u32 v4, s3, v0 :: v_dual_mov_b32 v0, v1
	global_store_b64 v4, v[2:3], s[4:5] scale_offset
	s_wait_xcnt 0x0
	s_or_b32 exec_lo, exec_lo, s0
	s_mov_b32 s0, exec_lo
	v_cmpx_gt_i32_e64 s30, v0
	s_cbranch_execz .LBB28_88
.LBB28_114:
	s_wait_loadcnt 0x4
	v_mov_b64_e32 v[2:3], 0
	v_add_nc_u32_e32 v0, s3, v0
	global_store_b64 v0, v[2:3], s[4:5] scale_offset
	s_endpgm
.LBB28_115:
	s_mov_b32 s21, exec_lo
	s_and_not1_b32 s41, s41, exec_lo
	s_trap 2
	s_or_b32 exec_lo, exec_lo, s1
	s_and_saveexec_b32 s1, s41
	s_delay_alu instid0(SALU_CYCLE_1)
	s_xor_b32 s1, exec_lo, s1
	s_cbranch_execz .LBB28_81
.LBB28_116:
	s_wait_loadcnt 0x2
	v_cmp_ne_u64_e32 vcc_lo, s[12:13], v[6:7]
	s_xor_b32 s8, s34, -1
	s_and_not1_b32 s9, s38, exec_lo
	s_mov_b32 s0, exec_lo
	s_or_b32 s8, s8, vcc_lo
	s_delay_alu instid0(SALU_CYCLE_1) | instskip(NEXT) | instid1(SALU_CYCLE_1)
	s_and_b32 s8, s8, exec_lo
	s_or_b32 s38, s9, s8
	s_or_b32 exec_lo, exec_lo, s1
	s_and_saveexec_b32 s1, s38
	s_cbranch_execz .LBB28_82
.LBB28_117:
	s_or_b32 s21, s21, exec_lo
	s_and_not1_b32 s0, s0, exec_lo
	s_trap 2
	s_branch .LBB28_82
	.section	.rodata,"a",@progbits
	.p2align	6, 0x0
	.amdhsa_kernel _ZN2at6native27unrolled_elementwise_kernelIZZZNS0_12_GLOBAL__N_142_validate_compressed_sparse_indices_kernelILNS2_8CDimNameE0ENS2_18CUDAKernelLauncherENS2_14EmptyVecKernelENS2_8DummyVecELm8EEEvRKNS_6TensorESA_lllENKUlvE1_clEvENKUlvE0_clEvEUllllllE_St5arrayIPcLm6EELi4E23TrivialOffsetCalculatorILi5EjESH_ILi1EjENS0_6memory15LoadWithoutCastENSK_16StoreWithoutCastEEEviT_T0_T2_T3_T4_T5_
		.amdhsa_group_segment_fixed_size 0
		.amdhsa_private_segment_fixed_size 0
		.amdhsa_kernarg_size 228
		.amdhsa_user_sgpr_count 2
		.amdhsa_user_sgpr_dispatch_ptr 0
		.amdhsa_user_sgpr_queue_ptr 0
		.amdhsa_user_sgpr_kernarg_segment_ptr 1
		.amdhsa_user_sgpr_dispatch_id 0
		.amdhsa_user_sgpr_kernarg_preload_length 0
		.amdhsa_user_sgpr_kernarg_preload_offset 0
		.amdhsa_user_sgpr_private_segment_size 0
		.amdhsa_wavefront_size32 1
		.amdhsa_uses_dynamic_stack 0
		.amdhsa_enable_private_segment 0
		.amdhsa_system_sgpr_workgroup_id_x 1
		.amdhsa_system_sgpr_workgroup_id_y 0
		.amdhsa_system_sgpr_workgroup_id_z 0
		.amdhsa_system_sgpr_workgroup_info 0
		.amdhsa_system_vgpr_workitem_id 0
		.amdhsa_next_free_vgpr 56
		.amdhsa_next_free_sgpr 63
		.amdhsa_named_barrier_count 0
		.amdhsa_reserve_vcc 1
		.amdhsa_float_round_mode_32 0
		.amdhsa_float_round_mode_16_64 0
		.amdhsa_float_denorm_mode_32 3
		.amdhsa_float_denorm_mode_16_64 3
		.amdhsa_fp16_overflow 0
		.amdhsa_memory_ordered 1
		.amdhsa_forward_progress 1
		.amdhsa_inst_pref_size 57
		.amdhsa_round_robin_scheduling 0
		.amdhsa_exception_fp_ieee_invalid_op 0
		.amdhsa_exception_fp_denorm_src 0
		.amdhsa_exception_fp_ieee_div_zero 0
		.amdhsa_exception_fp_ieee_overflow 0
		.amdhsa_exception_fp_ieee_underflow 0
		.amdhsa_exception_fp_ieee_inexact 0
		.amdhsa_exception_int_div_zero 0
	.end_amdhsa_kernel
	.section	.text._ZN2at6native27unrolled_elementwise_kernelIZZZNS0_12_GLOBAL__N_142_validate_compressed_sparse_indices_kernelILNS2_8CDimNameE0ENS2_18CUDAKernelLauncherENS2_14EmptyVecKernelENS2_8DummyVecELm8EEEvRKNS_6TensorESA_lllENKUlvE1_clEvENKUlvE0_clEvEUllllllE_St5arrayIPcLm6EELi4E23TrivialOffsetCalculatorILi5EjESH_ILi1EjENS0_6memory15LoadWithoutCastENSK_16StoreWithoutCastEEEviT_T0_T2_T3_T4_T5_,"axG",@progbits,_ZN2at6native27unrolled_elementwise_kernelIZZZNS0_12_GLOBAL__N_142_validate_compressed_sparse_indices_kernelILNS2_8CDimNameE0ENS2_18CUDAKernelLauncherENS2_14EmptyVecKernelENS2_8DummyVecELm8EEEvRKNS_6TensorESA_lllENKUlvE1_clEvENKUlvE0_clEvEUllllllE_St5arrayIPcLm6EELi4E23TrivialOffsetCalculatorILi5EjESH_ILi1EjENS0_6memory15LoadWithoutCastENSK_16StoreWithoutCastEEEviT_T0_T2_T3_T4_T5_,comdat
.Lfunc_end28:
	.size	_ZN2at6native27unrolled_elementwise_kernelIZZZNS0_12_GLOBAL__N_142_validate_compressed_sparse_indices_kernelILNS2_8CDimNameE0ENS2_18CUDAKernelLauncherENS2_14EmptyVecKernelENS2_8DummyVecELm8EEEvRKNS_6TensorESA_lllENKUlvE1_clEvENKUlvE0_clEvEUllllllE_St5arrayIPcLm6EELi4E23TrivialOffsetCalculatorILi5EjESH_ILi1EjENS0_6memory15LoadWithoutCastENSK_16StoreWithoutCastEEEviT_T0_T2_T3_T4_T5_, .Lfunc_end28-_ZN2at6native27unrolled_elementwise_kernelIZZZNS0_12_GLOBAL__N_142_validate_compressed_sparse_indices_kernelILNS2_8CDimNameE0ENS2_18CUDAKernelLauncherENS2_14EmptyVecKernelENS2_8DummyVecELm8EEEvRKNS_6TensorESA_lllENKUlvE1_clEvENKUlvE0_clEvEUllllllE_St5arrayIPcLm6EELi4E23TrivialOffsetCalculatorILi5EjESH_ILi1EjENS0_6memory15LoadWithoutCastENSK_16StoreWithoutCastEEEviT_T0_T2_T3_T4_T5_
                                        ; -- End function
	.set _ZN2at6native27unrolled_elementwise_kernelIZZZNS0_12_GLOBAL__N_142_validate_compressed_sparse_indices_kernelILNS2_8CDimNameE0ENS2_18CUDAKernelLauncherENS2_14EmptyVecKernelENS2_8DummyVecELm8EEEvRKNS_6TensorESA_lllENKUlvE1_clEvENKUlvE0_clEvEUllllllE_St5arrayIPcLm6EELi4E23TrivialOffsetCalculatorILi5EjESH_ILi1EjENS0_6memory15LoadWithoutCastENSK_16StoreWithoutCastEEEviT_T0_T2_T3_T4_T5_.num_vgpr, 56
	.set _ZN2at6native27unrolled_elementwise_kernelIZZZNS0_12_GLOBAL__N_142_validate_compressed_sparse_indices_kernelILNS2_8CDimNameE0ENS2_18CUDAKernelLauncherENS2_14EmptyVecKernelENS2_8DummyVecELm8EEEvRKNS_6TensorESA_lllENKUlvE1_clEvENKUlvE0_clEvEUllllllE_St5arrayIPcLm6EELi4E23TrivialOffsetCalculatorILi5EjESH_ILi1EjENS0_6memory15LoadWithoutCastENSK_16StoreWithoutCastEEEviT_T0_T2_T3_T4_T5_.num_agpr, 0
	.set _ZN2at6native27unrolled_elementwise_kernelIZZZNS0_12_GLOBAL__N_142_validate_compressed_sparse_indices_kernelILNS2_8CDimNameE0ENS2_18CUDAKernelLauncherENS2_14EmptyVecKernelENS2_8DummyVecELm8EEEvRKNS_6TensorESA_lllENKUlvE1_clEvENKUlvE0_clEvEUllllllE_St5arrayIPcLm6EELi4E23TrivialOffsetCalculatorILi5EjESH_ILi1EjENS0_6memory15LoadWithoutCastENSK_16StoreWithoutCastEEEviT_T0_T2_T3_T4_T5_.numbered_sgpr, 63
	.set _ZN2at6native27unrolled_elementwise_kernelIZZZNS0_12_GLOBAL__N_142_validate_compressed_sparse_indices_kernelILNS2_8CDimNameE0ENS2_18CUDAKernelLauncherENS2_14EmptyVecKernelENS2_8DummyVecELm8EEEvRKNS_6TensorESA_lllENKUlvE1_clEvENKUlvE0_clEvEUllllllE_St5arrayIPcLm6EELi4E23TrivialOffsetCalculatorILi5EjESH_ILi1EjENS0_6memory15LoadWithoutCastENSK_16StoreWithoutCastEEEviT_T0_T2_T3_T4_T5_.num_named_barrier, 0
	.set _ZN2at6native27unrolled_elementwise_kernelIZZZNS0_12_GLOBAL__N_142_validate_compressed_sparse_indices_kernelILNS2_8CDimNameE0ENS2_18CUDAKernelLauncherENS2_14EmptyVecKernelENS2_8DummyVecELm8EEEvRKNS_6TensorESA_lllENKUlvE1_clEvENKUlvE0_clEvEUllllllE_St5arrayIPcLm6EELi4E23TrivialOffsetCalculatorILi5EjESH_ILi1EjENS0_6memory15LoadWithoutCastENSK_16StoreWithoutCastEEEviT_T0_T2_T3_T4_T5_.private_seg_size, 0
	.set _ZN2at6native27unrolled_elementwise_kernelIZZZNS0_12_GLOBAL__N_142_validate_compressed_sparse_indices_kernelILNS2_8CDimNameE0ENS2_18CUDAKernelLauncherENS2_14EmptyVecKernelENS2_8DummyVecELm8EEEvRKNS_6TensorESA_lllENKUlvE1_clEvENKUlvE0_clEvEUllllllE_St5arrayIPcLm6EELi4E23TrivialOffsetCalculatorILi5EjESH_ILi1EjENS0_6memory15LoadWithoutCastENSK_16StoreWithoutCastEEEviT_T0_T2_T3_T4_T5_.uses_vcc, 1
	.set _ZN2at6native27unrolled_elementwise_kernelIZZZNS0_12_GLOBAL__N_142_validate_compressed_sparse_indices_kernelILNS2_8CDimNameE0ENS2_18CUDAKernelLauncherENS2_14EmptyVecKernelENS2_8DummyVecELm8EEEvRKNS_6TensorESA_lllENKUlvE1_clEvENKUlvE0_clEvEUllllllE_St5arrayIPcLm6EELi4E23TrivialOffsetCalculatorILi5EjESH_ILi1EjENS0_6memory15LoadWithoutCastENSK_16StoreWithoutCastEEEviT_T0_T2_T3_T4_T5_.uses_flat_scratch, 0
	.set _ZN2at6native27unrolled_elementwise_kernelIZZZNS0_12_GLOBAL__N_142_validate_compressed_sparse_indices_kernelILNS2_8CDimNameE0ENS2_18CUDAKernelLauncherENS2_14EmptyVecKernelENS2_8DummyVecELm8EEEvRKNS_6TensorESA_lllENKUlvE1_clEvENKUlvE0_clEvEUllllllE_St5arrayIPcLm6EELi4E23TrivialOffsetCalculatorILi5EjESH_ILi1EjENS0_6memory15LoadWithoutCastENSK_16StoreWithoutCastEEEviT_T0_T2_T3_T4_T5_.has_dyn_sized_stack, 0
	.set _ZN2at6native27unrolled_elementwise_kernelIZZZNS0_12_GLOBAL__N_142_validate_compressed_sparse_indices_kernelILNS2_8CDimNameE0ENS2_18CUDAKernelLauncherENS2_14EmptyVecKernelENS2_8DummyVecELm8EEEvRKNS_6TensorESA_lllENKUlvE1_clEvENKUlvE0_clEvEUllllllE_St5arrayIPcLm6EELi4E23TrivialOffsetCalculatorILi5EjESH_ILi1EjENS0_6memory15LoadWithoutCastENSK_16StoreWithoutCastEEEviT_T0_T2_T3_T4_T5_.has_recursion, 0
	.set _ZN2at6native27unrolled_elementwise_kernelIZZZNS0_12_GLOBAL__N_142_validate_compressed_sparse_indices_kernelILNS2_8CDimNameE0ENS2_18CUDAKernelLauncherENS2_14EmptyVecKernelENS2_8DummyVecELm8EEEvRKNS_6TensorESA_lllENKUlvE1_clEvENKUlvE0_clEvEUllllllE_St5arrayIPcLm6EELi4E23TrivialOffsetCalculatorILi5EjESH_ILi1EjENS0_6memory15LoadWithoutCastENSK_16StoreWithoutCastEEEviT_T0_T2_T3_T4_T5_.has_indirect_call, 0
	.section	.AMDGPU.csdata,"",@progbits
; Kernel info:
; codeLenInByte = 7172
; TotalNumSgprs: 65
; NumVgprs: 56
; ScratchSize: 0
; MemoryBound: 0
; FloatMode: 240
; IeeeMode: 1
; LDSByteSize: 0 bytes/workgroup (compile time only)
; SGPRBlocks: 0
; VGPRBlocks: 3
; NumSGPRsForWavesPerEU: 65
; NumVGPRsForWavesPerEU: 56
; NamedBarCnt: 0
; Occupancy: 16
; WaveLimiterHint : 1
; COMPUTE_PGM_RSRC2:SCRATCH_EN: 0
; COMPUTE_PGM_RSRC2:USER_SGPR: 2
; COMPUTE_PGM_RSRC2:TRAP_HANDLER: 0
; COMPUTE_PGM_RSRC2:TGID_X_EN: 1
; COMPUTE_PGM_RSRC2:TGID_Y_EN: 0
; COMPUTE_PGM_RSRC2:TGID_Z_EN: 0
; COMPUTE_PGM_RSRC2:TIDIG_COMP_CNT: 0
	.section	.text._ZN2at6native32elementwise_kernel_manual_unrollILi128ELi4EZNS0_22gpu_kernel_impl_nocastIZZZNS0_12_GLOBAL__N_142_validate_compressed_sparse_indices_kernelILNS3_8CDimNameE0ENS3_18CUDAKernelLauncherENS3_14EmptyVecKernelENS3_8DummyVecELm8EEEvRKNS_6TensorESB_lllENKUlvE1_clEvENKUlvE0_clEvEUllllllE_EEvRNS_18TensorIteratorBaseERKT_EUlibE_EEviT1_,"axG",@progbits,_ZN2at6native32elementwise_kernel_manual_unrollILi128ELi4EZNS0_22gpu_kernel_impl_nocastIZZZNS0_12_GLOBAL__N_142_validate_compressed_sparse_indices_kernelILNS3_8CDimNameE0ENS3_18CUDAKernelLauncherENS3_14EmptyVecKernelENS3_8DummyVecELm8EEEvRKNS_6TensorESB_lllENKUlvE1_clEvENKUlvE0_clEvEUllllllE_EEvRNS_18TensorIteratorBaseERKT_EUlibE_EEviT1_,comdat
	.globl	_ZN2at6native32elementwise_kernel_manual_unrollILi128ELi4EZNS0_22gpu_kernel_impl_nocastIZZZNS0_12_GLOBAL__N_142_validate_compressed_sparse_indices_kernelILNS3_8CDimNameE0ENS3_18CUDAKernelLauncherENS3_14EmptyVecKernelENS3_8DummyVecELm8EEEvRKNS_6TensorESB_lllENKUlvE1_clEvENKUlvE0_clEvEUllllllE_EEvRNS_18TensorIteratorBaseERKT_EUlibE_EEviT1_ ; -- Begin function _ZN2at6native32elementwise_kernel_manual_unrollILi128ELi4EZNS0_22gpu_kernel_impl_nocastIZZZNS0_12_GLOBAL__N_142_validate_compressed_sparse_indices_kernelILNS3_8CDimNameE0ENS3_18CUDAKernelLauncherENS3_14EmptyVecKernelENS3_8DummyVecELm8EEEvRKNS_6TensorESB_lllENKUlvE1_clEvENKUlvE0_clEvEUllllllE_EEvRNS_18TensorIteratorBaseERKT_EUlibE_EEviT1_
	.p2align	8
	.type	_ZN2at6native32elementwise_kernel_manual_unrollILi128ELi4EZNS0_22gpu_kernel_impl_nocastIZZZNS0_12_GLOBAL__N_142_validate_compressed_sparse_indices_kernelILNS3_8CDimNameE0ENS3_18CUDAKernelLauncherENS3_14EmptyVecKernelENS3_8DummyVecELm8EEEvRKNS_6TensorESB_lllENKUlvE1_clEvENKUlvE0_clEvEUllllllE_EEvRNS_18TensorIteratorBaseERKT_EUlibE_EEviT1_,@function
_ZN2at6native32elementwise_kernel_manual_unrollILi128ELi4EZNS0_22gpu_kernel_impl_nocastIZZZNS0_12_GLOBAL__N_142_validate_compressed_sparse_indices_kernelILNS3_8CDimNameE0ENS3_18CUDAKernelLauncherENS3_14EmptyVecKernelENS3_8DummyVecELm8EEEvRKNS_6TensorESB_lllENKUlvE1_clEvENKUlvE0_clEvEUllllllE_EEvRNS_18TensorIteratorBaseERKT_EUlibE_EEviT1_: ; @_ZN2at6native32elementwise_kernel_manual_unrollILi128ELi4EZNS0_22gpu_kernel_impl_nocastIZZZNS0_12_GLOBAL__N_142_validate_compressed_sparse_indices_kernelILNS3_8CDimNameE0ENS3_18CUDAKernelLauncherENS3_14EmptyVecKernelENS3_8DummyVecELm8EEEvRKNS_6TensorESB_lllENKUlvE1_clEvENKUlvE0_clEvEUllllllE_EEvRNS_18TensorIteratorBaseERKT_EUlibE_EEviT1_
; %bb.0:
	s_clause 0x1
	s_load_b32 s33, s[0:1], 0x8
	s_load_b32 s74, s[0:1], 0x0
	s_bfe_u32 s2, ttmp6, 0x4000c
	s_and_b32 s3, ttmp6, 15
	s_add_co_i32 s2, s2, 1
	s_getreg_b32 s4, hwreg(HW_REG_IB_STS2, 6, 4)
	s_mul_i32 s2, ttmp9, s2
	s_mov_b32 s65, 0
	s_add_co_i32 s3, s3, s2
	s_cmp_eq_u32 s4, 0
	s_mov_b32 s47, -1
	s_cselect_b32 s2, ttmp9, s3
	s_mov_b32 s36, 0
	v_lshl_or_b32 v0, s2, 9, v0
	s_add_nc_u64 s[2:3], s[0:1], 8
	s_get_pc_i64 s[34:35]
	s_add_nc_u64 s[34:35], s[34:35], .str.1@rel64+4
	s_wait_xcnt 0x0
	s_mov_b32 s0, exec_lo
	v_or_b32_e32 v2, 0x180, v0
	s_wait_kmcnt 0x0
	s_add_co_i32 s64, s33, -1
	s_delay_alu instid0(SALU_CYCLE_1)
	s_cmp_gt_u32 s64, 1
	s_cselect_b32 s66, -1, 0
	v_cmpx_le_i32_e64 s74, v2
	s_xor_b32 s67, exec_lo, s0
	s_cbranch_execz .LBB29_137
; %bb.1:
	s_load_b128 s[28:31], s[2:3], 0x288
	s_cmp_lg_u32 s33, 0
	s_clause 0x1
	s_load_b128 s[40:43], s[2:3], 0x4
	s_load_b64 s[0:1], s[2:3], 0x14
	s_cselect_b32 s75, -1, 0
	s_min_u32 s72, s64, 15
	s_cmp_gt_u32 s33, 1
	s_get_pc_i64 s[44:45]
	s_add_nc_u64 s[44:45], s[44:45], .str.2@rel64+4
	s_cselect_b32 s71, -1, 0
	s_cmp_lg_u64 s[34:35], 0
	s_clause 0x2
	s_load_b128 s[36:39], s[2:3], 0xe4
	s_load_b256 s[20:27], s[2:3], 0xc4
	s_load_b512 s[4:19], s[2:3], 0x248
	s_cselect_b32 s70, -1, 0
	s_cmp_lg_u64 s[44:45], 0
	s_load_b64 s[44:45], s[2:3], 0x318
	s_get_pc_i64 s[48:49]
	s_add_nc_u64 s[48:49], s[48:49], .str.3@rel64+4
	s_cselect_b32 s69, -1, 0
	s_cmp_lg_u64 s[48:49], 0
	s_get_pc_i64 s[52:53]
	s_add_nc_u64 s[52:53], s[52:53], .str.4@rel64+4
	s_cselect_b32 s68, -1, 0
	s_mov_b32 s49, 0
	s_wait_kmcnt 0x0
	s_add_co_i32 s46, s30, -1
	s_mov_b32 s48, s41
	s_cmp_gt_i32 s46, -1
	s_mov_b32 s50, s0
	s_cselect_b32 s41, -1, 0
	s_cmp_lg_u64 s[52:53], 0
	s_mov_b32 s51, s49
	s_cselect_b32 s31, -1, 0
	s_mov_b32 s78, s49
	s_mov_b32 s77, s49
	;; [unrolled: 1-line block ×4, first 2 shown]
	s_mov_b32 s79, exec_lo
	v_cmpx_gt_i32_e64 s74, v0
	s_cbranch_execz .LBB29_35
; %bb.2:
	s_and_not1_b32 vcc_lo, exec_lo, s66
	s_cbranch_vccnz .LBB29_8
; %bb.3:
	s_and_not1_b32 vcc_lo, exec_lo, s75
	s_cbranch_vccnz .LBB29_9
; %bb.4:
	v_dual_mov_b32 v6, 0 :: v_dual_mov_b32 v1, v0
	v_dual_mov_b32 v8, 0 :: v_dual_mov_b32 v5, 0
	;; [unrolled: 1-line block ×3, first 2 shown]
	v_mov_b32_e32 v7, 0
	s_add_co_i32 s0, s72, 1
	s_mov_b64 s[52:53], 0xffffffffffffffd0
	s_and_b32 s0, s0, 30
	s_add_nc_u64 s[52:53], s[2:3], s[52:53]
	s_mov_b64 s[54:55], s[2:3]
.LBB29_5:                               ; =>This Inner Loop Header: Depth=1
	s_clause 0x1
	s_load_b128 s[80:83], s[54:55], 0x4
	s_load_b64 s[76:77], s[54:55], 0x14
	s_clause 0x1
	s_load_b256 s[56:63], s[52:53], 0xf4
	s_load_b128 s[84:87], s[52:53], 0x114
	s_add_co_i32 s0, s0, -2
	s_wait_xcnt 0x0
	s_add_nc_u64 s[54:55], s[54:55], 24
	s_cmp_lg_u32 s0, 0
	s_add_nc_u64 s[52:53], s[52:53], 48
	s_wait_kmcnt 0x0
	v_mul_hi_u32 v2, s81, v1
	s_delay_alu instid0(VALU_DEP_1) | instskip(NEXT) | instid1(VALU_DEP_1)
	v_add_nc_u32_e32 v2, v1, v2
	v_lshrrev_b32_e32 v2, s82, v2
	s_delay_alu instid0(VALU_DEP_1) | instskip(SKIP_1) | instid1(VALU_DEP_1)
	v_mul_hi_u32 v3, s76, v2
	v_mul_lo_u32 v9, v2, s80
	v_dual_add_nc_u32 v3, v2, v3 :: v_dual_sub_nc_u32 v9, v1, v9
	s_delay_alu instid0(VALU_DEP_1) | instskip(NEXT) | instid1(VALU_DEP_2)
	v_lshrrev_b32_e32 v1, s77, v3
	v_mad_u32 v3, v9, s57, v7
	v_mad_u32 v10, v9, s56, v14
	;; [unrolled: 1-line block ×4, first 2 shown]
	v_mul_lo_u32 v7, v1, s83
	v_mad_u32 v8, s61, v9, v8
	v_mad_u32 v6, s60, v9, v6
	s_delay_alu instid0(VALU_DEP_3) | instskip(NEXT) | instid1(VALU_DEP_1)
	v_sub_nc_u32_e32 v2, v2, v7
	v_mad_u32 v7, v2, s63, v3
	v_mad_u32 v14, v2, s62, v10
	v_mad_u32 v4, v2, s85, v4
	v_mad_u32 v5, v2, s84, v5
	v_mad_u32 v8, s87, v2, v8
	v_mad_u32 v6, s86, v2, v6
	s_cbranch_scc1 .LBB29_5
; %bb.6:
	s_bitcmp1_b32 s72, 0
	s_cselect_b32 s0, -1, 0
	s_delay_alu instid0(SALU_CYCLE_1)
	s_and_b32 vcc_lo, exec_lo, s0
	s_cbranch_vccnz .LBB29_10
; %bb.7:
	s_load_b96 s[60:62], s[54:55], 0x4
	s_load_b128 s[56:59], s[52:53], 0xf4
	s_wait_xcnt 0x0
	s_load_b64 s[54:55], s[52:53], 0x104
	s_wait_kmcnt 0x0
	v_mul_hi_u32 v2, s61, v1
	s_delay_alu instid0(VALU_DEP_1) | instskip(NEXT) | instid1(VALU_DEP_1)
	v_add_nc_u32_e32 v2, v1, v2
	v_lshrrev_b32_e32 v2, s62, v2
	s_delay_alu instid0(VALU_DEP_1) | instskip(NEXT) | instid1(VALU_DEP_1)
	v_mul_lo_u32 v2, v2, s60
	v_sub_nc_u32_e32 v1, v1, v2
	s_delay_alu instid0(VALU_DEP_1)
	v_mad_u32 v14, v1, s56, v14
	v_mad_u32 v7, v1, s57, v7
	;; [unrolled: 1-line block ×6, first 2 shown]
	s_cbranch_execz .LBB29_11
	s_branch .LBB29_13
.LBB29_8:
                                        ; implicit-def: $vgpr7
                                        ; implicit-def: $vgpr14
                                        ; implicit-def: $vgpr4
                                        ; implicit-def: $vgpr5
                                        ; implicit-def: $vgpr8
                                        ; implicit-def: $vgpr6
	s_branch .LBB29_11
.LBB29_9:
	v_dual_mov_b32 v7, 0 :: v_dual_mov_b32 v14, 0
	v_dual_mov_b32 v4, 0 :: v_dual_mov_b32 v5, 0
	;; [unrolled: 1-line block ×3, first 2 shown]
.LBB29_10:
	s_cbranch_execnz .LBB29_13
.LBB29_11:
	v_mov_b32_e32 v1, 0
	s_and_not1_b32 vcc_lo, exec_lo, s71
	s_delay_alu instid0(VALU_DEP_1) | instskip(NEXT) | instid1(VALU_DEP_1)
	v_mul_u64_e32 v[2:3], s[48:49], v[0:1]
	v_add_nc_u32_e32 v2, v0, v3
	s_delay_alu instid0(VALU_DEP_1) | instskip(NEXT) | instid1(VALU_DEP_1)
	v_lshrrev_b32_e32 v2, s42, v2
	v_mul_lo_u32 v3, v2, s40
	s_delay_alu instid0(VALU_DEP_1) | instskip(NEXT) | instid1(VALU_DEP_1)
	v_sub_nc_u32_e32 v3, v0, v3
	v_mul_lo_u32 v7, v3, s21
	v_mul_lo_u32 v14, v3, s20
	;; [unrolled: 1-line block ×6, first 2 shown]
	s_cbranch_vccnz .LBB29_13
; %bb.12:
	v_mov_b32_e32 v3, v1
	s_delay_alu instid0(VALU_DEP_1) | instskip(NEXT) | instid1(VALU_DEP_1)
	v_mul_u64_e32 v[10:11], s[50:51], v[2:3]
	v_add_nc_u32_e32 v1, v2, v11
	s_delay_alu instid0(VALU_DEP_1) | instskip(NEXT) | instid1(VALU_DEP_1)
	v_lshrrev_b32_e32 v1, s1, v1
	v_mul_lo_u32 v1, v1, s43
	s_delay_alu instid0(VALU_DEP_1) | instskip(NEXT) | instid1(VALU_DEP_1)
	v_sub_nc_u32_e32 v1, v2, v1
	v_mad_u32 v14, v1, s26, v14
	v_mad_u32 v7, v1, s27, v7
	v_mad_u32 v5, v1, s36, v5
	v_mad_u32 v4, v1, s37, v4
	v_mad_u32 v6, s38, v1, v6
	v_mad_u32 v8, s39, v1, v8
.LBB29_13:
	global_load_b64 v[2:3], v7, s[6:7]
	s_mov_b32 s47, -1
	s_mov_b32 s0, 0
	s_mov_b32 s52, 0
	;; [unrolled: 1-line block ×4, first 2 shown]
	s_wait_loadcnt 0x0
	v_cmp_eq_u64_e32 vcc_lo, s[16:17], v[2:3]
	s_and_b32 s55, s70, vcc_lo
	s_delay_alu instid0(SALU_CYCLE_1)
	s_and_saveexec_b32 s73, s55
	s_cbranch_execz .LBB29_34
; %bb.14:
	global_load_b64 v[2:3], v5, s[8:9]
	s_wait_loadcnt 0x0
	v_cmp_eq_u64_e32 vcc_lo, s[28:29], v[2:3]
	s_and_b32 s54, s69, vcc_lo
	s_delay_alu instid0(SALU_CYCLE_1)
	s_and_saveexec_b32 s76, s54
	s_cbranch_execz .LBB29_33
; %bb.15:
	global_load_b64 v[4:5], v4, s[10:11]
	global_load_b64 v[2:3], v6, s[12:13]
	s_wait_loadcnt 0x0
	v_sub_nc_u64_e32 v[6:7], v[2:3], v[4:5]
	s_delay_alu instid0(VALU_DEP_1)
	v_cmp_le_i64_e32 vcc_lo, s[16:17], v[6:7]
	v_cmp_ge_i64_e64 s0, s[18:19], v[6:7]
	s_and_b32 s52, vcc_lo, s0
	s_mov_b32 s0, 0
	s_and_b32 s53, s68, s52
	s_mov_b32 s52, 0
	s_and_saveexec_b32 s77, s53
	s_cbranch_execz .LBB29_32
; %bb.16:
	v_cmp_lt_i64_e64 s0, s[28:29], 1
	v_mov_b64_e32 v[6:7], 0
	s_xor_b32 s47, s41, -1
	s_delay_alu instid0(SALU_CYCLE_1) | instskip(NEXT) | instid1(SALU_CYCLE_1)
	s_or_b32 s0, s0, s47
	s_and_b32 vcc_lo, exec_lo, s0
	s_cbranch_vccnz .LBB29_23
; %bb.17:
	global_load_b64 v[6:7], v8, s[14:15]
	s_mov_b32 s53, 0
	s_wait_xcnt 0x0
	v_mov_b32_e32 v8, 0
	s_mov_b32 s47, s53
	s_mov_b64 s[54:55], 0xffffffff
	s_lshl_b64 s[56:57], s[46:47], 3
	s_mov_b32 s47, s30
	s_add_nc_u64 s[56:57], s[2:3], s[56:57]
	s_delay_alu instid0(SALU_CYCLE_1)
	s_add_nc_u64 s[56:57], s[56:57], 0x298
	s_wait_loadcnt 0x0
	v_mul_u64_e32 v[10:11], s[28:29], v[6:7]
	v_mov_b64_e32 v[6:7], 0
	s_branch .LBB29_19
.LBB29_18:                              ;   in Loop: Header=BB29_19 Depth=1
	s_or_b32 exec_lo, exec_lo, s0
	s_delay_alu instid0(VALU_DEP_1)
	v_mul_u64_e32 v[16:17], s[58:59], v[12:13]
	s_load_b64 s[58:59], s[56:57], 0x40
	s_add_co_i32 s47, s47, -1
	s_wait_xcnt 0x0
	s_add_nc_u64 s[56:57], s[56:57], -8
	s_cmp_eq_u32 s47, 0
	s_delay_alu instid0(VALU_DEP_1) | instskip(SKIP_1) | instid1(VALU_DEP_1)
	v_sub_nc_u64_e32 v[10:11], v[10:11], v[16:17]
	s_wait_kmcnt 0x0
	v_mad_nc_u64_u32 v[6:7], v10, s58, v[6:7]
	s_delay_alu instid0(VALU_DEP_1) | instskip(NEXT) | instid1(VALU_DEP_1)
	v_mad_u32 v1, v11, s58, v7
	v_mad_u32 v7, v10, s59, v1
	v_mov_b64_e32 v[10:11], v[12:13]
	s_cbranch_scc1 .LBB29_23
.LBB29_19:                              ; =>This Inner Loop Header: Depth=1
	s_load_b64 s[58:59], s[56:57], 0x0
                                        ; implicit-def: $vgpr12_vgpr13
	s_mov_b32 s0, exec_lo
	s_wait_kmcnt 0x0
	s_delay_alu instid0(VALU_DEP_1) | instskip(NEXT) | instid1(VALU_DEP_1)
	v_or_b32_e32 v9, s59, v11
	v_cmpx_ne_u64_e32 0, v[8:9]
	s_xor_b32 s78, exec_lo, s0
	s_cbranch_execz .LBB29_21
; %bb.20:                               ;   in Loop: Header=BB29_19 Depth=1
	s_ashr_i32 s60, s59, 31
	v_dual_mov_b32 v19, v8 :: v_dual_ashrrev_i32 v12, 31, v11
	s_mov_b32 s61, s60
	v_mov_b32_e32 v23, v8
	s_add_nc_u64 s[62:63], s[58:59], s[60:61]
	s_delay_alu instid0(VALU_DEP_2)
	v_mov_b32_e32 v13, v12
	s_xor_b64 s[62:63], s[62:63], s[60:61]
	v_mov_b32_e32 v27, v8
	s_cvt_f32_u32 s0, s62
	s_cvt_f32_u32 s52, s63
	s_sub_nc_u64 s[82:83], 0, s[62:63]
	v_add_nc_u64_e32 v[16:17], v[10:11], v[12:13]
	s_delay_alu instid0(SALU_CYCLE_1) | instskip(NEXT) | instid1(SALU_CYCLE_3)
	s_fmamk_f32 s0, s52, 0x4f800000, s0
	v_s_rcp_f32 s0, s0
	s_delay_alu instid0(VALU_DEP_1) | instskip(NEXT) | instid1(VALU_DEP_2)
	v_xor_b32_e32 v22, v17, v12
	v_xor_b32_e32 v18, v16, v12
	s_delay_alu instid0(TRANS32_DEP_1) | instskip(NEXT) | instid1(SALU_CYCLE_3)
	s_mul_f32 s0, s0, 0x5f7ffffc
	s_mul_f32 s52, s0, 0x2f800000
	s_delay_alu instid0(SALU_CYCLE_3) | instskip(NEXT) | instid1(SALU_CYCLE_3)
	s_trunc_f32 s52, s52
	s_fmamk_f32 s0, s52, 0xcf800000, s0
	s_cvt_u32_f32 s81, s52
	s_delay_alu instid0(SALU_CYCLE_2) | instskip(NEXT) | instid1(SALU_CYCLE_3)
	s_cvt_u32_f32 s80, s0
	s_mul_u64 s[84:85], s[82:83], s[80:81]
	s_delay_alu instid0(SALU_CYCLE_1)
	s_mul_hi_u32 s87, s80, s85
	s_mul_i32 s86, s80, s85
	s_mul_hi_u32 s52, s80, s84
	s_mul_i32 s61, s81, s84
	s_add_nc_u64 s[86:87], s[52:53], s[86:87]
	s_mul_hi_u32 s0, s81, s84
	s_mul_hi_u32 s88, s81, s85
	s_add_co_u32 s52, s86, s61
	s_add_co_ci_u32 s52, s87, s0
	s_mul_i32 s84, s81, s85
	s_add_co_ci_u32 s85, s88, 0
	s_delay_alu instid0(SALU_CYCLE_1) | instskip(NEXT) | instid1(SALU_CYCLE_1)
	s_add_nc_u64 s[84:85], s[52:53], s[84:85]
	s_add_co_u32 s80, s80, s84
	s_cselect_b32 s0, -1, 0
	s_delay_alu instid0(SALU_CYCLE_1) | instskip(SKIP_1) | instid1(SALU_CYCLE_1)
	s_cmp_lg_u32 s0, 0
	s_add_co_ci_u32 s81, s81, s85
	s_mul_u64 s[82:83], s[82:83], s[80:81]
	s_delay_alu instid0(SALU_CYCLE_1)
	s_mul_hi_u32 s85, s80, s83
	s_mul_i32 s84, s80, s83
	s_mul_hi_u32 s52, s80, s82
	s_mul_i32 s61, s81, s82
	s_add_nc_u64 s[84:85], s[52:53], s[84:85]
	s_mul_hi_u32 s0, s81, s82
	s_mul_hi_u32 s86, s81, s83
	s_add_co_u32 s52, s84, s61
	s_add_co_ci_u32 s52, s85, s0
	s_mul_i32 s82, s81, s83
	s_add_co_ci_u32 s83, s86, 0
	s_delay_alu instid0(SALU_CYCLE_1) | instskip(NEXT) | instid1(SALU_CYCLE_1)
	s_add_nc_u64 s[82:83], s[52:53], s[82:83]
	s_add_co_u32 s0, s80, s82
	s_cselect_b32 s52, -1, 0
	v_mul_hi_u32 v26, v18, s0
	s_cmp_lg_u32 s52, 0
	s_add_co_ci_u32 s52, s81, s83
	s_and_b64 s[80:81], s[0:1], s[54:55]
	v_mul_u64_e32 v[20:21], s[52:53], v[18:19]
	v_mul_u64_e32 v[16:17], s[80:81], v[22:23]
	;; [unrolled: 1-line block ×3, first 2 shown]
	s_delay_alu instid0(VALU_DEP_3) | instskip(NEXT) | instid1(VALU_DEP_1)
	v_add_nc_u64_e32 v[20:21], v[26:27], v[20:21]
	v_add_co_u32 v1, vcc_lo, v20, v16
	s_delay_alu instid0(VALU_DEP_2) | instskip(NEXT) | instid1(VALU_DEP_4)
	v_add_co_ci_u32_e32 v26, vcc_lo, v21, v17, vcc_lo
	v_add_co_ci_u32_e32 v25, vcc_lo, 0, v25, vcc_lo
	s_delay_alu instid0(VALU_DEP_1) | instskip(NEXT) | instid1(VALU_DEP_1)
	v_add_nc_u64_e32 v[16:17], v[26:27], v[24:25]
	v_mul_u64_e32 v[20:21], s[62:63], v[16:17]
	s_delay_alu instid0(VALU_DEP_1) | instskip(NEXT) | instid1(VALU_DEP_2)
	v_sub_nc_u32_e32 v1, v22, v21
	v_sub_co_u32 v9, vcc_lo, v18, v20
	s_delay_alu instid0(VALU_DEP_1) | instskip(NEXT) | instid1(VALU_DEP_3)
	v_sub_co_ci_u32_e64 v15, null, v22, v21, vcc_lo
	v_subrev_co_ci_u32_e64 v1, null, s63, v1, vcc_lo
	s_delay_alu instid0(VALU_DEP_3) | instskip(SKIP_1) | instid1(VALU_DEP_3)
	v_sub_co_u32 v13, s0, v9, s62
	v_add_nc_u64_e32 v[20:21], 1, v[16:17]
	v_subrev_co_ci_u32_e64 v1, null, 0, v1, s0
	s_delay_alu instid0(VALU_DEP_3) | instskip(SKIP_1) | instid1(VALU_DEP_3)
	v_cmp_le_u32_e32 vcc_lo, s62, v13
	v_cndmask_b32_e64 v13, 0, -1, vcc_lo
	v_cmp_le_u32_e32 vcc_lo, s63, v1
	v_cndmask_b32_e64 v18, 0, -1, vcc_lo
	;; [unrolled: 2-line block ×4, first 2 shown]
	v_cmp_eq_u32_e32 vcc_lo, s63, v1
	v_cndmask_b32_e32 v1, v18, v13, vcc_lo
	v_cmp_eq_u32_e32 vcc_lo, s63, v15
	v_add_nc_u64_e32 v[18:19], 2, v[16:17]
	v_cndmask_b32_e32 v9, v22, v9, vcc_lo
	s_delay_alu instid0(VALU_DEP_4) | instskip(NEXT) | instid1(VALU_DEP_3)
	v_cmp_ne_u32_e32 vcc_lo, 0, v1
	v_cndmask_b32_e32 v1, v21, v19, vcc_lo
	s_delay_alu instid0(VALU_DEP_3) | instskip(SKIP_1) | instid1(VALU_DEP_2)
	v_cmp_ne_u32_e64 s0, 0, v9
	v_dual_cndmask_b32 v9, v20, v18, vcc_lo :: v_dual_bitop2_b32 v12, s60, v12 bitop3:0x14
	v_cndmask_b32_e64 v1, v17, v1, s0
	s_delay_alu instid0(VALU_DEP_1) | instskip(NEXT) | instid1(VALU_DEP_1)
	v_dual_cndmask_b32 v9, v16, v9, s0 :: v_dual_bitop2_b32 v17, v1, v12 bitop3:0x14
	v_dual_mov_b32 v13, v12 :: v_dual_bitop2_b32 v16, v9, v12 bitop3:0x14
	s_delay_alu instid0(VALU_DEP_1)
	v_sub_nc_u64_e32 v[12:13], v[16:17], v[12:13]
.LBB29_21:                              ;   in Loop: Header=BB29_19 Depth=1
	s_and_not1_saveexec_b32 s0, s78
	s_cbranch_execz .LBB29_18
; %bb.22:                               ;   in Loop: Header=BB29_19 Depth=1
	v_cvt_f32_u32_e32 v1, s58
	s_sub_co_i32 s52, 0, s58
	s_delay_alu instid0(VALU_DEP_1) | instskip(SKIP_1) | instid1(TRANS32_DEP_1)
	v_rcp_iflag_f32_e32 v1, v1
	v_nop
	v_mul_f32_e32 v1, 0x4f7ffffe, v1
	s_delay_alu instid0(VALU_DEP_1) | instskip(NEXT) | instid1(VALU_DEP_1)
	v_cvt_u32_f32_e32 v1, v1
	v_mul_lo_u32 v9, s52, v1
	s_delay_alu instid0(VALU_DEP_1) | instskip(NEXT) | instid1(VALU_DEP_1)
	v_mul_hi_u32 v9, v1, v9
	v_add_nc_u32_e32 v1, v1, v9
	s_delay_alu instid0(VALU_DEP_1) | instskip(NEXT) | instid1(VALU_DEP_1)
	v_mul_hi_u32 v1, v10, v1
	v_mul_lo_u32 v9, v1, s58
	v_add_nc_u32_e32 v12, 1, v1
	s_delay_alu instid0(VALU_DEP_2) | instskip(NEXT) | instid1(VALU_DEP_1)
	v_sub_nc_u32_e32 v9, v10, v9
	v_subrev_nc_u32_e32 v13, s58, v9
	v_cmp_le_u32_e32 vcc_lo, s58, v9
	s_delay_alu instid0(VALU_DEP_2) | instskip(SKIP_1) | instid1(VALU_DEP_2)
	v_dual_cndmask_b32 v9, v9, v13, vcc_lo :: v_dual_mov_b32 v13, v8
	v_cndmask_b32_e32 v1, v1, v12, vcc_lo
	v_cmp_le_u32_e32 vcc_lo, s58, v9
	s_delay_alu instid0(VALU_DEP_2) | instskip(NEXT) | instid1(VALU_DEP_1)
	v_add_nc_u32_e32 v12, 1, v1
	v_cndmask_b32_e32 v12, v1, v12, vcc_lo
	s_branch .LBB29_18
.LBB29_23:
	s_mov_b32 s53, -1
	s_mov_b32 s0, 0
	s_mov_b32 s52, 0
	s_mov_b32 s47, exec_lo
	v_cmpx_gt_i64_e64 v[2:3], v[4:5]
	s_cbranch_execz .LBB29_29
; %bb.24:
	s_delay_alu instid0(VALU_DEP_2) | instskip(SKIP_1) | instid1(VALU_DEP_1)
	v_lshlrev_b64_e32 v[6:7], 3, v[6:7]
	s_xor_b32 s54, s31, -1
                                        ; implicit-def: $sgpr53
                                        ; implicit-def: $sgpr56
                                        ; implicit-def: $sgpr55
	v_lshl_add_u64 v[4:5], v[4:5], 3, v[6:7]
	v_add_nc_u64_e32 v[6:7], s[44:45], v[6:7]
	s_delay_alu instid0(VALU_DEP_2) | instskip(NEXT) | instid1(VALU_DEP_2)
	v_add_nc_u64_e32 v[4:5], s[44:45], v[4:5]
	v_lshl_add_u64 v[2:3], v[2:3], 3, v[6:7]
	s_delay_alu instid0(VALU_DEP_2)
	v_add_nc_u64_e32 v[4:5], 8, v[4:5]
	s_branch .LBB29_26
.LBB29_25:                              ;   in Loop: Header=BB29_26 Depth=1
	s_or_b32 exec_lo, exec_lo, s57
	s_delay_alu instid0(SALU_CYCLE_1) | instskip(NEXT) | instid1(SALU_CYCLE_1)
	s_and_b32 s57, exec_lo, s56
	s_or_b32 s52, s57, s52
	s_and_not1_b32 s53, s53, exec_lo
	s_and_b32 s57, s55, exec_lo
	s_delay_alu instid0(SALU_CYCLE_1)
	s_or_b32 s53, s53, s57
	s_and_not1_b32 exec_lo, exec_lo, s52
	s_cbranch_execz .LBB29_28
.LBB29_26:                              ; =>This Inner Loop Header: Depth=1
	s_or_b32 s55, s55, exec_lo
	s_or_b32 s56, s56, exec_lo
	s_mov_b32 s57, exec_lo
	s_delay_alu instid0(VALU_DEP_1)
	v_cmpx_lt_u64_e64 v[4:5], v[2:3]
	s_cbranch_execz .LBB29_25
; %bb.27:                               ;   in Loop: Header=BB29_26 Depth=1
	global_load_b128 v[6:9], v[4:5], off offset:-8
	s_wait_xcnt 0x0
	v_add_nc_u64_e32 v[4:5], 8, v[4:5]
	s_and_not1_b32 s56, s56, exec_lo
	s_and_not1_b32 s55, s55, exec_lo
	s_wait_loadcnt 0x0
	v_cmp_ge_i64_e32 vcc_lo, v[6:7], v[8:9]
	s_or_b32 s58, s54, vcc_lo
	s_delay_alu instid0(SALU_CYCLE_1) | instskip(NEXT) | instid1(SALU_CYCLE_1)
	s_and_b32 s58, s58, exec_lo
	s_or_b32 s56, s56, s58
	s_branch .LBB29_25
.LBB29_28:
	s_or_b32 exec_lo, exec_lo, s52
	s_delay_alu instid0(SALU_CYCLE_1)
	s_mov_b32 s52, exec_lo
	s_or_not1_b32 s53, s53, exec_lo
.LBB29_29:
	s_or_b32 exec_lo, exec_lo, s47
	s_and_saveexec_b32 s47, s53
	s_cbranch_execz .LBB29_31
; %bb.30:
	v_mov_b64_e32 v[2:3], 0
	v_add_nc_u32_e32 v0, 0x80, v0
	s_mov_b32 s0, exec_lo
	s_and_not1_b32 s52, s52, exec_lo
	global_store_b64 v14, v[2:3], s[4:5]
.LBB29_31:
	s_wait_xcnt 0x0
	s_or_b32 exec_lo, exec_lo, s47
	s_delay_alu instid0(SALU_CYCLE_1)
	s_and_b32 s52, s52, exec_lo
	s_xor_b32 s47, exec_lo, -1
	s_and_b32 s0, s0, exec_lo
.LBB29_32:
	s_or_b32 exec_lo, exec_lo, s77
	s_delay_alu instid0(SALU_CYCLE_1)
	s_and_b32 s53, s52, exec_lo
	s_and_b32 s52, s47, exec_lo
	s_xor_b32 s47, exec_lo, -1
	s_and_b32 s0, s0, exec_lo
.LBB29_33:
	s_or_b32 exec_lo, exec_lo, s76
	s_delay_alu instid0(SALU_CYCLE_1)
	s_and_b32 s54, s53, exec_lo
	s_and_b32 s53, s52, exec_lo
	;; [unrolled: 1-line block ×3, first 2 shown]
	s_xor_b32 s47, exec_lo, -1
	s_and_b32 s0, s0, exec_lo
.LBB29_34:
	s_or_b32 exec_lo, exec_lo, s73
	s_delay_alu instid0(SALU_CYCLE_1)
	s_and_b32 s73, s54, exec_lo
	s_and_b32 s76, s53, exec_lo
	;; [unrolled: 1-line block ×4, first 2 shown]
	s_or_not1_b32 s47, s0, exec_lo
.LBB29_35:
	s_or_b32 exec_lo, exec_lo, s79
                                        ; implicit-def: $vgpr12
                                        ; implicit-def: $vgpr4
                                        ; implicit-def: $vgpr7
                                        ; implicit-def: $vgpr6
                                        ; implicit-def: $vgpr5
	s_and_saveexec_b32 s79, s47
	s_cbranch_execz .LBB29_124
; %bb.36:
	s_mov_b32 s47, -1
	s_mov_b32 s80, s78
	s_mov_b32 s83, s77
	;; [unrolled: 1-line block ×4, first 2 shown]
	s_mov_b32 s84, exec_lo
	v_cmpx_gt_i32_e64 s74, v0
	s_cbranch_execz .LBB29_70
; %bb.37:
	s_and_not1_b32 vcc_lo, exec_lo, s66
	s_cbranch_vccnz .LBB29_43
; %bb.38:
	s_and_not1_b32 vcc_lo, exec_lo, s75
	s_cbranch_vccnz .LBB29_44
; %bb.39:
	v_dual_mov_b32 v6, 0 :: v_dual_mov_b32 v1, v0
	v_dual_mov_b32 v8, 0 :: v_dual_mov_b32 v5, 0
	;; [unrolled: 1-line block ×3, first 2 shown]
	v_mov_b32_e32 v7, 0
	s_add_co_i32 s0, s72, 1
	s_mov_b64 s[52:53], 0xffffffffffffffd0
	s_and_b32 s0, s0, 30
	s_add_nc_u64 s[52:53], s[2:3], s[52:53]
	s_mov_b64 s[54:55], s[2:3]
.LBB29_40:                              ; =>This Inner Loop Header: Depth=1
	s_clause 0x1
	s_load_b128 s[80:83], s[54:55], 0x4
	s_load_b64 s[86:87], s[54:55], 0x14
	s_clause 0x1
	s_load_b256 s[56:63], s[52:53], 0xf4
	s_load_b128 s[88:91], s[52:53], 0x114
	s_add_co_i32 s0, s0, -2
	s_wait_xcnt 0x0
	s_add_nc_u64 s[54:55], s[54:55], 24
	s_cmp_eq_u32 s0, 0
	s_add_nc_u64 s[52:53], s[52:53], 48
	s_wait_kmcnt 0x0
	v_mul_hi_u32 v2, s81, v1
	s_delay_alu instid0(VALU_DEP_1) | instskip(NEXT) | instid1(VALU_DEP_1)
	v_add_nc_u32_e32 v2, v1, v2
	v_lshrrev_b32_e32 v2, s82, v2
	s_delay_alu instid0(VALU_DEP_1) | instskip(SKIP_1) | instid1(VALU_DEP_1)
	v_mul_hi_u32 v3, s86, v2
	v_mul_lo_u32 v9, v2, s80
	v_dual_add_nc_u32 v3, v2, v3 :: v_dual_sub_nc_u32 v9, v1, v9
	s_delay_alu instid0(VALU_DEP_1) | instskip(NEXT) | instid1(VALU_DEP_2)
	v_lshrrev_b32_e32 v1, s87, v3
	v_mad_u32 v3, v9, s57, v7
	v_mad_u32 v10, v9, s56, v14
	;; [unrolled: 1-line block ×4, first 2 shown]
	v_mul_lo_u32 v7, v1, s83
	v_mad_u32 v8, s61, v9, v8
	v_mad_u32 v6, s60, v9, v6
	s_delay_alu instid0(VALU_DEP_3) | instskip(NEXT) | instid1(VALU_DEP_1)
	v_sub_nc_u32_e32 v2, v2, v7
	v_mad_u32 v7, v2, s63, v3
	v_mad_u32 v14, v2, s62, v10
	v_mad_u32 v4, v2, s89, v4
	v_mad_u32 v5, v2, s88, v5
	v_mad_u32 v8, s91, v2, v8
	v_mad_u32 v6, s90, v2, v6
	s_cbranch_scc0 .LBB29_40
; %bb.41:
	s_bitcmp1_b32 s72, 0
	s_cselect_b32 s0, -1, 0
	s_delay_alu instid0(SALU_CYCLE_1)
	s_and_b32 vcc_lo, exec_lo, s0
	s_cbranch_vccnz .LBB29_45
; %bb.42:
	s_load_b96 s[60:62], s[54:55], 0x4
	s_load_b128 s[56:59], s[52:53], 0xf4
	s_wait_xcnt 0x0
	s_load_b64 s[54:55], s[52:53], 0x104
	s_wait_kmcnt 0x0
	v_mul_hi_u32 v2, s61, v1
	s_delay_alu instid0(VALU_DEP_1) | instskip(NEXT) | instid1(VALU_DEP_1)
	v_add_nc_u32_e32 v2, v1, v2
	v_lshrrev_b32_e32 v2, s62, v2
	s_delay_alu instid0(VALU_DEP_1) | instskip(NEXT) | instid1(VALU_DEP_1)
	v_mul_lo_u32 v2, v2, s60
	v_sub_nc_u32_e32 v1, v1, v2
	s_delay_alu instid0(VALU_DEP_1)
	v_mad_u32 v14, v1, s56, v14
	v_mad_u32 v7, v1, s57, v7
	;; [unrolled: 1-line block ×6, first 2 shown]
	s_branch .LBB29_45
.LBB29_43:
                                        ; implicit-def: $vgpr7
                                        ; implicit-def: $vgpr14
                                        ; implicit-def: $vgpr4
                                        ; implicit-def: $vgpr5
                                        ; implicit-def: $vgpr8
                                        ; implicit-def: $vgpr6
	s_branch .LBB29_46
.LBB29_44:
	v_dual_mov_b32 v7, 0 :: v_dual_mov_b32 v14, 0
	v_dual_mov_b32 v4, 0 :: v_dual_mov_b32 v5, 0
	;; [unrolled: 1-line block ×3, first 2 shown]
.LBB29_45:
	s_cbranch_execnz .LBB29_48
.LBB29_46:
	v_mov_b32_e32 v1, 0
	s_and_not1_b32 vcc_lo, exec_lo, s71
	s_delay_alu instid0(VALU_DEP_1) | instskip(NEXT) | instid1(VALU_DEP_1)
	v_mul_u64_e32 v[2:3], s[48:49], v[0:1]
	v_add_nc_u32_e32 v2, v0, v3
	s_delay_alu instid0(VALU_DEP_1) | instskip(NEXT) | instid1(VALU_DEP_1)
	v_lshrrev_b32_e32 v2, s42, v2
	v_mul_lo_u32 v3, v2, s40
	s_delay_alu instid0(VALU_DEP_1) | instskip(NEXT) | instid1(VALU_DEP_1)
	v_sub_nc_u32_e32 v3, v0, v3
	v_mul_lo_u32 v7, v3, s21
	v_mul_lo_u32 v14, v3, s20
	;; [unrolled: 1-line block ×6, first 2 shown]
	s_cbranch_vccnz .LBB29_48
; %bb.47:
	v_mov_b32_e32 v3, v1
	s_delay_alu instid0(VALU_DEP_1) | instskip(NEXT) | instid1(VALU_DEP_1)
	v_mul_u64_e32 v[10:11], s[50:51], v[2:3]
	v_add_nc_u32_e32 v1, v2, v11
	s_delay_alu instid0(VALU_DEP_1) | instskip(NEXT) | instid1(VALU_DEP_1)
	v_lshrrev_b32_e32 v1, s1, v1
	v_mul_lo_u32 v1, v1, s43
	s_delay_alu instid0(VALU_DEP_1) | instskip(NEXT) | instid1(VALU_DEP_1)
	v_sub_nc_u32_e32 v1, v2, v1
	v_mad_u32 v14, v1, s26, v14
	v_mad_u32 v7, v1, s27, v7
	;; [unrolled: 1-line block ×6, first 2 shown]
.LBB29_48:
	global_load_b64 v[2:3], v7, s[6:7]
	s_mov_b32 s0, 0
	s_mov_b32 s47, -1
	s_mov_b32 s52, s77
	s_mov_b32 s54, s76
	;; [unrolled: 1-line block ×3, first 2 shown]
	s_wait_loadcnt 0x0
	v_cmp_eq_u64_e32 vcc_lo, s[16:17], v[2:3]
	s_and_b32 s55, s70, vcc_lo
	s_wait_xcnt 0x0
	s_and_saveexec_b32 s80, s55
	s_cbranch_execz .LBB29_69
; %bb.49:
	global_load_b64 v[2:3], v5, s[8:9]
	s_mov_b32 s54, s76
	s_mov_b32 s53, s73
	s_wait_loadcnt 0x0
	v_cmp_eq_u64_e32 vcc_lo, s[28:29], v[2:3]
	s_and_b32 s52, s69, vcc_lo
	s_wait_xcnt 0x0
	s_and_saveexec_b32 s81, s52
	s_cbranch_execz .LBB29_68
; %bb.50:
	global_load_b64 v[4:5], v4, s[10:11]
	global_load_b64 v[2:3], v6, s[12:13]
	s_mov_b32 s52, 0
	s_wait_loadcnt 0x0
	v_sub_nc_u64_e32 v[6:7], v[2:3], v[4:5]
	s_delay_alu instid0(VALU_DEP_1)
	v_cmp_le_i64_e32 vcc_lo, s[16:17], v[6:7]
	v_cmp_ge_i64_e64 s0, s[18:19], v[6:7]
	s_and_b32 s47, vcc_lo, s0
	s_mov_b32 s0, -1
	s_and_b32 s53, s68, s47
	s_mov_b32 s47, s73
	s_and_saveexec_b32 s82, s53
	s_cbranch_execz .LBB29_67
; %bb.51:
	v_cmp_lt_i64_e64 s0, s[28:29], 1
	v_mov_b64_e32 v[6:7], 0
	s_xor_b32 s47, s41, -1
	s_delay_alu instid0(SALU_CYCLE_1) | instskip(NEXT) | instid1(SALU_CYCLE_1)
	s_or_b32 s0, s0, s47
	s_and_b32 vcc_lo, exec_lo, s0
	s_cbranch_vccnz .LBB29_58
; %bb.52:
	global_load_b64 v[6:7], v8, s[14:15]
	s_mov_b32 s53, 0
	s_wait_xcnt 0x0
	v_mov_b32_e32 v8, 0
	s_mov_b32 s47, s53
	s_mov_b64 s[54:55], 0xffffffff
	s_lshl_b64 s[56:57], s[46:47], 3
	s_mov_b32 s47, s30
	s_add_nc_u64 s[56:57], s[2:3], s[56:57]
	s_delay_alu instid0(SALU_CYCLE_1)
	s_add_nc_u64 s[56:57], s[56:57], 0x298
	s_wait_loadcnt 0x0
	v_mul_u64_e32 v[10:11], s[28:29], v[6:7]
	v_mov_b64_e32 v[6:7], 0
	s_branch .LBB29_54
.LBB29_53:                              ;   in Loop: Header=BB29_54 Depth=1
	s_or_b32 exec_lo, exec_lo, s0
	s_delay_alu instid0(VALU_DEP_1)
	v_mul_u64_e32 v[16:17], s[58:59], v[12:13]
	s_load_b64 s[58:59], s[56:57], 0x40
	s_add_co_i32 s47, s47, -1
	s_wait_xcnt 0x0
	s_add_nc_u64 s[56:57], s[56:57], -8
	s_cmp_lg_u32 s47, 0
	s_delay_alu instid0(VALU_DEP_1) | instskip(SKIP_1) | instid1(VALU_DEP_1)
	v_sub_nc_u64_e32 v[10:11], v[10:11], v[16:17]
	s_wait_kmcnt 0x0
	v_mad_nc_u64_u32 v[6:7], v10, s58, v[6:7]
	s_delay_alu instid0(VALU_DEP_1) | instskip(NEXT) | instid1(VALU_DEP_1)
	v_mad_u32 v1, v11, s58, v7
	v_mad_u32 v7, v10, s59, v1
	v_mov_b64_e32 v[10:11], v[12:13]
	s_cbranch_scc0 .LBB29_58
.LBB29_54:                              ; =>This Inner Loop Header: Depth=1
	s_load_b64 s[58:59], s[56:57], 0x0
                                        ; implicit-def: $vgpr12_vgpr13
	s_mov_b32 s0, exec_lo
	s_wait_kmcnt 0x0
	s_delay_alu instid0(VALU_DEP_1) | instskip(NEXT) | instid1(VALU_DEP_1)
	v_or_b32_e32 v9, s59, v11
	v_cmpx_ne_u64_e32 0, v[8:9]
	s_xor_b32 s83, exec_lo, s0
	s_cbranch_execz .LBB29_56
; %bb.55:                               ;   in Loop: Header=BB29_54 Depth=1
	s_ashr_i32 s60, s59, 31
	v_dual_mov_b32 v19, v8 :: v_dual_ashrrev_i32 v12, 31, v11
	s_mov_b32 s61, s60
	v_mov_b32_e32 v23, v8
	s_add_nc_u64 s[62:63], s[58:59], s[60:61]
	s_delay_alu instid0(VALU_DEP_2)
	v_mov_b32_e32 v13, v12
	s_xor_b64 s[62:63], s[62:63], s[60:61]
	v_mov_b32_e32 v27, v8
	s_cvt_f32_u32 s0, s62
	s_cvt_f32_u32 s52, s63
	s_sub_nc_u64 s[88:89], 0, s[62:63]
	v_add_nc_u64_e32 v[16:17], v[10:11], v[12:13]
	s_delay_alu instid0(SALU_CYCLE_1) | instskip(NEXT) | instid1(SALU_CYCLE_3)
	s_fmamk_f32 s0, s52, 0x4f800000, s0
	v_s_rcp_f32 s0, s0
	s_delay_alu instid0(VALU_DEP_1) | instskip(NEXT) | instid1(VALU_DEP_2)
	v_xor_b32_e32 v22, v17, v12
	v_xor_b32_e32 v18, v16, v12
	s_delay_alu instid0(TRANS32_DEP_1) | instskip(NEXT) | instid1(SALU_CYCLE_3)
	s_mul_f32 s0, s0, 0x5f7ffffc
	s_mul_f32 s52, s0, 0x2f800000
	s_delay_alu instid0(SALU_CYCLE_3) | instskip(NEXT) | instid1(SALU_CYCLE_3)
	s_trunc_f32 s52, s52
	s_fmamk_f32 s0, s52, 0xcf800000, s0
	s_cvt_u32_f32 s87, s52
	s_delay_alu instid0(SALU_CYCLE_2) | instskip(NEXT) | instid1(SALU_CYCLE_3)
	s_cvt_u32_f32 s86, s0
	s_mul_u64 s[90:91], s[88:89], s[86:87]
	s_delay_alu instid0(SALU_CYCLE_1)
	s_mul_hi_u32 s93, s86, s91
	s_mul_i32 s92, s86, s91
	s_mul_hi_u32 s52, s86, s90
	s_mul_i32 s61, s87, s90
	s_add_nc_u64 s[92:93], s[52:53], s[92:93]
	s_mul_hi_u32 s0, s87, s90
	s_mul_hi_u32 s85, s87, s91
	s_add_co_u32 s52, s92, s61
	s_add_co_ci_u32 s52, s93, s0
	s_mul_i32 s90, s87, s91
	s_add_co_ci_u32 s91, s85, 0
	s_delay_alu instid0(SALU_CYCLE_1) | instskip(NEXT) | instid1(SALU_CYCLE_1)
	s_add_nc_u64 s[90:91], s[52:53], s[90:91]
	s_add_co_u32 s86, s86, s90
	s_cselect_b32 s0, -1, 0
	s_delay_alu instid0(SALU_CYCLE_1) | instskip(SKIP_1) | instid1(SALU_CYCLE_1)
	s_cmp_lg_u32 s0, 0
	s_add_co_ci_u32 s87, s87, s91
	s_mul_u64 s[88:89], s[88:89], s[86:87]
	s_delay_alu instid0(SALU_CYCLE_1)
	s_mul_hi_u32 s91, s86, s89
	s_mul_i32 s90, s86, s89
	s_mul_hi_u32 s52, s86, s88
	s_mul_i32 s61, s87, s88
	s_add_nc_u64 s[90:91], s[52:53], s[90:91]
	s_mul_hi_u32 s0, s87, s88
	s_mul_hi_u32 s85, s87, s89
	s_add_co_u32 s52, s90, s61
	s_add_co_ci_u32 s52, s91, s0
	s_mul_i32 s88, s87, s89
	s_add_co_ci_u32 s89, s85, 0
	s_delay_alu instid0(SALU_CYCLE_1) | instskip(NEXT) | instid1(SALU_CYCLE_1)
	s_add_nc_u64 s[88:89], s[52:53], s[88:89]
	s_add_co_u32 s0, s86, s88
	s_cselect_b32 s52, -1, 0
	v_mul_hi_u32 v26, v18, s0
	s_cmp_lg_u32 s52, 0
	s_add_co_ci_u32 s52, s87, s89
	s_and_b64 s[86:87], s[0:1], s[54:55]
	v_mul_u64_e32 v[20:21], s[52:53], v[18:19]
	v_mul_u64_e32 v[16:17], s[86:87], v[22:23]
	;; [unrolled: 1-line block ×3, first 2 shown]
	s_delay_alu instid0(VALU_DEP_3) | instskip(NEXT) | instid1(VALU_DEP_1)
	v_add_nc_u64_e32 v[20:21], v[26:27], v[20:21]
	v_add_co_u32 v1, vcc_lo, v20, v16
	s_delay_alu instid0(VALU_DEP_2) | instskip(NEXT) | instid1(VALU_DEP_4)
	v_add_co_ci_u32_e32 v26, vcc_lo, v21, v17, vcc_lo
	v_add_co_ci_u32_e32 v25, vcc_lo, 0, v25, vcc_lo
	s_delay_alu instid0(VALU_DEP_1) | instskip(NEXT) | instid1(VALU_DEP_1)
	v_add_nc_u64_e32 v[16:17], v[26:27], v[24:25]
	v_mul_u64_e32 v[20:21], s[62:63], v[16:17]
	s_delay_alu instid0(VALU_DEP_1) | instskip(NEXT) | instid1(VALU_DEP_2)
	v_sub_nc_u32_e32 v1, v22, v21
	v_sub_co_u32 v9, vcc_lo, v18, v20
	s_delay_alu instid0(VALU_DEP_1) | instskip(NEXT) | instid1(VALU_DEP_3)
	v_sub_co_ci_u32_e64 v15, null, v22, v21, vcc_lo
	v_subrev_co_ci_u32_e64 v1, null, s63, v1, vcc_lo
	s_delay_alu instid0(VALU_DEP_3) | instskip(SKIP_1) | instid1(VALU_DEP_3)
	v_sub_co_u32 v13, s0, v9, s62
	v_add_nc_u64_e32 v[20:21], 1, v[16:17]
	v_subrev_co_ci_u32_e64 v1, null, 0, v1, s0
	s_delay_alu instid0(VALU_DEP_3) | instskip(SKIP_1) | instid1(VALU_DEP_3)
	v_cmp_le_u32_e32 vcc_lo, s62, v13
	v_cndmask_b32_e64 v13, 0, -1, vcc_lo
	v_cmp_le_u32_e32 vcc_lo, s63, v1
	v_cndmask_b32_e64 v18, 0, -1, vcc_lo
	;; [unrolled: 2-line block ×4, first 2 shown]
	v_cmp_eq_u32_e32 vcc_lo, s63, v1
	v_cndmask_b32_e32 v1, v18, v13, vcc_lo
	v_cmp_eq_u32_e32 vcc_lo, s63, v15
	v_add_nc_u64_e32 v[18:19], 2, v[16:17]
	v_cndmask_b32_e32 v9, v22, v9, vcc_lo
	s_delay_alu instid0(VALU_DEP_4) | instskip(NEXT) | instid1(VALU_DEP_3)
	v_cmp_ne_u32_e32 vcc_lo, 0, v1
	v_cndmask_b32_e32 v1, v21, v19, vcc_lo
	s_delay_alu instid0(VALU_DEP_3) | instskip(SKIP_1) | instid1(VALU_DEP_2)
	v_cmp_ne_u32_e64 s0, 0, v9
	v_dual_cndmask_b32 v9, v20, v18, vcc_lo :: v_dual_bitop2_b32 v12, s60, v12 bitop3:0x14
	v_cndmask_b32_e64 v1, v17, v1, s0
	s_delay_alu instid0(VALU_DEP_1) | instskip(NEXT) | instid1(VALU_DEP_1)
	v_dual_cndmask_b32 v9, v16, v9, s0 :: v_dual_bitop2_b32 v17, v1, v12 bitop3:0x14
	v_dual_mov_b32 v13, v12 :: v_dual_bitop2_b32 v16, v9, v12 bitop3:0x14
	s_delay_alu instid0(VALU_DEP_1)
	v_sub_nc_u64_e32 v[12:13], v[16:17], v[12:13]
.LBB29_56:                              ;   in Loop: Header=BB29_54 Depth=1
	s_and_not1_saveexec_b32 s0, s83
	s_cbranch_execz .LBB29_53
; %bb.57:                               ;   in Loop: Header=BB29_54 Depth=1
	v_cvt_f32_u32_e32 v1, s58
	s_sub_co_i32 s52, 0, s58
	s_delay_alu instid0(VALU_DEP_1) | instskip(SKIP_1) | instid1(TRANS32_DEP_1)
	v_rcp_iflag_f32_e32 v1, v1
	v_nop
	v_mul_f32_e32 v1, 0x4f7ffffe, v1
	s_delay_alu instid0(VALU_DEP_1) | instskip(NEXT) | instid1(VALU_DEP_1)
	v_cvt_u32_f32_e32 v1, v1
	v_mul_lo_u32 v9, s52, v1
	s_delay_alu instid0(VALU_DEP_1) | instskip(NEXT) | instid1(VALU_DEP_1)
	v_mul_hi_u32 v9, v1, v9
	v_add_nc_u32_e32 v1, v1, v9
	s_delay_alu instid0(VALU_DEP_1) | instskip(NEXT) | instid1(VALU_DEP_1)
	v_mul_hi_u32 v1, v10, v1
	v_mul_lo_u32 v9, v1, s58
	v_add_nc_u32_e32 v12, 1, v1
	s_delay_alu instid0(VALU_DEP_2) | instskip(NEXT) | instid1(VALU_DEP_1)
	v_sub_nc_u32_e32 v9, v10, v9
	v_subrev_nc_u32_e32 v13, s58, v9
	v_cmp_le_u32_e32 vcc_lo, s58, v9
	s_delay_alu instid0(VALU_DEP_2) | instskip(SKIP_1) | instid1(VALU_DEP_2)
	v_dual_cndmask_b32 v9, v9, v13, vcc_lo :: v_dual_mov_b32 v13, v8
	v_cndmask_b32_e32 v1, v1, v12, vcc_lo
	v_cmp_le_u32_e32 vcc_lo, s58, v9
	s_delay_alu instid0(VALU_DEP_2) | instskip(NEXT) | instid1(VALU_DEP_1)
	v_add_nc_u32_e32 v12, 1, v1
	v_cndmask_b32_e32 v12, v1, v12, vcc_lo
	s_branch .LBB29_53
.LBB29_58:
	s_mov_b32 s53, -1
	s_mov_b32 s47, s73
	s_mov_b32 s0, exec_lo
	v_cmpx_gt_i64_e64 v[2:3], v[4:5]
	s_cbranch_execz .LBB29_64
; %bb.59:
	s_delay_alu instid0(VALU_DEP_2) | instskip(SKIP_2) | instid1(VALU_DEP_1)
	v_lshlrev_b64_e32 v[6:7], 3, v[6:7]
	s_mov_b32 s47, 0
	s_xor_b32 s53, s31, -1
                                        ; implicit-def: $sgpr52
                                        ; implicit-def: $sgpr55
                                        ; implicit-def: $sgpr54
	v_lshl_add_u64 v[4:5], v[4:5], 3, v[6:7]
	v_add_nc_u64_e32 v[6:7], s[44:45], v[6:7]
	s_delay_alu instid0(VALU_DEP_2) | instskip(NEXT) | instid1(VALU_DEP_2)
	v_add_nc_u64_e32 v[4:5], s[44:45], v[4:5]
	v_lshl_add_u64 v[2:3], v[2:3], 3, v[6:7]
	s_delay_alu instid0(VALU_DEP_2)
	v_add_nc_u64_e32 v[4:5], 8, v[4:5]
	s_branch .LBB29_61
.LBB29_60:                              ;   in Loop: Header=BB29_61 Depth=1
	s_or_b32 exec_lo, exec_lo, s56
	s_delay_alu instid0(SALU_CYCLE_1) | instskip(NEXT) | instid1(SALU_CYCLE_1)
	s_and_b32 s56, exec_lo, s55
	s_or_b32 s47, s56, s47
	s_and_not1_b32 s52, s52, exec_lo
	s_and_b32 s56, s54, exec_lo
	s_delay_alu instid0(SALU_CYCLE_1)
	s_or_b32 s52, s52, s56
	s_and_not1_b32 exec_lo, exec_lo, s47
	s_cbranch_execz .LBB29_63
.LBB29_61:                              ; =>This Inner Loop Header: Depth=1
	s_or_b32 s54, s54, exec_lo
	s_or_b32 s55, s55, exec_lo
	s_mov_b32 s56, exec_lo
	s_delay_alu instid0(VALU_DEP_1)
	v_cmpx_lt_u64_e64 v[4:5], v[2:3]
	s_cbranch_execz .LBB29_60
; %bb.62:                               ;   in Loop: Header=BB29_61 Depth=1
	global_load_b128 v[6:9], v[4:5], off offset:-8
	s_wait_xcnt 0x0
	v_add_nc_u64_e32 v[4:5], 8, v[4:5]
	s_and_not1_b32 s55, s55, exec_lo
	s_and_not1_b32 s54, s54, exec_lo
	s_wait_loadcnt 0x0
	v_cmp_ge_i64_e32 vcc_lo, v[6:7], v[8:9]
	s_or_b32 s57, s53, vcc_lo
	s_delay_alu instid0(SALU_CYCLE_1) | instskip(NEXT) | instid1(SALU_CYCLE_1)
	s_and_b32 s57, s57, exec_lo
	s_or_b32 s55, s55, s57
	s_branch .LBB29_60
.LBB29_63:
	s_or_b32 exec_lo, exec_lo, s47
	s_delay_alu instid0(SALU_CYCLE_1)
	s_or_b32 s47, s73, exec_lo
	s_or_not1_b32 s53, s52, exec_lo
.LBB29_64:
	s_or_b32 exec_lo, exec_lo, s0
	s_mov_b32 s52, 0
	s_and_saveexec_b32 s0, s53
	s_cbranch_execz .LBB29_66
; %bb.65:
	v_mov_b64_e32 v[2:3], 0
	v_add_nc_u32_e32 v0, 0x80, v0
	s_mov_b32 s52, exec_lo
	s_and_not1_b32 s47, s47, exec_lo
	global_store_b64 v14, v[2:3], s[4:5]
.LBB29_66:
	s_wait_xcnt 0x0
	s_or_b32 exec_lo, exec_lo, s0
	s_delay_alu instid0(SALU_CYCLE_1)
	s_and_not1_b32 s0, s73, exec_lo
	s_and_b32 s47, s47, exec_lo
	s_and_b32 s52, s52, exec_lo
	s_or_b32 s47, s0, s47
	s_xor_b32 s0, exec_lo, -1
.LBB29_67:
	s_or_b32 exec_lo, exec_lo, s82
	s_delay_alu instid0(SALU_CYCLE_1)
	s_and_not1_b32 s53, s73, exec_lo
	s_and_b32 s47, s47, exec_lo
	s_and_not1_b32 s54, s76, exec_lo
	s_and_b32 s0, s0, exec_lo
	s_or_b32 s53, s53, s47
	s_or_b32 s54, s54, s0
	s_xor_b32 s47, exec_lo, -1
	s_and_b32 s0, s52, exec_lo
.LBB29_68:
	s_or_b32 exec_lo, exec_lo, s81
	s_delay_alu instid0(SALU_CYCLE_1)
	s_and_not1_b32 s52, s73, exec_lo
	s_and_b32 s53, s53, exec_lo
	s_and_b32 s54, s54, exec_lo
	s_or_b32 s53, s52, s53
	s_and_not1_b32 s52, s76, exec_lo
	s_and_not1_b32 s55, s77, exec_lo
	s_and_b32 s47, s47, exec_lo
	s_or_b32 s54, s52, s54
	s_or_b32 s52, s55, s47
	s_xor_b32 s47, exec_lo, -1
	s_and_b32 s0, s0, exec_lo
.LBB29_69:
	s_or_b32 exec_lo, exec_lo, s80
	s_delay_alu instid0(SALU_CYCLE_1)
	s_and_not1_b32 s55, s73, exec_lo
	s_and_b32 s53, s53, exec_lo
	s_and_not1_b32 s56, s76, exec_lo
	s_and_b32 s54, s54, exec_lo
	s_or_b32 s81, s55, s53
	s_or_b32 s82, s56, s54
	s_and_not1_b32 s53, s77, exec_lo
	s_and_b32 s52, s52, exec_lo
	s_and_not1_b32 s54, s78, exec_lo
	s_and_b32 s47, s47, exec_lo
	s_or_b32 s83, s53, s52
	s_or_b32 s80, s54, s47
	s_or_not1_b32 s47, s0, exec_lo
.LBB29_70:
	s_or_b32 exec_lo, exec_lo, s84
	s_mov_b32 s0, 0
                                        ; implicit-def: $vgpr12
                                        ; implicit-def: $vgpr4
                                        ; implicit-def: $vgpr7
                                        ; implicit-def: $vgpr6
                                        ; implicit-def: $vgpr5
	s_and_saveexec_b32 s84, s47
	s_cbranch_execz .LBB29_123
; %bb.71:
	s_mov_b32 s53, -1
	s_mov_b32 s0, s80
	s_mov_b32 s56, s83
	;; [unrolled: 1-line block ×4, first 2 shown]
	s_mov_b32 s85, exec_lo
	v_cmpx_gt_i32_e64 s74, v0
	s_cbranch_execz .LBB29_106
; %bb.72:
	s_and_not1_b32 vcc_lo, exec_lo, s66
	s_cbranch_vccnz .LBB29_78
; %bb.73:
	s_and_not1_b32 vcc_lo, exec_lo, s75
	s_cbranch_vccnz .LBB29_79
; %bb.74:
	v_dual_mov_b32 v6, 0 :: v_dual_mov_b32 v1, v0
	v_dual_mov_b32 v8, 0 :: v_dual_mov_b32 v5, 0
	;; [unrolled: 1-line block ×3, first 2 shown]
	v_mov_b32_e32 v7, 0
	s_add_co_i32 s0, s72, 1
	s_mov_b64 s[52:53], 0xffffffffffffffd0
	s_and_b32 s0, s0, 30
	s_add_nc_u64 s[52:53], s[2:3], s[52:53]
	s_mov_b64 s[54:55], s[2:3]
.LBB29_75:                              ; =>This Inner Loop Header: Depth=1
	s_clause 0x1
	s_load_b128 s[88:91], s[54:55], 0x4
	s_load_b64 s[86:87], s[54:55], 0x14
	s_clause 0x1
	s_load_b256 s[56:63], s[52:53], 0xf4
	s_load_b128 s[92:95], s[52:53], 0x114
	s_add_co_i32 s0, s0, -2
	s_wait_xcnt 0x0
	s_add_nc_u64 s[54:55], s[54:55], 24
	s_cmp_eq_u32 s0, 0
	s_add_nc_u64 s[52:53], s[52:53], 48
	s_wait_kmcnt 0x0
	v_mul_hi_u32 v2, s89, v1
	s_delay_alu instid0(VALU_DEP_1) | instskip(NEXT) | instid1(VALU_DEP_1)
	v_add_nc_u32_e32 v2, v1, v2
	v_lshrrev_b32_e32 v2, s90, v2
	s_delay_alu instid0(VALU_DEP_1) | instskip(SKIP_1) | instid1(VALU_DEP_1)
	v_mul_hi_u32 v3, s86, v2
	v_mul_lo_u32 v9, v2, s88
	v_dual_add_nc_u32 v3, v2, v3 :: v_dual_sub_nc_u32 v9, v1, v9
	s_delay_alu instid0(VALU_DEP_1) | instskip(NEXT) | instid1(VALU_DEP_2)
	v_lshrrev_b32_e32 v1, s87, v3
	v_mad_u32 v3, v9, s57, v7
	v_mad_u32 v10, v9, s56, v14
	;; [unrolled: 1-line block ×4, first 2 shown]
	v_mul_lo_u32 v7, v1, s91
	v_mad_u32 v8, s61, v9, v8
	v_mad_u32 v6, s60, v9, v6
	s_delay_alu instid0(VALU_DEP_3) | instskip(NEXT) | instid1(VALU_DEP_1)
	v_sub_nc_u32_e32 v2, v2, v7
	v_mad_u32 v7, v2, s63, v3
	v_mad_u32 v14, v2, s62, v10
	;; [unrolled: 1-line block ×6, first 2 shown]
	s_cbranch_scc0 .LBB29_75
; %bb.76:
	s_bitcmp1_b32 s72, 0
	s_cselect_b32 s0, -1, 0
	s_delay_alu instid0(SALU_CYCLE_1)
	s_and_b32 vcc_lo, exec_lo, s0
	s_cbranch_vccnz .LBB29_80
; %bb.77:
	s_load_b96 s[60:62], s[54:55], 0x4
	s_load_b128 s[56:59], s[52:53], 0xf4
	s_wait_xcnt 0x0
	s_load_b64 s[54:55], s[52:53], 0x104
	s_wait_kmcnt 0x0
	v_mul_hi_u32 v2, s61, v1
	s_delay_alu instid0(VALU_DEP_1) | instskip(NEXT) | instid1(VALU_DEP_1)
	v_add_nc_u32_e32 v2, v1, v2
	v_lshrrev_b32_e32 v2, s62, v2
	s_delay_alu instid0(VALU_DEP_1) | instskip(NEXT) | instid1(VALU_DEP_1)
	v_mul_lo_u32 v2, v2, s60
	v_sub_nc_u32_e32 v1, v1, v2
	s_delay_alu instid0(VALU_DEP_1)
	v_mad_u32 v14, v1, s56, v14
	v_mad_u32 v7, v1, s57, v7
	;; [unrolled: 1-line block ×6, first 2 shown]
	s_branch .LBB29_80
.LBB29_78:
	s_mov_b32 s0, -1
                                        ; implicit-def: $vgpr7
                                        ; implicit-def: $vgpr14
                                        ; implicit-def: $vgpr4
                                        ; implicit-def: $vgpr5
                                        ; implicit-def: $vgpr8
                                        ; implicit-def: $vgpr6
	s_branch .LBB29_81
.LBB29_79:
	v_dual_mov_b32 v7, 0 :: v_dual_mov_b32 v14, 0
	v_dual_mov_b32 v4, 0 :: v_dual_mov_b32 v5, 0
	;; [unrolled: 1-line block ×3, first 2 shown]
.LBB29_80:
	s_mov_b32 s0, 0
.LBB29_81:
	s_delay_alu instid0(SALU_CYCLE_1)
	s_and_not1_b32 vcc_lo, exec_lo, s0
	s_cbranch_vccnz .LBB29_84
; %bb.82:
	v_mov_b32_e32 v1, 0
	s_and_not1_b32 vcc_lo, exec_lo, s71
	s_delay_alu instid0(VALU_DEP_1) | instskip(NEXT) | instid1(VALU_DEP_1)
	v_mul_u64_e32 v[2:3], s[48:49], v[0:1]
	v_add_nc_u32_e32 v2, v0, v3
	s_delay_alu instid0(VALU_DEP_1) | instskip(NEXT) | instid1(VALU_DEP_1)
	v_lshrrev_b32_e32 v2, s42, v2
	v_mul_lo_u32 v3, v2, s40
	s_delay_alu instid0(VALU_DEP_1) | instskip(NEXT) | instid1(VALU_DEP_1)
	v_sub_nc_u32_e32 v3, v0, v3
	v_mul_lo_u32 v7, v3, s21
	v_mul_lo_u32 v14, v3, s20
	;; [unrolled: 1-line block ×6, first 2 shown]
	s_cbranch_vccnz .LBB29_84
; %bb.83:
	v_mov_b32_e32 v3, v1
	s_delay_alu instid0(VALU_DEP_1) | instskip(NEXT) | instid1(VALU_DEP_1)
	v_mul_u64_e32 v[10:11], s[50:51], v[2:3]
	v_add_nc_u32_e32 v1, v2, v11
	s_delay_alu instid0(VALU_DEP_1) | instskip(NEXT) | instid1(VALU_DEP_1)
	v_lshrrev_b32_e32 v1, s1, v1
	v_mul_lo_u32 v1, v1, s43
	s_delay_alu instid0(VALU_DEP_1) | instskip(NEXT) | instid1(VALU_DEP_1)
	v_sub_nc_u32_e32 v1, v2, v1
	v_mad_u32 v14, v1, s26, v14
	v_mad_u32 v7, v1, s27, v7
	;; [unrolled: 1-line block ×6, first 2 shown]
.LBB29_84:
	global_load_b64 v[2:3], v7, s[6:7]
	s_mov_b32 s52, 0
	s_mov_b32 s0, -1
	s_mov_b32 s53, s83
	s_mov_b32 s55, s82
	;; [unrolled: 1-line block ×3, first 2 shown]
	s_wait_loadcnt 0x0
	v_cmp_eq_u64_e32 vcc_lo, s[16:17], v[2:3]
	s_and_b32 s47, s70, vcc_lo
	s_wait_xcnt 0x0
	s_and_saveexec_b32 s86, s47
	s_cbranch_execz .LBB29_105
; %bb.85:
	global_load_b64 v[2:3], v5, s[8:9]
	s_mov_b32 s47, 0
	s_mov_b32 s52, s82
	;; [unrolled: 1-line block ×3, first 2 shown]
	s_wait_loadcnt 0x0
	v_cmp_eq_u64_e32 vcc_lo, s[28:29], v[2:3]
	s_and_b32 s54, s69, vcc_lo
	s_wait_xcnt 0x0
	s_and_saveexec_b32 s87, s54
	s_cbranch_execz .LBB29_104
; %bb.86:
	global_load_b64 v[4:5], v4, s[10:11]
	global_load_b64 v[2:3], v6, s[12:13]
	s_mov_b32 s53, s81
	s_wait_loadcnt 0x0
	v_sub_nc_u64_e32 v[6:7], v[2:3], v[4:5]
	s_delay_alu instid0(VALU_DEP_1) | instskip(SKIP_4) | instid1(SALU_CYCLE_1)
	v_cmp_le_i64_e32 vcc_lo, s[16:17], v[6:7]
	v_cmp_ge_i64_e64 s0, s[18:19], v[6:7]
	s_and_b32 s52, vcc_lo, s0
	s_mov_b32 s0, -1
	s_and_b32 s52, s68, s52
	s_and_saveexec_b32 s88, s52
	s_cbranch_execz .LBB29_103
; %bb.87:
	v_cmp_lt_i64_e64 s0, s[28:29], 1
	v_mov_b64_e32 v[6:7], 0
	s_xor_b32 s47, s41, -1
	s_delay_alu instid0(SALU_CYCLE_1) | instskip(NEXT) | instid1(SALU_CYCLE_1)
	s_or_b32 s0, s0, s47
	s_and_b32 vcc_lo, exec_lo, s0
	s_cbranch_vccnz .LBB29_94
; %bb.88:
	global_load_b64 v[6:7], v8, s[14:15]
	s_mov_b32 s53, 0
	s_wait_xcnt 0x0
	v_mov_b32_e32 v8, 0
	s_mov_b32 s47, s53
	s_mov_b64 s[54:55], 0xffffffff
	s_lshl_b64 s[56:57], s[46:47], 3
	s_mov_b32 s47, s30
	s_add_nc_u64 s[56:57], s[2:3], s[56:57]
	s_delay_alu instid0(SALU_CYCLE_1)
	s_add_nc_u64 s[56:57], s[56:57], 0x298
	s_wait_loadcnt 0x0
	v_mul_u64_e32 v[10:11], s[28:29], v[6:7]
	v_mov_b64_e32 v[6:7], 0
	s_branch .LBB29_90
.LBB29_89:                              ;   in Loop: Header=BB29_90 Depth=1
	s_or_b32 exec_lo, exec_lo, s0
	s_delay_alu instid0(VALU_DEP_1)
	v_mul_u64_e32 v[16:17], s[58:59], v[12:13]
	s_load_b64 s[58:59], s[56:57], 0x40
	s_add_co_i32 s47, s47, -1
	s_wait_xcnt 0x0
	s_add_nc_u64 s[56:57], s[56:57], -8
	s_cmp_lg_u32 s47, 0
	s_delay_alu instid0(VALU_DEP_1) | instskip(SKIP_1) | instid1(VALU_DEP_1)
	v_sub_nc_u64_e32 v[10:11], v[10:11], v[16:17]
	s_wait_kmcnt 0x0
	v_mad_nc_u64_u32 v[6:7], v10, s58, v[6:7]
	s_delay_alu instid0(VALU_DEP_1) | instskip(NEXT) | instid1(VALU_DEP_1)
	v_mad_u32 v1, v11, s58, v7
	v_mad_u32 v7, v10, s59, v1
	v_mov_b64_e32 v[10:11], v[12:13]
	s_cbranch_scc0 .LBB29_94
.LBB29_90:                              ; =>This Inner Loop Header: Depth=1
	s_load_b64 s[58:59], s[56:57], 0x0
                                        ; implicit-def: $vgpr12_vgpr13
	s_mov_b32 s0, exec_lo
	s_wait_kmcnt 0x0
	s_delay_alu instid0(VALU_DEP_1) | instskip(NEXT) | instid1(VALU_DEP_1)
	v_or_b32_e32 v9, s59, v11
	v_cmpx_ne_u64_e32 0, v[8:9]
	s_xor_b32 s89, exec_lo, s0
	s_cbranch_execz .LBB29_92
; %bb.91:                               ;   in Loop: Header=BB29_90 Depth=1
	s_ashr_i32 s60, s59, 31
	v_dual_mov_b32 v19, v8 :: v_dual_ashrrev_i32 v12, 31, v11
	s_mov_b32 s61, s60
	v_mov_b32_e32 v23, v8
	s_add_nc_u64 s[62:63], s[58:59], s[60:61]
	s_delay_alu instid0(VALU_DEP_2)
	v_mov_b32_e32 v13, v12
	s_xor_b64 s[62:63], s[62:63], s[60:61]
	v_mov_b32_e32 v27, v8
	s_cvt_f32_u32 s0, s62
	s_cvt_f32_u32 s52, s63
	s_sub_nc_u64 s[92:93], 0, s[62:63]
	v_add_nc_u64_e32 v[16:17], v[10:11], v[12:13]
	s_delay_alu instid0(SALU_CYCLE_1) | instskip(NEXT) | instid1(SALU_CYCLE_3)
	s_fmamk_f32 s0, s52, 0x4f800000, s0
	v_s_rcp_f32 s0, s0
	s_delay_alu instid0(VALU_DEP_1) | instskip(NEXT) | instid1(VALU_DEP_2)
	v_xor_b32_e32 v22, v17, v12
	v_xor_b32_e32 v18, v16, v12
	s_delay_alu instid0(TRANS32_DEP_1) | instskip(NEXT) | instid1(SALU_CYCLE_3)
	s_mul_f32 s0, s0, 0x5f7ffffc
	s_mul_f32 s52, s0, 0x2f800000
	s_delay_alu instid0(SALU_CYCLE_3) | instskip(NEXT) | instid1(SALU_CYCLE_3)
	s_trunc_f32 s52, s52
	s_fmamk_f32 s0, s52, 0xcf800000, s0
	s_cvt_u32_f32 s91, s52
	s_delay_alu instid0(SALU_CYCLE_2) | instskip(NEXT) | instid1(SALU_CYCLE_3)
	s_cvt_u32_f32 s90, s0
	s_mul_u64 s[94:95], s[92:93], s[90:91]
	s_delay_alu instid0(SALU_CYCLE_1)
	s_mul_hi_u32 s97, s90, s95
	s_mul_i32 s96, s90, s95
	s_mul_hi_u32 s52, s90, s94
	s_mul_i32 s61, s91, s94
	s_add_nc_u64 s[96:97], s[52:53], s[96:97]
	s_mul_hi_u32 s0, s91, s94
	s_mul_hi_u32 s98, s91, s95
	s_add_co_u32 s52, s96, s61
	s_add_co_ci_u32 s52, s97, s0
	s_mul_i32 s94, s91, s95
	s_add_co_ci_u32 s95, s98, 0
	s_delay_alu instid0(SALU_CYCLE_1) | instskip(NEXT) | instid1(SALU_CYCLE_1)
	s_add_nc_u64 s[94:95], s[52:53], s[94:95]
	s_add_co_u32 s90, s90, s94
	s_cselect_b32 s0, -1, 0
	s_delay_alu instid0(SALU_CYCLE_1) | instskip(SKIP_1) | instid1(SALU_CYCLE_1)
	s_cmp_lg_u32 s0, 0
	s_add_co_ci_u32 s91, s91, s95
	s_mul_u64 s[92:93], s[92:93], s[90:91]
	s_delay_alu instid0(SALU_CYCLE_1)
	s_mul_hi_u32 s95, s90, s93
	s_mul_i32 s94, s90, s93
	s_mul_hi_u32 s52, s90, s92
	s_mul_i32 s61, s91, s92
	s_add_nc_u64 s[94:95], s[52:53], s[94:95]
	s_mul_hi_u32 s0, s91, s92
	s_mul_hi_u32 s96, s91, s93
	s_add_co_u32 s52, s94, s61
	s_add_co_ci_u32 s52, s95, s0
	s_mul_i32 s92, s91, s93
	s_add_co_ci_u32 s93, s96, 0
	s_delay_alu instid0(SALU_CYCLE_1) | instskip(NEXT) | instid1(SALU_CYCLE_1)
	s_add_nc_u64 s[92:93], s[52:53], s[92:93]
	s_add_co_u32 s0, s90, s92
	s_cselect_b32 s52, -1, 0
	v_mul_hi_u32 v26, v18, s0
	s_cmp_lg_u32 s52, 0
	s_add_co_ci_u32 s52, s91, s93
	s_and_b64 s[90:91], s[0:1], s[54:55]
	v_mul_u64_e32 v[20:21], s[52:53], v[18:19]
	v_mul_u64_e32 v[16:17], s[90:91], v[22:23]
	;; [unrolled: 1-line block ×3, first 2 shown]
	s_delay_alu instid0(VALU_DEP_3) | instskip(NEXT) | instid1(VALU_DEP_1)
	v_add_nc_u64_e32 v[20:21], v[26:27], v[20:21]
	v_add_co_u32 v1, vcc_lo, v20, v16
	s_delay_alu instid0(VALU_DEP_2) | instskip(NEXT) | instid1(VALU_DEP_4)
	v_add_co_ci_u32_e32 v26, vcc_lo, v21, v17, vcc_lo
	v_add_co_ci_u32_e32 v25, vcc_lo, 0, v25, vcc_lo
	s_delay_alu instid0(VALU_DEP_1) | instskip(NEXT) | instid1(VALU_DEP_1)
	v_add_nc_u64_e32 v[16:17], v[26:27], v[24:25]
	v_mul_u64_e32 v[20:21], s[62:63], v[16:17]
	s_delay_alu instid0(VALU_DEP_1) | instskip(NEXT) | instid1(VALU_DEP_2)
	v_sub_nc_u32_e32 v1, v22, v21
	v_sub_co_u32 v9, vcc_lo, v18, v20
	s_delay_alu instid0(VALU_DEP_1) | instskip(NEXT) | instid1(VALU_DEP_3)
	v_sub_co_ci_u32_e64 v15, null, v22, v21, vcc_lo
	v_subrev_co_ci_u32_e64 v1, null, s63, v1, vcc_lo
	s_delay_alu instid0(VALU_DEP_3) | instskip(SKIP_1) | instid1(VALU_DEP_3)
	v_sub_co_u32 v13, s0, v9, s62
	v_add_nc_u64_e32 v[20:21], 1, v[16:17]
	v_subrev_co_ci_u32_e64 v1, null, 0, v1, s0
	s_delay_alu instid0(VALU_DEP_3) | instskip(SKIP_1) | instid1(VALU_DEP_3)
	v_cmp_le_u32_e32 vcc_lo, s62, v13
	v_cndmask_b32_e64 v13, 0, -1, vcc_lo
	v_cmp_le_u32_e32 vcc_lo, s63, v1
	v_cndmask_b32_e64 v18, 0, -1, vcc_lo
	;; [unrolled: 2-line block ×4, first 2 shown]
	v_cmp_eq_u32_e32 vcc_lo, s63, v1
	v_cndmask_b32_e32 v1, v18, v13, vcc_lo
	v_cmp_eq_u32_e32 vcc_lo, s63, v15
	v_add_nc_u64_e32 v[18:19], 2, v[16:17]
	v_cndmask_b32_e32 v9, v22, v9, vcc_lo
	s_delay_alu instid0(VALU_DEP_4) | instskip(NEXT) | instid1(VALU_DEP_3)
	v_cmp_ne_u32_e32 vcc_lo, 0, v1
	v_cndmask_b32_e32 v1, v21, v19, vcc_lo
	s_delay_alu instid0(VALU_DEP_3) | instskip(SKIP_1) | instid1(VALU_DEP_2)
	v_cmp_ne_u32_e64 s0, 0, v9
	v_dual_cndmask_b32 v9, v20, v18, vcc_lo :: v_dual_bitop2_b32 v12, s60, v12 bitop3:0x14
	v_cndmask_b32_e64 v1, v17, v1, s0
	s_delay_alu instid0(VALU_DEP_1) | instskip(NEXT) | instid1(VALU_DEP_1)
	v_dual_cndmask_b32 v9, v16, v9, s0 :: v_dual_bitop2_b32 v17, v1, v12 bitop3:0x14
	v_dual_mov_b32 v13, v12 :: v_dual_bitop2_b32 v16, v9, v12 bitop3:0x14
	s_delay_alu instid0(VALU_DEP_1)
	v_sub_nc_u64_e32 v[12:13], v[16:17], v[12:13]
.LBB29_92:                              ;   in Loop: Header=BB29_90 Depth=1
	s_and_not1_saveexec_b32 s0, s89
	s_cbranch_execz .LBB29_89
; %bb.93:                               ;   in Loop: Header=BB29_90 Depth=1
	v_cvt_f32_u32_e32 v1, s58
	s_sub_co_i32 s52, 0, s58
	s_delay_alu instid0(VALU_DEP_1) | instskip(SKIP_1) | instid1(TRANS32_DEP_1)
	v_rcp_iflag_f32_e32 v1, v1
	v_nop
	v_mul_f32_e32 v1, 0x4f7ffffe, v1
	s_delay_alu instid0(VALU_DEP_1) | instskip(NEXT) | instid1(VALU_DEP_1)
	v_cvt_u32_f32_e32 v1, v1
	v_mul_lo_u32 v9, s52, v1
	s_delay_alu instid0(VALU_DEP_1) | instskip(NEXT) | instid1(VALU_DEP_1)
	v_mul_hi_u32 v9, v1, v9
	v_add_nc_u32_e32 v1, v1, v9
	s_delay_alu instid0(VALU_DEP_1) | instskip(NEXT) | instid1(VALU_DEP_1)
	v_mul_hi_u32 v1, v10, v1
	v_mul_lo_u32 v9, v1, s58
	v_add_nc_u32_e32 v12, 1, v1
	s_delay_alu instid0(VALU_DEP_2) | instskip(NEXT) | instid1(VALU_DEP_1)
	v_sub_nc_u32_e32 v9, v10, v9
	v_subrev_nc_u32_e32 v13, s58, v9
	v_cmp_le_u32_e32 vcc_lo, s58, v9
	s_delay_alu instid0(VALU_DEP_2) | instskip(SKIP_1) | instid1(VALU_DEP_2)
	v_dual_cndmask_b32 v9, v9, v13, vcc_lo :: v_dual_mov_b32 v13, v8
	v_cndmask_b32_e32 v1, v1, v12, vcc_lo
	v_cmp_le_u32_e32 vcc_lo, s58, v9
	s_delay_alu instid0(VALU_DEP_2) | instskip(NEXT) | instid1(VALU_DEP_1)
	v_add_nc_u32_e32 v12, 1, v1
	v_cndmask_b32_e32 v12, v1, v12, vcc_lo
	s_branch .LBB29_89
.LBB29_94:
	s_mov_b32 s53, -1
	s_mov_b32 s47, s81
	s_mov_b32 s0, exec_lo
	v_cmpx_gt_i64_e64 v[2:3], v[4:5]
	s_cbranch_execz .LBB29_100
; %bb.95:
	s_delay_alu instid0(VALU_DEP_2) | instskip(SKIP_2) | instid1(VALU_DEP_1)
	v_lshlrev_b64_e32 v[6:7], 3, v[6:7]
	s_mov_b32 s47, 0
	s_xor_b32 s53, s31, -1
                                        ; implicit-def: $sgpr52
                                        ; implicit-def: $sgpr55
                                        ; implicit-def: $sgpr54
	v_lshl_add_u64 v[4:5], v[4:5], 3, v[6:7]
	v_add_nc_u64_e32 v[6:7], s[44:45], v[6:7]
	s_delay_alu instid0(VALU_DEP_2) | instskip(NEXT) | instid1(VALU_DEP_2)
	v_add_nc_u64_e32 v[4:5], s[44:45], v[4:5]
	v_lshl_add_u64 v[2:3], v[2:3], 3, v[6:7]
	s_delay_alu instid0(VALU_DEP_2)
	v_add_nc_u64_e32 v[4:5], 8, v[4:5]
	s_branch .LBB29_97
.LBB29_96:                              ;   in Loop: Header=BB29_97 Depth=1
	s_or_b32 exec_lo, exec_lo, s56
	s_delay_alu instid0(SALU_CYCLE_1) | instskip(NEXT) | instid1(SALU_CYCLE_1)
	s_and_b32 s56, exec_lo, s55
	s_or_b32 s47, s56, s47
	s_and_not1_b32 s52, s52, exec_lo
	s_and_b32 s56, s54, exec_lo
	s_delay_alu instid0(SALU_CYCLE_1)
	s_or_b32 s52, s52, s56
	s_and_not1_b32 exec_lo, exec_lo, s47
	s_cbranch_execz .LBB29_99
.LBB29_97:                              ; =>This Inner Loop Header: Depth=1
	s_or_b32 s54, s54, exec_lo
	s_or_b32 s55, s55, exec_lo
	s_mov_b32 s56, exec_lo
	s_delay_alu instid0(VALU_DEP_1)
	v_cmpx_lt_u64_e64 v[4:5], v[2:3]
	s_cbranch_execz .LBB29_96
; %bb.98:                               ;   in Loop: Header=BB29_97 Depth=1
	global_load_b128 v[6:9], v[4:5], off offset:-8
	s_wait_xcnt 0x0
	v_add_nc_u64_e32 v[4:5], 8, v[4:5]
	s_and_not1_b32 s55, s55, exec_lo
	s_and_not1_b32 s54, s54, exec_lo
	s_wait_loadcnt 0x0
	v_cmp_ge_i64_e32 vcc_lo, v[6:7], v[8:9]
	s_or_b32 s57, s53, vcc_lo
	s_delay_alu instid0(SALU_CYCLE_1) | instskip(NEXT) | instid1(SALU_CYCLE_1)
	s_and_b32 s57, s57, exec_lo
	s_or_b32 s55, s55, s57
	s_branch .LBB29_96
.LBB29_99:
	s_or_b32 exec_lo, exec_lo, s47
	s_delay_alu instid0(SALU_CYCLE_1)
	s_or_b32 s47, s81, exec_lo
	s_or_not1_b32 s53, s52, exec_lo
.LBB29_100:
	s_or_b32 exec_lo, exec_lo, s0
	s_mov_b32 s52, 0
	s_and_saveexec_b32 s0, s53
	s_cbranch_execz .LBB29_102
; %bb.101:
	v_mov_b64_e32 v[2:3], 0
	v_add_nc_u32_e32 v0, 0x80, v0
	s_mov_b32 s52, exec_lo
	s_and_not1_b32 s47, s47, exec_lo
	global_store_b64 v14, v[2:3], s[4:5]
.LBB29_102:
	s_wait_xcnt 0x0
	s_or_b32 exec_lo, exec_lo, s0
	s_delay_alu instid0(SALU_CYCLE_1) | instskip(SKIP_1) | instid1(SALU_CYCLE_1)
	s_and_not1_b32 s0, s81, exec_lo
	s_and_b32 s47, s47, exec_lo
	s_or_b32 s53, s0, s47
	s_xor_b32 s0, exec_lo, -1
	s_and_b32 s47, s52, exec_lo
.LBB29_103:
	s_or_b32 exec_lo, exec_lo, s88
	s_delay_alu instid0(SALU_CYCLE_1)
	s_and_not1_b32 s52, s81, exec_lo
	s_and_b32 s53, s53, exec_lo
	s_and_not1_b32 s54, s82, exec_lo
	s_and_b32 s0, s0, exec_lo
	s_or_b32 s53, s52, s53
	s_or_b32 s52, s54, s0
	s_xor_b32 s0, exec_lo, -1
	s_and_b32 s47, s47, exec_lo
.LBB29_104:
	s_or_b32 exec_lo, exec_lo, s87
	s_delay_alu instid0(SALU_CYCLE_1)
	s_and_not1_b32 s54, s81, exec_lo
	s_and_b32 s53, s53, exec_lo
	s_and_b32 s52, s52, exec_lo
	s_or_b32 s54, s54, s53
	s_and_not1_b32 s53, s82, exec_lo
	s_and_not1_b32 s56, s83, exec_lo
	s_and_b32 s0, s0, exec_lo
	s_or_b32 s55, s53, s52
	s_or_b32 s53, s56, s0
	s_xor_b32 s0, exec_lo, -1
	s_and_b32 s52, s47, exec_lo
.LBB29_105:
	s_or_b32 exec_lo, exec_lo, s86
	s_delay_alu instid0(SALU_CYCLE_1)
	s_and_not1_b32 s47, s81, exec_lo
	s_and_b32 s54, s54, exec_lo
	s_and_not1_b32 s56, s82, exec_lo
	s_and_b32 s55, s55, exec_lo
	s_or_b32 s57, s47, s54
	s_or_b32 s47, s56, s55
	s_and_not1_b32 s54, s83, exec_lo
	s_and_b32 s53, s53, exec_lo
	s_and_not1_b32 s55, s80, exec_lo
	s_and_b32 s0, s0, exec_lo
	s_or_b32 s56, s54, s53
	s_or_b32 s0, s55, s0
	s_or_not1_b32 s53, s52, exec_lo
.LBB29_106:
	s_or_b32 exec_lo, exec_lo, s85
	s_mov_b32 s52, 0
                                        ; implicit-def: $vgpr12
                                        ; implicit-def: $vgpr4
                                        ; implicit-def: $vgpr7
                                        ; implicit-def: $vgpr6
                                        ; implicit-def: $vgpr5
	s_and_saveexec_b32 s58, s53
	s_cbranch_execz .LBB29_122
; %bb.107:
	s_mov_b32 s53, s0
	s_mov_b32 s59, exec_lo
                                        ; implicit-def: $vgpr12
                                        ; implicit-def: $vgpr4
                                        ; implicit-def: $vgpr7
                                        ; implicit-def: $vgpr6
                                        ; implicit-def: $vgpr5
	v_cmpx_gt_i32_e64 s74, v0
	s_cbranch_execz .LBB29_121
; %bb.108:
	s_and_not1_b32 vcc_lo, exec_lo, s66
	s_cbranch_vccnz .LBB29_114
; %bb.109:
	s_and_not1_b32 vcc_lo, exec_lo, s75
	s_cbranch_vccnz .LBB29_115
; %bb.110:
	v_dual_mov_b32 v5, 0 :: v_dual_mov_b32 v1, v0
	v_dual_mov_b32 v6, 0 :: v_dual_mov_b32 v7, 0
	;; [unrolled: 1-line block ×3, first 2 shown]
	v_mov_b32_e32 v8, 0
	s_add_co_i32 s54, s72, 1
	s_mov_b64 s[52:53], 0xffffffffffffffd0
	s_and_b32 s60, s54, 30
	s_add_nc_u64 s[52:53], s[2:3], s[52:53]
	s_mov_b64 s[54:55], s[2:3]
.LBB29_111:                             ; =>This Inner Loop Header: Depth=1
	s_clause 0x1
	s_load_b128 s[96:99], s[54:55], 0x4
	s_load_b64 s[62:63], s[54:55], 0x14
	s_clause 0x1
	s_load_b256 s[88:95], s[52:53], 0xf4
	s_load_b128 s[100:103], s[52:53], 0x114
	s_add_co_i32 s60, s60, -2
	s_wait_xcnt 0x0
	s_add_nc_u64 s[54:55], s[54:55], 24
	s_cmp_eq_u32 s60, 0
	s_add_nc_u64 s[52:53], s[52:53], 48
	s_wait_kmcnt 0x0
	v_mul_hi_u32 v2, s97, v1
	s_delay_alu instid0(VALU_DEP_1) | instskip(NEXT) | instid1(VALU_DEP_1)
	v_add_nc_u32_e32 v2, v1, v2
	v_lshrrev_b32_e32 v2, s98, v2
	s_delay_alu instid0(VALU_DEP_1) | instskip(SKIP_1) | instid1(VALU_DEP_1)
	v_mul_hi_u32 v3, s62, v2
	v_mul_lo_u32 v9, v2, s96
	v_dual_add_nc_u32 v3, v2, v3 :: v_dual_sub_nc_u32 v9, v1, v9
	s_delay_alu instid0(VALU_DEP_1) | instskip(NEXT) | instid1(VALU_DEP_2)
	v_lshrrev_b32_e32 v1, s63, v3
	v_mad_u32 v3, v9, s89, v8
	v_mad_u32 v10, v9, s88, v12
	;; [unrolled: 1-line block ×4, first 2 shown]
	v_mul_lo_u32 v8, v1, s99
	v_mad_u32 v6, s93, v9, v6
	v_mad_u32 v5, s92, v9, v5
	s_delay_alu instid0(VALU_DEP_3) | instskip(NEXT) | instid1(VALU_DEP_1)
	v_sub_nc_u32_e32 v2, v2, v8
	v_mad_u32 v8, v2, s95, v3
	v_mad_u32 v12, v2, s94, v10
	;; [unrolled: 1-line block ×6, first 2 shown]
	s_cbranch_scc0 .LBB29_111
; %bb.112:
	s_bitcmp1_b32 s72, 0
	s_cselect_b32 s60, -1, 0
	s_delay_alu instid0(SALU_CYCLE_1)
	s_and_b32 vcc_lo, exec_lo, s60
	s_cbranch_vccnz .LBB29_116
; %bb.113:
	s_load_b96 s[88:90], s[54:55], 0x4
	s_load_b128 s[60:63], s[52:53], 0xf4
	s_wait_xcnt 0x0
	s_load_b64 s[54:55], s[52:53], 0x104
	s_wait_kmcnt 0x0
	v_mul_hi_u32 v2, s89, v1
	s_delay_alu instid0(VALU_DEP_1) | instskip(NEXT) | instid1(VALU_DEP_1)
	v_add_nc_u32_e32 v2, v1, v2
	v_lshrrev_b32_e32 v2, s90, v2
	s_delay_alu instid0(VALU_DEP_1) | instskip(NEXT) | instid1(VALU_DEP_1)
	v_mul_lo_u32 v2, v2, s88
	v_sub_nc_u32_e32 v1, v1, v2
	s_delay_alu instid0(VALU_DEP_1)
	v_mad_u32 v12, v1, s60, v12
	v_mad_u32 v8, v1, s61, v8
	;; [unrolled: 1-line block ×6, first 2 shown]
	s_branch .LBB29_116
.LBB29_114:
	s_mov_b32 s52, -1
                                        ; implicit-def: $vgpr8
                                        ; implicit-def: $vgpr12
                                        ; implicit-def: $vgpr4
                                        ; implicit-def: $vgpr7
                                        ; implicit-def: $vgpr6
                                        ; implicit-def: $vgpr5
	s_branch .LBB29_117
.LBB29_115:
	v_dual_mov_b32 v8, 0 :: v_dual_mov_b32 v12, 0
	v_dual_mov_b32 v4, 0 :: v_dual_mov_b32 v7, 0
	v_dual_mov_b32 v6, 0 :: v_dual_mov_b32 v5, 0
.LBB29_116:
	s_mov_b32 s52, 0
.LBB29_117:
	s_delay_alu instid0(SALU_CYCLE_1)
	s_and_not1_b32 vcc_lo, exec_lo, s52
	s_cbranch_vccnz .LBB29_120
; %bb.118:
	v_mov_b32_e32 v1, 0
	s_and_not1_b32 vcc_lo, exec_lo, s71
	s_delay_alu instid0(VALU_DEP_1) | instskip(NEXT) | instid1(VALU_DEP_1)
	v_mul_u64_e32 v[2:3], s[48:49], v[0:1]
	v_add_nc_u32_e32 v2, v0, v3
	s_delay_alu instid0(VALU_DEP_1) | instskip(NEXT) | instid1(VALU_DEP_1)
	v_lshrrev_b32_e32 v2, s42, v2
	v_mul_lo_u32 v3, v2, s40
	s_delay_alu instid0(VALU_DEP_1) | instskip(NEXT) | instid1(VALU_DEP_1)
	v_sub_nc_u32_e32 v0, v0, v3
	v_mul_lo_u32 v8, v0, s21
	v_mul_lo_u32 v12, v0, s20
	v_mul_lo_u32 v4, v0, s23
	v_mul_lo_u32 v7, v0, s22
	v_mul_lo_u32 v6, s25, v0
	v_mul_lo_u32 v5, s24, v0
	s_cbranch_vccnz .LBB29_120
; %bb.119:
	v_mov_b32_e32 v3, v1
	s_delay_alu instid0(VALU_DEP_1) | instskip(NEXT) | instid1(VALU_DEP_1)
	v_mul_u64_e32 v[0:1], s[50:51], v[2:3]
	v_add_nc_u32_e32 v0, v2, v1
	s_delay_alu instid0(VALU_DEP_1) | instskip(NEXT) | instid1(VALU_DEP_1)
	v_lshrrev_b32_e32 v0, s1, v0
	v_mul_lo_u32 v0, v0, s43
	s_delay_alu instid0(VALU_DEP_1) | instskip(NEXT) | instid1(VALU_DEP_1)
	v_sub_nc_u32_e32 v0, v2, v0
	v_mad_u32 v12, v0, s26, v12
	v_mad_u32 v8, v0, s27, v8
	;; [unrolled: 1-line block ×6, first 2 shown]
.LBB29_120:
	global_load_b64 v[0:1], v8, s[6:7]
	s_xor_b32 s1, s70, -1
	s_wait_xcnt 0x0
	s_and_not1_b32 s6, s0, exec_lo
	s_mov_b32 s52, exec_lo
	s_wait_loadcnt 0x0
	v_cmp_ne_u64_e32 vcc_lo, s[16:17], v[0:1]
	s_or_b32 s1, s1, vcc_lo
	s_delay_alu instid0(SALU_CYCLE_1) | instskip(NEXT) | instid1(SALU_CYCLE_1)
	s_and_b32 s1, s1, exec_lo
	s_or_b32 s53, s6, s1
.LBB29_121:
	s_or_b32 exec_lo, exec_lo, s59
	s_delay_alu instid0(SALU_CYCLE_1)
	s_and_not1_b32 s0, s0, exec_lo
	s_and_b32 s1, s53, exec_lo
	s_and_b32 s52, s52, exec_lo
	s_or_b32 s0, s0, s1
.LBB29_122:
	s_or_b32 exec_lo, exec_lo, s58
	s_delay_alu instid0(SALU_CYCLE_1)
	s_and_not1_b32 s1, s81, exec_lo
	s_and_b32 s6, s57, exec_lo
	s_and_not1_b32 s7, s83, exec_lo
	s_or_b32 s81, s1, s6
	s_and_not1_b32 s1, s82, exec_lo
	s_and_b32 s6, s47, exec_lo
	s_and_b32 s20, s56, exec_lo
	s_or_b32 s82, s1, s6
	s_and_not1_b32 s1, s80, exec_lo
	s_and_b32 s6, s0, exec_lo
	s_or_b32 s83, s7, s20
	s_and_b32 s0, s52, exec_lo
	s_or_b32 s80, s1, s6
.LBB29_123:
	s_or_b32 exec_lo, exec_lo, s84
	s_delay_alu instid0(SALU_CYCLE_1)
	s_and_not1_b32 s1, s73, exec_lo
	s_and_b32 s6, s81, exec_lo
	s_and_not1_b32 s7, s77, exec_lo
	s_or_b32 s73, s1, s6
	s_and_not1_b32 s1, s76, exec_lo
	s_and_b32 s6, s82, exec_lo
	s_and_b32 s20, s83, exec_lo
	s_or_b32 s76, s1, s6
	s_and_not1_b32 s1, s78, exec_lo
	s_and_b32 s6, s80, exec_lo
	s_or_b32 s77, s7, s20
	s_and_b32 s49, s0, exec_lo
	s_or_b32 s78, s1, s6
.LBB29_124:
	s_or_b32 exec_lo, exec_lo, s79
	s_mov_b32 s0, 0
	s_mov_b32 s1, 0
	s_and_saveexec_b32 s6, s78
	s_cbranch_execnz .LBB29_128
; %bb.125:
	s_or_b32 exec_lo, exec_lo, s6
	s_and_saveexec_b32 s6, s49
	s_delay_alu instid0(SALU_CYCLE_1)
	s_xor_b32 s6, exec_lo, s6
	s_cbranch_execz .LBB29_129
.LBB29_126:
	global_load_b64 v[0:1], v7, s[8:9]
	s_xor_b32 s7, s69, -1
	s_wait_xcnt 0x0
	s_and_not1_b32 s8, s77, exec_lo
	s_mov_b32 s0, exec_lo
	s_wait_loadcnt 0x0
	v_cmp_ne_u64_e32 vcc_lo, s[28:29], v[0:1]
	s_or_b32 s7, s7, vcc_lo
	s_delay_alu instid0(SALU_CYCLE_1) | instskip(NEXT) | instid1(SALU_CYCLE_1)
	s_and_b32 s7, s7, exec_lo
	s_or_b32 s77, s8, s7
	s_or_b32 exec_lo, exec_lo, s6
	s_and_saveexec_b32 s6, s77
	s_cbranch_execz .LBB29_130
.LBB29_127:
	s_or_b32 s1, s1, exec_lo
	s_and_not1_b32 s0, s0, exec_lo
	s_trap 2
	s_branch .LBB29_130
.LBB29_128:
	s_mov_b32 s1, exec_lo
	s_and_not1_b32 s49, s49, exec_lo
	s_trap 2
	s_or_b32 exec_lo, exec_lo, s6
	s_and_saveexec_b32 s6, s49
	s_delay_alu instid0(SALU_CYCLE_1)
	s_xor_b32 s6, exec_lo, s6
	s_cbranch_execnz .LBB29_126
.LBB29_129:
	s_or_b32 exec_lo, exec_lo, s6
	s_and_saveexec_b32 s6, s77
	s_cbranch_execnz .LBB29_127
.LBB29_130:
	s_or_b32 exec_lo, exec_lo, s6
	s_mov_b32 s6, 0
                                        ; implicit-def: $vgpr0_vgpr1
                                        ; implicit-def: $vgpr2_vgpr3
	s_and_saveexec_b32 s7, s0
	s_delay_alu instid0(SALU_CYCLE_1)
	s_xor_b32 s7, exec_lo, s7
	s_cbranch_execz .LBB29_147
; %bb.131:
	global_load_b64 v[2:3], v4, s[10:11]
	global_load_b64 v[0:1], v5, s[12:13]
	s_and_not1_b32 s8, s76, exec_lo
	s_mov_b32 s6, exec_lo
	s_wait_loadcnt 0x0
	v_sub_nc_u64_e32 v[4:5], v[0:1], v[2:3]
	s_delay_alu instid0(VALU_DEP_1) | instskip(SKIP_2) | instid1(SALU_CYCLE_1)
	v_cmp_le_i64_e32 vcc_lo, s[16:17], v[4:5]
	v_cmp_ge_i64_e64 s0, s[18:19], v[4:5]
	s_and_b32 s0, vcc_lo, s0
	s_and_b32 s0, s68, s0
	s_delay_alu instid0(SALU_CYCLE_1) | instskip(NEXT) | instid1(SALU_CYCLE_1)
	s_xor_b32 s0, s0, -1
	s_and_b32 s0, s0, exec_lo
	s_delay_alu instid0(SALU_CYCLE_1)
	s_or_b32 s76, s8, s0
	s_or_b32 exec_lo, exec_lo, s7
	s_and_saveexec_b32 s0, s76
	s_cbranch_execz .LBB29_148
.LBB29_132:
	s_or_b32 s1, s1, exec_lo
	s_and_not1_b32 s6, s6, exec_lo
	s_trap 2
	s_or_b32 exec_lo, exec_lo, s0
	s_mov_b32 s0, 0
	s_and_saveexec_b32 s16, s6
	s_cbranch_execnz .LBB29_149
.LBB29_133:
	s_or_b32 exec_lo, exec_lo, s16
	s_and_saveexec_b32 s6, s73
	s_cbranch_execnz .LBB29_167
.LBB29_134:
	s_or_b32 exec_lo, exec_lo, s6
	s_and_saveexec_b32 s6, s0
	s_delay_alu instid0(SALU_CYCLE_1)
	s_xor_b32 s0, exec_lo, s6
	s_cbranch_execz .LBB29_136
.LBB29_135:
	v_mov_b64_e32 v[0:1], 0
	global_store_b64 v12, v[0:1], s[4:5]
.LBB29_136:
	s_wait_xcnt 0x0
	s_or_b32 exec_lo, exec_lo, s0
	s_delay_alu instid0(SALU_CYCLE_1)
	s_and_b32 s36, s1, exec_lo
                                        ; implicit-def: $vgpr2
                                        ; implicit-def: $vgpr0
.LBB29_137:
	s_or_saveexec_b32 s37, s67
                                        ; implicit-def: $sgpr4_sgpr5_sgpr6_sgpr7_sgpr8_sgpr9_sgpr10_sgpr11_sgpr12_sgpr13_sgpr14_sgpr15_sgpr16_sgpr17_sgpr18_sgpr19
                                        ; implicit-def: $vgpr19
                                        ; implicit-def: $vgpr18
                                        ; implicit-def: $vgpr17
                                        ; implicit-def: $vgpr16
	s_delay_alu instid0(SALU_CYCLE_1)
	s_xor_b32 exec_lo, exec_lo, s37
	s_cbranch_execz .LBB29_144
; %bb.138:
	v_cndmask_b32_e64 v4, 0, 1, s66
	s_and_not1_b32 vcc_lo, exec_lo, s66
	s_cbranch_vccnz .LBB29_156
; %bb.139:
	s_cmp_lg_u32 s33, 0
	s_mov_b32 s6, 0
	s_cbranch_scc0 .LBB29_168
; %bb.140:
	s_min_u32 s7, s64, 15
	v_dual_mov_b32 v8, 0 :: v_dual_mov_b32 v5, v0
	v_dual_mov_b32 v10, 0 :: v_dual_mov_b32 v1, 0
	;; [unrolled: 1-line block ×3, first 2 shown]
	v_mov_b32_e32 v3, 0
	s_add_co_i32 s4, s7, 1
	s_mov_b64 s[0:1], 0xffffffffffffffd0
	s_and_b32 s8, s4, 30
	s_add_nc_u64 s[0:1], s[2:3], s[0:1]
	s_mov_b64 s[4:5], s[2:3]
.LBB29_141:                             ; =>This Inner Loop Header: Depth=1
	s_clause 0x1
	s_load_b128 s[20:23], s[4:5], 0x4
	s_load_b64 s[10:11], s[4:5], 0x14
	s_clause 0x1
	s_load_b256 s[12:19], s[0:1], 0xf4
	s_load_b128 s[24:27], s[0:1], 0x114
	s_add_co_i32 s8, s8, -2
	s_wait_xcnt 0x0
	s_add_nc_u64 s[4:5], s[4:5], 24
	s_cmp_lg_u32 s8, 0
	s_add_nc_u64 s[0:1], s[0:1], 48
	s_wait_kmcnt 0x0
	v_mul_hi_u32 v6, s21, v5
	s_delay_alu instid0(VALU_DEP_1) | instskip(NEXT) | instid1(VALU_DEP_1)
	v_add_nc_u32_e32 v6, v5, v6
	v_lshrrev_b32_e32 v6, s22, v6
	s_delay_alu instid0(VALU_DEP_1) | instskip(SKIP_1) | instid1(VALU_DEP_2)
	v_mul_hi_u32 v7, s10, v6
	v_mul_lo_u32 v11, v6, s20
	v_add_nc_u32_e32 v7, v6, v7
	s_delay_alu instid0(VALU_DEP_2) | instskip(NEXT) | instid1(VALU_DEP_2)
	v_sub_nc_u32_e32 v11, v5, v11
	v_lshrrev_b32_e32 v5, s11, v7
	s_delay_alu instid0(VALU_DEP_2)
	v_mad_u32 v3, v11, s13, v3
	v_mad_u32 v12, v11, s12, v16
	;; [unrolled: 1-line block ×4, first 2 shown]
	v_mul_lo_u32 v7, v5, s23
	v_mad_u32 v10, s17, v11, v10
	v_mad_u32 v8, s16, v11, v8
	s_delay_alu instid0(VALU_DEP_3) | instskip(NEXT) | instid1(VALU_DEP_1)
	v_sub_nc_u32_e32 v6, v6, v7
	v_mad_u32 v3, v6, s19, v3
	v_mad_u32 v16, v6, s18, v12
	;; [unrolled: 1-line block ×6, first 2 shown]
	s_cbranch_scc1 .LBB29_141
; %bb.142:
	s_bitcmp1_b32 s7, 0
	s_cselect_b32 s7, -1, 0
	s_delay_alu instid0(SALU_CYCLE_1)
	s_and_b32 vcc_lo, exec_lo, s7
	s_cbranch_vccnz .LBB29_157
; %bb.143:
	s_load_b96 s[12:14], s[4:5], 0x4
	s_load_b128 s[8:11], s[0:1], 0xf4
	s_wait_xcnt 0x0
	s_load_b64 s[4:5], s[0:1], 0x104
	s_wait_kmcnt 0x0
	v_mul_hi_u32 v6, s13, v5
	s_delay_alu instid0(VALU_DEP_1) | instskip(NEXT) | instid1(VALU_DEP_1)
	v_add_nc_u32_e32 v6, v5, v6
	v_lshrrev_b32_e32 v6, s14, v6
	s_delay_alu instid0(VALU_DEP_1) | instskip(NEXT) | instid1(VALU_DEP_1)
	v_mul_lo_u32 v6, v6, s12
	v_sub_nc_u32_e32 v5, v5, v6
	s_delay_alu instid0(VALU_DEP_1)
	v_mad_u32 v16, v5, s8, v16
	v_mad_u32 v3, v5, s9, v3
	;; [unrolled: 1-line block ×6, first 2 shown]
	s_and_not1_b32 vcc_lo, exec_lo, s6
	s_cbranch_vccz .LBB29_158
	s_branch .LBB29_169
.LBB29_144:
	s_or_b32 exec_lo, exec_lo, s37
	s_and_saveexec_b32 s0, s36
	s_cbranch_execz .LBB29_308
.LBB29_145:
	; divergent unreachable
	s_or_b32 exec_lo, exec_lo, s0
	s_and_saveexec_b32 s0, s65
	s_cbranch_execnz .LBB29_309
.LBB29_146:
	s_endpgm
.LBB29_147:
	s_or_b32 exec_lo, exec_lo, s7
	s_and_saveexec_b32 s0, s76
	s_cbranch_execnz .LBB29_132
.LBB29_148:
	s_or_b32 exec_lo, exec_lo, s0
	s_mov_b32 s0, 0
	s_and_saveexec_b32 s16, s6
	s_cbranch_execz .LBB29_133
.LBB29_149:
	v_cmp_lt_i64_e64 s0, s[28:29], 1
	v_mov_b64_e32 v[4:5], 0
	s_xor_b32 s6, s41, -1
	s_delay_alu instid0(SALU_CYCLE_1) | instskip(NEXT) | instid1(SALU_CYCLE_1)
	s_or_b32 s0, s0, s6
	s_and_b32 vcc_lo, exec_lo, s0
	s_cbranch_vccnz .LBB29_160
; %bb.150:
	global_load_b64 v[4:5], v6, s[14:15]
	s_mov_b32 s47, 0
	s_wait_xcnt 0x0
	v_mov_b32_e32 v6, 0
	s_lshl_b64 s[8:9], s[46:47], 3
	s_mov_b64 s[6:7], 0xffffffff
	s_add_nc_u64 s[8:9], s[2:3], s[8:9]
	s_delay_alu instid0(SALU_CYCLE_1)
	s_add_nc_u64 s[8:9], s[8:9], 0x298
	s_wait_loadcnt 0x0
	v_mul_u64_e32 v[8:9], s[28:29], v[4:5]
	v_mov_b64_e32 v[4:5], 0
	s_branch .LBB29_152
.LBB29_151:                             ;   in Loop: Header=BB29_152 Depth=1
	s_or_b32 exec_lo, exec_lo, s0
	s_delay_alu instid0(VALU_DEP_1)
	v_mul_u64_e32 v[14:15], s[10:11], v[10:11]
	s_load_b64 s[10:11], s[8:9], 0x40
	s_add_co_i32 s30, s30, -1
	s_wait_xcnt 0x0
	s_add_nc_u64 s[8:9], s[8:9], -8
	s_cmp_lg_u32 s30, 0
	s_delay_alu instid0(VALU_DEP_1) | instskip(SKIP_1) | instid1(VALU_DEP_1)
	v_sub_nc_u64_e32 v[8:9], v[8:9], v[14:15]
	s_wait_kmcnt 0x0
	v_mad_nc_u64_u32 v[4:5], v8, s10, v[4:5]
	s_delay_alu instid0(VALU_DEP_1) | instskip(NEXT) | instid1(VALU_DEP_1)
	v_mad_u32 v5, v9, s10, v5
	v_mad_u32 v5, v8, s11, v5
	v_mov_b64_e32 v[8:9], v[10:11]
	s_cbranch_scc0 .LBB29_160
.LBB29_152:                             ; =>This Inner Loop Header: Depth=1
	s_load_b64 s[10:11], s[8:9], 0x0
                                        ; implicit-def: $vgpr10_vgpr11
	s_mov_b32 s0, exec_lo
	s_wait_kmcnt 0x0
	s_delay_alu instid0(VALU_DEP_1) | instskip(NEXT) | instid1(VALU_DEP_1)
	v_or_b32_e32 v7, s11, v9
	v_cmpx_ne_u64_e32 0, v[6:7]
	s_xor_b32 s17, exec_lo, s0
	s_cbranch_execz .LBB29_154
; %bb.153:                              ;   in Loop: Header=BB29_152 Depth=1
	s_ashr_i32 s12, s11, 31
	v_dual_mov_b32 v17, v6 :: v_dual_ashrrev_i32 v10, 31, v9
	s_mov_b32 s13, s12
	v_mov_b32_e32 v21, v6
	s_add_nc_u64 s[14:15], s[10:11], s[12:13]
	s_delay_alu instid0(VALU_DEP_2)
	v_mov_b32_e32 v11, v10
	s_xor_b64 s[14:15], s[14:15], s[12:13]
	v_mov_b32_e32 v25, v6
	s_cvt_f32_u32 s0, s14
	s_cvt_f32_u32 s13, s15
	s_sub_nc_u64 s[20:21], 0, s[14:15]
	v_add_nc_u64_e32 v[14:15], v[8:9], v[10:11]
	s_delay_alu instid0(SALU_CYCLE_1) | instskip(NEXT) | instid1(SALU_CYCLE_3)
	s_fmamk_f32 s0, s13, 0x4f800000, s0
	v_s_rcp_f32 s0, s0
	s_delay_alu instid0(VALU_DEP_1) | instskip(NEXT) | instid1(VALU_DEP_2)
	v_xor_b32_e32 v20, v15, v10
	v_xor_b32_e32 v16, v14, v10
	s_delay_alu instid0(TRANS32_DEP_1) | instskip(NEXT) | instid1(SALU_CYCLE_3)
	s_mul_f32 s0, s0, 0x5f7ffffc
	s_mul_f32 s13, s0, 0x2f800000
	s_delay_alu instid0(SALU_CYCLE_3) | instskip(NEXT) | instid1(SALU_CYCLE_3)
	s_trunc_f32 s13, s13
	s_fmamk_f32 s0, s13, 0xcf800000, s0
	s_cvt_u32_f32 s19, s13
	s_delay_alu instid0(SALU_CYCLE_2) | instskip(NEXT) | instid1(SALU_CYCLE_3)
	s_cvt_u32_f32 s18, s0
	s_mul_u64 s[22:23], s[20:21], s[18:19]
	s_delay_alu instid0(SALU_CYCLE_1)
	s_mul_hi_u32 s25, s18, s23
	s_mul_i32 s24, s18, s23
	s_mul_hi_u32 s46, s18, s22
	s_mul_i32 s13, s19, s22
	s_add_nc_u64 s[24:25], s[46:47], s[24:25]
	s_mul_hi_u32 s0, s19, s22
	s_mul_hi_u32 s26, s19, s23
	s_add_co_u32 s13, s24, s13
	s_add_co_ci_u32 s46, s25, s0
	s_mul_i32 s22, s19, s23
	s_add_co_ci_u32 s23, s26, 0
	s_delay_alu instid0(SALU_CYCLE_1) | instskip(NEXT) | instid1(SALU_CYCLE_1)
	s_add_nc_u64 s[22:23], s[46:47], s[22:23]
	s_add_co_u32 s18, s18, s22
	s_cselect_b32 s0, -1, 0
	s_delay_alu instid0(SALU_CYCLE_1) | instskip(SKIP_1) | instid1(SALU_CYCLE_1)
	s_cmp_lg_u32 s0, 0
	s_add_co_ci_u32 s19, s19, s23
	s_mul_u64 s[20:21], s[20:21], s[18:19]
	s_delay_alu instid0(SALU_CYCLE_1)
	s_mul_hi_u32 s23, s18, s21
	s_mul_i32 s22, s18, s21
	s_mul_hi_u32 s46, s18, s20
	s_mul_i32 s13, s19, s20
	s_add_nc_u64 s[22:23], s[46:47], s[22:23]
	s_mul_hi_u32 s0, s19, s20
	s_mul_hi_u32 s24, s19, s21
	s_add_co_u32 s13, s22, s13
	s_add_co_ci_u32 s46, s23, s0
	s_mul_i32 s20, s19, s21
	s_add_co_ci_u32 s21, s24, 0
	s_delay_alu instid0(SALU_CYCLE_1) | instskip(NEXT) | instid1(SALU_CYCLE_1)
	s_add_nc_u64 s[20:21], s[46:47], s[20:21]
	s_add_co_u32 s0, s18, s20
	s_cselect_b32 s13, -1, 0
	v_mul_hi_u32 v24, v16, s0
	s_cmp_lg_u32 s13, 0
	s_add_co_ci_u32 s46, s19, s21
	s_and_b64 s[18:19], s[0:1], s[6:7]
	v_mul_u64_e32 v[18:19], s[46:47], v[16:17]
	v_mul_u64_e32 v[14:15], s[18:19], v[20:21]
	;; [unrolled: 1-line block ×3, first 2 shown]
	s_delay_alu instid0(VALU_DEP_3) | instskip(NEXT) | instid1(VALU_DEP_1)
	v_add_nc_u64_e32 v[18:19], v[24:25], v[18:19]
	v_add_co_u32 v7, vcc_lo, v18, v14
	s_delay_alu instid0(VALU_DEP_2) | instskip(NEXT) | instid1(VALU_DEP_4)
	v_add_co_ci_u32_e32 v24, vcc_lo, v19, v15, vcc_lo
	v_add_co_ci_u32_e32 v23, vcc_lo, 0, v23, vcc_lo
	s_delay_alu instid0(VALU_DEP_1) | instskip(NEXT) | instid1(VALU_DEP_1)
	v_add_nc_u64_e32 v[14:15], v[24:25], v[22:23]
	v_mul_u64_e32 v[18:19], s[14:15], v[14:15]
	s_delay_alu instid0(VALU_DEP_1) | instskip(NEXT) | instid1(VALU_DEP_2)
	v_sub_nc_u32_e32 v7, v20, v19
	v_sub_co_u32 v11, vcc_lo, v16, v18
	s_delay_alu instid0(VALU_DEP_1) | instskip(NEXT) | instid1(VALU_DEP_3)
	v_sub_co_ci_u32_e64 v20, null, v20, v19, vcc_lo
	v_subrev_co_ci_u32_e64 v7, null, s15, v7, vcc_lo
	s_delay_alu instid0(VALU_DEP_3) | instskip(SKIP_1) | instid1(VALU_DEP_3)
	v_sub_co_u32 v13, s0, v11, s14
	v_add_nc_u64_e32 v[18:19], 1, v[14:15]
	v_subrev_co_ci_u32_e64 v7, null, 0, v7, s0
	s_delay_alu instid0(VALU_DEP_3) | instskip(SKIP_1) | instid1(VALU_DEP_3)
	v_cmp_le_u32_e32 vcc_lo, s14, v13
	v_cndmask_b32_e64 v13, 0, -1, vcc_lo
	v_cmp_le_u32_e32 vcc_lo, s15, v7
	v_cndmask_b32_e64 v16, 0, -1, vcc_lo
	;; [unrolled: 2-line block ×4, first 2 shown]
	v_cmp_eq_u32_e32 vcc_lo, s15, v7
	v_cndmask_b32_e32 v7, v16, v13, vcc_lo
	v_cmp_eq_u32_e32 vcc_lo, s15, v20
	v_add_nc_u64_e32 v[16:17], 2, v[14:15]
	v_cndmask_b32_e32 v11, v21, v11, vcc_lo
	s_delay_alu instid0(VALU_DEP_4) | instskip(NEXT) | instid1(VALU_DEP_2)
	v_cmp_ne_u32_e32 vcc_lo, 0, v7
	v_cmp_ne_u32_e64 s0, 0, v11
	s_delay_alu instid0(VALU_DEP_4) | instskip(NEXT) | instid1(VALU_DEP_1)
	v_dual_cndmask_b32 v7, v19, v17, vcc_lo :: v_dual_cndmask_b32 v11, v18, v16, vcc_lo
	v_dual_cndmask_b32 v7, v15, v7, s0 :: v_dual_bitop2_b32 v10, s12, v10 bitop3:0x14
	s_delay_alu instid0(VALU_DEP_1) | instskip(NEXT) | instid1(VALU_DEP_1)
	v_dual_cndmask_b32 v13, v14, v11, s0 :: v_dual_bitop2_b32 v15, v7, v10 bitop3:0x14
	v_dual_mov_b32 v11, v10 :: v_dual_bitop2_b32 v14, v13, v10 bitop3:0x14
	s_delay_alu instid0(VALU_DEP_1)
	v_sub_nc_u64_e32 v[10:11], v[14:15], v[10:11]
.LBB29_154:                             ;   in Loop: Header=BB29_152 Depth=1
	s_and_not1_saveexec_b32 s0, s17
	s_cbranch_execz .LBB29_151
; %bb.155:                              ;   in Loop: Header=BB29_152 Depth=1
	v_cvt_f32_u32_e32 v7, s10
	s_sub_co_i32 s12, 0, s10
	s_delay_alu instid0(VALU_DEP_1) | instskip(SKIP_1) | instid1(TRANS32_DEP_1)
	v_rcp_iflag_f32_e32 v7, v7
	v_nop
	v_mul_f32_e32 v7, 0x4f7ffffe, v7
	s_delay_alu instid0(VALU_DEP_1) | instskip(NEXT) | instid1(VALU_DEP_1)
	v_cvt_u32_f32_e32 v7, v7
	v_mul_lo_u32 v10, s12, v7
	s_delay_alu instid0(VALU_DEP_1) | instskip(NEXT) | instid1(VALU_DEP_1)
	v_mul_hi_u32 v10, v7, v10
	v_add_nc_u32_e32 v7, v7, v10
	s_delay_alu instid0(VALU_DEP_1) | instskip(NEXT) | instid1(VALU_DEP_1)
	v_mul_hi_u32 v7, v8, v7
	v_mul_lo_u32 v10, v7, s10
	s_delay_alu instid0(VALU_DEP_1) | instskip(NEXT) | instid1(VALU_DEP_1)
	v_dual_add_nc_u32 v11, 1, v7 :: v_dual_sub_nc_u32 v10, v8, v10
	v_subrev_nc_u32_e32 v13, s10, v10
	v_cmp_le_u32_e32 vcc_lo, s10, v10
	s_delay_alu instid0(VALU_DEP_2) | instskip(NEXT) | instid1(VALU_DEP_1)
	v_dual_cndmask_b32 v10, v10, v13 :: v_dual_cndmask_b32 v7, v7, v11
	v_cmp_le_u32_e32 vcc_lo, s10, v10
	s_delay_alu instid0(VALU_DEP_2) | instskip(NEXT) | instid1(VALU_DEP_1)
	v_add_nc_u32_e32 v11, 1, v7
	v_dual_cndmask_b32 v10, v7, v11 :: v_dual_mov_b32 v11, v6
	s_branch .LBB29_151
.LBB29_156:
	s_mov_b32 s6, -1
                                        ; implicit-def: $vgpr3
                                        ; implicit-def: $vgpr16
                                        ; implicit-def: $vgpr9
                                        ; implicit-def: $vgpr1
                                        ; implicit-def: $vgpr10
                                        ; implicit-def: $vgpr8
.LBB29_157:
	s_delay_alu instid0(SALU_CYCLE_1)
	s_and_not1_b32 vcc_lo, exec_lo, s6
	s_cbranch_vccnz .LBB29_169
.LBB29_158:
	s_clause 0x2
	s_load_b96 s[8:10], s[2:3], 0x4
	s_load_b128 s[4:7], s[2:3], 0xc4
	s_load_b64 s[0:1], s[2:3], 0xd4
	s_cmp_lt_u32 s33, 2
	s_wait_kmcnt 0x0
	v_mul_hi_u32 v1, s9, v0
	s_delay_alu instid0(VALU_DEP_1) | instskip(NEXT) | instid1(VALU_DEP_1)
	v_add_nc_u32_e32 v1, v0, v1
	v_lshrrev_b32_e32 v5, s10, v1
	s_delay_alu instid0(VALU_DEP_1) | instskip(NEXT) | instid1(VALU_DEP_1)
	v_mul_lo_u32 v1, v5, s8
	v_sub_nc_u32_e32 v6, v0, v1
	s_delay_alu instid0(VALU_DEP_1)
	v_mul_lo_u32 v3, v6, s5
	v_mul_lo_u32 v16, v6, s4
	;; [unrolled: 1-line block ×6, first 2 shown]
	s_cbranch_scc1 .LBB29_169
; %bb.159:
	s_clause 0x2
	s_load_b96 s[8:10], s[2:3], 0x10
	s_load_b128 s[4:7], s[2:3], 0xdc
	s_load_b64 s[0:1], s[2:3], 0xec
	s_wait_kmcnt 0x0
	v_mul_hi_u32 v6, s9, v5
	s_delay_alu instid0(VALU_DEP_1) | instskip(NEXT) | instid1(VALU_DEP_1)
	v_add_nc_u32_e32 v6, v5, v6
	v_lshrrev_b32_e32 v6, s10, v6
	s_delay_alu instid0(VALU_DEP_1) | instskip(NEXT) | instid1(VALU_DEP_1)
	v_mul_lo_u32 v6, v6, s8
	v_sub_nc_u32_e32 v5, v5, v6
	s_delay_alu instid0(VALU_DEP_1)
	v_mad_u32 v16, v5, s4, v16
	v_mad_u32 v3, v5, s5, v3
	;; [unrolled: 1-line block ×6, first 2 shown]
	s_branch .LBB29_169
.LBB29_160:
	s_mov_b32 s6, s73
	s_mov_b32 s0, exec_lo
	v_cmpx_gt_i64_e64 v[0:1], v[2:3]
	s_cbranch_execz .LBB29_166
; %bb.161:
	s_delay_alu instid0(VALU_DEP_2) | instskip(SKIP_2) | instid1(VALU_DEP_1)
	v_lshlrev_b64_e32 v[4:5], 3, v[4:5]
	s_mov_b32 s6, 0
	s_xor_b32 s8, s31, -1
                                        ; implicit-def: $sgpr7
                                        ; implicit-def: $sgpr10
                                        ; implicit-def: $sgpr9
	v_lshl_add_u64 v[2:3], v[2:3], 3, v[4:5]
	v_add_nc_u64_e32 v[4:5], s[44:45], v[4:5]
	s_delay_alu instid0(VALU_DEP_2) | instskip(NEXT) | instid1(VALU_DEP_2)
	v_add_nc_u64_e32 v[2:3], s[44:45], v[2:3]
	v_lshl_add_u64 v[0:1], v[0:1], 3, v[4:5]
	s_delay_alu instid0(VALU_DEP_2)
	v_add_nc_u64_e32 v[2:3], 8, v[2:3]
	s_branch .LBB29_163
.LBB29_162:                             ;   in Loop: Header=BB29_163 Depth=1
	s_or_b32 exec_lo, exec_lo, s11
	s_xor_b32 s11, s9, -1
	s_and_b32 s12, exec_lo, s10
	s_delay_alu instid0(SALU_CYCLE_1) | instskip(SKIP_2) | instid1(SALU_CYCLE_1)
	s_or_b32 s6, s12, s6
	s_and_not1_b32 s7, s7, exec_lo
	s_and_b32 s11, s11, exec_lo
	s_or_b32 s7, s7, s11
	s_and_not1_b32 exec_lo, exec_lo, s6
	s_cbranch_execz .LBB29_165
.LBB29_163:                             ; =>This Inner Loop Header: Depth=1
	s_or_b32 s9, s9, exec_lo
	s_or_b32 s10, s10, exec_lo
	s_mov_b32 s11, exec_lo
	s_delay_alu instid0(VALU_DEP_1)
	v_cmpx_lt_u64_e64 v[2:3], v[0:1]
	s_cbranch_execz .LBB29_162
; %bb.164:                              ;   in Loop: Header=BB29_163 Depth=1
	global_load_b128 v[4:7], v[2:3], off offset:-8
	s_wait_xcnt 0x0
	v_add_nc_u64_e32 v[2:3], 8, v[2:3]
	s_and_not1_b32 s10, s10, exec_lo
	s_and_not1_b32 s9, s9, exec_lo
	s_wait_loadcnt 0x0
	v_cmp_ge_i64_e32 vcc_lo, v[4:5], v[6:7]
	s_or_b32 s12, s8, vcc_lo
	s_delay_alu instid0(SALU_CYCLE_1) | instskip(NEXT) | instid1(SALU_CYCLE_1)
	s_and_b32 s12, s12, exec_lo
	s_or_b32 s10, s10, s12
	s_branch .LBB29_162
.LBB29_165:
	s_or_b32 exec_lo, exec_lo, s6
	s_delay_alu instid0(SALU_CYCLE_1) | instskip(SKIP_1) | instid1(SALU_CYCLE_1)
	s_and_not1_b32 s6, s73, exec_lo
	s_and_b32 s7, s7, exec_lo
	s_or_b32 s6, s6, s7
.LBB29_166:
	s_or_b32 exec_lo, exec_lo, s0
	s_delay_alu instid0(SALU_CYCLE_1)
	s_and_not1_b32 s7, s73, exec_lo
	s_and_b32 s6, s6, exec_lo
	s_mov_b32 s0, exec_lo
	s_or_b32 s73, s7, s6
	s_or_b32 exec_lo, exec_lo, s16
	s_and_saveexec_b32 s6, s73
	s_cbranch_execz .LBB29_134
.LBB29_167:
	s_or_b32 s1, s1, exec_lo
	s_and_not1_b32 s0, s0, exec_lo
	s_trap 2
	s_or_b32 exec_lo, exec_lo, s6
	s_and_saveexec_b32 s6, s0
	s_delay_alu instid0(SALU_CYCLE_1)
	s_xor_b32 s0, exec_lo, s6
	s_cbranch_execnz .LBB29_135
	s_branch .LBB29_136
.LBB29_168:
	v_dual_mov_b32 v3, 0 :: v_dual_mov_b32 v16, 0
	v_dual_mov_b32 v9, 0 :: v_dual_mov_b32 v1, 0
	;; [unrolled: 1-line block ×3, first 2 shown]
	s_and_not1_b32 vcc_lo, exec_lo, s6
	s_cbranch_vccz .LBB29_158
.LBB29_169:
	v_cmp_ne_u32_e32 vcc_lo, 1, v4
	v_add_nc_u32_e32 v5, 0x80, v0
	s_cbranch_vccnz .LBB29_175
; %bb.170:
	s_cmp_lg_u32 s33, 0
	s_mov_b32 s6, 0
	s_cbranch_scc0 .LBB29_179
; %bb.171:
	s_min_u32 s7, s64, 15
	v_dual_mov_b32 v31, 0 :: v_dual_mov_b32 v6, v5
	v_dual_mov_b32 v30, 0 :: v_dual_mov_b32 v33, 0
	;; [unrolled: 1-line block ×3, first 2 shown]
	v_mov_b32_e32 v34, 0
	s_add_co_i32 s4, s7, 1
	s_mov_b64 s[0:1], 0xffffffffffffffd0
	s_and_b32 s8, s4, 30
	s_add_nc_u64 s[0:1], s[2:3], s[0:1]
	s_mov_b64 s[4:5], s[2:3]
.LBB29_172:                             ; =>This Inner Loop Header: Depth=1
	s_clause 0x1
	s_load_b128 s[20:23], s[4:5], 0x4
	s_load_b64 s[10:11], s[4:5], 0x14
	s_clause 0x1
	s_load_b256 s[12:19], s[0:1], 0xf4
	s_load_b128 s[24:27], s[0:1], 0x114
	s_add_co_i32 s8, s8, -2
	s_wait_xcnt 0x0
	s_add_nc_u64 s[4:5], s[4:5], 24
	s_cmp_lg_u32 s8, 0
	s_add_nc_u64 s[0:1], s[0:1], 48
	s_wait_kmcnt 0x0
	v_mul_hi_u32 v7, s21, v6
	s_delay_alu instid0(VALU_DEP_1) | instskip(NEXT) | instid1(VALU_DEP_1)
	v_add_nc_u32_e32 v7, v6, v7
	v_lshrrev_b32_e32 v7, s22, v7
	s_delay_alu instid0(VALU_DEP_1) | instskip(SKIP_1) | instid1(VALU_DEP_1)
	v_mul_hi_u32 v11, s10, v7
	v_mul_lo_u32 v12, v7, s20
	v_dual_add_nc_u32 v11, v7, v11 :: v_dual_sub_nc_u32 v12, v6, v12
	s_delay_alu instid0(VALU_DEP_1) | instskip(NEXT) | instid1(VALU_DEP_2)
	v_lshrrev_b32_e32 v6, s11, v11
	v_mad_u32 v11, v12, s13, v34
	v_mad_u32 v14, v12, s12, v17
	;; [unrolled: 1-line block ×4, first 2 shown]
	v_mul_lo_u32 v13, v6, s23
	v_mad_u32 v19, s17, v12, v30
	v_mad_u32 v12, s16, v12, v31
	s_delay_alu instid0(VALU_DEP_3) | instskip(NEXT) | instid1(VALU_DEP_1)
	v_sub_nc_u32_e32 v7, v7, v13
	v_mad_u32 v34, v7, s19, v11
	v_mad_u32 v17, v7, s18, v14
	;; [unrolled: 1-line block ×6, first 2 shown]
	s_cbranch_scc1 .LBB29_172
; %bb.173:
	s_bitcmp1_b32 s7, 0
	s_cselect_b32 s7, -1, 0
	s_delay_alu instid0(SALU_CYCLE_1)
	s_and_b32 vcc_lo, exec_lo, s7
	s_cbranch_vccnz .LBB29_176
; %bb.174:
	s_load_b96 s[12:14], s[4:5], 0x4
	s_load_b128 s[8:11], s[0:1], 0xf4
	s_wait_xcnt 0x0
	s_load_b64 s[4:5], s[0:1], 0x104
	s_wait_kmcnt 0x0
	v_mul_hi_u32 v7, s13, v6
	s_delay_alu instid0(VALU_DEP_1) | instskip(NEXT) | instid1(VALU_DEP_1)
	v_add_nc_u32_e32 v7, v6, v7
	v_lshrrev_b32_e32 v7, s14, v7
	s_delay_alu instid0(VALU_DEP_1) | instskip(NEXT) | instid1(VALU_DEP_1)
	v_mul_lo_u32 v7, v7, s12
	v_sub_nc_u32_e32 v6, v6, v7
	s_delay_alu instid0(VALU_DEP_1)
	v_mad_u32 v17, v6, s8, v17
	v_mad_u32 v34, v6, s9, v34
	;; [unrolled: 1-line block ×6, first 2 shown]
	s_and_not1_b32 vcc_lo, exec_lo, s6
	s_cbranch_vccz .LBB29_177
	s_branch .LBB29_180
.LBB29_175:
	s_mov_b32 s6, -1
                                        ; implicit-def: $vgpr34
                                        ; implicit-def: $vgpr17
                                        ; implicit-def: $vgpr32
                                        ; implicit-def: $vgpr33
                                        ; implicit-def: $vgpr30
                                        ; implicit-def: $vgpr31
.LBB29_176:
	s_delay_alu instid0(SALU_CYCLE_1)
	s_and_not1_b32 vcc_lo, exec_lo, s6
	s_cbranch_vccnz .LBB29_180
.LBB29_177:
	s_clause 0x2
	s_load_b96 s[8:10], s[2:3], 0x4
	s_load_b128 s[4:7], s[2:3], 0xc4
	s_load_b64 s[0:1], s[2:3], 0xd4
	s_cmp_lt_u32 s33, 2
	s_wait_kmcnt 0x0
	v_mul_hi_u32 v6, s9, v5
	s_delay_alu instid0(VALU_DEP_1) | instskip(NEXT) | instid1(VALU_DEP_1)
	v_add_nc_u32_e32 v6, v5, v6
	v_lshrrev_b32_e32 v6, s10, v6
	s_delay_alu instid0(VALU_DEP_1) | instskip(NEXT) | instid1(VALU_DEP_1)
	v_mul_lo_u32 v7, v6, s8
	v_sub_nc_u32_e32 v5, v5, v7
	s_delay_alu instid0(VALU_DEP_1)
	v_mul_lo_u32 v34, v5, s5
	v_mul_lo_u32 v17, v5, s4
	;; [unrolled: 1-line block ×6, first 2 shown]
	s_cbranch_scc1 .LBB29_180
; %bb.178:
	s_clause 0x2
	s_load_b96 s[8:10], s[2:3], 0x10
	s_load_b128 s[4:7], s[2:3], 0xdc
	s_load_b64 s[0:1], s[2:3], 0xec
	s_wait_kmcnt 0x0
	v_mul_hi_u32 v5, s9, v6
	s_delay_alu instid0(VALU_DEP_1) | instskip(NEXT) | instid1(VALU_DEP_1)
	v_add_nc_u32_e32 v5, v6, v5
	v_lshrrev_b32_e32 v5, s10, v5
	s_delay_alu instid0(VALU_DEP_1) | instskip(NEXT) | instid1(VALU_DEP_1)
	v_mul_lo_u32 v5, v5, s8
	v_sub_nc_u32_e32 v5, v6, v5
	s_delay_alu instid0(VALU_DEP_1)
	v_mad_u32 v17, v5, s4, v17
	v_mad_u32 v34, v5, s5, v34
	;; [unrolled: 1-line block ×6, first 2 shown]
	s_branch .LBB29_180
.LBB29_179:
	v_dual_mov_b32 v34, 0 :: v_dual_mov_b32 v17, 0
	v_dual_mov_b32 v32, 0 :: v_dual_mov_b32 v33, 0
	v_dual_mov_b32 v30, 0 :: v_dual_mov_b32 v31, 0
	s_and_not1_b32 vcc_lo, exec_lo, s6
	s_cbranch_vccz .LBB29_177
.LBB29_180:
	v_cmp_ne_u32_e32 vcc_lo, 1, v4
	v_add_nc_u32_e32 v0, 0x100, v0
	s_cbranch_vccnz .LBB29_186
; %bb.181:
	s_cmp_lg_u32 s33, 0
	s_mov_b32 s6, 0
	s_cbranch_scc0 .LBB29_190
; %bb.182:
	s_min_u32 s7, s64, 15
	v_dual_mov_b32 v26, 0 :: v_dual_mov_b32 v5, v0
	v_dual_mov_b32 v25, 0 :: v_dual_mov_b32 v28, 0
	;; [unrolled: 1-line block ×3, first 2 shown]
	v_mov_b32_e32 v29, 0
	s_add_co_i32 s4, s7, 1
	s_mov_b64 s[0:1], 0xffffffffffffffd0
	s_and_b32 s8, s4, 30
	s_add_nc_u64 s[0:1], s[2:3], s[0:1]
	s_mov_b64 s[4:5], s[2:3]
.LBB29_183:                             ; =>This Inner Loop Header: Depth=1
	s_clause 0x1
	s_load_b128 s[20:23], s[4:5], 0x4
	s_load_b64 s[10:11], s[4:5], 0x14
	s_clause 0x1
	s_load_b256 s[12:19], s[0:1], 0xf4
	s_load_b128 s[24:27], s[0:1], 0x114
	s_add_co_i32 s8, s8, -2
	s_wait_xcnt 0x0
	s_add_nc_u64 s[4:5], s[4:5], 24
	s_cmp_lg_u32 s8, 0
	s_add_nc_u64 s[0:1], s[0:1], 48
	s_wait_kmcnt 0x0
	v_mul_hi_u32 v6, s21, v5
	s_delay_alu instid0(VALU_DEP_1) | instskip(NEXT) | instid1(VALU_DEP_1)
	v_add_nc_u32_e32 v6, v5, v6
	v_lshrrev_b32_e32 v6, s22, v6
	s_delay_alu instid0(VALU_DEP_1) | instskip(SKIP_1) | instid1(VALU_DEP_2)
	v_mul_hi_u32 v7, s10, v6
	v_mul_lo_u32 v11, v6, s20
	v_add_nc_u32_e32 v7, v6, v7
	s_delay_alu instid0(VALU_DEP_2) | instskip(NEXT) | instid1(VALU_DEP_2)
	v_sub_nc_u32_e32 v11, v5, v11
	v_lshrrev_b32_e32 v5, s11, v7
	s_delay_alu instid0(VALU_DEP_2)
	v_mad_u32 v7, v11, s13, v29
	v_mad_u32 v13, v11, s12, v18
	;; [unrolled: 1-line block ×4, first 2 shown]
	v_mul_lo_u32 v12, v5, s23
	v_mad_u32 v19, s17, v11, v25
	v_mad_u32 v11, s16, v11, v26
	s_delay_alu instid0(VALU_DEP_3) | instskip(NEXT) | instid1(VALU_DEP_1)
	v_sub_nc_u32_e32 v6, v6, v12
	v_mad_u32 v29, v6, s19, v7
	v_mad_u32 v18, v6, s18, v13
	;; [unrolled: 1-line block ×6, first 2 shown]
	s_cbranch_scc1 .LBB29_183
; %bb.184:
	s_bitcmp1_b32 s7, 0
	s_cselect_b32 s7, -1, 0
	s_delay_alu instid0(SALU_CYCLE_1)
	s_and_b32 vcc_lo, exec_lo, s7
	s_cbranch_vccnz .LBB29_187
; %bb.185:
	s_load_b96 s[12:14], s[4:5], 0x4
	s_load_b128 s[8:11], s[0:1], 0xf4
	s_wait_xcnt 0x0
	s_load_b64 s[4:5], s[0:1], 0x104
	s_wait_kmcnt 0x0
	v_mul_hi_u32 v6, s13, v5
	s_delay_alu instid0(VALU_DEP_1) | instskip(NEXT) | instid1(VALU_DEP_1)
	v_add_nc_u32_e32 v6, v5, v6
	v_lshrrev_b32_e32 v6, s14, v6
	s_delay_alu instid0(VALU_DEP_1) | instskip(NEXT) | instid1(VALU_DEP_1)
	v_mul_lo_u32 v6, v6, s12
	v_sub_nc_u32_e32 v5, v5, v6
	s_delay_alu instid0(VALU_DEP_1)
	v_mad_u32 v18, v5, s8, v18
	v_mad_u32 v29, v5, s9, v29
	;; [unrolled: 1-line block ×6, first 2 shown]
	s_and_not1_b32 vcc_lo, exec_lo, s6
	s_cbranch_vccz .LBB29_188
	s_branch .LBB29_191
.LBB29_186:
	s_mov_b32 s6, -1
                                        ; implicit-def: $vgpr29
                                        ; implicit-def: $vgpr18
                                        ; implicit-def: $vgpr27
                                        ; implicit-def: $vgpr28
                                        ; implicit-def: $vgpr25
                                        ; implicit-def: $vgpr26
.LBB29_187:
	s_delay_alu instid0(SALU_CYCLE_1)
	s_and_not1_b32 vcc_lo, exec_lo, s6
	s_cbranch_vccnz .LBB29_191
.LBB29_188:
	s_clause 0x2
	s_load_b96 s[8:10], s[2:3], 0x4
	s_load_b128 s[4:7], s[2:3], 0xc4
	s_load_b64 s[0:1], s[2:3], 0xd4
	s_cmp_lt_u32 s33, 2
	s_wait_kmcnt 0x0
	v_mul_hi_u32 v5, s9, v0
	s_delay_alu instid0(VALU_DEP_1) | instskip(NEXT) | instid1(VALU_DEP_1)
	v_add_nc_u32_e32 v5, v0, v5
	v_lshrrev_b32_e32 v5, s10, v5
	s_delay_alu instid0(VALU_DEP_1) | instskip(NEXT) | instid1(VALU_DEP_1)
	v_mul_lo_u32 v6, v5, s8
	v_sub_nc_u32_e32 v0, v0, v6
	s_delay_alu instid0(VALU_DEP_1)
	v_mul_lo_u32 v29, v0, s5
	v_mul_lo_u32 v18, v0, s4
	;; [unrolled: 1-line block ×6, first 2 shown]
	s_cbranch_scc1 .LBB29_191
; %bb.189:
	s_clause 0x2
	s_load_b96 s[8:10], s[2:3], 0x10
	s_load_b128 s[4:7], s[2:3], 0xdc
	s_load_b64 s[0:1], s[2:3], 0xec
	s_wait_kmcnt 0x0
	v_mul_hi_u32 v0, s9, v5
	s_delay_alu instid0(VALU_DEP_1) | instskip(NEXT) | instid1(VALU_DEP_1)
	v_add_nc_u32_e32 v0, v5, v0
	v_lshrrev_b32_e32 v0, s10, v0
	s_delay_alu instid0(VALU_DEP_1) | instskip(NEXT) | instid1(VALU_DEP_1)
	v_mul_lo_u32 v0, v0, s8
	v_sub_nc_u32_e32 v0, v5, v0
	s_delay_alu instid0(VALU_DEP_1)
	v_mad_u32 v18, v0, s4, v18
	v_mad_u32 v29, v0, s5, v29
	;; [unrolled: 1-line block ×6, first 2 shown]
	s_branch .LBB29_191
.LBB29_190:
	v_dual_mov_b32 v29, 0 :: v_dual_mov_b32 v18, 0
	v_dual_mov_b32 v27, 0 :: v_dual_mov_b32 v28, 0
	;; [unrolled: 1-line block ×3, first 2 shown]
	s_and_not1_b32 vcc_lo, exec_lo, s6
	s_cbranch_vccz .LBB29_188
.LBB29_191:
	v_cmp_ne_u32_e32 vcc_lo, 1, v4
	s_cbranch_vccnz .LBB29_197
; %bb.192:
	s_cmp_lg_u32 s33, 0
	s_mov_b32 s6, 0
	s_cbranch_scc0 .LBB29_201
; %bb.193:
	s_min_u32 s7, s64, 15
	v_dual_mov_b32 v21, 0 :: v_dual_mov_b32 v0, v2
	v_dual_mov_b32 v20, 0 :: v_dual_mov_b32 v23, 0
	;; [unrolled: 1-line block ×3, first 2 shown]
	v_mov_b32_e32 v24, 0
	s_add_co_i32 s4, s7, 1
	s_mov_b64 s[0:1], 0xffffffffffffffd0
	s_and_b32 s8, s4, 30
	s_add_nc_u64 s[0:1], s[2:3], s[0:1]
	s_mov_b64 s[4:5], s[2:3]
.LBB29_194:                             ; =>This Inner Loop Header: Depth=1
	s_clause 0x1
	s_load_b128 s[20:23], s[4:5], 0x4
	s_load_b64 s[10:11], s[4:5], 0x14
	s_clause 0x1
	s_load_b256 s[12:19], s[0:1], 0xf4
	s_load_b128 s[24:27], s[0:1], 0x114
	s_add_co_i32 s8, s8, -2
	s_wait_xcnt 0x0
	s_add_nc_u64 s[4:5], s[4:5], 24
	s_cmp_lg_u32 s8, 0
	s_add_nc_u64 s[0:1], s[0:1], 48
	s_wait_kmcnt 0x0
	v_mul_hi_u32 v4, s21, v0
	s_delay_alu instid0(VALU_DEP_1) | instskip(NEXT) | instid1(VALU_DEP_1)
	v_add_nc_u32_e32 v4, v0, v4
	v_lshrrev_b32_e32 v4, s22, v4
	s_delay_alu instid0(VALU_DEP_1) | instskip(SKIP_1) | instid1(VALU_DEP_2)
	v_mul_hi_u32 v5, s10, v4
	v_mul_lo_u32 v6, v4, s20
	v_add_nc_u32_e32 v5, v4, v5
	s_delay_alu instid0(VALU_DEP_1) | instskip(NEXT) | instid1(VALU_DEP_1)
	v_dual_sub_nc_u32 v6, v0, v6 :: v_dual_lshrrev_b32 v0, s11, v5
	v_mad_u32 v5, v6, s13, v24
	v_mad_u32 v11, v6, s12, v19
	;; [unrolled: 1-line block ×4, first 2 shown]
	v_mul_lo_u32 v7, v0, s23
	v_mad_u32 v14, s17, v6, v20
	v_mad_u32 v6, s16, v6, v21
	s_delay_alu instid0(VALU_DEP_3) | instskip(NEXT) | instid1(VALU_DEP_1)
	v_sub_nc_u32_e32 v4, v4, v7
	v_mad_u32 v24, v4, s19, v5
	v_mad_u32 v19, v4, s18, v11
	;; [unrolled: 1-line block ×6, first 2 shown]
	s_cbranch_scc1 .LBB29_194
; %bb.195:
	s_bitcmp1_b32 s7, 0
	s_cselect_b32 s7, -1, 0
	s_delay_alu instid0(SALU_CYCLE_1)
	s_and_b32 vcc_lo, exec_lo, s7
	s_cbranch_vccnz .LBB29_198
; %bb.196:
	s_load_b96 s[12:14], s[4:5], 0x4
	s_load_b128 s[8:11], s[0:1], 0xf4
	s_wait_xcnt 0x0
	s_load_b64 s[4:5], s[0:1], 0x104
	s_wait_kmcnt 0x0
	v_mul_hi_u32 v4, s13, v0
	s_delay_alu instid0(VALU_DEP_1) | instskip(NEXT) | instid1(VALU_DEP_1)
	v_add_nc_u32_e32 v4, v0, v4
	v_lshrrev_b32_e32 v4, s14, v4
	s_delay_alu instid0(VALU_DEP_1) | instskip(NEXT) | instid1(VALU_DEP_1)
	v_mul_lo_u32 v4, v4, s12
	v_sub_nc_u32_e32 v0, v0, v4
	s_delay_alu instid0(VALU_DEP_1)
	v_mad_u32 v19, v0, s8, v19
	v_mad_u32 v24, v0, s9, v24
	;; [unrolled: 1-line block ×6, first 2 shown]
	s_and_not1_b32 vcc_lo, exec_lo, s6
	s_cbranch_vccz .LBB29_199
	s_branch .LBB29_202
.LBB29_197:
	s_mov_b32 s6, -1
                                        ; implicit-def: $vgpr24
                                        ; implicit-def: $vgpr19
                                        ; implicit-def: $vgpr22
                                        ; implicit-def: $vgpr23
                                        ; implicit-def: $vgpr20
                                        ; implicit-def: $vgpr21
.LBB29_198:
	s_delay_alu instid0(SALU_CYCLE_1)
	s_and_not1_b32 vcc_lo, exec_lo, s6
	s_cbranch_vccnz .LBB29_202
.LBB29_199:
	s_clause 0x2
	s_load_b96 s[8:10], s[2:3], 0x4
	s_load_b128 s[4:7], s[2:3], 0xc4
	s_load_b64 s[0:1], s[2:3], 0xd4
	s_cmp_lt_u32 s33, 2
	s_wait_kmcnt 0x0
	v_mul_hi_u32 v0, s9, v2
	s_delay_alu instid0(VALU_DEP_1) | instskip(NEXT) | instid1(VALU_DEP_1)
	v_add_nc_u32_e32 v0, v2, v0
	v_lshrrev_b32_e32 v0, s10, v0
	s_delay_alu instid0(VALU_DEP_1) | instskip(NEXT) | instid1(VALU_DEP_1)
	v_mul_lo_u32 v4, v0, s8
	v_sub_nc_u32_e32 v2, v2, v4
	s_delay_alu instid0(VALU_DEP_1)
	v_mul_lo_u32 v24, v2, s5
	v_mul_lo_u32 v19, v2, s4
	;; [unrolled: 1-line block ×6, first 2 shown]
	s_cbranch_scc1 .LBB29_202
; %bb.200:
	s_clause 0x2
	s_load_b96 s[8:10], s[2:3], 0x10
	s_load_b128 s[4:7], s[2:3], 0xdc
	s_load_b64 s[0:1], s[2:3], 0xec
	s_wait_kmcnt 0x0
	v_mul_hi_u32 v2, s9, v0
	s_delay_alu instid0(VALU_DEP_1) | instskip(NEXT) | instid1(VALU_DEP_1)
	v_add_nc_u32_e32 v2, v0, v2
	v_lshrrev_b32_e32 v2, s10, v2
	s_delay_alu instid0(VALU_DEP_1) | instskip(NEXT) | instid1(VALU_DEP_1)
	v_mul_lo_u32 v2, v2, s8
	v_sub_nc_u32_e32 v0, v0, v2
	s_delay_alu instid0(VALU_DEP_1)
	v_mad_u32 v19, v0, s4, v19
	v_mad_u32 v24, v0, s5, v24
	;; [unrolled: 1-line block ×6, first 2 shown]
	s_branch .LBB29_202
.LBB29_201:
	v_dual_mov_b32 v24, 0 :: v_dual_mov_b32 v19, 0
	v_dual_mov_b32 v22, 0 :: v_dual_mov_b32 v23, 0
	;; [unrolled: 1-line block ×3, first 2 shown]
	s_and_not1_b32 vcc_lo, exec_lo, s6
	s_cbranch_vccz .LBB29_199
.LBB29_202:
	s_load_b256 s[4:11], s[2:3], 0x248
	s_cmp_eq_u64 s[34:35], 0
	s_mov_b32 s33, s36
	s_wait_kmcnt 0x0
	global_load_b64 v[2:3], v3, s[6:7]
	s_clause 0x1
	s_load_b64 s[0:1], s[2:3], 0x278
	s_load_b128 s[12:15], s[2:3], 0x268
	s_wait_loadcnt 0x0
	s_wait_kmcnt 0x0
	v_cmp_ne_u64_e32 vcc_lo, s[0:1], v[2:3]
	s_cselect_b32 s0, -1, 0
	s_delay_alu instid0(SALU_CYCLE_1) | instskip(NEXT) | instid1(SALU_CYCLE_1)
	s_or_b32 s0, s0, vcc_lo
	s_and_saveexec_b32 s1, s0
	s_delay_alu instid0(SALU_CYCLE_1)
	s_xor_b32 s0, exec_lo, s1
	s_cbranch_execnz .LBB29_258
; %bb.203:
	s_or_saveexec_b32 s34, s0
	s_mov_b32 s0, 0
	s_xor_b32 exec_lo, exec_lo, s34
	s_cbranch_execz .LBB29_307
.LBB29_204:
	global_load_b64 v[0:1], v1, s[8:9]
	s_load_b64 s[0:1], s[2:3], 0x288
	s_get_pc_i64 s[16:17]
	s_add_nc_u64 s[16:17], s[16:17], .str.2@rel64+4
	s_mov_b32 s35, s33
	s_cmp_eq_u64 s[16:17], 0
	s_wait_loadcnt 0x0
	s_wait_kmcnt 0x0
	v_cmp_ne_u64_e32 vcc_lo, s[0:1], v[0:1]
	s_cselect_b32 s0, -1, 0
	s_delay_alu instid0(SALU_CYCLE_1) | instskip(NEXT) | instid1(SALU_CYCLE_1)
	s_or_b32 s0, s0, vcc_lo
	s_and_saveexec_b32 s1, s0
	s_delay_alu instid0(SALU_CYCLE_1)
	s_xor_b32 s0, exec_lo, s1
	s_cbranch_execnz .LBB29_264
; %bb.205:
	s_or_saveexec_b32 s38, s0
	s_mov_b32 s0, 0
	s_xor_b32 exec_lo, exec_lo, s38
	s_cbranch_execz .LBB29_306
.LBB29_206:
	global_load_b64 v[6:7], v9, s[10:11]
	global_load_b64 v[4:5], v8, s[12:13]
	s_load_b64 s[18:19], s[2:3], 0x280
	s_get_pc_i64 s[16:17]
	s_add_nc_u64 s[16:17], s[16:17], .str.3@rel64+4
	s_mov_b32 s39, s35
	s_wait_loadcnt 0x0
	v_sub_nc_u64_e32 v[8:9], v[4:5], v[6:7]
	s_delay_alu instid0(VALU_DEP_1)
	v_cmp_gt_i64_e32 vcc_lo, v[2:3], v[8:9]
	s_wait_kmcnt 0x0
	v_cmp_lt_i64_e64 s0, s[18:19], v[8:9]
	s_or_b32 s0, vcc_lo, s0
	s_cmp_eq_u64 s[16:17], 0
	s_cselect_b32 s1, -1, 0
	s_delay_alu instid0(SALU_CYCLE_1) | instskip(NEXT) | instid1(SALU_CYCLE_1)
	s_or_b32 s0, s1, s0
	s_and_saveexec_b32 s1, s0
	s_delay_alu instid0(SALU_CYCLE_1)
	s_xor_b32 s0, exec_lo, s1
	s_cbranch_execnz .LBB29_282
; %bb.207:
	s_or_saveexec_b32 s40, s0
	s_mov_b32 s0, 0
	s_xor_b32 exec_lo, exec_lo, s40
	s_cbranch_execz .LBB29_305
.LBB29_208:
	s_load_b32 s41, s[2:3], 0x290
	v_cmp_lt_i64_e32 vcc_lo, 0, v[0:1]
	v_mov_b64_e32 v[8:9], 0
	s_wait_kmcnt 0x0
	s_add_co_i32 s16, s41, -1
	s_delay_alu instid0(SALU_CYCLE_1) | instskip(SKIP_1) | instid1(SALU_CYCLE_1)
	s_cmp_gt_i32 s16, -1
	s_cselect_b32 s0, -1, 0
	s_and_b32 s48, vcc_lo, s0
	s_delay_alu instid0(SALU_CYCLE_1)
	s_and_saveexec_b32 s30, s48
	s_cbranch_execz .LBB29_215
; %bb.209:
	global_load_b64 v[8:9], v10, s[14:15]
	s_mov_b32 s1, 0
	s_wait_xcnt 0x0
	v_mov_b32_e32 v10, 0
	s_mov_b32 s17, s1
	s_mov_b64 s[20:21], 0xffffffff
	s_lshl_b64 s[22:23], s[16:17], 3
	s_mov_b32 s17, s41
	s_add_nc_u64 s[22:23], s[2:3], s[22:23]
	s_delay_alu instid0(SALU_CYCLE_1)
	s_add_nc_u64 s[22:23], s[22:23], 0x298
	s_wait_loadcnt 0x0
	v_mul_u64_e32 v[12:13], v[8:9], v[0:1]
	v_mov_b64_e32 v[8:9], 0
	s_branch .LBB29_211
.LBB29_210:                             ;   in Loop: Header=BB29_211 Depth=1
	s_or_b32 exec_lo, exec_lo, s0
	s_delay_alu instid0(VALU_DEP_1)
	v_mul_u64_e32 v[36:37], s[24:25], v[14:15]
	s_load_b64 s[24:25], s[22:23], 0x40
	s_add_co_i32 s17, s17, -1
	s_wait_xcnt 0x0
	s_add_nc_u64 s[22:23], s[22:23], -8
	s_cmp_eq_u32 s17, 0
	s_delay_alu instid0(VALU_DEP_1) | instskip(SKIP_1) | instid1(VALU_DEP_1)
	v_sub_nc_u64_e32 v[12:13], v[12:13], v[36:37]
	s_wait_kmcnt 0x0
	v_mad_nc_u64_u32 v[8:9], v12, s24, v[8:9]
	s_delay_alu instid0(VALU_DEP_1) | instskip(NEXT) | instid1(VALU_DEP_1)
	v_mad_u32 v9, v13, s24, v9
	v_mad_u32 v9, v12, s25, v9
	v_mov_b64_e32 v[12:13], v[14:15]
	s_cbranch_scc1 .LBB29_215
.LBB29_211:                             ; =>This Inner Loop Header: Depth=1
	s_load_b64 s[24:25], s[22:23], 0x0
                                        ; implicit-def: $vgpr14_vgpr15
	s_mov_b32 s0, exec_lo
	s_wait_kmcnt 0x0
	s_delay_alu instid0(VALU_DEP_1) | instskip(NEXT) | instid1(VALU_DEP_1)
	v_or_b32_e32 v11, s25, v13
	v_cmpx_ne_u64_e32 0, v[10:11]
	s_xor_b32 s31, exec_lo, s0
	s_cbranch_execz .LBB29_213
; %bb.212:                              ;   in Loop: Header=BB29_211 Depth=1
	s_ashr_i32 s26, s25, 31
	v_dual_mov_b32 v39, v10 :: v_dual_ashrrev_i32 v14, 31, v13
	s_mov_b32 s27, s26
	v_mov_b32_e32 v47, v10
	s_add_nc_u64 s[28:29], s[24:25], s[26:27]
	s_delay_alu instid0(VALU_DEP_2) | instskip(SKIP_1) | instid1(SALU_CYCLE_1)
	v_mov_b32_e32 v15, v14
	s_xor_b64 s[28:29], s[28:29], s[26:27]
	s_cvt_f32_u32 s0, s28
	s_cvt_f32_u32 s27, s29
	s_sub_nc_u64 s[44:45], 0, s[28:29]
	v_add_nc_u64_e32 v[36:37], v[12:13], v[14:15]
	v_mov_b32_e32 v43, v10
	s_fmamk_f32 s0, s27, 0x4f800000, s0
	s_delay_alu instid0(SALU_CYCLE_3) | instskip(NEXT) | instid1(VALU_DEP_2)
	v_s_rcp_f32 s0, s0
	v_xor_b32_e32 v38, v36, v14
	s_delay_alu instid0(VALU_DEP_3) | instskip(SKIP_1) | instid1(TRANS32_DEP_1)
	v_xor_b32_e32 v42, v37, v14
	v_xor_b32_e32 v14, s26, v14
	s_mul_f32 s0, s0, 0x5f7ffffc
	s_delay_alu instid0(SALU_CYCLE_3) | instskip(NEXT) | instid1(SALU_CYCLE_3)
	s_mul_f32 s27, s0, 0x2f800000
	s_trunc_f32 s27, s27
	s_delay_alu instid0(SALU_CYCLE_3) | instskip(SKIP_1) | instid1(SALU_CYCLE_2)
	s_fmamk_f32 s0, s27, 0xcf800000, s0
	s_cvt_u32_f32 s43, s27
	s_cvt_u32_f32 s42, s0
	s_delay_alu instid0(SALU_CYCLE_3) | instskip(NEXT) | instid1(SALU_CYCLE_1)
	s_mul_u64 s[46:47], s[44:45], s[42:43]
	s_mul_hi_u32 s51, s42, s47
	s_mul_i32 s50, s42, s47
	s_mul_hi_u32 s0, s42, s46
	s_mul_i32 s49, s43, s46
	s_add_nc_u64 s[50:51], s[0:1], s[50:51]
	s_mul_hi_u32 s27, s43, s46
	s_mul_hi_u32 s52, s43, s47
	s_add_co_u32 s0, s50, s49
	s_add_co_ci_u32 s0, s51, s27
	s_mul_i32 s46, s43, s47
	s_add_co_ci_u32 s47, s52, 0
	s_delay_alu instid0(SALU_CYCLE_1) | instskip(NEXT) | instid1(SALU_CYCLE_1)
	s_add_nc_u64 s[46:47], s[0:1], s[46:47]
	s_add_co_u32 s42, s42, s46
	s_cselect_b32 s0, -1, 0
	s_delay_alu instid0(SALU_CYCLE_1) | instskip(SKIP_1) | instid1(SALU_CYCLE_1)
	s_cmp_lg_u32 s0, 0
	s_add_co_ci_u32 s43, s43, s47
	s_mul_u64 s[44:45], s[44:45], s[42:43]
	s_delay_alu instid0(SALU_CYCLE_1)
	s_mul_hi_u32 s47, s42, s45
	s_mul_i32 s46, s42, s45
	s_mul_hi_u32 s0, s42, s44
	s_mul_i32 s49, s43, s44
	s_add_nc_u64 s[46:47], s[0:1], s[46:47]
	s_mul_hi_u32 s27, s43, s44
	s_mul_hi_u32 s50, s43, s45
	s_add_co_u32 s0, s46, s49
	s_add_co_ci_u32 s0, s47, s27
	s_mul_i32 s44, s43, s45
	s_add_co_ci_u32 s45, s50, 0
	s_delay_alu instid0(SALU_CYCLE_1) | instskip(NEXT) | instid1(SALU_CYCLE_1)
	s_add_nc_u64 s[44:45], s[0:1], s[44:45]
	s_add_co_u32 s42, s42, s44
	s_cselect_b32 s0, -1, 0
	v_mul_hi_u32 v46, v38, s42
	s_cmp_lg_u32 s0, 0
	s_add_co_ci_u32 s0, s43, s45
	s_and_b64 s[44:45], s[42:43], s[20:21]
	v_mul_u64_e32 v[40:41], s[0:1], v[38:39]
	v_mul_u64_e32 v[36:37], s[44:45], v[42:43]
	;; [unrolled: 1-line block ×3, first 2 shown]
	s_delay_alu instid0(VALU_DEP_3) | instskip(NEXT) | instid1(VALU_DEP_1)
	v_add_nc_u64_e32 v[40:41], v[46:47], v[40:41]
	v_add_co_u32 v11, vcc_lo, v40, v36
	s_delay_alu instid0(VALU_DEP_2) | instskip(NEXT) | instid1(VALU_DEP_4)
	v_add_co_ci_u32_e32 v46, vcc_lo, v41, v37, vcc_lo
	v_add_co_ci_u32_e32 v45, vcc_lo, 0, v45, vcc_lo
	s_delay_alu instid0(VALU_DEP_1) | instskip(NEXT) | instid1(VALU_DEP_1)
	v_add_nc_u64_e32 v[36:37], v[46:47], v[44:45]
	v_mul_u64_e32 v[40:41], s[28:29], v[36:37]
	s_delay_alu instid0(VALU_DEP_1) | instskip(NEXT) | instid1(VALU_DEP_2)
	v_sub_nc_u32_e32 v11, v42, v41
	v_sub_co_u32 v15, vcc_lo, v38, v40
	s_delay_alu instid0(VALU_DEP_1) | instskip(NEXT) | instid1(VALU_DEP_3)
	v_sub_co_ci_u32_e64 v42, null, v42, v41, vcc_lo
	v_subrev_co_ci_u32_e64 v11, null, s29, v11, vcc_lo
	s_delay_alu instid0(VALU_DEP_3) | instskip(SKIP_1) | instid1(VALU_DEP_3)
	v_sub_co_u32 v35, s0, v15, s28
	v_add_nc_u64_e32 v[40:41], 1, v[36:37]
	v_subrev_co_ci_u32_e64 v11, null, 0, v11, s0
	s_delay_alu instid0(VALU_DEP_3) | instskip(SKIP_1) | instid1(VALU_DEP_3)
	v_cmp_le_u32_e32 vcc_lo, s28, v35
	v_cndmask_b32_e64 v35, 0, -1, vcc_lo
	v_cmp_le_u32_e32 vcc_lo, s29, v11
	v_cndmask_b32_e64 v38, 0, -1, vcc_lo
	;; [unrolled: 2-line block ×4, first 2 shown]
	v_cmp_eq_u32_e32 vcc_lo, s29, v11
	v_cndmask_b32_e32 v11, v38, v35, vcc_lo
	v_cmp_eq_u32_e32 vcc_lo, s29, v42
	v_add_nc_u64_e32 v[38:39], 2, v[36:37]
	v_cndmask_b32_e32 v15, v43, v15, vcc_lo
	s_delay_alu instid0(VALU_DEP_4) | instskip(NEXT) | instid1(VALU_DEP_2)
	v_cmp_ne_u32_e32 vcc_lo, 0, v11
	v_cmp_ne_u32_e64 s0, 0, v15
	s_delay_alu instid0(VALU_DEP_4) | instskip(NEXT) | instid1(VALU_DEP_1)
	v_dual_cndmask_b32 v11, v41, v39, vcc_lo :: v_dual_cndmask_b32 v15, v40, v38, vcc_lo
	v_dual_cndmask_b32 v35, v36, v15, s0 :: v_dual_mov_b32 v15, v14
	s_delay_alu instid0(VALU_DEP_1) | instskip(NEXT) | instid1(VALU_DEP_1)
	v_dual_cndmask_b32 v11, v37, v11, s0 :: v_dual_bitop2_b32 v36, v35, v14 bitop3:0x14
	v_xor_b32_e32 v37, v11, v14
	s_delay_alu instid0(VALU_DEP_1)
	v_sub_nc_u64_e32 v[14:15], v[36:37], v[14:15]
.LBB29_213:                             ;   in Loop: Header=BB29_211 Depth=1
	s_and_not1_saveexec_b32 s0, s31
	s_cbranch_execz .LBB29_210
; %bb.214:                              ;   in Loop: Header=BB29_211 Depth=1
	v_cvt_f32_u32_e32 v11, s24
	s_sub_co_i32 s26, 0, s24
	s_delay_alu instid0(VALU_DEP_1) | instskip(SKIP_1) | instid1(TRANS32_DEP_1)
	v_rcp_iflag_f32_e32 v11, v11
	v_nop
	v_mul_f32_e32 v11, 0x4f7ffffe, v11
	s_delay_alu instid0(VALU_DEP_1) | instskip(NEXT) | instid1(VALU_DEP_1)
	v_cvt_u32_f32_e32 v11, v11
	v_mul_lo_u32 v14, s26, v11
	s_delay_alu instid0(VALU_DEP_1) | instskip(NEXT) | instid1(VALU_DEP_1)
	v_mul_hi_u32 v14, v11, v14
	v_add_nc_u32_e32 v11, v11, v14
	s_delay_alu instid0(VALU_DEP_1) | instskip(NEXT) | instid1(VALU_DEP_1)
	v_mul_hi_u32 v11, v12, v11
	v_mul_lo_u32 v14, v11, s24
	s_delay_alu instid0(VALU_DEP_1) | instskip(NEXT) | instid1(VALU_DEP_1)
	v_dual_add_nc_u32 v15, 1, v11 :: v_dual_sub_nc_u32 v14, v12, v14
	v_subrev_nc_u32_e32 v35, s24, v14
	v_cmp_le_u32_e32 vcc_lo, s24, v14
	s_delay_alu instid0(VALU_DEP_2) | instskip(NEXT) | instid1(VALU_DEP_4)
	v_cndmask_b32_e32 v14, v14, v35, vcc_lo
	v_cndmask_b32_e32 v11, v11, v15, vcc_lo
	s_delay_alu instid0(VALU_DEP_2) | instskip(NEXT) | instid1(VALU_DEP_2)
	v_cmp_le_u32_e32 vcc_lo, s24, v14
	v_add_nc_u32_e32 v15, 1, v11
	s_delay_alu instid0(VALU_DEP_1)
	v_dual_cndmask_b32 v14, v11, v15 :: v_dual_mov_b32 v15, v10
	s_branch .LBB29_210
.LBB29_215:
	s_or_b32 exec_lo, exec_lo, s30
	s_load_b64 s[20:21], s[2:3], 0x318
	s_get_pc_i64 s[0:1]
	s_add_nc_u64 s[0:1], s[0:1], .str.4@rel64+4
	s_mov_b32 s42, s39
	s_cmp_lg_u64 s[0:1], 0
	s_mov_b32 s1, -1
	s_cselect_b32 s47, -1, 0
	s_mov_b32 s0, exec_lo
	v_cmpx_gt_i64_e64 v[4:5], v[6:7]
	s_cbranch_execz .LBB29_222
; %bb.216:
	v_lshlrev_b64_e32 v[8:9], 3, v[8:9]
	s_mov_b32 s17, 0
	s_xor_b32 s22, s47, -1
                                        ; implicit-def: $sgpr1
                                        ; implicit-def: $sgpr24
                                        ; implicit-def: $sgpr23
	s_delay_alu instid0(VALU_DEP_1) | instskip(SKIP_2) | instid1(VALU_DEP_2)
	v_lshl_add_u64 v[6:7], v[6:7], 3, v[8:9]
	s_wait_kmcnt 0x0
	v_add_nc_u64_e32 v[8:9], s[20:21], v[8:9]
	v_add_nc_u64_e32 v[6:7], s[20:21], v[6:7]
	s_delay_alu instid0(VALU_DEP_2) | instskip(NEXT) | instid1(VALU_DEP_2)
	v_lshl_add_u64 v[4:5], v[4:5], 3, v[8:9]
	v_add_nc_u64_e32 v[6:7], 8, v[6:7]
	s_branch .LBB29_218
.LBB29_217:                             ;   in Loop: Header=BB29_218 Depth=1
	s_or_b32 exec_lo, exec_lo, s25
	s_xor_b32 s25, s23, -1
	s_and_b32 s26, exec_lo, s24
	s_delay_alu instid0(SALU_CYCLE_1) | instskip(SKIP_2) | instid1(SALU_CYCLE_1)
	s_or_b32 s17, s26, s17
	s_and_not1_b32 s1, s1, exec_lo
	s_and_b32 s25, s25, exec_lo
	s_or_b32 s1, s1, s25
	s_and_not1_b32 exec_lo, exec_lo, s17
	s_cbranch_execz .LBB29_220
.LBB29_218:                             ; =>This Inner Loop Header: Depth=1
	s_or_b32 s23, s23, exec_lo
	s_or_b32 s24, s24, exec_lo
	s_mov_b32 s25, exec_lo
	s_delay_alu instid0(VALU_DEP_1)
	v_cmpx_lt_u64_e64 v[6:7], v[4:5]
	s_cbranch_execz .LBB29_217
; %bb.219:                              ;   in Loop: Header=BB29_218 Depth=1
	global_load_b128 v[8:11], v[6:7], off offset:-8
	s_wait_xcnt 0x0
	v_add_nc_u64_e32 v[6:7], 8, v[6:7]
	s_and_not1_b32 s24, s24, exec_lo
	s_and_not1_b32 s23, s23, exec_lo
	s_wait_loadcnt 0x0
	v_cmp_ge_i64_e32 vcc_lo, v[8:9], v[10:11]
	s_or_b32 s26, s22, vcc_lo
	s_delay_alu instid0(SALU_CYCLE_1) | instskip(NEXT) | instid1(SALU_CYCLE_1)
	s_and_b32 s26, s26, exec_lo
	s_or_b32 s24, s24, s26
	s_branch .LBB29_217
.LBB29_220:
	s_or_b32 exec_lo, exec_lo, s17
	s_mov_b32 s17, -1
	s_mov_b32 s22, s39
	s_and_saveexec_b32 s23, s1
	s_delay_alu instid0(SALU_CYCLE_1)
	s_xor_b32 s1, exec_lo, s23
	s_cbranch_execnz .LBB29_257
.LBB29_221:
	s_or_b32 exec_lo, exec_lo, s1
	s_delay_alu instid0(SALU_CYCLE_1) | instskip(SKIP_1) | instid1(SALU_CYCLE_1)
	s_and_not1_b32 s1, s39, exec_lo
	s_and_b32 s22, s22, exec_lo
	s_or_b32 s42, s1, s22
	s_or_not1_b32 s1, s17, exec_lo
.LBB29_222:
	s_or_b32 exec_lo, exec_lo, s0
	s_mov_b32 s0, 0
	s_and_saveexec_b32 s43, s1
	s_cbranch_execz .LBB29_304
; %bb.223:
	global_load_b64 v[4:5], v34, s[6:7]
	s_mov_b32 s44, s42
	s_mov_b32 s0, exec_lo
	s_wait_loadcnt 0x0
	v_cmpx_ne_u64_e64 v[4:5], v[2:3]
	s_xor_b32 s0, exec_lo, s0
	s_cbranch_execnz .LBB29_283
; %bb.224:
	s_or_saveexec_b32 s45, s0
	s_mov_b32 s0, 0
	s_xor_b32 exec_lo, exec_lo, s45
	s_cbranch_execz .LBB29_303
.LBB29_225:
	global_load_b64 v[4:5], v33, s[8:9]
	s_mov_b32 s46, s44
	s_mov_b32 s0, exec_lo
	s_wait_loadcnt 0x0
	v_cmpx_ne_u64_e64 v[4:5], v[0:1]
	s_xor_b32 s0, exec_lo, s0
	s_cbranch_execnz .LBB29_289
; %bb.226:
	s_or_saveexec_b32 s49, s0
	s_mov_b32 s0, 0
	s_xor_b32 exec_lo, exec_lo, s49
	s_cbranch_execz .LBB29_302
.LBB29_227:
	global_load_b64 v[6:7], v32, s[10:11]
	global_load_b64 v[4:5], v31, s[12:13]
	s_mov_b32 s50, s46
	s_wait_loadcnt 0x0
	v_sub_nc_u64_e32 v[8:9], v[4:5], v[6:7]
	s_delay_alu instid0(VALU_DEP_1) | instskip(SKIP_4) | instid1(SALU_CYCLE_1)
	v_cmp_gt_i64_e32 vcc_lo, v[2:3], v[8:9]
	v_cmp_lt_i64_e64 s0, s[18:19], v[8:9]
	s_or_b32 s0, vcc_lo, s0
	s_wait_xcnt 0x0
	s_and_saveexec_b32 s1, s0
	s_xor_b32 s0, exec_lo, s1
	s_cbranch_execnz .LBB29_311
; %bb.228:
	s_or_saveexec_b32 s51, s0
	s_mov_b32 s0, 0
	s_xor_b32 exec_lo, exec_lo, s51
	s_cbranch_execz .LBB29_301
.LBB29_229:
	v_mov_b64_e32 v[8:9], 0
	s_and_saveexec_b32 s52, s48
	s_cbranch_execz .LBB29_236
; %bb.230:
	global_load_b64 v[8:9], v30, s[14:15]
	s_mov_b32 s1, 0
	v_mov_b32_e32 v10, 0
	s_mov_b32 s17, s1
	s_mov_b64 s[22:23], 0xffffffff
	s_lshl_b64 s[24:25], s[16:17], 3
	s_mov_b32 s17, s41
	s_add_nc_u64 s[24:25], s[2:3], s[24:25]
	s_delay_alu instid0(SALU_CYCLE_1)
	s_add_nc_u64 s[24:25], s[24:25], 0x298
	s_wait_loadcnt 0x0
	v_mul_u64_e32 v[12:13], v[8:9], v[0:1]
	v_mov_b64_e32 v[8:9], 0
	s_branch .LBB29_232
.LBB29_231:                             ;   in Loop: Header=BB29_232 Depth=1
	s_or_b32 exec_lo, exec_lo, s0
	s_delay_alu instid0(VALU_DEP_1)
	v_mul_u64_e32 v[30:31], s[26:27], v[14:15]
	s_load_b64 s[26:27], s[24:25], 0x40
	s_add_co_i32 s17, s17, -1
	s_wait_xcnt 0x0
	s_add_nc_u64 s[24:25], s[24:25], -8
	s_cmp_eq_u32 s17, 0
	s_delay_alu instid0(VALU_DEP_1) | instskip(SKIP_1) | instid1(VALU_DEP_1)
	v_sub_nc_u64_e32 v[12:13], v[12:13], v[30:31]
	s_wait_kmcnt 0x0
	v_mad_nc_u64_u32 v[8:9], v12, s26, v[8:9]
	s_delay_alu instid0(VALU_DEP_1) | instskip(NEXT) | instid1(VALU_DEP_1)
	v_mad_u32 v9, v13, s26, v9
	v_mad_u32 v9, v12, s27, v9
	v_mov_b64_e32 v[12:13], v[14:15]
	s_cbranch_scc1 .LBB29_236
.LBB29_232:                             ; =>This Inner Loop Header: Depth=1
	s_load_b64 s[26:27], s[24:25], 0x0
                                        ; implicit-def: $vgpr14_vgpr15
	s_mov_b32 s0, exec_lo
	s_wait_kmcnt 0x0
	s_delay_alu instid0(VALU_DEP_1) | instskip(NEXT) | instid1(VALU_DEP_1)
	v_or_b32_e32 v11, s27, v13
	v_cmpx_ne_u64_e32 0, v[10:11]
	s_xor_b32 s53, exec_lo, s0
	s_cbranch_execz .LBB29_234
; %bb.233:                              ;   in Loop: Header=BB29_232 Depth=1
	s_ashr_i32 s28, s27, 31
	v_dual_mov_b32 v33, v10 :: v_dual_ashrrev_i32 v14, 31, v13
	s_mov_b32 s29, s28
	v_mov_b32_e32 v37, v10
	s_add_nc_u64 s[30:31], s[26:27], s[28:29]
	s_delay_alu instid0(VALU_DEP_2)
	v_mov_b32_e32 v15, v14
	s_xor_b64 s[30:31], s[30:31], s[28:29]
	v_mov_b32_e32 v41, v10
	s_cvt_f32_u32 s0, s30
	s_cvt_f32_u32 s29, s31
	s_sub_nc_u64 s[56:57], 0, s[30:31]
	v_add_nc_u64_e32 v[30:31], v[12:13], v[14:15]
	s_delay_alu instid0(SALU_CYCLE_1) | instskip(NEXT) | instid1(SALU_CYCLE_3)
	s_fmamk_f32 s0, s29, 0x4f800000, s0
	v_s_rcp_f32 s0, s0
	s_delay_alu instid0(VALU_DEP_1) | instskip(NEXT) | instid1(VALU_DEP_2)
	v_xor_b32_e32 v36, v31, v14
	v_xor_b32_e32 v32, v30, v14
	s_delay_alu instid0(TRANS32_DEP_1) | instskip(NEXT) | instid1(SALU_CYCLE_3)
	s_mul_f32 s0, s0, 0x5f7ffffc
	s_mul_f32 s29, s0, 0x2f800000
	s_delay_alu instid0(SALU_CYCLE_3) | instskip(NEXT) | instid1(SALU_CYCLE_3)
	s_trunc_f32 s29, s29
	s_fmamk_f32 s0, s29, 0xcf800000, s0
	s_cvt_u32_f32 s55, s29
	s_delay_alu instid0(SALU_CYCLE_2) | instskip(NEXT) | instid1(SALU_CYCLE_3)
	s_cvt_u32_f32 s54, s0
	s_mul_u64 s[58:59], s[56:57], s[54:55]
	s_delay_alu instid0(SALU_CYCLE_1)
	s_mul_hi_u32 s61, s54, s59
	s_mul_i32 s60, s54, s59
	s_mul_hi_u32 s0, s54, s58
	s_mul_i32 s62, s55, s58
	s_add_nc_u64 s[60:61], s[0:1], s[60:61]
	s_mul_hi_u32 s29, s55, s58
	s_mul_hi_u32 s63, s55, s59
	s_add_co_u32 s0, s60, s62
	s_add_co_ci_u32 s0, s61, s29
	s_mul_i32 s58, s55, s59
	s_add_co_ci_u32 s59, s63, 0
	s_delay_alu instid0(SALU_CYCLE_1) | instskip(NEXT) | instid1(SALU_CYCLE_1)
	s_add_nc_u64 s[58:59], s[0:1], s[58:59]
	s_add_co_u32 s54, s54, s58
	s_cselect_b32 s0, -1, 0
	s_delay_alu instid0(SALU_CYCLE_1) | instskip(SKIP_1) | instid1(SALU_CYCLE_1)
	s_cmp_lg_u32 s0, 0
	s_add_co_ci_u32 s55, s55, s59
	s_mul_u64 s[56:57], s[56:57], s[54:55]
	s_delay_alu instid0(SALU_CYCLE_1)
	s_mul_hi_u32 s59, s54, s57
	s_mul_i32 s58, s54, s57
	s_mul_hi_u32 s0, s54, s56
	s_mul_i32 s60, s55, s56
	s_add_nc_u64 s[58:59], s[0:1], s[58:59]
	s_mul_hi_u32 s29, s55, s56
	s_mul_hi_u32 s61, s55, s57
	s_add_co_u32 s0, s58, s60
	s_add_co_ci_u32 s0, s59, s29
	s_mul_i32 s56, s55, s57
	s_add_co_ci_u32 s57, s61, 0
	s_delay_alu instid0(SALU_CYCLE_1) | instskip(NEXT) | instid1(SALU_CYCLE_1)
	s_add_nc_u64 s[56:57], s[0:1], s[56:57]
	s_add_co_u32 s54, s54, s56
	s_cselect_b32 s0, -1, 0
	v_mul_hi_u32 v40, v32, s54
	s_cmp_lg_u32 s0, 0
	s_add_co_ci_u32 s0, s55, s57
	s_and_b64 s[56:57], s[54:55], s[22:23]
	v_mul_u64_e32 v[34:35], s[0:1], v[32:33]
	v_mul_u64_e32 v[30:31], s[56:57], v[36:37]
	;; [unrolled: 1-line block ×3, first 2 shown]
	s_delay_alu instid0(VALU_DEP_3) | instskip(NEXT) | instid1(VALU_DEP_1)
	v_add_nc_u64_e32 v[34:35], v[40:41], v[34:35]
	v_add_co_u32 v11, vcc_lo, v34, v30
	s_delay_alu instid0(VALU_DEP_2) | instskip(NEXT) | instid1(VALU_DEP_4)
	v_add_co_ci_u32_e32 v40, vcc_lo, v35, v31, vcc_lo
	v_add_co_ci_u32_e32 v39, vcc_lo, 0, v39, vcc_lo
	s_delay_alu instid0(VALU_DEP_1) | instskip(NEXT) | instid1(VALU_DEP_1)
	v_add_nc_u64_e32 v[30:31], v[40:41], v[38:39]
	v_mul_u64_e32 v[34:35], s[30:31], v[30:31]
	s_delay_alu instid0(VALU_DEP_1) | instskip(NEXT) | instid1(VALU_DEP_2)
	v_sub_nc_u32_e32 v11, v36, v35
	v_sub_co_u32 v15, vcc_lo, v32, v34
	s_delay_alu instid0(VALU_DEP_1) | instskip(NEXT) | instid1(VALU_DEP_3)
	v_sub_co_ci_u32_e64 v36, null, v36, v35, vcc_lo
	v_subrev_co_ci_u32_e64 v11, null, s31, v11, vcc_lo
	s_delay_alu instid0(VALU_DEP_3) | instskip(SKIP_1) | instid1(VALU_DEP_3)
	v_sub_co_u32 v32, s0, v15, s30
	v_add_nc_u64_e32 v[34:35], 1, v[30:31]
	v_subrev_co_ci_u32_e64 v11, null, 0, v11, s0
	s_delay_alu instid0(VALU_DEP_3) | instskip(SKIP_1) | instid1(VALU_DEP_3)
	v_cmp_le_u32_e32 vcc_lo, s30, v32
	v_cndmask_b32_e64 v32, 0, -1, vcc_lo
	v_cmp_le_u32_e32 vcc_lo, s31, v11
	v_cndmask_b32_e64 v33, 0, -1, vcc_lo
	;; [unrolled: 2-line block ×4, first 2 shown]
	v_cmp_eq_u32_e32 vcc_lo, s31, v11
	v_cndmask_b32_e32 v11, v33, v32, vcc_lo
	v_cmp_eq_u32_e32 vcc_lo, s31, v36
	v_add_nc_u64_e32 v[32:33], 2, v[30:31]
	v_cndmask_b32_e32 v15, v37, v15, vcc_lo
	s_delay_alu instid0(VALU_DEP_4) | instskip(NEXT) | instid1(VALU_DEP_3)
	v_cmp_ne_u32_e32 vcc_lo, 0, v11
	v_cndmask_b32_e32 v11, v35, v33, vcc_lo
	s_delay_alu instid0(VALU_DEP_3) | instskip(SKIP_1) | instid1(VALU_DEP_2)
	v_cmp_ne_u32_e64 s0, 0, v15
	v_dual_cndmask_b32 v15, v34, v32, vcc_lo :: v_dual_bitop2_b32 v14, s28, v14 bitop3:0x14
	v_cndmask_b32_e64 v11, v31, v11, s0
	s_delay_alu instid0(VALU_DEP_2) | instskip(NEXT) | instid1(VALU_DEP_2)
	v_cndmask_b32_e64 v30, v30, v15, s0
	v_dual_mov_b32 v15, v14 :: v_dual_bitop2_b32 v31, v11, v14 bitop3:0x14
	s_delay_alu instid0(VALU_DEP_2) | instskip(NEXT) | instid1(VALU_DEP_1)
	v_xor_b32_e32 v30, v30, v14
	v_sub_nc_u64_e32 v[14:15], v[30:31], v[14:15]
.LBB29_234:                             ;   in Loop: Header=BB29_232 Depth=1
	s_and_not1_saveexec_b32 s0, s53
	s_cbranch_execz .LBB29_231
; %bb.235:                              ;   in Loop: Header=BB29_232 Depth=1
	v_cvt_f32_u32_e32 v11, s26
	s_sub_co_i32 s28, 0, s26
	s_delay_alu instid0(VALU_DEP_1) | instskip(SKIP_1) | instid1(TRANS32_DEP_1)
	v_rcp_iflag_f32_e32 v11, v11
	v_nop
	v_mul_f32_e32 v11, 0x4f7ffffe, v11
	s_delay_alu instid0(VALU_DEP_1) | instskip(NEXT) | instid1(VALU_DEP_1)
	v_cvt_u32_f32_e32 v11, v11
	v_mul_lo_u32 v14, s28, v11
	s_delay_alu instid0(VALU_DEP_1) | instskip(NEXT) | instid1(VALU_DEP_1)
	v_mul_hi_u32 v14, v11, v14
	v_add_nc_u32_e32 v11, v11, v14
	s_delay_alu instid0(VALU_DEP_1) | instskip(NEXT) | instid1(VALU_DEP_1)
	v_mul_hi_u32 v11, v12, v11
	v_mul_lo_u32 v14, v11, s26
	s_delay_alu instid0(VALU_DEP_1) | instskip(NEXT) | instid1(VALU_DEP_1)
	v_sub_nc_u32_e32 v14, v12, v14
	v_subrev_nc_u32_e32 v30, s26, v14
	v_cmp_le_u32_e32 vcc_lo, s26, v14
	s_delay_alu instid0(VALU_DEP_2) | instskip(NEXT) | instid1(VALU_DEP_1)
	v_dual_cndmask_b32 v14, v14, v30 :: v_dual_add_nc_u32 v15, 1, v11
	v_cndmask_b32_e32 v11, v11, v15, vcc_lo
	s_delay_alu instid0(VALU_DEP_2) | instskip(NEXT) | instid1(VALU_DEP_2)
	v_cmp_le_u32_e32 vcc_lo, s26, v14
	v_add_nc_u32_e32 v15, 1, v11
	s_delay_alu instid0(VALU_DEP_1)
	v_dual_cndmask_b32 v14, v11, v15 :: v_dual_mov_b32 v15, v10
	s_branch .LBB29_231
.LBB29_236:
	s_or_b32 exec_lo, exec_lo, s52
	s_mov_b32 s1, -1
	s_mov_b32 s52, s50
	s_mov_b32 s0, exec_lo
	v_cmpx_gt_i64_e64 v[4:5], v[6:7]
	s_cbranch_execz .LBB29_243
; %bb.237:
	s_delay_alu instid0(VALU_DEP_2) | instskip(SKIP_2) | instid1(VALU_DEP_1)
	v_lshlrev_b64_e32 v[8:9], 3, v[8:9]
	s_mov_b32 s17, 0
	s_xor_b32 s22, s47, -1
                                        ; implicit-def: $sgpr1
                                        ; implicit-def: $sgpr24
                                        ; implicit-def: $sgpr23
	v_lshl_add_u64 v[6:7], v[6:7], 3, v[8:9]
	s_wait_kmcnt 0x0
	v_add_nc_u64_e32 v[8:9], s[20:21], v[8:9]
	s_delay_alu instid0(VALU_DEP_2) | instskip(NEXT) | instid1(VALU_DEP_2)
	v_add_nc_u64_e32 v[6:7], s[20:21], v[6:7]
	v_lshl_add_u64 v[4:5], v[4:5], 3, v[8:9]
	s_delay_alu instid0(VALU_DEP_2)
	v_add_nc_u64_e32 v[6:7], 8, v[6:7]
	s_branch .LBB29_239
.LBB29_238:                             ;   in Loop: Header=BB29_239 Depth=1
	s_or_b32 exec_lo, exec_lo, s25
	s_xor_b32 s25, s23, -1
	s_and_b32 s26, exec_lo, s24
	s_delay_alu instid0(SALU_CYCLE_1) | instskip(SKIP_2) | instid1(SALU_CYCLE_1)
	s_or_b32 s17, s26, s17
	s_and_not1_b32 s1, s1, exec_lo
	s_and_b32 s25, s25, exec_lo
	s_or_b32 s1, s1, s25
	s_and_not1_b32 exec_lo, exec_lo, s17
	s_cbranch_execz .LBB29_241
.LBB29_239:                             ; =>This Inner Loop Header: Depth=1
	s_or_b32 s23, s23, exec_lo
	s_or_b32 s24, s24, exec_lo
	s_mov_b32 s25, exec_lo
	s_delay_alu instid0(VALU_DEP_1)
	v_cmpx_lt_u64_e64 v[6:7], v[4:5]
	s_cbranch_execz .LBB29_238
; %bb.240:                              ;   in Loop: Header=BB29_239 Depth=1
	global_load_b128 v[8:11], v[6:7], off offset:-8
	s_wait_xcnt 0x0
	v_add_nc_u64_e32 v[6:7], 8, v[6:7]
	s_and_not1_b32 s24, s24, exec_lo
	s_and_not1_b32 s23, s23, exec_lo
	s_wait_loadcnt 0x0
	v_cmp_ge_i64_e32 vcc_lo, v[8:9], v[10:11]
	s_or_b32 s26, s22, vcc_lo
	s_delay_alu instid0(SALU_CYCLE_1) | instskip(NEXT) | instid1(SALU_CYCLE_1)
	s_and_b32 s26, s26, exec_lo
	s_or_b32 s24, s24, s26
	s_branch .LBB29_238
.LBB29_241:
	s_or_b32 exec_lo, exec_lo, s17
	s_mov_b32 s17, -1
	s_mov_b32 s22, s50
	s_and_saveexec_b32 s23, s1
	s_delay_alu instid0(SALU_CYCLE_1)
	s_xor_b32 s1, exec_lo, s23
	s_cbranch_execnz .LBB29_281
.LBB29_242:
	s_or_b32 exec_lo, exec_lo, s1
	s_delay_alu instid0(SALU_CYCLE_1) | instskip(SKIP_1) | instid1(SALU_CYCLE_1)
	s_and_not1_b32 s1, s50, exec_lo
	s_and_b32 s22, s22, exec_lo
	s_or_b32 s52, s1, s22
	s_or_not1_b32 s1, s17, exec_lo
.LBB29_243:
	s_or_b32 exec_lo, exec_lo, s0
	s_mov_b32 s0, 0
	s_and_saveexec_b32 s53, s1
	s_cbranch_execz .LBB29_300
; %bb.244:
	global_load_b64 v[4:5], v29, s[6:7]
	s_mov_b32 s54, s52
	s_mov_b32 s0, exec_lo
	s_wait_loadcnt 0x0
	v_cmpx_ne_u64_e64 v[4:5], v[2:3]
	s_xor_b32 s0, exec_lo, s0
	s_cbranch_execnz .LBB29_312
; %bb.245:
	s_or_saveexec_b32 s55, s0
	s_mov_b32 s0, 0
	s_xor_b32 exec_lo, exec_lo, s55
	s_cbranch_execz .LBB29_299
.LBB29_246:
	global_load_b64 v[4:5], v28, s[8:9]
	s_mov_b32 s56, s54
	s_mov_b32 s0, exec_lo
	s_wait_loadcnt 0x0
	v_cmpx_ne_u64_e64 v[4:5], v[0:1]
	s_xor_b32 s0, exec_lo, s0
	s_cbranch_execnz .LBB29_313
; %bb.247:
	s_or_saveexec_b32 s57, s0
	s_mov_b32 s0, 0
	s_xor_b32 exec_lo, exec_lo, s57
	s_cbranch_execz .LBB29_298
.LBB29_248:
	global_load_b64 v[6:7], v27, s[10:11]
	global_load_b64 v[4:5], v26, s[12:13]
	s_mov_b32 s58, s56
	s_wait_loadcnt 0x0
	v_sub_nc_u64_e32 v[8:9], v[4:5], v[6:7]
	s_delay_alu instid0(VALU_DEP_1) | instskip(SKIP_4) | instid1(SALU_CYCLE_1)
	v_cmp_gt_i64_e32 vcc_lo, v[2:3], v[8:9]
	v_cmp_lt_i64_e64 s0, s[18:19], v[8:9]
	s_or_b32 s0, vcc_lo, s0
	s_wait_xcnt 0x0
	s_and_saveexec_b32 s1, s0
	s_xor_b32 s0, exec_lo, s1
	s_cbranch_execnz .LBB29_315
; %bb.249:
	s_or_saveexec_b32 s59, s0
	s_mov_b32 s0, 0
	s_xor_b32 exec_lo, exec_lo, s59
	s_cbranch_execz .LBB29_297
.LBB29_250:
	v_mov_b64_e32 v[8:9], 0
	s_and_saveexec_b32 s60, s48
	s_cbranch_execz .LBB29_259
; %bb.251:
	global_load_b64 v[8:9], v25, s[14:15]
	s_mov_b32 s1, 0
	v_mov_b32_e32 v10, 0
	s_mov_b32 s17, s1
	s_mov_b64 s[22:23], 0xffffffff
	s_lshl_b64 s[24:25], s[16:17], 3
	s_mov_b32 s17, s41
	s_add_nc_u64 s[24:25], s[2:3], s[24:25]
	s_delay_alu instid0(SALU_CYCLE_1)
	s_add_nc_u64 s[24:25], s[24:25], 0x298
	s_wait_loadcnt 0x0
	v_mul_u64_e32 v[12:13], v[8:9], v[0:1]
	v_mov_b64_e32 v[8:9], 0
	s_branch .LBB29_253
.LBB29_252:                             ;   in Loop: Header=BB29_253 Depth=1
	s_or_b32 exec_lo, exec_lo, s0
	s_delay_alu instid0(VALU_DEP_1)
	v_mul_u64_e32 v[26:27], s[26:27], v[14:15]
	s_load_b64 s[26:27], s[24:25], 0x40
	s_add_co_i32 s17, s17, -1
	s_wait_xcnt 0x0
	s_add_nc_u64 s[24:25], s[24:25], -8
	s_cmp_eq_u32 s17, 0
	s_delay_alu instid0(VALU_DEP_1) | instskip(SKIP_1) | instid1(VALU_DEP_1)
	v_sub_nc_u64_e32 v[12:13], v[12:13], v[26:27]
	s_wait_kmcnt 0x0
	v_mad_nc_u64_u32 v[8:9], v12, s26, v[8:9]
	s_delay_alu instid0(VALU_DEP_1) | instskip(NEXT) | instid1(VALU_DEP_1)
	v_mad_u32 v9, v13, s26, v9
	v_mad_u32 v9, v12, s27, v9
	v_mov_b64_e32 v[12:13], v[14:15]
	s_cbranch_scc1 .LBB29_259
.LBB29_253:                             ; =>This Inner Loop Header: Depth=1
	s_load_b64 s[26:27], s[24:25], 0x0
                                        ; implicit-def: $vgpr14_vgpr15
	s_mov_b32 s0, exec_lo
	s_wait_kmcnt 0x0
	s_delay_alu instid0(VALU_DEP_1) | instskip(NEXT) | instid1(VALU_DEP_1)
	v_or_b32_e32 v11, s27, v13
	v_cmpx_ne_u64_e32 0, v[10:11]
	s_xor_b32 s61, exec_lo, s0
	s_cbranch_execz .LBB29_255
; %bb.254:                              ;   in Loop: Header=BB29_253 Depth=1
	s_ashr_i32 s28, s27, 31
	v_dual_mov_b32 v29, v10 :: v_dual_ashrrev_i32 v14, 31, v13
	s_mov_b32 s29, s28
	v_mov_b32_e32 v33, v10
	s_add_nc_u64 s[30:31], s[26:27], s[28:29]
	s_delay_alu instid0(VALU_DEP_2)
	v_mov_b32_e32 v15, v14
	s_xor_b64 s[30:31], s[30:31], s[28:29]
	v_mov_b32_e32 v37, v10
	s_cvt_f32_u32 s0, s30
	s_cvt_f32_u32 s29, s31
	s_sub_nc_u64 s[64:65], 0, s[30:31]
	v_add_nc_u64_e32 v[26:27], v[12:13], v[14:15]
	s_delay_alu instid0(SALU_CYCLE_1) | instskip(NEXT) | instid1(SALU_CYCLE_3)
	s_fmamk_f32 s0, s29, 0x4f800000, s0
	v_s_rcp_f32 s0, s0
	s_delay_alu instid0(VALU_DEP_1) | instskip(NEXT) | instid1(VALU_DEP_2)
	v_xor_b32_e32 v32, v27, v14
	v_xor_b32_e32 v28, v26, v14
	s_delay_alu instid0(TRANS32_DEP_1) | instskip(NEXT) | instid1(SALU_CYCLE_3)
	s_mul_f32 s0, s0, 0x5f7ffffc
	s_mul_f32 s29, s0, 0x2f800000
	s_delay_alu instid0(SALU_CYCLE_3) | instskip(NEXT) | instid1(SALU_CYCLE_3)
	s_trunc_f32 s29, s29
	s_fmamk_f32 s0, s29, 0xcf800000, s0
	s_cvt_u32_f32 s63, s29
	s_delay_alu instid0(SALU_CYCLE_2) | instskip(NEXT) | instid1(SALU_CYCLE_3)
	s_cvt_u32_f32 s62, s0
	s_mul_u64 s[66:67], s[64:65], s[62:63]
	s_delay_alu instid0(SALU_CYCLE_1)
	s_mul_hi_u32 s69, s62, s67
	s_mul_i32 s68, s62, s67
	s_mul_hi_u32 s0, s62, s66
	s_mul_i32 s70, s63, s66
	s_add_nc_u64 s[68:69], s[0:1], s[68:69]
	s_mul_hi_u32 s29, s63, s66
	s_mul_hi_u32 s71, s63, s67
	s_add_co_u32 s0, s68, s70
	s_add_co_ci_u32 s0, s69, s29
	s_mul_i32 s66, s63, s67
	s_add_co_ci_u32 s67, s71, 0
	s_delay_alu instid0(SALU_CYCLE_1) | instskip(NEXT) | instid1(SALU_CYCLE_1)
	s_add_nc_u64 s[66:67], s[0:1], s[66:67]
	s_add_co_u32 s62, s62, s66
	s_cselect_b32 s0, -1, 0
	s_delay_alu instid0(SALU_CYCLE_1) | instskip(SKIP_1) | instid1(SALU_CYCLE_1)
	s_cmp_lg_u32 s0, 0
	s_add_co_ci_u32 s63, s63, s67
	s_mul_u64 s[64:65], s[64:65], s[62:63]
	s_delay_alu instid0(SALU_CYCLE_1)
	s_mul_hi_u32 s67, s62, s65
	s_mul_i32 s66, s62, s65
	s_mul_hi_u32 s0, s62, s64
	s_mul_i32 s68, s63, s64
	s_add_nc_u64 s[66:67], s[0:1], s[66:67]
	s_mul_hi_u32 s29, s63, s64
	s_mul_hi_u32 s69, s63, s65
	s_add_co_u32 s0, s66, s68
	s_add_co_ci_u32 s0, s67, s29
	s_mul_i32 s64, s63, s65
	s_add_co_ci_u32 s65, s69, 0
	s_delay_alu instid0(SALU_CYCLE_1) | instskip(NEXT) | instid1(SALU_CYCLE_1)
	s_add_nc_u64 s[64:65], s[0:1], s[64:65]
	s_add_co_u32 s62, s62, s64
	s_cselect_b32 s0, -1, 0
	v_mul_hi_u32 v36, v28, s62
	s_cmp_lg_u32 s0, 0
	s_add_co_ci_u32 s0, s63, s65
	s_and_b64 s[64:65], s[62:63], s[22:23]
	v_mul_u64_e32 v[30:31], s[0:1], v[28:29]
	v_mul_u64_e32 v[26:27], s[64:65], v[32:33]
	;; [unrolled: 1-line block ×3, first 2 shown]
	s_delay_alu instid0(VALU_DEP_3) | instskip(NEXT) | instid1(VALU_DEP_1)
	v_add_nc_u64_e32 v[30:31], v[36:37], v[30:31]
	v_add_co_u32 v11, vcc_lo, v30, v26
	s_delay_alu instid0(VALU_DEP_2) | instskip(NEXT) | instid1(VALU_DEP_4)
	v_add_co_ci_u32_e32 v36, vcc_lo, v31, v27, vcc_lo
	v_add_co_ci_u32_e32 v35, vcc_lo, 0, v35, vcc_lo
	s_delay_alu instid0(VALU_DEP_1) | instskip(NEXT) | instid1(VALU_DEP_1)
	v_add_nc_u64_e32 v[26:27], v[36:37], v[34:35]
	v_mul_u64_e32 v[30:31], s[30:31], v[26:27]
	s_delay_alu instid0(VALU_DEP_1) | instskip(NEXT) | instid1(VALU_DEP_2)
	v_sub_nc_u32_e32 v11, v32, v31
	v_sub_co_u32 v15, vcc_lo, v28, v30
	s_delay_alu instid0(VALU_DEP_1) | instskip(NEXT) | instid1(VALU_DEP_3)
	v_sub_co_ci_u32_e64 v32, null, v32, v31, vcc_lo
	v_subrev_co_ci_u32_e64 v11, null, s31, v11, vcc_lo
	s_delay_alu instid0(VALU_DEP_3) | instskip(SKIP_1) | instid1(VALU_DEP_3)
	v_sub_co_u32 v25, s0, v15, s30
	v_add_nc_u64_e32 v[30:31], 1, v[26:27]
	v_subrev_co_ci_u32_e64 v11, null, 0, v11, s0
	s_delay_alu instid0(VALU_DEP_3) | instskip(SKIP_1) | instid1(VALU_DEP_3)
	v_cmp_le_u32_e32 vcc_lo, s30, v25
	v_cndmask_b32_e64 v25, 0, -1, vcc_lo
	v_cmp_le_u32_e32 vcc_lo, s31, v11
	v_cndmask_b32_e64 v28, 0, -1, vcc_lo
	;; [unrolled: 2-line block ×4, first 2 shown]
	v_cmp_eq_u32_e32 vcc_lo, s31, v11
	v_cndmask_b32_e32 v11, v28, v25, vcc_lo
	v_cmp_eq_u32_e32 vcc_lo, s31, v32
	v_add_nc_u64_e32 v[28:29], 2, v[26:27]
	v_cndmask_b32_e32 v15, v33, v15, vcc_lo
	s_delay_alu instid0(VALU_DEP_4) | instskip(NEXT) | instid1(VALU_DEP_2)
	v_cmp_ne_u32_e32 vcc_lo, 0, v11
	v_cmp_ne_u32_e64 s0, 0, v15
	s_delay_alu instid0(VALU_DEP_4) | instskip(NEXT) | instid1(VALU_DEP_1)
	v_dual_cndmask_b32 v11, v31, v29, vcc_lo :: v_dual_cndmask_b32 v15, v30, v28, vcc_lo
	v_dual_cndmask_b32 v11, v27, v11, s0 :: v_dual_bitop2_b32 v14, s28, v14 bitop3:0x14
	s_delay_alu instid0(VALU_DEP_1) | instskip(NEXT) | instid1(VALU_DEP_1)
	v_dual_cndmask_b32 v25, v26, v15, s0 :: v_dual_bitop2_b32 v27, v11, v14 bitop3:0x14
	v_dual_mov_b32 v15, v14 :: v_dual_bitop2_b32 v26, v25, v14 bitop3:0x14
	s_delay_alu instid0(VALU_DEP_1)
	v_sub_nc_u64_e32 v[14:15], v[26:27], v[14:15]
.LBB29_255:                             ;   in Loop: Header=BB29_253 Depth=1
	s_and_not1_saveexec_b32 s0, s61
	s_cbranch_execz .LBB29_252
; %bb.256:                              ;   in Loop: Header=BB29_253 Depth=1
	v_cvt_f32_u32_e32 v11, s26
	s_sub_co_i32 s28, 0, s26
	s_delay_alu instid0(VALU_DEP_1) | instskip(SKIP_1) | instid1(TRANS32_DEP_1)
	v_rcp_iflag_f32_e32 v11, v11
	v_nop
	v_mul_f32_e32 v11, 0x4f7ffffe, v11
	s_delay_alu instid0(VALU_DEP_1) | instskip(NEXT) | instid1(VALU_DEP_1)
	v_cvt_u32_f32_e32 v11, v11
	v_mul_lo_u32 v14, s28, v11
	s_delay_alu instid0(VALU_DEP_1) | instskip(NEXT) | instid1(VALU_DEP_1)
	v_mul_hi_u32 v14, v11, v14
	v_add_nc_u32_e32 v11, v11, v14
	s_delay_alu instid0(VALU_DEP_1) | instskip(NEXT) | instid1(VALU_DEP_1)
	v_mul_hi_u32 v11, v12, v11
	v_mul_lo_u32 v14, v11, s26
	s_delay_alu instid0(VALU_DEP_1) | instskip(NEXT) | instid1(VALU_DEP_1)
	v_dual_add_nc_u32 v15, 1, v11 :: v_dual_sub_nc_u32 v14, v12, v14
	v_subrev_nc_u32_e32 v25, s26, v14
	v_cmp_le_u32_e32 vcc_lo, s26, v14
	s_delay_alu instid0(VALU_DEP_2) | instskip(NEXT) | instid1(VALU_DEP_1)
	v_dual_cndmask_b32 v14, v14, v25 :: v_dual_cndmask_b32 v11, v11, v15
	v_cmp_le_u32_e32 vcc_lo, s26, v14
	s_delay_alu instid0(VALU_DEP_2) | instskip(NEXT) | instid1(VALU_DEP_1)
	v_add_nc_u32_e32 v15, 1, v11
	v_dual_cndmask_b32 v14, v11, v15 :: v_dual_mov_b32 v15, v10
	s_branch .LBB29_252
.LBB29_257:
	s_or_b32 s22, s39, exec_lo
	s_xor_b32 s17, exec_lo, -1
	s_trap 2
	s_branch .LBB29_221
.LBB29_258:
	s_or_b32 s33, s36, exec_lo
	s_trap 2
                                        ; implicit-def: $vgpr8
                                        ; implicit-def: $vgpr10
                                        ; implicit-def: $vgpr1
                                        ; implicit-def: $vgpr9
                                        ; implicit-def: $vgpr31
                                        ; implicit-def: $vgpr30
                                        ; implicit-def: $vgpr33
                                        ; implicit-def: $vgpr32
                                        ; implicit-def: $vgpr34
                                        ; implicit-def: $vgpr26
                                        ; implicit-def: $vgpr25
                                        ; implicit-def: $vgpr28
                                        ; implicit-def: $vgpr27
                                        ; implicit-def: $vgpr29
                                        ; implicit-def: $vgpr21
                                        ; implicit-def: $vgpr20
                                        ; implicit-def: $vgpr23
                                        ; implicit-def: $vgpr22
                                        ; implicit-def: $vgpr24
                                        ; implicit-def: $vgpr2_vgpr3
	s_or_saveexec_b32 s34, s0
	s_mov_b32 s0, 0
	s_xor_b32 exec_lo, exec_lo, s34
	s_cbranch_execnz .LBB29_204
	s_branch .LBB29_307
.LBB29_259:
	s_or_b32 exec_lo, exec_lo, s60
	s_mov_b32 s17, -1
	s_mov_b32 s1, s58
	s_mov_b32 s0, exec_lo
	v_cmpx_gt_i64_e64 v[4:5], v[6:7]
	s_cbranch_execz .LBB29_267
; %bb.260:
	s_delay_alu instid0(VALU_DEP_2) | instskip(SKIP_2) | instid1(VALU_DEP_1)
	v_lshlrev_b64_e32 v[8:9], 3, v[8:9]
	s_mov_b32 s17, 0
	s_xor_b32 s22, s47, -1
                                        ; implicit-def: $sgpr1
                                        ; implicit-def: $sgpr24
                                        ; implicit-def: $sgpr23
	v_lshl_add_u64 v[6:7], v[6:7], 3, v[8:9]
	s_wait_kmcnt 0x0
	v_add_nc_u64_e32 v[8:9], s[20:21], v[8:9]
	s_delay_alu instid0(VALU_DEP_2) | instskip(NEXT) | instid1(VALU_DEP_2)
	v_add_nc_u64_e32 v[6:7], s[20:21], v[6:7]
	v_lshl_add_u64 v[4:5], v[4:5], 3, v[8:9]
	s_delay_alu instid0(VALU_DEP_2)
	v_add_nc_u64_e32 v[6:7], 8, v[6:7]
	s_branch .LBB29_262
.LBB29_261:                             ;   in Loop: Header=BB29_262 Depth=1
	s_or_b32 exec_lo, exec_lo, s25
	s_xor_b32 s25, s23, -1
	s_and_b32 s26, exec_lo, s24
	s_delay_alu instid0(SALU_CYCLE_1) | instskip(SKIP_2) | instid1(SALU_CYCLE_1)
	s_or_b32 s17, s26, s17
	s_and_not1_b32 s1, s1, exec_lo
	s_and_b32 s25, s25, exec_lo
	s_or_b32 s1, s1, s25
	s_and_not1_b32 exec_lo, exec_lo, s17
	s_cbranch_execz .LBB29_265
.LBB29_262:                             ; =>This Inner Loop Header: Depth=1
	s_or_b32 s23, s23, exec_lo
	s_or_b32 s24, s24, exec_lo
	s_mov_b32 s25, exec_lo
	s_delay_alu instid0(VALU_DEP_1)
	v_cmpx_lt_u64_e64 v[6:7], v[4:5]
	s_cbranch_execz .LBB29_261
; %bb.263:                              ;   in Loop: Header=BB29_262 Depth=1
	global_load_b128 v[8:11], v[6:7], off offset:-8
	s_wait_xcnt 0x0
	v_add_nc_u64_e32 v[6:7], 8, v[6:7]
	s_and_not1_b32 s24, s24, exec_lo
	s_and_not1_b32 s23, s23, exec_lo
	s_wait_loadcnt 0x0
	v_cmp_ge_i64_e32 vcc_lo, v[8:9], v[10:11]
	s_or_b32 s26, s22, vcc_lo
	s_delay_alu instid0(SALU_CYCLE_1) | instskip(NEXT) | instid1(SALU_CYCLE_1)
	s_and_b32 s26, s26, exec_lo
	s_or_b32 s24, s24, s26
	s_branch .LBB29_261
.LBB29_264:
	s_or_b32 s35, s33, exec_lo
	s_trap 2
                                        ; implicit-def: $vgpr0_vgpr1
                                        ; implicit-def: $vgpr8
                                        ; implicit-def: $vgpr10
                                        ; implicit-def: $vgpr9
                                        ; implicit-def: $vgpr31
                                        ; implicit-def: $vgpr30
                                        ; implicit-def: $vgpr33
                                        ; implicit-def: $vgpr32
                                        ; implicit-def: $vgpr34
                                        ; implicit-def: $vgpr26
                                        ; implicit-def: $vgpr25
                                        ; implicit-def: $vgpr28
                                        ; implicit-def: $vgpr27
                                        ; implicit-def: $vgpr29
                                        ; implicit-def: $vgpr21
                                        ; implicit-def: $vgpr20
                                        ; implicit-def: $vgpr23
                                        ; implicit-def: $vgpr22
                                        ; implicit-def: $vgpr24
                                        ; implicit-def: $vgpr2_vgpr3
	s_or_saveexec_b32 s38, s0
	s_mov_b32 s0, 0
	s_xor_b32 exec_lo, exec_lo, s38
	s_cbranch_execnz .LBB29_206
	s_branch .LBB29_306
.LBB29_265:
	s_or_b32 exec_lo, exec_lo, s17
	s_mov_b32 s17, -1
	s_mov_b32 s22, s58
	s_and_saveexec_b32 s23, s1
	s_delay_alu instid0(SALU_CYCLE_1)
	s_xor_b32 s1, exec_lo, s23
	s_cbranch_execnz .LBB29_310
.LBB29_266:
	s_or_b32 exec_lo, exec_lo, s1
	s_delay_alu instid0(SALU_CYCLE_1)
	s_and_not1_b32 s1, s58, exec_lo
	s_and_b32 s22, s22, exec_lo
	s_or_not1_b32 s17, s17, exec_lo
	s_or_b32 s1, s1, s22
.LBB29_267:
	s_or_b32 exec_lo, exec_lo, s0
	s_mov_b32 s0, 0
	s_and_saveexec_b32 s22, s17
	s_cbranch_execz .LBB29_296
; %bb.268:
	global_load_b64 v[4:5], v24, s[6:7]
	s_mov_b32 s23, s1
	s_mov_b32 s0, exec_lo
	s_wait_loadcnt 0x0
	v_cmpx_ne_u64_e64 v[4:5], v[2:3]
	s_xor_b32 s0, exec_lo, s0
	s_cbranch_execnz .LBB29_316
; %bb.269:
	s_or_saveexec_b32 s24, s0
	s_mov_b32 s0, 0
	s_xor_b32 exec_lo, exec_lo, s24
	s_cbranch_execz .LBB29_295
.LBB29_270:
	global_load_b64 v[4:5], v23, s[8:9]
	s_mov_b32 s25, s23
	s_mov_b32 s0, exec_lo
	s_wait_loadcnt 0x0
	v_cmpx_ne_u64_e64 v[4:5], v[0:1]
	s_xor_b32 s0, exec_lo, s0
	s_cbranch_execnz .LBB29_317
; %bb.271:
	s_or_saveexec_b32 s26, s0
	s_mov_b32 s0, 0
	s_xor_b32 exec_lo, exec_lo, s26
	s_cbranch_execz .LBB29_294
.LBB29_272:
	global_load_b64 v[6:7], v22, s[10:11]
	global_load_b64 v[4:5], v21, s[12:13]
	s_wait_loadcnt 0x0
	v_sub_nc_u64_e32 v[8:9], v[4:5], v[6:7]
	s_delay_alu instid0(VALU_DEP_1)
	v_cmp_gt_i64_e32 vcc_lo, v[2:3], v[8:9]
	v_cmp_lt_i64_e64 s0, s[18:19], v[8:9]
	s_mov_b32 s18, s25
	s_or_b32 s0, vcc_lo, s0
	s_wait_xcnt 0x0
	s_and_saveexec_b32 s6, s0
	s_delay_alu instid0(SALU_CYCLE_1)
	s_xor_b32 s0, exec_lo, s6
	s_cbranch_execnz .LBB29_318
; %bb.273:
	s_or_saveexec_b32 s19, s0
	s_mov_b32 s0, 0
	s_xor_b32 exec_lo, exec_lo, s19
	s_cbranch_execz .LBB29_293
.LBB29_274:
	v_mov_b64_e32 v[2:3], 0
	s_and_saveexec_b32 s27, s48
	s_cbranch_execz .LBB29_284
; %bb.275:
	global_load_b64 v[2:3], v20, s[14:15]
	s_mov_b32 s17, 0
	s_mov_b64 s[6:7], 0xffffffff
	s_lshl_b64 s[8:9], s[16:17], 3
	s_delay_alu instid0(SALU_CYCLE_1) | instskip(NEXT) | instid1(SALU_CYCLE_1)
	s_add_nc_u64 s[2:3], s[2:3], s[8:9]
	s_add_nc_u64 s[2:3], s[2:3], 0x298
	s_wait_loadcnt 0x0
	v_mul_u64_e32 v[8:9], v[2:3], v[0:1]
	v_mov_b64_e32 v[2:3], 0
	v_mov_b32_e32 v0, 0
	s_branch .LBB29_277
.LBB29_276:                             ;   in Loop: Header=BB29_277 Depth=1
	s_or_b32 exec_lo, exec_lo, s0
	s_delay_alu instid0(VALU_DEP_1)
	v_mul_u64_e32 v[12:13], s[8:9], v[10:11]
	s_load_b64 s[8:9], s[2:3], 0x40
	s_add_co_i32 s41, s41, -1
	s_wait_xcnt 0x0
	s_add_nc_u64 s[2:3], s[2:3], -8
	s_cmp_eq_u32 s41, 0
	s_delay_alu instid0(VALU_DEP_1) | instskip(SKIP_1) | instid1(VALU_DEP_1)
	v_sub_nc_u64_e32 v[8:9], v[8:9], v[12:13]
	s_wait_kmcnt 0x0
	v_mad_nc_u64_u32 v[2:3], v8, s8, v[2:3]
	s_delay_alu instid0(VALU_DEP_1) | instskip(NEXT) | instid1(VALU_DEP_1)
	v_mad_u32 v1, v9, s8, v3
	v_mad_u32 v3, v8, s9, v1
	v_mov_b64_e32 v[8:9], v[10:11]
	s_cbranch_scc1 .LBB29_284
.LBB29_277:                             ; =>This Inner Loop Header: Depth=1
	s_load_b64 s[8:9], s[2:3], 0x0
                                        ; implicit-def: $vgpr10_vgpr11
	s_mov_b32 s0, exec_lo
	s_wait_kmcnt 0x0
	s_delay_alu instid0(VALU_DEP_1) | instskip(NEXT) | instid1(VALU_DEP_1)
	v_or_b32_e32 v1, s9, v9
	v_cmpx_ne_u64_e32 0, v[0:1]
	s_xor_b32 s14, exec_lo, s0
	s_cbranch_execz .LBB29_279
; %bb.278:                              ;   in Loop: Header=BB29_277 Depth=1
	s_ashr_i32 s10, s9, 31
	v_dual_mov_b32 v15, v0 :: v_dual_ashrrev_i32 v10, 31, v9
	s_mov_b32 s11, s10
	s_delay_alu instid0(SALU_CYCLE_1) | instskip(NEXT) | instid1(VALU_DEP_1)
	s_add_nc_u64 s[12:13], s[8:9], s[10:11]
	v_mov_b32_e32 v11, v10
	s_xor_b64 s[12:13], s[12:13], s[10:11]
	s_delay_alu instid0(SALU_CYCLE_1)
	s_cvt_f32_u32 s0, s12
	s_cvt_f32_u32 s11, s13
	s_sub_nc_u64 s[30:31], 0, s[12:13]
	v_add_nc_u64_e32 v[12:13], v[8:9], v[10:11]
	v_mov_b32_e32 v23, v0
	s_fmamk_f32 s0, s11, 0x4f800000, s0
	s_delay_alu instid0(SALU_CYCLE_3) | instskip(NEXT) | instid1(VALU_DEP_2)
	v_s_rcp_f32 s0, s0
	v_xor_b32_e32 v14, v12, v10
	s_delay_alu instid0(VALU_DEP_3) | instskip(SKIP_1) | instid1(TRANS32_DEP_1)
	v_dual_mov_b32 v27, v0 :: v_dual_bitop2_b32 v22, v13, v10 bitop3:0x14
	v_xor_b32_e32 v10, s10, v10
	s_mul_f32 s0, s0, 0x5f7ffffc
	s_delay_alu instid0(SALU_CYCLE_3) | instskip(NEXT) | instid1(SALU_CYCLE_3)
	s_mul_f32 s11, s0, 0x2f800000
	s_trunc_f32 s11, s11
	s_delay_alu instid0(SALU_CYCLE_3) | instskip(SKIP_1) | instid1(SALU_CYCLE_2)
	s_fmamk_f32 s0, s11, 0xcf800000, s0
	s_cvt_u32_f32 s29, s11
	s_cvt_u32_f32 s28, s0
	s_delay_alu instid0(SALU_CYCLE_3) | instskip(NEXT) | instid1(SALU_CYCLE_1)
	s_mul_u64 s[60:61], s[30:31], s[28:29]
	s_mul_hi_u32 s63, s28, s61
	s_mul_i32 s62, s28, s61
	s_mul_hi_u32 s16, s28, s60
	s_mul_i32 s11, s29, s60
	s_add_nc_u64 s[62:63], s[16:17], s[62:63]
	s_mul_hi_u32 s0, s29, s60
	s_mul_hi_u32 s15, s29, s61
	s_add_co_u32 s11, s62, s11
	s_add_co_ci_u32 s16, s63, s0
	s_mul_i32 s60, s29, s61
	s_add_co_ci_u32 s61, s15, 0
	s_delay_alu instid0(SALU_CYCLE_1) | instskip(NEXT) | instid1(SALU_CYCLE_1)
	s_add_nc_u64 s[60:61], s[16:17], s[60:61]
	s_add_co_u32 s28, s28, s60
	s_cselect_b32 s0, -1, 0
	s_delay_alu instid0(SALU_CYCLE_1) | instskip(SKIP_1) | instid1(SALU_CYCLE_1)
	s_cmp_lg_u32 s0, 0
	s_add_co_ci_u32 s29, s29, s61
	s_mul_u64 s[30:31], s[30:31], s[28:29]
	s_delay_alu instid0(SALU_CYCLE_1)
	s_mul_hi_u32 s61, s28, s31
	s_mul_i32 s60, s28, s31
	s_mul_hi_u32 s16, s28, s30
	s_mul_i32 s11, s29, s30
	s_add_nc_u64 s[60:61], s[16:17], s[60:61]
	s_mul_hi_u32 s0, s29, s30
	s_mul_hi_u32 s15, s29, s31
	s_add_co_u32 s11, s60, s11
	s_add_co_ci_u32 s16, s61, s0
	s_mul_i32 s30, s29, s31
	s_add_co_ci_u32 s31, s15, 0
	s_delay_alu instid0(SALU_CYCLE_1) | instskip(NEXT) | instid1(SALU_CYCLE_1)
	s_add_nc_u64 s[30:31], s[16:17], s[30:31]
	s_add_co_u32 s0, s28, s30
	s_cselect_b32 s11, -1, 0
	v_mul_hi_u32 v26, v14, s0
	s_cmp_lg_u32 s11, 0
	s_add_co_ci_u32 s16, s29, s31
	s_and_b64 s[28:29], s[0:1], s[6:7]
	v_mul_u64_e32 v[20:21], s[16:17], v[14:15]
	v_mul_u64_e32 v[12:13], s[28:29], v[22:23]
	;; [unrolled: 1-line block ×3, first 2 shown]
	s_delay_alu instid0(VALU_DEP_3) | instskip(NEXT) | instid1(VALU_DEP_1)
	v_add_nc_u64_e32 v[20:21], v[26:27], v[20:21]
	v_add_co_u32 v1, vcc_lo, v20, v12
	s_delay_alu instid0(VALU_DEP_2) | instskip(NEXT) | instid1(VALU_DEP_4)
	v_add_co_ci_u32_e32 v26, vcc_lo, v21, v13, vcc_lo
	v_add_co_ci_u32_e32 v25, vcc_lo, 0, v25, vcc_lo
	s_delay_alu instid0(VALU_DEP_1) | instskip(NEXT) | instid1(VALU_DEP_1)
	v_add_nc_u64_e32 v[12:13], v[26:27], v[24:25]
	v_mul_u64_e32 v[20:21], s[12:13], v[12:13]
	s_delay_alu instid0(VALU_DEP_1) | instskip(NEXT) | instid1(VALU_DEP_2)
	v_sub_nc_u32_e32 v1, v22, v21
	v_sub_co_u32 v11, vcc_lo, v14, v20
	s_delay_alu instid0(VALU_DEP_1) | instskip(NEXT) | instid1(VALU_DEP_3)
	v_sub_co_ci_u32_e64 v22, null, v22, v21, vcc_lo
	v_subrev_co_ci_u32_e64 v1, null, s13, v1, vcc_lo
	s_delay_alu instid0(VALU_DEP_3) | instskip(SKIP_1) | instid1(VALU_DEP_3)
	v_sub_co_u32 v14, s0, v11, s12
	v_add_nc_u64_e32 v[20:21], 1, v[12:13]
	v_subrev_co_ci_u32_e64 v1, null, 0, v1, s0
	s_delay_alu instid0(VALU_DEP_3) | instskip(SKIP_1) | instid1(VALU_DEP_3)
	v_cmp_le_u32_e32 vcc_lo, s12, v14
	v_cndmask_b32_e64 v14, 0, -1, vcc_lo
	v_cmp_le_u32_e32 vcc_lo, s13, v1
	v_cndmask_b32_e64 v15, 0, -1, vcc_lo
	;; [unrolled: 2-line block ×4, first 2 shown]
	v_cmp_eq_u32_e32 vcc_lo, s13, v1
	v_cndmask_b32_e32 v1, v15, v14, vcc_lo
	v_cmp_eq_u32_e32 vcc_lo, s13, v22
	v_add_nc_u64_e32 v[14:15], 2, v[12:13]
	v_cndmask_b32_e32 v11, v23, v11, vcc_lo
	s_delay_alu instid0(VALU_DEP_4) | instskip(NEXT) | instid1(VALU_DEP_2)
	v_cmp_ne_u32_e32 vcc_lo, 0, v1
	v_cmp_ne_u32_e64 s0, 0, v11
	s_delay_alu instid0(VALU_DEP_4) | instskip(NEXT) | instid1(VALU_DEP_1)
	v_dual_cndmask_b32 v1, v21, v15, vcc_lo :: v_dual_cndmask_b32 v11, v20, v14, vcc_lo
	v_dual_cndmask_b32 v12, v12, v11, s0 :: v_dual_mov_b32 v11, v10
	s_delay_alu instid0(VALU_DEP_1) | instskip(NEXT) | instid1(VALU_DEP_1)
	v_dual_cndmask_b32 v1, v13, v1, s0 :: v_dual_bitop2_b32 v12, v12, v10 bitop3:0x14
	v_xor_b32_e32 v13, v1, v10
	s_delay_alu instid0(VALU_DEP_1)
	v_sub_nc_u64_e32 v[10:11], v[12:13], v[10:11]
.LBB29_279:                             ;   in Loop: Header=BB29_277 Depth=1
	s_and_not1_saveexec_b32 s0, s14
	s_cbranch_execz .LBB29_276
; %bb.280:                              ;   in Loop: Header=BB29_277 Depth=1
	v_cvt_f32_u32_e32 v1, s8
	s_sub_co_i32 s10, 0, s8
	s_delay_alu instid0(VALU_DEP_1) | instskip(SKIP_1) | instid1(TRANS32_DEP_1)
	v_rcp_iflag_f32_e32 v1, v1
	v_nop
	v_mul_f32_e32 v1, 0x4f7ffffe, v1
	s_delay_alu instid0(VALU_DEP_1) | instskip(NEXT) | instid1(VALU_DEP_1)
	v_cvt_u32_f32_e32 v1, v1
	v_mul_lo_u32 v10, s10, v1
	s_delay_alu instid0(VALU_DEP_1) | instskip(NEXT) | instid1(VALU_DEP_1)
	v_mul_hi_u32 v10, v1, v10
	v_add_nc_u32_e32 v1, v1, v10
	s_delay_alu instid0(VALU_DEP_1) | instskip(NEXT) | instid1(VALU_DEP_1)
	v_mul_hi_u32 v1, v8, v1
	v_mul_lo_u32 v10, v1, s8
	s_delay_alu instid0(VALU_DEP_1) | instskip(NEXT) | instid1(VALU_DEP_1)
	v_dual_add_nc_u32 v11, 1, v1 :: v_dual_sub_nc_u32 v10, v8, v10
	v_subrev_nc_u32_e32 v12, s8, v10
	v_cmp_le_u32_e32 vcc_lo, s8, v10
	s_delay_alu instid0(VALU_DEP_2) | instskip(NEXT) | instid1(VALU_DEP_1)
	v_dual_cndmask_b32 v10, v10, v12 :: v_dual_cndmask_b32 v1, v1, v11
	v_cmp_le_u32_e32 vcc_lo, s8, v10
	s_delay_alu instid0(VALU_DEP_2) | instskip(NEXT) | instid1(VALU_DEP_1)
	v_add_nc_u32_e32 v11, 1, v1
	v_dual_cndmask_b32 v10, v1, v11 :: v_dual_mov_b32 v11, v0
	s_branch .LBB29_276
.LBB29_281:
	s_or_b32 s22, s50, exec_lo
	s_xor_b32 s17, exec_lo, -1
	s_trap 2
	s_branch .LBB29_242
.LBB29_282:
	s_or_b32 s39, s35, exec_lo
	s_trap 2
                                        ; implicit-def: $vgpr6_vgpr7
                                        ; implicit-def: $vgpr4_vgpr5
                                        ; implicit-def: $vgpr0_vgpr1
                                        ; implicit-def: $vgpr10
                                        ; implicit-def: $vgpr31
                                        ; implicit-def: $vgpr30
                                        ; implicit-def: $vgpr33
                                        ; implicit-def: $vgpr32
                                        ; implicit-def: $vgpr34
                                        ; implicit-def: $vgpr26
                                        ; implicit-def: $vgpr25
                                        ; implicit-def: $vgpr28
                                        ; implicit-def: $vgpr27
                                        ; implicit-def: $vgpr29
                                        ; implicit-def: $vgpr21
                                        ; implicit-def: $vgpr20
                                        ; implicit-def: $vgpr23
                                        ; implicit-def: $vgpr22
                                        ; implicit-def: $vgpr24
                                        ; implicit-def: $vgpr2_vgpr3
	s_or_saveexec_b32 s40, s0
	s_mov_b32 s0, 0
	s_xor_b32 exec_lo, exec_lo, s40
	s_cbranch_execnz .LBB29_208
	s_branch .LBB29_305
.LBB29_283:
	s_or_b32 s44, s42, exec_lo
	s_trap 2
                                        ; implicit-def: $vgpr0_vgpr1
                                        ; implicit-def: $vgpr31
                                        ; implicit-def: $vgpr30
                                        ; implicit-def: $vgpr33
                                        ; implicit-def: $vgpr32
                                        ; implicit-def: $vgpr26
                                        ; implicit-def: $vgpr25
                                        ; implicit-def: $vgpr28
                                        ; implicit-def: $vgpr27
                                        ; implicit-def: $vgpr29
                                        ; implicit-def: $vgpr21
                                        ; implicit-def: $vgpr20
                                        ; implicit-def: $vgpr23
                                        ; implicit-def: $vgpr22
                                        ; implicit-def: $vgpr24
                                        ; implicit-def: $vgpr2_vgpr3
	s_or_saveexec_b32 s45, s0
	s_mov_b32 s0, 0
	s_xor_b32 exec_lo, exec_lo, s45
	s_cbranch_execnz .LBB29_225
	s_branch .LBB29_303
.LBB29_284:
	s_or_b32 exec_lo, exec_lo, s27
	s_mov_b32 s2, -1
	s_mov_b32 s3, s18
	s_mov_b32 s0, exec_lo
	v_cmpx_gt_i64_e64 v[4:5], v[6:7]
	s_cbranch_execz .LBB29_292
; %bb.285:
	s_delay_alu instid0(VALU_DEP_2) | instskip(SKIP_2) | instid1(VALU_DEP_1)
	v_lshlrev_b64_e32 v[0:1], 3, v[2:3]
	s_mov_b32 s3, 0
	s_xor_b32 s6, s47, -1
                                        ; implicit-def: $sgpr2
                                        ; implicit-def: $sgpr8
                                        ; implicit-def: $sgpr7
	v_lshl_add_u64 v[2:3], v[6:7], 3, v[0:1]
	s_wait_kmcnt 0x0
	v_add_nc_u64_e32 v[6:7], s[20:21], v[0:1]
	s_delay_alu instid0(VALU_DEP_2) | instskip(NEXT) | instid1(VALU_DEP_1)
	v_add_nc_u64_e32 v[2:3], s[20:21], v[2:3]
	v_add_nc_u64_e32 v[0:1], 8, v[2:3]
	s_delay_alu instid0(VALU_DEP_3)
	v_lshl_add_u64 v[2:3], v[4:5], 3, v[6:7]
	s_branch .LBB29_287
.LBB29_286:                             ;   in Loop: Header=BB29_287 Depth=1
	s_or_b32 exec_lo, exec_lo, s9
	s_xor_b32 s9, s7, -1
	s_and_b32 s10, exec_lo, s8
	s_delay_alu instid0(SALU_CYCLE_1) | instskip(SKIP_2) | instid1(SALU_CYCLE_1)
	s_or_b32 s3, s10, s3
	s_and_not1_b32 s2, s2, exec_lo
	s_and_b32 s9, s9, exec_lo
	s_or_b32 s2, s2, s9
	s_and_not1_b32 exec_lo, exec_lo, s3
	s_cbranch_execz .LBB29_290
.LBB29_287:                             ; =>This Inner Loop Header: Depth=1
	s_or_b32 s7, s7, exec_lo
	s_or_b32 s8, s8, exec_lo
	s_mov_b32 s9, exec_lo
	s_delay_alu instid0(VALU_DEP_2)
	v_cmpx_lt_u64_e64 v[0:1], v[2:3]
	s_cbranch_execz .LBB29_286
; %bb.288:                              ;   in Loop: Header=BB29_287 Depth=1
	global_load_b128 v[4:7], v[0:1], off offset:-8
	s_wait_xcnt 0x0
	v_add_nc_u64_e32 v[0:1], 8, v[0:1]
	s_and_not1_b32 s8, s8, exec_lo
	s_and_not1_b32 s7, s7, exec_lo
	s_wait_loadcnt 0x0
	v_cmp_ge_i64_e32 vcc_lo, v[4:5], v[6:7]
	s_or_b32 s10, s6, vcc_lo
	s_delay_alu instid0(SALU_CYCLE_1) | instskip(NEXT) | instid1(SALU_CYCLE_1)
	s_and_b32 s10, s10, exec_lo
	s_or_b32 s8, s8, s10
	s_branch .LBB29_286
.LBB29_289:
	s_or_b32 s46, s44, exec_lo
	s_trap 2
                                        ; implicit-def: $vgpr0_vgpr1
                                        ; implicit-def: $vgpr31
                                        ; implicit-def: $vgpr30
                                        ; implicit-def: $vgpr32
                                        ; implicit-def: $vgpr26
                                        ; implicit-def: $vgpr25
                                        ; implicit-def: $vgpr28
                                        ; implicit-def: $vgpr27
                                        ; implicit-def: $vgpr29
                                        ; implicit-def: $vgpr21
                                        ; implicit-def: $vgpr20
                                        ; implicit-def: $vgpr23
                                        ; implicit-def: $vgpr22
                                        ; implicit-def: $vgpr24
                                        ; implicit-def: $vgpr2_vgpr3
	s_or_saveexec_b32 s49, s0
	s_mov_b32 s0, 0
	s_xor_b32 exec_lo, exec_lo, s49
	s_cbranch_execnz .LBB29_227
	s_branch .LBB29_302
.LBB29_290:
	s_or_b32 exec_lo, exec_lo, s3
	s_mov_b32 s3, -1
	s_mov_b32 s6, s18
	s_and_saveexec_b32 s7, s2
	s_delay_alu instid0(SALU_CYCLE_1)
	s_xor_b32 s2, exec_lo, s7
	s_cbranch_execnz .LBB29_314
.LBB29_291:
	s_or_b32 exec_lo, exec_lo, s2
	s_delay_alu instid0(SALU_CYCLE_1)
	s_and_not1_b32 s7, s18, exec_lo
	s_and_b32 s6, s6, exec_lo
	s_or_not1_b32 s2, s3, exec_lo
	s_or_b32 s3, s7, s6
.LBB29_292:
	s_or_b32 exec_lo, exec_lo, s0
	s_delay_alu instid0(SALU_CYCLE_1)
	s_and_not1_b32 s6, s18, exec_lo
	s_and_b32 s3, s3, exec_lo
	s_and_b32 s0, s2, exec_lo
	s_or_b32 s18, s6, s3
.LBB29_293:
	s_or_b32 exec_lo, exec_lo, s19
	s_delay_alu instid0(SALU_CYCLE_1)
	s_and_not1_b32 s2, s25, exec_lo
	s_and_b32 s3, s18, exec_lo
	s_and_b32 s0, s0, exec_lo
	s_or_b32 s25, s2, s3
.LBB29_294:
	s_or_b32 exec_lo, exec_lo, s26
	s_delay_alu instid0(SALU_CYCLE_1)
	s_and_not1_b32 s2, s23, exec_lo
	s_and_b32 s3, s25, exec_lo
	s_and_b32 s0, s0, exec_lo
	s_or_b32 s23, s2, s3
.LBB29_295:
	s_or_b32 exec_lo, exec_lo, s24
	s_delay_alu instid0(SALU_CYCLE_1)
	s_and_not1_b32 s1, s1, exec_lo
	s_and_b32 s2, s23, exec_lo
	s_and_b32 s0, s0, exec_lo
	s_or_b32 s1, s1, s2
.LBB29_296:
	s_or_b32 exec_lo, exec_lo, s22
	s_delay_alu instid0(SALU_CYCLE_1)
	s_and_not1_b32 s2, s58, exec_lo
	s_and_b32 s1, s1, exec_lo
	s_and_b32 s0, s0, exec_lo
	s_or_b32 s58, s2, s1
.LBB29_297:
	s_or_b32 exec_lo, exec_lo, s59
	s_delay_alu instid0(SALU_CYCLE_1)
	s_and_not1_b32 s1, s56, exec_lo
	s_and_b32 s2, s58, exec_lo
	s_and_b32 s0, s0, exec_lo
	s_or_b32 s56, s1, s2
.LBB29_298:
	s_or_b32 exec_lo, exec_lo, s57
	s_delay_alu instid0(SALU_CYCLE_1)
	s_and_not1_b32 s1, s54, exec_lo
	s_and_b32 s2, s56, exec_lo
	s_and_b32 s0, s0, exec_lo
	s_or_b32 s54, s1, s2
.LBB29_299:
	s_or_b32 exec_lo, exec_lo, s55
	s_delay_alu instid0(SALU_CYCLE_1)
	s_and_not1_b32 s1, s52, exec_lo
	s_and_b32 s2, s54, exec_lo
	s_and_b32 s0, s0, exec_lo
	s_or_b32 s52, s1, s2
.LBB29_300:
	s_or_b32 exec_lo, exec_lo, s53
	s_delay_alu instid0(SALU_CYCLE_1)
	s_and_not1_b32 s1, s50, exec_lo
	s_and_b32 s2, s52, exec_lo
	s_and_b32 s0, s0, exec_lo
	s_or_b32 s50, s1, s2
.LBB29_301:
	s_or_b32 exec_lo, exec_lo, s51
	s_delay_alu instid0(SALU_CYCLE_1)
	s_and_not1_b32 s1, s46, exec_lo
	s_and_b32 s2, s50, exec_lo
	s_and_b32 s0, s0, exec_lo
	s_or_b32 s46, s1, s2
.LBB29_302:
	s_or_b32 exec_lo, exec_lo, s49
	s_delay_alu instid0(SALU_CYCLE_1)
	s_and_not1_b32 s1, s44, exec_lo
	s_and_b32 s2, s46, exec_lo
	s_and_b32 s0, s0, exec_lo
	s_or_b32 s44, s1, s2
.LBB29_303:
	s_or_b32 exec_lo, exec_lo, s45
	s_delay_alu instid0(SALU_CYCLE_1)
	s_and_not1_b32 s1, s42, exec_lo
	s_and_b32 s2, s44, exec_lo
	s_and_b32 s0, s0, exec_lo
	s_or_b32 s42, s1, s2
.LBB29_304:
	s_or_b32 exec_lo, exec_lo, s43
	s_delay_alu instid0(SALU_CYCLE_1)
	s_and_not1_b32 s1, s39, exec_lo
	s_wait_xcnt 0x0
	s_and_b32 s2, s42, exec_lo
	s_and_b32 s0, s0, exec_lo
	s_or_b32 s39, s1, s2
.LBB29_305:
	s_or_b32 exec_lo, exec_lo, s40
	s_delay_alu instid0(SALU_CYCLE_1)
	s_and_not1_b32 s1, s35, exec_lo
	s_and_b32 s2, s39, exec_lo
	s_and_b32 s0, s0, exec_lo
	s_or_b32 s35, s1, s2
.LBB29_306:
	s_or_b32 exec_lo, exec_lo, s38
	s_delay_alu instid0(SALU_CYCLE_1)
	s_and_not1_b32 s1, s33, exec_lo
	s_and_b32 s2, s35, exec_lo
	s_and_b32 s0, s0, exec_lo
	s_or_b32 s33, s1, s2
.LBB29_307:
	s_or_b32 exec_lo, exec_lo, s34
	s_delay_alu instid0(SALU_CYCLE_1)
	s_and_not1_b32 s1, s36, exec_lo
	s_and_b32 s2, s33, exec_lo
	s_and_b32 s65, s0, exec_lo
	s_or_b32 s36, s1, s2
	s_or_b32 exec_lo, exec_lo, s37
	s_and_saveexec_b32 s0, s36
	s_cbranch_execnz .LBB29_145
.LBB29_308:
	s_or_b32 exec_lo, exec_lo, s0
	s_and_saveexec_b32 s0, s65
	s_cbranch_execz .LBB29_146
.LBB29_309:
	v_mov_b64_e32 v[0:1], 0
	s_clause 0x3
	global_store_b64 v16, v[0:1], s[4:5]
	global_store_b64 v17, v[0:1], s[4:5]
	;; [unrolled: 1-line block ×4, first 2 shown]
	s_endpgm
.LBB29_310:
	s_or_b32 s22, s58, exec_lo
	s_xor_b32 s17, exec_lo, -1
	s_trap 2
	s_branch .LBB29_266
.LBB29_311:
	s_or_b32 s50, s46, exec_lo
	s_trap 2
                                        ; implicit-def: $vgpr6_vgpr7
                                        ; implicit-def: $vgpr4_vgpr5
                                        ; implicit-def: $vgpr0_vgpr1
                                        ; implicit-def: $vgpr30
                                        ; implicit-def: $vgpr26
                                        ; implicit-def: $vgpr25
                                        ; implicit-def: $vgpr28
                                        ; implicit-def: $vgpr27
                                        ; implicit-def: $vgpr29
                                        ; implicit-def: $vgpr21
                                        ; implicit-def: $vgpr20
                                        ; implicit-def: $vgpr23
                                        ; implicit-def: $vgpr22
                                        ; implicit-def: $vgpr24
                                        ; implicit-def: $vgpr2_vgpr3
	s_or_saveexec_b32 s51, s0
	s_mov_b32 s0, 0
	s_xor_b32 exec_lo, exec_lo, s51
	s_cbranch_execnz .LBB29_229
	s_branch .LBB29_301
.LBB29_312:
	s_or_b32 s54, s52, exec_lo
	s_trap 2
                                        ; implicit-def: $vgpr0_vgpr1
                                        ; implicit-def: $vgpr26
                                        ; implicit-def: $vgpr25
                                        ; implicit-def: $vgpr28
                                        ; implicit-def: $vgpr27
                                        ; implicit-def: $vgpr21
                                        ; implicit-def: $vgpr20
                                        ; implicit-def: $vgpr23
                                        ; implicit-def: $vgpr22
                                        ; implicit-def: $vgpr24
                                        ; implicit-def: $vgpr2_vgpr3
	s_or_saveexec_b32 s55, s0
	s_mov_b32 s0, 0
	s_xor_b32 exec_lo, exec_lo, s55
	s_cbranch_execnz .LBB29_246
	s_branch .LBB29_299
.LBB29_313:
	s_or_b32 s56, s54, exec_lo
	s_trap 2
                                        ; implicit-def: $vgpr0_vgpr1
                                        ; implicit-def: $vgpr26
                                        ; implicit-def: $vgpr25
                                        ; implicit-def: $vgpr27
                                        ; implicit-def: $vgpr21
                                        ; implicit-def: $vgpr20
                                        ; implicit-def: $vgpr23
                                        ; implicit-def: $vgpr22
                                        ; implicit-def: $vgpr24
                                        ; implicit-def: $vgpr2_vgpr3
	s_or_saveexec_b32 s57, s0
	s_mov_b32 s0, 0
	s_xor_b32 exec_lo, exec_lo, s57
	s_cbranch_execnz .LBB29_248
	s_branch .LBB29_298
.LBB29_314:
	s_xor_b32 s3, exec_lo, -1
	s_or_b32 s6, s18, exec_lo
	s_trap 2
	s_branch .LBB29_291
.LBB29_315:
	s_or_b32 s58, s56, exec_lo
	s_trap 2
                                        ; implicit-def: $vgpr6_vgpr7
                                        ; implicit-def: $vgpr4_vgpr5
                                        ; implicit-def: $vgpr0_vgpr1
                                        ; implicit-def: $vgpr25
                                        ; implicit-def: $vgpr21
                                        ; implicit-def: $vgpr20
                                        ; implicit-def: $vgpr23
                                        ; implicit-def: $vgpr22
                                        ; implicit-def: $vgpr24
                                        ; implicit-def: $vgpr2_vgpr3
	s_or_saveexec_b32 s59, s0
	s_mov_b32 s0, 0
	s_xor_b32 exec_lo, exec_lo, s59
	s_cbranch_execnz .LBB29_250
	s_branch .LBB29_297
.LBB29_316:
	s_or_b32 s23, s1, exec_lo
	s_trap 2
                                        ; implicit-def: $vgpr23
                                        ; implicit-def: $vgpr0_vgpr1
                                        ; implicit-def: $vgpr22
                                        ; implicit-def: $vgpr21
                                        ; implicit-def: $vgpr2_vgpr3
                                        ; implicit-def: $vgpr20
	s_or_saveexec_b32 s24, s0
	s_mov_b32 s0, 0
	s_xor_b32 exec_lo, exec_lo, s24
	s_cbranch_execnz .LBB29_270
	s_branch .LBB29_295
.LBB29_317:
	s_or_b32 s25, s23, exec_lo
	s_trap 2
                                        ; implicit-def: $vgpr22
                                        ; implicit-def: $vgpr21
                                        ; implicit-def: $vgpr2_vgpr3
                                        ; implicit-def: $vgpr20
                                        ; implicit-def: $vgpr0_vgpr1
	s_or_saveexec_b32 s26, s0
	s_mov_b32 s0, 0
	s_xor_b32 exec_lo, exec_lo, s26
	s_cbranch_execnz .LBB29_272
	s_branch .LBB29_294
.LBB29_318:
	s_or_b32 s18, s25, exec_lo
	s_trap 2
                                        ; implicit-def: $vgpr4_vgpr5
                                        ; implicit-def: $vgpr6_vgpr7
                                        ; implicit-def: $vgpr20
                                        ; implicit-def: $vgpr0_vgpr1
	s_or_saveexec_b32 s19, s0
	s_mov_b32 s0, 0
	s_xor_b32 exec_lo, exec_lo, s19
	s_cbranch_execnz .LBB29_274
	s_branch .LBB29_293
	.section	.rodata,"a",@progbits
	.p2align	6, 0x0
	.amdhsa_kernel _ZN2at6native32elementwise_kernel_manual_unrollILi128ELi4EZNS0_22gpu_kernel_impl_nocastIZZZNS0_12_GLOBAL__N_142_validate_compressed_sparse_indices_kernelILNS3_8CDimNameE0ENS3_18CUDAKernelLauncherENS3_14EmptyVecKernelENS3_8DummyVecELm8EEEvRKNS_6TensorESB_lllENKUlvE1_clEvENKUlvE0_clEvEUllllllE_EEvRNS_18TensorIteratorBaseERKT_EUlibE_EEviT1_
		.amdhsa_group_segment_fixed_size 0
		.amdhsa_private_segment_fixed_size 0
		.amdhsa_kernarg_size 808
		.amdhsa_user_sgpr_count 2
		.amdhsa_user_sgpr_dispatch_ptr 0
		.amdhsa_user_sgpr_queue_ptr 0
		.amdhsa_user_sgpr_kernarg_segment_ptr 1
		.amdhsa_user_sgpr_dispatch_id 0
		.amdhsa_user_sgpr_kernarg_preload_length 0
		.amdhsa_user_sgpr_kernarg_preload_offset 0
		.amdhsa_user_sgpr_private_segment_size 0
		.amdhsa_wavefront_size32 1
		.amdhsa_uses_dynamic_stack 0
		.amdhsa_enable_private_segment 0
		.amdhsa_system_sgpr_workgroup_id_x 1
		.amdhsa_system_sgpr_workgroup_id_y 0
		.amdhsa_system_sgpr_workgroup_id_z 0
		.amdhsa_system_sgpr_workgroup_info 0
		.amdhsa_system_vgpr_workitem_id 0
		.amdhsa_next_free_vgpr 48
		.amdhsa_next_free_sgpr 104
		.amdhsa_named_barrier_count 0
		.amdhsa_reserve_vcc 1
		.amdhsa_float_round_mode_32 0
		.amdhsa_float_round_mode_16_64 0
		.amdhsa_float_denorm_mode_32 3
		.amdhsa_float_denorm_mode_16_64 3
		.amdhsa_fp16_overflow 0
		.amdhsa_memory_ordered 1
		.amdhsa_forward_progress 1
		.amdhsa_inst_pref_size 153
		.amdhsa_round_robin_scheduling 0
		.amdhsa_exception_fp_ieee_invalid_op 0
		.amdhsa_exception_fp_denorm_src 0
		.amdhsa_exception_fp_ieee_div_zero 0
		.amdhsa_exception_fp_ieee_overflow 0
		.amdhsa_exception_fp_ieee_underflow 0
		.amdhsa_exception_fp_ieee_inexact 0
		.amdhsa_exception_int_div_zero 0
	.end_amdhsa_kernel
	.section	.text._ZN2at6native32elementwise_kernel_manual_unrollILi128ELi4EZNS0_22gpu_kernel_impl_nocastIZZZNS0_12_GLOBAL__N_142_validate_compressed_sparse_indices_kernelILNS3_8CDimNameE0ENS3_18CUDAKernelLauncherENS3_14EmptyVecKernelENS3_8DummyVecELm8EEEvRKNS_6TensorESB_lllENKUlvE1_clEvENKUlvE0_clEvEUllllllE_EEvRNS_18TensorIteratorBaseERKT_EUlibE_EEviT1_,"axG",@progbits,_ZN2at6native32elementwise_kernel_manual_unrollILi128ELi4EZNS0_22gpu_kernel_impl_nocastIZZZNS0_12_GLOBAL__N_142_validate_compressed_sparse_indices_kernelILNS3_8CDimNameE0ENS3_18CUDAKernelLauncherENS3_14EmptyVecKernelENS3_8DummyVecELm8EEEvRKNS_6TensorESB_lllENKUlvE1_clEvENKUlvE0_clEvEUllllllE_EEvRNS_18TensorIteratorBaseERKT_EUlibE_EEviT1_,comdat
.Lfunc_end29:
	.size	_ZN2at6native32elementwise_kernel_manual_unrollILi128ELi4EZNS0_22gpu_kernel_impl_nocastIZZZNS0_12_GLOBAL__N_142_validate_compressed_sparse_indices_kernelILNS3_8CDimNameE0ENS3_18CUDAKernelLauncherENS3_14EmptyVecKernelENS3_8DummyVecELm8EEEvRKNS_6TensorESB_lllENKUlvE1_clEvENKUlvE0_clEvEUllllllE_EEvRNS_18TensorIteratorBaseERKT_EUlibE_EEviT1_, .Lfunc_end29-_ZN2at6native32elementwise_kernel_manual_unrollILi128ELi4EZNS0_22gpu_kernel_impl_nocastIZZZNS0_12_GLOBAL__N_142_validate_compressed_sparse_indices_kernelILNS3_8CDimNameE0ENS3_18CUDAKernelLauncherENS3_14EmptyVecKernelENS3_8DummyVecELm8EEEvRKNS_6TensorESB_lllENKUlvE1_clEvENKUlvE0_clEvEUllllllE_EEvRNS_18TensorIteratorBaseERKT_EUlibE_EEviT1_
                                        ; -- End function
	.set _ZN2at6native32elementwise_kernel_manual_unrollILi128ELi4EZNS0_22gpu_kernel_impl_nocastIZZZNS0_12_GLOBAL__N_142_validate_compressed_sparse_indices_kernelILNS3_8CDimNameE0ENS3_18CUDAKernelLauncherENS3_14EmptyVecKernelENS3_8DummyVecELm8EEEvRKNS_6TensorESB_lllENKUlvE1_clEvENKUlvE0_clEvEUllllllE_EEvRNS_18TensorIteratorBaseERKT_EUlibE_EEviT1_.num_vgpr, 48
	.set _ZN2at6native32elementwise_kernel_manual_unrollILi128ELi4EZNS0_22gpu_kernel_impl_nocastIZZZNS0_12_GLOBAL__N_142_validate_compressed_sparse_indices_kernelILNS3_8CDimNameE0ENS3_18CUDAKernelLauncherENS3_14EmptyVecKernelENS3_8DummyVecELm8EEEvRKNS_6TensorESB_lllENKUlvE1_clEvENKUlvE0_clEvEUllllllE_EEvRNS_18TensorIteratorBaseERKT_EUlibE_EEviT1_.num_agpr, 0
	.set _ZN2at6native32elementwise_kernel_manual_unrollILi128ELi4EZNS0_22gpu_kernel_impl_nocastIZZZNS0_12_GLOBAL__N_142_validate_compressed_sparse_indices_kernelILNS3_8CDimNameE0ENS3_18CUDAKernelLauncherENS3_14EmptyVecKernelENS3_8DummyVecELm8EEEvRKNS_6TensorESB_lllENKUlvE1_clEvENKUlvE0_clEvEUllllllE_EEvRNS_18TensorIteratorBaseERKT_EUlibE_EEviT1_.numbered_sgpr, 104
	.set _ZN2at6native32elementwise_kernel_manual_unrollILi128ELi4EZNS0_22gpu_kernel_impl_nocastIZZZNS0_12_GLOBAL__N_142_validate_compressed_sparse_indices_kernelILNS3_8CDimNameE0ENS3_18CUDAKernelLauncherENS3_14EmptyVecKernelENS3_8DummyVecELm8EEEvRKNS_6TensorESB_lllENKUlvE1_clEvENKUlvE0_clEvEUllllllE_EEvRNS_18TensorIteratorBaseERKT_EUlibE_EEviT1_.num_named_barrier, 0
	.set _ZN2at6native32elementwise_kernel_manual_unrollILi128ELi4EZNS0_22gpu_kernel_impl_nocastIZZZNS0_12_GLOBAL__N_142_validate_compressed_sparse_indices_kernelILNS3_8CDimNameE0ENS3_18CUDAKernelLauncherENS3_14EmptyVecKernelENS3_8DummyVecELm8EEEvRKNS_6TensorESB_lllENKUlvE1_clEvENKUlvE0_clEvEUllllllE_EEvRNS_18TensorIteratorBaseERKT_EUlibE_EEviT1_.private_seg_size, 0
	.set _ZN2at6native32elementwise_kernel_manual_unrollILi128ELi4EZNS0_22gpu_kernel_impl_nocastIZZZNS0_12_GLOBAL__N_142_validate_compressed_sparse_indices_kernelILNS3_8CDimNameE0ENS3_18CUDAKernelLauncherENS3_14EmptyVecKernelENS3_8DummyVecELm8EEEvRKNS_6TensorESB_lllENKUlvE1_clEvENKUlvE0_clEvEUllllllE_EEvRNS_18TensorIteratorBaseERKT_EUlibE_EEviT1_.uses_vcc, 1
	.set _ZN2at6native32elementwise_kernel_manual_unrollILi128ELi4EZNS0_22gpu_kernel_impl_nocastIZZZNS0_12_GLOBAL__N_142_validate_compressed_sparse_indices_kernelILNS3_8CDimNameE0ENS3_18CUDAKernelLauncherENS3_14EmptyVecKernelENS3_8DummyVecELm8EEEvRKNS_6TensorESB_lllENKUlvE1_clEvENKUlvE0_clEvEUllllllE_EEvRNS_18TensorIteratorBaseERKT_EUlibE_EEviT1_.uses_flat_scratch, 0
	.set _ZN2at6native32elementwise_kernel_manual_unrollILi128ELi4EZNS0_22gpu_kernel_impl_nocastIZZZNS0_12_GLOBAL__N_142_validate_compressed_sparse_indices_kernelILNS3_8CDimNameE0ENS3_18CUDAKernelLauncherENS3_14EmptyVecKernelENS3_8DummyVecELm8EEEvRKNS_6TensorESB_lllENKUlvE1_clEvENKUlvE0_clEvEUllllllE_EEvRNS_18TensorIteratorBaseERKT_EUlibE_EEviT1_.has_dyn_sized_stack, 0
	.set _ZN2at6native32elementwise_kernel_manual_unrollILi128ELi4EZNS0_22gpu_kernel_impl_nocastIZZZNS0_12_GLOBAL__N_142_validate_compressed_sparse_indices_kernelILNS3_8CDimNameE0ENS3_18CUDAKernelLauncherENS3_14EmptyVecKernelENS3_8DummyVecELm8EEEvRKNS_6TensorESB_lllENKUlvE1_clEvENKUlvE0_clEvEUllllllE_EEvRNS_18TensorIteratorBaseERKT_EUlibE_EEviT1_.has_recursion, 0
	.set _ZN2at6native32elementwise_kernel_manual_unrollILi128ELi4EZNS0_22gpu_kernel_impl_nocastIZZZNS0_12_GLOBAL__N_142_validate_compressed_sparse_indices_kernelILNS3_8CDimNameE0ENS3_18CUDAKernelLauncherENS3_14EmptyVecKernelENS3_8DummyVecELm8EEEvRKNS_6TensorESB_lllENKUlvE1_clEvENKUlvE0_clEvEUllllllE_EEvRNS_18TensorIteratorBaseERKT_EUlibE_EEviT1_.has_indirect_call, 0
	.section	.AMDGPU.csdata,"",@progbits
; Kernel info:
; codeLenInByte = 19512
; TotalNumSgprs: 106
; NumVgprs: 48
; ScratchSize: 0
; MemoryBound: 0
; FloatMode: 240
; IeeeMode: 1
; LDSByteSize: 0 bytes/workgroup (compile time only)
; SGPRBlocks: 0
; VGPRBlocks: 2
; NumSGPRsForWavesPerEU: 106
; NumVGPRsForWavesPerEU: 48
; NamedBarCnt: 0
; Occupancy: 16
; WaveLimiterHint : 1
; COMPUTE_PGM_RSRC2:SCRATCH_EN: 0
; COMPUTE_PGM_RSRC2:USER_SGPR: 2
; COMPUTE_PGM_RSRC2:TRAP_HANDLER: 0
; COMPUTE_PGM_RSRC2:TGID_X_EN: 1
; COMPUTE_PGM_RSRC2:TGID_Y_EN: 0
; COMPUTE_PGM_RSRC2:TGID_Z_EN: 0
; COMPUTE_PGM_RSRC2:TIDIG_COMP_CNT: 0
	.section	.text._ZN2at6native32elementwise_kernel_manual_unrollILi128ELi4EZNS0_15gpu_kernel_implIZZZNS0_12_GLOBAL__N_142_validate_compressed_sparse_indices_kernelILNS3_8CDimNameE0ENS3_18CUDAKernelLauncherENS3_14EmptyVecKernelENS3_8DummyVecELm8EEEvRKNS_6TensorESB_lllENKUlvE1_clEvENKUlvE0_clEvEUllllllE_EEvRNS_18TensorIteratorBaseERKT_EUlibE_EEviT1_,"axG",@progbits,_ZN2at6native32elementwise_kernel_manual_unrollILi128ELi4EZNS0_15gpu_kernel_implIZZZNS0_12_GLOBAL__N_142_validate_compressed_sparse_indices_kernelILNS3_8CDimNameE0ENS3_18CUDAKernelLauncherENS3_14EmptyVecKernelENS3_8DummyVecELm8EEEvRKNS_6TensorESB_lllENKUlvE1_clEvENKUlvE0_clEvEUllllllE_EEvRNS_18TensorIteratorBaseERKT_EUlibE_EEviT1_,comdat
	.globl	_ZN2at6native32elementwise_kernel_manual_unrollILi128ELi4EZNS0_15gpu_kernel_implIZZZNS0_12_GLOBAL__N_142_validate_compressed_sparse_indices_kernelILNS3_8CDimNameE0ENS3_18CUDAKernelLauncherENS3_14EmptyVecKernelENS3_8DummyVecELm8EEEvRKNS_6TensorESB_lllENKUlvE1_clEvENKUlvE0_clEvEUllllllE_EEvRNS_18TensorIteratorBaseERKT_EUlibE_EEviT1_ ; -- Begin function _ZN2at6native32elementwise_kernel_manual_unrollILi128ELi4EZNS0_15gpu_kernel_implIZZZNS0_12_GLOBAL__N_142_validate_compressed_sparse_indices_kernelILNS3_8CDimNameE0ENS3_18CUDAKernelLauncherENS3_14EmptyVecKernelENS3_8DummyVecELm8EEEvRKNS_6TensorESB_lllENKUlvE1_clEvENKUlvE0_clEvEUllllllE_EEvRNS_18TensorIteratorBaseERKT_EUlibE_EEviT1_
	.p2align	8
	.type	_ZN2at6native32elementwise_kernel_manual_unrollILi128ELi4EZNS0_15gpu_kernel_implIZZZNS0_12_GLOBAL__N_142_validate_compressed_sparse_indices_kernelILNS3_8CDimNameE0ENS3_18CUDAKernelLauncherENS3_14EmptyVecKernelENS3_8DummyVecELm8EEEvRKNS_6TensorESB_lllENKUlvE1_clEvENKUlvE0_clEvEUllllllE_EEvRNS_18TensorIteratorBaseERKT_EUlibE_EEviT1_,@function
_ZN2at6native32elementwise_kernel_manual_unrollILi128ELi4EZNS0_15gpu_kernel_implIZZZNS0_12_GLOBAL__N_142_validate_compressed_sparse_indices_kernelILNS3_8CDimNameE0ENS3_18CUDAKernelLauncherENS3_14EmptyVecKernelENS3_8DummyVecELm8EEEvRKNS_6TensorESB_lllENKUlvE1_clEvENKUlvE0_clEvEUllllllE_EEvRNS_18TensorIteratorBaseERKT_EUlibE_EEviT1_: ; @_ZN2at6native32elementwise_kernel_manual_unrollILi128ELi4EZNS0_15gpu_kernel_implIZZZNS0_12_GLOBAL__N_142_validate_compressed_sparse_indices_kernelILNS3_8CDimNameE0ENS3_18CUDAKernelLauncherENS3_14EmptyVecKernelENS3_8DummyVecELm8EEEvRKNS_6TensorESB_lllENKUlvE1_clEvENKUlvE0_clEvEUllllllE_EEvRNS_18TensorIteratorBaseERKT_EUlibE_EEviT1_
; %bb.0:
	s_bfe_u32 s4, ttmp6, 0x4000c
	s_clause 0x2
	s_load_b32 s57, s[0:1], 0x0
	s_load_b64 s[2:3], s[0:1], 0x8
	s_load_b32 s33, s[0:1], 0x38
	s_add_co_i32 s4, s4, 1
	s_and_b32 s5, ttmp6, 15
	s_mul_i32 s4, ttmp9, s4
	s_getreg_b32 s6, hwreg(HW_REG_IB_STS2, 6, 4)
	s_add_co_i32 s5, s5, s4
	s_cmp_eq_u32 s6, 0
	s_add_nc_u64 s[28:29], s[0:1], 8
	s_cselect_b32 s4, ttmp9, s5
	s_mov_b32 s48, 0
	v_lshl_or_b32 v26, s4, 9, v0
	s_mov_b32 s34, 0
	s_wait_xcnt 0x0
	s_mov_b32 s0, exec_lo
	s_delay_alu instid0(VALU_DEP_1) | instskip(SKIP_1) | instid1(VALU_DEP_1)
	v_or_b32_e32 v0, 0x180, v26
	s_wait_kmcnt 0x0
	v_cmpx_le_i32_e64 s57, v0
	s_xor_b32 s49, exec_lo, s0
	s_cbranch_execz .LBB30_2803
; %bb.1:
	s_clause 0x5
	s_load_b128 s[20:23], s[28:29], 0xe8
	s_load_b256 s[12:19], s[28:29], 0x8
	s_load_b64 s[34:35], s[28:29], 0x28
	s_load_b128 s[24:27], s[28:29], 0x34
	s_load_b32 s53, s[28:29], 0x44
	s_load_b256 s[4:11], s[28:29], 0x48
	s_get_pc_i64 s[30:31]
	s_add_nc_u64 s[30:31], s[30:31], .str.1@rel64+4
	s_get_pc_i64 s[38:39]
	s_add_nc_u64 s[38:39], s[38:39], .str.2@rel64+4
	;; [unrolled: 2-line block ×4, first 2 shown]
	v_cmp_gt_i32_e32 vcc_lo, s57, v26
	s_mov_b32 s1, -1
	s_mov_b32 s69, 0
	s_mov_b32 s67, 0
	;; [unrolled: 1-line block ×8, first 2 shown]
	s_wait_kmcnt 0x0
	s_lshr_b32 s58, s22, 8
	s_lshr_b32 s55, s22, 16
	s_lshr_b64 s[36:37], s[22:23], 24
	s_lshr_b32 s54, s23, 8
	s_cmp_lg_u64 s[30:31], 0
	s_mov_b32 s60, 0
	s_cselect_b32 s52, -1, 0
	s_cmp_lg_u64 s[38:39], 0
	s_mov_b32 s59, 0
	s_cselect_b32 s51, -1, 0
	;; [unrolled: 3-line block ×3, first 2 shown]
	s_add_co_i32 s30, s10, -1
	s_delay_alu instid0(SALU_CYCLE_1)
	s_cmp_gt_i32 s30, -1
	s_cselect_b32 s37, -1, 0
	s_cmp_lg_u64 s[42:43], 0
	s_cselect_b32 s11, -1, 0
	s_and_saveexec_b32 s68, vcc_lo
	s_cbranch_execz .LBB30_630
; %bb.2:
	v_mul_lo_u32 v0, s24, v26
	s_and_b32 s0, s58, 0xff
	s_delay_alu instid0(SALU_CYCLE_1) | instskip(NEXT) | instid1(VALU_DEP_1)
	s_cmp_lt_i32 s0, 11
	v_ashrrev_i32_e32 v1, 31, v0
	s_delay_alu instid0(VALU_DEP_1)
	v_add_nc_u64_e32 v[2:3], s[12:13], v[0:1]
	s_cbranch_scc1 .LBB30_9
; %bb.3:
	s_and_b32 s1, 0xffff, s0
	s_delay_alu instid0(SALU_CYCLE_1)
	s_cmp_gt_i32 s1, 25
	s_cbranch_scc0 .LBB30_11
; %bb.4:
	s_cmp_gt_i32 s1, 28
	s_cbranch_scc0 .LBB30_12
; %bb.5:
	;; [unrolled: 3-line block ×4, first 2 shown]
	s_cmp_eq_u32 s1, 46
	s_mov_b32 s38, 0
	s_cbranch_scc0 .LBB30_15
; %bb.8:
	global_load_b32 v0, v[2:3], off
	s_mov_b32 s31, -1
	s_wait_loadcnt 0x0
	v_lshlrev_b32_e32 v0, 16, v0
	s_delay_alu instid0(VALU_DEP_1) | instskip(NEXT) | instid1(VALU_DEP_1)
	v_trunc_f32_e32 v0, v0
	v_mul_f32_e64 v1, 0x2f800000, |v0|
	s_delay_alu instid0(VALU_DEP_1) | instskip(NEXT) | instid1(VALU_DEP_1)
	v_floor_f32_e32 v1, v1
	v_fma_f32 v4, 0xcf800000, v1, |v0|
	v_ashrrev_i32_e32 v0, 31, v0
	v_cvt_u32_f32_e32 v5, v1
	s_delay_alu instid0(VALU_DEP_3) | instskip(NEXT) | instid1(VALU_DEP_2)
	v_cvt_u32_f32_e32 v4, v4
	v_dual_mov_b32 v1, v0 :: v_dual_bitop2_b32 v5, v5, v0 bitop3:0x14
	s_delay_alu instid0(VALU_DEP_2) | instskip(NEXT) | instid1(VALU_DEP_1)
	v_xor_b32_e32 v4, v4, v0
	v_sub_nc_u64_e32 v[0:1], v[4:5], v[0:1]
	s_branch .LBB30_17
.LBB30_9:
	s_mov_b32 s31, 0
                                        ; implicit-def: $vgpr0_vgpr1
	s_and_b32 vcc_lo, exec_lo, s1
	s_cbranch_vccnz .LBB30_77
.LBB30_10:
	s_and_not1_b32 vcc_lo, exec_lo, s31
	s_cbranch_vccz .LBB30_124
	s_branch .LBB30_628
.LBB30_11:
	s_mov_b32 s31, 0
                                        ; implicit-def: $vgpr0_vgpr1
	s_cbranch_execnz .LBB30_44
	s_branch .LBB30_76
.LBB30_12:
	s_mov_b32 s38, -1
	s_mov_b32 s31, 0
                                        ; implicit-def: $vgpr0_vgpr1
	s_branch .LBB30_27
.LBB30_13:
	s_mov_b32 s38, -1
	s_mov_b32 s31, 0
                                        ; implicit-def: $vgpr0_vgpr1
	s_branch .LBB30_22
.LBB30_14:
	s_mov_b32 s38, -1
	s_branch .LBB30_16
.LBB30_15:
	s_mov_b32 s67, -1
.LBB30_16:
	s_mov_b32 s31, 0
                                        ; implicit-def: $vgpr0_vgpr1
.LBB30_17:
	s_and_b32 vcc_lo, exec_lo, s38
	s_cbranch_vccz .LBB30_21
; %bb.18:
	s_cmp_eq_u32 s1, 44
	s_cbranch_scc0 .LBB30_20
; %bb.19:
	global_load_u8 v6, v[2:3], off
	s_mov_b32 s67, 0
	s_mov_b32 s31, -1
	s_wait_loadcnt 0x0
	v_cmp_ne_u32_e32 vcc_lo, 0, v6
	v_lshlrev_b32_e32 v0, 23, v6
	s_delay_alu instid0(VALU_DEP_1) | instskip(NEXT) | instid1(VALU_DEP_1)
	v_trunc_f32_e32 v0, v0
	v_mul_f32_e64 v1, 0x2f800000, |v0|
	s_delay_alu instid0(VALU_DEP_1) | instskip(NEXT) | instid1(VALU_DEP_1)
	v_floor_f32_e32 v1, v1
	v_fma_f32 v4, 0xcf800000, v1, |v0|
	v_ashrrev_i32_e32 v0, 31, v0
	v_cvt_u32_f32_e32 v5, v1
	s_delay_alu instid0(VALU_DEP_3) | instskip(NEXT) | instid1(VALU_DEP_2)
	v_cvt_u32_f32_e32 v4, v4
	v_dual_mov_b32 v1, v0 :: v_dual_bitop2_b32 v5, v5, v0 bitop3:0x14
	s_delay_alu instid0(VALU_DEP_2) | instskip(NEXT) | instid1(VALU_DEP_1)
	v_xor_b32_e32 v4, v4, v0
	v_sub_nc_u64_e32 v[0:1], v[4:5], v[0:1]
	s_delay_alu instid0(VALU_DEP_1)
	v_dual_cndmask_b32 v1, 0, v1 :: v_dual_cndmask_b32 v0, 0, v0
	s_branch .LBB30_21
.LBB30_20:
	s_mov_b32 s67, -1
                                        ; implicit-def: $vgpr0_vgpr1
.LBB30_21:
	s_mov_b32 s38, 0
.LBB30_22:
	s_delay_alu instid0(SALU_CYCLE_1)
	s_and_b32 vcc_lo, exec_lo, s38
	s_cbranch_vccz .LBB30_26
; %bb.23:
	s_cmp_eq_u32 s1, 29
	s_cbranch_scc0 .LBB30_25
; %bb.24:
	global_load_b64 v[0:1], v[2:3], off
	s_mov_b32 s31, -1
	s_mov_b32 s67, 0
	s_branch .LBB30_26
.LBB30_25:
	s_mov_b32 s67, -1
                                        ; implicit-def: $vgpr0_vgpr1
.LBB30_26:
	s_mov_b32 s38, 0
.LBB30_27:
	s_delay_alu instid0(SALU_CYCLE_1)
	s_and_b32 vcc_lo, exec_lo, s38
	s_cbranch_vccz .LBB30_43
; %bb.28:
	s_cmp_lt_i32 s1, 27
	s_cbranch_scc1 .LBB30_31
; %bb.29:
	s_cmp_gt_i32 s1, 27
	s_cbranch_scc0 .LBB30_32
; %bb.30:
	s_wait_loadcnt 0x0
	global_load_b32 v0, v[2:3], off
	v_mov_b32_e32 v1, 0
	s_mov_b32 s31, 0
	s_branch .LBB30_33
.LBB30_31:
	s_mov_b32 s31, -1
                                        ; implicit-def: $vgpr0_vgpr1
	s_branch .LBB30_36
.LBB30_32:
	s_mov_b32 s31, -1
                                        ; implicit-def: $vgpr0_vgpr1
.LBB30_33:
	s_delay_alu instid0(SALU_CYCLE_1)
	s_and_not1_b32 vcc_lo, exec_lo, s31
	s_cbranch_vccnz .LBB30_35
; %bb.34:
	s_wait_loadcnt 0x0
	global_load_u16 v0, v[2:3], off
	s_mov_b32 s31, 0
	s_delay_alu instid0(SALU_CYCLE_1)
	v_mov_b32_e32 v1, s31
	s_wait_loadcnt 0x0
	v_and_b32_e32 v0, 0xffff, v0
.LBB30_35:
	s_mov_b32 s31, 0
.LBB30_36:
	s_delay_alu instid0(SALU_CYCLE_1)
	s_and_not1_b32 vcc_lo, exec_lo, s31
	s_cbranch_vccnz .LBB30_42
; %bb.37:
	global_load_u8 v4, v[2:3], off
	s_mov_b32 s38, 0
	s_mov_b32 s31, exec_lo
	s_wait_loadcnt 0x0
	v_cmpx_lt_i16_e32 0x7f, v4
	s_xor_b32 s31, exec_lo, s31
	s_cbranch_execz .LBB30_53
; %bb.38:
	v_cmp_ne_u16_e32 vcc_lo, 0x80, v4
	s_and_b32 s38, vcc_lo, exec_lo
	s_and_not1_saveexec_b32 s31, s31
	s_cbranch_execnz .LBB30_54
.LBB30_39:
	s_or_b32 exec_lo, exec_lo, s31
	v_mov_b64_e32 v[0:1], 0
	s_and_saveexec_b32 s31, s38
	s_cbranch_execz .LBB30_41
.LBB30_40:
	v_and_b32_e32 v0, 0xffff, v4
	s_delay_alu instid0(VALU_DEP_1) | instskip(SKIP_1) | instid1(VALU_DEP_2)
	v_and_b32_e32 v1, 7, v0
	v_bfe_u32 v7, v0, 3, 4
	v_clz_i32_u32_e32 v5, v1
	s_delay_alu instid0(VALU_DEP_2) | instskip(NEXT) | instid1(VALU_DEP_2)
	v_cmp_eq_u32_e32 vcc_lo, 0, v7
	v_min_u32_e32 v5, 32, v5
	s_delay_alu instid0(VALU_DEP_1) | instskip(NEXT) | instid1(VALU_DEP_1)
	v_subrev_nc_u32_e32 v6, 28, v5
	v_dual_lshlrev_b32 v0, v6, v0 :: v_dual_sub_nc_u32 v5, 29, v5
	s_delay_alu instid0(VALU_DEP_1) | instskip(NEXT) | instid1(VALU_DEP_2)
	v_and_b32_e32 v0, 7, v0
	v_dual_cndmask_b32 v5, v7, v5 :: v_dual_lshlrev_b32 v4, 24, v4
	s_delay_alu instid0(VALU_DEP_2) | instskip(NEXT) | instid1(VALU_DEP_2)
	v_cndmask_b32_e32 v0, v1, v0, vcc_lo
	v_and_b32_e32 v1, 0x80000000, v4
	s_delay_alu instid0(VALU_DEP_3) | instskip(NEXT) | instid1(VALU_DEP_3)
	v_lshl_add_u32 v4, v5, 23, 0x3b800000
	v_lshlrev_b32_e32 v0, 20, v0
	s_delay_alu instid0(VALU_DEP_1) | instskip(NEXT) | instid1(VALU_DEP_1)
	v_or3_b32 v0, v1, v4, v0
	v_trunc_f32_e32 v0, v0
	s_delay_alu instid0(VALU_DEP_1) | instskip(NEXT) | instid1(VALU_DEP_1)
	v_mul_f32_e64 v1, 0x2f800000, |v0|
	v_floor_f32_e32 v1, v1
	s_delay_alu instid0(VALU_DEP_1) | instskip(SKIP_2) | instid1(VALU_DEP_3)
	v_fma_f32 v4, 0xcf800000, v1, |v0|
	v_ashrrev_i32_e32 v0, 31, v0
	v_cvt_u32_f32_e32 v5, v1
	v_cvt_u32_f32_e32 v4, v4
	s_delay_alu instid0(VALU_DEP_2) | instskip(NEXT) | instid1(VALU_DEP_2)
	v_dual_mov_b32 v1, v0 :: v_dual_bitop2_b32 v5, v5, v0 bitop3:0x14
	v_xor_b32_e32 v4, v4, v0
	s_delay_alu instid0(VALU_DEP_1)
	v_sub_nc_u64_e32 v[0:1], v[4:5], v[0:1]
.LBB30_41:
	s_or_b32 exec_lo, exec_lo, s31
.LBB30_42:
	s_mov_b32 s31, -1
.LBB30_43:
	s_branch .LBB30_76
.LBB30_44:
	s_cmp_gt_i32 s1, 22
	s_cbranch_scc0 .LBB30_52
; %bb.45:
	s_cmp_lt_i32 s1, 24
	s_cbranch_scc1 .LBB30_55
; %bb.46:
	s_cmp_gt_i32 s1, 24
	s_cbranch_scc0 .LBB30_56
; %bb.47:
	global_load_u8 v4, v[2:3], off
	s_mov_b32 s38, 0
	s_mov_b32 s31, exec_lo
	s_wait_loadcnt 0x0
	v_cmpx_lt_i16_e32 0x7f, v4
	s_xor_b32 s31, exec_lo, s31
	s_cbranch_execz .LBB30_68
; %bb.48:
	v_cmp_ne_u16_e32 vcc_lo, 0x80, v4
	s_and_b32 s38, vcc_lo, exec_lo
	s_and_not1_saveexec_b32 s31, s31
	s_cbranch_execnz .LBB30_69
.LBB30_49:
	s_or_b32 exec_lo, exec_lo, s31
	v_mov_b64_e32 v[0:1], 0
	s_and_saveexec_b32 s31, s38
	s_cbranch_execz .LBB30_51
.LBB30_50:
	v_and_b32_e32 v0, 0xffff, v4
	s_delay_alu instid0(VALU_DEP_1) | instskip(SKIP_1) | instid1(VALU_DEP_2)
	v_and_b32_e32 v1, 3, v0
	v_bfe_u32 v7, v0, 2, 5
	v_clz_i32_u32_e32 v5, v1
	s_delay_alu instid0(VALU_DEP_2) | instskip(NEXT) | instid1(VALU_DEP_2)
	v_cmp_eq_u32_e32 vcc_lo, 0, v7
	v_min_u32_e32 v5, 32, v5
	s_delay_alu instid0(VALU_DEP_1) | instskip(NEXT) | instid1(VALU_DEP_1)
	v_subrev_nc_u32_e32 v6, 29, v5
	v_dual_lshlrev_b32 v0, v6, v0 :: v_dual_sub_nc_u32 v5, 30, v5
	s_delay_alu instid0(VALU_DEP_1) | instskip(NEXT) | instid1(VALU_DEP_2)
	v_and_b32_e32 v0, 3, v0
	v_dual_cndmask_b32 v5, v7, v5 :: v_dual_lshlrev_b32 v4, 24, v4
	s_delay_alu instid0(VALU_DEP_2) | instskip(NEXT) | instid1(VALU_DEP_2)
	v_cndmask_b32_e32 v0, v1, v0, vcc_lo
	v_and_b32_e32 v1, 0x80000000, v4
	s_delay_alu instid0(VALU_DEP_3) | instskip(NEXT) | instid1(VALU_DEP_3)
	v_lshl_add_u32 v4, v5, 23, 0x37800000
	v_lshlrev_b32_e32 v0, 21, v0
	s_delay_alu instid0(VALU_DEP_1) | instskip(NEXT) | instid1(VALU_DEP_1)
	v_or3_b32 v0, v1, v4, v0
	v_trunc_f32_e32 v0, v0
	s_delay_alu instid0(VALU_DEP_1) | instskip(NEXT) | instid1(VALU_DEP_1)
	v_mul_f32_e64 v1, 0x2f800000, |v0|
	v_floor_f32_e32 v1, v1
	s_delay_alu instid0(VALU_DEP_1) | instskip(SKIP_2) | instid1(VALU_DEP_3)
	v_fma_f32 v4, 0xcf800000, v1, |v0|
	v_ashrrev_i32_e32 v0, 31, v0
	v_cvt_u32_f32_e32 v5, v1
	v_cvt_u32_f32_e32 v4, v4
	s_delay_alu instid0(VALU_DEP_2) | instskip(NEXT) | instid1(VALU_DEP_2)
	v_dual_mov_b32 v1, v0 :: v_dual_bitop2_b32 v5, v5, v0 bitop3:0x14
	v_xor_b32_e32 v4, v4, v0
	s_delay_alu instid0(VALU_DEP_1)
	v_sub_nc_u64_e32 v[0:1], v[4:5], v[0:1]
.LBB30_51:
	s_or_b32 exec_lo, exec_lo, s31
	s_mov_b32 s31, 0
	s_branch .LBB30_57
.LBB30_52:
	s_mov_b32 s38, -1
                                        ; implicit-def: $vgpr0_vgpr1
	s_branch .LBB30_63
.LBB30_53:
	s_and_not1_saveexec_b32 s31, s31
	s_cbranch_execz .LBB30_39
.LBB30_54:
	v_cmp_ne_u16_e32 vcc_lo, 0, v4
	s_and_not1_b32 s38, s38, exec_lo
	s_and_b32 s39, vcc_lo, exec_lo
	s_delay_alu instid0(SALU_CYCLE_1)
	s_or_b32 s38, s38, s39
	s_or_b32 exec_lo, exec_lo, s31
	v_mov_b64_e32 v[0:1], 0
	s_and_saveexec_b32 s31, s38
	s_cbranch_execnz .LBB30_40
	s_branch .LBB30_41
.LBB30_55:
	s_mov_b32 s31, -1
                                        ; implicit-def: $vgpr0_vgpr1
	s_branch .LBB30_60
.LBB30_56:
	s_mov_b32 s31, -1
                                        ; implicit-def: $vgpr0_vgpr1
.LBB30_57:
	s_delay_alu instid0(SALU_CYCLE_1)
	s_and_b32 vcc_lo, exec_lo, s31
	s_cbranch_vccz .LBB30_59
; %bb.58:
	s_wait_loadcnt 0x0
	global_load_u8 v0, v[2:3], off
	s_wait_loadcnt 0x0
	v_lshlrev_b32_e32 v0, 24, v0
	s_delay_alu instid0(VALU_DEP_1) | instskip(NEXT) | instid1(VALU_DEP_1)
	v_and_b32_e32 v1, 0x7f000000, v0
	v_clz_i32_u32_e32 v4, v1
	v_cmp_ne_u32_e32 vcc_lo, 0, v1
	v_add_nc_u32_e32 v6, 0x1000000, v1
	s_delay_alu instid0(VALU_DEP_3) | instskip(NEXT) | instid1(VALU_DEP_1)
	v_min_u32_e32 v4, 32, v4
	v_sub_nc_u32_e64 v4, v4, 4 clamp
	s_delay_alu instid0(VALU_DEP_1) | instskip(NEXT) | instid1(VALU_DEP_1)
	v_dual_lshlrev_b32 v5, v4, v1 :: v_dual_lshlrev_b32 v4, 23, v4
	v_lshrrev_b32_e32 v5, 4, v5
	s_delay_alu instid0(VALU_DEP_1) | instskip(NEXT) | instid1(VALU_DEP_1)
	v_dual_sub_nc_u32 v4, v5, v4 :: v_dual_ashrrev_i32 v5, 8, v6
	v_add_nc_u32_e32 v4, 0x3c000000, v4
	s_delay_alu instid0(VALU_DEP_1) | instskip(NEXT) | instid1(VALU_DEP_1)
	v_and_or_b32 v4, 0x7f800000, v5, v4
	v_cndmask_b32_e32 v1, 0, v4, vcc_lo
	s_delay_alu instid0(VALU_DEP_1) | instskip(NEXT) | instid1(VALU_DEP_1)
	v_and_or_b32 v0, 0x80000000, v0, v1
	v_trunc_f32_e32 v0, v0
	s_delay_alu instid0(VALU_DEP_1) | instskip(NEXT) | instid1(VALU_DEP_1)
	v_mul_f32_e64 v1, 0x2f800000, |v0|
	v_floor_f32_e32 v1, v1
	s_delay_alu instid0(VALU_DEP_1) | instskip(SKIP_2) | instid1(VALU_DEP_3)
	v_fma_f32 v4, 0xcf800000, v1, |v0|
	v_ashrrev_i32_e32 v0, 31, v0
	v_cvt_u32_f32_e32 v5, v1
	v_cvt_u32_f32_e32 v4, v4
	s_delay_alu instid0(VALU_DEP_2) | instskip(NEXT) | instid1(VALU_DEP_2)
	v_dual_mov_b32 v1, v0 :: v_dual_bitop2_b32 v5, v5, v0 bitop3:0x14
	v_xor_b32_e32 v4, v4, v0
	s_delay_alu instid0(VALU_DEP_1)
	v_sub_nc_u64_e32 v[0:1], v[4:5], v[0:1]
.LBB30_59:
	s_mov_b32 s31, 0
.LBB30_60:
	s_delay_alu instid0(SALU_CYCLE_1)
	s_and_not1_b32 vcc_lo, exec_lo, s31
	s_cbranch_vccnz .LBB30_62
; %bb.61:
	s_wait_loadcnt 0x0
	global_load_u8 v0, v[2:3], off
	s_wait_loadcnt 0x0
	v_lshlrev_b32_e32 v1, 25, v0
	v_lshlrev_b16 v0, 8, v0
	s_delay_alu instid0(VALU_DEP_1) | instskip(SKIP_1) | instid1(VALU_DEP_2)
	v_and_or_b32 v5, 0x7f00, v0, 0.5
	v_bfe_i32 v0, v0, 0, 16
	v_add_f32_e32 v5, -0.5, v5
	v_lshrrev_b32_e32 v4, 4, v1
	v_cmp_gt_u32_e32 vcc_lo, 0x8000000, v1
	s_delay_alu instid0(VALU_DEP_2) | instskip(NEXT) | instid1(VALU_DEP_1)
	v_or_b32_e32 v4, 0x70000000, v4
	v_mul_f32_e32 v4, 0x7800000, v4
	s_delay_alu instid0(VALU_DEP_1) | instskip(NEXT) | instid1(VALU_DEP_1)
	v_cndmask_b32_e32 v1, v4, v5, vcc_lo
	v_and_or_b32 v0, 0x80000000, v0, v1
	s_delay_alu instid0(VALU_DEP_1) | instskip(NEXT) | instid1(VALU_DEP_1)
	v_trunc_f32_e32 v0, v0
	v_mul_f32_e64 v1, 0x2f800000, |v0|
	s_delay_alu instid0(VALU_DEP_1) | instskip(NEXT) | instid1(VALU_DEP_1)
	v_floor_f32_e32 v1, v1
	v_fma_f32 v4, 0xcf800000, v1, |v0|
	v_ashrrev_i32_e32 v0, 31, v0
	v_cvt_u32_f32_e32 v5, v1
	s_delay_alu instid0(VALU_DEP_3) | instskip(NEXT) | instid1(VALU_DEP_2)
	v_cvt_u32_f32_e32 v4, v4
	v_dual_mov_b32 v1, v0 :: v_dual_bitop2_b32 v5, v5, v0 bitop3:0x14
	s_delay_alu instid0(VALU_DEP_2) | instskip(NEXT) | instid1(VALU_DEP_1)
	v_xor_b32_e32 v4, v4, v0
	v_sub_nc_u64_e32 v[0:1], v[4:5], v[0:1]
.LBB30_62:
	s_mov_b32 s38, 0
	s_mov_b32 s31, -1
.LBB30_63:
	s_and_not1_b32 vcc_lo, exec_lo, s38
	s_cbranch_vccnz .LBB30_76
; %bb.64:
	s_cmp_gt_i32 s1, 14
	s_cbranch_scc0 .LBB30_67
; %bb.65:
	s_cmp_eq_u32 s1, 15
	s_cbranch_scc0 .LBB30_70
; %bb.66:
	s_wait_loadcnt 0x0
	global_load_u16 v0, v[2:3], off
	s_mov_b32 s31, -1
	s_mov_b32 s67, 0
	s_wait_loadcnt 0x0
	v_lshlrev_b32_e32 v0, 16, v0
	s_delay_alu instid0(VALU_DEP_1) | instskip(NEXT) | instid1(VALU_DEP_1)
	v_trunc_f32_e32 v0, v0
	v_mul_f32_e64 v1, 0x2f800000, |v0|
	s_delay_alu instid0(VALU_DEP_1) | instskip(NEXT) | instid1(VALU_DEP_1)
	v_floor_f32_e32 v1, v1
	v_fma_f32 v4, 0xcf800000, v1, |v0|
	v_ashrrev_i32_e32 v0, 31, v0
	v_cvt_u32_f32_e32 v5, v1
	s_delay_alu instid0(VALU_DEP_3) | instskip(NEXT) | instid1(VALU_DEP_2)
	v_cvt_u32_f32_e32 v4, v4
	v_dual_mov_b32 v1, v0 :: v_dual_bitop2_b32 v5, v5, v0 bitop3:0x14
	s_delay_alu instid0(VALU_DEP_2) | instskip(NEXT) | instid1(VALU_DEP_1)
	v_xor_b32_e32 v4, v4, v0
	v_sub_nc_u64_e32 v[0:1], v[4:5], v[0:1]
	s_branch .LBB30_71
.LBB30_67:
	s_mov_b32 s38, -1
                                        ; implicit-def: $vgpr0_vgpr1
	s_branch .LBB30_72
.LBB30_68:
	s_and_not1_saveexec_b32 s31, s31
	s_cbranch_execz .LBB30_49
.LBB30_69:
	v_cmp_ne_u16_e32 vcc_lo, 0, v4
	s_and_not1_b32 s38, s38, exec_lo
	s_and_b32 s39, vcc_lo, exec_lo
	s_delay_alu instid0(SALU_CYCLE_1)
	s_or_b32 s38, s38, s39
	s_or_b32 exec_lo, exec_lo, s31
	v_mov_b64_e32 v[0:1], 0
	s_and_saveexec_b32 s31, s38
	s_cbranch_execnz .LBB30_50
	s_branch .LBB30_51
.LBB30_70:
	s_mov_b32 s67, -1
                                        ; implicit-def: $vgpr0_vgpr1
.LBB30_71:
	s_mov_b32 s38, 0
.LBB30_72:
	s_delay_alu instid0(SALU_CYCLE_1)
	s_and_b32 vcc_lo, exec_lo, s38
	s_cbranch_vccz .LBB30_76
; %bb.73:
	s_cmp_eq_u32 s1, 11
	s_cbranch_scc0 .LBB30_75
; %bb.74:
	s_wait_loadcnt 0x0
	global_load_u8 v0, v[2:3], off
	s_mov_b32 s67, 0
	s_mov_b32 s31, -1
	v_mov_b32_e32 v1, s67
	s_wait_loadcnt 0x0
	v_cmp_ne_u16_e32 vcc_lo, 0, v0
	v_cndmask_b32_e64 v0, 0, 1, vcc_lo
	s_branch .LBB30_76
.LBB30_75:
	s_mov_b32 s67, -1
                                        ; implicit-def: $vgpr0_vgpr1
.LBB30_76:
	s_branch .LBB30_10
.LBB30_77:
	s_and_b32 s0, 0xffff, s0
	s_delay_alu instid0(SALU_CYCLE_1)
	s_cmp_lt_i32 s0, 5
	s_cbranch_scc1 .LBB30_82
; %bb.78:
	s_cmp_lt_i32 s0, 8
	s_cbranch_scc1 .LBB30_83
; %bb.79:
	;; [unrolled: 3-line block ×3, first 2 shown]
	s_cmp_gt_i32 s0, 9
	s_cbranch_scc0 .LBB30_85
; %bb.81:
	s_wait_loadcnt 0x0
	global_load_b64 v[0:1], v[2:3], off
	s_mov_b32 s1, 0
	s_wait_loadcnt 0x0
	v_trunc_f64_e32 v[0:1], v[0:1]
	s_delay_alu instid0(VALU_DEP_1) | instskip(NEXT) | instid1(VALU_DEP_1)
	v_ldexp_f64 v[4:5], v[0:1], 0xffffffe0
	v_floor_f64_e32 v[4:5], v[4:5]
	s_delay_alu instid0(VALU_DEP_1) | instskip(SKIP_1) | instid1(VALU_DEP_2)
	v_fmamk_f64 v[6:7], v[4:5], 0xc1f00000, v[0:1]
	v_cvt_i32_f64_e32 v1, v[4:5]
	v_cvt_u32_f64_e32 v0, v[6:7]
	s_branch .LBB30_86
.LBB30_82:
                                        ; implicit-def: $vgpr0_vgpr1
	s_branch .LBB30_104
.LBB30_83:
	s_mov_b32 s1, -1
                                        ; implicit-def: $vgpr0_vgpr1
	s_branch .LBB30_92
.LBB30_84:
	s_mov_b32 s1, -1
                                        ; implicit-def: $vgpr0_vgpr1
	s_branch .LBB30_89
.LBB30_85:
	s_mov_b32 s1, -1
                                        ; implicit-def: $vgpr0_vgpr1
.LBB30_86:
	s_delay_alu instid0(SALU_CYCLE_1)
	s_and_not1_b32 vcc_lo, exec_lo, s1
	s_cbranch_vccnz .LBB30_88
; %bb.87:
	s_wait_loadcnt 0x0
	global_load_b32 v0, v[2:3], off
	s_wait_loadcnt 0x0
	v_trunc_f32_e32 v0, v0
	s_delay_alu instid0(VALU_DEP_1) | instskip(NEXT) | instid1(VALU_DEP_1)
	v_mul_f32_e64 v1, 0x2f800000, |v0|
	v_floor_f32_e32 v1, v1
	s_delay_alu instid0(VALU_DEP_1) | instskip(SKIP_2) | instid1(VALU_DEP_3)
	v_fma_f32 v4, 0xcf800000, v1, |v0|
	v_ashrrev_i32_e32 v0, 31, v0
	v_cvt_u32_f32_e32 v5, v1
	v_cvt_u32_f32_e32 v4, v4
	s_delay_alu instid0(VALU_DEP_2) | instskip(NEXT) | instid1(VALU_DEP_2)
	v_dual_mov_b32 v1, v0 :: v_dual_bitop2_b32 v5, v5, v0 bitop3:0x14
	v_xor_b32_e32 v4, v4, v0
	s_delay_alu instid0(VALU_DEP_1)
	v_sub_nc_u64_e32 v[0:1], v[4:5], v[0:1]
.LBB30_88:
	s_mov_b32 s1, 0
.LBB30_89:
	s_delay_alu instid0(SALU_CYCLE_1)
	s_and_not1_b32 vcc_lo, exec_lo, s1
	s_cbranch_vccnz .LBB30_91
; %bb.90:
	s_wait_loadcnt 0x0
	global_load_b32 v0, v[2:3], off
	s_wait_loadcnt 0x0
	v_cvt_f32_f16_e32 v0, v0
	s_delay_alu instid0(VALU_DEP_1) | instskip(NEXT) | instid1(VALU_DEP_1)
	v_cvt_i32_f32_e32 v0, v0
	v_ashrrev_i32_e32 v1, 31, v0
.LBB30_91:
	s_mov_b32 s1, 0
.LBB30_92:
	s_delay_alu instid0(SALU_CYCLE_1)
	s_and_not1_b32 vcc_lo, exec_lo, s1
	s_cbranch_vccnz .LBB30_103
; %bb.93:
	s_cmp_lt_i32 s0, 6
	s_cbranch_scc1 .LBB30_96
; %bb.94:
	s_cmp_gt_i32 s0, 6
	s_cbranch_scc0 .LBB30_97
; %bb.95:
	s_wait_loadcnt 0x0
	global_load_b64 v[0:1], v[2:3], off
	s_mov_b32 s1, 0
	s_wait_loadcnt 0x0
	v_trunc_f64_e32 v[0:1], v[0:1]
	s_delay_alu instid0(VALU_DEP_1) | instskip(NEXT) | instid1(VALU_DEP_1)
	v_ldexp_f64 v[4:5], v[0:1], 0xffffffe0
	v_floor_f64_e32 v[4:5], v[4:5]
	s_delay_alu instid0(VALU_DEP_1) | instskip(SKIP_1) | instid1(VALU_DEP_2)
	v_fmamk_f64 v[6:7], v[4:5], 0xc1f00000, v[0:1]
	v_cvt_i32_f64_e32 v1, v[4:5]
	v_cvt_u32_f64_e32 v0, v[6:7]
	s_branch .LBB30_98
.LBB30_96:
	s_mov_b32 s1, -1
                                        ; implicit-def: $vgpr0_vgpr1
	s_branch .LBB30_101
.LBB30_97:
	s_mov_b32 s1, -1
                                        ; implicit-def: $vgpr0_vgpr1
.LBB30_98:
	s_delay_alu instid0(SALU_CYCLE_1)
	s_and_not1_b32 vcc_lo, exec_lo, s1
	s_cbranch_vccnz .LBB30_100
; %bb.99:
	s_wait_loadcnt 0x0
	global_load_b32 v0, v[2:3], off
	s_wait_loadcnt 0x0
	v_trunc_f32_e32 v0, v0
	s_delay_alu instid0(VALU_DEP_1) | instskip(NEXT) | instid1(VALU_DEP_1)
	v_mul_f32_e64 v1, 0x2f800000, |v0|
	v_floor_f32_e32 v1, v1
	s_delay_alu instid0(VALU_DEP_1) | instskip(SKIP_2) | instid1(VALU_DEP_3)
	v_fma_f32 v4, 0xcf800000, v1, |v0|
	v_ashrrev_i32_e32 v0, 31, v0
	v_cvt_u32_f32_e32 v5, v1
	v_cvt_u32_f32_e32 v4, v4
	s_delay_alu instid0(VALU_DEP_2) | instskip(NEXT) | instid1(VALU_DEP_2)
	v_dual_mov_b32 v1, v0 :: v_dual_bitop2_b32 v5, v5, v0 bitop3:0x14
	v_xor_b32_e32 v4, v4, v0
	s_delay_alu instid0(VALU_DEP_1)
	v_sub_nc_u64_e32 v[0:1], v[4:5], v[0:1]
.LBB30_100:
	s_mov_b32 s1, 0
.LBB30_101:
	s_delay_alu instid0(SALU_CYCLE_1)
	s_and_not1_b32 vcc_lo, exec_lo, s1
	s_cbranch_vccnz .LBB30_103
; %bb.102:
	s_wait_loadcnt 0x0
	global_load_u16 v0, v[2:3], off
	s_wait_loadcnt 0x0
	v_cvt_f32_f16_e32 v0, v0
	s_delay_alu instid0(VALU_DEP_1) | instskip(NEXT) | instid1(VALU_DEP_1)
	v_cvt_i32_f32_e32 v0, v0
	v_ashrrev_i32_e32 v1, 31, v0
.LBB30_103:
	s_cbranch_execnz .LBB30_123
.LBB30_104:
	s_cmp_lt_i32 s0, 2
	s_cbranch_scc1 .LBB30_108
; %bb.105:
	s_cmp_lt_i32 s0, 3
	s_cbranch_scc1 .LBB30_109
; %bb.106:
	s_cmp_gt_i32 s0, 3
	s_cbranch_scc0 .LBB30_110
; %bb.107:
	s_wait_loadcnt 0x0
	global_load_b64 v[0:1], v[2:3], off
	s_mov_b32 s1, 0
	s_branch .LBB30_111
.LBB30_108:
	s_mov_b32 s1, -1
                                        ; implicit-def: $vgpr0_vgpr1
	s_branch .LBB30_117
.LBB30_109:
	s_mov_b32 s1, -1
                                        ; implicit-def: $vgpr0_vgpr1
	s_branch .LBB30_114
.LBB30_110:
	s_mov_b32 s1, -1
                                        ; implicit-def: $vgpr0_vgpr1
.LBB30_111:
	s_delay_alu instid0(SALU_CYCLE_1)
	s_and_not1_b32 vcc_lo, exec_lo, s1
	s_cbranch_vccnz .LBB30_113
; %bb.112:
	s_wait_loadcnt 0x0
	global_load_b32 v0, v[2:3], off
	s_wait_loadcnt 0x0
	v_ashrrev_i32_e32 v1, 31, v0
.LBB30_113:
	s_mov_b32 s1, 0
.LBB30_114:
	s_delay_alu instid0(SALU_CYCLE_1)
	s_and_not1_b32 vcc_lo, exec_lo, s1
	s_cbranch_vccnz .LBB30_116
; %bb.115:
	s_wait_loadcnt 0x0
	global_load_u16 v0, v[2:3], off
	s_wait_loadcnt 0x0
	v_bfe_i32 v0, v0, 0, 16
	s_delay_alu instid0(VALU_DEP_1)
	v_ashrrev_i32_e32 v1, 31, v0
.LBB30_116:
	s_mov_b32 s1, 0
.LBB30_117:
	s_delay_alu instid0(SALU_CYCLE_1)
	s_and_not1_b32 vcc_lo, exec_lo, s1
	s_cbranch_vccnz .LBB30_123
; %bb.118:
	s_cmp_gt_i32 s0, 0
	s_mov_b32 s0, 0
	s_cbranch_scc0 .LBB30_120
; %bb.119:
	s_wait_loadcnt 0x0
	global_load_i8 v0, v[2:3], off
	s_wait_loadcnt 0x0
	v_bfe_i32 v0, v0, 0, 16
	s_delay_alu instid0(VALU_DEP_1)
	v_ashrrev_i32_e32 v1, 31, v0
	s_branch .LBB30_121
.LBB30_120:
	s_mov_b32 s0, -1
                                        ; implicit-def: $vgpr0_vgpr1
.LBB30_121:
	s_delay_alu instid0(SALU_CYCLE_1)
	s_and_not1_b32 vcc_lo, exec_lo, s0
	s_cbranch_vccnz .LBB30_123
; %bb.122:
	s_wait_loadcnt 0x0
	global_load_u8 v0, v[2:3], off
	s_mov_b32 s0, 0
	s_delay_alu instid0(SALU_CYCLE_1)
	v_mov_b32_e32 v1, s0
	s_wait_loadcnt 0x0
	v_and_b32_e32 v0, 0xffff, v0
.LBB30_123:
.LBB30_124:
	s_wait_xcnt 0x0
	v_mul_lo_u32 v2, s25, v26
	s_and_b32 s0, s55, 0xff
	s_delay_alu instid0(SALU_CYCLE_1) | instskip(NEXT) | instid1(VALU_DEP_1)
	s_cmp_lt_i32 s0, 11
	v_ashrrev_i32_e32 v3, 31, v2
	s_delay_alu instid0(VALU_DEP_1)
	v_add_nc_u64_e32 v[4:5], s[14:15], v[2:3]
	s_cbranch_scc1 .LBB30_131
; %bb.125:
	s_and_b32 s1, 0xffff, s0
	s_delay_alu instid0(SALU_CYCLE_1)
	s_cmp_gt_i32 s1, 25
	s_cbranch_scc0 .LBB30_133
; %bb.126:
	s_cmp_gt_i32 s1, 28
	s_cbranch_scc0 .LBB30_134
; %bb.127:
	;; [unrolled: 3-line block ×4, first 2 shown]
	s_cmp_eq_u32 s1, 46
	s_mov_b32 s38, 0
	s_cbranch_scc0 .LBB30_137
; %bb.130:
	global_load_b32 v2, v[4:5], off
	s_mov_b32 s31, -1
	s_wait_loadcnt 0x0
	v_lshlrev_b32_e32 v2, 16, v2
	s_delay_alu instid0(VALU_DEP_1) | instskip(NEXT) | instid1(VALU_DEP_1)
	v_trunc_f32_e32 v2, v2
	v_mul_f32_e64 v3, 0x2f800000, |v2|
	s_delay_alu instid0(VALU_DEP_1) | instskip(NEXT) | instid1(VALU_DEP_1)
	v_floor_f32_e32 v3, v3
	v_fma_f32 v6, 0xcf800000, v3, |v2|
	v_ashrrev_i32_e32 v2, 31, v2
	v_cvt_u32_f32_e32 v7, v3
	s_delay_alu instid0(VALU_DEP_3) | instskip(NEXT) | instid1(VALU_DEP_2)
	v_cvt_u32_f32_e32 v6, v6
	v_dual_mov_b32 v3, v2 :: v_dual_bitop2_b32 v7, v7, v2 bitop3:0x14
	s_delay_alu instid0(VALU_DEP_2) | instskip(NEXT) | instid1(VALU_DEP_1)
	v_xor_b32_e32 v6, v6, v2
	v_sub_nc_u64_e32 v[2:3], v[6:7], v[2:3]
	s_branch .LBB30_139
.LBB30_131:
	s_mov_b32 s31, 0
                                        ; implicit-def: $vgpr2_vgpr3
	s_cbranch_execnz .LBB30_200
.LBB30_132:
	s_and_not1_b32 vcc_lo, exec_lo, s31
	s_cbranch_vccnz .LBB30_628
	s_branch .LBB30_248
.LBB30_133:
	s_mov_b32 s38, -1
	s_mov_b32 s31, 0
                                        ; implicit-def: $vgpr2_vgpr3
	s_branch .LBB30_166
.LBB30_134:
	s_mov_b32 s38, -1
	s_mov_b32 s31, 0
                                        ; implicit-def: $vgpr2_vgpr3
	s_branch .LBB30_149
.LBB30_135:
	s_mov_b32 s38, -1
	s_mov_b32 s31, 0
                                        ; implicit-def: $vgpr2_vgpr3
	s_branch .LBB30_144
.LBB30_136:
	s_mov_b32 s38, -1
	s_branch .LBB30_138
.LBB30_137:
	s_mov_b32 s66, -1
.LBB30_138:
	s_mov_b32 s31, 0
                                        ; implicit-def: $vgpr2_vgpr3
.LBB30_139:
	s_and_b32 vcc_lo, exec_lo, s38
	s_cbranch_vccz .LBB30_143
; %bb.140:
	s_cmp_eq_u32 s1, 44
	s_cbranch_scc0 .LBB30_142
; %bb.141:
	global_load_u8 v8, v[4:5], off
	s_mov_b32 s66, 0
	s_mov_b32 s31, -1
	s_wait_loadcnt 0x0
	v_cmp_ne_u32_e32 vcc_lo, 0, v8
	v_lshlrev_b32_e32 v2, 23, v8
	s_delay_alu instid0(VALU_DEP_1) | instskip(NEXT) | instid1(VALU_DEP_1)
	v_trunc_f32_e32 v2, v2
	v_mul_f32_e64 v3, 0x2f800000, |v2|
	s_delay_alu instid0(VALU_DEP_1) | instskip(NEXT) | instid1(VALU_DEP_1)
	v_floor_f32_e32 v3, v3
	v_fma_f32 v6, 0xcf800000, v3, |v2|
	v_ashrrev_i32_e32 v2, 31, v2
	v_cvt_u32_f32_e32 v7, v3
	s_delay_alu instid0(VALU_DEP_3) | instskip(NEXT) | instid1(VALU_DEP_2)
	v_cvt_u32_f32_e32 v6, v6
	v_dual_mov_b32 v3, v2 :: v_dual_bitop2_b32 v7, v7, v2 bitop3:0x14
	s_delay_alu instid0(VALU_DEP_2) | instskip(NEXT) | instid1(VALU_DEP_1)
	v_xor_b32_e32 v6, v6, v2
	v_sub_nc_u64_e32 v[2:3], v[6:7], v[2:3]
	s_delay_alu instid0(VALU_DEP_1)
	v_dual_cndmask_b32 v3, 0, v3 :: v_dual_cndmask_b32 v2, 0, v2
	s_branch .LBB30_143
.LBB30_142:
	s_mov_b32 s66, -1
                                        ; implicit-def: $vgpr2_vgpr3
.LBB30_143:
	s_mov_b32 s38, 0
.LBB30_144:
	s_delay_alu instid0(SALU_CYCLE_1)
	s_and_b32 vcc_lo, exec_lo, s38
	s_cbranch_vccz .LBB30_148
; %bb.145:
	s_cmp_eq_u32 s1, 29
	s_cbranch_scc0 .LBB30_147
; %bb.146:
	global_load_b64 v[2:3], v[4:5], off
	s_mov_b32 s31, -1
	s_mov_b32 s66, 0
	s_branch .LBB30_148
.LBB30_147:
	s_mov_b32 s66, -1
                                        ; implicit-def: $vgpr2_vgpr3
.LBB30_148:
	s_mov_b32 s38, 0
.LBB30_149:
	s_delay_alu instid0(SALU_CYCLE_1)
	s_and_b32 vcc_lo, exec_lo, s38
	s_cbranch_vccz .LBB30_165
; %bb.150:
	s_cmp_lt_i32 s1, 27
	s_cbranch_scc1 .LBB30_153
; %bb.151:
	s_cmp_gt_i32 s1, 27
	s_cbranch_scc0 .LBB30_154
; %bb.152:
	s_wait_loadcnt 0x0
	global_load_b32 v2, v[4:5], off
	v_mov_b32_e32 v3, 0
	s_mov_b32 s31, 0
	s_branch .LBB30_155
.LBB30_153:
	s_mov_b32 s31, -1
                                        ; implicit-def: $vgpr2_vgpr3
	s_branch .LBB30_158
.LBB30_154:
	s_mov_b32 s31, -1
                                        ; implicit-def: $vgpr2_vgpr3
.LBB30_155:
	s_delay_alu instid0(SALU_CYCLE_1)
	s_and_not1_b32 vcc_lo, exec_lo, s31
	s_cbranch_vccnz .LBB30_157
; %bb.156:
	s_wait_loadcnt 0x0
	global_load_u16 v2, v[4:5], off
	s_mov_b32 s31, 0
	s_delay_alu instid0(SALU_CYCLE_1)
	v_mov_b32_e32 v3, s31
	s_wait_loadcnt 0x0
	v_and_b32_e32 v2, 0xffff, v2
.LBB30_157:
	s_mov_b32 s31, 0
.LBB30_158:
	s_delay_alu instid0(SALU_CYCLE_1)
	s_and_not1_b32 vcc_lo, exec_lo, s31
	s_cbranch_vccnz .LBB30_164
; %bb.159:
	global_load_u8 v6, v[4:5], off
	s_mov_b32 s38, 0
	s_mov_b32 s31, exec_lo
	s_wait_loadcnt 0x0
	v_cmpx_lt_i16_e32 0x7f, v6
	s_xor_b32 s31, exec_lo, s31
	s_cbranch_execz .LBB30_176
; %bb.160:
	v_cmp_ne_u16_e32 vcc_lo, 0x80, v6
	s_and_b32 s38, vcc_lo, exec_lo
	s_and_not1_saveexec_b32 s31, s31
	s_cbranch_execnz .LBB30_177
.LBB30_161:
	s_or_b32 exec_lo, exec_lo, s31
	v_mov_b64_e32 v[2:3], 0
	s_and_saveexec_b32 s31, s38
	s_cbranch_execz .LBB30_163
.LBB30_162:
	v_and_b32_e32 v2, 0xffff, v6
	s_delay_alu instid0(VALU_DEP_1) | instskip(SKIP_1) | instid1(VALU_DEP_2)
	v_and_b32_e32 v3, 7, v2
	v_bfe_u32 v9, v2, 3, 4
	v_clz_i32_u32_e32 v7, v3
	s_delay_alu instid0(VALU_DEP_2) | instskip(NEXT) | instid1(VALU_DEP_2)
	v_cmp_eq_u32_e32 vcc_lo, 0, v9
	v_min_u32_e32 v7, 32, v7
	s_delay_alu instid0(VALU_DEP_1) | instskip(NEXT) | instid1(VALU_DEP_1)
	v_subrev_nc_u32_e32 v8, 28, v7
	v_dual_lshlrev_b32 v2, v8, v2 :: v_dual_sub_nc_u32 v7, 29, v7
	s_delay_alu instid0(VALU_DEP_1) | instskip(NEXT) | instid1(VALU_DEP_2)
	v_and_b32_e32 v2, 7, v2
	v_dual_cndmask_b32 v7, v9, v7 :: v_dual_lshlrev_b32 v6, 24, v6
	s_delay_alu instid0(VALU_DEP_2) | instskip(NEXT) | instid1(VALU_DEP_2)
	v_cndmask_b32_e32 v2, v3, v2, vcc_lo
	v_and_b32_e32 v3, 0x80000000, v6
	s_delay_alu instid0(VALU_DEP_3) | instskip(NEXT) | instid1(VALU_DEP_3)
	v_lshl_add_u32 v6, v7, 23, 0x3b800000
	v_lshlrev_b32_e32 v2, 20, v2
	s_delay_alu instid0(VALU_DEP_1) | instskip(NEXT) | instid1(VALU_DEP_1)
	v_or3_b32 v2, v3, v6, v2
	v_trunc_f32_e32 v2, v2
	s_delay_alu instid0(VALU_DEP_1) | instskip(NEXT) | instid1(VALU_DEP_1)
	v_mul_f32_e64 v3, 0x2f800000, |v2|
	v_floor_f32_e32 v3, v3
	s_delay_alu instid0(VALU_DEP_1) | instskip(SKIP_2) | instid1(VALU_DEP_3)
	v_fma_f32 v6, 0xcf800000, v3, |v2|
	v_ashrrev_i32_e32 v2, 31, v2
	v_cvt_u32_f32_e32 v7, v3
	v_cvt_u32_f32_e32 v6, v6
	s_delay_alu instid0(VALU_DEP_2) | instskip(NEXT) | instid1(VALU_DEP_2)
	v_dual_mov_b32 v3, v2 :: v_dual_bitop2_b32 v7, v7, v2 bitop3:0x14
	v_xor_b32_e32 v6, v6, v2
	s_delay_alu instid0(VALU_DEP_1)
	v_sub_nc_u64_e32 v[2:3], v[6:7], v[2:3]
.LBB30_163:
	s_or_b32 exec_lo, exec_lo, s31
.LBB30_164:
	s_mov_b32 s31, -1
.LBB30_165:
	s_mov_b32 s38, 0
.LBB30_166:
	s_delay_alu instid0(SALU_CYCLE_1)
	s_and_b32 vcc_lo, exec_lo, s38
	s_cbranch_vccz .LBB30_199
; %bb.167:
	s_cmp_gt_i32 s1, 22
	s_cbranch_scc0 .LBB30_175
; %bb.168:
	s_cmp_lt_i32 s1, 24
	s_cbranch_scc1 .LBB30_178
; %bb.169:
	s_cmp_gt_i32 s1, 24
	s_cbranch_scc0 .LBB30_179
; %bb.170:
	global_load_u8 v6, v[4:5], off
	s_mov_b32 s38, 0
	s_mov_b32 s31, exec_lo
	s_wait_loadcnt 0x0
	v_cmpx_lt_i16_e32 0x7f, v6
	s_xor_b32 s31, exec_lo, s31
	s_cbranch_execz .LBB30_191
; %bb.171:
	v_cmp_ne_u16_e32 vcc_lo, 0x80, v6
	s_and_b32 s38, vcc_lo, exec_lo
	s_and_not1_saveexec_b32 s31, s31
	s_cbranch_execnz .LBB30_192
.LBB30_172:
	s_or_b32 exec_lo, exec_lo, s31
	v_mov_b64_e32 v[2:3], 0
	s_and_saveexec_b32 s31, s38
	s_cbranch_execz .LBB30_174
.LBB30_173:
	v_and_b32_e32 v2, 0xffff, v6
	s_delay_alu instid0(VALU_DEP_1) | instskip(SKIP_1) | instid1(VALU_DEP_2)
	v_and_b32_e32 v3, 3, v2
	v_bfe_u32 v9, v2, 2, 5
	v_clz_i32_u32_e32 v7, v3
	s_delay_alu instid0(VALU_DEP_2) | instskip(NEXT) | instid1(VALU_DEP_2)
	v_cmp_eq_u32_e32 vcc_lo, 0, v9
	v_min_u32_e32 v7, 32, v7
	s_delay_alu instid0(VALU_DEP_1) | instskip(NEXT) | instid1(VALU_DEP_1)
	v_subrev_nc_u32_e32 v8, 29, v7
	v_dual_lshlrev_b32 v2, v8, v2 :: v_dual_sub_nc_u32 v7, 30, v7
	s_delay_alu instid0(VALU_DEP_1) | instskip(NEXT) | instid1(VALU_DEP_2)
	v_and_b32_e32 v2, 3, v2
	v_dual_cndmask_b32 v7, v9, v7 :: v_dual_lshlrev_b32 v6, 24, v6
	s_delay_alu instid0(VALU_DEP_2) | instskip(NEXT) | instid1(VALU_DEP_2)
	v_cndmask_b32_e32 v2, v3, v2, vcc_lo
	v_and_b32_e32 v3, 0x80000000, v6
	s_delay_alu instid0(VALU_DEP_3) | instskip(NEXT) | instid1(VALU_DEP_3)
	v_lshl_add_u32 v6, v7, 23, 0x37800000
	v_lshlrev_b32_e32 v2, 21, v2
	s_delay_alu instid0(VALU_DEP_1) | instskip(NEXT) | instid1(VALU_DEP_1)
	v_or3_b32 v2, v3, v6, v2
	v_trunc_f32_e32 v2, v2
	s_delay_alu instid0(VALU_DEP_1) | instskip(NEXT) | instid1(VALU_DEP_1)
	v_mul_f32_e64 v3, 0x2f800000, |v2|
	v_floor_f32_e32 v3, v3
	s_delay_alu instid0(VALU_DEP_1) | instskip(SKIP_2) | instid1(VALU_DEP_3)
	v_fma_f32 v6, 0xcf800000, v3, |v2|
	v_ashrrev_i32_e32 v2, 31, v2
	v_cvt_u32_f32_e32 v7, v3
	v_cvt_u32_f32_e32 v6, v6
	s_delay_alu instid0(VALU_DEP_2) | instskip(NEXT) | instid1(VALU_DEP_2)
	v_dual_mov_b32 v3, v2 :: v_dual_bitop2_b32 v7, v7, v2 bitop3:0x14
	v_xor_b32_e32 v6, v6, v2
	s_delay_alu instid0(VALU_DEP_1)
	v_sub_nc_u64_e32 v[2:3], v[6:7], v[2:3]
.LBB30_174:
	s_or_b32 exec_lo, exec_lo, s31
	s_mov_b32 s31, 0
	s_branch .LBB30_180
.LBB30_175:
	s_mov_b32 s38, -1
                                        ; implicit-def: $vgpr2_vgpr3
	s_branch .LBB30_186
.LBB30_176:
	s_and_not1_saveexec_b32 s31, s31
	s_cbranch_execz .LBB30_161
.LBB30_177:
	v_cmp_ne_u16_e32 vcc_lo, 0, v6
	s_and_not1_b32 s38, s38, exec_lo
	s_and_b32 s39, vcc_lo, exec_lo
	s_delay_alu instid0(SALU_CYCLE_1)
	s_or_b32 s38, s38, s39
	s_or_b32 exec_lo, exec_lo, s31
	v_mov_b64_e32 v[2:3], 0
	s_and_saveexec_b32 s31, s38
	s_cbranch_execnz .LBB30_162
	s_branch .LBB30_163
.LBB30_178:
	s_mov_b32 s31, -1
                                        ; implicit-def: $vgpr2_vgpr3
	s_branch .LBB30_183
.LBB30_179:
	s_mov_b32 s31, -1
                                        ; implicit-def: $vgpr2_vgpr3
.LBB30_180:
	s_delay_alu instid0(SALU_CYCLE_1)
	s_and_b32 vcc_lo, exec_lo, s31
	s_cbranch_vccz .LBB30_182
; %bb.181:
	s_wait_loadcnt 0x0
	global_load_u8 v2, v[4:5], off
	s_wait_loadcnt 0x0
	v_lshlrev_b32_e32 v2, 24, v2
	s_delay_alu instid0(VALU_DEP_1) | instskip(NEXT) | instid1(VALU_DEP_1)
	v_and_b32_e32 v3, 0x7f000000, v2
	v_clz_i32_u32_e32 v6, v3
	v_cmp_ne_u32_e32 vcc_lo, 0, v3
	v_add_nc_u32_e32 v8, 0x1000000, v3
	s_delay_alu instid0(VALU_DEP_3) | instskip(NEXT) | instid1(VALU_DEP_1)
	v_min_u32_e32 v6, 32, v6
	v_sub_nc_u32_e64 v6, v6, 4 clamp
	s_delay_alu instid0(VALU_DEP_1) | instskip(NEXT) | instid1(VALU_DEP_1)
	v_dual_lshlrev_b32 v7, v6, v3 :: v_dual_lshlrev_b32 v6, 23, v6
	v_lshrrev_b32_e32 v7, 4, v7
	s_delay_alu instid0(VALU_DEP_1) | instskip(NEXT) | instid1(VALU_DEP_1)
	v_dual_sub_nc_u32 v6, v7, v6 :: v_dual_ashrrev_i32 v7, 8, v8
	v_add_nc_u32_e32 v6, 0x3c000000, v6
	s_delay_alu instid0(VALU_DEP_1) | instskip(NEXT) | instid1(VALU_DEP_1)
	v_and_or_b32 v6, 0x7f800000, v7, v6
	v_cndmask_b32_e32 v3, 0, v6, vcc_lo
	s_delay_alu instid0(VALU_DEP_1) | instskip(NEXT) | instid1(VALU_DEP_1)
	v_and_or_b32 v2, 0x80000000, v2, v3
	v_trunc_f32_e32 v2, v2
	s_delay_alu instid0(VALU_DEP_1) | instskip(NEXT) | instid1(VALU_DEP_1)
	v_mul_f32_e64 v3, 0x2f800000, |v2|
	v_floor_f32_e32 v3, v3
	s_delay_alu instid0(VALU_DEP_1) | instskip(SKIP_2) | instid1(VALU_DEP_3)
	v_fma_f32 v6, 0xcf800000, v3, |v2|
	v_ashrrev_i32_e32 v2, 31, v2
	v_cvt_u32_f32_e32 v7, v3
	v_cvt_u32_f32_e32 v6, v6
	s_delay_alu instid0(VALU_DEP_2) | instskip(NEXT) | instid1(VALU_DEP_2)
	v_dual_mov_b32 v3, v2 :: v_dual_bitop2_b32 v7, v7, v2 bitop3:0x14
	v_xor_b32_e32 v6, v6, v2
	s_delay_alu instid0(VALU_DEP_1)
	v_sub_nc_u64_e32 v[2:3], v[6:7], v[2:3]
.LBB30_182:
	s_mov_b32 s31, 0
.LBB30_183:
	s_delay_alu instid0(SALU_CYCLE_1)
	s_and_not1_b32 vcc_lo, exec_lo, s31
	s_cbranch_vccnz .LBB30_185
; %bb.184:
	s_wait_loadcnt 0x0
	global_load_u8 v2, v[4:5], off
	s_wait_loadcnt 0x0
	v_lshlrev_b32_e32 v3, 25, v2
	v_lshlrev_b16 v2, 8, v2
	s_delay_alu instid0(VALU_DEP_1) | instskip(SKIP_1) | instid1(VALU_DEP_2)
	v_and_or_b32 v7, 0x7f00, v2, 0.5
	v_bfe_i32 v2, v2, 0, 16
	v_add_f32_e32 v7, -0.5, v7
	v_lshrrev_b32_e32 v6, 4, v3
	v_cmp_gt_u32_e32 vcc_lo, 0x8000000, v3
	s_delay_alu instid0(VALU_DEP_2) | instskip(NEXT) | instid1(VALU_DEP_1)
	v_or_b32_e32 v6, 0x70000000, v6
	v_mul_f32_e32 v6, 0x7800000, v6
	s_delay_alu instid0(VALU_DEP_1) | instskip(NEXT) | instid1(VALU_DEP_1)
	v_cndmask_b32_e32 v3, v6, v7, vcc_lo
	v_and_or_b32 v2, 0x80000000, v2, v3
	s_delay_alu instid0(VALU_DEP_1) | instskip(NEXT) | instid1(VALU_DEP_1)
	v_trunc_f32_e32 v2, v2
	v_mul_f32_e64 v3, 0x2f800000, |v2|
	s_delay_alu instid0(VALU_DEP_1) | instskip(NEXT) | instid1(VALU_DEP_1)
	v_floor_f32_e32 v3, v3
	v_fma_f32 v6, 0xcf800000, v3, |v2|
	v_ashrrev_i32_e32 v2, 31, v2
	v_cvt_u32_f32_e32 v7, v3
	s_delay_alu instid0(VALU_DEP_3) | instskip(NEXT) | instid1(VALU_DEP_2)
	v_cvt_u32_f32_e32 v6, v6
	v_dual_mov_b32 v3, v2 :: v_dual_bitop2_b32 v7, v7, v2 bitop3:0x14
	s_delay_alu instid0(VALU_DEP_2) | instskip(NEXT) | instid1(VALU_DEP_1)
	v_xor_b32_e32 v6, v6, v2
	v_sub_nc_u64_e32 v[2:3], v[6:7], v[2:3]
.LBB30_185:
	s_mov_b32 s38, 0
	s_mov_b32 s31, -1
.LBB30_186:
	s_and_not1_b32 vcc_lo, exec_lo, s38
	s_cbranch_vccnz .LBB30_199
; %bb.187:
	s_cmp_gt_i32 s1, 14
	s_cbranch_scc0 .LBB30_190
; %bb.188:
	s_cmp_eq_u32 s1, 15
	s_cbranch_scc0 .LBB30_193
; %bb.189:
	s_wait_loadcnt 0x0
	global_load_u16 v2, v[4:5], off
	s_mov_b32 s31, -1
	s_mov_b32 s66, 0
	s_wait_loadcnt 0x0
	v_lshlrev_b32_e32 v2, 16, v2
	s_delay_alu instid0(VALU_DEP_1) | instskip(NEXT) | instid1(VALU_DEP_1)
	v_trunc_f32_e32 v2, v2
	v_mul_f32_e64 v3, 0x2f800000, |v2|
	s_delay_alu instid0(VALU_DEP_1) | instskip(NEXT) | instid1(VALU_DEP_1)
	v_floor_f32_e32 v3, v3
	v_fma_f32 v6, 0xcf800000, v3, |v2|
	v_ashrrev_i32_e32 v2, 31, v2
	v_cvt_u32_f32_e32 v7, v3
	s_delay_alu instid0(VALU_DEP_3) | instskip(NEXT) | instid1(VALU_DEP_2)
	v_cvt_u32_f32_e32 v6, v6
	v_dual_mov_b32 v3, v2 :: v_dual_bitop2_b32 v7, v7, v2 bitop3:0x14
	s_delay_alu instid0(VALU_DEP_2) | instskip(NEXT) | instid1(VALU_DEP_1)
	v_xor_b32_e32 v6, v6, v2
	v_sub_nc_u64_e32 v[2:3], v[6:7], v[2:3]
	s_branch .LBB30_194
.LBB30_190:
	s_mov_b32 s38, -1
                                        ; implicit-def: $vgpr2_vgpr3
	s_branch .LBB30_195
.LBB30_191:
	s_and_not1_saveexec_b32 s31, s31
	s_cbranch_execz .LBB30_172
.LBB30_192:
	v_cmp_ne_u16_e32 vcc_lo, 0, v6
	s_and_not1_b32 s38, s38, exec_lo
	s_and_b32 s39, vcc_lo, exec_lo
	s_delay_alu instid0(SALU_CYCLE_1)
	s_or_b32 s38, s38, s39
	s_or_b32 exec_lo, exec_lo, s31
	v_mov_b64_e32 v[2:3], 0
	s_and_saveexec_b32 s31, s38
	s_cbranch_execnz .LBB30_173
	s_branch .LBB30_174
.LBB30_193:
	s_mov_b32 s66, -1
                                        ; implicit-def: $vgpr2_vgpr3
.LBB30_194:
	s_mov_b32 s38, 0
.LBB30_195:
	s_delay_alu instid0(SALU_CYCLE_1)
	s_and_b32 vcc_lo, exec_lo, s38
	s_cbranch_vccz .LBB30_199
; %bb.196:
	s_cmp_eq_u32 s1, 11
	s_cbranch_scc0 .LBB30_198
; %bb.197:
	s_wait_loadcnt 0x0
	global_load_u8 v2, v[4:5], off
	s_mov_b32 s66, 0
	s_mov_b32 s31, -1
	v_mov_b32_e32 v3, s66
	s_wait_loadcnt 0x0
	v_cmp_ne_u16_e32 vcc_lo, 0, v2
	v_cndmask_b32_e64 v2, 0, 1, vcc_lo
	s_branch .LBB30_199
.LBB30_198:
	s_mov_b32 s66, -1
                                        ; implicit-def: $vgpr2_vgpr3
.LBB30_199:
	s_branch .LBB30_132
.LBB30_200:
	s_and_b32 s0, 0xffff, s0
	s_delay_alu instid0(SALU_CYCLE_1)
	s_cmp_lt_i32 s0, 5
	s_cbranch_scc1 .LBB30_205
; %bb.201:
	s_cmp_lt_i32 s0, 8
	s_cbranch_scc1 .LBB30_206
; %bb.202:
	;; [unrolled: 3-line block ×3, first 2 shown]
	s_cmp_gt_i32 s0, 9
	s_cbranch_scc0 .LBB30_208
; %bb.204:
	s_wait_loadcnt 0x0
	global_load_b64 v[2:3], v[4:5], off
	s_mov_b32 s1, 0
	s_wait_loadcnt 0x0
	v_trunc_f64_e32 v[2:3], v[2:3]
	s_delay_alu instid0(VALU_DEP_1) | instskip(NEXT) | instid1(VALU_DEP_1)
	v_ldexp_f64 v[6:7], v[2:3], 0xffffffe0
	v_floor_f64_e32 v[6:7], v[6:7]
	s_delay_alu instid0(VALU_DEP_1) | instskip(SKIP_1) | instid1(VALU_DEP_2)
	v_fmamk_f64 v[8:9], v[6:7], 0xc1f00000, v[2:3]
	v_cvt_i32_f64_e32 v3, v[6:7]
	v_cvt_u32_f64_e32 v2, v[8:9]
	s_branch .LBB30_209
.LBB30_205:
	s_mov_b32 s1, -1
                                        ; implicit-def: $vgpr2_vgpr3
	s_branch .LBB30_227
.LBB30_206:
	s_mov_b32 s1, -1
                                        ; implicit-def: $vgpr2_vgpr3
	s_branch .LBB30_215
.LBB30_207:
	s_mov_b32 s1, -1
                                        ; implicit-def: $vgpr2_vgpr3
	s_branch .LBB30_212
.LBB30_208:
	s_mov_b32 s1, -1
                                        ; implicit-def: $vgpr2_vgpr3
.LBB30_209:
	s_delay_alu instid0(SALU_CYCLE_1)
	s_and_not1_b32 vcc_lo, exec_lo, s1
	s_cbranch_vccnz .LBB30_211
; %bb.210:
	s_wait_loadcnt 0x0
	global_load_b32 v2, v[4:5], off
	s_wait_loadcnt 0x0
	v_trunc_f32_e32 v2, v2
	s_delay_alu instid0(VALU_DEP_1) | instskip(NEXT) | instid1(VALU_DEP_1)
	v_mul_f32_e64 v3, 0x2f800000, |v2|
	v_floor_f32_e32 v3, v3
	s_delay_alu instid0(VALU_DEP_1) | instskip(SKIP_2) | instid1(VALU_DEP_3)
	v_fma_f32 v6, 0xcf800000, v3, |v2|
	v_ashrrev_i32_e32 v2, 31, v2
	v_cvt_u32_f32_e32 v7, v3
	v_cvt_u32_f32_e32 v6, v6
	s_delay_alu instid0(VALU_DEP_2) | instskip(NEXT) | instid1(VALU_DEP_2)
	v_dual_mov_b32 v3, v2 :: v_dual_bitop2_b32 v7, v7, v2 bitop3:0x14
	v_xor_b32_e32 v6, v6, v2
	s_delay_alu instid0(VALU_DEP_1)
	v_sub_nc_u64_e32 v[2:3], v[6:7], v[2:3]
.LBB30_211:
	s_mov_b32 s1, 0
.LBB30_212:
	s_delay_alu instid0(SALU_CYCLE_1)
	s_and_not1_b32 vcc_lo, exec_lo, s1
	s_cbranch_vccnz .LBB30_214
; %bb.213:
	s_wait_loadcnt 0x0
	global_load_b32 v2, v[4:5], off
	s_wait_loadcnt 0x0
	v_cvt_f32_f16_e32 v2, v2
	s_delay_alu instid0(VALU_DEP_1) | instskip(NEXT) | instid1(VALU_DEP_1)
	v_cvt_i32_f32_e32 v2, v2
	v_ashrrev_i32_e32 v3, 31, v2
.LBB30_214:
	s_mov_b32 s1, 0
.LBB30_215:
	s_delay_alu instid0(SALU_CYCLE_1)
	s_and_not1_b32 vcc_lo, exec_lo, s1
	s_cbranch_vccnz .LBB30_226
; %bb.216:
	s_cmp_lt_i32 s0, 6
	s_cbranch_scc1 .LBB30_219
; %bb.217:
	s_cmp_gt_i32 s0, 6
	s_cbranch_scc0 .LBB30_220
; %bb.218:
	s_wait_loadcnt 0x0
	global_load_b64 v[2:3], v[4:5], off
	s_mov_b32 s1, 0
	s_wait_loadcnt 0x0
	v_trunc_f64_e32 v[2:3], v[2:3]
	s_delay_alu instid0(VALU_DEP_1) | instskip(NEXT) | instid1(VALU_DEP_1)
	v_ldexp_f64 v[6:7], v[2:3], 0xffffffe0
	v_floor_f64_e32 v[6:7], v[6:7]
	s_delay_alu instid0(VALU_DEP_1) | instskip(SKIP_1) | instid1(VALU_DEP_2)
	v_fmamk_f64 v[8:9], v[6:7], 0xc1f00000, v[2:3]
	v_cvt_i32_f64_e32 v3, v[6:7]
	v_cvt_u32_f64_e32 v2, v[8:9]
	s_branch .LBB30_221
.LBB30_219:
	s_mov_b32 s1, -1
                                        ; implicit-def: $vgpr2_vgpr3
	s_branch .LBB30_224
.LBB30_220:
	s_mov_b32 s1, -1
                                        ; implicit-def: $vgpr2_vgpr3
.LBB30_221:
	s_delay_alu instid0(SALU_CYCLE_1)
	s_and_not1_b32 vcc_lo, exec_lo, s1
	s_cbranch_vccnz .LBB30_223
; %bb.222:
	s_wait_loadcnt 0x0
	global_load_b32 v2, v[4:5], off
	s_wait_loadcnt 0x0
	v_trunc_f32_e32 v2, v2
	s_delay_alu instid0(VALU_DEP_1) | instskip(NEXT) | instid1(VALU_DEP_1)
	v_mul_f32_e64 v3, 0x2f800000, |v2|
	v_floor_f32_e32 v3, v3
	s_delay_alu instid0(VALU_DEP_1) | instskip(SKIP_2) | instid1(VALU_DEP_3)
	v_fma_f32 v6, 0xcf800000, v3, |v2|
	v_ashrrev_i32_e32 v2, 31, v2
	v_cvt_u32_f32_e32 v7, v3
	v_cvt_u32_f32_e32 v6, v6
	s_delay_alu instid0(VALU_DEP_2) | instskip(NEXT) | instid1(VALU_DEP_2)
	v_dual_mov_b32 v3, v2 :: v_dual_bitop2_b32 v7, v7, v2 bitop3:0x14
	v_xor_b32_e32 v6, v6, v2
	s_delay_alu instid0(VALU_DEP_1)
	v_sub_nc_u64_e32 v[2:3], v[6:7], v[2:3]
.LBB30_223:
	s_mov_b32 s1, 0
.LBB30_224:
	s_delay_alu instid0(SALU_CYCLE_1)
	s_and_not1_b32 vcc_lo, exec_lo, s1
	s_cbranch_vccnz .LBB30_226
; %bb.225:
	s_wait_loadcnt 0x0
	global_load_u16 v2, v[4:5], off
	s_wait_loadcnt 0x0
	v_cvt_f32_f16_e32 v2, v2
	s_delay_alu instid0(VALU_DEP_1) | instskip(NEXT) | instid1(VALU_DEP_1)
	v_cvt_i32_f32_e32 v2, v2
	v_ashrrev_i32_e32 v3, 31, v2
.LBB30_226:
	s_mov_b32 s1, 0
.LBB30_227:
	s_delay_alu instid0(SALU_CYCLE_1)
	s_and_not1_b32 vcc_lo, exec_lo, s1
	s_cbranch_vccnz .LBB30_247
; %bb.228:
	s_cmp_lt_i32 s0, 2
	s_cbranch_scc1 .LBB30_232
; %bb.229:
	s_cmp_lt_i32 s0, 3
	s_cbranch_scc1 .LBB30_233
; %bb.230:
	s_cmp_gt_i32 s0, 3
	s_cbranch_scc0 .LBB30_234
; %bb.231:
	s_wait_loadcnt 0x0
	global_load_b64 v[2:3], v[4:5], off
	s_mov_b32 s1, 0
	s_branch .LBB30_235
.LBB30_232:
	s_mov_b32 s1, -1
                                        ; implicit-def: $vgpr2_vgpr3
	s_branch .LBB30_241
.LBB30_233:
	s_mov_b32 s1, -1
                                        ; implicit-def: $vgpr2_vgpr3
	s_branch .LBB30_238
.LBB30_234:
	s_mov_b32 s1, -1
                                        ; implicit-def: $vgpr2_vgpr3
.LBB30_235:
	s_delay_alu instid0(SALU_CYCLE_1)
	s_and_not1_b32 vcc_lo, exec_lo, s1
	s_cbranch_vccnz .LBB30_237
; %bb.236:
	s_wait_loadcnt 0x0
	global_load_b32 v2, v[4:5], off
	s_wait_loadcnt 0x0
	v_ashrrev_i32_e32 v3, 31, v2
.LBB30_237:
	s_mov_b32 s1, 0
.LBB30_238:
	s_delay_alu instid0(SALU_CYCLE_1)
	s_and_not1_b32 vcc_lo, exec_lo, s1
	s_cbranch_vccnz .LBB30_240
; %bb.239:
	s_wait_loadcnt 0x0
	global_load_u16 v2, v[4:5], off
	s_wait_loadcnt 0x0
	v_bfe_i32 v2, v2, 0, 16
	s_delay_alu instid0(VALU_DEP_1)
	v_ashrrev_i32_e32 v3, 31, v2
.LBB30_240:
	s_mov_b32 s1, 0
.LBB30_241:
	s_delay_alu instid0(SALU_CYCLE_1)
	s_and_not1_b32 vcc_lo, exec_lo, s1
	s_cbranch_vccnz .LBB30_247
; %bb.242:
	s_cmp_gt_i32 s0, 0
	s_mov_b32 s0, 0
	s_cbranch_scc0 .LBB30_244
; %bb.243:
	s_wait_loadcnt 0x0
	global_load_i8 v2, v[4:5], off
	s_wait_loadcnt 0x0
	v_bfe_i32 v2, v2, 0, 16
	s_delay_alu instid0(VALU_DEP_1)
	v_ashrrev_i32_e32 v3, 31, v2
	s_branch .LBB30_245
.LBB30_244:
	s_mov_b32 s0, -1
                                        ; implicit-def: $vgpr2_vgpr3
.LBB30_245:
	s_delay_alu instid0(SALU_CYCLE_1)
	s_and_not1_b32 vcc_lo, exec_lo, s0
	s_cbranch_vccnz .LBB30_247
; %bb.246:
	s_wait_loadcnt 0x0
	global_load_u8 v2, v[4:5], off
	s_mov_b32 s0, 0
	s_delay_alu instid0(SALU_CYCLE_1)
	v_mov_b32_e32 v3, s0
	s_wait_loadcnt 0x0
	v_and_b32_e32 v2, 0xffff, v2
.LBB30_247:
.LBB30_248:
	s_wait_xcnt 0x0
	v_mul_lo_u32 v4, s26, v26
	s_and_b32 s0, s36, 0xff
	s_delay_alu instid0(SALU_CYCLE_1) | instskip(NEXT) | instid1(VALU_DEP_1)
	s_cmp_lt_i32 s0, 11
	v_ashrrev_i32_e32 v5, 31, v4
	s_delay_alu instid0(VALU_DEP_1)
	v_add_nc_u64_e32 v[6:7], s[16:17], v[4:5]
	s_cbranch_scc1 .LBB30_255
; %bb.249:
	s_and_b32 s1, 0xffff, s0
	s_delay_alu instid0(SALU_CYCLE_1)
	s_cmp_gt_i32 s1, 25
	s_cbranch_scc0 .LBB30_256
; %bb.250:
	s_cmp_gt_i32 s1, 28
	s_cbranch_scc0 .LBB30_257
; %bb.251:
	;; [unrolled: 3-line block ×4, first 2 shown]
	s_cmp_eq_u32 s1, 46
	s_mov_b32 s38, 0
	s_cbranch_scc0 .LBB30_260
; %bb.254:
	global_load_b32 v4, v[6:7], off
	s_mov_b32 s31, -1
	s_wait_loadcnt 0x0
	v_lshlrev_b32_e32 v4, 16, v4
	s_delay_alu instid0(VALU_DEP_1) | instskip(NEXT) | instid1(VALU_DEP_1)
	v_trunc_f32_e32 v4, v4
	v_mul_f32_e64 v5, 0x2f800000, |v4|
	s_delay_alu instid0(VALU_DEP_1) | instskip(NEXT) | instid1(VALU_DEP_1)
	v_floor_f32_e32 v5, v5
	v_fma_f32 v8, 0xcf800000, v5, |v4|
	v_ashrrev_i32_e32 v4, 31, v4
	v_cvt_u32_f32_e32 v9, v5
	s_delay_alu instid0(VALU_DEP_3) | instskip(NEXT) | instid1(VALU_DEP_2)
	v_cvt_u32_f32_e32 v8, v8
	v_dual_mov_b32 v5, v4 :: v_dual_bitop2_b32 v9, v9, v4 bitop3:0x14
	s_delay_alu instid0(VALU_DEP_2) | instskip(NEXT) | instid1(VALU_DEP_1)
	v_xor_b32_e32 v8, v8, v4
	v_sub_nc_u64_e32 v[4:5], v[8:9], v[4:5]
	s_branch .LBB30_262
.LBB30_255:
	s_mov_b32 s1, -1
	s_mov_b32 s31, 0
                                        ; implicit-def: $vgpr4_vgpr5
	s_branch .LBB30_323
.LBB30_256:
	s_mov_b32 s38, -1
	s_mov_b32 s31, 0
                                        ; implicit-def: $vgpr4_vgpr5
	s_branch .LBB30_289
.LBB30_257:
	s_mov_b32 s38, -1
	s_mov_b32 s31, 0
                                        ; implicit-def: $vgpr4_vgpr5
	s_branch .LBB30_272
.LBB30_258:
	s_mov_b32 s38, -1
	s_mov_b32 s31, 0
                                        ; implicit-def: $vgpr4_vgpr5
	s_branch .LBB30_267
.LBB30_259:
	s_mov_b32 s38, -1
	s_branch .LBB30_261
.LBB30_260:
	s_mov_b32 s65, -1
.LBB30_261:
	s_mov_b32 s31, 0
                                        ; implicit-def: $vgpr4_vgpr5
.LBB30_262:
	s_and_b32 vcc_lo, exec_lo, s38
	s_cbranch_vccz .LBB30_266
; %bb.263:
	s_cmp_eq_u32 s1, 44
	s_cbranch_scc0 .LBB30_265
; %bb.264:
	global_load_u8 v10, v[6:7], off
	s_mov_b32 s65, 0
	s_mov_b32 s31, -1
	s_wait_loadcnt 0x0
	v_cmp_ne_u32_e32 vcc_lo, 0, v10
	v_lshlrev_b32_e32 v4, 23, v10
	s_delay_alu instid0(VALU_DEP_1) | instskip(NEXT) | instid1(VALU_DEP_1)
	v_trunc_f32_e32 v4, v4
	v_mul_f32_e64 v5, 0x2f800000, |v4|
	s_delay_alu instid0(VALU_DEP_1) | instskip(NEXT) | instid1(VALU_DEP_1)
	v_floor_f32_e32 v5, v5
	v_fma_f32 v8, 0xcf800000, v5, |v4|
	v_ashrrev_i32_e32 v4, 31, v4
	v_cvt_u32_f32_e32 v9, v5
	s_delay_alu instid0(VALU_DEP_3) | instskip(NEXT) | instid1(VALU_DEP_2)
	v_cvt_u32_f32_e32 v8, v8
	v_dual_mov_b32 v5, v4 :: v_dual_bitop2_b32 v9, v9, v4 bitop3:0x14
	s_delay_alu instid0(VALU_DEP_2) | instskip(NEXT) | instid1(VALU_DEP_1)
	v_xor_b32_e32 v8, v8, v4
	v_sub_nc_u64_e32 v[4:5], v[8:9], v[4:5]
	s_delay_alu instid0(VALU_DEP_1)
	v_dual_cndmask_b32 v5, 0, v5 :: v_dual_cndmask_b32 v4, 0, v4
	s_branch .LBB30_266
.LBB30_265:
	s_mov_b32 s65, -1
                                        ; implicit-def: $vgpr4_vgpr5
.LBB30_266:
	s_mov_b32 s38, 0
.LBB30_267:
	s_delay_alu instid0(SALU_CYCLE_1)
	s_and_b32 vcc_lo, exec_lo, s38
	s_cbranch_vccz .LBB30_271
; %bb.268:
	s_cmp_eq_u32 s1, 29
	s_cbranch_scc0 .LBB30_270
; %bb.269:
	global_load_b64 v[4:5], v[6:7], off
	s_mov_b32 s31, -1
	s_mov_b32 s65, 0
	s_branch .LBB30_271
.LBB30_270:
	s_mov_b32 s65, -1
                                        ; implicit-def: $vgpr4_vgpr5
.LBB30_271:
	s_mov_b32 s38, 0
.LBB30_272:
	s_delay_alu instid0(SALU_CYCLE_1)
	s_and_b32 vcc_lo, exec_lo, s38
	s_cbranch_vccz .LBB30_288
; %bb.273:
	s_cmp_lt_i32 s1, 27
	s_cbranch_scc1 .LBB30_276
; %bb.274:
	s_cmp_gt_i32 s1, 27
	s_cbranch_scc0 .LBB30_277
; %bb.275:
	s_wait_loadcnt 0x0
	global_load_b32 v4, v[6:7], off
	v_mov_b32_e32 v5, 0
	s_mov_b32 s31, 0
	s_branch .LBB30_278
.LBB30_276:
	s_mov_b32 s31, -1
                                        ; implicit-def: $vgpr4_vgpr5
	s_branch .LBB30_281
.LBB30_277:
	s_mov_b32 s31, -1
                                        ; implicit-def: $vgpr4_vgpr5
.LBB30_278:
	s_delay_alu instid0(SALU_CYCLE_1)
	s_and_not1_b32 vcc_lo, exec_lo, s31
	s_cbranch_vccnz .LBB30_280
; %bb.279:
	s_wait_loadcnt 0x0
	global_load_u16 v4, v[6:7], off
	s_mov_b32 s31, 0
	s_delay_alu instid0(SALU_CYCLE_1)
	v_mov_b32_e32 v5, s31
	s_wait_loadcnt 0x0
	v_and_b32_e32 v4, 0xffff, v4
.LBB30_280:
	s_mov_b32 s31, 0
.LBB30_281:
	s_delay_alu instid0(SALU_CYCLE_1)
	s_and_not1_b32 vcc_lo, exec_lo, s31
	s_cbranch_vccnz .LBB30_287
; %bb.282:
	global_load_u8 v8, v[6:7], off
	s_mov_b32 s38, 0
	s_mov_b32 s31, exec_lo
	s_wait_loadcnt 0x0
	v_cmpx_lt_i16_e32 0x7f, v8
	s_xor_b32 s31, exec_lo, s31
	s_cbranch_execz .LBB30_299
; %bb.283:
	v_cmp_ne_u16_e32 vcc_lo, 0x80, v8
	s_and_b32 s38, vcc_lo, exec_lo
	s_and_not1_saveexec_b32 s31, s31
	s_cbranch_execnz .LBB30_300
.LBB30_284:
	s_or_b32 exec_lo, exec_lo, s31
	v_mov_b64_e32 v[4:5], 0
	s_and_saveexec_b32 s31, s38
	s_cbranch_execz .LBB30_286
.LBB30_285:
	v_and_b32_e32 v4, 0xffff, v8
	s_delay_alu instid0(VALU_DEP_1) | instskip(SKIP_1) | instid1(VALU_DEP_2)
	v_and_b32_e32 v5, 7, v4
	v_bfe_u32 v11, v4, 3, 4
	v_clz_i32_u32_e32 v9, v5
	s_delay_alu instid0(VALU_DEP_2) | instskip(NEXT) | instid1(VALU_DEP_2)
	v_cmp_eq_u32_e32 vcc_lo, 0, v11
	v_min_u32_e32 v9, 32, v9
	s_delay_alu instid0(VALU_DEP_1) | instskip(NEXT) | instid1(VALU_DEP_1)
	v_subrev_nc_u32_e32 v10, 28, v9
	v_dual_lshlrev_b32 v4, v10, v4 :: v_dual_sub_nc_u32 v9, 29, v9
	s_delay_alu instid0(VALU_DEP_1) | instskip(NEXT) | instid1(VALU_DEP_2)
	v_and_b32_e32 v4, 7, v4
	v_dual_cndmask_b32 v9, v11, v9 :: v_dual_lshlrev_b32 v8, 24, v8
	s_delay_alu instid0(VALU_DEP_2) | instskip(NEXT) | instid1(VALU_DEP_2)
	v_cndmask_b32_e32 v4, v5, v4, vcc_lo
	v_and_b32_e32 v5, 0x80000000, v8
	s_delay_alu instid0(VALU_DEP_3) | instskip(NEXT) | instid1(VALU_DEP_3)
	v_lshl_add_u32 v8, v9, 23, 0x3b800000
	v_lshlrev_b32_e32 v4, 20, v4
	s_delay_alu instid0(VALU_DEP_1) | instskip(NEXT) | instid1(VALU_DEP_1)
	v_or3_b32 v4, v5, v8, v4
	v_trunc_f32_e32 v4, v4
	s_delay_alu instid0(VALU_DEP_1) | instskip(NEXT) | instid1(VALU_DEP_1)
	v_mul_f32_e64 v5, 0x2f800000, |v4|
	v_floor_f32_e32 v5, v5
	s_delay_alu instid0(VALU_DEP_1) | instskip(SKIP_2) | instid1(VALU_DEP_3)
	v_fma_f32 v8, 0xcf800000, v5, |v4|
	v_ashrrev_i32_e32 v4, 31, v4
	v_cvt_u32_f32_e32 v9, v5
	v_cvt_u32_f32_e32 v8, v8
	s_delay_alu instid0(VALU_DEP_2) | instskip(NEXT) | instid1(VALU_DEP_2)
	v_dual_mov_b32 v5, v4 :: v_dual_bitop2_b32 v9, v9, v4 bitop3:0x14
	v_xor_b32_e32 v8, v8, v4
	s_delay_alu instid0(VALU_DEP_1)
	v_sub_nc_u64_e32 v[4:5], v[8:9], v[4:5]
.LBB30_286:
	s_or_b32 exec_lo, exec_lo, s31
.LBB30_287:
	s_mov_b32 s31, -1
.LBB30_288:
	s_mov_b32 s38, 0
.LBB30_289:
	s_delay_alu instid0(SALU_CYCLE_1)
	s_and_b32 vcc_lo, exec_lo, s38
	s_cbranch_vccz .LBB30_322
; %bb.290:
	s_cmp_gt_i32 s1, 22
	s_cbranch_scc0 .LBB30_298
; %bb.291:
	s_cmp_lt_i32 s1, 24
	s_cbranch_scc1 .LBB30_301
; %bb.292:
	s_cmp_gt_i32 s1, 24
	s_cbranch_scc0 .LBB30_302
; %bb.293:
	global_load_u8 v8, v[6:7], off
	s_mov_b32 s38, 0
	s_mov_b32 s31, exec_lo
	s_wait_loadcnt 0x0
	v_cmpx_lt_i16_e32 0x7f, v8
	s_xor_b32 s31, exec_lo, s31
	s_cbranch_execz .LBB30_314
; %bb.294:
	v_cmp_ne_u16_e32 vcc_lo, 0x80, v8
	s_and_b32 s38, vcc_lo, exec_lo
	s_and_not1_saveexec_b32 s31, s31
	s_cbranch_execnz .LBB30_315
.LBB30_295:
	s_or_b32 exec_lo, exec_lo, s31
	v_mov_b64_e32 v[4:5], 0
	s_and_saveexec_b32 s31, s38
	s_cbranch_execz .LBB30_297
.LBB30_296:
	v_and_b32_e32 v4, 0xffff, v8
	s_delay_alu instid0(VALU_DEP_1) | instskip(SKIP_1) | instid1(VALU_DEP_2)
	v_and_b32_e32 v5, 3, v4
	v_bfe_u32 v11, v4, 2, 5
	v_clz_i32_u32_e32 v9, v5
	s_delay_alu instid0(VALU_DEP_2) | instskip(NEXT) | instid1(VALU_DEP_2)
	v_cmp_eq_u32_e32 vcc_lo, 0, v11
	v_min_u32_e32 v9, 32, v9
	s_delay_alu instid0(VALU_DEP_1) | instskip(NEXT) | instid1(VALU_DEP_1)
	v_subrev_nc_u32_e32 v10, 29, v9
	v_dual_lshlrev_b32 v4, v10, v4 :: v_dual_sub_nc_u32 v9, 30, v9
	s_delay_alu instid0(VALU_DEP_1) | instskip(NEXT) | instid1(VALU_DEP_2)
	v_and_b32_e32 v4, 3, v4
	v_dual_cndmask_b32 v9, v11, v9 :: v_dual_lshlrev_b32 v8, 24, v8
	s_delay_alu instid0(VALU_DEP_2) | instskip(NEXT) | instid1(VALU_DEP_2)
	v_cndmask_b32_e32 v4, v5, v4, vcc_lo
	v_and_b32_e32 v5, 0x80000000, v8
	s_delay_alu instid0(VALU_DEP_3) | instskip(NEXT) | instid1(VALU_DEP_3)
	v_lshl_add_u32 v8, v9, 23, 0x37800000
	v_lshlrev_b32_e32 v4, 21, v4
	s_delay_alu instid0(VALU_DEP_1) | instskip(NEXT) | instid1(VALU_DEP_1)
	v_or3_b32 v4, v5, v8, v4
	v_trunc_f32_e32 v4, v4
	s_delay_alu instid0(VALU_DEP_1) | instskip(NEXT) | instid1(VALU_DEP_1)
	v_mul_f32_e64 v5, 0x2f800000, |v4|
	v_floor_f32_e32 v5, v5
	s_delay_alu instid0(VALU_DEP_1) | instskip(SKIP_2) | instid1(VALU_DEP_3)
	v_fma_f32 v8, 0xcf800000, v5, |v4|
	v_ashrrev_i32_e32 v4, 31, v4
	v_cvt_u32_f32_e32 v9, v5
	v_cvt_u32_f32_e32 v8, v8
	s_delay_alu instid0(VALU_DEP_2) | instskip(NEXT) | instid1(VALU_DEP_2)
	v_dual_mov_b32 v5, v4 :: v_dual_bitop2_b32 v9, v9, v4 bitop3:0x14
	v_xor_b32_e32 v8, v8, v4
	s_delay_alu instid0(VALU_DEP_1)
	v_sub_nc_u64_e32 v[4:5], v[8:9], v[4:5]
.LBB30_297:
	s_or_b32 exec_lo, exec_lo, s31
	s_mov_b32 s31, 0
	s_branch .LBB30_303
.LBB30_298:
	s_mov_b32 s38, -1
                                        ; implicit-def: $vgpr4_vgpr5
	s_branch .LBB30_309
.LBB30_299:
	s_and_not1_saveexec_b32 s31, s31
	s_cbranch_execz .LBB30_284
.LBB30_300:
	v_cmp_ne_u16_e32 vcc_lo, 0, v8
	s_and_not1_b32 s38, s38, exec_lo
	s_and_b32 s39, vcc_lo, exec_lo
	s_delay_alu instid0(SALU_CYCLE_1)
	s_or_b32 s38, s38, s39
	s_or_b32 exec_lo, exec_lo, s31
	v_mov_b64_e32 v[4:5], 0
	s_and_saveexec_b32 s31, s38
	s_cbranch_execnz .LBB30_285
	s_branch .LBB30_286
.LBB30_301:
	s_mov_b32 s31, -1
                                        ; implicit-def: $vgpr4_vgpr5
	s_branch .LBB30_306
.LBB30_302:
	s_mov_b32 s31, -1
                                        ; implicit-def: $vgpr4_vgpr5
.LBB30_303:
	s_delay_alu instid0(SALU_CYCLE_1)
	s_and_b32 vcc_lo, exec_lo, s31
	s_cbranch_vccz .LBB30_305
; %bb.304:
	s_wait_loadcnt 0x0
	global_load_u8 v4, v[6:7], off
	s_wait_loadcnt 0x0
	v_lshlrev_b32_e32 v4, 24, v4
	s_delay_alu instid0(VALU_DEP_1) | instskip(NEXT) | instid1(VALU_DEP_1)
	v_and_b32_e32 v5, 0x7f000000, v4
	v_clz_i32_u32_e32 v8, v5
	v_cmp_ne_u32_e32 vcc_lo, 0, v5
	v_add_nc_u32_e32 v10, 0x1000000, v5
	s_delay_alu instid0(VALU_DEP_3) | instskip(NEXT) | instid1(VALU_DEP_1)
	v_min_u32_e32 v8, 32, v8
	v_sub_nc_u32_e64 v8, v8, 4 clamp
	s_delay_alu instid0(VALU_DEP_1) | instskip(NEXT) | instid1(VALU_DEP_1)
	v_dual_lshlrev_b32 v9, v8, v5 :: v_dual_lshlrev_b32 v8, 23, v8
	v_lshrrev_b32_e32 v9, 4, v9
	s_delay_alu instid0(VALU_DEP_1) | instskip(NEXT) | instid1(VALU_DEP_1)
	v_dual_sub_nc_u32 v8, v9, v8 :: v_dual_ashrrev_i32 v9, 8, v10
	v_add_nc_u32_e32 v8, 0x3c000000, v8
	s_delay_alu instid0(VALU_DEP_1) | instskip(NEXT) | instid1(VALU_DEP_1)
	v_and_or_b32 v8, 0x7f800000, v9, v8
	v_cndmask_b32_e32 v5, 0, v8, vcc_lo
	s_delay_alu instid0(VALU_DEP_1) | instskip(NEXT) | instid1(VALU_DEP_1)
	v_and_or_b32 v4, 0x80000000, v4, v5
	v_trunc_f32_e32 v4, v4
	s_delay_alu instid0(VALU_DEP_1) | instskip(NEXT) | instid1(VALU_DEP_1)
	v_mul_f32_e64 v5, 0x2f800000, |v4|
	v_floor_f32_e32 v5, v5
	s_delay_alu instid0(VALU_DEP_1) | instskip(SKIP_2) | instid1(VALU_DEP_3)
	v_fma_f32 v8, 0xcf800000, v5, |v4|
	v_ashrrev_i32_e32 v4, 31, v4
	v_cvt_u32_f32_e32 v9, v5
	v_cvt_u32_f32_e32 v8, v8
	s_delay_alu instid0(VALU_DEP_2) | instskip(NEXT) | instid1(VALU_DEP_2)
	v_dual_mov_b32 v5, v4 :: v_dual_bitop2_b32 v9, v9, v4 bitop3:0x14
	v_xor_b32_e32 v8, v8, v4
	s_delay_alu instid0(VALU_DEP_1)
	v_sub_nc_u64_e32 v[4:5], v[8:9], v[4:5]
.LBB30_305:
	s_mov_b32 s31, 0
.LBB30_306:
	s_delay_alu instid0(SALU_CYCLE_1)
	s_and_not1_b32 vcc_lo, exec_lo, s31
	s_cbranch_vccnz .LBB30_308
; %bb.307:
	s_wait_loadcnt 0x0
	global_load_u8 v4, v[6:7], off
	s_wait_loadcnt 0x0
	v_lshlrev_b32_e32 v5, 25, v4
	v_lshlrev_b16 v4, 8, v4
	s_delay_alu instid0(VALU_DEP_1) | instskip(SKIP_1) | instid1(VALU_DEP_2)
	v_and_or_b32 v9, 0x7f00, v4, 0.5
	v_bfe_i32 v4, v4, 0, 16
	v_add_f32_e32 v9, -0.5, v9
	v_lshrrev_b32_e32 v8, 4, v5
	v_cmp_gt_u32_e32 vcc_lo, 0x8000000, v5
	s_delay_alu instid0(VALU_DEP_2) | instskip(NEXT) | instid1(VALU_DEP_1)
	v_or_b32_e32 v8, 0x70000000, v8
	v_mul_f32_e32 v8, 0x7800000, v8
	s_delay_alu instid0(VALU_DEP_1) | instskip(NEXT) | instid1(VALU_DEP_1)
	v_cndmask_b32_e32 v5, v8, v9, vcc_lo
	v_and_or_b32 v4, 0x80000000, v4, v5
	s_delay_alu instid0(VALU_DEP_1) | instskip(NEXT) | instid1(VALU_DEP_1)
	v_trunc_f32_e32 v4, v4
	v_mul_f32_e64 v5, 0x2f800000, |v4|
	s_delay_alu instid0(VALU_DEP_1) | instskip(NEXT) | instid1(VALU_DEP_1)
	v_floor_f32_e32 v5, v5
	v_fma_f32 v8, 0xcf800000, v5, |v4|
	v_ashrrev_i32_e32 v4, 31, v4
	v_cvt_u32_f32_e32 v9, v5
	s_delay_alu instid0(VALU_DEP_3) | instskip(NEXT) | instid1(VALU_DEP_2)
	v_cvt_u32_f32_e32 v8, v8
	v_dual_mov_b32 v5, v4 :: v_dual_bitop2_b32 v9, v9, v4 bitop3:0x14
	s_delay_alu instid0(VALU_DEP_2) | instskip(NEXT) | instid1(VALU_DEP_1)
	v_xor_b32_e32 v8, v8, v4
	v_sub_nc_u64_e32 v[4:5], v[8:9], v[4:5]
.LBB30_308:
	s_mov_b32 s38, 0
	s_mov_b32 s31, -1
.LBB30_309:
	s_and_not1_b32 vcc_lo, exec_lo, s38
	s_cbranch_vccnz .LBB30_322
; %bb.310:
	s_cmp_gt_i32 s1, 14
	s_cbranch_scc0 .LBB30_313
; %bb.311:
	s_cmp_eq_u32 s1, 15
	s_cbranch_scc0 .LBB30_316
; %bb.312:
	s_wait_loadcnt 0x0
	global_load_u16 v4, v[6:7], off
	s_mov_b32 s31, -1
	s_mov_b32 s65, 0
	s_wait_loadcnt 0x0
	v_lshlrev_b32_e32 v4, 16, v4
	s_delay_alu instid0(VALU_DEP_1) | instskip(NEXT) | instid1(VALU_DEP_1)
	v_trunc_f32_e32 v4, v4
	v_mul_f32_e64 v5, 0x2f800000, |v4|
	s_delay_alu instid0(VALU_DEP_1) | instskip(NEXT) | instid1(VALU_DEP_1)
	v_floor_f32_e32 v5, v5
	v_fma_f32 v8, 0xcf800000, v5, |v4|
	v_ashrrev_i32_e32 v4, 31, v4
	v_cvt_u32_f32_e32 v9, v5
	s_delay_alu instid0(VALU_DEP_3) | instskip(NEXT) | instid1(VALU_DEP_2)
	v_cvt_u32_f32_e32 v8, v8
	v_dual_mov_b32 v5, v4 :: v_dual_bitop2_b32 v9, v9, v4 bitop3:0x14
	s_delay_alu instid0(VALU_DEP_2) | instskip(NEXT) | instid1(VALU_DEP_1)
	v_xor_b32_e32 v8, v8, v4
	v_sub_nc_u64_e32 v[4:5], v[8:9], v[4:5]
	s_branch .LBB30_317
.LBB30_313:
	s_mov_b32 s38, -1
                                        ; implicit-def: $vgpr4_vgpr5
	s_branch .LBB30_318
.LBB30_314:
	s_and_not1_saveexec_b32 s31, s31
	s_cbranch_execz .LBB30_295
.LBB30_315:
	v_cmp_ne_u16_e32 vcc_lo, 0, v8
	s_and_not1_b32 s38, s38, exec_lo
	s_and_b32 s39, vcc_lo, exec_lo
	s_delay_alu instid0(SALU_CYCLE_1)
	s_or_b32 s38, s38, s39
	s_or_b32 exec_lo, exec_lo, s31
	v_mov_b64_e32 v[4:5], 0
	s_and_saveexec_b32 s31, s38
	s_cbranch_execnz .LBB30_296
	s_branch .LBB30_297
.LBB30_316:
	s_mov_b32 s65, -1
                                        ; implicit-def: $vgpr4_vgpr5
.LBB30_317:
	s_mov_b32 s38, 0
.LBB30_318:
	s_delay_alu instid0(SALU_CYCLE_1)
	s_and_b32 vcc_lo, exec_lo, s38
	s_cbranch_vccz .LBB30_322
; %bb.319:
	s_cmp_eq_u32 s1, 11
	s_cbranch_scc0 .LBB30_321
; %bb.320:
	s_wait_loadcnt 0x0
	global_load_u8 v4, v[6:7], off
	s_mov_b32 s65, 0
	s_mov_b32 s31, -1
	v_mov_b32_e32 v5, s65
	s_wait_loadcnt 0x0
	v_cmp_ne_u16_e32 vcc_lo, 0, v4
	v_cndmask_b32_e64 v4, 0, 1, vcc_lo
	s_branch .LBB30_322
.LBB30_321:
	s_mov_b32 s65, -1
                                        ; implicit-def: $vgpr4_vgpr5
.LBB30_322:
	s_mov_b32 s1, 0
.LBB30_323:
	s_delay_alu instid0(SALU_CYCLE_1)
	s_and_b32 vcc_lo, exec_lo, s1
	s_cbranch_vccz .LBB30_372
; %bb.324:
	s_and_b32 s0, 0xffff, s0
	s_delay_alu instid0(SALU_CYCLE_1)
	s_cmp_lt_i32 s0, 5
	s_cbranch_scc1 .LBB30_329
; %bb.325:
	s_cmp_lt_i32 s0, 8
	s_cbranch_scc1 .LBB30_330
; %bb.326:
	s_cmp_lt_i32 s0, 9
	s_cbranch_scc1 .LBB30_331
; %bb.327:
	s_cmp_gt_i32 s0, 9
	s_cbranch_scc0 .LBB30_332
; %bb.328:
	s_wait_loadcnt 0x0
	global_load_b64 v[4:5], v[6:7], off
	s_mov_b32 s1, 0
	s_wait_loadcnt 0x0
	v_trunc_f64_e32 v[4:5], v[4:5]
	s_delay_alu instid0(VALU_DEP_1) | instskip(NEXT) | instid1(VALU_DEP_1)
	v_ldexp_f64 v[8:9], v[4:5], 0xffffffe0
	v_floor_f64_e32 v[8:9], v[8:9]
	s_delay_alu instid0(VALU_DEP_1) | instskip(SKIP_1) | instid1(VALU_DEP_2)
	v_fmamk_f64 v[10:11], v[8:9], 0xc1f00000, v[4:5]
	v_cvt_i32_f64_e32 v5, v[8:9]
	v_cvt_u32_f64_e32 v4, v[10:11]
	s_branch .LBB30_333
.LBB30_329:
	s_mov_b32 s1, -1
                                        ; implicit-def: $vgpr4_vgpr5
	s_branch .LBB30_351
.LBB30_330:
	s_mov_b32 s1, -1
                                        ; implicit-def: $vgpr4_vgpr5
	s_branch .LBB30_339
.LBB30_331:
	s_mov_b32 s1, -1
                                        ; implicit-def: $vgpr4_vgpr5
	s_branch .LBB30_336
.LBB30_332:
	s_mov_b32 s1, -1
                                        ; implicit-def: $vgpr4_vgpr5
.LBB30_333:
	s_delay_alu instid0(SALU_CYCLE_1)
	s_and_not1_b32 vcc_lo, exec_lo, s1
	s_cbranch_vccnz .LBB30_335
; %bb.334:
	s_wait_loadcnt 0x0
	global_load_b32 v4, v[6:7], off
	s_wait_loadcnt 0x0
	v_trunc_f32_e32 v4, v4
	s_delay_alu instid0(VALU_DEP_1) | instskip(NEXT) | instid1(VALU_DEP_1)
	v_mul_f32_e64 v5, 0x2f800000, |v4|
	v_floor_f32_e32 v5, v5
	s_delay_alu instid0(VALU_DEP_1) | instskip(SKIP_2) | instid1(VALU_DEP_3)
	v_fma_f32 v8, 0xcf800000, v5, |v4|
	v_ashrrev_i32_e32 v4, 31, v4
	v_cvt_u32_f32_e32 v9, v5
	v_cvt_u32_f32_e32 v8, v8
	s_delay_alu instid0(VALU_DEP_2) | instskip(NEXT) | instid1(VALU_DEP_2)
	v_dual_mov_b32 v5, v4 :: v_dual_bitop2_b32 v9, v9, v4 bitop3:0x14
	v_xor_b32_e32 v8, v8, v4
	s_delay_alu instid0(VALU_DEP_1)
	v_sub_nc_u64_e32 v[4:5], v[8:9], v[4:5]
.LBB30_335:
	s_mov_b32 s1, 0
.LBB30_336:
	s_delay_alu instid0(SALU_CYCLE_1)
	s_and_not1_b32 vcc_lo, exec_lo, s1
	s_cbranch_vccnz .LBB30_338
; %bb.337:
	s_wait_loadcnt 0x0
	global_load_b32 v4, v[6:7], off
	s_wait_loadcnt 0x0
	v_cvt_f32_f16_e32 v4, v4
	s_delay_alu instid0(VALU_DEP_1) | instskip(NEXT) | instid1(VALU_DEP_1)
	v_cvt_i32_f32_e32 v4, v4
	v_ashrrev_i32_e32 v5, 31, v4
.LBB30_338:
	s_mov_b32 s1, 0
.LBB30_339:
	s_delay_alu instid0(SALU_CYCLE_1)
	s_and_not1_b32 vcc_lo, exec_lo, s1
	s_cbranch_vccnz .LBB30_350
; %bb.340:
	s_cmp_lt_i32 s0, 6
	s_cbranch_scc1 .LBB30_343
; %bb.341:
	s_cmp_gt_i32 s0, 6
	s_cbranch_scc0 .LBB30_344
; %bb.342:
	s_wait_loadcnt 0x0
	global_load_b64 v[4:5], v[6:7], off
	s_mov_b32 s1, 0
	s_wait_loadcnt 0x0
	v_trunc_f64_e32 v[4:5], v[4:5]
	s_delay_alu instid0(VALU_DEP_1) | instskip(NEXT) | instid1(VALU_DEP_1)
	v_ldexp_f64 v[8:9], v[4:5], 0xffffffe0
	v_floor_f64_e32 v[8:9], v[8:9]
	s_delay_alu instid0(VALU_DEP_1) | instskip(SKIP_1) | instid1(VALU_DEP_2)
	v_fmamk_f64 v[10:11], v[8:9], 0xc1f00000, v[4:5]
	v_cvt_i32_f64_e32 v5, v[8:9]
	v_cvt_u32_f64_e32 v4, v[10:11]
	s_branch .LBB30_345
.LBB30_343:
	s_mov_b32 s1, -1
                                        ; implicit-def: $vgpr4_vgpr5
	s_branch .LBB30_348
.LBB30_344:
	s_mov_b32 s1, -1
                                        ; implicit-def: $vgpr4_vgpr5
.LBB30_345:
	s_delay_alu instid0(SALU_CYCLE_1)
	s_and_not1_b32 vcc_lo, exec_lo, s1
	s_cbranch_vccnz .LBB30_347
; %bb.346:
	s_wait_loadcnt 0x0
	global_load_b32 v4, v[6:7], off
	s_wait_loadcnt 0x0
	v_trunc_f32_e32 v4, v4
	s_delay_alu instid0(VALU_DEP_1) | instskip(NEXT) | instid1(VALU_DEP_1)
	v_mul_f32_e64 v5, 0x2f800000, |v4|
	v_floor_f32_e32 v5, v5
	s_delay_alu instid0(VALU_DEP_1) | instskip(SKIP_2) | instid1(VALU_DEP_3)
	v_fma_f32 v8, 0xcf800000, v5, |v4|
	v_ashrrev_i32_e32 v4, 31, v4
	v_cvt_u32_f32_e32 v9, v5
	v_cvt_u32_f32_e32 v8, v8
	s_delay_alu instid0(VALU_DEP_2) | instskip(NEXT) | instid1(VALU_DEP_2)
	v_dual_mov_b32 v5, v4 :: v_dual_bitop2_b32 v9, v9, v4 bitop3:0x14
	v_xor_b32_e32 v8, v8, v4
	s_delay_alu instid0(VALU_DEP_1)
	v_sub_nc_u64_e32 v[4:5], v[8:9], v[4:5]
.LBB30_347:
	s_mov_b32 s1, 0
.LBB30_348:
	s_delay_alu instid0(SALU_CYCLE_1)
	s_and_not1_b32 vcc_lo, exec_lo, s1
	s_cbranch_vccnz .LBB30_350
; %bb.349:
	s_wait_loadcnt 0x0
	global_load_u16 v4, v[6:7], off
	s_wait_loadcnt 0x0
	v_cvt_f32_f16_e32 v4, v4
	s_delay_alu instid0(VALU_DEP_1) | instskip(NEXT) | instid1(VALU_DEP_1)
	v_cvt_i32_f32_e32 v4, v4
	v_ashrrev_i32_e32 v5, 31, v4
.LBB30_350:
	s_mov_b32 s1, 0
.LBB30_351:
	s_delay_alu instid0(SALU_CYCLE_1)
	s_and_not1_b32 vcc_lo, exec_lo, s1
	s_cbranch_vccnz .LBB30_371
; %bb.352:
	s_cmp_lt_i32 s0, 2
	s_cbranch_scc1 .LBB30_356
; %bb.353:
	s_cmp_lt_i32 s0, 3
	s_cbranch_scc1 .LBB30_357
; %bb.354:
	s_cmp_gt_i32 s0, 3
	s_cbranch_scc0 .LBB30_358
; %bb.355:
	s_wait_loadcnt 0x0
	global_load_b64 v[4:5], v[6:7], off
	s_mov_b32 s1, 0
	s_branch .LBB30_359
.LBB30_356:
	s_mov_b32 s1, -1
                                        ; implicit-def: $vgpr4_vgpr5
	s_branch .LBB30_365
.LBB30_357:
	s_mov_b32 s1, -1
                                        ; implicit-def: $vgpr4_vgpr5
	s_branch .LBB30_362
.LBB30_358:
	s_mov_b32 s1, -1
                                        ; implicit-def: $vgpr4_vgpr5
.LBB30_359:
	s_delay_alu instid0(SALU_CYCLE_1)
	s_and_not1_b32 vcc_lo, exec_lo, s1
	s_cbranch_vccnz .LBB30_361
; %bb.360:
	s_wait_loadcnt 0x0
	global_load_b32 v4, v[6:7], off
	s_wait_loadcnt 0x0
	v_ashrrev_i32_e32 v5, 31, v4
.LBB30_361:
	s_mov_b32 s1, 0
.LBB30_362:
	s_delay_alu instid0(SALU_CYCLE_1)
	s_and_not1_b32 vcc_lo, exec_lo, s1
	s_cbranch_vccnz .LBB30_364
; %bb.363:
	s_wait_loadcnt 0x0
	global_load_u16 v4, v[6:7], off
	s_wait_loadcnt 0x0
	v_bfe_i32 v4, v4, 0, 16
	s_delay_alu instid0(VALU_DEP_1)
	v_ashrrev_i32_e32 v5, 31, v4
.LBB30_364:
	s_mov_b32 s1, 0
.LBB30_365:
	s_delay_alu instid0(SALU_CYCLE_1)
	s_and_not1_b32 vcc_lo, exec_lo, s1
	s_cbranch_vccnz .LBB30_371
; %bb.366:
	s_cmp_gt_i32 s0, 0
	s_mov_b32 s0, 0
	s_cbranch_scc0 .LBB30_368
; %bb.367:
	s_wait_loadcnt 0x0
	global_load_i8 v4, v[6:7], off
	s_wait_loadcnt 0x0
	v_bfe_i32 v4, v4, 0, 16
	s_delay_alu instid0(VALU_DEP_1)
	v_ashrrev_i32_e32 v5, 31, v4
	s_branch .LBB30_369
.LBB30_368:
	s_mov_b32 s0, -1
                                        ; implicit-def: $vgpr4_vgpr5
.LBB30_369:
	s_delay_alu instid0(SALU_CYCLE_1)
	s_and_not1_b32 vcc_lo, exec_lo, s0
	s_cbranch_vccnz .LBB30_371
; %bb.370:
	s_wait_loadcnt 0x0
	global_load_u8 v4, v[6:7], off
	s_mov_b32 s0, 0
	s_delay_alu instid0(SALU_CYCLE_1)
	v_mov_b32_e32 v5, s0
	s_wait_loadcnt 0x0
	v_and_b32_e32 v4, 0xffff, v4
.LBB30_371:
	s_mov_b32 s31, -1
.LBB30_372:
	s_delay_alu instid0(SALU_CYCLE_1)
	s_and_not1_b32 vcc_lo, exec_lo, s31
	s_cbranch_vccnz .LBB30_628
; %bb.373:
	s_wait_xcnt 0x0
	v_mul_lo_u32 v6, s27, v26
	s_and_b32 s0, s23, 0xff
	s_delay_alu instid0(SALU_CYCLE_1) | instskip(NEXT) | instid1(VALU_DEP_1)
	s_cmp_lt_i32 s0, 11
	v_ashrrev_i32_e32 v7, 31, v6
	s_delay_alu instid0(VALU_DEP_1)
	v_add_nc_u64_e32 v[8:9], s[18:19], v[6:7]
	s_cbranch_scc1 .LBB30_380
; %bb.374:
	s_and_b32 s1, 0xffff, s0
	s_delay_alu instid0(SALU_CYCLE_1)
	s_cmp_gt_i32 s1, 25
	s_cbranch_scc0 .LBB30_381
; %bb.375:
	s_cmp_gt_i32 s1, 28
	s_cbranch_scc0 .LBB30_382
; %bb.376:
	;; [unrolled: 3-line block ×4, first 2 shown]
	s_cmp_eq_u32 s1, 46
	s_mov_b32 s38, 0
	s_cbranch_scc0 .LBB30_385
; %bb.379:
	global_load_b32 v6, v[8:9], off
	s_mov_b32 s31, -1
	s_wait_loadcnt 0x0
	v_lshlrev_b32_e32 v6, 16, v6
	s_delay_alu instid0(VALU_DEP_1) | instskip(NEXT) | instid1(VALU_DEP_1)
	v_trunc_f32_e32 v6, v6
	v_mul_f32_e64 v7, 0x2f800000, |v6|
	s_delay_alu instid0(VALU_DEP_1) | instskip(NEXT) | instid1(VALU_DEP_1)
	v_floor_f32_e32 v7, v7
	v_fma_f32 v10, 0xcf800000, v7, |v6|
	v_ashrrev_i32_e32 v6, 31, v6
	v_cvt_u32_f32_e32 v11, v7
	s_delay_alu instid0(VALU_DEP_3) | instskip(NEXT) | instid1(VALU_DEP_2)
	v_cvt_u32_f32_e32 v10, v10
	v_dual_mov_b32 v7, v6 :: v_dual_bitop2_b32 v11, v11, v6 bitop3:0x14
	s_delay_alu instid0(VALU_DEP_2) | instskip(NEXT) | instid1(VALU_DEP_1)
	v_xor_b32_e32 v10, v10, v6
	v_sub_nc_u64_e32 v[6:7], v[10:11], v[6:7]
	s_branch .LBB30_387
.LBB30_380:
	s_mov_b32 s1, -1
	s_mov_b32 s31, 0
                                        ; implicit-def: $vgpr6_vgpr7
	s_branch .LBB30_448
.LBB30_381:
	s_mov_b32 s38, -1
	s_mov_b32 s31, 0
                                        ; implicit-def: $vgpr6_vgpr7
	s_branch .LBB30_414
.LBB30_382:
	s_mov_b32 s38, -1
	s_mov_b32 s31, 0
                                        ; implicit-def: $vgpr6_vgpr7
	s_branch .LBB30_397
.LBB30_383:
	s_mov_b32 s38, -1
	s_mov_b32 s31, 0
                                        ; implicit-def: $vgpr6_vgpr7
	s_branch .LBB30_392
.LBB30_384:
	s_mov_b32 s38, -1
	s_branch .LBB30_386
.LBB30_385:
	s_mov_b32 s64, -1
.LBB30_386:
	s_mov_b32 s31, 0
                                        ; implicit-def: $vgpr6_vgpr7
.LBB30_387:
	s_and_b32 vcc_lo, exec_lo, s38
	s_cbranch_vccz .LBB30_391
; %bb.388:
	s_cmp_eq_u32 s1, 44
	s_cbranch_scc0 .LBB30_390
; %bb.389:
	global_load_u8 v12, v[8:9], off
	s_mov_b32 s64, 0
	s_mov_b32 s31, -1
	s_wait_loadcnt 0x0
	v_cmp_ne_u32_e32 vcc_lo, 0, v12
	v_lshlrev_b32_e32 v6, 23, v12
	s_delay_alu instid0(VALU_DEP_1) | instskip(NEXT) | instid1(VALU_DEP_1)
	v_trunc_f32_e32 v6, v6
	v_mul_f32_e64 v7, 0x2f800000, |v6|
	s_delay_alu instid0(VALU_DEP_1) | instskip(NEXT) | instid1(VALU_DEP_1)
	v_floor_f32_e32 v7, v7
	v_fma_f32 v10, 0xcf800000, v7, |v6|
	v_ashrrev_i32_e32 v6, 31, v6
	v_cvt_u32_f32_e32 v11, v7
	s_delay_alu instid0(VALU_DEP_3) | instskip(NEXT) | instid1(VALU_DEP_2)
	v_cvt_u32_f32_e32 v10, v10
	v_dual_mov_b32 v7, v6 :: v_dual_bitop2_b32 v11, v11, v6 bitop3:0x14
	s_delay_alu instid0(VALU_DEP_2) | instskip(NEXT) | instid1(VALU_DEP_1)
	v_xor_b32_e32 v10, v10, v6
	v_sub_nc_u64_e32 v[6:7], v[10:11], v[6:7]
	s_delay_alu instid0(VALU_DEP_1)
	v_dual_cndmask_b32 v7, 0, v7 :: v_dual_cndmask_b32 v6, 0, v6
	s_branch .LBB30_391
.LBB30_390:
	s_mov_b32 s64, -1
                                        ; implicit-def: $vgpr6_vgpr7
.LBB30_391:
	s_mov_b32 s38, 0
.LBB30_392:
	s_delay_alu instid0(SALU_CYCLE_1)
	s_and_b32 vcc_lo, exec_lo, s38
	s_cbranch_vccz .LBB30_396
; %bb.393:
	s_cmp_eq_u32 s1, 29
	s_cbranch_scc0 .LBB30_395
; %bb.394:
	global_load_b64 v[6:7], v[8:9], off
	s_mov_b32 s31, -1
	s_mov_b32 s64, 0
	s_branch .LBB30_396
.LBB30_395:
	s_mov_b32 s64, -1
                                        ; implicit-def: $vgpr6_vgpr7
.LBB30_396:
	s_mov_b32 s38, 0
.LBB30_397:
	s_delay_alu instid0(SALU_CYCLE_1)
	s_and_b32 vcc_lo, exec_lo, s38
	s_cbranch_vccz .LBB30_413
; %bb.398:
	s_cmp_lt_i32 s1, 27
	s_cbranch_scc1 .LBB30_401
; %bb.399:
	s_cmp_gt_i32 s1, 27
	s_cbranch_scc0 .LBB30_402
; %bb.400:
	s_wait_loadcnt 0x0
	global_load_b32 v6, v[8:9], off
	v_mov_b32_e32 v7, 0
	s_mov_b32 s31, 0
	s_branch .LBB30_403
.LBB30_401:
	s_mov_b32 s31, -1
                                        ; implicit-def: $vgpr6_vgpr7
	s_branch .LBB30_406
.LBB30_402:
	s_mov_b32 s31, -1
                                        ; implicit-def: $vgpr6_vgpr7
.LBB30_403:
	s_delay_alu instid0(SALU_CYCLE_1)
	s_and_not1_b32 vcc_lo, exec_lo, s31
	s_cbranch_vccnz .LBB30_405
; %bb.404:
	s_wait_loadcnt 0x0
	global_load_u16 v6, v[8:9], off
	s_mov_b32 s31, 0
	s_delay_alu instid0(SALU_CYCLE_1)
	v_mov_b32_e32 v7, s31
	s_wait_loadcnt 0x0
	v_and_b32_e32 v6, 0xffff, v6
.LBB30_405:
	s_mov_b32 s31, 0
.LBB30_406:
	s_delay_alu instid0(SALU_CYCLE_1)
	s_and_not1_b32 vcc_lo, exec_lo, s31
	s_cbranch_vccnz .LBB30_412
; %bb.407:
	global_load_u8 v10, v[8:9], off
	s_mov_b32 s38, 0
	s_mov_b32 s31, exec_lo
	s_wait_loadcnt 0x0
	v_cmpx_lt_i16_e32 0x7f, v10
	s_xor_b32 s31, exec_lo, s31
	s_cbranch_execz .LBB30_424
; %bb.408:
	v_cmp_ne_u16_e32 vcc_lo, 0x80, v10
	s_and_b32 s38, vcc_lo, exec_lo
	s_and_not1_saveexec_b32 s31, s31
	s_cbranch_execnz .LBB30_425
.LBB30_409:
	s_or_b32 exec_lo, exec_lo, s31
	v_mov_b64_e32 v[6:7], 0
	s_and_saveexec_b32 s31, s38
	s_cbranch_execz .LBB30_411
.LBB30_410:
	v_and_b32_e32 v6, 0xffff, v10
	s_delay_alu instid0(VALU_DEP_1) | instskip(SKIP_1) | instid1(VALU_DEP_2)
	v_and_b32_e32 v7, 7, v6
	v_bfe_u32 v13, v6, 3, 4
	v_clz_i32_u32_e32 v11, v7
	s_delay_alu instid0(VALU_DEP_2) | instskip(NEXT) | instid1(VALU_DEP_2)
	v_cmp_eq_u32_e32 vcc_lo, 0, v13
	v_min_u32_e32 v11, 32, v11
	s_delay_alu instid0(VALU_DEP_1) | instskip(NEXT) | instid1(VALU_DEP_1)
	v_subrev_nc_u32_e32 v12, 28, v11
	v_dual_lshlrev_b32 v6, v12, v6 :: v_dual_sub_nc_u32 v11, 29, v11
	s_delay_alu instid0(VALU_DEP_1) | instskip(NEXT) | instid1(VALU_DEP_2)
	v_and_b32_e32 v6, 7, v6
	v_dual_cndmask_b32 v11, v13, v11 :: v_dual_lshlrev_b32 v10, 24, v10
	s_delay_alu instid0(VALU_DEP_2) | instskip(NEXT) | instid1(VALU_DEP_2)
	v_cndmask_b32_e32 v6, v7, v6, vcc_lo
	v_and_b32_e32 v7, 0x80000000, v10
	s_delay_alu instid0(VALU_DEP_3) | instskip(NEXT) | instid1(VALU_DEP_3)
	v_lshl_add_u32 v10, v11, 23, 0x3b800000
	v_lshlrev_b32_e32 v6, 20, v6
	s_delay_alu instid0(VALU_DEP_1) | instskip(NEXT) | instid1(VALU_DEP_1)
	v_or3_b32 v6, v7, v10, v6
	v_trunc_f32_e32 v6, v6
	s_delay_alu instid0(VALU_DEP_1) | instskip(NEXT) | instid1(VALU_DEP_1)
	v_mul_f32_e64 v7, 0x2f800000, |v6|
	v_floor_f32_e32 v7, v7
	s_delay_alu instid0(VALU_DEP_1) | instskip(SKIP_2) | instid1(VALU_DEP_3)
	v_fma_f32 v10, 0xcf800000, v7, |v6|
	v_ashrrev_i32_e32 v6, 31, v6
	v_cvt_u32_f32_e32 v11, v7
	v_cvt_u32_f32_e32 v10, v10
	s_delay_alu instid0(VALU_DEP_2) | instskip(NEXT) | instid1(VALU_DEP_2)
	v_dual_mov_b32 v7, v6 :: v_dual_bitop2_b32 v11, v11, v6 bitop3:0x14
	v_xor_b32_e32 v10, v10, v6
	s_delay_alu instid0(VALU_DEP_1)
	v_sub_nc_u64_e32 v[6:7], v[10:11], v[6:7]
.LBB30_411:
	s_or_b32 exec_lo, exec_lo, s31
.LBB30_412:
	s_mov_b32 s31, -1
.LBB30_413:
	s_mov_b32 s38, 0
.LBB30_414:
	s_delay_alu instid0(SALU_CYCLE_1)
	s_and_b32 vcc_lo, exec_lo, s38
	s_cbranch_vccz .LBB30_447
; %bb.415:
	s_cmp_gt_i32 s1, 22
	s_cbranch_scc0 .LBB30_423
; %bb.416:
	s_cmp_lt_i32 s1, 24
	s_cbranch_scc1 .LBB30_426
; %bb.417:
	s_cmp_gt_i32 s1, 24
	s_cbranch_scc0 .LBB30_427
; %bb.418:
	global_load_u8 v10, v[8:9], off
	s_mov_b32 s38, 0
	s_mov_b32 s31, exec_lo
	s_wait_loadcnt 0x0
	v_cmpx_lt_i16_e32 0x7f, v10
	s_xor_b32 s31, exec_lo, s31
	s_cbranch_execz .LBB30_439
; %bb.419:
	v_cmp_ne_u16_e32 vcc_lo, 0x80, v10
	s_and_b32 s38, vcc_lo, exec_lo
	s_and_not1_saveexec_b32 s31, s31
	s_cbranch_execnz .LBB30_440
.LBB30_420:
	s_or_b32 exec_lo, exec_lo, s31
	v_mov_b64_e32 v[6:7], 0
	s_and_saveexec_b32 s31, s38
	s_cbranch_execz .LBB30_422
.LBB30_421:
	v_and_b32_e32 v6, 0xffff, v10
	s_delay_alu instid0(VALU_DEP_1) | instskip(SKIP_1) | instid1(VALU_DEP_2)
	v_and_b32_e32 v7, 3, v6
	v_bfe_u32 v13, v6, 2, 5
	v_clz_i32_u32_e32 v11, v7
	s_delay_alu instid0(VALU_DEP_2) | instskip(NEXT) | instid1(VALU_DEP_2)
	v_cmp_eq_u32_e32 vcc_lo, 0, v13
	v_min_u32_e32 v11, 32, v11
	s_delay_alu instid0(VALU_DEP_1) | instskip(NEXT) | instid1(VALU_DEP_1)
	v_subrev_nc_u32_e32 v12, 29, v11
	v_dual_lshlrev_b32 v6, v12, v6 :: v_dual_sub_nc_u32 v11, 30, v11
	s_delay_alu instid0(VALU_DEP_1) | instskip(NEXT) | instid1(VALU_DEP_2)
	v_and_b32_e32 v6, 3, v6
	v_dual_cndmask_b32 v11, v13, v11 :: v_dual_lshlrev_b32 v10, 24, v10
	s_delay_alu instid0(VALU_DEP_2) | instskip(NEXT) | instid1(VALU_DEP_2)
	v_cndmask_b32_e32 v6, v7, v6, vcc_lo
	v_and_b32_e32 v7, 0x80000000, v10
	s_delay_alu instid0(VALU_DEP_3) | instskip(NEXT) | instid1(VALU_DEP_3)
	v_lshl_add_u32 v10, v11, 23, 0x37800000
	v_lshlrev_b32_e32 v6, 21, v6
	s_delay_alu instid0(VALU_DEP_1) | instskip(NEXT) | instid1(VALU_DEP_1)
	v_or3_b32 v6, v7, v10, v6
	v_trunc_f32_e32 v6, v6
	s_delay_alu instid0(VALU_DEP_1) | instskip(NEXT) | instid1(VALU_DEP_1)
	v_mul_f32_e64 v7, 0x2f800000, |v6|
	v_floor_f32_e32 v7, v7
	s_delay_alu instid0(VALU_DEP_1) | instskip(SKIP_2) | instid1(VALU_DEP_3)
	v_fma_f32 v10, 0xcf800000, v7, |v6|
	v_ashrrev_i32_e32 v6, 31, v6
	v_cvt_u32_f32_e32 v11, v7
	v_cvt_u32_f32_e32 v10, v10
	s_delay_alu instid0(VALU_DEP_2) | instskip(NEXT) | instid1(VALU_DEP_2)
	v_dual_mov_b32 v7, v6 :: v_dual_bitop2_b32 v11, v11, v6 bitop3:0x14
	v_xor_b32_e32 v10, v10, v6
	s_delay_alu instid0(VALU_DEP_1)
	v_sub_nc_u64_e32 v[6:7], v[10:11], v[6:7]
.LBB30_422:
	s_or_b32 exec_lo, exec_lo, s31
	s_mov_b32 s31, 0
	s_branch .LBB30_428
.LBB30_423:
	s_mov_b32 s38, -1
                                        ; implicit-def: $vgpr6_vgpr7
	s_branch .LBB30_434
.LBB30_424:
	s_and_not1_saveexec_b32 s31, s31
	s_cbranch_execz .LBB30_409
.LBB30_425:
	v_cmp_ne_u16_e32 vcc_lo, 0, v10
	s_and_not1_b32 s38, s38, exec_lo
	s_and_b32 s39, vcc_lo, exec_lo
	s_delay_alu instid0(SALU_CYCLE_1)
	s_or_b32 s38, s38, s39
	s_or_b32 exec_lo, exec_lo, s31
	v_mov_b64_e32 v[6:7], 0
	s_and_saveexec_b32 s31, s38
	s_cbranch_execnz .LBB30_410
	s_branch .LBB30_411
.LBB30_426:
	s_mov_b32 s31, -1
                                        ; implicit-def: $vgpr6_vgpr7
	s_branch .LBB30_431
.LBB30_427:
	s_mov_b32 s31, -1
                                        ; implicit-def: $vgpr6_vgpr7
.LBB30_428:
	s_delay_alu instid0(SALU_CYCLE_1)
	s_and_b32 vcc_lo, exec_lo, s31
	s_cbranch_vccz .LBB30_430
; %bb.429:
	s_wait_loadcnt 0x0
	global_load_u8 v6, v[8:9], off
	s_wait_loadcnt 0x0
	v_lshlrev_b32_e32 v6, 24, v6
	s_delay_alu instid0(VALU_DEP_1) | instskip(NEXT) | instid1(VALU_DEP_1)
	v_and_b32_e32 v7, 0x7f000000, v6
	v_clz_i32_u32_e32 v10, v7
	v_cmp_ne_u32_e32 vcc_lo, 0, v7
	v_add_nc_u32_e32 v12, 0x1000000, v7
	s_delay_alu instid0(VALU_DEP_3) | instskip(NEXT) | instid1(VALU_DEP_1)
	v_min_u32_e32 v10, 32, v10
	v_sub_nc_u32_e64 v10, v10, 4 clamp
	s_delay_alu instid0(VALU_DEP_1) | instskip(NEXT) | instid1(VALU_DEP_1)
	v_dual_lshlrev_b32 v11, v10, v7 :: v_dual_lshlrev_b32 v10, 23, v10
	v_lshrrev_b32_e32 v11, 4, v11
	s_delay_alu instid0(VALU_DEP_1) | instskip(NEXT) | instid1(VALU_DEP_1)
	v_dual_sub_nc_u32 v10, v11, v10 :: v_dual_ashrrev_i32 v11, 8, v12
	v_add_nc_u32_e32 v10, 0x3c000000, v10
	s_delay_alu instid0(VALU_DEP_1) | instskip(NEXT) | instid1(VALU_DEP_1)
	v_and_or_b32 v10, 0x7f800000, v11, v10
	v_cndmask_b32_e32 v7, 0, v10, vcc_lo
	s_delay_alu instid0(VALU_DEP_1) | instskip(NEXT) | instid1(VALU_DEP_1)
	v_and_or_b32 v6, 0x80000000, v6, v7
	v_trunc_f32_e32 v6, v6
	s_delay_alu instid0(VALU_DEP_1) | instskip(NEXT) | instid1(VALU_DEP_1)
	v_mul_f32_e64 v7, 0x2f800000, |v6|
	v_floor_f32_e32 v7, v7
	s_delay_alu instid0(VALU_DEP_1) | instskip(SKIP_2) | instid1(VALU_DEP_3)
	v_fma_f32 v10, 0xcf800000, v7, |v6|
	v_ashrrev_i32_e32 v6, 31, v6
	v_cvt_u32_f32_e32 v11, v7
	v_cvt_u32_f32_e32 v10, v10
	s_delay_alu instid0(VALU_DEP_2) | instskip(NEXT) | instid1(VALU_DEP_2)
	v_dual_mov_b32 v7, v6 :: v_dual_bitop2_b32 v11, v11, v6 bitop3:0x14
	v_xor_b32_e32 v10, v10, v6
	s_delay_alu instid0(VALU_DEP_1)
	v_sub_nc_u64_e32 v[6:7], v[10:11], v[6:7]
.LBB30_430:
	s_mov_b32 s31, 0
.LBB30_431:
	s_delay_alu instid0(SALU_CYCLE_1)
	s_and_not1_b32 vcc_lo, exec_lo, s31
	s_cbranch_vccnz .LBB30_433
; %bb.432:
	s_wait_loadcnt 0x0
	global_load_u8 v6, v[8:9], off
	s_wait_loadcnt 0x0
	v_lshlrev_b32_e32 v7, 25, v6
	v_lshlrev_b16 v6, 8, v6
	s_delay_alu instid0(VALU_DEP_1) | instskip(SKIP_1) | instid1(VALU_DEP_2)
	v_and_or_b32 v11, 0x7f00, v6, 0.5
	v_bfe_i32 v6, v6, 0, 16
	v_add_f32_e32 v11, -0.5, v11
	v_lshrrev_b32_e32 v10, 4, v7
	v_cmp_gt_u32_e32 vcc_lo, 0x8000000, v7
	s_delay_alu instid0(VALU_DEP_2) | instskip(NEXT) | instid1(VALU_DEP_1)
	v_or_b32_e32 v10, 0x70000000, v10
	v_mul_f32_e32 v10, 0x7800000, v10
	s_delay_alu instid0(VALU_DEP_1) | instskip(NEXT) | instid1(VALU_DEP_1)
	v_cndmask_b32_e32 v7, v10, v11, vcc_lo
	v_and_or_b32 v6, 0x80000000, v6, v7
	s_delay_alu instid0(VALU_DEP_1) | instskip(NEXT) | instid1(VALU_DEP_1)
	v_trunc_f32_e32 v6, v6
	v_mul_f32_e64 v7, 0x2f800000, |v6|
	s_delay_alu instid0(VALU_DEP_1) | instskip(NEXT) | instid1(VALU_DEP_1)
	v_floor_f32_e32 v7, v7
	v_fma_f32 v10, 0xcf800000, v7, |v6|
	v_ashrrev_i32_e32 v6, 31, v6
	v_cvt_u32_f32_e32 v11, v7
	s_delay_alu instid0(VALU_DEP_3) | instskip(NEXT) | instid1(VALU_DEP_2)
	v_cvt_u32_f32_e32 v10, v10
	v_dual_mov_b32 v7, v6 :: v_dual_bitop2_b32 v11, v11, v6 bitop3:0x14
	s_delay_alu instid0(VALU_DEP_2) | instskip(NEXT) | instid1(VALU_DEP_1)
	v_xor_b32_e32 v10, v10, v6
	v_sub_nc_u64_e32 v[6:7], v[10:11], v[6:7]
.LBB30_433:
	s_mov_b32 s38, 0
	s_mov_b32 s31, -1
.LBB30_434:
	s_and_not1_b32 vcc_lo, exec_lo, s38
	s_cbranch_vccnz .LBB30_447
; %bb.435:
	s_cmp_gt_i32 s1, 14
	s_cbranch_scc0 .LBB30_438
; %bb.436:
	s_cmp_eq_u32 s1, 15
	s_cbranch_scc0 .LBB30_441
; %bb.437:
	s_wait_loadcnt 0x0
	global_load_u16 v6, v[8:9], off
	s_mov_b32 s31, -1
	s_mov_b32 s64, 0
	s_wait_loadcnt 0x0
	v_lshlrev_b32_e32 v6, 16, v6
	s_delay_alu instid0(VALU_DEP_1) | instskip(NEXT) | instid1(VALU_DEP_1)
	v_trunc_f32_e32 v6, v6
	v_mul_f32_e64 v7, 0x2f800000, |v6|
	s_delay_alu instid0(VALU_DEP_1) | instskip(NEXT) | instid1(VALU_DEP_1)
	v_floor_f32_e32 v7, v7
	v_fma_f32 v10, 0xcf800000, v7, |v6|
	v_ashrrev_i32_e32 v6, 31, v6
	v_cvt_u32_f32_e32 v11, v7
	s_delay_alu instid0(VALU_DEP_3) | instskip(NEXT) | instid1(VALU_DEP_2)
	v_cvt_u32_f32_e32 v10, v10
	v_dual_mov_b32 v7, v6 :: v_dual_bitop2_b32 v11, v11, v6 bitop3:0x14
	s_delay_alu instid0(VALU_DEP_2) | instskip(NEXT) | instid1(VALU_DEP_1)
	v_xor_b32_e32 v10, v10, v6
	v_sub_nc_u64_e32 v[6:7], v[10:11], v[6:7]
	s_branch .LBB30_442
.LBB30_438:
	s_mov_b32 s38, -1
                                        ; implicit-def: $vgpr6_vgpr7
	s_branch .LBB30_443
.LBB30_439:
	s_and_not1_saveexec_b32 s31, s31
	s_cbranch_execz .LBB30_420
.LBB30_440:
	v_cmp_ne_u16_e32 vcc_lo, 0, v10
	s_and_not1_b32 s38, s38, exec_lo
	s_and_b32 s39, vcc_lo, exec_lo
	s_delay_alu instid0(SALU_CYCLE_1)
	s_or_b32 s38, s38, s39
	s_or_b32 exec_lo, exec_lo, s31
	v_mov_b64_e32 v[6:7], 0
	s_and_saveexec_b32 s31, s38
	s_cbranch_execnz .LBB30_421
	s_branch .LBB30_422
.LBB30_441:
	s_mov_b32 s64, -1
                                        ; implicit-def: $vgpr6_vgpr7
.LBB30_442:
	s_mov_b32 s38, 0
.LBB30_443:
	s_delay_alu instid0(SALU_CYCLE_1)
	s_and_b32 vcc_lo, exec_lo, s38
	s_cbranch_vccz .LBB30_447
; %bb.444:
	s_cmp_eq_u32 s1, 11
	s_cbranch_scc0 .LBB30_446
; %bb.445:
	s_wait_loadcnt 0x0
	global_load_u8 v6, v[8:9], off
	s_mov_b32 s64, 0
	s_mov_b32 s31, -1
	v_mov_b32_e32 v7, s64
	s_wait_loadcnt 0x0
	v_cmp_ne_u16_e32 vcc_lo, 0, v6
	v_cndmask_b32_e64 v6, 0, 1, vcc_lo
	s_branch .LBB30_447
.LBB30_446:
	s_mov_b32 s64, -1
                                        ; implicit-def: $vgpr6_vgpr7
.LBB30_447:
	s_mov_b32 s1, 0
.LBB30_448:
	s_delay_alu instid0(SALU_CYCLE_1)
	s_and_b32 vcc_lo, exec_lo, s1
	s_cbranch_vccz .LBB30_497
; %bb.449:
	s_and_b32 s0, 0xffff, s0
	s_delay_alu instid0(SALU_CYCLE_1)
	s_cmp_lt_i32 s0, 5
	s_cbranch_scc1 .LBB30_454
; %bb.450:
	s_cmp_lt_i32 s0, 8
	s_cbranch_scc1 .LBB30_455
; %bb.451:
	;; [unrolled: 3-line block ×3, first 2 shown]
	s_cmp_gt_i32 s0, 9
	s_cbranch_scc0 .LBB30_457
; %bb.453:
	s_wait_loadcnt 0x0
	global_load_b64 v[6:7], v[8:9], off
	s_mov_b32 s1, 0
	s_wait_loadcnt 0x0
	v_trunc_f64_e32 v[6:7], v[6:7]
	s_delay_alu instid0(VALU_DEP_1) | instskip(NEXT) | instid1(VALU_DEP_1)
	v_ldexp_f64 v[10:11], v[6:7], 0xffffffe0
	v_floor_f64_e32 v[10:11], v[10:11]
	s_delay_alu instid0(VALU_DEP_1) | instskip(SKIP_1) | instid1(VALU_DEP_2)
	v_fmamk_f64 v[12:13], v[10:11], 0xc1f00000, v[6:7]
	v_cvt_i32_f64_e32 v7, v[10:11]
	v_cvt_u32_f64_e32 v6, v[12:13]
	s_branch .LBB30_458
.LBB30_454:
	s_mov_b32 s1, -1
                                        ; implicit-def: $vgpr6_vgpr7
	s_branch .LBB30_476
.LBB30_455:
	s_mov_b32 s1, -1
                                        ; implicit-def: $vgpr6_vgpr7
	s_branch .LBB30_464
.LBB30_456:
	s_mov_b32 s1, -1
                                        ; implicit-def: $vgpr6_vgpr7
	s_branch .LBB30_461
.LBB30_457:
	s_mov_b32 s1, -1
                                        ; implicit-def: $vgpr6_vgpr7
.LBB30_458:
	s_delay_alu instid0(SALU_CYCLE_1)
	s_and_not1_b32 vcc_lo, exec_lo, s1
	s_cbranch_vccnz .LBB30_460
; %bb.459:
	s_wait_loadcnt 0x0
	global_load_b32 v6, v[8:9], off
	s_wait_loadcnt 0x0
	v_trunc_f32_e32 v6, v6
	s_delay_alu instid0(VALU_DEP_1) | instskip(NEXT) | instid1(VALU_DEP_1)
	v_mul_f32_e64 v7, 0x2f800000, |v6|
	v_floor_f32_e32 v7, v7
	s_delay_alu instid0(VALU_DEP_1) | instskip(SKIP_2) | instid1(VALU_DEP_3)
	v_fma_f32 v10, 0xcf800000, v7, |v6|
	v_ashrrev_i32_e32 v6, 31, v6
	v_cvt_u32_f32_e32 v11, v7
	v_cvt_u32_f32_e32 v10, v10
	s_delay_alu instid0(VALU_DEP_2) | instskip(NEXT) | instid1(VALU_DEP_2)
	v_dual_mov_b32 v7, v6 :: v_dual_bitop2_b32 v11, v11, v6 bitop3:0x14
	v_xor_b32_e32 v10, v10, v6
	s_delay_alu instid0(VALU_DEP_1)
	v_sub_nc_u64_e32 v[6:7], v[10:11], v[6:7]
.LBB30_460:
	s_mov_b32 s1, 0
.LBB30_461:
	s_delay_alu instid0(SALU_CYCLE_1)
	s_and_not1_b32 vcc_lo, exec_lo, s1
	s_cbranch_vccnz .LBB30_463
; %bb.462:
	s_wait_loadcnt 0x0
	global_load_b32 v6, v[8:9], off
	s_wait_loadcnt 0x0
	v_cvt_f32_f16_e32 v6, v6
	s_delay_alu instid0(VALU_DEP_1) | instskip(NEXT) | instid1(VALU_DEP_1)
	v_cvt_i32_f32_e32 v6, v6
	v_ashrrev_i32_e32 v7, 31, v6
.LBB30_463:
	s_mov_b32 s1, 0
.LBB30_464:
	s_delay_alu instid0(SALU_CYCLE_1)
	s_and_not1_b32 vcc_lo, exec_lo, s1
	s_cbranch_vccnz .LBB30_475
; %bb.465:
	s_cmp_lt_i32 s0, 6
	s_cbranch_scc1 .LBB30_468
; %bb.466:
	s_cmp_gt_i32 s0, 6
	s_cbranch_scc0 .LBB30_469
; %bb.467:
	s_wait_loadcnt 0x0
	global_load_b64 v[6:7], v[8:9], off
	s_mov_b32 s1, 0
	s_wait_loadcnt 0x0
	v_trunc_f64_e32 v[6:7], v[6:7]
	s_delay_alu instid0(VALU_DEP_1) | instskip(NEXT) | instid1(VALU_DEP_1)
	v_ldexp_f64 v[10:11], v[6:7], 0xffffffe0
	v_floor_f64_e32 v[10:11], v[10:11]
	s_delay_alu instid0(VALU_DEP_1) | instskip(SKIP_1) | instid1(VALU_DEP_2)
	v_fmamk_f64 v[12:13], v[10:11], 0xc1f00000, v[6:7]
	v_cvt_i32_f64_e32 v7, v[10:11]
	v_cvt_u32_f64_e32 v6, v[12:13]
	s_branch .LBB30_470
.LBB30_468:
	s_mov_b32 s1, -1
                                        ; implicit-def: $vgpr6_vgpr7
	s_branch .LBB30_473
.LBB30_469:
	s_mov_b32 s1, -1
                                        ; implicit-def: $vgpr6_vgpr7
.LBB30_470:
	s_delay_alu instid0(SALU_CYCLE_1)
	s_and_not1_b32 vcc_lo, exec_lo, s1
	s_cbranch_vccnz .LBB30_472
; %bb.471:
	s_wait_loadcnt 0x0
	global_load_b32 v6, v[8:9], off
	s_wait_loadcnt 0x0
	v_trunc_f32_e32 v6, v6
	s_delay_alu instid0(VALU_DEP_1) | instskip(NEXT) | instid1(VALU_DEP_1)
	v_mul_f32_e64 v7, 0x2f800000, |v6|
	v_floor_f32_e32 v7, v7
	s_delay_alu instid0(VALU_DEP_1) | instskip(SKIP_2) | instid1(VALU_DEP_3)
	v_fma_f32 v10, 0xcf800000, v7, |v6|
	v_ashrrev_i32_e32 v6, 31, v6
	v_cvt_u32_f32_e32 v11, v7
	v_cvt_u32_f32_e32 v10, v10
	s_delay_alu instid0(VALU_DEP_2) | instskip(NEXT) | instid1(VALU_DEP_2)
	v_dual_mov_b32 v7, v6 :: v_dual_bitop2_b32 v11, v11, v6 bitop3:0x14
	v_xor_b32_e32 v10, v10, v6
	s_delay_alu instid0(VALU_DEP_1)
	v_sub_nc_u64_e32 v[6:7], v[10:11], v[6:7]
.LBB30_472:
	s_mov_b32 s1, 0
.LBB30_473:
	s_delay_alu instid0(SALU_CYCLE_1)
	s_and_not1_b32 vcc_lo, exec_lo, s1
	s_cbranch_vccnz .LBB30_475
; %bb.474:
	s_wait_loadcnt 0x0
	global_load_u16 v6, v[8:9], off
	s_wait_loadcnt 0x0
	v_cvt_f32_f16_e32 v6, v6
	s_delay_alu instid0(VALU_DEP_1) | instskip(NEXT) | instid1(VALU_DEP_1)
	v_cvt_i32_f32_e32 v6, v6
	v_ashrrev_i32_e32 v7, 31, v6
.LBB30_475:
	s_mov_b32 s1, 0
.LBB30_476:
	s_delay_alu instid0(SALU_CYCLE_1)
	s_and_not1_b32 vcc_lo, exec_lo, s1
	s_cbranch_vccnz .LBB30_496
; %bb.477:
	s_cmp_lt_i32 s0, 2
	s_cbranch_scc1 .LBB30_481
; %bb.478:
	s_cmp_lt_i32 s0, 3
	s_cbranch_scc1 .LBB30_482
; %bb.479:
	s_cmp_gt_i32 s0, 3
	s_cbranch_scc0 .LBB30_483
; %bb.480:
	s_wait_loadcnt 0x0
	global_load_b64 v[6:7], v[8:9], off
	s_mov_b32 s1, 0
	s_branch .LBB30_484
.LBB30_481:
	s_mov_b32 s1, -1
                                        ; implicit-def: $vgpr6_vgpr7
	s_branch .LBB30_490
.LBB30_482:
	s_mov_b32 s1, -1
                                        ; implicit-def: $vgpr6_vgpr7
	s_branch .LBB30_487
.LBB30_483:
	s_mov_b32 s1, -1
                                        ; implicit-def: $vgpr6_vgpr7
.LBB30_484:
	s_delay_alu instid0(SALU_CYCLE_1)
	s_and_not1_b32 vcc_lo, exec_lo, s1
	s_cbranch_vccnz .LBB30_486
; %bb.485:
	s_wait_loadcnt 0x0
	global_load_b32 v6, v[8:9], off
	s_wait_loadcnt 0x0
	v_ashrrev_i32_e32 v7, 31, v6
.LBB30_486:
	s_mov_b32 s1, 0
.LBB30_487:
	s_delay_alu instid0(SALU_CYCLE_1)
	s_and_not1_b32 vcc_lo, exec_lo, s1
	s_cbranch_vccnz .LBB30_489
; %bb.488:
	s_wait_loadcnt 0x0
	global_load_u16 v6, v[8:9], off
	s_wait_loadcnt 0x0
	v_bfe_i32 v6, v6, 0, 16
	s_delay_alu instid0(VALU_DEP_1)
	v_ashrrev_i32_e32 v7, 31, v6
.LBB30_489:
	s_mov_b32 s1, 0
.LBB30_490:
	s_delay_alu instid0(SALU_CYCLE_1)
	s_and_not1_b32 vcc_lo, exec_lo, s1
	s_cbranch_vccnz .LBB30_496
; %bb.491:
	s_cmp_gt_i32 s0, 0
	s_mov_b32 s0, 0
	s_cbranch_scc0 .LBB30_493
; %bb.492:
	s_wait_loadcnt 0x0
	global_load_i8 v6, v[8:9], off
	s_wait_loadcnt 0x0
	v_bfe_i32 v6, v6, 0, 16
	s_delay_alu instid0(VALU_DEP_1)
	v_ashrrev_i32_e32 v7, 31, v6
	s_branch .LBB30_494
.LBB30_493:
	s_mov_b32 s0, -1
                                        ; implicit-def: $vgpr6_vgpr7
.LBB30_494:
	s_delay_alu instid0(SALU_CYCLE_1)
	s_and_not1_b32 vcc_lo, exec_lo, s0
	s_cbranch_vccnz .LBB30_496
; %bb.495:
	s_wait_loadcnt 0x0
	global_load_u8 v6, v[8:9], off
	s_mov_b32 s0, 0
	s_delay_alu instid0(SALU_CYCLE_1)
	v_mov_b32_e32 v7, s0
	s_wait_loadcnt 0x0
	v_and_b32_e32 v6, 0xffff, v6
.LBB30_496:
	s_mov_b32 s31, -1
.LBB30_497:
	s_delay_alu instid0(SALU_CYCLE_1)
	s_and_not1_b32 vcc_lo, exec_lo, s31
	s_cbranch_vccnz .LBB30_628
; %bb.498:
	s_wait_xcnt 0x0
	v_mul_lo_u32 v8, s53, v26
	s_and_b32 s0, s54, 0xff
	s_delay_alu instid0(SALU_CYCLE_1) | instskip(NEXT) | instid1(VALU_DEP_1)
	s_cmp_lt_i32 s0, 11
	v_ashrrev_i32_e32 v9, 31, v8
	s_delay_alu instid0(VALU_DEP_1)
	v_add_nc_u64_e32 v[8:9], s[34:35], v[8:9]
	s_cbranch_scc1 .LBB30_505
; %bb.499:
	s_and_b32 s1, 0xffff, s0
	s_delay_alu instid0(SALU_CYCLE_1)
	s_cmp_gt_i32 s1, 25
	s_cbranch_scc0 .LBB30_506
; %bb.500:
	s_cmp_gt_i32 s1, 28
	s_cbranch_scc0 .LBB30_507
; %bb.501:
	;; [unrolled: 3-line block ×4, first 2 shown]
	s_cmp_eq_u32 s1, 46
	s_mov_b32 s38, 0
	s_cbranch_scc0 .LBB30_510
; %bb.504:
	global_load_b32 v10, v[8:9], off
	s_mov_b32 s31, -1
	s_wait_loadcnt 0x0
	v_lshlrev_b32_e32 v10, 16, v10
	s_delay_alu instid0(VALU_DEP_1) | instskip(NEXT) | instid1(VALU_DEP_1)
	v_trunc_f32_e32 v10, v10
	v_mul_f32_e64 v11, 0x2f800000, |v10|
	s_delay_alu instid0(VALU_DEP_1) | instskip(NEXT) | instid1(VALU_DEP_1)
	v_floor_f32_e32 v11, v11
	v_fma_f32 v12, 0xcf800000, v11, |v10|
	v_ashrrev_i32_e32 v10, 31, v10
	v_cvt_u32_f32_e32 v13, v11
	s_delay_alu instid0(VALU_DEP_3) | instskip(NEXT) | instid1(VALU_DEP_2)
	v_cvt_u32_f32_e32 v12, v12
	v_dual_mov_b32 v11, v10 :: v_dual_bitop2_b32 v13, v13, v10 bitop3:0x14
	s_delay_alu instid0(VALU_DEP_2) | instskip(NEXT) | instid1(VALU_DEP_1)
	v_xor_b32_e32 v12, v12, v10
	v_sub_nc_u64_e32 v[10:11], v[12:13], v[10:11]
	s_branch .LBB30_512
.LBB30_505:
	s_mov_b32 s1, -1
	s_mov_b32 s31, 0
                                        ; implicit-def: $vgpr10_vgpr11
	s_branch .LBB30_573
.LBB30_506:
	s_mov_b32 s38, -1
	s_mov_b32 s31, 0
                                        ; implicit-def: $vgpr10_vgpr11
	s_branch .LBB30_539
.LBB30_507:
	s_mov_b32 s38, -1
	s_mov_b32 s31, 0
                                        ; implicit-def: $vgpr10_vgpr11
	s_branch .LBB30_522
.LBB30_508:
	s_mov_b32 s38, -1
	s_mov_b32 s31, 0
                                        ; implicit-def: $vgpr10_vgpr11
	s_branch .LBB30_517
.LBB30_509:
	s_mov_b32 s38, -1
	s_branch .LBB30_511
.LBB30_510:
	s_mov_b32 s63, -1
.LBB30_511:
	s_mov_b32 s31, 0
                                        ; implicit-def: $vgpr10_vgpr11
.LBB30_512:
	s_and_b32 vcc_lo, exec_lo, s38
	s_cbranch_vccz .LBB30_516
; %bb.513:
	s_cmp_eq_u32 s1, 44
	s_cbranch_scc0 .LBB30_515
; %bb.514:
	global_load_u8 v14, v[8:9], off
	s_mov_b32 s63, 0
	s_mov_b32 s31, -1
	s_wait_loadcnt 0x0
	v_cmp_ne_u32_e32 vcc_lo, 0, v14
	v_lshlrev_b32_e32 v10, 23, v14
	s_delay_alu instid0(VALU_DEP_1) | instskip(NEXT) | instid1(VALU_DEP_1)
	v_trunc_f32_e32 v10, v10
	v_mul_f32_e64 v11, 0x2f800000, |v10|
	s_delay_alu instid0(VALU_DEP_1) | instskip(NEXT) | instid1(VALU_DEP_1)
	v_floor_f32_e32 v11, v11
	v_fma_f32 v12, 0xcf800000, v11, |v10|
	v_ashrrev_i32_e32 v10, 31, v10
	v_cvt_u32_f32_e32 v13, v11
	s_delay_alu instid0(VALU_DEP_3) | instskip(NEXT) | instid1(VALU_DEP_2)
	v_cvt_u32_f32_e32 v12, v12
	v_dual_mov_b32 v11, v10 :: v_dual_bitop2_b32 v13, v13, v10 bitop3:0x14
	s_delay_alu instid0(VALU_DEP_2) | instskip(NEXT) | instid1(VALU_DEP_1)
	v_xor_b32_e32 v12, v12, v10
	v_sub_nc_u64_e32 v[10:11], v[12:13], v[10:11]
	s_delay_alu instid0(VALU_DEP_1)
	v_dual_cndmask_b32 v11, 0, v11 :: v_dual_cndmask_b32 v10, 0, v10
	s_branch .LBB30_516
.LBB30_515:
	s_mov_b32 s63, -1
                                        ; implicit-def: $vgpr10_vgpr11
.LBB30_516:
	s_mov_b32 s38, 0
.LBB30_517:
	s_delay_alu instid0(SALU_CYCLE_1)
	s_and_b32 vcc_lo, exec_lo, s38
	s_cbranch_vccz .LBB30_521
; %bb.518:
	s_cmp_eq_u32 s1, 29
	s_cbranch_scc0 .LBB30_520
; %bb.519:
	global_load_b64 v[10:11], v[8:9], off
	s_mov_b32 s31, -1
	s_mov_b32 s63, 0
	s_branch .LBB30_521
.LBB30_520:
	s_mov_b32 s63, -1
                                        ; implicit-def: $vgpr10_vgpr11
.LBB30_521:
	s_mov_b32 s38, 0
.LBB30_522:
	s_delay_alu instid0(SALU_CYCLE_1)
	s_and_b32 vcc_lo, exec_lo, s38
	s_cbranch_vccz .LBB30_538
; %bb.523:
	s_cmp_lt_i32 s1, 27
	s_cbranch_scc1 .LBB30_526
; %bb.524:
	s_cmp_gt_i32 s1, 27
	s_cbranch_scc0 .LBB30_527
; %bb.525:
	s_wait_loadcnt 0x0
	global_load_b32 v10, v[8:9], off
	v_mov_b32_e32 v11, 0
	s_mov_b32 s31, 0
	s_branch .LBB30_528
.LBB30_526:
	s_mov_b32 s31, -1
                                        ; implicit-def: $vgpr10_vgpr11
	s_branch .LBB30_531
.LBB30_527:
	s_mov_b32 s31, -1
                                        ; implicit-def: $vgpr10_vgpr11
.LBB30_528:
	s_delay_alu instid0(SALU_CYCLE_1)
	s_and_not1_b32 vcc_lo, exec_lo, s31
	s_cbranch_vccnz .LBB30_530
; %bb.529:
	s_wait_loadcnt 0x0
	global_load_u16 v10, v[8:9], off
	s_mov_b32 s31, 0
	s_delay_alu instid0(SALU_CYCLE_1)
	v_mov_b32_e32 v11, s31
	s_wait_loadcnt 0x0
	v_and_b32_e32 v10, 0xffff, v10
.LBB30_530:
	s_mov_b32 s31, 0
.LBB30_531:
	s_delay_alu instid0(SALU_CYCLE_1)
	s_and_not1_b32 vcc_lo, exec_lo, s31
	s_cbranch_vccnz .LBB30_537
; %bb.532:
	global_load_u8 v12, v[8:9], off
	s_mov_b32 s38, 0
	s_mov_b32 s31, exec_lo
	s_wait_loadcnt 0x0
	v_cmpx_lt_i16_e32 0x7f, v12
	s_xor_b32 s31, exec_lo, s31
	s_cbranch_execz .LBB30_549
; %bb.533:
	v_cmp_ne_u16_e32 vcc_lo, 0x80, v12
	s_and_b32 s38, vcc_lo, exec_lo
	s_and_not1_saveexec_b32 s31, s31
	s_cbranch_execnz .LBB30_550
.LBB30_534:
	s_or_b32 exec_lo, exec_lo, s31
	v_mov_b64_e32 v[10:11], 0
	s_and_saveexec_b32 s31, s38
	s_cbranch_execz .LBB30_536
.LBB30_535:
	v_and_b32_e32 v10, 0xffff, v12
	s_delay_alu instid0(VALU_DEP_1) | instskip(SKIP_1) | instid1(VALU_DEP_2)
	v_and_b32_e32 v11, 7, v10
	v_bfe_u32 v15, v10, 3, 4
	v_clz_i32_u32_e32 v13, v11
	s_delay_alu instid0(VALU_DEP_2) | instskip(NEXT) | instid1(VALU_DEP_2)
	v_cmp_eq_u32_e32 vcc_lo, 0, v15
	v_min_u32_e32 v13, 32, v13
	s_delay_alu instid0(VALU_DEP_1) | instskip(NEXT) | instid1(VALU_DEP_1)
	v_subrev_nc_u32_e32 v14, 28, v13
	v_dual_lshlrev_b32 v10, v14, v10 :: v_dual_sub_nc_u32 v13, 29, v13
	s_delay_alu instid0(VALU_DEP_1) | instskip(NEXT) | instid1(VALU_DEP_2)
	v_dual_lshlrev_b32 v12, 24, v12 :: v_dual_bitop2_b32 v10, 7, v10 bitop3:0x40
	v_cndmask_b32_e32 v13, v15, v13, vcc_lo
	s_delay_alu instid0(VALU_DEP_2) | instskip(NEXT) | instid1(VALU_DEP_3)
	v_cndmask_b32_e32 v10, v11, v10, vcc_lo
	v_and_b32_e32 v11, 0x80000000, v12
	s_delay_alu instid0(VALU_DEP_3) | instskip(NEXT) | instid1(VALU_DEP_3)
	v_lshl_add_u32 v12, v13, 23, 0x3b800000
	v_lshlrev_b32_e32 v10, 20, v10
	s_delay_alu instid0(VALU_DEP_1) | instskip(NEXT) | instid1(VALU_DEP_1)
	v_or3_b32 v10, v11, v12, v10
	v_trunc_f32_e32 v10, v10
	s_delay_alu instid0(VALU_DEP_1) | instskip(NEXT) | instid1(VALU_DEP_1)
	v_mul_f32_e64 v11, 0x2f800000, |v10|
	v_floor_f32_e32 v11, v11
	s_delay_alu instid0(VALU_DEP_1) | instskip(SKIP_2) | instid1(VALU_DEP_3)
	v_fma_f32 v12, 0xcf800000, v11, |v10|
	v_ashrrev_i32_e32 v10, 31, v10
	v_cvt_u32_f32_e32 v13, v11
	v_cvt_u32_f32_e32 v12, v12
	s_delay_alu instid0(VALU_DEP_2) | instskip(NEXT) | instid1(VALU_DEP_2)
	v_dual_mov_b32 v11, v10 :: v_dual_bitop2_b32 v13, v13, v10 bitop3:0x14
	v_xor_b32_e32 v12, v12, v10
	s_delay_alu instid0(VALU_DEP_1)
	v_sub_nc_u64_e32 v[10:11], v[12:13], v[10:11]
.LBB30_536:
	s_or_b32 exec_lo, exec_lo, s31
.LBB30_537:
	s_mov_b32 s31, -1
.LBB30_538:
	s_mov_b32 s38, 0
.LBB30_539:
	s_delay_alu instid0(SALU_CYCLE_1)
	s_and_b32 vcc_lo, exec_lo, s38
	s_cbranch_vccz .LBB30_572
; %bb.540:
	s_cmp_gt_i32 s1, 22
	s_cbranch_scc0 .LBB30_548
; %bb.541:
	s_cmp_lt_i32 s1, 24
	s_cbranch_scc1 .LBB30_551
; %bb.542:
	s_cmp_gt_i32 s1, 24
	s_cbranch_scc0 .LBB30_552
; %bb.543:
	global_load_u8 v12, v[8:9], off
	s_mov_b32 s38, 0
	s_mov_b32 s31, exec_lo
	s_wait_loadcnt 0x0
	v_cmpx_lt_i16_e32 0x7f, v12
	s_xor_b32 s31, exec_lo, s31
	s_cbranch_execz .LBB30_564
; %bb.544:
	v_cmp_ne_u16_e32 vcc_lo, 0x80, v12
	s_and_b32 s38, vcc_lo, exec_lo
	s_and_not1_saveexec_b32 s31, s31
	s_cbranch_execnz .LBB30_565
.LBB30_545:
	s_or_b32 exec_lo, exec_lo, s31
	v_mov_b64_e32 v[10:11], 0
	s_and_saveexec_b32 s31, s38
	s_cbranch_execz .LBB30_547
.LBB30_546:
	v_and_b32_e32 v10, 0xffff, v12
	s_delay_alu instid0(VALU_DEP_1) | instskip(SKIP_1) | instid1(VALU_DEP_2)
	v_and_b32_e32 v11, 3, v10
	v_bfe_u32 v15, v10, 2, 5
	v_clz_i32_u32_e32 v13, v11
	s_delay_alu instid0(VALU_DEP_2) | instskip(NEXT) | instid1(VALU_DEP_2)
	v_cmp_eq_u32_e32 vcc_lo, 0, v15
	v_min_u32_e32 v13, 32, v13
	s_delay_alu instid0(VALU_DEP_1) | instskip(NEXT) | instid1(VALU_DEP_1)
	v_subrev_nc_u32_e32 v14, 29, v13
	v_dual_lshlrev_b32 v10, v14, v10 :: v_dual_sub_nc_u32 v13, 30, v13
	s_delay_alu instid0(VALU_DEP_1) | instskip(NEXT) | instid1(VALU_DEP_2)
	v_dual_lshlrev_b32 v12, 24, v12 :: v_dual_bitop2_b32 v10, 3, v10 bitop3:0x40
	v_cndmask_b32_e32 v13, v15, v13, vcc_lo
	s_delay_alu instid0(VALU_DEP_2) | instskip(NEXT) | instid1(VALU_DEP_3)
	v_cndmask_b32_e32 v10, v11, v10, vcc_lo
	v_and_b32_e32 v11, 0x80000000, v12
	s_delay_alu instid0(VALU_DEP_3) | instskip(NEXT) | instid1(VALU_DEP_3)
	v_lshl_add_u32 v12, v13, 23, 0x37800000
	v_lshlrev_b32_e32 v10, 21, v10
	s_delay_alu instid0(VALU_DEP_1) | instskip(NEXT) | instid1(VALU_DEP_1)
	v_or3_b32 v10, v11, v12, v10
	v_trunc_f32_e32 v10, v10
	s_delay_alu instid0(VALU_DEP_1) | instskip(NEXT) | instid1(VALU_DEP_1)
	v_mul_f32_e64 v11, 0x2f800000, |v10|
	v_floor_f32_e32 v11, v11
	s_delay_alu instid0(VALU_DEP_1) | instskip(SKIP_2) | instid1(VALU_DEP_3)
	v_fma_f32 v12, 0xcf800000, v11, |v10|
	v_ashrrev_i32_e32 v10, 31, v10
	v_cvt_u32_f32_e32 v13, v11
	v_cvt_u32_f32_e32 v12, v12
	s_delay_alu instid0(VALU_DEP_2) | instskip(NEXT) | instid1(VALU_DEP_2)
	v_dual_mov_b32 v11, v10 :: v_dual_bitop2_b32 v13, v13, v10 bitop3:0x14
	v_xor_b32_e32 v12, v12, v10
	s_delay_alu instid0(VALU_DEP_1)
	v_sub_nc_u64_e32 v[10:11], v[12:13], v[10:11]
.LBB30_547:
	s_or_b32 exec_lo, exec_lo, s31
	s_mov_b32 s31, 0
	s_branch .LBB30_553
.LBB30_548:
	s_mov_b32 s38, -1
                                        ; implicit-def: $vgpr10_vgpr11
	s_branch .LBB30_559
.LBB30_549:
	s_and_not1_saveexec_b32 s31, s31
	s_cbranch_execz .LBB30_534
.LBB30_550:
	v_cmp_ne_u16_e32 vcc_lo, 0, v12
	s_and_not1_b32 s38, s38, exec_lo
	s_and_b32 s39, vcc_lo, exec_lo
	s_delay_alu instid0(SALU_CYCLE_1)
	s_or_b32 s38, s38, s39
	s_or_b32 exec_lo, exec_lo, s31
	v_mov_b64_e32 v[10:11], 0
	s_and_saveexec_b32 s31, s38
	s_cbranch_execnz .LBB30_535
	s_branch .LBB30_536
.LBB30_551:
	s_mov_b32 s31, -1
                                        ; implicit-def: $vgpr10_vgpr11
	s_branch .LBB30_556
.LBB30_552:
	s_mov_b32 s31, -1
                                        ; implicit-def: $vgpr10_vgpr11
.LBB30_553:
	s_delay_alu instid0(SALU_CYCLE_1)
	s_and_b32 vcc_lo, exec_lo, s31
	s_cbranch_vccz .LBB30_555
; %bb.554:
	s_wait_loadcnt 0x0
	global_load_u8 v10, v[8:9], off
	s_wait_loadcnt 0x0
	v_lshlrev_b32_e32 v10, 24, v10
	s_delay_alu instid0(VALU_DEP_1) | instskip(NEXT) | instid1(VALU_DEP_1)
	v_and_b32_e32 v11, 0x7f000000, v10
	v_clz_i32_u32_e32 v12, v11
	v_cmp_ne_u32_e32 vcc_lo, 0, v11
	v_add_nc_u32_e32 v14, 0x1000000, v11
	s_delay_alu instid0(VALU_DEP_3) | instskip(NEXT) | instid1(VALU_DEP_1)
	v_min_u32_e32 v12, 32, v12
	v_sub_nc_u32_e64 v12, v12, 4 clamp
	s_delay_alu instid0(VALU_DEP_1) | instskip(NEXT) | instid1(VALU_DEP_1)
	v_dual_lshlrev_b32 v13, v12, v11 :: v_dual_lshlrev_b32 v12, 23, v12
	v_lshrrev_b32_e32 v13, 4, v13
	s_delay_alu instid0(VALU_DEP_1) | instskip(NEXT) | instid1(VALU_DEP_1)
	v_dual_sub_nc_u32 v12, v13, v12 :: v_dual_ashrrev_i32 v13, 8, v14
	v_add_nc_u32_e32 v12, 0x3c000000, v12
	s_delay_alu instid0(VALU_DEP_1) | instskip(NEXT) | instid1(VALU_DEP_1)
	v_and_or_b32 v12, 0x7f800000, v13, v12
	v_cndmask_b32_e32 v11, 0, v12, vcc_lo
	s_delay_alu instid0(VALU_DEP_1) | instskip(NEXT) | instid1(VALU_DEP_1)
	v_and_or_b32 v10, 0x80000000, v10, v11
	v_trunc_f32_e32 v10, v10
	s_delay_alu instid0(VALU_DEP_1) | instskip(NEXT) | instid1(VALU_DEP_1)
	v_mul_f32_e64 v11, 0x2f800000, |v10|
	v_floor_f32_e32 v11, v11
	s_delay_alu instid0(VALU_DEP_1) | instskip(SKIP_2) | instid1(VALU_DEP_3)
	v_fma_f32 v12, 0xcf800000, v11, |v10|
	v_ashrrev_i32_e32 v10, 31, v10
	v_cvt_u32_f32_e32 v13, v11
	v_cvt_u32_f32_e32 v12, v12
	s_delay_alu instid0(VALU_DEP_2) | instskip(NEXT) | instid1(VALU_DEP_2)
	v_dual_mov_b32 v11, v10 :: v_dual_bitop2_b32 v13, v13, v10 bitop3:0x14
	v_xor_b32_e32 v12, v12, v10
	s_delay_alu instid0(VALU_DEP_1)
	v_sub_nc_u64_e32 v[10:11], v[12:13], v[10:11]
.LBB30_555:
	s_mov_b32 s31, 0
.LBB30_556:
	s_delay_alu instid0(SALU_CYCLE_1)
	s_and_not1_b32 vcc_lo, exec_lo, s31
	s_cbranch_vccnz .LBB30_558
; %bb.557:
	s_wait_loadcnt 0x0
	global_load_u8 v10, v[8:9], off
	s_wait_loadcnt 0x0
	v_lshlrev_b32_e32 v11, 25, v10
	v_lshlrev_b16 v10, 8, v10
	s_delay_alu instid0(VALU_DEP_1) | instskip(SKIP_1) | instid1(VALU_DEP_2)
	v_and_or_b32 v13, 0x7f00, v10, 0.5
	v_bfe_i32 v10, v10, 0, 16
	v_dual_add_f32 v13, -0.5, v13 :: v_dual_lshrrev_b32 v12, 4, v11
	v_cmp_gt_u32_e32 vcc_lo, 0x8000000, v11
	s_delay_alu instid0(VALU_DEP_2) | instskip(NEXT) | instid1(VALU_DEP_1)
	v_or_b32_e32 v12, 0x70000000, v12
	v_mul_f32_e32 v12, 0x7800000, v12
	s_delay_alu instid0(VALU_DEP_1) | instskip(NEXT) | instid1(VALU_DEP_1)
	v_cndmask_b32_e32 v11, v12, v13, vcc_lo
	v_and_or_b32 v10, 0x80000000, v10, v11
	s_delay_alu instid0(VALU_DEP_1) | instskip(NEXT) | instid1(VALU_DEP_1)
	v_trunc_f32_e32 v10, v10
	v_mul_f32_e64 v11, 0x2f800000, |v10|
	s_delay_alu instid0(VALU_DEP_1) | instskip(NEXT) | instid1(VALU_DEP_1)
	v_floor_f32_e32 v11, v11
	v_fma_f32 v12, 0xcf800000, v11, |v10|
	v_ashrrev_i32_e32 v10, 31, v10
	v_cvt_u32_f32_e32 v13, v11
	s_delay_alu instid0(VALU_DEP_3) | instskip(NEXT) | instid1(VALU_DEP_2)
	v_cvt_u32_f32_e32 v12, v12
	v_dual_mov_b32 v11, v10 :: v_dual_bitop2_b32 v13, v13, v10 bitop3:0x14
	s_delay_alu instid0(VALU_DEP_2) | instskip(NEXT) | instid1(VALU_DEP_1)
	v_xor_b32_e32 v12, v12, v10
	v_sub_nc_u64_e32 v[10:11], v[12:13], v[10:11]
.LBB30_558:
	s_mov_b32 s38, 0
	s_mov_b32 s31, -1
.LBB30_559:
	s_and_not1_b32 vcc_lo, exec_lo, s38
	s_cbranch_vccnz .LBB30_572
; %bb.560:
	s_cmp_gt_i32 s1, 14
	s_cbranch_scc0 .LBB30_563
; %bb.561:
	s_cmp_eq_u32 s1, 15
	s_cbranch_scc0 .LBB30_566
; %bb.562:
	s_wait_loadcnt 0x0
	global_load_u16 v10, v[8:9], off
	s_mov_b32 s31, -1
	s_mov_b32 s63, 0
	s_wait_loadcnt 0x0
	v_lshlrev_b32_e32 v10, 16, v10
	s_delay_alu instid0(VALU_DEP_1) | instskip(NEXT) | instid1(VALU_DEP_1)
	v_trunc_f32_e32 v10, v10
	v_mul_f32_e64 v11, 0x2f800000, |v10|
	s_delay_alu instid0(VALU_DEP_1) | instskip(NEXT) | instid1(VALU_DEP_1)
	v_floor_f32_e32 v11, v11
	v_fma_f32 v12, 0xcf800000, v11, |v10|
	v_ashrrev_i32_e32 v10, 31, v10
	v_cvt_u32_f32_e32 v13, v11
	s_delay_alu instid0(VALU_DEP_3) | instskip(NEXT) | instid1(VALU_DEP_2)
	v_cvt_u32_f32_e32 v12, v12
	v_dual_mov_b32 v11, v10 :: v_dual_bitop2_b32 v13, v13, v10 bitop3:0x14
	s_delay_alu instid0(VALU_DEP_2) | instskip(NEXT) | instid1(VALU_DEP_1)
	v_xor_b32_e32 v12, v12, v10
	v_sub_nc_u64_e32 v[10:11], v[12:13], v[10:11]
	s_branch .LBB30_567
.LBB30_563:
	s_mov_b32 s38, -1
                                        ; implicit-def: $vgpr10_vgpr11
	s_branch .LBB30_568
.LBB30_564:
	s_and_not1_saveexec_b32 s31, s31
	s_cbranch_execz .LBB30_545
.LBB30_565:
	v_cmp_ne_u16_e32 vcc_lo, 0, v12
	s_and_not1_b32 s38, s38, exec_lo
	s_and_b32 s39, vcc_lo, exec_lo
	s_delay_alu instid0(SALU_CYCLE_1)
	s_or_b32 s38, s38, s39
	s_or_b32 exec_lo, exec_lo, s31
	v_mov_b64_e32 v[10:11], 0
	s_and_saveexec_b32 s31, s38
	s_cbranch_execnz .LBB30_546
	s_branch .LBB30_547
.LBB30_566:
	s_mov_b32 s63, -1
                                        ; implicit-def: $vgpr10_vgpr11
.LBB30_567:
	s_mov_b32 s38, 0
.LBB30_568:
	s_delay_alu instid0(SALU_CYCLE_1)
	s_and_b32 vcc_lo, exec_lo, s38
	s_cbranch_vccz .LBB30_572
; %bb.569:
	s_cmp_eq_u32 s1, 11
	s_cbranch_scc0 .LBB30_571
; %bb.570:
	s_wait_loadcnt 0x0
	global_load_u8 v10, v[8:9], off
	s_mov_b32 s63, 0
	s_mov_b32 s31, -1
	v_mov_b32_e32 v11, s63
	s_wait_loadcnt 0x0
	v_cmp_ne_u16_e32 vcc_lo, 0, v10
	v_cndmask_b32_e64 v10, 0, 1, vcc_lo
	s_branch .LBB30_572
.LBB30_571:
	s_mov_b32 s63, -1
                                        ; implicit-def: $vgpr10_vgpr11
.LBB30_572:
	s_mov_b32 s1, 0
.LBB30_573:
	s_delay_alu instid0(SALU_CYCLE_1)
	s_and_b32 vcc_lo, exec_lo, s1
	s_cbranch_vccz .LBB30_622
; %bb.574:
	s_and_b32 s0, 0xffff, s0
	s_delay_alu instid0(SALU_CYCLE_1)
	s_cmp_lt_i32 s0, 5
	s_cbranch_scc1 .LBB30_579
; %bb.575:
	s_cmp_lt_i32 s0, 8
	s_cbranch_scc1 .LBB30_580
; %bb.576:
	;; [unrolled: 3-line block ×3, first 2 shown]
	s_cmp_gt_i32 s0, 9
	s_cbranch_scc0 .LBB30_582
; %bb.578:
	s_wait_loadcnt 0x0
	global_load_b64 v[10:11], v[8:9], off
	s_mov_b32 s1, 0
	s_wait_loadcnt 0x0
	v_trunc_f64_e32 v[10:11], v[10:11]
	s_delay_alu instid0(VALU_DEP_1) | instskip(NEXT) | instid1(VALU_DEP_1)
	v_ldexp_f64 v[12:13], v[10:11], 0xffffffe0
	v_floor_f64_e32 v[12:13], v[12:13]
	s_delay_alu instid0(VALU_DEP_1) | instskip(SKIP_1) | instid1(VALU_DEP_2)
	v_fmamk_f64 v[14:15], v[12:13], 0xc1f00000, v[10:11]
	v_cvt_i32_f64_e32 v11, v[12:13]
	v_cvt_u32_f64_e32 v10, v[14:15]
	s_branch .LBB30_583
.LBB30_579:
	s_mov_b32 s1, -1
                                        ; implicit-def: $vgpr10_vgpr11
	s_branch .LBB30_601
.LBB30_580:
	s_mov_b32 s1, -1
                                        ; implicit-def: $vgpr10_vgpr11
	s_branch .LBB30_589
.LBB30_581:
	s_mov_b32 s1, -1
                                        ; implicit-def: $vgpr10_vgpr11
	s_branch .LBB30_586
.LBB30_582:
	s_mov_b32 s1, -1
                                        ; implicit-def: $vgpr10_vgpr11
.LBB30_583:
	s_delay_alu instid0(SALU_CYCLE_1)
	s_and_not1_b32 vcc_lo, exec_lo, s1
	s_cbranch_vccnz .LBB30_585
; %bb.584:
	s_wait_loadcnt 0x0
	global_load_b32 v10, v[8:9], off
	s_wait_loadcnt 0x0
	v_trunc_f32_e32 v10, v10
	s_delay_alu instid0(VALU_DEP_1) | instskip(NEXT) | instid1(VALU_DEP_1)
	v_mul_f32_e64 v11, 0x2f800000, |v10|
	v_floor_f32_e32 v11, v11
	s_delay_alu instid0(VALU_DEP_1) | instskip(SKIP_2) | instid1(VALU_DEP_3)
	v_fma_f32 v12, 0xcf800000, v11, |v10|
	v_ashrrev_i32_e32 v10, 31, v10
	v_cvt_u32_f32_e32 v13, v11
	v_cvt_u32_f32_e32 v12, v12
	s_delay_alu instid0(VALU_DEP_2) | instskip(NEXT) | instid1(VALU_DEP_2)
	v_dual_mov_b32 v11, v10 :: v_dual_bitop2_b32 v13, v13, v10 bitop3:0x14
	v_xor_b32_e32 v12, v12, v10
	s_delay_alu instid0(VALU_DEP_1)
	v_sub_nc_u64_e32 v[10:11], v[12:13], v[10:11]
.LBB30_585:
	s_mov_b32 s1, 0
.LBB30_586:
	s_delay_alu instid0(SALU_CYCLE_1)
	s_and_not1_b32 vcc_lo, exec_lo, s1
	s_cbranch_vccnz .LBB30_588
; %bb.587:
	s_wait_loadcnt 0x0
	global_load_b32 v10, v[8:9], off
	s_wait_loadcnt 0x0
	v_cvt_f32_f16_e32 v10, v10
	s_delay_alu instid0(VALU_DEP_1) | instskip(NEXT) | instid1(VALU_DEP_1)
	v_cvt_i32_f32_e32 v10, v10
	v_ashrrev_i32_e32 v11, 31, v10
.LBB30_588:
	s_mov_b32 s1, 0
.LBB30_589:
	s_delay_alu instid0(SALU_CYCLE_1)
	s_and_not1_b32 vcc_lo, exec_lo, s1
	s_cbranch_vccnz .LBB30_600
; %bb.590:
	s_cmp_lt_i32 s0, 6
	s_cbranch_scc1 .LBB30_593
; %bb.591:
	s_cmp_gt_i32 s0, 6
	s_cbranch_scc0 .LBB30_594
; %bb.592:
	s_wait_loadcnt 0x0
	global_load_b64 v[10:11], v[8:9], off
	s_mov_b32 s1, 0
	s_wait_loadcnt 0x0
	v_trunc_f64_e32 v[10:11], v[10:11]
	s_delay_alu instid0(VALU_DEP_1) | instskip(NEXT) | instid1(VALU_DEP_1)
	v_ldexp_f64 v[12:13], v[10:11], 0xffffffe0
	v_floor_f64_e32 v[12:13], v[12:13]
	s_delay_alu instid0(VALU_DEP_1) | instskip(SKIP_1) | instid1(VALU_DEP_2)
	v_fmamk_f64 v[14:15], v[12:13], 0xc1f00000, v[10:11]
	v_cvt_i32_f64_e32 v11, v[12:13]
	v_cvt_u32_f64_e32 v10, v[14:15]
	s_branch .LBB30_595
.LBB30_593:
	s_mov_b32 s1, -1
                                        ; implicit-def: $vgpr10_vgpr11
	s_branch .LBB30_598
.LBB30_594:
	s_mov_b32 s1, -1
                                        ; implicit-def: $vgpr10_vgpr11
.LBB30_595:
	s_delay_alu instid0(SALU_CYCLE_1)
	s_and_not1_b32 vcc_lo, exec_lo, s1
	s_cbranch_vccnz .LBB30_597
; %bb.596:
	s_wait_loadcnt 0x0
	global_load_b32 v10, v[8:9], off
	s_wait_loadcnt 0x0
	v_trunc_f32_e32 v10, v10
	s_delay_alu instid0(VALU_DEP_1) | instskip(NEXT) | instid1(VALU_DEP_1)
	v_mul_f32_e64 v11, 0x2f800000, |v10|
	v_floor_f32_e32 v11, v11
	s_delay_alu instid0(VALU_DEP_1) | instskip(SKIP_2) | instid1(VALU_DEP_3)
	v_fma_f32 v12, 0xcf800000, v11, |v10|
	v_ashrrev_i32_e32 v10, 31, v10
	v_cvt_u32_f32_e32 v13, v11
	v_cvt_u32_f32_e32 v12, v12
	s_delay_alu instid0(VALU_DEP_2) | instskip(NEXT) | instid1(VALU_DEP_2)
	v_dual_mov_b32 v11, v10 :: v_dual_bitop2_b32 v13, v13, v10 bitop3:0x14
	v_xor_b32_e32 v12, v12, v10
	s_delay_alu instid0(VALU_DEP_1)
	v_sub_nc_u64_e32 v[10:11], v[12:13], v[10:11]
.LBB30_597:
	s_mov_b32 s1, 0
.LBB30_598:
	s_delay_alu instid0(SALU_CYCLE_1)
	s_and_not1_b32 vcc_lo, exec_lo, s1
	s_cbranch_vccnz .LBB30_600
; %bb.599:
	s_wait_loadcnt 0x0
	global_load_u16 v10, v[8:9], off
	s_wait_loadcnt 0x0
	v_cvt_f32_f16_e32 v10, v10
	s_delay_alu instid0(VALU_DEP_1) | instskip(NEXT) | instid1(VALU_DEP_1)
	v_cvt_i32_f32_e32 v10, v10
	v_ashrrev_i32_e32 v11, 31, v10
.LBB30_600:
	s_mov_b32 s1, 0
.LBB30_601:
	s_delay_alu instid0(SALU_CYCLE_1)
	s_and_not1_b32 vcc_lo, exec_lo, s1
	s_cbranch_vccnz .LBB30_621
; %bb.602:
	s_cmp_lt_i32 s0, 2
	s_cbranch_scc1 .LBB30_606
; %bb.603:
	s_cmp_lt_i32 s0, 3
	s_cbranch_scc1 .LBB30_607
; %bb.604:
	s_cmp_gt_i32 s0, 3
	s_cbranch_scc0 .LBB30_608
; %bb.605:
	s_wait_loadcnt 0x0
	global_load_b64 v[10:11], v[8:9], off
	s_mov_b32 s1, 0
	s_branch .LBB30_609
.LBB30_606:
	s_mov_b32 s1, -1
                                        ; implicit-def: $vgpr10_vgpr11
	s_branch .LBB30_615
.LBB30_607:
	s_mov_b32 s1, -1
                                        ; implicit-def: $vgpr10_vgpr11
	s_branch .LBB30_612
.LBB30_608:
	s_mov_b32 s1, -1
                                        ; implicit-def: $vgpr10_vgpr11
.LBB30_609:
	s_delay_alu instid0(SALU_CYCLE_1)
	s_and_not1_b32 vcc_lo, exec_lo, s1
	s_cbranch_vccnz .LBB30_611
; %bb.610:
	s_wait_loadcnt 0x0
	global_load_b32 v10, v[8:9], off
	s_wait_loadcnt 0x0
	v_ashrrev_i32_e32 v11, 31, v10
.LBB30_611:
	s_mov_b32 s1, 0
.LBB30_612:
	s_delay_alu instid0(SALU_CYCLE_1)
	s_and_not1_b32 vcc_lo, exec_lo, s1
	s_cbranch_vccnz .LBB30_614
; %bb.613:
	s_wait_loadcnt 0x0
	global_load_u16 v10, v[8:9], off
	s_wait_loadcnt 0x0
	v_bfe_i32 v10, v10, 0, 16
	s_delay_alu instid0(VALU_DEP_1)
	v_ashrrev_i32_e32 v11, 31, v10
.LBB30_614:
	s_mov_b32 s1, 0
.LBB30_615:
	s_delay_alu instid0(SALU_CYCLE_1)
	s_and_not1_b32 vcc_lo, exec_lo, s1
	s_cbranch_vccnz .LBB30_621
; %bb.616:
	s_cmp_gt_i32 s0, 0
	s_mov_b32 s0, 0
	s_cbranch_scc0 .LBB30_618
; %bb.617:
	s_wait_loadcnt 0x0
	global_load_i8 v10, v[8:9], off
	s_wait_loadcnt 0x0
	v_bfe_i32 v10, v10, 0, 16
	s_delay_alu instid0(VALU_DEP_1)
	v_ashrrev_i32_e32 v11, 31, v10
	s_branch .LBB30_619
.LBB30_618:
	s_mov_b32 s0, -1
                                        ; implicit-def: $vgpr10_vgpr11
.LBB30_619:
	s_delay_alu instid0(SALU_CYCLE_1)
	s_and_not1_b32 vcc_lo, exec_lo, s0
	s_cbranch_vccnz .LBB30_621
; %bb.620:
	global_load_u8 v8, v[8:9], off
	s_mov_b32 s0, 0
	s_wait_loadcnt 0x1
	v_mov_b32_e32 v11, s0
	s_wait_loadcnt 0x0
	v_and_b32_e32 v10, 0xffff, v8
.LBB30_621:
	s_mov_b32 s31, -1
.LBB30_622:
	s_delay_alu instid0(SALU_CYCLE_1)
	s_and_not1_b32 vcc_lo, exec_lo, s31
	s_cbranch_vccnz .LBB30_628
; %bb.623:
	s_wait_loadcnt 0x0
	v_cmp_eq_u64_e32 vcc_lo, s[4:5], v[0:1]
	s_mov_b32 s1, -1
	s_mov_b32 s0, 0
	s_mov_b32 s31, 0
	;; [unrolled: 1-line block ×5, first 2 shown]
	s_and_b32 s41, s52, vcc_lo
	s_delay_alu instid0(SALU_CYCLE_1)
	s_and_saveexec_b32 s56, s41
	s_cbranch_execz .LBB30_3937
; %bb.624:
	v_cmp_eq_u64_e32 vcc_lo, s[8:9], v[2:3]
	s_and_b32 s31, s51, vcc_lo
	s_delay_alu instid0(SALU_CYCLE_1)
	s_and_saveexec_b32 s59, s31
	s_cbranch_execz .LBB30_1919
; %bb.625:
	v_sub_nc_u64_e32 v[0:1], v[6:7], v[4:5]
	s_mov_b32 s31, 0
	s_delay_alu instid0(VALU_DEP_1)
	v_cmp_le_i64_e32 vcc_lo, s[4:5], v[0:1]
	v_cmp_ge_i64_e64 s0, s[6:7], v[0:1]
	s_and_b32 s38, vcc_lo, s0
	s_mov_b32 s0, 0
	s_and_b32 s39, s50, s38
	s_mov_b32 s38, 0
	s_and_saveexec_b32 s60, s39
	s_cbranch_execz .LBB30_1918
; %bb.626:
	v_cmp_lt_i64_e64 s0, s[8:9], 1
	v_mov_b64_e32 v[0:1], 0
	s_xor_b32 s1, s37, -1
	s_delay_alu instid0(SALU_CYCLE_1) | instskip(NEXT) | instid1(SALU_CYCLE_1)
	s_or_b32 s0, s0, s1
	s_and_b32 vcc_lo, exec_lo, s0
	s_cbranch_vccnz .LBB30_662
; %bb.627:
	v_mul_u64_e32 v[8:9], s[8:9], v[10:11]
	s_mov_b32 s1, 0
	v_mov_b64_e32 v[0:1], 0
	s_mov_b32 s31, s1
	v_mov_b32_e32 v2, 0
	s_lshl_b64 s[40:41], s[30:31], 3
	s_mov_b64 s[38:39], 0xffffffff
	s_add_nc_u64 s[40:41], s[28:29], s[40:41]
	s_mov_b32 s31, s10
	s_add_nc_u64 s[40:41], s[40:41], 0x68
	s_branch .LBB30_643
.LBB30_628:
	s_mov_b32 s0, 0
	s_mov_b32 s1, 0
	;; [unrolled: 1-line block ×6, first 2 shown]
                                        ; implicit-def: $vgpr26
.LBB30_629:
	s_delay_alu instid0(SALU_CYCLE_1)
	s_and_b32 s56, s40, exec_lo
	s_and_b32 s59, s39, exec_lo
	s_and_b32 s60, s38, exec_lo
	s_and_b32 s61, s31, exec_lo
	s_and_b32 s62, s1, exec_lo
	s_and_b32 s63, s63, exec_lo
	s_and_b32 s64, s64, exec_lo
	s_and_b32 s65, s65, exec_lo
	s_and_b32 s66, s66, exec_lo
	s_and_b32 s67, s67, exec_lo
	s_or_not1_b32 s1, s0, exec_lo
.LBB30_630:
	s_wait_xcnt 0x0
	s_or_b32 exec_lo, exec_lo, s68
	s_mov_b32 s38, 0
	s_mov_b32 s31, 0
                                        ; implicit-def: $sgpr0
                                        ; implicit-def: $vgpr2_vgpr3
                                        ; implicit-def: $vgpr0_vgpr1
	s_and_saveexec_b32 s68, s1
	s_cbranch_execz .LBB30_639
; %bb.631:
	s_mov_b32 s39, -1
	s_mov_b32 s69, s67
	s_mov_b32 s71, s66
	;; [unrolled: 1-line block ×10, first 2 shown]
	s_mov_b32 s79, exec_lo
	v_cmpx_gt_i32_e64 s57, v26
	s_cbranch_execz .LBB30_1299
; %bb.632:
	s_wait_loadcnt 0x0
	v_mul_lo_u32 v0, s24, v26
	s_and_b32 s0, s58, 0xff
	s_delay_alu instid0(SALU_CYCLE_1) | instskip(NEXT) | instid1(VALU_DEP_1)
	s_cmp_lt_i32 s0, 11
	v_ashrrev_i32_e32 v1, 31, v0
	s_delay_alu instid0(VALU_DEP_1)
	v_add_nc_u64_e32 v[2:3], s[12:13], v[0:1]
	s_cbranch_scc1 .LBB30_647
; %bb.633:
	s_and_b32 s1, 0xffff, s0
	s_delay_alu instid0(SALU_CYCLE_1)
	s_cmp_gt_i32 s1, 25
	s_cbranch_scc0 .LBB30_656
; %bb.634:
	s_cmp_gt_i32 s1, 28
	s_cbranch_scc0 .LBB30_658
; %bb.635:
	;; [unrolled: 3-line block ×4, first 2 shown]
	s_cmp_eq_u32 s1, 46
	s_cbranch_scc0 .LBB30_678
; %bb.638:
	global_load_b32 v0, v[2:3], off
	s_mov_b32 s31, -1
	s_mov_b32 s69, 0
	s_wait_loadcnt 0x0
	v_lshlrev_b32_e32 v0, 16, v0
	s_delay_alu instid0(VALU_DEP_1) | instskip(NEXT) | instid1(VALU_DEP_1)
	v_trunc_f32_e32 v0, v0
	v_mul_f32_e64 v1, 0x2f800000, |v0|
	s_delay_alu instid0(VALU_DEP_1) | instskip(NEXT) | instid1(VALU_DEP_1)
	v_floor_f32_e32 v1, v1
	v_fma_f32 v4, 0xcf800000, v1, |v0|
	v_ashrrev_i32_e32 v0, 31, v0
	v_cvt_u32_f32_e32 v5, v1
	s_delay_alu instid0(VALU_DEP_3) | instskip(NEXT) | instid1(VALU_DEP_2)
	v_cvt_u32_f32_e32 v4, v4
	v_dual_mov_b32 v1, v0 :: v_dual_bitop2_b32 v5, v5, v0 bitop3:0x14
	s_delay_alu instid0(VALU_DEP_2) | instskip(NEXT) | instid1(VALU_DEP_1)
	v_xor_b32_e32 v4, v4, v0
	v_sub_nc_u64_e32 v[0:1], v[4:5], v[0:1]
	s_branch .LBB30_680
.LBB30_639:
	s_or_b32 exec_lo, exec_lo, s68
	s_mov_b32 s1, 0
	s_and_saveexec_b32 s12, s67
	s_cbranch_execnz .LBB30_2140
.LBB30_640:
	s_or_b32 exec_lo, exec_lo, s12
	s_and_saveexec_b32 s12, s69
	s_delay_alu instid0(SALU_CYCLE_1)
	s_xor_b32 s12, exec_lo, s12
	s_cbranch_execz .LBB30_2141
.LBB30_641:
	s_wait_loadcnt 0x0
	global_load_u8 v0, v[2:3], off
	s_mov_b32 s13, 0
	s_or_b32 s31, s31, exec_lo
	v_mov_b32_e32 v1, s13
	s_wait_loadcnt 0x0
	v_cmp_ne_u16_e32 vcc_lo, 0, v0
	v_cndmask_b32_e64 v0, 0, 1, vcc_lo
	s_wait_xcnt 0x0
	s_or_b32 exec_lo, exec_lo, s12
	s_and_saveexec_b32 s12, s38
	s_cbranch_execz .LBB30_2187
	s_branch .LBB30_2142
.LBB30_642:                             ;   in Loop: Header=BB30_643 Depth=1
	s_or_b32 exec_lo, exec_lo, s0
	s_delay_alu instid0(VALU_DEP_1)
	v_mul_u64_e32 v[12:13], s[42:43], v[10:11]
	s_load_b64 s[42:43], s[40:41], 0x40
	s_add_co_i32 s31, s31, -1
	s_wait_xcnt 0x0
	s_add_nc_u64 s[40:41], s[40:41], -8
	s_cmp_eq_u32 s31, 0
	s_delay_alu instid0(VALU_DEP_1) | instskip(SKIP_1) | instid1(VALU_DEP_1)
	v_sub_nc_u64_e32 v[8:9], v[8:9], v[12:13]
	s_wait_kmcnt 0x0
	v_mad_nc_u64_u32 v[0:1], v8, s42, v[0:1]
	s_delay_alu instid0(VALU_DEP_1) | instskip(NEXT) | instid1(VALU_DEP_1)
	v_mad_u32 v1, v9, s42, v1
	v_mad_u32 v1, v8, s43, v1
	v_mov_b64_e32 v[8:9], v[10:11]
	s_cbranch_scc1 .LBB30_662
.LBB30_643:                             ; =>This Inner Loop Header: Depth=1
	s_load_b64 s[42:43], s[40:41], 0x0
                                        ; implicit-def: $vgpr10_vgpr11
	s_mov_b32 s0, exec_lo
	s_wait_kmcnt 0x0
	s_delay_alu instid0(VALU_DEP_1) | instskip(NEXT) | instid1(VALU_DEP_1)
	v_or_b32_e32 v3, s43, v9
	v_cmpx_ne_u64_e32 0, v[2:3]
	s_xor_b32 s61, exec_lo, s0
	s_cbranch_execz .LBB30_645
; %bb.644:                              ;   in Loop: Header=BB30_643 Depth=1
	s_ashr_i32 s44, s43, 31
	v_dual_mov_b32 v15, v2 :: v_dual_ashrrev_i32 v10, 31, v9
	s_mov_b32 s45, s44
	v_mov_b32_e32 v23, v2
	s_add_nc_u64 s[46:47], s[42:43], s[44:45]
	s_delay_alu instid0(VALU_DEP_2) | instskip(SKIP_1) | instid1(SALU_CYCLE_1)
	v_mov_b32_e32 v11, v10
	s_xor_b64 s[46:47], s[46:47], s[44:45]
	s_cvt_f32_u32 s0, s46
	s_cvt_f32_u32 s45, s47
	s_sub_nc_u64 s[72:73], 0, s[46:47]
	v_add_nc_u64_e32 v[12:13], v[8:9], v[10:11]
	v_mov_b32_e32 v19, v2
	s_fmamk_f32 s0, s45, 0x4f800000, s0
	s_delay_alu instid0(SALU_CYCLE_3) | instskip(NEXT) | instid1(VALU_DEP_2)
	v_s_rcp_f32 s0, s0
	v_xor_b32_e32 v14, v12, v10
	s_delay_alu instid0(VALU_DEP_3) | instskip(NEXT) | instid1(TRANS32_DEP_1)
	v_xor_b32_e32 v18, v13, v10
	s_mul_f32 s0, s0, 0x5f7ffffc
	s_delay_alu instid0(SALU_CYCLE_3) | instskip(NEXT) | instid1(SALU_CYCLE_3)
	s_mul_f32 s45, s0, 0x2f800000
	s_trunc_f32 s45, s45
	s_delay_alu instid0(SALU_CYCLE_3) | instskip(SKIP_1) | instid1(SALU_CYCLE_2)
	s_fmamk_f32 s0, s45, 0xcf800000, s0
	s_cvt_u32_f32 s71, s45
	s_cvt_u32_f32 s70, s0
	s_delay_alu instid0(SALU_CYCLE_3) | instskip(NEXT) | instid1(SALU_CYCLE_1)
	s_mul_u64 s[74:75], s[72:73], s[70:71]
	s_mul_hi_u32 s77, s70, s75
	s_mul_i32 s76, s70, s75
	s_mul_hi_u32 s0, s70, s74
	s_mul_i32 s62, s71, s74
	s_add_nc_u64 s[76:77], s[0:1], s[76:77]
	s_mul_hi_u32 s45, s71, s74
	s_mul_hi_u32 s78, s71, s75
	s_add_co_u32 s0, s76, s62
	s_add_co_ci_u32 s0, s77, s45
	s_mul_i32 s74, s71, s75
	s_add_co_ci_u32 s75, s78, 0
	s_delay_alu instid0(SALU_CYCLE_1) | instskip(NEXT) | instid1(SALU_CYCLE_1)
	s_add_nc_u64 s[74:75], s[0:1], s[74:75]
	s_add_co_u32 s70, s70, s74
	s_cselect_b32 s0, -1, 0
	s_delay_alu instid0(SALU_CYCLE_1) | instskip(SKIP_1) | instid1(SALU_CYCLE_1)
	s_cmp_lg_u32 s0, 0
	s_add_co_ci_u32 s71, s71, s75
	s_mul_u64 s[72:73], s[72:73], s[70:71]
	s_delay_alu instid0(SALU_CYCLE_1)
	s_mul_hi_u32 s75, s70, s73
	s_mul_i32 s74, s70, s73
	s_mul_hi_u32 s0, s70, s72
	s_mul_i32 s62, s71, s72
	s_add_nc_u64 s[74:75], s[0:1], s[74:75]
	s_mul_hi_u32 s45, s71, s72
	s_mul_hi_u32 s76, s71, s73
	s_add_co_u32 s0, s74, s62
	s_add_co_ci_u32 s0, s75, s45
	s_mul_i32 s72, s71, s73
	s_add_co_ci_u32 s73, s76, 0
	s_delay_alu instid0(SALU_CYCLE_1) | instskip(NEXT) | instid1(SALU_CYCLE_1)
	s_add_nc_u64 s[72:73], s[0:1], s[72:73]
	s_add_co_u32 s62, s70, s72
	s_cselect_b32 s0, -1, 0
	v_mul_hi_u32 v22, v14, s62
	s_cmp_lg_u32 s0, 0
	s_add_co_ci_u32 s0, s71, s73
	s_and_b64 s[70:71], s[62:63], s[38:39]
	v_mul_u64_e32 v[16:17], s[0:1], v[14:15]
	v_mul_u64_e32 v[12:13], s[70:71], v[18:19]
	;; [unrolled: 1-line block ×3, first 2 shown]
	s_delay_alu instid0(VALU_DEP_3) | instskip(NEXT) | instid1(VALU_DEP_1)
	v_add_nc_u64_e32 v[16:17], v[22:23], v[16:17]
	v_add_co_u32 v3, vcc_lo, v16, v12
	s_delay_alu instid0(VALU_DEP_2) | instskip(NEXT) | instid1(VALU_DEP_4)
	v_add_co_ci_u32_e32 v22, vcc_lo, v17, v13, vcc_lo
	v_add_co_ci_u32_e32 v21, vcc_lo, 0, v21, vcc_lo
	s_delay_alu instid0(VALU_DEP_1) | instskip(NEXT) | instid1(VALU_DEP_1)
	v_add_nc_u64_e32 v[12:13], v[22:23], v[20:21]
	v_mul_u64_e32 v[16:17], s[46:47], v[12:13]
	s_delay_alu instid0(VALU_DEP_1) | instskip(NEXT) | instid1(VALU_DEP_2)
	v_sub_nc_u32_e32 v3, v18, v17
	v_sub_co_u32 v11, vcc_lo, v14, v16
	s_delay_alu instid0(VALU_DEP_1) | instskip(NEXT) | instid1(VALU_DEP_3)
	v_sub_co_ci_u32_e64 v18, null, v18, v17, vcc_lo
	v_subrev_co_ci_u32_e64 v3, null, s47, v3, vcc_lo
	s_delay_alu instid0(VALU_DEP_3) | instskip(SKIP_1) | instid1(VALU_DEP_3)
	v_sub_co_u32 v14, s0, v11, s46
	v_add_nc_u64_e32 v[16:17], 1, v[12:13]
	v_subrev_co_ci_u32_e64 v3, null, 0, v3, s0
	s_delay_alu instid0(VALU_DEP_3) | instskip(SKIP_1) | instid1(VALU_DEP_3)
	v_cmp_le_u32_e32 vcc_lo, s46, v14
	v_cndmask_b32_e64 v14, 0, -1, vcc_lo
	v_cmp_le_u32_e32 vcc_lo, s47, v3
	v_cndmask_b32_e64 v15, 0, -1, vcc_lo
	;; [unrolled: 2-line block ×4, first 2 shown]
	v_cmp_eq_u32_e32 vcc_lo, s47, v3
	v_cndmask_b32_e32 v3, v15, v14, vcc_lo
	v_cmp_eq_u32_e32 vcc_lo, s47, v18
	v_add_nc_u64_e32 v[14:15], 2, v[12:13]
	v_cndmask_b32_e32 v11, v19, v11, vcc_lo
	s_delay_alu instid0(VALU_DEP_4) | instskip(NEXT) | instid1(VALU_DEP_2)
	v_cmp_ne_u32_e32 vcc_lo, 0, v3
	v_cmp_ne_u32_e64 s0, 0, v11
	s_delay_alu instid0(VALU_DEP_4) | instskip(NEXT) | instid1(VALU_DEP_1)
	v_dual_cndmask_b32 v3, v17, v15, vcc_lo :: v_dual_cndmask_b32 v11, v16, v14, vcc_lo
	v_dual_cndmask_b32 v3, v13, v3, s0 :: v_dual_bitop2_b32 v10, s44, v10 bitop3:0x14
	s_delay_alu instid0(VALU_DEP_1) | instskip(NEXT) | instid1(VALU_DEP_2)
	v_dual_cndmask_b32 v12, v12, v11, s0 :: v_dual_mov_b32 v11, v10
	v_xor_b32_e32 v13, v3, v10
	s_delay_alu instid0(VALU_DEP_2) | instskip(NEXT) | instid1(VALU_DEP_1)
	v_xor_b32_e32 v12, v12, v10
	v_sub_nc_u64_e32 v[10:11], v[12:13], v[10:11]
.LBB30_645:                             ;   in Loop: Header=BB30_643 Depth=1
	s_and_not1_saveexec_b32 s0, s61
	s_cbranch_execz .LBB30_642
; %bb.646:                              ;   in Loop: Header=BB30_643 Depth=1
	v_cvt_f32_u32_e32 v3, s42
	s_sub_co_i32 s44, 0, s42
	s_delay_alu instid0(VALU_DEP_1) | instskip(SKIP_1) | instid1(TRANS32_DEP_1)
	v_rcp_iflag_f32_e32 v3, v3
	v_nop
	v_mul_f32_e32 v3, 0x4f7ffffe, v3
	s_delay_alu instid0(VALU_DEP_1) | instskip(NEXT) | instid1(VALU_DEP_1)
	v_cvt_u32_f32_e32 v3, v3
	v_mul_lo_u32 v10, s44, v3
	s_delay_alu instid0(VALU_DEP_1) | instskip(NEXT) | instid1(VALU_DEP_1)
	v_mul_hi_u32 v10, v3, v10
	v_add_nc_u32_e32 v3, v3, v10
	s_delay_alu instid0(VALU_DEP_1) | instskip(NEXT) | instid1(VALU_DEP_1)
	v_mul_hi_u32 v3, v8, v3
	v_mul_lo_u32 v10, v3, s42
	s_delay_alu instid0(VALU_DEP_1) | instskip(NEXT) | instid1(VALU_DEP_1)
	v_dual_add_nc_u32 v11, 1, v3 :: v_dual_sub_nc_u32 v10, v8, v10
	v_subrev_nc_u32_e32 v12, s42, v10
	v_cmp_le_u32_e32 vcc_lo, s42, v10
	s_delay_alu instid0(VALU_DEP_2) | instskip(NEXT) | instid1(VALU_DEP_1)
	v_dual_cndmask_b32 v10, v10, v12 :: v_dual_cndmask_b32 v3, v3, v11
	v_cmp_le_u32_e32 vcc_lo, s42, v10
	s_delay_alu instid0(VALU_DEP_2) | instskip(NEXT) | instid1(VALU_DEP_1)
	v_add_nc_u32_e32 v11, 1, v3
	v_dual_cndmask_b32 v10, v3, v11 :: v_dual_mov_b32 v11, v2
	s_branch .LBB30_642
.LBB30_647:
	s_mov_b32 s69, s67
                                        ; implicit-def: $vgpr0_vgpr1
	s_cbranch_execnz .LBB30_742
.LBB30_648:
	s_and_not1_b32 vcc_lo, exec_lo, s31
	s_cbranch_vccnz .LBB30_790
.LBB30_649:
	s_wait_xcnt 0x0
	v_mul_lo_u32 v2, s25, v26
	s_and_b32 s0, s55, 0xff
	s_delay_alu instid0(SALU_CYCLE_1) | instskip(NEXT) | instid1(VALU_DEP_1)
	s_cmp_lt_i32 s0, 11
	v_ashrrev_i32_e32 v3, 31, v2
	s_delay_alu instid0(VALU_DEP_1)
	v_add_nc_u64_e32 v[4:5], s[14:15], v[2:3]
	s_cbranch_scc1 .LBB30_657
; %bb.650:
	s_and_b32 s1, 0xffff, s0
	s_delay_alu instid0(SALU_CYCLE_1)
	s_cmp_gt_i32 s1, 25
	s_cbranch_scc0 .LBB30_659
; %bb.651:
	s_cmp_gt_i32 s1, 28
	s_cbranch_scc0 .LBB30_661
; %bb.652:
	s_cmp_gt_i32 s1, 43
	s_cbranch_scc0 .LBB30_668
; %bb.653:
	s_cmp_gt_i32 s1, 45
	s_cbranch_scc0 .LBB30_683
; %bb.654:
	s_cmp_eq_u32 s1, 46
	s_mov_b32 s38, 0
	s_cbranch_scc0 .LBB30_792
; %bb.655:
	global_load_b32 v2, v[4:5], off
	s_mov_b32 s31, -1
	s_mov_b32 s71, 0
	s_wait_loadcnt 0x0
	v_lshlrev_b32_e32 v2, 16, v2
	s_delay_alu instid0(VALU_DEP_1) | instskip(NEXT) | instid1(VALU_DEP_1)
	v_trunc_f32_e32 v2, v2
	v_mul_f32_e64 v3, 0x2f800000, |v2|
	s_delay_alu instid0(VALU_DEP_1) | instskip(NEXT) | instid1(VALU_DEP_1)
	v_floor_f32_e32 v3, v3
	v_fma_f32 v6, 0xcf800000, v3, |v2|
	v_ashrrev_i32_e32 v2, 31, v2
	v_cvt_u32_f32_e32 v7, v3
	s_delay_alu instid0(VALU_DEP_3) | instskip(NEXT) | instid1(VALU_DEP_2)
	v_cvt_u32_f32_e32 v6, v6
	v_dual_mov_b32 v3, v2 :: v_dual_bitop2_b32 v7, v7, v2 bitop3:0x14
	s_delay_alu instid0(VALU_DEP_2) | instskip(NEXT) | instid1(VALU_DEP_1)
	v_xor_b32_e32 v6, v6, v2
	v_sub_nc_u64_e32 v[2:3], v[6:7], v[2:3]
	s_branch .LBB30_794
.LBB30_656:
	s_mov_b32 s38, -1
	s_mov_b32 s69, s67
                                        ; implicit-def: $vgpr0_vgpr1
	s_branch .LBB30_708
.LBB30_657:
	s_mov_b32 s1, -1
	s_mov_b32 s31, 0
	s_mov_b32 s71, s66
                                        ; implicit-def: $vgpr2_vgpr3
	s_branch .LBB30_855
.LBB30_658:
	s_mov_b32 s38, -1
	s_mov_b32 s69, s67
                                        ; implicit-def: $vgpr0_vgpr1
	s_branch .LBB30_691
.LBB30_659:
	s_mov_b32 s38, -1
	s_mov_b32 s31, 0
	s_mov_b32 s71, s66
                                        ; implicit-def: $vgpr2_vgpr3
	s_branch .LBB30_821
.LBB30_660:
	s_mov_b32 s38, -1
	s_mov_b32 s69, s67
                                        ; implicit-def: $vgpr0_vgpr1
	s_branch .LBB30_686
.LBB30_661:
	s_mov_b32 s38, -1
	s_mov_b32 s31, 0
	s_mov_b32 s71, s66
                                        ; implicit-def: $vgpr2_vgpr3
	s_branch .LBB30_804
.LBB30_662:
	s_mov_b32 s39, -1
	s_mov_b32 s31, 0
	s_mov_b32 s0, 0
	s_mov_b32 s1, exec_lo
	v_cmpx_gt_i64_e64 v[6:7], v[4:5]
	s_cbranch_execz .LBB30_670
; %bb.663:
	s_delay_alu instid0(VALU_DEP_2) | instskip(SKIP_1) | instid1(VALU_DEP_1)
	v_lshlrev_b64_e32 v[0:1], 3, v[0:1]
	s_xor_b32 s39, s11, -1
                                        ; implicit-def: $sgpr38
                                        ; implicit-def: $sgpr41
                                        ; implicit-def: $sgpr40
	v_lshl_add_u64 v[2:3], v[4:5], 3, v[0:1]
	v_add_nc_u64_e32 v[4:5], s[20:21], v[0:1]
	s_delay_alu instid0(VALU_DEP_2) | instskip(NEXT) | instid1(VALU_DEP_1)
	v_add_nc_u64_e32 v[2:3], s[20:21], v[2:3]
	v_add_nc_u64_e32 v[0:1], 8, v[2:3]
	s_delay_alu instid0(VALU_DEP_3)
	v_lshl_add_u64 v[2:3], v[6:7], 3, v[4:5]
	s_branch .LBB30_665
.LBB30_664:                             ;   in Loop: Header=BB30_665 Depth=1
	s_or_b32 exec_lo, exec_lo, s42
	s_delay_alu instid0(SALU_CYCLE_1) | instskip(NEXT) | instid1(SALU_CYCLE_1)
	s_and_b32 s42, exec_lo, s41
	s_or_b32 s0, s42, s0
	s_and_not1_b32 s38, s38, exec_lo
	s_and_b32 s42, s40, exec_lo
	s_delay_alu instid0(SALU_CYCLE_1)
	s_or_b32 s38, s38, s42
	s_and_not1_b32 exec_lo, exec_lo, s0
	s_cbranch_execz .LBB30_669
.LBB30_665:                             ; =>This Inner Loop Header: Depth=1
	s_or_b32 s40, s40, exec_lo
	s_or_b32 s41, s41, exec_lo
	s_mov_b32 s42, exec_lo
	s_delay_alu instid0(VALU_DEP_2)
	v_cmpx_lt_u64_e64 v[0:1], v[2:3]
	s_cbranch_execz .LBB30_664
; %bb.666:                              ;   in Loop: Header=BB30_665 Depth=1
	global_load_b128 v[4:7], v[0:1], off offset:-8
	s_wait_xcnt 0x0
	v_add_nc_u64_e32 v[0:1], 8, v[0:1]
	s_and_not1_b32 s41, s41, exec_lo
	s_and_not1_b32 s40, s40, exec_lo
	s_wait_loadcnt 0x0
	v_cmp_ge_i64_e32 vcc_lo, v[4:5], v[6:7]
	s_or_b32 s43, s39, vcc_lo
	s_delay_alu instid0(SALU_CYCLE_1) | instskip(NEXT) | instid1(SALU_CYCLE_1)
	s_and_b32 s43, s43, exec_lo
	s_or_b32 s41, s41, s43
	s_branch .LBB30_664
.LBB30_667:
	s_mov_b32 s38, -1
	s_mov_b32 s69, s67
	s_branch .LBB30_679
.LBB30_668:
	s_mov_b32 s38, -1
	s_mov_b32 s31, 0
	s_mov_b32 s71, s66
                                        ; implicit-def: $vgpr2_vgpr3
	s_branch .LBB30_799
.LBB30_669:
	s_or_b32 exec_lo, exec_lo, s0
	s_delay_alu instid0(SALU_CYCLE_1)
	s_mov_b32 s0, exec_lo
	s_or_not1_b32 s39, s38, exec_lo
.LBB30_670:
	s_or_b32 exec_lo, exec_lo, s1
	s_mov_b32 s38, 0
	s_and_saveexec_b32 s1, s39
	s_cbranch_execz .LBB30_1917
; %bb.671:
	v_mul_lo_u32 v0, s33, v26
	s_and_b32 s38, s22, 0xff
	s_delay_alu instid0(SALU_CYCLE_1) | instskip(NEXT) | instid1(VALU_DEP_1)
	s_cmp_lt_i32 s38, 11
	v_ashrrev_i32_e32 v1, 31, v0
	s_delay_alu instid0(VALU_DEP_1)
	v_add_nc_u64_e32 v[0:1], s[2:3], v[0:1]
	s_cbranch_scc1 .LBB30_791
; %bb.672:
	s_and_b32 s39, 0xffff, s38
	s_delay_alu instid0(SALU_CYCLE_1)
	s_cmp_gt_i32 s39, 25
	s_cbranch_scc0 .LBB30_918
; %bb.673:
	s_cmp_gt_i32 s39, 28
	s_cbranch_scc0 .LBB30_1045
; %bb.674:
	;; [unrolled: 3-line block ×4, first 2 shown]
	s_mov_b32 s41, 0
	s_mov_b32 s31, -1
	s_cmp_eq_u32 s39, 46
	s_mov_b32 s40, 0
	s_cbranch_scc0 .LBB30_1835
; %bb.677:
	v_mov_b32_e32 v2, 0
	s_mov_b32 s40, -1
	s_mov_b32 s31, 0
	global_store_b32 v[0:1], v2, off
	s_branch .LBB30_1835
.LBB30_678:
	s_mov_b32 s69, -1
.LBB30_679:
                                        ; implicit-def: $vgpr0_vgpr1
.LBB30_680:
	s_and_b32 vcc_lo, exec_lo, s38
	s_cbranch_vccz .LBB30_685
; %bb.681:
	s_cmp_eq_u32 s1, 44
	s_cbranch_scc0 .LBB30_684
; %bb.682:
	global_load_u8 v6, v[2:3], off
	s_mov_b32 s69, 0
	s_mov_b32 s31, -1
	s_wait_loadcnt 0x0
	v_cmp_ne_u32_e32 vcc_lo, 0, v6
	v_lshlrev_b32_e32 v0, 23, v6
	s_delay_alu instid0(VALU_DEP_1) | instskip(NEXT) | instid1(VALU_DEP_1)
	v_trunc_f32_e32 v0, v0
	v_mul_f32_e64 v1, 0x2f800000, |v0|
	s_delay_alu instid0(VALU_DEP_1) | instskip(NEXT) | instid1(VALU_DEP_1)
	v_floor_f32_e32 v1, v1
	v_fma_f32 v4, 0xcf800000, v1, |v0|
	v_ashrrev_i32_e32 v0, 31, v0
	v_cvt_u32_f32_e32 v5, v1
	s_delay_alu instid0(VALU_DEP_3) | instskip(NEXT) | instid1(VALU_DEP_2)
	v_cvt_u32_f32_e32 v4, v4
	v_dual_mov_b32 v1, v0 :: v_dual_bitop2_b32 v5, v5, v0 bitop3:0x14
	s_delay_alu instid0(VALU_DEP_2) | instskip(NEXT) | instid1(VALU_DEP_1)
	v_xor_b32_e32 v4, v4, v0
	v_sub_nc_u64_e32 v[0:1], v[4:5], v[0:1]
	s_delay_alu instid0(VALU_DEP_1)
	v_dual_cndmask_b32 v1, 0, v1 :: v_dual_cndmask_b32 v0, 0, v0
	s_branch .LBB30_685
.LBB30_683:
	s_mov_b32 s38, -1
	s_mov_b32 s31, 0
	s_mov_b32 s71, s66
	s_branch .LBB30_793
.LBB30_684:
	s_mov_b32 s69, -1
                                        ; implicit-def: $vgpr0_vgpr1
.LBB30_685:
	s_mov_b32 s38, 0
.LBB30_686:
	s_delay_alu instid0(SALU_CYCLE_1)
	s_and_b32 vcc_lo, exec_lo, s38
	s_cbranch_vccz .LBB30_690
; %bb.687:
	s_cmp_eq_u32 s1, 29
	s_cbranch_scc0 .LBB30_689
; %bb.688:
	global_load_b64 v[0:1], v[2:3], off
	s_mov_b32 s31, -1
	s_mov_b32 s69, 0
	s_branch .LBB30_690
.LBB30_689:
	s_mov_b32 s69, -1
                                        ; implicit-def: $vgpr0_vgpr1
.LBB30_690:
	s_mov_b32 s38, 0
.LBB30_691:
	s_delay_alu instid0(SALU_CYCLE_1)
	s_and_b32 vcc_lo, exec_lo, s38
	s_cbranch_vccz .LBB30_707
; %bb.692:
	s_cmp_lt_i32 s1, 27
	s_cbranch_scc1 .LBB30_695
; %bb.693:
	s_cmp_gt_i32 s1, 27
	s_cbranch_scc0 .LBB30_696
; %bb.694:
	s_wait_loadcnt 0x0
	global_load_b32 v0, v[2:3], off
	v_mov_b32_e32 v1, 0
	s_mov_b32 s31, 0
	s_branch .LBB30_697
.LBB30_695:
	s_mov_b32 s31, -1
                                        ; implicit-def: $vgpr0_vgpr1
	s_branch .LBB30_700
.LBB30_696:
	s_mov_b32 s31, -1
                                        ; implicit-def: $vgpr0_vgpr1
.LBB30_697:
	s_delay_alu instid0(SALU_CYCLE_1)
	s_and_not1_b32 vcc_lo, exec_lo, s31
	s_cbranch_vccnz .LBB30_699
; %bb.698:
	s_wait_loadcnt 0x0
	global_load_u16 v0, v[2:3], off
	s_mov_b32 s31, 0
	s_delay_alu instid0(SALU_CYCLE_1)
	v_mov_b32_e32 v1, s31
	s_wait_loadcnt 0x0
	v_and_b32_e32 v0, 0xffff, v0
.LBB30_699:
	s_mov_b32 s31, 0
.LBB30_700:
	s_delay_alu instid0(SALU_CYCLE_1)
	s_and_not1_b32 vcc_lo, exec_lo, s31
	s_cbranch_vccnz .LBB30_706
; %bb.701:
	global_load_u8 v4, v[2:3], off
	s_mov_b32 s38, 0
	s_mov_b32 s31, exec_lo
	s_wait_loadcnt 0x0
	v_cmpx_lt_i16_e32 0x7f, v4
	s_xor_b32 s31, exec_lo, s31
	s_cbranch_execz .LBB30_718
; %bb.702:
	v_cmp_ne_u16_e32 vcc_lo, 0x80, v4
	s_and_b32 s38, vcc_lo, exec_lo
	s_and_not1_saveexec_b32 s31, s31
	s_cbranch_execnz .LBB30_719
.LBB30_703:
	s_or_b32 exec_lo, exec_lo, s31
	v_mov_b64_e32 v[0:1], 0
	s_and_saveexec_b32 s31, s38
	s_cbranch_execz .LBB30_705
.LBB30_704:
	v_and_b32_e32 v0, 0xffff, v4
	s_delay_alu instid0(VALU_DEP_1) | instskip(SKIP_1) | instid1(VALU_DEP_2)
	v_and_b32_e32 v1, 7, v0
	v_bfe_u32 v7, v0, 3, 4
	v_clz_i32_u32_e32 v5, v1
	s_delay_alu instid0(VALU_DEP_2) | instskip(NEXT) | instid1(VALU_DEP_2)
	v_cmp_eq_u32_e32 vcc_lo, 0, v7
	v_min_u32_e32 v5, 32, v5
	s_delay_alu instid0(VALU_DEP_1) | instskip(NEXT) | instid1(VALU_DEP_1)
	v_subrev_nc_u32_e32 v6, 28, v5
	v_dual_lshlrev_b32 v0, v6, v0 :: v_dual_sub_nc_u32 v5, 29, v5
	s_delay_alu instid0(VALU_DEP_1) | instskip(NEXT) | instid1(VALU_DEP_2)
	v_and_b32_e32 v0, 7, v0
	v_dual_cndmask_b32 v5, v7, v5 :: v_dual_lshlrev_b32 v4, 24, v4
	s_delay_alu instid0(VALU_DEP_2) | instskip(NEXT) | instid1(VALU_DEP_2)
	v_cndmask_b32_e32 v0, v1, v0, vcc_lo
	v_and_b32_e32 v1, 0x80000000, v4
	s_delay_alu instid0(VALU_DEP_3) | instskip(NEXT) | instid1(VALU_DEP_3)
	v_lshl_add_u32 v4, v5, 23, 0x3b800000
	v_lshlrev_b32_e32 v0, 20, v0
	s_delay_alu instid0(VALU_DEP_1) | instskip(NEXT) | instid1(VALU_DEP_1)
	v_or3_b32 v0, v1, v4, v0
	v_trunc_f32_e32 v0, v0
	s_delay_alu instid0(VALU_DEP_1) | instskip(NEXT) | instid1(VALU_DEP_1)
	v_mul_f32_e64 v1, 0x2f800000, |v0|
	v_floor_f32_e32 v1, v1
	s_delay_alu instid0(VALU_DEP_1) | instskip(SKIP_2) | instid1(VALU_DEP_3)
	v_fma_f32 v4, 0xcf800000, v1, |v0|
	v_ashrrev_i32_e32 v0, 31, v0
	v_cvt_u32_f32_e32 v5, v1
	v_cvt_u32_f32_e32 v4, v4
	s_delay_alu instid0(VALU_DEP_2) | instskip(NEXT) | instid1(VALU_DEP_2)
	v_dual_mov_b32 v1, v0 :: v_dual_bitop2_b32 v5, v5, v0 bitop3:0x14
	v_xor_b32_e32 v4, v4, v0
	s_delay_alu instid0(VALU_DEP_1)
	v_sub_nc_u64_e32 v[0:1], v[4:5], v[0:1]
.LBB30_705:
	s_or_b32 exec_lo, exec_lo, s31
.LBB30_706:
	s_mov_b32 s31, -1
.LBB30_707:
	s_mov_b32 s38, 0
.LBB30_708:
	s_delay_alu instid0(SALU_CYCLE_1)
	s_and_b32 vcc_lo, exec_lo, s38
	s_cbranch_vccz .LBB30_741
; %bb.709:
	s_cmp_gt_i32 s1, 22
	s_cbranch_scc0 .LBB30_717
; %bb.710:
	s_cmp_lt_i32 s1, 24
	s_cbranch_scc1 .LBB30_720
; %bb.711:
	s_cmp_gt_i32 s1, 24
	s_cbranch_scc0 .LBB30_721
; %bb.712:
	global_load_u8 v4, v[2:3], off
	s_mov_b32 s38, 0
	s_mov_b32 s31, exec_lo
	s_wait_loadcnt 0x0
	v_cmpx_lt_i16_e32 0x7f, v4
	s_xor_b32 s31, exec_lo, s31
	s_cbranch_execz .LBB30_733
; %bb.713:
	v_cmp_ne_u16_e32 vcc_lo, 0x80, v4
	s_and_b32 s38, vcc_lo, exec_lo
	s_and_not1_saveexec_b32 s31, s31
	s_cbranch_execnz .LBB30_734
.LBB30_714:
	s_or_b32 exec_lo, exec_lo, s31
	v_mov_b64_e32 v[0:1], 0
	s_and_saveexec_b32 s31, s38
	s_cbranch_execz .LBB30_716
.LBB30_715:
	v_and_b32_e32 v0, 0xffff, v4
	s_delay_alu instid0(VALU_DEP_1) | instskip(SKIP_1) | instid1(VALU_DEP_2)
	v_and_b32_e32 v1, 3, v0
	v_bfe_u32 v7, v0, 2, 5
	v_clz_i32_u32_e32 v5, v1
	s_delay_alu instid0(VALU_DEP_2) | instskip(NEXT) | instid1(VALU_DEP_2)
	v_cmp_eq_u32_e32 vcc_lo, 0, v7
	v_min_u32_e32 v5, 32, v5
	s_delay_alu instid0(VALU_DEP_1) | instskip(NEXT) | instid1(VALU_DEP_1)
	v_subrev_nc_u32_e32 v6, 29, v5
	v_dual_lshlrev_b32 v0, v6, v0 :: v_dual_sub_nc_u32 v5, 30, v5
	s_delay_alu instid0(VALU_DEP_1) | instskip(NEXT) | instid1(VALU_DEP_2)
	v_and_b32_e32 v0, 3, v0
	v_dual_cndmask_b32 v5, v7, v5 :: v_dual_lshlrev_b32 v4, 24, v4
	s_delay_alu instid0(VALU_DEP_2) | instskip(NEXT) | instid1(VALU_DEP_2)
	v_cndmask_b32_e32 v0, v1, v0, vcc_lo
	v_and_b32_e32 v1, 0x80000000, v4
	s_delay_alu instid0(VALU_DEP_3) | instskip(NEXT) | instid1(VALU_DEP_3)
	v_lshl_add_u32 v4, v5, 23, 0x37800000
	v_lshlrev_b32_e32 v0, 21, v0
	s_delay_alu instid0(VALU_DEP_1) | instskip(NEXT) | instid1(VALU_DEP_1)
	v_or3_b32 v0, v1, v4, v0
	v_trunc_f32_e32 v0, v0
	s_delay_alu instid0(VALU_DEP_1) | instskip(NEXT) | instid1(VALU_DEP_1)
	v_mul_f32_e64 v1, 0x2f800000, |v0|
	v_floor_f32_e32 v1, v1
	s_delay_alu instid0(VALU_DEP_1) | instskip(SKIP_2) | instid1(VALU_DEP_3)
	v_fma_f32 v4, 0xcf800000, v1, |v0|
	v_ashrrev_i32_e32 v0, 31, v0
	v_cvt_u32_f32_e32 v5, v1
	v_cvt_u32_f32_e32 v4, v4
	s_delay_alu instid0(VALU_DEP_2) | instskip(NEXT) | instid1(VALU_DEP_2)
	v_dual_mov_b32 v1, v0 :: v_dual_bitop2_b32 v5, v5, v0 bitop3:0x14
	v_xor_b32_e32 v4, v4, v0
	s_delay_alu instid0(VALU_DEP_1)
	v_sub_nc_u64_e32 v[0:1], v[4:5], v[0:1]
.LBB30_716:
	s_or_b32 exec_lo, exec_lo, s31
	s_mov_b32 s31, 0
	s_branch .LBB30_722
.LBB30_717:
	s_mov_b32 s38, -1
                                        ; implicit-def: $vgpr0_vgpr1
	s_branch .LBB30_728
.LBB30_718:
	s_and_not1_saveexec_b32 s31, s31
	s_cbranch_execz .LBB30_703
.LBB30_719:
	v_cmp_ne_u16_e32 vcc_lo, 0, v4
	s_and_not1_b32 s38, s38, exec_lo
	s_and_b32 s39, vcc_lo, exec_lo
	s_delay_alu instid0(SALU_CYCLE_1)
	s_or_b32 s38, s38, s39
	s_or_b32 exec_lo, exec_lo, s31
	v_mov_b64_e32 v[0:1], 0
	s_and_saveexec_b32 s31, s38
	s_cbranch_execnz .LBB30_704
	s_branch .LBB30_705
.LBB30_720:
	s_mov_b32 s31, -1
                                        ; implicit-def: $vgpr0_vgpr1
	s_branch .LBB30_725
.LBB30_721:
	s_mov_b32 s31, -1
                                        ; implicit-def: $vgpr0_vgpr1
.LBB30_722:
	s_delay_alu instid0(SALU_CYCLE_1)
	s_and_b32 vcc_lo, exec_lo, s31
	s_cbranch_vccz .LBB30_724
; %bb.723:
	s_wait_loadcnt 0x0
	global_load_u8 v0, v[2:3], off
	s_wait_loadcnt 0x0
	v_lshlrev_b32_e32 v0, 24, v0
	s_delay_alu instid0(VALU_DEP_1) | instskip(NEXT) | instid1(VALU_DEP_1)
	v_and_b32_e32 v1, 0x7f000000, v0
	v_clz_i32_u32_e32 v4, v1
	v_cmp_ne_u32_e32 vcc_lo, 0, v1
	v_add_nc_u32_e32 v6, 0x1000000, v1
	s_delay_alu instid0(VALU_DEP_3) | instskip(NEXT) | instid1(VALU_DEP_1)
	v_min_u32_e32 v4, 32, v4
	v_sub_nc_u32_e64 v4, v4, 4 clamp
	s_delay_alu instid0(VALU_DEP_1) | instskip(NEXT) | instid1(VALU_DEP_1)
	v_dual_lshlrev_b32 v5, v4, v1 :: v_dual_lshlrev_b32 v4, 23, v4
	v_lshrrev_b32_e32 v5, 4, v5
	s_delay_alu instid0(VALU_DEP_1) | instskip(NEXT) | instid1(VALU_DEP_1)
	v_dual_sub_nc_u32 v4, v5, v4 :: v_dual_ashrrev_i32 v5, 8, v6
	v_add_nc_u32_e32 v4, 0x3c000000, v4
	s_delay_alu instid0(VALU_DEP_1) | instskip(NEXT) | instid1(VALU_DEP_1)
	v_and_or_b32 v4, 0x7f800000, v5, v4
	v_cndmask_b32_e32 v1, 0, v4, vcc_lo
	s_delay_alu instid0(VALU_DEP_1) | instskip(NEXT) | instid1(VALU_DEP_1)
	v_and_or_b32 v0, 0x80000000, v0, v1
	v_trunc_f32_e32 v0, v0
	s_delay_alu instid0(VALU_DEP_1) | instskip(NEXT) | instid1(VALU_DEP_1)
	v_mul_f32_e64 v1, 0x2f800000, |v0|
	v_floor_f32_e32 v1, v1
	s_delay_alu instid0(VALU_DEP_1) | instskip(SKIP_2) | instid1(VALU_DEP_3)
	v_fma_f32 v4, 0xcf800000, v1, |v0|
	v_ashrrev_i32_e32 v0, 31, v0
	v_cvt_u32_f32_e32 v5, v1
	v_cvt_u32_f32_e32 v4, v4
	s_delay_alu instid0(VALU_DEP_2) | instskip(NEXT) | instid1(VALU_DEP_2)
	v_dual_mov_b32 v1, v0 :: v_dual_bitop2_b32 v5, v5, v0 bitop3:0x14
	v_xor_b32_e32 v4, v4, v0
	s_delay_alu instid0(VALU_DEP_1)
	v_sub_nc_u64_e32 v[0:1], v[4:5], v[0:1]
.LBB30_724:
	s_mov_b32 s31, 0
.LBB30_725:
	s_delay_alu instid0(SALU_CYCLE_1)
	s_and_not1_b32 vcc_lo, exec_lo, s31
	s_cbranch_vccnz .LBB30_727
; %bb.726:
	s_wait_loadcnt 0x0
	global_load_u8 v0, v[2:3], off
	s_wait_loadcnt 0x0
	v_lshlrev_b32_e32 v1, 25, v0
	v_lshlrev_b16 v0, 8, v0
	s_delay_alu instid0(VALU_DEP_1) | instskip(SKIP_1) | instid1(VALU_DEP_2)
	v_and_or_b32 v5, 0x7f00, v0, 0.5
	v_bfe_i32 v0, v0, 0, 16
	v_add_f32_e32 v5, -0.5, v5
	v_lshrrev_b32_e32 v4, 4, v1
	v_cmp_gt_u32_e32 vcc_lo, 0x8000000, v1
	s_delay_alu instid0(VALU_DEP_2) | instskip(NEXT) | instid1(VALU_DEP_1)
	v_or_b32_e32 v4, 0x70000000, v4
	v_mul_f32_e32 v4, 0x7800000, v4
	s_delay_alu instid0(VALU_DEP_1) | instskip(NEXT) | instid1(VALU_DEP_1)
	v_cndmask_b32_e32 v1, v4, v5, vcc_lo
	v_and_or_b32 v0, 0x80000000, v0, v1
	s_delay_alu instid0(VALU_DEP_1) | instskip(NEXT) | instid1(VALU_DEP_1)
	v_trunc_f32_e32 v0, v0
	v_mul_f32_e64 v1, 0x2f800000, |v0|
	s_delay_alu instid0(VALU_DEP_1) | instskip(NEXT) | instid1(VALU_DEP_1)
	v_floor_f32_e32 v1, v1
	v_fma_f32 v4, 0xcf800000, v1, |v0|
	v_ashrrev_i32_e32 v0, 31, v0
	v_cvt_u32_f32_e32 v5, v1
	s_delay_alu instid0(VALU_DEP_3) | instskip(NEXT) | instid1(VALU_DEP_2)
	v_cvt_u32_f32_e32 v4, v4
	v_dual_mov_b32 v1, v0 :: v_dual_bitop2_b32 v5, v5, v0 bitop3:0x14
	s_delay_alu instid0(VALU_DEP_2) | instskip(NEXT) | instid1(VALU_DEP_1)
	v_xor_b32_e32 v4, v4, v0
	v_sub_nc_u64_e32 v[0:1], v[4:5], v[0:1]
.LBB30_727:
	s_mov_b32 s38, 0
	s_mov_b32 s31, -1
.LBB30_728:
	s_and_not1_b32 vcc_lo, exec_lo, s38
	s_cbranch_vccnz .LBB30_741
; %bb.729:
	s_cmp_gt_i32 s1, 14
	s_cbranch_scc0 .LBB30_732
; %bb.730:
	s_cmp_eq_u32 s1, 15
	s_cbranch_scc0 .LBB30_735
; %bb.731:
	s_wait_loadcnt 0x0
	global_load_u16 v0, v[2:3], off
	s_mov_b32 s31, -1
	s_mov_b32 s69, 0
	s_wait_loadcnt 0x0
	v_lshlrev_b32_e32 v0, 16, v0
	s_delay_alu instid0(VALU_DEP_1) | instskip(NEXT) | instid1(VALU_DEP_1)
	v_trunc_f32_e32 v0, v0
	v_mul_f32_e64 v1, 0x2f800000, |v0|
	s_delay_alu instid0(VALU_DEP_1) | instskip(NEXT) | instid1(VALU_DEP_1)
	v_floor_f32_e32 v1, v1
	v_fma_f32 v4, 0xcf800000, v1, |v0|
	v_ashrrev_i32_e32 v0, 31, v0
	v_cvt_u32_f32_e32 v5, v1
	s_delay_alu instid0(VALU_DEP_3) | instskip(NEXT) | instid1(VALU_DEP_2)
	v_cvt_u32_f32_e32 v4, v4
	v_dual_mov_b32 v1, v0 :: v_dual_bitop2_b32 v5, v5, v0 bitop3:0x14
	s_delay_alu instid0(VALU_DEP_2) | instskip(NEXT) | instid1(VALU_DEP_1)
	v_xor_b32_e32 v4, v4, v0
	v_sub_nc_u64_e32 v[0:1], v[4:5], v[0:1]
	s_branch .LBB30_736
.LBB30_732:
	s_mov_b32 s38, -1
                                        ; implicit-def: $vgpr0_vgpr1
	s_branch .LBB30_737
.LBB30_733:
	s_and_not1_saveexec_b32 s31, s31
	s_cbranch_execz .LBB30_714
.LBB30_734:
	v_cmp_ne_u16_e32 vcc_lo, 0, v4
	s_and_not1_b32 s38, s38, exec_lo
	s_and_b32 s39, vcc_lo, exec_lo
	s_delay_alu instid0(SALU_CYCLE_1)
	s_or_b32 s38, s38, s39
	s_or_b32 exec_lo, exec_lo, s31
	v_mov_b64_e32 v[0:1], 0
	s_and_saveexec_b32 s31, s38
	s_cbranch_execnz .LBB30_715
	s_branch .LBB30_716
.LBB30_735:
	s_mov_b32 s69, -1
                                        ; implicit-def: $vgpr0_vgpr1
.LBB30_736:
	s_mov_b32 s38, 0
.LBB30_737:
	s_delay_alu instid0(SALU_CYCLE_1)
	s_and_b32 vcc_lo, exec_lo, s38
	s_cbranch_vccz .LBB30_741
; %bb.738:
	s_cmp_eq_u32 s1, 11
	s_cbranch_scc0 .LBB30_740
; %bb.739:
	s_wait_loadcnt 0x0
	global_load_u8 v0, v[2:3], off
	s_mov_b32 s69, 0
	s_mov_b32 s31, -1
	v_mov_b32_e32 v1, s69
	s_wait_loadcnt 0x0
	v_cmp_ne_u16_e32 vcc_lo, 0, v0
	v_cndmask_b32_e64 v0, 0, 1, vcc_lo
	s_branch .LBB30_741
.LBB30_740:
	s_mov_b32 s69, -1
                                        ; implicit-def: $vgpr0_vgpr1
.LBB30_741:
	s_branch .LBB30_648
.LBB30_742:
	s_and_b32 s0, 0xffff, s0
	s_delay_alu instid0(SALU_CYCLE_1)
	s_cmp_lt_i32 s0, 5
	s_cbranch_scc1 .LBB30_747
; %bb.743:
	s_cmp_lt_i32 s0, 8
	s_cbranch_scc1 .LBB30_748
; %bb.744:
	;; [unrolled: 3-line block ×3, first 2 shown]
	s_cmp_gt_i32 s0, 9
	s_cbranch_scc0 .LBB30_750
; %bb.746:
	s_wait_loadcnt 0x0
	global_load_b64 v[0:1], v[2:3], off
	s_mov_b32 s1, 0
	s_wait_loadcnt 0x0
	v_trunc_f64_e32 v[0:1], v[0:1]
	s_delay_alu instid0(VALU_DEP_1) | instskip(NEXT) | instid1(VALU_DEP_1)
	v_ldexp_f64 v[4:5], v[0:1], 0xffffffe0
	v_floor_f64_e32 v[4:5], v[4:5]
	s_delay_alu instid0(VALU_DEP_1) | instskip(SKIP_1) | instid1(VALU_DEP_2)
	v_fmamk_f64 v[6:7], v[4:5], 0xc1f00000, v[0:1]
	v_cvt_i32_f64_e32 v1, v[4:5]
	v_cvt_u32_f64_e32 v0, v[6:7]
	s_branch .LBB30_751
.LBB30_747:
	s_mov_b32 s1, -1
                                        ; implicit-def: $vgpr0_vgpr1
	s_branch .LBB30_769
.LBB30_748:
	s_mov_b32 s1, -1
                                        ; implicit-def: $vgpr0_vgpr1
	s_branch .LBB30_757
.LBB30_749:
	s_mov_b32 s1, -1
                                        ; implicit-def: $vgpr0_vgpr1
	s_branch .LBB30_754
.LBB30_750:
	s_mov_b32 s1, -1
                                        ; implicit-def: $vgpr0_vgpr1
.LBB30_751:
	s_delay_alu instid0(SALU_CYCLE_1)
	s_and_not1_b32 vcc_lo, exec_lo, s1
	s_cbranch_vccnz .LBB30_753
; %bb.752:
	s_wait_loadcnt 0x0
	global_load_b32 v0, v[2:3], off
	s_wait_loadcnt 0x0
	v_trunc_f32_e32 v0, v0
	s_delay_alu instid0(VALU_DEP_1) | instskip(NEXT) | instid1(VALU_DEP_1)
	v_mul_f32_e64 v1, 0x2f800000, |v0|
	v_floor_f32_e32 v1, v1
	s_delay_alu instid0(VALU_DEP_1) | instskip(SKIP_2) | instid1(VALU_DEP_3)
	v_fma_f32 v4, 0xcf800000, v1, |v0|
	v_ashrrev_i32_e32 v0, 31, v0
	v_cvt_u32_f32_e32 v5, v1
	v_cvt_u32_f32_e32 v4, v4
	s_delay_alu instid0(VALU_DEP_2) | instskip(NEXT) | instid1(VALU_DEP_2)
	v_dual_mov_b32 v1, v0 :: v_dual_bitop2_b32 v5, v5, v0 bitop3:0x14
	v_xor_b32_e32 v4, v4, v0
	s_delay_alu instid0(VALU_DEP_1)
	v_sub_nc_u64_e32 v[0:1], v[4:5], v[0:1]
.LBB30_753:
	s_mov_b32 s1, 0
.LBB30_754:
	s_delay_alu instid0(SALU_CYCLE_1)
	s_and_not1_b32 vcc_lo, exec_lo, s1
	s_cbranch_vccnz .LBB30_756
; %bb.755:
	s_wait_loadcnt 0x0
	global_load_b32 v0, v[2:3], off
	s_wait_loadcnt 0x0
	v_cvt_f32_f16_e32 v0, v0
	s_delay_alu instid0(VALU_DEP_1) | instskip(NEXT) | instid1(VALU_DEP_1)
	v_cvt_i32_f32_e32 v0, v0
	v_ashrrev_i32_e32 v1, 31, v0
.LBB30_756:
	s_mov_b32 s1, 0
.LBB30_757:
	s_delay_alu instid0(SALU_CYCLE_1)
	s_and_not1_b32 vcc_lo, exec_lo, s1
	s_cbranch_vccnz .LBB30_768
; %bb.758:
	s_cmp_lt_i32 s0, 6
	s_cbranch_scc1 .LBB30_761
; %bb.759:
	s_cmp_gt_i32 s0, 6
	s_cbranch_scc0 .LBB30_762
; %bb.760:
	s_wait_loadcnt 0x0
	global_load_b64 v[0:1], v[2:3], off
	s_mov_b32 s1, 0
	s_wait_loadcnt 0x0
	v_trunc_f64_e32 v[0:1], v[0:1]
	s_delay_alu instid0(VALU_DEP_1) | instskip(NEXT) | instid1(VALU_DEP_1)
	v_ldexp_f64 v[4:5], v[0:1], 0xffffffe0
	v_floor_f64_e32 v[4:5], v[4:5]
	s_delay_alu instid0(VALU_DEP_1) | instskip(SKIP_1) | instid1(VALU_DEP_2)
	v_fmamk_f64 v[6:7], v[4:5], 0xc1f00000, v[0:1]
	v_cvt_i32_f64_e32 v1, v[4:5]
	v_cvt_u32_f64_e32 v0, v[6:7]
	s_branch .LBB30_763
.LBB30_761:
	s_mov_b32 s1, -1
                                        ; implicit-def: $vgpr0_vgpr1
	s_branch .LBB30_766
.LBB30_762:
	s_mov_b32 s1, -1
                                        ; implicit-def: $vgpr0_vgpr1
.LBB30_763:
	s_delay_alu instid0(SALU_CYCLE_1)
	s_and_not1_b32 vcc_lo, exec_lo, s1
	s_cbranch_vccnz .LBB30_765
; %bb.764:
	s_wait_loadcnt 0x0
	global_load_b32 v0, v[2:3], off
	s_wait_loadcnt 0x0
	v_trunc_f32_e32 v0, v0
	s_delay_alu instid0(VALU_DEP_1) | instskip(NEXT) | instid1(VALU_DEP_1)
	v_mul_f32_e64 v1, 0x2f800000, |v0|
	v_floor_f32_e32 v1, v1
	s_delay_alu instid0(VALU_DEP_1) | instskip(SKIP_2) | instid1(VALU_DEP_3)
	v_fma_f32 v4, 0xcf800000, v1, |v0|
	v_ashrrev_i32_e32 v0, 31, v0
	v_cvt_u32_f32_e32 v5, v1
	v_cvt_u32_f32_e32 v4, v4
	s_delay_alu instid0(VALU_DEP_2) | instskip(NEXT) | instid1(VALU_DEP_2)
	v_dual_mov_b32 v1, v0 :: v_dual_bitop2_b32 v5, v5, v0 bitop3:0x14
	v_xor_b32_e32 v4, v4, v0
	s_delay_alu instid0(VALU_DEP_1)
	v_sub_nc_u64_e32 v[0:1], v[4:5], v[0:1]
.LBB30_765:
	s_mov_b32 s1, 0
.LBB30_766:
	s_delay_alu instid0(SALU_CYCLE_1)
	s_and_not1_b32 vcc_lo, exec_lo, s1
	s_cbranch_vccnz .LBB30_768
; %bb.767:
	s_wait_loadcnt 0x0
	global_load_u16 v0, v[2:3], off
	s_wait_loadcnt 0x0
	v_cvt_f32_f16_e32 v0, v0
	s_delay_alu instid0(VALU_DEP_1) | instskip(NEXT) | instid1(VALU_DEP_1)
	v_cvt_i32_f32_e32 v0, v0
	v_ashrrev_i32_e32 v1, 31, v0
.LBB30_768:
	s_mov_b32 s1, 0
.LBB30_769:
	s_delay_alu instid0(SALU_CYCLE_1)
	s_and_not1_b32 vcc_lo, exec_lo, s1
	s_cbranch_vccnz .LBB30_789
; %bb.770:
	s_cmp_lt_i32 s0, 2
	s_cbranch_scc1 .LBB30_774
; %bb.771:
	s_cmp_lt_i32 s0, 3
	s_cbranch_scc1 .LBB30_775
; %bb.772:
	s_cmp_gt_i32 s0, 3
	s_cbranch_scc0 .LBB30_776
; %bb.773:
	s_wait_loadcnt 0x0
	global_load_b64 v[0:1], v[2:3], off
	s_mov_b32 s1, 0
	s_branch .LBB30_777
.LBB30_774:
	s_mov_b32 s1, -1
                                        ; implicit-def: $vgpr0_vgpr1
	s_branch .LBB30_783
.LBB30_775:
	s_mov_b32 s1, -1
                                        ; implicit-def: $vgpr0_vgpr1
	s_branch .LBB30_780
.LBB30_776:
	s_mov_b32 s1, -1
                                        ; implicit-def: $vgpr0_vgpr1
.LBB30_777:
	s_delay_alu instid0(SALU_CYCLE_1)
	s_and_not1_b32 vcc_lo, exec_lo, s1
	s_cbranch_vccnz .LBB30_779
; %bb.778:
	s_wait_loadcnt 0x0
	global_load_b32 v0, v[2:3], off
	s_wait_loadcnt 0x0
	v_ashrrev_i32_e32 v1, 31, v0
.LBB30_779:
	s_mov_b32 s1, 0
.LBB30_780:
	s_delay_alu instid0(SALU_CYCLE_1)
	s_and_not1_b32 vcc_lo, exec_lo, s1
	s_cbranch_vccnz .LBB30_782
; %bb.781:
	s_wait_loadcnt 0x0
	global_load_u16 v0, v[2:3], off
	s_wait_loadcnt 0x0
	v_bfe_i32 v0, v0, 0, 16
	s_delay_alu instid0(VALU_DEP_1)
	v_ashrrev_i32_e32 v1, 31, v0
.LBB30_782:
	s_mov_b32 s1, 0
.LBB30_783:
	s_delay_alu instid0(SALU_CYCLE_1)
	s_and_not1_b32 vcc_lo, exec_lo, s1
	s_cbranch_vccnz .LBB30_789
; %bb.784:
	s_cmp_gt_i32 s0, 0
	s_mov_b32 s0, 0
	s_cbranch_scc0 .LBB30_786
; %bb.785:
	s_wait_loadcnt 0x0
	global_load_i8 v0, v[2:3], off
	s_wait_loadcnt 0x0
	v_bfe_i32 v0, v0, 0, 16
	s_delay_alu instid0(VALU_DEP_1)
	v_ashrrev_i32_e32 v1, 31, v0
	s_branch .LBB30_787
.LBB30_786:
	s_mov_b32 s0, -1
                                        ; implicit-def: $vgpr0_vgpr1
.LBB30_787:
	s_delay_alu instid0(SALU_CYCLE_1)
	s_and_not1_b32 vcc_lo, exec_lo, s0
	s_cbranch_vccnz .LBB30_789
; %bb.788:
	s_wait_loadcnt 0x0
	global_load_u8 v0, v[2:3], off
	s_mov_b32 s0, 0
	s_delay_alu instid0(SALU_CYCLE_1)
	v_mov_b32_e32 v1, s0
	s_wait_loadcnt 0x0
	v_and_b32_e32 v0, 0xffff, v0
.LBB30_789:
	s_branch .LBB30_649
.LBB30_790:
	s_mov_b32 s0, 0
	s_mov_b32 s1, s56
	;; [unrolled: 1-line block ×10, first 2 shown]
	s_branch .LBB30_1297
.LBB30_791:
	s_mov_b32 s39, -1
	s_mov_b32 s31, 0
	s_mov_b32 s40, 0
	s_branch .LBB30_1874
.LBB30_792:
	s_mov_b32 s71, -1
	s_mov_b32 s31, 0
.LBB30_793:
                                        ; implicit-def: $vgpr2_vgpr3
.LBB30_794:
	s_and_b32 vcc_lo, exec_lo, s38
	s_cbranch_vccz .LBB30_798
; %bb.795:
	s_cmp_eq_u32 s1, 44
	s_cbranch_scc0 .LBB30_797
; %bb.796:
	global_load_u8 v8, v[4:5], off
	s_mov_b32 s71, 0
	s_mov_b32 s31, -1
	s_wait_loadcnt 0x0
	v_cmp_ne_u32_e32 vcc_lo, 0, v8
	v_lshlrev_b32_e32 v2, 23, v8
	s_delay_alu instid0(VALU_DEP_1) | instskip(NEXT) | instid1(VALU_DEP_1)
	v_trunc_f32_e32 v2, v2
	v_mul_f32_e64 v3, 0x2f800000, |v2|
	s_delay_alu instid0(VALU_DEP_1) | instskip(NEXT) | instid1(VALU_DEP_1)
	v_floor_f32_e32 v3, v3
	v_fma_f32 v6, 0xcf800000, v3, |v2|
	v_ashrrev_i32_e32 v2, 31, v2
	v_cvt_u32_f32_e32 v7, v3
	s_delay_alu instid0(VALU_DEP_3) | instskip(NEXT) | instid1(VALU_DEP_2)
	v_cvt_u32_f32_e32 v6, v6
	v_dual_mov_b32 v3, v2 :: v_dual_bitop2_b32 v7, v7, v2 bitop3:0x14
	s_delay_alu instid0(VALU_DEP_2) | instskip(NEXT) | instid1(VALU_DEP_1)
	v_xor_b32_e32 v6, v6, v2
	v_sub_nc_u64_e32 v[2:3], v[6:7], v[2:3]
	s_delay_alu instid0(VALU_DEP_1)
	v_dual_cndmask_b32 v3, 0, v3 :: v_dual_cndmask_b32 v2, 0, v2
	s_branch .LBB30_798
.LBB30_797:
	s_mov_b32 s71, -1
                                        ; implicit-def: $vgpr2_vgpr3
.LBB30_798:
	s_mov_b32 s38, 0
.LBB30_799:
	s_delay_alu instid0(SALU_CYCLE_1)
	s_and_b32 vcc_lo, exec_lo, s38
	s_cbranch_vccz .LBB30_803
; %bb.800:
	s_cmp_eq_u32 s1, 29
	s_cbranch_scc0 .LBB30_802
; %bb.801:
	global_load_b64 v[2:3], v[4:5], off
	s_mov_b32 s31, -1
	s_mov_b32 s71, 0
	s_branch .LBB30_803
.LBB30_802:
	s_mov_b32 s71, -1
                                        ; implicit-def: $vgpr2_vgpr3
.LBB30_803:
	s_mov_b32 s38, 0
.LBB30_804:
	s_delay_alu instid0(SALU_CYCLE_1)
	s_and_b32 vcc_lo, exec_lo, s38
	s_cbranch_vccz .LBB30_820
; %bb.805:
	s_cmp_lt_i32 s1, 27
	s_cbranch_scc1 .LBB30_808
; %bb.806:
	s_cmp_gt_i32 s1, 27
	s_cbranch_scc0 .LBB30_809
; %bb.807:
	s_wait_loadcnt 0x0
	global_load_b32 v2, v[4:5], off
	v_mov_b32_e32 v3, 0
	s_mov_b32 s31, 0
	s_branch .LBB30_810
.LBB30_808:
	s_mov_b32 s31, -1
                                        ; implicit-def: $vgpr2_vgpr3
	s_branch .LBB30_813
.LBB30_809:
	s_mov_b32 s31, -1
                                        ; implicit-def: $vgpr2_vgpr3
.LBB30_810:
	s_delay_alu instid0(SALU_CYCLE_1)
	s_and_not1_b32 vcc_lo, exec_lo, s31
	s_cbranch_vccnz .LBB30_812
; %bb.811:
	s_wait_loadcnt 0x0
	global_load_u16 v2, v[4:5], off
	s_mov_b32 s31, 0
	s_delay_alu instid0(SALU_CYCLE_1)
	v_mov_b32_e32 v3, s31
	s_wait_loadcnt 0x0
	v_and_b32_e32 v2, 0xffff, v2
.LBB30_812:
	s_mov_b32 s31, 0
.LBB30_813:
	s_delay_alu instid0(SALU_CYCLE_1)
	s_and_not1_b32 vcc_lo, exec_lo, s31
	s_cbranch_vccnz .LBB30_819
; %bb.814:
	global_load_u8 v6, v[4:5], off
	s_mov_b32 s38, 0
	s_mov_b32 s31, exec_lo
	s_wait_loadcnt 0x0
	v_cmpx_lt_i16_e32 0x7f, v6
	s_xor_b32 s31, exec_lo, s31
	s_cbranch_execz .LBB30_831
; %bb.815:
	v_cmp_ne_u16_e32 vcc_lo, 0x80, v6
	s_and_b32 s38, vcc_lo, exec_lo
	s_and_not1_saveexec_b32 s31, s31
	s_cbranch_execnz .LBB30_832
.LBB30_816:
	s_or_b32 exec_lo, exec_lo, s31
	v_mov_b64_e32 v[2:3], 0
	s_and_saveexec_b32 s31, s38
	s_cbranch_execz .LBB30_818
.LBB30_817:
	v_and_b32_e32 v2, 0xffff, v6
	s_delay_alu instid0(VALU_DEP_1) | instskip(SKIP_1) | instid1(VALU_DEP_2)
	v_and_b32_e32 v3, 7, v2
	v_bfe_u32 v9, v2, 3, 4
	v_clz_i32_u32_e32 v7, v3
	s_delay_alu instid0(VALU_DEP_2) | instskip(NEXT) | instid1(VALU_DEP_2)
	v_cmp_eq_u32_e32 vcc_lo, 0, v9
	v_min_u32_e32 v7, 32, v7
	s_delay_alu instid0(VALU_DEP_1) | instskip(NEXT) | instid1(VALU_DEP_1)
	v_subrev_nc_u32_e32 v8, 28, v7
	v_dual_lshlrev_b32 v2, v8, v2 :: v_dual_sub_nc_u32 v7, 29, v7
	s_delay_alu instid0(VALU_DEP_1) | instskip(NEXT) | instid1(VALU_DEP_2)
	v_and_b32_e32 v2, 7, v2
	v_dual_cndmask_b32 v7, v9, v7 :: v_dual_lshlrev_b32 v6, 24, v6
	s_delay_alu instid0(VALU_DEP_2) | instskip(NEXT) | instid1(VALU_DEP_2)
	v_cndmask_b32_e32 v2, v3, v2, vcc_lo
	v_and_b32_e32 v3, 0x80000000, v6
	s_delay_alu instid0(VALU_DEP_3) | instskip(NEXT) | instid1(VALU_DEP_3)
	v_lshl_add_u32 v6, v7, 23, 0x3b800000
	v_lshlrev_b32_e32 v2, 20, v2
	s_delay_alu instid0(VALU_DEP_1) | instskip(NEXT) | instid1(VALU_DEP_1)
	v_or3_b32 v2, v3, v6, v2
	v_trunc_f32_e32 v2, v2
	s_delay_alu instid0(VALU_DEP_1) | instskip(NEXT) | instid1(VALU_DEP_1)
	v_mul_f32_e64 v3, 0x2f800000, |v2|
	v_floor_f32_e32 v3, v3
	s_delay_alu instid0(VALU_DEP_1) | instskip(SKIP_2) | instid1(VALU_DEP_3)
	v_fma_f32 v6, 0xcf800000, v3, |v2|
	v_ashrrev_i32_e32 v2, 31, v2
	v_cvt_u32_f32_e32 v7, v3
	v_cvt_u32_f32_e32 v6, v6
	s_delay_alu instid0(VALU_DEP_2) | instskip(NEXT) | instid1(VALU_DEP_2)
	v_dual_mov_b32 v3, v2 :: v_dual_bitop2_b32 v7, v7, v2 bitop3:0x14
	v_xor_b32_e32 v6, v6, v2
	s_delay_alu instid0(VALU_DEP_1)
	v_sub_nc_u64_e32 v[2:3], v[6:7], v[2:3]
.LBB30_818:
	s_or_b32 exec_lo, exec_lo, s31
.LBB30_819:
	s_mov_b32 s31, -1
.LBB30_820:
	s_mov_b32 s38, 0
.LBB30_821:
	s_delay_alu instid0(SALU_CYCLE_1)
	s_and_b32 vcc_lo, exec_lo, s38
	s_cbranch_vccz .LBB30_854
; %bb.822:
	s_cmp_gt_i32 s1, 22
	s_cbranch_scc0 .LBB30_830
; %bb.823:
	s_cmp_lt_i32 s1, 24
	s_cbranch_scc1 .LBB30_833
; %bb.824:
	s_cmp_gt_i32 s1, 24
	s_cbranch_scc0 .LBB30_834
; %bb.825:
	global_load_u8 v6, v[4:5], off
	s_mov_b32 s38, 0
	s_mov_b32 s31, exec_lo
	s_wait_loadcnt 0x0
	v_cmpx_lt_i16_e32 0x7f, v6
	s_xor_b32 s31, exec_lo, s31
	s_cbranch_execz .LBB30_846
; %bb.826:
	v_cmp_ne_u16_e32 vcc_lo, 0x80, v6
	s_and_b32 s38, vcc_lo, exec_lo
	s_and_not1_saveexec_b32 s31, s31
	s_cbranch_execnz .LBB30_847
.LBB30_827:
	s_or_b32 exec_lo, exec_lo, s31
	v_mov_b64_e32 v[2:3], 0
	s_and_saveexec_b32 s31, s38
	s_cbranch_execz .LBB30_829
.LBB30_828:
	v_and_b32_e32 v2, 0xffff, v6
	s_delay_alu instid0(VALU_DEP_1) | instskip(SKIP_1) | instid1(VALU_DEP_2)
	v_and_b32_e32 v3, 3, v2
	v_bfe_u32 v9, v2, 2, 5
	v_clz_i32_u32_e32 v7, v3
	s_delay_alu instid0(VALU_DEP_2) | instskip(NEXT) | instid1(VALU_DEP_2)
	v_cmp_eq_u32_e32 vcc_lo, 0, v9
	v_min_u32_e32 v7, 32, v7
	s_delay_alu instid0(VALU_DEP_1) | instskip(NEXT) | instid1(VALU_DEP_1)
	v_subrev_nc_u32_e32 v8, 29, v7
	v_dual_lshlrev_b32 v2, v8, v2 :: v_dual_sub_nc_u32 v7, 30, v7
	s_delay_alu instid0(VALU_DEP_1) | instskip(NEXT) | instid1(VALU_DEP_2)
	v_and_b32_e32 v2, 3, v2
	v_dual_cndmask_b32 v7, v9, v7 :: v_dual_lshlrev_b32 v6, 24, v6
	s_delay_alu instid0(VALU_DEP_2) | instskip(NEXT) | instid1(VALU_DEP_2)
	v_cndmask_b32_e32 v2, v3, v2, vcc_lo
	v_and_b32_e32 v3, 0x80000000, v6
	s_delay_alu instid0(VALU_DEP_3) | instskip(NEXT) | instid1(VALU_DEP_3)
	v_lshl_add_u32 v6, v7, 23, 0x37800000
	v_lshlrev_b32_e32 v2, 21, v2
	s_delay_alu instid0(VALU_DEP_1) | instskip(NEXT) | instid1(VALU_DEP_1)
	v_or3_b32 v2, v3, v6, v2
	v_trunc_f32_e32 v2, v2
	s_delay_alu instid0(VALU_DEP_1) | instskip(NEXT) | instid1(VALU_DEP_1)
	v_mul_f32_e64 v3, 0x2f800000, |v2|
	v_floor_f32_e32 v3, v3
	s_delay_alu instid0(VALU_DEP_1) | instskip(SKIP_2) | instid1(VALU_DEP_3)
	v_fma_f32 v6, 0xcf800000, v3, |v2|
	v_ashrrev_i32_e32 v2, 31, v2
	v_cvt_u32_f32_e32 v7, v3
	v_cvt_u32_f32_e32 v6, v6
	s_delay_alu instid0(VALU_DEP_2) | instskip(NEXT) | instid1(VALU_DEP_2)
	v_dual_mov_b32 v3, v2 :: v_dual_bitop2_b32 v7, v7, v2 bitop3:0x14
	v_xor_b32_e32 v6, v6, v2
	s_delay_alu instid0(VALU_DEP_1)
	v_sub_nc_u64_e32 v[2:3], v[6:7], v[2:3]
.LBB30_829:
	s_or_b32 exec_lo, exec_lo, s31
	s_mov_b32 s31, 0
	s_branch .LBB30_835
.LBB30_830:
	s_mov_b32 s38, -1
                                        ; implicit-def: $vgpr2_vgpr3
	s_branch .LBB30_841
.LBB30_831:
	s_and_not1_saveexec_b32 s31, s31
	s_cbranch_execz .LBB30_816
.LBB30_832:
	v_cmp_ne_u16_e32 vcc_lo, 0, v6
	s_and_not1_b32 s38, s38, exec_lo
	s_and_b32 s39, vcc_lo, exec_lo
	s_delay_alu instid0(SALU_CYCLE_1)
	s_or_b32 s38, s38, s39
	s_or_b32 exec_lo, exec_lo, s31
	v_mov_b64_e32 v[2:3], 0
	s_and_saveexec_b32 s31, s38
	s_cbranch_execnz .LBB30_817
	s_branch .LBB30_818
.LBB30_833:
	s_mov_b32 s31, -1
                                        ; implicit-def: $vgpr2_vgpr3
	s_branch .LBB30_838
.LBB30_834:
	s_mov_b32 s31, -1
                                        ; implicit-def: $vgpr2_vgpr3
.LBB30_835:
	s_delay_alu instid0(SALU_CYCLE_1)
	s_and_b32 vcc_lo, exec_lo, s31
	s_cbranch_vccz .LBB30_837
; %bb.836:
	s_wait_loadcnt 0x0
	global_load_u8 v2, v[4:5], off
	s_wait_loadcnt 0x0
	v_lshlrev_b32_e32 v2, 24, v2
	s_delay_alu instid0(VALU_DEP_1) | instskip(NEXT) | instid1(VALU_DEP_1)
	v_and_b32_e32 v3, 0x7f000000, v2
	v_clz_i32_u32_e32 v6, v3
	v_cmp_ne_u32_e32 vcc_lo, 0, v3
	v_add_nc_u32_e32 v8, 0x1000000, v3
	s_delay_alu instid0(VALU_DEP_3) | instskip(NEXT) | instid1(VALU_DEP_1)
	v_min_u32_e32 v6, 32, v6
	v_sub_nc_u32_e64 v6, v6, 4 clamp
	s_delay_alu instid0(VALU_DEP_1) | instskip(NEXT) | instid1(VALU_DEP_1)
	v_dual_lshlrev_b32 v7, v6, v3 :: v_dual_lshlrev_b32 v6, 23, v6
	v_lshrrev_b32_e32 v7, 4, v7
	s_delay_alu instid0(VALU_DEP_1) | instskip(NEXT) | instid1(VALU_DEP_1)
	v_dual_sub_nc_u32 v6, v7, v6 :: v_dual_ashrrev_i32 v7, 8, v8
	v_add_nc_u32_e32 v6, 0x3c000000, v6
	s_delay_alu instid0(VALU_DEP_1) | instskip(NEXT) | instid1(VALU_DEP_1)
	v_and_or_b32 v6, 0x7f800000, v7, v6
	v_cndmask_b32_e32 v3, 0, v6, vcc_lo
	s_delay_alu instid0(VALU_DEP_1) | instskip(NEXT) | instid1(VALU_DEP_1)
	v_and_or_b32 v2, 0x80000000, v2, v3
	v_trunc_f32_e32 v2, v2
	s_delay_alu instid0(VALU_DEP_1) | instskip(NEXT) | instid1(VALU_DEP_1)
	v_mul_f32_e64 v3, 0x2f800000, |v2|
	v_floor_f32_e32 v3, v3
	s_delay_alu instid0(VALU_DEP_1) | instskip(SKIP_2) | instid1(VALU_DEP_3)
	v_fma_f32 v6, 0xcf800000, v3, |v2|
	v_ashrrev_i32_e32 v2, 31, v2
	v_cvt_u32_f32_e32 v7, v3
	v_cvt_u32_f32_e32 v6, v6
	s_delay_alu instid0(VALU_DEP_2) | instskip(NEXT) | instid1(VALU_DEP_2)
	v_dual_mov_b32 v3, v2 :: v_dual_bitop2_b32 v7, v7, v2 bitop3:0x14
	v_xor_b32_e32 v6, v6, v2
	s_delay_alu instid0(VALU_DEP_1)
	v_sub_nc_u64_e32 v[2:3], v[6:7], v[2:3]
.LBB30_837:
	s_mov_b32 s31, 0
.LBB30_838:
	s_delay_alu instid0(SALU_CYCLE_1)
	s_and_not1_b32 vcc_lo, exec_lo, s31
	s_cbranch_vccnz .LBB30_840
; %bb.839:
	s_wait_loadcnt 0x0
	global_load_u8 v2, v[4:5], off
	s_wait_loadcnt 0x0
	v_lshlrev_b32_e32 v3, 25, v2
	v_lshlrev_b16 v2, 8, v2
	s_delay_alu instid0(VALU_DEP_1) | instskip(SKIP_1) | instid1(VALU_DEP_2)
	v_and_or_b32 v7, 0x7f00, v2, 0.5
	v_bfe_i32 v2, v2, 0, 16
	v_add_f32_e32 v7, -0.5, v7
	v_lshrrev_b32_e32 v6, 4, v3
	v_cmp_gt_u32_e32 vcc_lo, 0x8000000, v3
	s_delay_alu instid0(VALU_DEP_2) | instskip(NEXT) | instid1(VALU_DEP_1)
	v_or_b32_e32 v6, 0x70000000, v6
	v_mul_f32_e32 v6, 0x7800000, v6
	s_delay_alu instid0(VALU_DEP_1) | instskip(NEXT) | instid1(VALU_DEP_1)
	v_cndmask_b32_e32 v3, v6, v7, vcc_lo
	v_and_or_b32 v2, 0x80000000, v2, v3
	s_delay_alu instid0(VALU_DEP_1) | instskip(NEXT) | instid1(VALU_DEP_1)
	v_trunc_f32_e32 v2, v2
	v_mul_f32_e64 v3, 0x2f800000, |v2|
	s_delay_alu instid0(VALU_DEP_1) | instskip(NEXT) | instid1(VALU_DEP_1)
	v_floor_f32_e32 v3, v3
	v_fma_f32 v6, 0xcf800000, v3, |v2|
	v_ashrrev_i32_e32 v2, 31, v2
	v_cvt_u32_f32_e32 v7, v3
	s_delay_alu instid0(VALU_DEP_3) | instskip(NEXT) | instid1(VALU_DEP_2)
	v_cvt_u32_f32_e32 v6, v6
	v_dual_mov_b32 v3, v2 :: v_dual_bitop2_b32 v7, v7, v2 bitop3:0x14
	s_delay_alu instid0(VALU_DEP_2) | instskip(NEXT) | instid1(VALU_DEP_1)
	v_xor_b32_e32 v6, v6, v2
	v_sub_nc_u64_e32 v[2:3], v[6:7], v[2:3]
.LBB30_840:
	s_mov_b32 s38, 0
	s_mov_b32 s31, -1
.LBB30_841:
	s_and_not1_b32 vcc_lo, exec_lo, s38
	s_cbranch_vccnz .LBB30_854
; %bb.842:
	s_cmp_gt_i32 s1, 14
	s_cbranch_scc0 .LBB30_845
; %bb.843:
	s_cmp_eq_u32 s1, 15
	s_cbranch_scc0 .LBB30_848
; %bb.844:
	s_wait_loadcnt 0x0
	global_load_u16 v2, v[4:5], off
	s_mov_b32 s31, -1
	s_mov_b32 s71, 0
	s_wait_loadcnt 0x0
	v_lshlrev_b32_e32 v2, 16, v2
	s_delay_alu instid0(VALU_DEP_1) | instskip(NEXT) | instid1(VALU_DEP_1)
	v_trunc_f32_e32 v2, v2
	v_mul_f32_e64 v3, 0x2f800000, |v2|
	s_delay_alu instid0(VALU_DEP_1) | instskip(NEXT) | instid1(VALU_DEP_1)
	v_floor_f32_e32 v3, v3
	v_fma_f32 v6, 0xcf800000, v3, |v2|
	v_ashrrev_i32_e32 v2, 31, v2
	v_cvt_u32_f32_e32 v7, v3
	s_delay_alu instid0(VALU_DEP_3) | instskip(NEXT) | instid1(VALU_DEP_2)
	v_cvt_u32_f32_e32 v6, v6
	v_dual_mov_b32 v3, v2 :: v_dual_bitop2_b32 v7, v7, v2 bitop3:0x14
	s_delay_alu instid0(VALU_DEP_2) | instskip(NEXT) | instid1(VALU_DEP_1)
	v_xor_b32_e32 v6, v6, v2
	v_sub_nc_u64_e32 v[2:3], v[6:7], v[2:3]
	s_branch .LBB30_849
.LBB30_845:
	s_mov_b32 s38, -1
                                        ; implicit-def: $vgpr2_vgpr3
	s_branch .LBB30_850
.LBB30_846:
	s_and_not1_saveexec_b32 s31, s31
	s_cbranch_execz .LBB30_827
.LBB30_847:
	v_cmp_ne_u16_e32 vcc_lo, 0, v6
	s_and_not1_b32 s38, s38, exec_lo
	s_and_b32 s39, vcc_lo, exec_lo
	s_delay_alu instid0(SALU_CYCLE_1)
	s_or_b32 s38, s38, s39
	s_or_b32 exec_lo, exec_lo, s31
	v_mov_b64_e32 v[2:3], 0
	s_and_saveexec_b32 s31, s38
	s_cbranch_execnz .LBB30_828
	s_branch .LBB30_829
.LBB30_848:
	s_mov_b32 s71, -1
                                        ; implicit-def: $vgpr2_vgpr3
.LBB30_849:
	s_mov_b32 s38, 0
.LBB30_850:
	s_delay_alu instid0(SALU_CYCLE_1)
	s_and_b32 vcc_lo, exec_lo, s38
	s_cbranch_vccz .LBB30_854
; %bb.851:
	s_cmp_eq_u32 s1, 11
	s_cbranch_scc0 .LBB30_853
; %bb.852:
	s_wait_loadcnt 0x0
	global_load_u8 v2, v[4:5], off
	s_mov_b32 s71, 0
	s_mov_b32 s31, -1
	v_mov_b32_e32 v3, s71
	s_wait_loadcnt 0x0
	v_cmp_ne_u16_e32 vcc_lo, 0, v2
	v_cndmask_b32_e64 v2, 0, 1, vcc_lo
	s_branch .LBB30_854
.LBB30_853:
	s_mov_b32 s71, -1
                                        ; implicit-def: $vgpr2_vgpr3
.LBB30_854:
	s_mov_b32 s1, 0
.LBB30_855:
	s_delay_alu instid0(SALU_CYCLE_1)
	s_and_b32 vcc_lo, exec_lo, s1
	s_cbranch_vccz .LBB30_904
; %bb.856:
	s_and_b32 s0, 0xffff, s0
	s_delay_alu instid0(SALU_CYCLE_1)
	s_cmp_lt_i32 s0, 5
	s_cbranch_scc1 .LBB30_861
; %bb.857:
	s_cmp_lt_i32 s0, 8
	s_cbranch_scc1 .LBB30_862
; %bb.858:
	;; [unrolled: 3-line block ×3, first 2 shown]
	s_cmp_gt_i32 s0, 9
	s_cbranch_scc0 .LBB30_864
; %bb.860:
	s_wait_loadcnt 0x0
	global_load_b64 v[2:3], v[4:5], off
	s_mov_b32 s1, 0
	s_wait_loadcnt 0x0
	v_trunc_f64_e32 v[2:3], v[2:3]
	s_delay_alu instid0(VALU_DEP_1) | instskip(NEXT) | instid1(VALU_DEP_1)
	v_ldexp_f64 v[6:7], v[2:3], 0xffffffe0
	v_floor_f64_e32 v[6:7], v[6:7]
	s_delay_alu instid0(VALU_DEP_1) | instskip(SKIP_1) | instid1(VALU_DEP_2)
	v_fmamk_f64 v[8:9], v[6:7], 0xc1f00000, v[2:3]
	v_cvt_i32_f64_e32 v3, v[6:7]
	v_cvt_u32_f64_e32 v2, v[8:9]
	s_branch .LBB30_865
.LBB30_861:
	s_mov_b32 s1, -1
                                        ; implicit-def: $vgpr2_vgpr3
	s_branch .LBB30_883
.LBB30_862:
	s_mov_b32 s1, -1
                                        ; implicit-def: $vgpr2_vgpr3
	s_branch .LBB30_871
.LBB30_863:
	s_mov_b32 s1, -1
                                        ; implicit-def: $vgpr2_vgpr3
	s_branch .LBB30_868
.LBB30_864:
	s_mov_b32 s1, -1
                                        ; implicit-def: $vgpr2_vgpr3
.LBB30_865:
	s_delay_alu instid0(SALU_CYCLE_1)
	s_and_not1_b32 vcc_lo, exec_lo, s1
	s_cbranch_vccnz .LBB30_867
; %bb.866:
	s_wait_loadcnt 0x0
	global_load_b32 v2, v[4:5], off
	s_wait_loadcnt 0x0
	v_trunc_f32_e32 v2, v2
	s_delay_alu instid0(VALU_DEP_1) | instskip(NEXT) | instid1(VALU_DEP_1)
	v_mul_f32_e64 v3, 0x2f800000, |v2|
	v_floor_f32_e32 v3, v3
	s_delay_alu instid0(VALU_DEP_1) | instskip(SKIP_2) | instid1(VALU_DEP_3)
	v_fma_f32 v6, 0xcf800000, v3, |v2|
	v_ashrrev_i32_e32 v2, 31, v2
	v_cvt_u32_f32_e32 v7, v3
	v_cvt_u32_f32_e32 v6, v6
	s_delay_alu instid0(VALU_DEP_2) | instskip(NEXT) | instid1(VALU_DEP_2)
	v_dual_mov_b32 v3, v2 :: v_dual_bitop2_b32 v7, v7, v2 bitop3:0x14
	v_xor_b32_e32 v6, v6, v2
	s_delay_alu instid0(VALU_DEP_1)
	v_sub_nc_u64_e32 v[2:3], v[6:7], v[2:3]
.LBB30_867:
	s_mov_b32 s1, 0
.LBB30_868:
	s_delay_alu instid0(SALU_CYCLE_1)
	s_and_not1_b32 vcc_lo, exec_lo, s1
	s_cbranch_vccnz .LBB30_870
; %bb.869:
	s_wait_loadcnt 0x0
	global_load_b32 v2, v[4:5], off
	s_wait_loadcnt 0x0
	v_cvt_f32_f16_e32 v2, v2
	s_delay_alu instid0(VALU_DEP_1) | instskip(NEXT) | instid1(VALU_DEP_1)
	v_cvt_i32_f32_e32 v2, v2
	v_ashrrev_i32_e32 v3, 31, v2
.LBB30_870:
	s_mov_b32 s1, 0
.LBB30_871:
	s_delay_alu instid0(SALU_CYCLE_1)
	s_and_not1_b32 vcc_lo, exec_lo, s1
	s_cbranch_vccnz .LBB30_882
; %bb.872:
	s_cmp_lt_i32 s0, 6
	s_cbranch_scc1 .LBB30_875
; %bb.873:
	s_cmp_gt_i32 s0, 6
	s_cbranch_scc0 .LBB30_876
; %bb.874:
	s_wait_loadcnt 0x0
	global_load_b64 v[2:3], v[4:5], off
	s_mov_b32 s1, 0
	s_wait_loadcnt 0x0
	v_trunc_f64_e32 v[2:3], v[2:3]
	s_delay_alu instid0(VALU_DEP_1) | instskip(NEXT) | instid1(VALU_DEP_1)
	v_ldexp_f64 v[6:7], v[2:3], 0xffffffe0
	v_floor_f64_e32 v[6:7], v[6:7]
	s_delay_alu instid0(VALU_DEP_1) | instskip(SKIP_1) | instid1(VALU_DEP_2)
	v_fmamk_f64 v[8:9], v[6:7], 0xc1f00000, v[2:3]
	v_cvt_i32_f64_e32 v3, v[6:7]
	v_cvt_u32_f64_e32 v2, v[8:9]
	s_branch .LBB30_877
.LBB30_875:
	s_mov_b32 s1, -1
                                        ; implicit-def: $vgpr2_vgpr3
	s_branch .LBB30_880
.LBB30_876:
	s_mov_b32 s1, -1
                                        ; implicit-def: $vgpr2_vgpr3
.LBB30_877:
	s_delay_alu instid0(SALU_CYCLE_1)
	s_and_not1_b32 vcc_lo, exec_lo, s1
	s_cbranch_vccnz .LBB30_879
; %bb.878:
	s_wait_loadcnt 0x0
	global_load_b32 v2, v[4:5], off
	s_wait_loadcnt 0x0
	v_trunc_f32_e32 v2, v2
	s_delay_alu instid0(VALU_DEP_1) | instskip(NEXT) | instid1(VALU_DEP_1)
	v_mul_f32_e64 v3, 0x2f800000, |v2|
	v_floor_f32_e32 v3, v3
	s_delay_alu instid0(VALU_DEP_1) | instskip(SKIP_2) | instid1(VALU_DEP_3)
	v_fma_f32 v6, 0xcf800000, v3, |v2|
	v_ashrrev_i32_e32 v2, 31, v2
	v_cvt_u32_f32_e32 v7, v3
	v_cvt_u32_f32_e32 v6, v6
	s_delay_alu instid0(VALU_DEP_2) | instskip(NEXT) | instid1(VALU_DEP_2)
	v_dual_mov_b32 v3, v2 :: v_dual_bitop2_b32 v7, v7, v2 bitop3:0x14
	v_xor_b32_e32 v6, v6, v2
	s_delay_alu instid0(VALU_DEP_1)
	v_sub_nc_u64_e32 v[2:3], v[6:7], v[2:3]
.LBB30_879:
	s_mov_b32 s1, 0
.LBB30_880:
	s_delay_alu instid0(SALU_CYCLE_1)
	s_and_not1_b32 vcc_lo, exec_lo, s1
	s_cbranch_vccnz .LBB30_882
; %bb.881:
	s_wait_loadcnt 0x0
	global_load_u16 v2, v[4:5], off
	s_wait_loadcnt 0x0
	v_cvt_f32_f16_e32 v2, v2
	s_delay_alu instid0(VALU_DEP_1) | instskip(NEXT) | instid1(VALU_DEP_1)
	v_cvt_i32_f32_e32 v2, v2
	v_ashrrev_i32_e32 v3, 31, v2
.LBB30_882:
	s_mov_b32 s1, 0
.LBB30_883:
	s_delay_alu instid0(SALU_CYCLE_1)
	s_and_not1_b32 vcc_lo, exec_lo, s1
	s_cbranch_vccnz .LBB30_903
; %bb.884:
	s_cmp_lt_i32 s0, 2
	s_cbranch_scc1 .LBB30_888
; %bb.885:
	s_cmp_lt_i32 s0, 3
	s_cbranch_scc1 .LBB30_889
; %bb.886:
	s_cmp_gt_i32 s0, 3
	s_cbranch_scc0 .LBB30_890
; %bb.887:
	s_wait_loadcnt 0x0
	global_load_b64 v[2:3], v[4:5], off
	s_mov_b32 s1, 0
	s_branch .LBB30_891
.LBB30_888:
	s_mov_b32 s1, -1
                                        ; implicit-def: $vgpr2_vgpr3
	s_branch .LBB30_897
.LBB30_889:
	s_mov_b32 s1, -1
                                        ; implicit-def: $vgpr2_vgpr3
	s_branch .LBB30_894
.LBB30_890:
	s_mov_b32 s1, -1
                                        ; implicit-def: $vgpr2_vgpr3
.LBB30_891:
	s_delay_alu instid0(SALU_CYCLE_1)
	s_and_not1_b32 vcc_lo, exec_lo, s1
	s_cbranch_vccnz .LBB30_893
; %bb.892:
	s_wait_loadcnt 0x0
	global_load_b32 v2, v[4:5], off
	s_wait_loadcnt 0x0
	v_ashrrev_i32_e32 v3, 31, v2
.LBB30_893:
	s_mov_b32 s1, 0
.LBB30_894:
	s_delay_alu instid0(SALU_CYCLE_1)
	s_and_not1_b32 vcc_lo, exec_lo, s1
	s_cbranch_vccnz .LBB30_896
; %bb.895:
	s_wait_loadcnt 0x0
	global_load_u16 v2, v[4:5], off
	s_wait_loadcnt 0x0
	v_bfe_i32 v2, v2, 0, 16
	s_delay_alu instid0(VALU_DEP_1)
	v_ashrrev_i32_e32 v3, 31, v2
.LBB30_896:
	s_mov_b32 s1, 0
.LBB30_897:
	s_delay_alu instid0(SALU_CYCLE_1)
	s_and_not1_b32 vcc_lo, exec_lo, s1
	s_cbranch_vccnz .LBB30_903
; %bb.898:
	s_cmp_gt_i32 s0, 0
	s_mov_b32 s0, 0
	s_cbranch_scc0 .LBB30_900
; %bb.899:
	s_wait_loadcnt 0x0
	global_load_i8 v2, v[4:5], off
	s_wait_loadcnt 0x0
	v_bfe_i32 v2, v2, 0, 16
	s_delay_alu instid0(VALU_DEP_1)
	v_ashrrev_i32_e32 v3, 31, v2
	s_branch .LBB30_901
.LBB30_900:
	s_mov_b32 s0, -1
                                        ; implicit-def: $vgpr2_vgpr3
.LBB30_901:
	s_delay_alu instid0(SALU_CYCLE_1)
	s_and_not1_b32 vcc_lo, exec_lo, s0
	s_cbranch_vccnz .LBB30_903
; %bb.902:
	s_wait_loadcnt 0x0
	global_load_u8 v2, v[4:5], off
	s_mov_b32 s0, 0
	s_delay_alu instid0(SALU_CYCLE_1)
	v_mov_b32_e32 v3, s0
	s_wait_loadcnt 0x0
	v_and_b32_e32 v2, 0xffff, v2
.LBB30_903:
	s_mov_b32 s31, -1
.LBB30_904:
	s_delay_alu instid0(SALU_CYCLE_1)
	s_and_not1_b32 vcc_lo, exec_lo, s31
	s_cbranch_vccnz .LBB30_912
; %bb.905:
	s_wait_xcnt 0x0
	v_mul_lo_u32 v4, s26, v26
	s_and_b32 s0, s36, 0xff
	s_delay_alu instid0(SALU_CYCLE_1) | instskip(NEXT) | instid1(VALU_DEP_1)
	s_cmp_lt_i32 s0, 11
	v_ashrrev_i32_e32 v5, 31, v4
	s_delay_alu instid0(VALU_DEP_1)
	v_add_nc_u64_e32 v[6:7], s[16:17], v[4:5]
	s_cbranch_scc1 .LBB30_913
; %bb.906:
	s_and_b32 s1, 0xffff, s0
	s_delay_alu instid0(SALU_CYCLE_1)
	s_cmp_gt_i32 s1, 25
	s_cbranch_scc0 .LBB30_914
; %bb.907:
	s_cmp_gt_i32 s1, 28
	s_cbranch_scc0 .LBB30_915
; %bb.908:
	s_cmp_gt_i32 s1, 43
	s_cbranch_scc0 .LBB30_916
; %bb.909:
	s_cmp_gt_i32 s1, 45
	s_cbranch_scc0 .LBB30_917
; %bb.910:
	s_cmp_eq_u32 s1, 46
	s_mov_b32 s38, 0
	s_cbranch_scc0 .LBB30_919
; %bb.911:
	global_load_b32 v4, v[6:7], off
	s_mov_b32 s31, -1
	s_mov_b32 s70, 0
	s_wait_loadcnt 0x0
	v_lshlrev_b32_e32 v4, 16, v4
	s_delay_alu instid0(VALU_DEP_1) | instskip(NEXT) | instid1(VALU_DEP_1)
	v_trunc_f32_e32 v4, v4
	v_mul_f32_e64 v5, 0x2f800000, |v4|
	s_delay_alu instid0(VALU_DEP_1) | instskip(NEXT) | instid1(VALU_DEP_1)
	v_floor_f32_e32 v5, v5
	v_fma_f32 v8, 0xcf800000, v5, |v4|
	v_ashrrev_i32_e32 v4, 31, v4
	v_cvt_u32_f32_e32 v9, v5
	s_delay_alu instid0(VALU_DEP_3) | instskip(NEXT) | instid1(VALU_DEP_2)
	v_cvt_u32_f32_e32 v8, v8
	v_dual_mov_b32 v5, v4 :: v_dual_bitop2_b32 v9, v9, v4 bitop3:0x14
	s_delay_alu instid0(VALU_DEP_2) | instskip(NEXT) | instid1(VALU_DEP_1)
	v_xor_b32_e32 v8, v8, v4
	v_sub_nc_u64_e32 v[4:5], v[8:9], v[4:5]
	s_branch .LBB30_921
.LBB30_912:
	s_mov_b32 s0, 0
	s_mov_b32 s1, s56
	;; [unrolled: 1-line block ×9, first 2 shown]
	s_branch .LBB30_1297
.LBB30_913:
	s_mov_b32 s1, -1
	s_mov_b32 s31, 0
	s_mov_b32 s70, s65
                                        ; implicit-def: $vgpr4_vgpr5
	s_branch .LBB30_982
.LBB30_914:
	s_mov_b32 s38, -1
	s_mov_b32 s31, 0
	s_mov_b32 s70, s65
                                        ; implicit-def: $vgpr4_vgpr5
	s_branch .LBB30_948
.LBB30_915:
	s_mov_b32 s38, -1
	s_mov_b32 s31, 0
	s_mov_b32 s70, s65
                                        ; implicit-def: $vgpr4_vgpr5
	s_branch .LBB30_931
.LBB30_916:
	s_mov_b32 s38, -1
	s_mov_b32 s31, 0
	s_mov_b32 s70, s65
                                        ; implicit-def: $vgpr4_vgpr5
	s_branch .LBB30_926
.LBB30_917:
	s_mov_b32 s38, -1
	s_mov_b32 s31, 0
	s_mov_b32 s70, s65
	s_branch .LBB30_920
.LBB30_918:
	s_mov_b32 s41, -1
	s_mov_b32 s31, 0
	s_mov_b32 s40, 0
	s_branch .LBB30_1854
.LBB30_919:
	s_mov_b32 s70, -1
	s_mov_b32 s31, 0
.LBB30_920:
                                        ; implicit-def: $vgpr4_vgpr5
.LBB30_921:
	s_and_b32 vcc_lo, exec_lo, s38
	s_cbranch_vccz .LBB30_925
; %bb.922:
	s_cmp_eq_u32 s1, 44
	s_cbranch_scc0 .LBB30_924
; %bb.923:
	global_load_u8 v10, v[6:7], off
	s_mov_b32 s70, 0
	s_mov_b32 s31, -1
	s_wait_loadcnt 0x0
	v_cmp_ne_u32_e32 vcc_lo, 0, v10
	v_lshlrev_b32_e32 v4, 23, v10
	s_delay_alu instid0(VALU_DEP_1) | instskip(NEXT) | instid1(VALU_DEP_1)
	v_trunc_f32_e32 v4, v4
	v_mul_f32_e64 v5, 0x2f800000, |v4|
	s_delay_alu instid0(VALU_DEP_1) | instskip(NEXT) | instid1(VALU_DEP_1)
	v_floor_f32_e32 v5, v5
	v_fma_f32 v8, 0xcf800000, v5, |v4|
	v_ashrrev_i32_e32 v4, 31, v4
	v_cvt_u32_f32_e32 v9, v5
	s_delay_alu instid0(VALU_DEP_3) | instskip(NEXT) | instid1(VALU_DEP_2)
	v_cvt_u32_f32_e32 v8, v8
	v_dual_mov_b32 v5, v4 :: v_dual_bitop2_b32 v9, v9, v4 bitop3:0x14
	s_delay_alu instid0(VALU_DEP_2) | instskip(NEXT) | instid1(VALU_DEP_1)
	v_xor_b32_e32 v8, v8, v4
	v_sub_nc_u64_e32 v[4:5], v[8:9], v[4:5]
	s_delay_alu instid0(VALU_DEP_1)
	v_dual_cndmask_b32 v5, 0, v5 :: v_dual_cndmask_b32 v4, 0, v4
	s_branch .LBB30_925
.LBB30_924:
	s_mov_b32 s70, -1
                                        ; implicit-def: $vgpr4_vgpr5
.LBB30_925:
	s_mov_b32 s38, 0
.LBB30_926:
	s_delay_alu instid0(SALU_CYCLE_1)
	s_and_b32 vcc_lo, exec_lo, s38
	s_cbranch_vccz .LBB30_930
; %bb.927:
	s_cmp_eq_u32 s1, 29
	s_cbranch_scc0 .LBB30_929
; %bb.928:
	global_load_b64 v[4:5], v[6:7], off
	s_mov_b32 s31, -1
	s_mov_b32 s70, 0
	s_branch .LBB30_930
.LBB30_929:
	s_mov_b32 s70, -1
                                        ; implicit-def: $vgpr4_vgpr5
.LBB30_930:
	s_mov_b32 s38, 0
.LBB30_931:
	s_delay_alu instid0(SALU_CYCLE_1)
	s_and_b32 vcc_lo, exec_lo, s38
	s_cbranch_vccz .LBB30_947
; %bb.932:
	s_cmp_lt_i32 s1, 27
	s_cbranch_scc1 .LBB30_935
; %bb.933:
	s_cmp_gt_i32 s1, 27
	s_cbranch_scc0 .LBB30_936
; %bb.934:
	s_wait_loadcnt 0x0
	global_load_b32 v4, v[6:7], off
	v_mov_b32_e32 v5, 0
	s_mov_b32 s31, 0
	s_branch .LBB30_937
.LBB30_935:
	s_mov_b32 s31, -1
                                        ; implicit-def: $vgpr4_vgpr5
	s_branch .LBB30_940
.LBB30_936:
	s_mov_b32 s31, -1
                                        ; implicit-def: $vgpr4_vgpr5
.LBB30_937:
	s_delay_alu instid0(SALU_CYCLE_1)
	s_and_not1_b32 vcc_lo, exec_lo, s31
	s_cbranch_vccnz .LBB30_939
; %bb.938:
	s_wait_loadcnt 0x0
	global_load_u16 v4, v[6:7], off
	s_mov_b32 s31, 0
	s_delay_alu instid0(SALU_CYCLE_1)
	v_mov_b32_e32 v5, s31
	s_wait_loadcnt 0x0
	v_and_b32_e32 v4, 0xffff, v4
.LBB30_939:
	s_mov_b32 s31, 0
.LBB30_940:
	s_delay_alu instid0(SALU_CYCLE_1)
	s_and_not1_b32 vcc_lo, exec_lo, s31
	s_cbranch_vccnz .LBB30_946
; %bb.941:
	global_load_u8 v8, v[6:7], off
	s_mov_b32 s38, 0
	s_mov_b32 s31, exec_lo
	s_wait_loadcnt 0x0
	v_cmpx_lt_i16_e32 0x7f, v8
	s_xor_b32 s31, exec_lo, s31
	s_cbranch_execz .LBB30_958
; %bb.942:
	v_cmp_ne_u16_e32 vcc_lo, 0x80, v8
	s_and_b32 s38, vcc_lo, exec_lo
	s_and_not1_saveexec_b32 s31, s31
	s_cbranch_execnz .LBB30_959
.LBB30_943:
	s_or_b32 exec_lo, exec_lo, s31
	v_mov_b64_e32 v[4:5], 0
	s_and_saveexec_b32 s31, s38
	s_cbranch_execz .LBB30_945
.LBB30_944:
	v_and_b32_e32 v4, 0xffff, v8
	s_delay_alu instid0(VALU_DEP_1) | instskip(SKIP_1) | instid1(VALU_DEP_2)
	v_and_b32_e32 v5, 7, v4
	v_bfe_u32 v11, v4, 3, 4
	v_clz_i32_u32_e32 v9, v5
	s_delay_alu instid0(VALU_DEP_2) | instskip(NEXT) | instid1(VALU_DEP_2)
	v_cmp_eq_u32_e32 vcc_lo, 0, v11
	v_min_u32_e32 v9, 32, v9
	s_delay_alu instid0(VALU_DEP_1) | instskip(NEXT) | instid1(VALU_DEP_1)
	v_subrev_nc_u32_e32 v10, 28, v9
	v_dual_lshlrev_b32 v4, v10, v4 :: v_dual_sub_nc_u32 v9, 29, v9
	s_delay_alu instid0(VALU_DEP_1) | instskip(NEXT) | instid1(VALU_DEP_2)
	v_and_b32_e32 v4, 7, v4
	v_dual_cndmask_b32 v9, v11, v9 :: v_dual_lshlrev_b32 v8, 24, v8
	s_delay_alu instid0(VALU_DEP_2) | instskip(NEXT) | instid1(VALU_DEP_2)
	v_cndmask_b32_e32 v4, v5, v4, vcc_lo
	v_and_b32_e32 v5, 0x80000000, v8
	s_delay_alu instid0(VALU_DEP_3) | instskip(NEXT) | instid1(VALU_DEP_3)
	v_lshl_add_u32 v8, v9, 23, 0x3b800000
	v_lshlrev_b32_e32 v4, 20, v4
	s_delay_alu instid0(VALU_DEP_1) | instskip(NEXT) | instid1(VALU_DEP_1)
	v_or3_b32 v4, v5, v8, v4
	v_trunc_f32_e32 v4, v4
	s_delay_alu instid0(VALU_DEP_1) | instskip(NEXT) | instid1(VALU_DEP_1)
	v_mul_f32_e64 v5, 0x2f800000, |v4|
	v_floor_f32_e32 v5, v5
	s_delay_alu instid0(VALU_DEP_1) | instskip(SKIP_2) | instid1(VALU_DEP_3)
	v_fma_f32 v8, 0xcf800000, v5, |v4|
	v_ashrrev_i32_e32 v4, 31, v4
	v_cvt_u32_f32_e32 v9, v5
	v_cvt_u32_f32_e32 v8, v8
	s_delay_alu instid0(VALU_DEP_2) | instskip(NEXT) | instid1(VALU_DEP_2)
	v_dual_mov_b32 v5, v4 :: v_dual_bitop2_b32 v9, v9, v4 bitop3:0x14
	v_xor_b32_e32 v8, v8, v4
	s_delay_alu instid0(VALU_DEP_1)
	v_sub_nc_u64_e32 v[4:5], v[8:9], v[4:5]
.LBB30_945:
	s_or_b32 exec_lo, exec_lo, s31
.LBB30_946:
	s_mov_b32 s31, -1
.LBB30_947:
	s_mov_b32 s38, 0
.LBB30_948:
	s_delay_alu instid0(SALU_CYCLE_1)
	s_and_b32 vcc_lo, exec_lo, s38
	s_cbranch_vccz .LBB30_981
; %bb.949:
	s_cmp_gt_i32 s1, 22
	s_cbranch_scc0 .LBB30_957
; %bb.950:
	s_cmp_lt_i32 s1, 24
	s_cbranch_scc1 .LBB30_960
; %bb.951:
	s_cmp_gt_i32 s1, 24
	s_cbranch_scc0 .LBB30_961
; %bb.952:
	global_load_u8 v8, v[6:7], off
	s_mov_b32 s38, 0
	s_mov_b32 s31, exec_lo
	s_wait_loadcnt 0x0
	v_cmpx_lt_i16_e32 0x7f, v8
	s_xor_b32 s31, exec_lo, s31
	s_cbranch_execz .LBB30_973
; %bb.953:
	v_cmp_ne_u16_e32 vcc_lo, 0x80, v8
	s_and_b32 s38, vcc_lo, exec_lo
	s_and_not1_saveexec_b32 s31, s31
	s_cbranch_execnz .LBB30_974
.LBB30_954:
	s_or_b32 exec_lo, exec_lo, s31
	v_mov_b64_e32 v[4:5], 0
	s_and_saveexec_b32 s31, s38
	s_cbranch_execz .LBB30_956
.LBB30_955:
	v_and_b32_e32 v4, 0xffff, v8
	s_delay_alu instid0(VALU_DEP_1) | instskip(SKIP_1) | instid1(VALU_DEP_2)
	v_and_b32_e32 v5, 3, v4
	v_bfe_u32 v11, v4, 2, 5
	v_clz_i32_u32_e32 v9, v5
	s_delay_alu instid0(VALU_DEP_2) | instskip(NEXT) | instid1(VALU_DEP_2)
	v_cmp_eq_u32_e32 vcc_lo, 0, v11
	v_min_u32_e32 v9, 32, v9
	s_delay_alu instid0(VALU_DEP_1) | instskip(NEXT) | instid1(VALU_DEP_1)
	v_subrev_nc_u32_e32 v10, 29, v9
	v_dual_lshlrev_b32 v4, v10, v4 :: v_dual_sub_nc_u32 v9, 30, v9
	s_delay_alu instid0(VALU_DEP_1) | instskip(NEXT) | instid1(VALU_DEP_2)
	v_and_b32_e32 v4, 3, v4
	v_dual_cndmask_b32 v9, v11, v9 :: v_dual_lshlrev_b32 v8, 24, v8
	s_delay_alu instid0(VALU_DEP_2) | instskip(NEXT) | instid1(VALU_DEP_2)
	v_cndmask_b32_e32 v4, v5, v4, vcc_lo
	v_and_b32_e32 v5, 0x80000000, v8
	s_delay_alu instid0(VALU_DEP_3) | instskip(NEXT) | instid1(VALU_DEP_3)
	v_lshl_add_u32 v8, v9, 23, 0x37800000
	v_lshlrev_b32_e32 v4, 21, v4
	s_delay_alu instid0(VALU_DEP_1) | instskip(NEXT) | instid1(VALU_DEP_1)
	v_or3_b32 v4, v5, v8, v4
	v_trunc_f32_e32 v4, v4
	s_delay_alu instid0(VALU_DEP_1) | instskip(NEXT) | instid1(VALU_DEP_1)
	v_mul_f32_e64 v5, 0x2f800000, |v4|
	v_floor_f32_e32 v5, v5
	s_delay_alu instid0(VALU_DEP_1) | instskip(SKIP_2) | instid1(VALU_DEP_3)
	v_fma_f32 v8, 0xcf800000, v5, |v4|
	v_ashrrev_i32_e32 v4, 31, v4
	v_cvt_u32_f32_e32 v9, v5
	v_cvt_u32_f32_e32 v8, v8
	s_delay_alu instid0(VALU_DEP_2) | instskip(NEXT) | instid1(VALU_DEP_2)
	v_dual_mov_b32 v5, v4 :: v_dual_bitop2_b32 v9, v9, v4 bitop3:0x14
	v_xor_b32_e32 v8, v8, v4
	s_delay_alu instid0(VALU_DEP_1)
	v_sub_nc_u64_e32 v[4:5], v[8:9], v[4:5]
.LBB30_956:
	s_or_b32 exec_lo, exec_lo, s31
	s_mov_b32 s31, 0
	s_branch .LBB30_962
.LBB30_957:
	s_mov_b32 s38, -1
                                        ; implicit-def: $vgpr4_vgpr5
	s_branch .LBB30_968
.LBB30_958:
	s_and_not1_saveexec_b32 s31, s31
	s_cbranch_execz .LBB30_943
.LBB30_959:
	v_cmp_ne_u16_e32 vcc_lo, 0, v8
	s_and_not1_b32 s38, s38, exec_lo
	s_and_b32 s39, vcc_lo, exec_lo
	s_delay_alu instid0(SALU_CYCLE_1)
	s_or_b32 s38, s38, s39
	s_or_b32 exec_lo, exec_lo, s31
	v_mov_b64_e32 v[4:5], 0
	s_and_saveexec_b32 s31, s38
	s_cbranch_execnz .LBB30_944
	s_branch .LBB30_945
.LBB30_960:
	s_mov_b32 s31, -1
                                        ; implicit-def: $vgpr4_vgpr5
	s_branch .LBB30_965
.LBB30_961:
	s_mov_b32 s31, -1
                                        ; implicit-def: $vgpr4_vgpr5
.LBB30_962:
	s_delay_alu instid0(SALU_CYCLE_1)
	s_and_b32 vcc_lo, exec_lo, s31
	s_cbranch_vccz .LBB30_964
; %bb.963:
	s_wait_loadcnt 0x0
	global_load_u8 v4, v[6:7], off
	s_wait_loadcnt 0x0
	v_lshlrev_b32_e32 v4, 24, v4
	s_delay_alu instid0(VALU_DEP_1) | instskip(NEXT) | instid1(VALU_DEP_1)
	v_and_b32_e32 v5, 0x7f000000, v4
	v_clz_i32_u32_e32 v8, v5
	v_cmp_ne_u32_e32 vcc_lo, 0, v5
	v_add_nc_u32_e32 v10, 0x1000000, v5
	s_delay_alu instid0(VALU_DEP_3) | instskip(NEXT) | instid1(VALU_DEP_1)
	v_min_u32_e32 v8, 32, v8
	v_sub_nc_u32_e64 v8, v8, 4 clamp
	s_delay_alu instid0(VALU_DEP_1) | instskip(NEXT) | instid1(VALU_DEP_1)
	v_dual_lshlrev_b32 v9, v8, v5 :: v_dual_lshlrev_b32 v8, 23, v8
	v_lshrrev_b32_e32 v9, 4, v9
	s_delay_alu instid0(VALU_DEP_1) | instskip(NEXT) | instid1(VALU_DEP_1)
	v_dual_sub_nc_u32 v8, v9, v8 :: v_dual_ashrrev_i32 v9, 8, v10
	v_add_nc_u32_e32 v8, 0x3c000000, v8
	s_delay_alu instid0(VALU_DEP_1) | instskip(NEXT) | instid1(VALU_DEP_1)
	v_and_or_b32 v8, 0x7f800000, v9, v8
	v_cndmask_b32_e32 v5, 0, v8, vcc_lo
	s_delay_alu instid0(VALU_DEP_1) | instskip(NEXT) | instid1(VALU_DEP_1)
	v_and_or_b32 v4, 0x80000000, v4, v5
	v_trunc_f32_e32 v4, v4
	s_delay_alu instid0(VALU_DEP_1) | instskip(NEXT) | instid1(VALU_DEP_1)
	v_mul_f32_e64 v5, 0x2f800000, |v4|
	v_floor_f32_e32 v5, v5
	s_delay_alu instid0(VALU_DEP_1) | instskip(SKIP_2) | instid1(VALU_DEP_3)
	v_fma_f32 v8, 0xcf800000, v5, |v4|
	v_ashrrev_i32_e32 v4, 31, v4
	v_cvt_u32_f32_e32 v9, v5
	v_cvt_u32_f32_e32 v8, v8
	s_delay_alu instid0(VALU_DEP_2) | instskip(NEXT) | instid1(VALU_DEP_2)
	v_dual_mov_b32 v5, v4 :: v_dual_bitop2_b32 v9, v9, v4 bitop3:0x14
	v_xor_b32_e32 v8, v8, v4
	s_delay_alu instid0(VALU_DEP_1)
	v_sub_nc_u64_e32 v[4:5], v[8:9], v[4:5]
.LBB30_964:
	s_mov_b32 s31, 0
.LBB30_965:
	s_delay_alu instid0(SALU_CYCLE_1)
	s_and_not1_b32 vcc_lo, exec_lo, s31
	s_cbranch_vccnz .LBB30_967
; %bb.966:
	s_wait_loadcnt 0x0
	global_load_u8 v4, v[6:7], off
	s_wait_loadcnt 0x0
	v_lshlrev_b32_e32 v5, 25, v4
	v_lshlrev_b16 v4, 8, v4
	s_delay_alu instid0(VALU_DEP_1) | instskip(SKIP_1) | instid1(VALU_DEP_2)
	v_and_or_b32 v9, 0x7f00, v4, 0.5
	v_bfe_i32 v4, v4, 0, 16
	v_add_f32_e32 v9, -0.5, v9
	v_lshrrev_b32_e32 v8, 4, v5
	v_cmp_gt_u32_e32 vcc_lo, 0x8000000, v5
	s_delay_alu instid0(VALU_DEP_2) | instskip(NEXT) | instid1(VALU_DEP_1)
	v_or_b32_e32 v8, 0x70000000, v8
	v_mul_f32_e32 v8, 0x7800000, v8
	s_delay_alu instid0(VALU_DEP_1) | instskip(NEXT) | instid1(VALU_DEP_1)
	v_cndmask_b32_e32 v5, v8, v9, vcc_lo
	v_and_or_b32 v4, 0x80000000, v4, v5
	s_delay_alu instid0(VALU_DEP_1) | instskip(NEXT) | instid1(VALU_DEP_1)
	v_trunc_f32_e32 v4, v4
	v_mul_f32_e64 v5, 0x2f800000, |v4|
	s_delay_alu instid0(VALU_DEP_1) | instskip(NEXT) | instid1(VALU_DEP_1)
	v_floor_f32_e32 v5, v5
	v_fma_f32 v8, 0xcf800000, v5, |v4|
	v_ashrrev_i32_e32 v4, 31, v4
	v_cvt_u32_f32_e32 v9, v5
	s_delay_alu instid0(VALU_DEP_3) | instskip(NEXT) | instid1(VALU_DEP_2)
	v_cvt_u32_f32_e32 v8, v8
	v_dual_mov_b32 v5, v4 :: v_dual_bitop2_b32 v9, v9, v4 bitop3:0x14
	s_delay_alu instid0(VALU_DEP_2) | instskip(NEXT) | instid1(VALU_DEP_1)
	v_xor_b32_e32 v8, v8, v4
	v_sub_nc_u64_e32 v[4:5], v[8:9], v[4:5]
.LBB30_967:
	s_mov_b32 s38, 0
	s_mov_b32 s31, -1
.LBB30_968:
	s_and_not1_b32 vcc_lo, exec_lo, s38
	s_cbranch_vccnz .LBB30_981
; %bb.969:
	s_cmp_gt_i32 s1, 14
	s_cbranch_scc0 .LBB30_972
; %bb.970:
	s_cmp_eq_u32 s1, 15
	s_cbranch_scc0 .LBB30_975
; %bb.971:
	s_wait_loadcnt 0x0
	global_load_u16 v4, v[6:7], off
	s_mov_b32 s31, -1
	s_mov_b32 s70, 0
	s_wait_loadcnt 0x0
	v_lshlrev_b32_e32 v4, 16, v4
	s_delay_alu instid0(VALU_DEP_1) | instskip(NEXT) | instid1(VALU_DEP_1)
	v_trunc_f32_e32 v4, v4
	v_mul_f32_e64 v5, 0x2f800000, |v4|
	s_delay_alu instid0(VALU_DEP_1) | instskip(NEXT) | instid1(VALU_DEP_1)
	v_floor_f32_e32 v5, v5
	v_fma_f32 v8, 0xcf800000, v5, |v4|
	v_ashrrev_i32_e32 v4, 31, v4
	v_cvt_u32_f32_e32 v9, v5
	s_delay_alu instid0(VALU_DEP_3) | instskip(NEXT) | instid1(VALU_DEP_2)
	v_cvt_u32_f32_e32 v8, v8
	v_dual_mov_b32 v5, v4 :: v_dual_bitop2_b32 v9, v9, v4 bitop3:0x14
	s_delay_alu instid0(VALU_DEP_2) | instskip(NEXT) | instid1(VALU_DEP_1)
	v_xor_b32_e32 v8, v8, v4
	v_sub_nc_u64_e32 v[4:5], v[8:9], v[4:5]
	s_branch .LBB30_976
.LBB30_972:
	s_mov_b32 s38, -1
                                        ; implicit-def: $vgpr4_vgpr5
	s_branch .LBB30_977
.LBB30_973:
	s_and_not1_saveexec_b32 s31, s31
	s_cbranch_execz .LBB30_954
.LBB30_974:
	v_cmp_ne_u16_e32 vcc_lo, 0, v8
	s_and_not1_b32 s38, s38, exec_lo
	s_and_b32 s39, vcc_lo, exec_lo
	s_delay_alu instid0(SALU_CYCLE_1)
	s_or_b32 s38, s38, s39
	s_or_b32 exec_lo, exec_lo, s31
	v_mov_b64_e32 v[4:5], 0
	s_and_saveexec_b32 s31, s38
	s_cbranch_execnz .LBB30_955
	s_branch .LBB30_956
.LBB30_975:
	s_mov_b32 s70, -1
                                        ; implicit-def: $vgpr4_vgpr5
.LBB30_976:
	s_mov_b32 s38, 0
.LBB30_977:
	s_delay_alu instid0(SALU_CYCLE_1)
	s_and_b32 vcc_lo, exec_lo, s38
	s_cbranch_vccz .LBB30_981
; %bb.978:
	s_cmp_eq_u32 s1, 11
	s_cbranch_scc0 .LBB30_980
; %bb.979:
	s_wait_loadcnt 0x0
	global_load_u8 v4, v[6:7], off
	s_mov_b32 s70, 0
	s_mov_b32 s31, -1
	v_mov_b32_e32 v5, s70
	s_wait_loadcnt 0x0
	v_cmp_ne_u16_e32 vcc_lo, 0, v4
	v_cndmask_b32_e64 v4, 0, 1, vcc_lo
	s_branch .LBB30_981
.LBB30_980:
	s_mov_b32 s70, -1
                                        ; implicit-def: $vgpr4_vgpr5
.LBB30_981:
	s_mov_b32 s1, 0
.LBB30_982:
	s_delay_alu instid0(SALU_CYCLE_1)
	s_and_b32 vcc_lo, exec_lo, s1
	s_cbranch_vccz .LBB30_1031
; %bb.983:
	s_and_b32 s0, 0xffff, s0
	s_delay_alu instid0(SALU_CYCLE_1)
	s_cmp_lt_i32 s0, 5
	s_cbranch_scc1 .LBB30_988
; %bb.984:
	s_cmp_lt_i32 s0, 8
	s_cbranch_scc1 .LBB30_989
; %bb.985:
	;; [unrolled: 3-line block ×3, first 2 shown]
	s_cmp_gt_i32 s0, 9
	s_cbranch_scc0 .LBB30_991
; %bb.987:
	s_wait_loadcnt 0x0
	global_load_b64 v[4:5], v[6:7], off
	s_mov_b32 s1, 0
	s_wait_loadcnt 0x0
	v_trunc_f64_e32 v[4:5], v[4:5]
	s_delay_alu instid0(VALU_DEP_1) | instskip(NEXT) | instid1(VALU_DEP_1)
	v_ldexp_f64 v[8:9], v[4:5], 0xffffffe0
	v_floor_f64_e32 v[8:9], v[8:9]
	s_delay_alu instid0(VALU_DEP_1) | instskip(SKIP_1) | instid1(VALU_DEP_2)
	v_fmamk_f64 v[10:11], v[8:9], 0xc1f00000, v[4:5]
	v_cvt_i32_f64_e32 v5, v[8:9]
	v_cvt_u32_f64_e32 v4, v[10:11]
	s_branch .LBB30_992
.LBB30_988:
	s_mov_b32 s1, -1
                                        ; implicit-def: $vgpr4_vgpr5
	s_branch .LBB30_1010
.LBB30_989:
	s_mov_b32 s1, -1
                                        ; implicit-def: $vgpr4_vgpr5
	s_branch .LBB30_998
.LBB30_990:
	s_mov_b32 s1, -1
                                        ; implicit-def: $vgpr4_vgpr5
	s_branch .LBB30_995
.LBB30_991:
	s_mov_b32 s1, -1
                                        ; implicit-def: $vgpr4_vgpr5
.LBB30_992:
	s_delay_alu instid0(SALU_CYCLE_1)
	s_and_not1_b32 vcc_lo, exec_lo, s1
	s_cbranch_vccnz .LBB30_994
; %bb.993:
	s_wait_loadcnt 0x0
	global_load_b32 v4, v[6:7], off
	s_wait_loadcnt 0x0
	v_trunc_f32_e32 v4, v4
	s_delay_alu instid0(VALU_DEP_1) | instskip(NEXT) | instid1(VALU_DEP_1)
	v_mul_f32_e64 v5, 0x2f800000, |v4|
	v_floor_f32_e32 v5, v5
	s_delay_alu instid0(VALU_DEP_1) | instskip(SKIP_2) | instid1(VALU_DEP_3)
	v_fma_f32 v8, 0xcf800000, v5, |v4|
	v_ashrrev_i32_e32 v4, 31, v4
	v_cvt_u32_f32_e32 v9, v5
	v_cvt_u32_f32_e32 v8, v8
	s_delay_alu instid0(VALU_DEP_2) | instskip(NEXT) | instid1(VALU_DEP_2)
	v_dual_mov_b32 v5, v4 :: v_dual_bitop2_b32 v9, v9, v4 bitop3:0x14
	v_xor_b32_e32 v8, v8, v4
	s_delay_alu instid0(VALU_DEP_1)
	v_sub_nc_u64_e32 v[4:5], v[8:9], v[4:5]
.LBB30_994:
	s_mov_b32 s1, 0
.LBB30_995:
	s_delay_alu instid0(SALU_CYCLE_1)
	s_and_not1_b32 vcc_lo, exec_lo, s1
	s_cbranch_vccnz .LBB30_997
; %bb.996:
	s_wait_loadcnt 0x0
	global_load_b32 v4, v[6:7], off
	s_wait_loadcnt 0x0
	v_cvt_f32_f16_e32 v4, v4
	s_delay_alu instid0(VALU_DEP_1) | instskip(NEXT) | instid1(VALU_DEP_1)
	v_cvt_i32_f32_e32 v4, v4
	v_ashrrev_i32_e32 v5, 31, v4
.LBB30_997:
	s_mov_b32 s1, 0
.LBB30_998:
	s_delay_alu instid0(SALU_CYCLE_1)
	s_and_not1_b32 vcc_lo, exec_lo, s1
	s_cbranch_vccnz .LBB30_1009
; %bb.999:
	s_cmp_lt_i32 s0, 6
	s_cbranch_scc1 .LBB30_1002
; %bb.1000:
	s_cmp_gt_i32 s0, 6
	s_cbranch_scc0 .LBB30_1003
; %bb.1001:
	s_wait_loadcnt 0x0
	global_load_b64 v[4:5], v[6:7], off
	s_mov_b32 s1, 0
	s_wait_loadcnt 0x0
	v_trunc_f64_e32 v[4:5], v[4:5]
	s_delay_alu instid0(VALU_DEP_1) | instskip(NEXT) | instid1(VALU_DEP_1)
	v_ldexp_f64 v[8:9], v[4:5], 0xffffffe0
	v_floor_f64_e32 v[8:9], v[8:9]
	s_delay_alu instid0(VALU_DEP_1) | instskip(SKIP_1) | instid1(VALU_DEP_2)
	v_fmamk_f64 v[10:11], v[8:9], 0xc1f00000, v[4:5]
	v_cvt_i32_f64_e32 v5, v[8:9]
	v_cvt_u32_f64_e32 v4, v[10:11]
	s_branch .LBB30_1004
.LBB30_1002:
	s_mov_b32 s1, -1
                                        ; implicit-def: $vgpr4_vgpr5
	s_branch .LBB30_1007
.LBB30_1003:
	s_mov_b32 s1, -1
                                        ; implicit-def: $vgpr4_vgpr5
.LBB30_1004:
	s_delay_alu instid0(SALU_CYCLE_1)
	s_and_not1_b32 vcc_lo, exec_lo, s1
	s_cbranch_vccnz .LBB30_1006
; %bb.1005:
	s_wait_loadcnt 0x0
	global_load_b32 v4, v[6:7], off
	s_wait_loadcnt 0x0
	v_trunc_f32_e32 v4, v4
	s_delay_alu instid0(VALU_DEP_1) | instskip(NEXT) | instid1(VALU_DEP_1)
	v_mul_f32_e64 v5, 0x2f800000, |v4|
	v_floor_f32_e32 v5, v5
	s_delay_alu instid0(VALU_DEP_1) | instskip(SKIP_2) | instid1(VALU_DEP_3)
	v_fma_f32 v8, 0xcf800000, v5, |v4|
	v_ashrrev_i32_e32 v4, 31, v4
	v_cvt_u32_f32_e32 v9, v5
	v_cvt_u32_f32_e32 v8, v8
	s_delay_alu instid0(VALU_DEP_2) | instskip(NEXT) | instid1(VALU_DEP_2)
	v_dual_mov_b32 v5, v4 :: v_dual_bitop2_b32 v9, v9, v4 bitop3:0x14
	v_xor_b32_e32 v8, v8, v4
	s_delay_alu instid0(VALU_DEP_1)
	v_sub_nc_u64_e32 v[4:5], v[8:9], v[4:5]
.LBB30_1006:
	s_mov_b32 s1, 0
.LBB30_1007:
	s_delay_alu instid0(SALU_CYCLE_1)
	s_and_not1_b32 vcc_lo, exec_lo, s1
	s_cbranch_vccnz .LBB30_1009
; %bb.1008:
	s_wait_loadcnt 0x0
	global_load_u16 v4, v[6:7], off
	s_wait_loadcnt 0x0
	v_cvt_f32_f16_e32 v4, v4
	s_delay_alu instid0(VALU_DEP_1) | instskip(NEXT) | instid1(VALU_DEP_1)
	v_cvt_i32_f32_e32 v4, v4
	v_ashrrev_i32_e32 v5, 31, v4
.LBB30_1009:
	s_mov_b32 s1, 0
.LBB30_1010:
	s_delay_alu instid0(SALU_CYCLE_1)
	s_and_not1_b32 vcc_lo, exec_lo, s1
	s_cbranch_vccnz .LBB30_1030
; %bb.1011:
	s_cmp_lt_i32 s0, 2
	s_cbranch_scc1 .LBB30_1015
; %bb.1012:
	s_cmp_lt_i32 s0, 3
	s_cbranch_scc1 .LBB30_1016
; %bb.1013:
	s_cmp_gt_i32 s0, 3
	s_cbranch_scc0 .LBB30_1017
; %bb.1014:
	s_wait_loadcnt 0x0
	global_load_b64 v[4:5], v[6:7], off
	s_mov_b32 s1, 0
	s_branch .LBB30_1018
.LBB30_1015:
	s_mov_b32 s1, -1
                                        ; implicit-def: $vgpr4_vgpr5
	s_branch .LBB30_1024
.LBB30_1016:
	s_mov_b32 s1, -1
                                        ; implicit-def: $vgpr4_vgpr5
	s_branch .LBB30_1021
.LBB30_1017:
	s_mov_b32 s1, -1
                                        ; implicit-def: $vgpr4_vgpr5
.LBB30_1018:
	s_delay_alu instid0(SALU_CYCLE_1)
	s_and_not1_b32 vcc_lo, exec_lo, s1
	s_cbranch_vccnz .LBB30_1020
; %bb.1019:
	s_wait_loadcnt 0x0
	global_load_b32 v4, v[6:7], off
	s_wait_loadcnt 0x0
	v_ashrrev_i32_e32 v5, 31, v4
.LBB30_1020:
	s_mov_b32 s1, 0
.LBB30_1021:
	s_delay_alu instid0(SALU_CYCLE_1)
	s_and_not1_b32 vcc_lo, exec_lo, s1
	s_cbranch_vccnz .LBB30_1023
; %bb.1022:
	s_wait_loadcnt 0x0
	global_load_u16 v4, v[6:7], off
	s_wait_loadcnt 0x0
	v_bfe_i32 v4, v4, 0, 16
	s_delay_alu instid0(VALU_DEP_1)
	v_ashrrev_i32_e32 v5, 31, v4
.LBB30_1023:
	s_mov_b32 s1, 0
.LBB30_1024:
	s_delay_alu instid0(SALU_CYCLE_1)
	s_and_not1_b32 vcc_lo, exec_lo, s1
	s_cbranch_vccnz .LBB30_1030
; %bb.1025:
	s_cmp_gt_i32 s0, 0
	s_mov_b32 s0, 0
	s_cbranch_scc0 .LBB30_1027
; %bb.1026:
	s_wait_loadcnt 0x0
	global_load_i8 v4, v[6:7], off
	s_wait_loadcnt 0x0
	v_bfe_i32 v4, v4, 0, 16
	s_delay_alu instid0(VALU_DEP_1)
	v_ashrrev_i32_e32 v5, 31, v4
	s_branch .LBB30_1028
.LBB30_1027:
	s_mov_b32 s0, -1
                                        ; implicit-def: $vgpr4_vgpr5
.LBB30_1028:
	s_delay_alu instid0(SALU_CYCLE_1)
	s_and_not1_b32 vcc_lo, exec_lo, s0
	s_cbranch_vccnz .LBB30_1030
; %bb.1029:
	s_wait_loadcnt 0x0
	global_load_u8 v4, v[6:7], off
	s_mov_b32 s0, 0
	s_delay_alu instid0(SALU_CYCLE_1)
	v_mov_b32_e32 v5, s0
	s_wait_loadcnt 0x0
	v_and_b32_e32 v4, 0xffff, v4
.LBB30_1030:
	s_mov_b32 s31, -1
.LBB30_1031:
	s_delay_alu instid0(SALU_CYCLE_1)
	s_and_not1_b32 vcc_lo, exec_lo, s31
	s_cbranch_vccnz .LBB30_1039
; %bb.1032:
	s_wait_xcnt 0x0
	v_mul_lo_u32 v6, s27, v26
	s_and_b32 s0, s23, 0xff
	s_delay_alu instid0(SALU_CYCLE_1) | instskip(NEXT) | instid1(VALU_DEP_1)
	s_cmp_lt_i32 s0, 11
	v_ashrrev_i32_e32 v7, 31, v6
	s_delay_alu instid0(VALU_DEP_1)
	v_add_nc_u64_e32 v[8:9], s[18:19], v[6:7]
	s_cbranch_scc1 .LBB30_1040
; %bb.1033:
	s_and_b32 s1, 0xffff, s0
	s_delay_alu instid0(SALU_CYCLE_1)
	s_cmp_gt_i32 s1, 25
	s_cbranch_scc0 .LBB30_1041
; %bb.1034:
	s_cmp_gt_i32 s1, 28
	s_cbranch_scc0 .LBB30_1042
; %bb.1035:
	s_cmp_gt_i32 s1, 43
	s_cbranch_scc0 .LBB30_1043
; %bb.1036:
	s_cmp_gt_i32 s1, 45
	s_cbranch_scc0 .LBB30_1044
; %bb.1037:
	s_cmp_eq_u32 s1, 46
	s_mov_b32 s38, 0
	s_cbranch_scc0 .LBB30_1046
; %bb.1038:
	global_load_b32 v6, v[8:9], off
	s_mov_b32 s31, -1
	s_mov_b32 s73, 0
	s_wait_loadcnt 0x0
	v_lshlrev_b32_e32 v6, 16, v6
	s_delay_alu instid0(VALU_DEP_1) | instskip(NEXT) | instid1(VALU_DEP_1)
	v_trunc_f32_e32 v6, v6
	v_mul_f32_e64 v7, 0x2f800000, |v6|
	s_delay_alu instid0(VALU_DEP_1) | instskip(NEXT) | instid1(VALU_DEP_1)
	v_floor_f32_e32 v7, v7
	v_fma_f32 v10, 0xcf800000, v7, |v6|
	v_ashrrev_i32_e32 v6, 31, v6
	v_cvt_u32_f32_e32 v11, v7
	s_delay_alu instid0(VALU_DEP_3) | instskip(NEXT) | instid1(VALU_DEP_2)
	v_cvt_u32_f32_e32 v10, v10
	v_dual_mov_b32 v7, v6 :: v_dual_bitop2_b32 v11, v11, v6 bitop3:0x14
	s_delay_alu instid0(VALU_DEP_2) | instskip(NEXT) | instid1(VALU_DEP_1)
	v_xor_b32_e32 v10, v10, v6
	v_sub_nc_u64_e32 v[6:7], v[10:11], v[6:7]
	s_branch .LBB30_1048
.LBB30_1039:
	s_mov_b32 s0, 0
	s_mov_b32 s1, s56
	;; [unrolled: 1-line block ×8, first 2 shown]
	s_branch .LBB30_1297
.LBB30_1040:
	s_mov_b32 s1, -1
	s_mov_b32 s31, 0
	s_mov_b32 s73, s64
                                        ; implicit-def: $vgpr6_vgpr7
	s_branch .LBB30_1109
.LBB30_1041:
	s_mov_b32 s38, -1
	s_mov_b32 s31, 0
	s_mov_b32 s73, s64
                                        ; implicit-def: $vgpr6_vgpr7
	s_branch .LBB30_1075
.LBB30_1042:
	s_mov_b32 s38, -1
	s_mov_b32 s31, 0
	s_mov_b32 s73, s64
                                        ; implicit-def: $vgpr6_vgpr7
	s_branch .LBB30_1058
.LBB30_1043:
	s_mov_b32 s38, -1
	s_mov_b32 s31, 0
	s_mov_b32 s73, s64
                                        ; implicit-def: $vgpr6_vgpr7
	s_branch .LBB30_1053
.LBB30_1044:
	s_mov_b32 s38, -1
	s_mov_b32 s31, 0
	s_mov_b32 s73, s64
	s_branch .LBB30_1047
.LBB30_1045:
	s_mov_b32 s41, -1
	s_mov_b32 s31, 0
	s_mov_b32 s40, 0
	s_branch .LBB30_1843
.LBB30_1046:
	s_mov_b32 s73, -1
	s_mov_b32 s31, 0
.LBB30_1047:
                                        ; implicit-def: $vgpr6_vgpr7
.LBB30_1048:
	s_and_b32 vcc_lo, exec_lo, s38
	s_cbranch_vccz .LBB30_1052
; %bb.1049:
	s_cmp_eq_u32 s1, 44
	s_cbranch_scc0 .LBB30_1051
; %bb.1050:
	global_load_u8 v12, v[8:9], off
	s_mov_b32 s73, 0
	s_mov_b32 s31, -1
	s_wait_loadcnt 0x0
	v_cmp_ne_u32_e32 vcc_lo, 0, v12
	v_lshlrev_b32_e32 v6, 23, v12
	s_delay_alu instid0(VALU_DEP_1) | instskip(NEXT) | instid1(VALU_DEP_1)
	v_trunc_f32_e32 v6, v6
	v_mul_f32_e64 v7, 0x2f800000, |v6|
	s_delay_alu instid0(VALU_DEP_1) | instskip(NEXT) | instid1(VALU_DEP_1)
	v_floor_f32_e32 v7, v7
	v_fma_f32 v10, 0xcf800000, v7, |v6|
	v_ashrrev_i32_e32 v6, 31, v6
	v_cvt_u32_f32_e32 v11, v7
	s_delay_alu instid0(VALU_DEP_3) | instskip(NEXT) | instid1(VALU_DEP_2)
	v_cvt_u32_f32_e32 v10, v10
	v_dual_mov_b32 v7, v6 :: v_dual_bitop2_b32 v11, v11, v6 bitop3:0x14
	s_delay_alu instid0(VALU_DEP_2) | instskip(NEXT) | instid1(VALU_DEP_1)
	v_xor_b32_e32 v10, v10, v6
	v_sub_nc_u64_e32 v[6:7], v[10:11], v[6:7]
	s_delay_alu instid0(VALU_DEP_1)
	v_dual_cndmask_b32 v7, 0, v7 :: v_dual_cndmask_b32 v6, 0, v6
	s_branch .LBB30_1052
.LBB30_1051:
	s_mov_b32 s73, -1
                                        ; implicit-def: $vgpr6_vgpr7
.LBB30_1052:
	s_mov_b32 s38, 0
.LBB30_1053:
	s_delay_alu instid0(SALU_CYCLE_1)
	s_and_b32 vcc_lo, exec_lo, s38
	s_cbranch_vccz .LBB30_1057
; %bb.1054:
	s_cmp_eq_u32 s1, 29
	s_cbranch_scc0 .LBB30_1056
; %bb.1055:
	global_load_b64 v[6:7], v[8:9], off
	s_mov_b32 s31, -1
	s_mov_b32 s73, 0
	s_branch .LBB30_1057
.LBB30_1056:
	s_mov_b32 s73, -1
                                        ; implicit-def: $vgpr6_vgpr7
.LBB30_1057:
	s_mov_b32 s38, 0
.LBB30_1058:
	s_delay_alu instid0(SALU_CYCLE_1)
	s_and_b32 vcc_lo, exec_lo, s38
	s_cbranch_vccz .LBB30_1074
; %bb.1059:
	s_cmp_lt_i32 s1, 27
	s_cbranch_scc1 .LBB30_1062
; %bb.1060:
	s_cmp_gt_i32 s1, 27
	s_cbranch_scc0 .LBB30_1063
; %bb.1061:
	s_wait_loadcnt 0x0
	global_load_b32 v6, v[8:9], off
	v_mov_b32_e32 v7, 0
	s_mov_b32 s31, 0
	s_branch .LBB30_1064
.LBB30_1062:
	s_mov_b32 s31, -1
                                        ; implicit-def: $vgpr6_vgpr7
	s_branch .LBB30_1067
.LBB30_1063:
	s_mov_b32 s31, -1
                                        ; implicit-def: $vgpr6_vgpr7
.LBB30_1064:
	s_delay_alu instid0(SALU_CYCLE_1)
	s_and_not1_b32 vcc_lo, exec_lo, s31
	s_cbranch_vccnz .LBB30_1066
; %bb.1065:
	s_wait_loadcnt 0x0
	global_load_u16 v6, v[8:9], off
	s_mov_b32 s31, 0
	s_delay_alu instid0(SALU_CYCLE_1)
	v_mov_b32_e32 v7, s31
	s_wait_loadcnt 0x0
	v_and_b32_e32 v6, 0xffff, v6
.LBB30_1066:
	s_mov_b32 s31, 0
.LBB30_1067:
	s_delay_alu instid0(SALU_CYCLE_1)
	s_and_not1_b32 vcc_lo, exec_lo, s31
	s_cbranch_vccnz .LBB30_1073
; %bb.1068:
	global_load_u8 v10, v[8:9], off
	s_mov_b32 s38, 0
	s_mov_b32 s31, exec_lo
	s_wait_loadcnt 0x0
	v_cmpx_lt_i16_e32 0x7f, v10
	s_xor_b32 s31, exec_lo, s31
	s_cbranch_execz .LBB30_1085
; %bb.1069:
	v_cmp_ne_u16_e32 vcc_lo, 0x80, v10
	s_and_b32 s38, vcc_lo, exec_lo
	s_and_not1_saveexec_b32 s31, s31
	s_cbranch_execnz .LBB30_1086
.LBB30_1070:
	s_or_b32 exec_lo, exec_lo, s31
	v_mov_b64_e32 v[6:7], 0
	s_and_saveexec_b32 s31, s38
	s_cbranch_execz .LBB30_1072
.LBB30_1071:
	v_and_b32_e32 v6, 0xffff, v10
	s_delay_alu instid0(VALU_DEP_1) | instskip(SKIP_1) | instid1(VALU_DEP_2)
	v_and_b32_e32 v7, 7, v6
	v_bfe_u32 v13, v6, 3, 4
	v_clz_i32_u32_e32 v11, v7
	s_delay_alu instid0(VALU_DEP_2) | instskip(NEXT) | instid1(VALU_DEP_2)
	v_cmp_eq_u32_e32 vcc_lo, 0, v13
	v_min_u32_e32 v11, 32, v11
	s_delay_alu instid0(VALU_DEP_1) | instskip(NEXT) | instid1(VALU_DEP_1)
	v_subrev_nc_u32_e32 v12, 28, v11
	v_dual_lshlrev_b32 v6, v12, v6 :: v_dual_sub_nc_u32 v11, 29, v11
	s_delay_alu instid0(VALU_DEP_1) | instskip(NEXT) | instid1(VALU_DEP_2)
	v_and_b32_e32 v6, 7, v6
	v_dual_cndmask_b32 v11, v13, v11 :: v_dual_lshlrev_b32 v10, 24, v10
	s_delay_alu instid0(VALU_DEP_2) | instskip(NEXT) | instid1(VALU_DEP_2)
	v_cndmask_b32_e32 v6, v7, v6, vcc_lo
	v_and_b32_e32 v7, 0x80000000, v10
	s_delay_alu instid0(VALU_DEP_3) | instskip(NEXT) | instid1(VALU_DEP_3)
	v_lshl_add_u32 v10, v11, 23, 0x3b800000
	v_lshlrev_b32_e32 v6, 20, v6
	s_delay_alu instid0(VALU_DEP_1) | instskip(NEXT) | instid1(VALU_DEP_1)
	v_or3_b32 v6, v7, v10, v6
	v_trunc_f32_e32 v6, v6
	s_delay_alu instid0(VALU_DEP_1) | instskip(NEXT) | instid1(VALU_DEP_1)
	v_mul_f32_e64 v7, 0x2f800000, |v6|
	v_floor_f32_e32 v7, v7
	s_delay_alu instid0(VALU_DEP_1) | instskip(SKIP_2) | instid1(VALU_DEP_3)
	v_fma_f32 v10, 0xcf800000, v7, |v6|
	v_ashrrev_i32_e32 v6, 31, v6
	v_cvt_u32_f32_e32 v11, v7
	v_cvt_u32_f32_e32 v10, v10
	s_delay_alu instid0(VALU_DEP_2) | instskip(NEXT) | instid1(VALU_DEP_2)
	v_dual_mov_b32 v7, v6 :: v_dual_bitop2_b32 v11, v11, v6 bitop3:0x14
	v_xor_b32_e32 v10, v10, v6
	s_delay_alu instid0(VALU_DEP_1)
	v_sub_nc_u64_e32 v[6:7], v[10:11], v[6:7]
.LBB30_1072:
	s_or_b32 exec_lo, exec_lo, s31
.LBB30_1073:
	s_mov_b32 s31, -1
.LBB30_1074:
	s_mov_b32 s38, 0
.LBB30_1075:
	s_delay_alu instid0(SALU_CYCLE_1)
	s_and_b32 vcc_lo, exec_lo, s38
	s_cbranch_vccz .LBB30_1108
; %bb.1076:
	s_cmp_gt_i32 s1, 22
	s_cbranch_scc0 .LBB30_1084
; %bb.1077:
	s_cmp_lt_i32 s1, 24
	s_cbranch_scc1 .LBB30_1087
; %bb.1078:
	s_cmp_gt_i32 s1, 24
	s_cbranch_scc0 .LBB30_1088
; %bb.1079:
	global_load_u8 v10, v[8:9], off
	s_mov_b32 s38, 0
	s_mov_b32 s31, exec_lo
	s_wait_loadcnt 0x0
	v_cmpx_lt_i16_e32 0x7f, v10
	s_xor_b32 s31, exec_lo, s31
	s_cbranch_execz .LBB30_1100
; %bb.1080:
	v_cmp_ne_u16_e32 vcc_lo, 0x80, v10
	s_and_b32 s38, vcc_lo, exec_lo
	s_and_not1_saveexec_b32 s31, s31
	s_cbranch_execnz .LBB30_1101
.LBB30_1081:
	s_or_b32 exec_lo, exec_lo, s31
	v_mov_b64_e32 v[6:7], 0
	s_and_saveexec_b32 s31, s38
	s_cbranch_execz .LBB30_1083
.LBB30_1082:
	v_and_b32_e32 v6, 0xffff, v10
	s_delay_alu instid0(VALU_DEP_1) | instskip(SKIP_1) | instid1(VALU_DEP_2)
	v_and_b32_e32 v7, 3, v6
	v_bfe_u32 v13, v6, 2, 5
	v_clz_i32_u32_e32 v11, v7
	s_delay_alu instid0(VALU_DEP_2) | instskip(NEXT) | instid1(VALU_DEP_2)
	v_cmp_eq_u32_e32 vcc_lo, 0, v13
	v_min_u32_e32 v11, 32, v11
	s_delay_alu instid0(VALU_DEP_1) | instskip(NEXT) | instid1(VALU_DEP_1)
	v_subrev_nc_u32_e32 v12, 29, v11
	v_dual_lshlrev_b32 v6, v12, v6 :: v_dual_sub_nc_u32 v11, 30, v11
	s_delay_alu instid0(VALU_DEP_1) | instskip(NEXT) | instid1(VALU_DEP_2)
	v_and_b32_e32 v6, 3, v6
	v_dual_cndmask_b32 v11, v13, v11 :: v_dual_lshlrev_b32 v10, 24, v10
	s_delay_alu instid0(VALU_DEP_2) | instskip(NEXT) | instid1(VALU_DEP_2)
	v_cndmask_b32_e32 v6, v7, v6, vcc_lo
	v_and_b32_e32 v7, 0x80000000, v10
	s_delay_alu instid0(VALU_DEP_3) | instskip(NEXT) | instid1(VALU_DEP_3)
	v_lshl_add_u32 v10, v11, 23, 0x37800000
	v_lshlrev_b32_e32 v6, 21, v6
	s_delay_alu instid0(VALU_DEP_1) | instskip(NEXT) | instid1(VALU_DEP_1)
	v_or3_b32 v6, v7, v10, v6
	v_trunc_f32_e32 v6, v6
	s_delay_alu instid0(VALU_DEP_1) | instskip(NEXT) | instid1(VALU_DEP_1)
	v_mul_f32_e64 v7, 0x2f800000, |v6|
	v_floor_f32_e32 v7, v7
	s_delay_alu instid0(VALU_DEP_1) | instskip(SKIP_2) | instid1(VALU_DEP_3)
	v_fma_f32 v10, 0xcf800000, v7, |v6|
	v_ashrrev_i32_e32 v6, 31, v6
	v_cvt_u32_f32_e32 v11, v7
	v_cvt_u32_f32_e32 v10, v10
	s_delay_alu instid0(VALU_DEP_2) | instskip(NEXT) | instid1(VALU_DEP_2)
	v_dual_mov_b32 v7, v6 :: v_dual_bitop2_b32 v11, v11, v6 bitop3:0x14
	v_xor_b32_e32 v10, v10, v6
	s_delay_alu instid0(VALU_DEP_1)
	v_sub_nc_u64_e32 v[6:7], v[10:11], v[6:7]
.LBB30_1083:
	s_or_b32 exec_lo, exec_lo, s31
	s_mov_b32 s31, 0
	s_branch .LBB30_1089
.LBB30_1084:
	s_mov_b32 s38, -1
                                        ; implicit-def: $vgpr6_vgpr7
	s_branch .LBB30_1095
.LBB30_1085:
	s_and_not1_saveexec_b32 s31, s31
	s_cbranch_execz .LBB30_1070
.LBB30_1086:
	v_cmp_ne_u16_e32 vcc_lo, 0, v10
	s_and_not1_b32 s38, s38, exec_lo
	s_and_b32 s39, vcc_lo, exec_lo
	s_delay_alu instid0(SALU_CYCLE_1)
	s_or_b32 s38, s38, s39
	s_or_b32 exec_lo, exec_lo, s31
	v_mov_b64_e32 v[6:7], 0
	s_and_saveexec_b32 s31, s38
	s_cbranch_execnz .LBB30_1071
	s_branch .LBB30_1072
.LBB30_1087:
	s_mov_b32 s31, -1
                                        ; implicit-def: $vgpr6_vgpr7
	s_branch .LBB30_1092
.LBB30_1088:
	s_mov_b32 s31, -1
                                        ; implicit-def: $vgpr6_vgpr7
.LBB30_1089:
	s_delay_alu instid0(SALU_CYCLE_1)
	s_and_b32 vcc_lo, exec_lo, s31
	s_cbranch_vccz .LBB30_1091
; %bb.1090:
	s_wait_loadcnt 0x0
	global_load_u8 v6, v[8:9], off
	s_wait_loadcnt 0x0
	v_lshlrev_b32_e32 v6, 24, v6
	s_delay_alu instid0(VALU_DEP_1) | instskip(NEXT) | instid1(VALU_DEP_1)
	v_and_b32_e32 v7, 0x7f000000, v6
	v_clz_i32_u32_e32 v10, v7
	v_cmp_ne_u32_e32 vcc_lo, 0, v7
	v_add_nc_u32_e32 v12, 0x1000000, v7
	s_delay_alu instid0(VALU_DEP_3) | instskip(NEXT) | instid1(VALU_DEP_1)
	v_min_u32_e32 v10, 32, v10
	v_sub_nc_u32_e64 v10, v10, 4 clamp
	s_delay_alu instid0(VALU_DEP_1) | instskip(NEXT) | instid1(VALU_DEP_1)
	v_dual_lshlrev_b32 v11, v10, v7 :: v_dual_lshlrev_b32 v10, 23, v10
	v_lshrrev_b32_e32 v11, 4, v11
	s_delay_alu instid0(VALU_DEP_1) | instskip(NEXT) | instid1(VALU_DEP_1)
	v_dual_sub_nc_u32 v10, v11, v10 :: v_dual_ashrrev_i32 v11, 8, v12
	v_add_nc_u32_e32 v10, 0x3c000000, v10
	s_delay_alu instid0(VALU_DEP_1) | instskip(NEXT) | instid1(VALU_DEP_1)
	v_and_or_b32 v10, 0x7f800000, v11, v10
	v_cndmask_b32_e32 v7, 0, v10, vcc_lo
	s_delay_alu instid0(VALU_DEP_1) | instskip(NEXT) | instid1(VALU_DEP_1)
	v_and_or_b32 v6, 0x80000000, v6, v7
	v_trunc_f32_e32 v6, v6
	s_delay_alu instid0(VALU_DEP_1) | instskip(NEXT) | instid1(VALU_DEP_1)
	v_mul_f32_e64 v7, 0x2f800000, |v6|
	v_floor_f32_e32 v7, v7
	s_delay_alu instid0(VALU_DEP_1) | instskip(SKIP_2) | instid1(VALU_DEP_3)
	v_fma_f32 v10, 0xcf800000, v7, |v6|
	v_ashrrev_i32_e32 v6, 31, v6
	v_cvt_u32_f32_e32 v11, v7
	v_cvt_u32_f32_e32 v10, v10
	s_delay_alu instid0(VALU_DEP_2) | instskip(NEXT) | instid1(VALU_DEP_2)
	v_dual_mov_b32 v7, v6 :: v_dual_bitop2_b32 v11, v11, v6 bitop3:0x14
	v_xor_b32_e32 v10, v10, v6
	s_delay_alu instid0(VALU_DEP_1)
	v_sub_nc_u64_e32 v[6:7], v[10:11], v[6:7]
.LBB30_1091:
	s_mov_b32 s31, 0
.LBB30_1092:
	s_delay_alu instid0(SALU_CYCLE_1)
	s_and_not1_b32 vcc_lo, exec_lo, s31
	s_cbranch_vccnz .LBB30_1094
; %bb.1093:
	s_wait_loadcnt 0x0
	global_load_u8 v6, v[8:9], off
	s_wait_loadcnt 0x0
	v_lshlrev_b32_e32 v7, 25, v6
	v_lshlrev_b16 v6, 8, v6
	s_delay_alu instid0(VALU_DEP_1) | instskip(SKIP_1) | instid1(VALU_DEP_2)
	v_and_or_b32 v11, 0x7f00, v6, 0.5
	v_bfe_i32 v6, v6, 0, 16
	v_add_f32_e32 v11, -0.5, v11
	v_lshrrev_b32_e32 v10, 4, v7
	v_cmp_gt_u32_e32 vcc_lo, 0x8000000, v7
	s_delay_alu instid0(VALU_DEP_2) | instskip(NEXT) | instid1(VALU_DEP_1)
	v_or_b32_e32 v10, 0x70000000, v10
	v_mul_f32_e32 v10, 0x7800000, v10
	s_delay_alu instid0(VALU_DEP_1) | instskip(NEXT) | instid1(VALU_DEP_1)
	v_cndmask_b32_e32 v7, v10, v11, vcc_lo
	v_and_or_b32 v6, 0x80000000, v6, v7
	s_delay_alu instid0(VALU_DEP_1) | instskip(NEXT) | instid1(VALU_DEP_1)
	v_trunc_f32_e32 v6, v6
	v_mul_f32_e64 v7, 0x2f800000, |v6|
	s_delay_alu instid0(VALU_DEP_1) | instskip(NEXT) | instid1(VALU_DEP_1)
	v_floor_f32_e32 v7, v7
	v_fma_f32 v10, 0xcf800000, v7, |v6|
	v_ashrrev_i32_e32 v6, 31, v6
	v_cvt_u32_f32_e32 v11, v7
	s_delay_alu instid0(VALU_DEP_3) | instskip(NEXT) | instid1(VALU_DEP_2)
	v_cvt_u32_f32_e32 v10, v10
	v_dual_mov_b32 v7, v6 :: v_dual_bitop2_b32 v11, v11, v6 bitop3:0x14
	s_delay_alu instid0(VALU_DEP_2) | instskip(NEXT) | instid1(VALU_DEP_1)
	v_xor_b32_e32 v10, v10, v6
	v_sub_nc_u64_e32 v[6:7], v[10:11], v[6:7]
.LBB30_1094:
	s_mov_b32 s38, 0
	s_mov_b32 s31, -1
.LBB30_1095:
	s_and_not1_b32 vcc_lo, exec_lo, s38
	s_cbranch_vccnz .LBB30_1108
; %bb.1096:
	s_cmp_gt_i32 s1, 14
	s_cbranch_scc0 .LBB30_1099
; %bb.1097:
	s_cmp_eq_u32 s1, 15
	s_cbranch_scc0 .LBB30_1102
; %bb.1098:
	s_wait_loadcnt 0x0
	global_load_u16 v6, v[8:9], off
	s_mov_b32 s31, -1
	s_mov_b32 s73, 0
	s_wait_loadcnt 0x0
	v_lshlrev_b32_e32 v6, 16, v6
	s_delay_alu instid0(VALU_DEP_1) | instskip(NEXT) | instid1(VALU_DEP_1)
	v_trunc_f32_e32 v6, v6
	v_mul_f32_e64 v7, 0x2f800000, |v6|
	s_delay_alu instid0(VALU_DEP_1) | instskip(NEXT) | instid1(VALU_DEP_1)
	v_floor_f32_e32 v7, v7
	v_fma_f32 v10, 0xcf800000, v7, |v6|
	v_ashrrev_i32_e32 v6, 31, v6
	v_cvt_u32_f32_e32 v11, v7
	s_delay_alu instid0(VALU_DEP_3) | instskip(NEXT) | instid1(VALU_DEP_2)
	v_cvt_u32_f32_e32 v10, v10
	v_dual_mov_b32 v7, v6 :: v_dual_bitop2_b32 v11, v11, v6 bitop3:0x14
	s_delay_alu instid0(VALU_DEP_2) | instskip(NEXT) | instid1(VALU_DEP_1)
	v_xor_b32_e32 v10, v10, v6
	v_sub_nc_u64_e32 v[6:7], v[10:11], v[6:7]
	s_branch .LBB30_1103
.LBB30_1099:
	s_mov_b32 s38, -1
                                        ; implicit-def: $vgpr6_vgpr7
	s_branch .LBB30_1104
.LBB30_1100:
	s_and_not1_saveexec_b32 s31, s31
	s_cbranch_execz .LBB30_1081
.LBB30_1101:
	v_cmp_ne_u16_e32 vcc_lo, 0, v10
	s_and_not1_b32 s38, s38, exec_lo
	s_and_b32 s39, vcc_lo, exec_lo
	s_delay_alu instid0(SALU_CYCLE_1)
	s_or_b32 s38, s38, s39
	s_or_b32 exec_lo, exec_lo, s31
	v_mov_b64_e32 v[6:7], 0
	s_and_saveexec_b32 s31, s38
	s_cbranch_execnz .LBB30_1082
	s_branch .LBB30_1083
.LBB30_1102:
	s_mov_b32 s73, -1
                                        ; implicit-def: $vgpr6_vgpr7
.LBB30_1103:
	s_mov_b32 s38, 0
.LBB30_1104:
	s_delay_alu instid0(SALU_CYCLE_1)
	s_and_b32 vcc_lo, exec_lo, s38
	s_cbranch_vccz .LBB30_1108
; %bb.1105:
	s_cmp_eq_u32 s1, 11
	s_cbranch_scc0 .LBB30_1107
; %bb.1106:
	s_wait_loadcnt 0x0
	global_load_u8 v6, v[8:9], off
	s_mov_b32 s73, 0
	s_mov_b32 s31, -1
	v_mov_b32_e32 v7, s73
	s_wait_loadcnt 0x0
	v_cmp_ne_u16_e32 vcc_lo, 0, v6
	v_cndmask_b32_e64 v6, 0, 1, vcc_lo
	s_branch .LBB30_1108
.LBB30_1107:
	s_mov_b32 s73, -1
                                        ; implicit-def: $vgpr6_vgpr7
.LBB30_1108:
	s_mov_b32 s1, 0
.LBB30_1109:
	s_delay_alu instid0(SALU_CYCLE_1)
	s_and_b32 vcc_lo, exec_lo, s1
	s_cbranch_vccz .LBB30_1158
; %bb.1110:
	s_and_b32 s0, 0xffff, s0
	s_delay_alu instid0(SALU_CYCLE_1)
	s_cmp_lt_i32 s0, 5
	s_cbranch_scc1 .LBB30_1115
; %bb.1111:
	s_cmp_lt_i32 s0, 8
	s_cbranch_scc1 .LBB30_1116
; %bb.1112:
	s_cmp_lt_i32 s0, 9
	s_cbranch_scc1 .LBB30_1117
; %bb.1113:
	s_cmp_gt_i32 s0, 9
	s_cbranch_scc0 .LBB30_1118
; %bb.1114:
	s_wait_loadcnt 0x0
	global_load_b64 v[6:7], v[8:9], off
	s_mov_b32 s1, 0
	s_wait_loadcnt 0x0
	v_trunc_f64_e32 v[6:7], v[6:7]
	s_delay_alu instid0(VALU_DEP_1) | instskip(NEXT) | instid1(VALU_DEP_1)
	v_ldexp_f64 v[10:11], v[6:7], 0xffffffe0
	v_floor_f64_e32 v[10:11], v[10:11]
	s_delay_alu instid0(VALU_DEP_1) | instskip(SKIP_1) | instid1(VALU_DEP_2)
	v_fmamk_f64 v[12:13], v[10:11], 0xc1f00000, v[6:7]
	v_cvt_i32_f64_e32 v7, v[10:11]
	v_cvt_u32_f64_e32 v6, v[12:13]
	s_branch .LBB30_1119
.LBB30_1115:
	s_mov_b32 s1, -1
                                        ; implicit-def: $vgpr6_vgpr7
	s_branch .LBB30_1137
.LBB30_1116:
	s_mov_b32 s1, -1
                                        ; implicit-def: $vgpr6_vgpr7
	s_branch .LBB30_1125
.LBB30_1117:
	s_mov_b32 s1, -1
                                        ; implicit-def: $vgpr6_vgpr7
	s_branch .LBB30_1122
.LBB30_1118:
	s_mov_b32 s1, -1
                                        ; implicit-def: $vgpr6_vgpr7
.LBB30_1119:
	s_delay_alu instid0(SALU_CYCLE_1)
	s_and_not1_b32 vcc_lo, exec_lo, s1
	s_cbranch_vccnz .LBB30_1121
; %bb.1120:
	s_wait_loadcnt 0x0
	global_load_b32 v6, v[8:9], off
	s_wait_loadcnt 0x0
	v_trunc_f32_e32 v6, v6
	s_delay_alu instid0(VALU_DEP_1) | instskip(NEXT) | instid1(VALU_DEP_1)
	v_mul_f32_e64 v7, 0x2f800000, |v6|
	v_floor_f32_e32 v7, v7
	s_delay_alu instid0(VALU_DEP_1) | instskip(SKIP_2) | instid1(VALU_DEP_3)
	v_fma_f32 v10, 0xcf800000, v7, |v6|
	v_ashrrev_i32_e32 v6, 31, v6
	v_cvt_u32_f32_e32 v11, v7
	v_cvt_u32_f32_e32 v10, v10
	s_delay_alu instid0(VALU_DEP_2) | instskip(NEXT) | instid1(VALU_DEP_2)
	v_dual_mov_b32 v7, v6 :: v_dual_bitop2_b32 v11, v11, v6 bitop3:0x14
	v_xor_b32_e32 v10, v10, v6
	s_delay_alu instid0(VALU_DEP_1)
	v_sub_nc_u64_e32 v[6:7], v[10:11], v[6:7]
.LBB30_1121:
	s_mov_b32 s1, 0
.LBB30_1122:
	s_delay_alu instid0(SALU_CYCLE_1)
	s_and_not1_b32 vcc_lo, exec_lo, s1
	s_cbranch_vccnz .LBB30_1124
; %bb.1123:
	s_wait_loadcnt 0x0
	global_load_b32 v6, v[8:9], off
	s_wait_loadcnt 0x0
	v_cvt_f32_f16_e32 v6, v6
	s_delay_alu instid0(VALU_DEP_1) | instskip(NEXT) | instid1(VALU_DEP_1)
	v_cvt_i32_f32_e32 v6, v6
	v_ashrrev_i32_e32 v7, 31, v6
.LBB30_1124:
	s_mov_b32 s1, 0
.LBB30_1125:
	s_delay_alu instid0(SALU_CYCLE_1)
	s_and_not1_b32 vcc_lo, exec_lo, s1
	s_cbranch_vccnz .LBB30_1136
; %bb.1126:
	s_cmp_lt_i32 s0, 6
	s_cbranch_scc1 .LBB30_1129
; %bb.1127:
	s_cmp_gt_i32 s0, 6
	s_cbranch_scc0 .LBB30_1130
; %bb.1128:
	s_wait_loadcnt 0x0
	global_load_b64 v[6:7], v[8:9], off
	s_mov_b32 s1, 0
	s_wait_loadcnt 0x0
	v_trunc_f64_e32 v[6:7], v[6:7]
	s_delay_alu instid0(VALU_DEP_1) | instskip(NEXT) | instid1(VALU_DEP_1)
	v_ldexp_f64 v[10:11], v[6:7], 0xffffffe0
	v_floor_f64_e32 v[10:11], v[10:11]
	s_delay_alu instid0(VALU_DEP_1) | instskip(SKIP_1) | instid1(VALU_DEP_2)
	v_fmamk_f64 v[12:13], v[10:11], 0xc1f00000, v[6:7]
	v_cvt_i32_f64_e32 v7, v[10:11]
	v_cvt_u32_f64_e32 v6, v[12:13]
	s_branch .LBB30_1131
.LBB30_1129:
	s_mov_b32 s1, -1
                                        ; implicit-def: $vgpr6_vgpr7
	s_branch .LBB30_1134
.LBB30_1130:
	s_mov_b32 s1, -1
                                        ; implicit-def: $vgpr6_vgpr7
.LBB30_1131:
	s_delay_alu instid0(SALU_CYCLE_1)
	s_and_not1_b32 vcc_lo, exec_lo, s1
	s_cbranch_vccnz .LBB30_1133
; %bb.1132:
	s_wait_loadcnt 0x0
	global_load_b32 v6, v[8:9], off
	s_wait_loadcnt 0x0
	v_trunc_f32_e32 v6, v6
	s_delay_alu instid0(VALU_DEP_1) | instskip(NEXT) | instid1(VALU_DEP_1)
	v_mul_f32_e64 v7, 0x2f800000, |v6|
	v_floor_f32_e32 v7, v7
	s_delay_alu instid0(VALU_DEP_1) | instskip(SKIP_2) | instid1(VALU_DEP_3)
	v_fma_f32 v10, 0xcf800000, v7, |v6|
	v_ashrrev_i32_e32 v6, 31, v6
	v_cvt_u32_f32_e32 v11, v7
	v_cvt_u32_f32_e32 v10, v10
	s_delay_alu instid0(VALU_DEP_2) | instskip(NEXT) | instid1(VALU_DEP_2)
	v_dual_mov_b32 v7, v6 :: v_dual_bitop2_b32 v11, v11, v6 bitop3:0x14
	v_xor_b32_e32 v10, v10, v6
	s_delay_alu instid0(VALU_DEP_1)
	v_sub_nc_u64_e32 v[6:7], v[10:11], v[6:7]
.LBB30_1133:
	s_mov_b32 s1, 0
.LBB30_1134:
	s_delay_alu instid0(SALU_CYCLE_1)
	s_and_not1_b32 vcc_lo, exec_lo, s1
	s_cbranch_vccnz .LBB30_1136
; %bb.1135:
	s_wait_loadcnt 0x0
	global_load_u16 v6, v[8:9], off
	s_wait_loadcnt 0x0
	v_cvt_f32_f16_e32 v6, v6
	s_delay_alu instid0(VALU_DEP_1) | instskip(NEXT) | instid1(VALU_DEP_1)
	v_cvt_i32_f32_e32 v6, v6
	v_ashrrev_i32_e32 v7, 31, v6
.LBB30_1136:
	s_mov_b32 s1, 0
.LBB30_1137:
	s_delay_alu instid0(SALU_CYCLE_1)
	s_and_not1_b32 vcc_lo, exec_lo, s1
	s_cbranch_vccnz .LBB30_1157
; %bb.1138:
	s_cmp_lt_i32 s0, 2
	s_cbranch_scc1 .LBB30_1142
; %bb.1139:
	s_cmp_lt_i32 s0, 3
	s_cbranch_scc1 .LBB30_1143
; %bb.1140:
	s_cmp_gt_i32 s0, 3
	s_cbranch_scc0 .LBB30_1144
; %bb.1141:
	s_wait_loadcnt 0x0
	global_load_b64 v[6:7], v[8:9], off
	s_mov_b32 s1, 0
	s_branch .LBB30_1145
.LBB30_1142:
	s_mov_b32 s1, -1
                                        ; implicit-def: $vgpr6_vgpr7
	s_branch .LBB30_1151
.LBB30_1143:
	s_mov_b32 s1, -1
                                        ; implicit-def: $vgpr6_vgpr7
	s_branch .LBB30_1148
.LBB30_1144:
	s_mov_b32 s1, -1
                                        ; implicit-def: $vgpr6_vgpr7
.LBB30_1145:
	s_delay_alu instid0(SALU_CYCLE_1)
	s_and_not1_b32 vcc_lo, exec_lo, s1
	s_cbranch_vccnz .LBB30_1147
; %bb.1146:
	s_wait_loadcnt 0x0
	global_load_b32 v6, v[8:9], off
	s_wait_loadcnt 0x0
	v_ashrrev_i32_e32 v7, 31, v6
.LBB30_1147:
	s_mov_b32 s1, 0
.LBB30_1148:
	s_delay_alu instid0(SALU_CYCLE_1)
	s_and_not1_b32 vcc_lo, exec_lo, s1
	s_cbranch_vccnz .LBB30_1150
; %bb.1149:
	s_wait_loadcnt 0x0
	global_load_u16 v6, v[8:9], off
	s_wait_loadcnt 0x0
	v_bfe_i32 v6, v6, 0, 16
	s_delay_alu instid0(VALU_DEP_1)
	v_ashrrev_i32_e32 v7, 31, v6
.LBB30_1150:
	s_mov_b32 s1, 0
.LBB30_1151:
	s_delay_alu instid0(SALU_CYCLE_1)
	s_and_not1_b32 vcc_lo, exec_lo, s1
	s_cbranch_vccnz .LBB30_1157
; %bb.1152:
	s_cmp_gt_i32 s0, 0
	s_mov_b32 s0, 0
	s_cbranch_scc0 .LBB30_1154
; %bb.1153:
	s_wait_loadcnt 0x0
	global_load_i8 v6, v[8:9], off
	s_wait_loadcnt 0x0
	v_bfe_i32 v6, v6, 0, 16
	s_delay_alu instid0(VALU_DEP_1)
	v_ashrrev_i32_e32 v7, 31, v6
	s_branch .LBB30_1155
.LBB30_1154:
	s_mov_b32 s0, -1
                                        ; implicit-def: $vgpr6_vgpr7
.LBB30_1155:
	s_delay_alu instid0(SALU_CYCLE_1)
	s_and_not1_b32 vcc_lo, exec_lo, s0
	s_cbranch_vccnz .LBB30_1157
; %bb.1156:
	s_wait_loadcnt 0x0
	global_load_u8 v6, v[8:9], off
	s_mov_b32 s0, 0
	s_delay_alu instid0(SALU_CYCLE_1)
	v_mov_b32_e32 v7, s0
	s_wait_loadcnt 0x0
	v_and_b32_e32 v6, 0xffff, v6
.LBB30_1157:
	s_mov_b32 s31, -1
.LBB30_1158:
	s_delay_alu instid0(SALU_CYCLE_1)
	s_and_not1_b32 vcc_lo, exec_lo, s31
	s_cbranch_vccnz .LBB30_1166
; %bb.1159:
	s_wait_xcnt 0x0
	v_mul_lo_u32 v8, s53, v26
	s_and_b32 s0, s54, 0xff
	s_delay_alu instid0(SALU_CYCLE_1) | instskip(NEXT) | instid1(VALU_DEP_1)
	s_cmp_lt_i32 s0, 11
	v_ashrrev_i32_e32 v9, 31, v8
	s_delay_alu instid0(VALU_DEP_1)
	v_add_nc_u64_e32 v[8:9], s[34:35], v[8:9]
	s_cbranch_scc1 .LBB30_1167
; %bb.1160:
	s_and_b32 s1, 0xffff, s0
	s_delay_alu instid0(SALU_CYCLE_1)
	s_cmp_gt_i32 s1, 25
	s_cbranch_scc0 .LBB30_1168
; %bb.1161:
	s_cmp_gt_i32 s1, 28
	s_cbranch_scc0 .LBB30_1169
; %bb.1162:
	;; [unrolled: 3-line block ×4, first 2 shown]
	s_cmp_eq_u32 s1, 46
	s_mov_b32 s38, 0
	s_cbranch_scc0 .LBB30_1173
; %bb.1165:
	global_load_b32 v10, v[8:9], off
	s_mov_b32 s31, -1
	s_mov_b32 s72, 0
	s_wait_loadcnt 0x0
	v_lshlrev_b32_e32 v10, 16, v10
	s_delay_alu instid0(VALU_DEP_1) | instskip(NEXT) | instid1(VALU_DEP_1)
	v_trunc_f32_e32 v10, v10
	v_mul_f32_e64 v11, 0x2f800000, |v10|
	s_delay_alu instid0(VALU_DEP_1) | instskip(NEXT) | instid1(VALU_DEP_1)
	v_floor_f32_e32 v11, v11
	v_fma_f32 v12, 0xcf800000, v11, |v10|
	v_ashrrev_i32_e32 v10, 31, v10
	v_cvt_u32_f32_e32 v13, v11
	s_delay_alu instid0(VALU_DEP_3) | instskip(NEXT) | instid1(VALU_DEP_2)
	v_cvt_u32_f32_e32 v12, v12
	v_dual_mov_b32 v11, v10 :: v_dual_bitop2_b32 v13, v13, v10 bitop3:0x14
	s_delay_alu instid0(VALU_DEP_2) | instskip(NEXT) | instid1(VALU_DEP_1)
	v_xor_b32_e32 v12, v12, v10
	v_sub_nc_u64_e32 v[10:11], v[12:13], v[10:11]
	s_branch .LBB30_1175
.LBB30_1166:
	s_mov_b32 s0, 0
	s_mov_b32 s1, s56
	;; [unrolled: 1-line block ×7, first 2 shown]
	s_branch .LBB30_1297
.LBB30_1167:
	s_mov_b32 s1, -1
	s_mov_b32 s31, 0
	s_mov_b32 s72, s63
                                        ; implicit-def: $vgpr10_vgpr11
	s_branch .LBB30_1236
.LBB30_1168:
	s_mov_b32 s38, -1
	s_mov_b32 s31, 0
	s_mov_b32 s72, s63
                                        ; implicit-def: $vgpr10_vgpr11
	s_branch .LBB30_1202
.LBB30_1169:
	s_mov_b32 s38, -1
	s_mov_b32 s31, 0
	s_mov_b32 s72, s63
                                        ; implicit-def: $vgpr10_vgpr11
	s_branch .LBB30_1185
.LBB30_1170:
	s_mov_b32 s38, -1
	s_mov_b32 s31, 0
	s_mov_b32 s72, s63
                                        ; implicit-def: $vgpr10_vgpr11
	s_branch .LBB30_1180
.LBB30_1171:
	s_mov_b32 s38, -1
	s_mov_b32 s31, 0
	s_mov_b32 s72, s63
	s_branch .LBB30_1174
.LBB30_1172:
	s_mov_b32 s41, -1
	s_mov_b32 s31, 0
	s_mov_b32 s40, 0
	s_branch .LBB30_1839
.LBB30_1173:
	s_mov_b32 s72, -1
	s_mov_b32 s31, 0
.LBB30_1174:
                                        ; implicit-def: $vgpr10_vgpr11
.LBB30_1175:
	s_and_b32 vcc_lo, exec_lo, s38
	s_cbranch_vccz .LBB30_1179
; %bb.1176:
	s_cmp_eq_u32 s1, 44
	s_cbranch_scc0 .LBB30_1178
; %bb.1177:
	global_load_u8 v14, v[8:9], off
	s_mov_b32 s72, 0
	s_mov_b32 s31, -1
	s_wait_loadcnt 0x0
	v_cmp_ne_u32_e32 vcc_lo, 0, v14
	v_lshlrev_b32_e32 v10, 23, v14
	s_delay_alu instid0(VALU_DEP_1) | instskip(NEXT) | instid1(VALU_DEP_1)
	v_trunc_f32_e32 v10, v10
	v_mul_f32_e64 v11, 0x2f800000, |v10|
	s_delay_alu instid0(VALU_DEP_1) | instskip(NEXT) | instid1(VALU_DEP_1)
	v_floor_f32_e32 v11, v11
	v_fma_f32 v12, 0xcf800000, v11, |v10|
	v_ashrrev_i32_e32 v10, 31, v10
	v_cvt_u32_f32_e32 v13, v11
	s_delay_alu instid0(VALU_DEP_3) | instskip(NEXT) | instid1(VALU_DEP_2)
	v_cvt_u32_f32_e32 v12, v12
	v_dual_mov_b32 v11, v10 :: v_dual_bitop2_b32 v13, v13, v10 bitop3:0x14
	s_delay_alu instid0(VALU_DEP_2) | instskip(NEXT) | instid1(VALU_DEP_1)
	v_xor_b32_e32 v12, v12, v10
	v_sub_nc_u64_e32 v[10:11], v[12:13], v[10:11]
	s_delay_alu instid0(VALU_DEP_1)
	v_dual_cndmask_b32 v11, 0, v11 :: v_dual_cndmask_b32 v10, 0, v10
	s_branch .LBB30_1179
.LBB30_1178:
	s_mov_b32 s72, -1
                                        ; implicit-def: $vgpr10_vgpr11
.LBB30_1179:
	s_mov_b32 s38, 0
.LBB30_1180:
	s_delay_alu instid0(SALU_CYCLE_1)
	s_and_b32 vcc_lo, exec_lo, s38
	s_cbranch_vccz .LBB30_1184
; %bb.1181:
	s_cmp_eq_u32 s1, 29
	s_cbranch_scc0 .LBB30_1183
; %bb.1182:
	global_load_b64 v[10:11], v[8:9], off
	s_mov_b32 s31, -1
	s_mov_b32 s72, 0
	s_branch .LBB30_1184
.LBB30_1183:
	s_mov_b32 s72, -1
                                        ; implicit-def: $vgpr10_vgpr11
.LBB30_1184:
	s_mov_b32 s38, 0
.LBB30_1185:
	s_delay_alu instid0(SALU_CYCLE_1)
	s_and_b32 vcc_lo, exec_lo, s38
	s_cbranch_vccz .LBB30_1201
; %bb.1186:
	s_cmp_lt_i32 s1, 27
	s_cbranch_scc1 .LBB30_1189
; %bb.1187:
	s_cmp_gt_i32 s1, 27
	s_cbranch_scc0 .LBB30_1190
; %bb.1188:
	s_wait_loadcnt 0x0
	global_load_b32 v10, v[8:9], off
	v_mov_b32_e32 v11, 0
	s_mov_b32 s31, 0
	s_branch .LBB30_1191
.LBB30_1189:
	s_mov_b32 s31, -1
                                        ; implicit-def: $vgpr10_vgpr11
	s_branch .LBB30_1194
.LBB30_1190:
	s_mov_b32 s31, -1
                                        ; implicit-def: $vgpr10_vgpr11
.LBB30_1191:
	s_delay_alu instid0(SALU_CYCLE_1)
	s_and_not1_b32 vcc_lo, exec_lo, s31
	s_cbranch_vccnz .LBB30_1193
; %bb.1192:
	s_wait_loadcnt 0x0
	global_load_u16 v10, v[8:9], off
	s_mov_b32 s31, 0
	s_delay_alu instid0(SALU_CYCLE_1)
	v_mov_b32_e32 v11, s31
	s_wait_loadcnt 0x0
	v_and_b32_e32 v10, 0xffff, v10
.LBB30_1193:
	s_mov_b32 s31, 0
.LBB30_1194:
	s_delay_alu instid0(SALU_CYCLE_1)
	s_and_not1_b32 vcc_lo, exec_lo, s31
	s_cbranch_vccnz .LBB30_1200
; %bb.1195:
	global_load_u8 v12, v[8:9], off
	s_mov_b32 s38, 0
	s_mov_b32 s31, exec_lo
	s_wait_loadcnt 0x0
	v_cmpx_lt_i16_e32 0x7f, v12
	s_xor_b32 s31, exec_lo, s31
	s_cbranch_execz .LBB30_1212
; %bb.1196:
	v_cmp_ne_u16_e32 vcc_lo, 0x80, v12
	s_and_b32 s38, vcc_lo, exec_lo
	s_and_not1_saveexec_b32 s31, s31
	s_cbranch_execnz .LBB30_1213
.LBB30_1197:
	s_or_b32 exec_lo, exec_lo, s31
	v_mov_b64_e32 v[10:11], 0
	s_and_saveexec_b32 s31, s38
	s_cbranch_execz .LBB30_1199
.LBB30_1198:
	v_and_b32_e32 v10, 0xffff, v12
	s_delay_alu instid0(VALU_DEP_1) | instskip(SKIP_1) | instid1(VALU_DEP_2)
	v_and_b32_e32 v11, 7, v10
	v_bfe_u32 v15, v10, 3, 4
	v_clz_i32_u32_e32 v13, v11
	s_delay_alu instid0(VALU_DEP_2) | instskip(NEXT) | instid1(VALU_DEP_2)
	v_cmp_eq_u32_e32 vcc_lo, 0, v15
	v_min_u32_e32 v13, 32, v13
	s_delay_alu instid0(VALU_DEP_1) | instskip(NEXT) | instid1(VALU_DEP_1)
	v_subrev_nc_u32_e32 v14, 28, v13
	v_dual_lshlrev_b32 v10, v14, v10 :: v_dual_sub_nc_u32 v13, 29, v13
	s_delay_alu instid0(VALU_DEP_1) | instskip(NEXT) | instid1(VALU_DEP_2)
	v_dual_lshlrev_b32 v12, 24, v12 :: v_dual_bitop2_b32 v10, 7, v10 bitop3:0x40
	v_cndmask_b32_e32 v13, v15, v13, vcc_lo
	s_delay_alu instid0(VALU_DEP_2) | instskip(NEXT) | instid1(VALU_DEP_3)
	v_cndmask_b32_e32 v10, v11, v10, vcc_lo
	v_and_b32_e32 v11, 0x80000000, v12
	s_delay_alu instid0(VALU_DEP_3) | instskip(NEXT) | instid1(VALU_DEP_3)
	v_lshl_add_u32 v12, v13, 23, 0x3b800000
	v_lshlrev_b32_e32 v10, 20, v10
	s_delay_alu instid0(VALU_DEP_1) | instskip(NEXT) | instid1(VALU_DEP_1)
	v_or3_b32 v10, v11, v12, v10
	v_trunc_f32_e32 v10, v10
	s_delay_alu instid0(VALU_DEP_1) | instskip(NEXT) | instid1(VALU_DEP_1)
	v_mul_f32_e64 v11, 0x2f800000, |v10|
	v_floor_f32_e32 v11, v11
	s_delay_alu instid0(VALU_DEP_1) | instskip(SKIP_2) | instid1(VALU_DEP_3)
	v_fma_f32 v12, 0xcf800000, v11, |v10|
	v_ashrrev_i32_e32 v10, 31, v10
	v_cvt_u32_f32_e32 v13, v11
	v_cvt_u32_f32_e32 v12, v12
	s_delay_alu instid0(VALU_DEP_2) | instskip(NEXT) | instid1(VALU_DEP_2)
	v_dual_mov_b32 v11, v10 :: v_dual_bitop2_b32 v13, v13, v10 bitop3:0x14
	v_xor_b32_e32 v12, v12, v10
	s_delay_alu instid0(VALU_DEP_1)
	v_sub_nc_u64_e32 v[10:11], v[12:13], v[10:11]
.LBB30_1199:
	s_or_b32 exec_lo, exec_lo, s31
.LBB30_1200:
	s_mov_b32 s31, -1
.LBB30_1201:
	s_mov_b32 s38, 0
.LBB30_1202:
	s_delay_alu instid0(SALU_CYCLE_1)
	s_and_b32 vcc_lo, exec_lo, s38
	s_cbranch_vccz .LBB30_1235
; %bb.1203:
	s_cmp_gt_i32 s1, 22
	s_cbranch_scc0 .LBB30_1211
; %bb.1204:
	s_cmp_lt_i32 s1, 24
	s_cbranch_scc1 .LBB30_1214
; %bb.1205:
	s_cmp_gt_i32 s1, 24
	s_cbranch_scc0 .LBB30_1215
; %bb.1206:
	global_load_u8 v12, v[8:9], off
	s_mov_b32 s38, 0
	s_mov_b32 s31, exec_lo
	s_wait_loadcnt 0x0
	v_cmpx_lt_i16_e32 0x7f, v12
	s_xor_b32 s31, exec_lo, s31
	s_cbranch_execz .LBB30_1227
; %bb.1207:
	v_cmp_ne_u16_e32 vcc_lo, 0x80, v12
	s_and_b32 s38, vcc_lo, exec_lo
	s_and_not1_saveexec_b32 s31, s31
	s_cbranch_execnz .LBB30_1228
.LBB30_1208:
	s_or_b32 exec_lo, exec_lo, s31
	v_mov_b64_e32 v[10:11], 0
	s_and_saveexec_b32 s31, s38
	s_cbranch_execz .LBB30_1210
.LBB30_1209:
	v_and_b32_e32 v10, 0xffff, v12
	s_delay_alu instid0(VALU_DEP_1) | instskip(SKIP_1) | instid1(VALU_DEP_2)
	v_and_b32_e32 v11, 3, v10
	v_bfe_u32 v15, v10, 2, 5
	v_clz_i32_u32_e32 v13, v11
	s_delay_alu instid0(VALU_DEP_2) | instskip(NEXT) | instid1(VALU_DEP_2)
	v_cmp_eq_u32_e32 vcc_lo, 0, v15
	v_min_u32_e32 v13, 32, v13
	s_delay_alu instid0(VALU_DEP_1) | instskip(NEXT) | instid1(VALU_DEP_1)
	v_subrev_nc_u32_e32 v14, 29, v13
	v_dual_lshlrev_b32 v10, v14, v10 :: v_dual_sub_nc_u32 v13, 30, v13
	s_delay_alu instid0(VALU_DEP_1) | instskip(NEXT) | instid1(VALU_DEP_2)
	v_dual_lshlrev_b32 v12, 24, v12 :: v_dual_bitop2_b32 v10, 3, v10 bitop3:0x40
	v_cndmask_b32_e32 v13, v15, v13, vcc_lo
	s_delay_alu instid0(VALU_DEP_2) | instskip(NEXT) | instid1(VALU_DEP_3)
	v_cndmask_b32_e32 v10, v11, v10, vcc_lo
	v_and_b32_e32 v11, 0x80000000, v12
	s_delay_alu instid0(VALU_DEP_3) | instskip(NEXT) | instid1(VALU_DEP_3)
	v_lshl_add_u32 v12, v13, 23, 0x37800000
	v_lshlrev_b32_e32 v10, 21, v10
	s_delay_alu instid0(VALU_DEP_1) | instskip(NEXT) | instid1(VALU_DEP_1)
	v_or3_b32 v10, v11, v12, v10
	v_trunc_f32_e32 v10, v10
	s_delay_alu instid0(VALU_DEP_1) | instskip(NEXT) | instid1(VALU_DEP_1)
	v_mul_f32_e64 v11, 0x2f800000, |v10|
	v_floor_f32_e32 v11, v11
	s_delay_alu instid0(VALU_DEP_1) | instskip(SKIP_2) | instid1(VALU_DEP_3)
	v_fma_f32 v12, 0xcf800000, v11, |v10|
	v_ashrrev_i32_e32 v10, 31, v10
	v_cvt_u32_f32_e32 v13, v11
	v_cvt_u32_f32_e32 v12, v12
	s_delay_alu instid0(VALU_DEP_2) | instskip(NEXT) | instid1(VALU_DEP_2)
	v_dual_mov_b32 v11, v10 :: v_dual_bitop2_b32 v13, v13, v10 bitop3:0x14
	v_xor_b32_e32 v12, v12, v10
	s_delay_alu instid0(VALU_DEP_1)
	v_sub_nc_u64_e32 v[10:11], v[12:13], v[10:11]
.LBB30_1210:
	s_or_b32 exec_lo, exec_lo, s31
	s_mov_b32 s31, 0
	s_branch .LBB30_1216
.LBB30_1211:
	s_mov_b32 s38, -1
                                        ; implicit-def: $vgpr10_vgpr11
	s_branch .LBB30_1222
.LBB30_1212:
	s_and_not1_saveexec_b32 s31, s31
	s_cbranch_execz .LBB30_1197
.LBB30_1213:
	v_cmp_ne_u16_e32 vcc_lo, 0, v12
	s_and_not1_b32 s38, s38, exec_lo
	s_and_b32 s39, vcc_lo, exec_lo
	s_delay_alu instid0(SALU_CYCLE_1)
	s_or_b32 s38, s38, s39
	s_or_b32 exec_lo, exec_lo, s31
	v_mov_b64_e32 v[10:11], 0
	s_and_saveexec_b32 s31, s38
	s_cbranch_execnz .LBB30_1198
	s_branch .LBB30_1199
.LBB30_1214:
	s_mov_b32 s31, -1
                                        ; implicit-def: $vgpr10_vgpr11
	s_branch .LBB30_1219
.LBB30_1215:
	s_mov_b32 s31, -1
                                        ; implicit-def: $vgpr10_vgpr11
.LBB30_1216:
	s_delay_alu instid0(SALU_CYCLE_1)
	s_and_b32 vcc_lo, exec_lo, s31
	s_cbranch_vccz .LBB30_1218
; %bb.1217:
	s_wait_loadcnt 0x0
	global_load_u8 v10, v[8:9], off
	s_wait_loadcnt 0x0
	v_lshlrev_b32_e32 v10, 24, v10
	s_delay_alu instid0(VALU_DEP_1) | instskip(NEXT) | instid1(VALU_DEP_1)
	v_and_b32_e32 v11, 0x7f000000, v10
	v_clz_i32_u32_e32 v12, v11
	v_cmp_ne_u32_e32 vcc_lo, 0, v11
	v_add_nc_u32_e32 v14, 0x1000000, v11
	s_delay_alu instid0(VALU_DEP_3) | instskip(NEXT) | instid1(VALU_DEP_1)
	v_min_u32_e32 v12, 32, v12
	v_sub_nc_u32_e64 v12, v12, 4 clamp
	s_delay_alu instid0(VALU_DEP_1) | instskip(NEXT) | instid1(VALU_DEP_1)
	v_dual_lshlrev_b32 v13, v12, v11 :: v_dual_lshlrev_b32 v12, 23, v12
	v_lshrrev_b32_e32 v13, 4, v13
	s_delay_alu instid0(VALU_DEP_1) | instskip(NEXT) | instid1(VALU_DEP_1)
	v_dual_sub_nc_u32 v12, v13, v12 :: v_dual_ashrrev_i32 v13, 8, v14
	v_add_nc_u32_e32 v12, 0x3c000000, v12
	s_delay_alu instid0(VALU_DEP_1) | instskip(NEXT) | instid1(VALU_DEP_1)
	v_and_or_b32 v12, 0x7f800000, v13, v12
	v_cndmask_b32_e32 v11, 0, v12, vcc_lo
	s_delay_alu instid0(VALU_DEP_1) | instskip(NEXT) | instid1(VALU_DEP_1)
	v_and_or_b32 v10, 0x80000000, v10, v11
	v_trunc_f32_e32 v10, v10
	s_delay_alu instid0(VALU_DEP_1) | instskip(NEXT) | instid1(VALU_DEP_1)
	v_mul_f32_e64 v11, 0x2f800000, |v10|
	v_floor_f32_e32 v11, v11
	s_delay_alu instid0(VALU_DEP_1) | instskip(SKIP_2) | instid1(VALU_DEP_3)
	v_fma_f32 v12, 0xcf800000, v11, |v10|
	v_ashrrev_i32_e32 v10, 31, v10
	v_cvt_u32_f32_e32 v13, v11
	v_cvt_u32_f32_e32 v12, v12
	s_delay_alu instid0(VALU_DEP_2) | instskip(NEXT) | instid1(VALU_DEP_2)
	v_dual_mov_b32 v11, v10 :: v_dual_bitop2_b32 v13, v13, v10 bitop3:0x14
	v_xor_b32_e32 v12, v12, v10
	s_delay_alu instid0(VALU_DEP_1)
	v_sub_nc_u64_e32 v[10:11], v[12:13], v[10:11]
.LBB30_1218:
	s_mov_b32 s31, 0
.LBB30_1219:
	s_delay_alu instid0(SALU_CYCLE_1)
	s_and_not1_b32 vcc_lo, exec_lo, s31
	s_cbranch_vccnz .LBB30_1221
; %bb.1220:
	s_wait_loadcnt 0x0
	global_load_u8 v10, v[8:9], off
	s_wait_loadcnt 0x0
	v_lshlrev_b32_e32 v11, 25, v10
	v_lshlrev_b16 v10, 8, v10
	s_delay_alu instid0(VALU_DEP_1) | instskip(SKIP_1) | instid1(VALU_DEP_2)
	v_and_or_b32 v13, 0x7f00, v10, 0.5
	v_bfe_i32 v10, v10, 0, 16
	v_dual_add_f32 v13, -0.5, v13 :: v_dual_lshrrev_b32 v12, 4, v11
	v_cmp_gt_u32_e32 vcc_lo, 0x8000000, v11
	s_delay_alu instid0(VALU_DEP_2) | instskip(NEXT) | instid1(VALU_DEP_1)
	v_or_b32_e32 v12, 0x70000000, v12
	v_mul_f32_e32 v12, 0x7800000, v12
	s_delay_alu instid0(VALU_DEP_1) | instskip(NEXT) | instid1(VALU_DEP_1)
	v_cndmask_b32_e32 v11, v12, v13, vcc_lo
	v_and_or_b32 v10, 0x80000000, v10, v11
	s_delay_alu instid0(VALU_DEP_1) | instskip(NEXT) | instid1(VALU_DEP_1)
	v_trunc_f32_e32 v10, v10
	v_mul_f32_e64 v11, 0x2f800000, |v10|
	s_delay_alu instid0(VALU_DEP_1) | instskip(NEXT) | instid1(VALU_DEP_1)
	v_floor_f32_e32 v11, v11
	v_fma_f32 v12, 0xcf800000, v11, |v10|
	v_ashrrev_i32_e32 v10, 31, v10
	v_cvt_u32_f32_e32 v13, v11
	s_delay_alu instid0(VALU_DEP_3) | instskip(NEXT) | instid1(VALU_DEP_2)
	v_cvt_u32_f32_e32 v12, v12
	v_dual_mov_b32 v11, v10 :: v_dual_bitop2_b32 v13, v13, v10 bitop3:0x14
	s_delay_alu instid0(VALU_DEP_2) | instskip(NEXT) | instid1(VALU_DEP_1)
	v_xor_b32_e32 v12, v12, v10
	v_sub_nc_u64_e32 v[10:11], v[12:13], v[10:11]
.LBB30_1221:
	s_mov_b32 s38, 0
	s_mov_b32 s31, -1
.LBB30_1222:
	s_and_not1_b32 vcc_lo, exec_lo, s38
	s_cbranch_vccnz .LBB30_1235
; %bb.1223:
	s_cmp_gt_i32 s1, 14
	s_cbranch_scc0 .LBB30_1226
; %bb.1224:
	s_cmp_eq_u32 s1, 15
	s_cbranch_scc0 .LBB30_1229
; %bb.1225:
	s_wait_loadcnt 0x0
	global_load_u16 v10, v[8:9], off
	s_mov_b32 s31, -1
	s_mov_b32 s72, 0
	s_wait_loadcnt 0x0
	v_lshlrev_b32_e32 v10, 16, v10
	s_delay_alu instid0(VALU_DEP_1) | instskip(NEXT) | instid1(VALU_DEP_1)
	v_trunc_f32_e32 v10, v10
	v_mul_f32_e64 v11, 0x2f800000, |v10|
	s_delay_alu instid0(VALU_DEP_1) | instskip(NEXT) | instid1(VALU_DEP_1)
	v_floor_f32_e32 v11, v11
	v_fma_f32 v12, 0xcf800000, v11, |v10|
	v_ashrrev_i32_e32 v10, 31, v10
	v_cvt_u32_f32_e32 v13, v11
	s_delay_alu instid0(VALU_DEP_3) | instskip(NEXT) | instid1(VALU_DEP_2)
	v_cvt_u32_f32_e32 v12, v12
	v_dual_mov_b32 v11, v10 :: v_dual_bitop2_b32 v13, v13, v10 bitop3:0x14
	s_delay_alu instid0(VALU_DEP_2) | instskip(NEXT) | instid1(VALU_DEP_1)
	v_xor_b32_e32 v12, v12, v10
	v_sub_nc_u64_e32 v[10:11], v[12:13], v[10:11]
	s_branch .LBB30_1230
.LBB30_1226:
	s_mov_b32 s38, -1
                                        ; implicit-def: $vgpr10_vgpr11
	s_branch .LBB30_1231
.LBB30_1227:
	s_and_not1_saveexec_b32 s31, s31
	s_cbranch_execz .LBB30_1208
.LBB30_1228:
	v_cmp_ne_u16_e32 vcc_lo, 0, v12
	s_and_not1_b32 s38, s38, exec_lo
	s_and_b32 s39, vcc_lo, exec_lo
	s_delay_alu instid0(SALU_CYCLE_1)
	s_or_b32 s38, s38, s39
	s_or_b32 exec_lo, exec_lo, s31
	v_mov_b64_e32 v[10:11], 0
	s_and_saveexec_b32 s31, s38
	s_cbranch_execnz .LBB30_1209
	s_branch .LBB30_1210
.LBB30_1229:
	s_mov_b32 s72, -1
                                        ; implicit-def: $vgpr10_vgpr11
.LBB30_1230:
	s_mov_b32 s38, 0
.LBB30_1231:
	s_delay_alu instid0(SALU_CYCLE_1)
	s_and_b32 vcc_lo, exec_lo, s38
	s_cbranch_vccz .LBB30_1235
; %bb.1232:
	s_cmp_eq_u32 s1, 11
	s_cbranch_scc0 .LBB30_1234
; %bb.1233:
	s_wait_loadcnt 0x0
	global_load_u8 v10, v[8:9], off
	s_mov_b32 s72, 0
	s_mov_b32 s31, -1
	v_mov_b32_e32 v11, s72
	s_wait_loadcnt 0x0
	v_cmp_ne_u16_e32 vcc_lo, 0, v10
	v_cndmask_b32_e64 v10, 0, 1, vcc_lo
	s_branch .LBB30_1235
.LBB30_1234:
	s_mov_b32 s72, -1
                                        ; implicit-def: $vgpr10_vgpr11
.LBB30_1235:
	s_mov_b32 s1, 0
.LBB30_1236:
	s_delay_alu instid0(SALU_CYCLE_1)
	s_and_b32 vcc_lo, exec_lo, s1
	s_cbranch_vccz .LBB30_1285
; %bb.1237:
	s_and_b32 s0, 0xffff, s0
	s_delay_alu instid0(SALU_CYCLE_1)
	s_cmp_lt_i32 s0, 5
	s_cbranch_scc1 .LBB30_1242
; %bb.1238:
	s_cmp_lt_i32 s0, 8
	s_cbranch_scc1 .LBB30_1243
; %bb.1239:
	;; [unrolled: 3-line block ×3, first 2 shown]
	s_cmp_gt_i32 s0, 9
	s_cbranch_scc0 .LBB30_1245
; %bb.1241:
	s_wait_loadcnt 0x0
	global_load_b64 v[10:11], v[8:9], off
	s_mov_b32 s1, 0
	s_wait_loadcnt 0x0
	v_trunc_f64_e32 v[10:11], v[10:11]
	s_delay_alu instid0(VALU_DEP_1) | instskip(NEXT) | instid1(VALU_DEP_1)
	v_ldexp_f64 v[12:13], v[10:11], 0xffffffe0
	v_floor_f64_e32 v[12:13], v[12:13]
	s_delay_alu instid0(VALU_DEP_1) | instskip(SKIP_1) | instid1(VALU_DEP_2)
	v_fmamk_f64 v[14:15], v[12:13], 0xc1f00000, v[10:11]
	v_cvt_i32_f64_e32 v11, v[12:13]
	v_cvt_u32_f64_e32 v10, v[14:15]
	s_branch .LBB30_1246
.LBB30_1242:
	s_mov_b32 s1, -1
                                        ; implicit-def: $vgpr10_vgpr11
	s_branch .LBB30_1264
.LBB30_1243:
	s_mov_b32 s1, -1
                                        ; implicit-def: $vgpr10_vgpr11
	s_branch .LBB30_1252
.LBB30_1244:
	s_mov_b32 s1, -1
                                        ; implicit-def: $vgpr10_vgpr11
	s_branch .LBB30_1249
.LBB30_1245:
	s_mov_b32 s1, -1
                                        ; implicit-def: $vgpr10_vgpr11
.LBB30_1246:
	s_delay_alu instid0(SALU_CYCLE_1)
	s_and_not1_b32 vcc_lo, exec_lo, s1
	s_cbranch_vccnz .LBB30_1248
; %bb.1247:
	s_wait_loadcnt 0x0
	global_load_b32 v10, v[8:9], off
	s_wait_loadcnt 0x0
	v_trunc_f32_e32 v10, v10
	s_delay_alu instid0(VALU_DEP_1) | instskip(NEXT) | instid1(VALU_DEP_1)
	v_mul_f32_e64 v11, 0x2f800000, |v10|
	v_floor_f32_e32 v11, v11
	s_delay_alu instid0(VALU_DEP_1) | instskip(SKIP_2) | instid1(VALU_DEP_3)
	v_fma_f32 v12, 0xcf800000, v11, |v10|
	v_ashrrev_i32_e32 v10, 31, v10
	v_cvt_u32_f32_e32 v13, v11
	v_cvt_u32_f32_e32 v12, v12
	s_delay_alu instid0(VALU_DEP_2) | instskip(NEXT) | instid1(VALU_DEP_2)
	v_dual_mov_b32 v11, v10 :: v_dual_bitop2_b32 v13, v13, v10 bitop3:0x14
	v_xor_b32_e32 v12, v12, v10
	s_delay_alu instid0(VALU_DEP_1)
	v_sub_nc_u64_e32 v[10:11], v[12:13], v[10:11]
.LBB30_1248:
	s_mov_b32 s1, 0
.LBB30_1249:
	s_delay_alu instid0(SALU_CYCLE_1)
	s_and_not1_b32 vcc_lo, exec_lo, s1
	s_cbranch_vccnz .LBB30_1251
; %bb.1250:
	s_wait_loadcnt 0x0
	global_load_b32 v10, v[8:9], off
	s_wait_loadcnt 0x0
	v_cvt_f32_f16_e32 v10, v10
	s_delay_alu instid0(VALU_DEP_1) | instskip(NEXT) | instid1(VALU_DEP_1)
	v_cvt_i32_f32_e32 v10, v10
	v_ashrrev_i32_e32 v11, 31, v10
.LBB30_1251:
	s_mov_b32 s1, 0
.LBB30_1252:
	s_delay_alu instid0(SALU_CYCLE_1)
	s_and_not1_b32 vcc_lo, exec_lo, s1
	s_cbranch_vccnz .LBB30_1263
; %bb.1253:
	s_cmp_lt_i32 s0, 6
	s_cbranch_scc1 .LBB30_1256
; %bb.1254:
	s_cmp_gt_i32 s0, 6
	s_cbranch_scc0 .LBB30_1257
; %bb.1255:
	s_wait_loadcnt 0x0
	global_load_b64 v[10:11], v[8:9], off
	s_mov_b32 s1, 0
	s_wait_loadcnt 0x0
	v_trunc_f64_e32 v[10:11], v[10:11]
	s_delay_alu instid0(VALU_DEP_1) | instskip(NEXT) | instid1(VALU_DEP_1)
	v_ldexp_f64 v[12:13], v[10:11], 0xffffffe0
	v_floor_f64_e32 v[12:13], v[12:13]
	s_delay_alu instid0(VALU_DEP_1) | instskip(SKIP_1) | instid1(VALU_DEP_2)
	v_fmamk_f64 v[14:15], v[12:13], 0xc1f00000, v[10:11]
	v_cvt_i32_f64_e32 v11, v[12:13]
	v_cvt_u32_f64_e32 v10, v[14:15]
	s_branch .LBB30_1258
.LBB30_1256:
	s_mov_b32 s1, -1
                                        ; implicit-def: $vgpr10_vgpr11
	s_branch .LBB30_1261
.LBB30_1257:
	s_mov_b32 s1, -1
                                        ; implicit-def: $vgpr10_vgpr11
.LBB30_1258:
	s_delay_alu instid0(SALU_CYCLE_1)
	s_and_not1_b32 vcc_lo, exec_lo, s1
	s_cbranch_vccnz .LBB30_1260
; %bb.1259:
	s_wait_loadcnt 0x0
	global_load_b32 v10, v[8:9], off
	s_wait_loadcnt 0x0
	v_trunc_f32_e32 v10, v10
	s_delay_alu instid0(VALU_DEP_1) | instskip(NEXT) | instid1(VALU_DEP_1)
	v_mul_f32_e64 v11, 0x2f800000, |v10|
	v_floor_f32_e32 v11, v11
	s_delay_alu instid0(VALU_DEP_1) | instskip(SKIP_2) | instid1(VALU_DEP_3)
	v_fma_f32 v12, 0xcf800000, v11, |v10|
	v_ashrrev_i32_e32 v10, 31, v10
	v_cvt_u32_f32_e32 v13, v11
	v_cvt_u32_f32_e32 v12, v12
	s_delay_alu instid0(VALU_DEP_2) | instskip(NEXT) | instid1(VALU_DEP_2)
	v_dual_mov_b32 v11, v10 :: v_dual_bitop2_b32 v13, v13, v10 bitop3:0x14
	v_xor_b32_e32 v12, v12, v10
	s_delay_alu instid0(VALU_DEP_1)
	v_sub_nc_u64_e32 v[10:11], v[12:13], v[10:11]
.LBB30_1260:
	s_mov_b32 s1, 0
.LBB30_1261:
	s_delay_alu instid0(SALU_CYCLE_1)
	s_and_not1_b32 vcc_lo, exec_lo, s1
	s_cbranch_vccnz .LBB30_1263
; %bb.1262:
	s_wait_loadcnt 0x0
	global_load_u16 v10, v[8:9], off
	s_wait_loadcnt 0x0
	v_cvt_f32_f16_e32 v10, v10
	s_delay_alu instid0(VALU_DEP_1) | instskip(NEXT) | instid1(VALU_DEP_1)
	v_cvt_i32_f32_e32 v10, v10
	v_ashrrev_i32_e32 v11, 31, v10
.LBB30_1263:
	s_mov_b32 s1, 0
.LBB30_1264:
	s_delay_alu instid0(SALU_CYCLE_1)
	s_and_not1_b32 vcc_lo, exec_lo, s1
	s_cbranch_vccnz .LBB30_1284
; %bb.1265:
	s_cmp_lt_i32 s0, 2
	s_cbranch_scc1 .LBB30_1269
; %bb.1266:
	s_cmp_lt_i32 s0, 3
	s_cbranch_scc1 .LBB30_1270
; %bb.1267:
	s_cmp_gt_i32 s0, 3
	s_cbranch_scc0 .LBB30_1271
; %bb.1268:
	s_wait_loadcnt 0x0
	global_load_b64 v[10:11], v[8:9], off
	s_mov_b32 s1, 0
	s_branch .LBB30_1272
.LBB30_1269:
	s_mov_b32 s1, -1
                                        ; implicit-def: $vgpr10_vgpr11
	s_branch .LBB30_1278
.LBB30_1270:
	s_mov_b32 s1, -1
                                        ; implicit-def: $vgpr10_vgpr11
	s_branch .LBB30_1275
.LBB30_1271:
	s_mov_b32 s1, -1
                                        ; implicit-def: $vgpr10_vgpr11
.LBB30_1272:
	s_delay_alu instid0(SALU_CYCLE_1)
	s_and_not1_b32 vcc_lo, exec_lo, s1
	s_cbranch_vccnz .LBB30_1274
; %bb.1273:
	s_wait_loadcnt 0x0
	global_load_b32 v10, v[8:9], off
	s_wait_loadcnt 0x0
	v_ashrrev_i32_e32 v11, 31, v10
.LBB30_1274:
	s_mov_b32 s1, 0
.LBB30_1275:
	s_delay_alu instid0(SALU_CYCLE_1)
	s_and_not1_b32 vcc_lo, exec_lo, s1
	s_cbranch_vccnz .LBB30_1277
; %bb.1276:
	s_wait_loadcnt 0x0
	global_load_u16 v10, v[8:9], off
	s_wait_loadcnt 0x0
	v_bfe_i32 v10, v10, 0, 16
	s_delay_alu instid0(VALU_DEP_1)
	v_ashrrev_i32_e32 v11, 31, v10
.LBB30_1277:
	s_mov_b32 s1, 0
.LBB30_1278:
	s_delay_alu instid0(SALU_CYCLE_1)
	s_and_not1_b32 vcc_lo, exec_lo, s1
	s_cbranch_vccnz .LBB30_1284
; %bb.1279:
	s_cmp_gt_i32 s0, 0
	s_mov_b32 s0, 0
	s_cbranch_scc0 .LBB30_1281
; %bb.1280:
	s_wait_loadcnt 0x0
	global_load_i8 v10, v[8:9], off
	s_wait_loadcnt 0x0
	v_bfe_i32 v10, v10, 0, 16
	s_delay_alu instid0(VALU_DEP_1)
	v_ashrrev_i32_e32 v11, 31, v10
	s_branch .LBB30_1282
.LBB30_1281:
	s_mov_b32 s0, -1
                                        ; implicit-def: $vgpr10_vgpr11
.LBB30_1282:
	s_delay_alu instid0(SALU_CYCLE_1)
	s_and_not1_b32 vcc_lo, exec_lo, s0
	s_cbranch_vccnz .LBB30_1284
; %bb.1283:
	global_load_u8 v8, v[8:9], off
	s_mov_b32 s0, 0
	s_wait_loadcnt 0x1
	v_mov_b32_e32 v11, s0
	s_wait_loadcnt 0x0
	v_and_b32_e32 v10, 0xffff, v8
.LBB30_1284:
	s_mov_b32 s31, -1
.LBB30_1285:
	s_delay_alu instid0(SALU_CYCLE_1)
	s_and_not1_b32 vcc_lo, exec_lo, s31
	s_cbranch_vccnz .LBB30_1296
; %bb.1286:
	s_wait_loadcnt 0x0
	v_cmp_eq_u64_e32 vcc_lo, s[4:5], v[0:1]
	s_mov_b32 s0, 0
	s_mov_b32 s39, -1
	s_mov_b32 s40, s61
	s_mov_b32 s38, s60
	;; [unrolled: 1-line block ×4, first 2 shown]
	s_and_b32 s41, s52, vcc_lo
	s_wait_xcnt 0x0
	s_and_saveexec_b32 s74, s41
	s_cbranch_execz .LBB30_4066
; %bb.1287:
	v_cmp_eq_u64_e32 vcc_lo, s[8:9], v[2:3]
	s_mov_b32 s38, -1
	s_mov_b32 s39, s60
	s_mov_b32 s31, s59
	;; [unrolled: 1-line block ×3, first 2 shown]
	s_and_b32 s1, s51, vcc_lo
	s_delay_alu instid0(SALU_CYCLE_1)
	s_and_saveexec_b32 s75, s1
	s_cbranch_execz .LBB30_3592
; %bb.1288:
	v_sub_nc_u64_e32 v[0:1], v[6:7], v[4:5]
	s_mov_b32 s1, 0
	s_mov_b32 s31, -1
	s_mov_b32 s39, s56
	s_delay_alu instid0(VALU_DEP_1) | instskip(SKIP_4) | instid1(SALU_CYCLE_1)
	v_cmp_le_i64_e32 vcc_lo, s[4:5], v[0:1]
	v_cmp_ge_i64_e64 s0, s[6:7], v[0:1]
	s_and_b32 s38, vcc_lo, s0
	s_mov_b32 s0, s59
	s_and_b32 s38, s50, s38
	s_and_saveexec_b32 s76, s38
	s_cbranch_execz .LBB30_3591
; %bb.1289:
	v_cmp_lt_i64_e64 s0, s[8:9], 1
	v_mov_b64_e32 v[0:1], 0
	s_xor_b32 s1, s37, -1
	s_delay_alu instid0(SALU_CYCLE_1) | instskip(NEXT) | instid1(SALU_CYCLE_1)
	s_or_b32 s0, s0, s1
	s_and_b32 vcc_lo, exec_lo, s0
	s_cbranch_vccnz .LBB30_1312
; %bb.1290:
	v_mul_u64_e32 v[8:9], s[8:9], v[10:11]
	s_mov_b32 s1, 0
	v_mov_b64_e32 v[0:1], 0
	s_mov_b32 s31, s1
	v_mov_b32_e32 v2, 0
	s_lshl_b64 s[40:41], s[30:31], 3
	s_mov_b64 s[38:39], 0xffffffff
	s_add_nc_u64 s[40:41], s[28:29], s[40:41]
	s_mov_b32 s31, s10
	s_add_nc_u64 s[40:41], s[40:41], 0x68
	s_branch .LBB30_1292
.LBB30_1291:                            ;   in Loop: Header=BB30_1292 Depth=1
	s_or_b32 exec_lo, exec_lo, s0
	s_delay_alu instid0(VALU_DEP_1)
	v_mul_u64_e32 v[12:13], s[42:43], v[10:11]
	s_load_b64 s[42:43], s[40:41], 0x40
	s_add_co_i32 s31, s31, -1
	s_wait_xcnt 0x0
	s_add_nc_u64 s[40:41], s[40:41], -8
	s_cmp_lg_u32 s31, 0
	s_delay_alu instid0(VALU_DEP_1) | instskip(SKIP_1) | instid1(VALU_DEP_1)
	v_sub_nc_u64_e32 v[8:9], v[8:9], v[12:13]
	s_wait_kmcnt 0x0
	v_mad_nc_u64_u32 v[0:1], v8, s42, v[0:1]
	s_delay_alu instid0(VALU_DEP_1) | instskip(NEXT) | instid1(VALU_DEP_1)
	v_mad_u32 v1, v9, s42, v1
	v_mad_u32 v1, v8, s43, v1
	v_mov_b64_e32 v[8:9], v[10:11]
	s_cbranch_scc0 .LBB30_1312
.LBB30_1292:                            ; =>This Inner Loop Header: Depth=1
	s_load_b64 s[42:43], s[40:41], 0x0
                                        ; implicit-def: $vgpr10_vgpr11
	s_mov_b32 s0, exec_lo
	s_wait_kmcnt 0x0
	s_delay_alu instid0(VALU_DEP_1) | instskip(NEXT) | instid1(VALU_DEP_1)
	v_or_b32_e32 v3, s43, v9
	v_cmpx_ne_u64_e32 0, v[2:3]
	s_xor_b32 s77, exec_lo, s0
	s_cbranch_execz .LBB30_1294
; %bb.1293:                             ;   in Loop: Header=BB30_1292 Depth=1
	s_ashr_i32 s44, s43, 31
	v_dual_mov_b32 v15, v2 :: v_dual_ashrrev_i32 v10, 31, v9
	s_mov_b32 s45, s44
	v_mov_b32_e32 v23, v2
	s_add_nc_u64 s[46:47], s[42:43], s[44:45]
	s_delay_alu instid0(VALU_DEP_2) | instskip(SKIP_1) | instid1(SALU_CYCLE_1)
	v_mov_b32_e32 v11, v10
	s_xor_b64 s[46:47], s[46:47], s[44:45]
	s_cvt_f32_u32 s0, s46
	s_cvt_f32_u32 s45, s47
	s_sub_nc_u64 s[82:83], 0, s[46:47]
	v_add_nc_u64_e32 v[12:13], v[8:9], v[10:11]
	v_mov_b32_e32 v19, v2
	s_fmamk_f32 s0, s45, 0x4f800000, s0
	s_delay_alu instid0(SALU_CYCLE_3) | instskip(NEXT) | instid1(VALU_DEP_2)
	v_s_rcp_f32 s0, s0
	v_xor_b32_e32 v14, v12, v10
	s_delay_alu instid0(VALU_DEP_3) | instskip(NEXT) | instid1(TRANS32_DEP_1)
	v_xor_b32_e32 v18, v13, v10
	s_mul_f32 s0, s0, 0x5f7ffffc
	s_delay_alu instid0(SALU_CYCLE_3) | instskip(NEXT) | instid1(SALU_CYCLE_3)
	s_mul_f32 s45, s0, 0x2f800000
	s_trunc_f32 s45, s45
	s_delay_alu instid0(SALU_CYCLE_3) | instskip(SKIP_1) | instid1(SALU_CYCLE_2)
	s_fmamk_f32 s0, s45, 0xcf800000, s0
	s_cvt_u32_f32 s81, s45
	s_cvt_u32_f32 s80, s0
	s_delay_alu instid0(SALU_CYCLE_3) | instskip(NEXT) | instid1(SALU_CYCLE_1)
	s_mul_u64 s[84:85], s[82:83], s[80:81]
	s_mul_hi_u32 s87, s80, s85
	s_mul_i32 s86, s80, s85
	s_mul_hi_u32 s0, s80, s84
	s_mul_i32 s78, s81, s84
	s_add_nc_u64 s[86:87], s[0:1], s[86:87]
	s_mul_hi_u32 s45, s81, s84
	s_mul_hi_u32 s88, s81, s85
	s_add_co_u32 s0, s86, s78
	s_add_co_ci_u32 s0, s87, s45
	s_mul_i32 s84, s81, s85
	s_add_co_ci_u32 s85, s88, 0
	s_delay_alu instid0(SALU_CYCLE_1) | instskip(NEXT) | instid1(SALU_CYCLE_1)
	s_add_nc_u64 s[84:85], s[0:1], s[84:85]
	s_add_co_u32 s80, s80, s84
	s_cselect_b32 s0, -1, 0
	s_delay_alu instid0(SALU_CYCLE_1) | instskip(SKIP_1) | instid1(SALU_CYCLE_1)
	s_cmp_lg_u32 s0, 0
	s_add_co_ci_u32 s81, s81, s85
	s_mul_u64 s[82:83], s[82:83], s[80:81]
	s_delay_alu instid0(SALU_CYCLE_1)
	s_mul_hi_u32 s85, s80, s83
	s_mul_i32 s84, s80, s83
	s_mul_hi_u32 s0, s80, s82
	s_mul_i32 s78, s81, s82
	s_add_nc_u64 s[84:85], s[0:1], s[84:85]
	s_mul_hi_u32 s45, s81, s82
	s_mul_hi_u32 s86, s81, s83
	s_add_co_u32 s0, s84, s78
	s_add_co_ci_u32 s0, s85, s45
	s_mul_i32 s82, s81, s83
	s_add_co_ci_u32 s83, s86, 0
	s_delay_alu instid0(SALU_CYCLE_1) | instskip(NEXT) | instid1(SALU_CYCLE_1)
	s_add_nc_u64 s[82:83], s[0:1], s[82:83]
	s_add_co_u32 s78, s80, s82
	s_cselect_b32 s0, -1, 0
	v_mul_hi_u32 v22, v14, s78
	s_cmp_lg_u32 s0, 0
	s_add_co_ci_u32 s0, s81, s83
	s_and_b64 s[80:81], s[78:79], s[38:39]
	v_mul_u64_e32 v[16:17], s[0:1], v[14:15]
	v_mul_u64_e32 v[12:13], s[80:81], v[18:19]
	;; [unrolled: 1-line block ×3, first 2 shown]
	s_delay_alu instid0(VALU_DEP_3) | instskip(NEXT) | instid1(VALU_DEP_1)
	v_add_nc_u64_e32 v[16:17], v[22:23], v[16:17]
	v_add_co_u32 v3, vcc_lo, v16, v12
	s_delay_alu instid0(VALU_DEP_2) | instskip(NEXT) | instid1(VALU_DEP_4)
	v_add_co_ci_u32_e32 v22, vcc_lo, v17, v13, vcc_lo
	v_add_co_ci_u32_e32 v21, vcc_lo, 0, v21, vcc_lo
	s_delay_alu instid0(VALU_DEP_1) | instskip(NEXT) | instid1(VALU_DEP_1)
	v_add_nc_u64_e32 v[12:13], v[22:23], v[20:21]
	v_mul_u64_e32 v[16:17], s[46:47], v[12:13]
	s_delay_alu instid0(VALU_DEP_1) | instskip(NEXT) | instid1(VALU_DEP_2)
	v_sub_nc_u32_e32 v3, v18, v17
	v_sub_co_u32 v11, vcc_lo, v14, v16
	s_delay_alu instid0(VALU_DEP_1) | instskip(NEXT) | instid1(VALU_DEP_3)
	v_sub_co_ci_u32_e64 v18, null, v18, v17, vcc_lo
	v_subrev_co_ci_u32_e64 v3, null, s47, v3, vcc_lo
	s_delay_alu instid0(VALU_DEP_3) | instskip(SKIP_1) | instid1(VALU_DEP_3)
	v_sub_co_u32 v14, s0, v11, s46
	v_add_nc_u64_e32 v[16:17], 1, v[12:13]
	v_subrev_co_ci_u32_e64 v3, null, 0, v3, s0
	s_delay_alu instid0(VALU_DEP_3) | instskip(SKIP_1) | instid1(VALU_DEP_3)
	v_cmp_le_u32_e32 vcc_lo, s46, v14
	v_cndmask_b32_e64 v14, 0, -1, vcc_lo
	v_cmp_le_u32_e32 vcc_lo, s47, v3
	v_cndmask_b32_e64 v15, 0, -1, vcc_lo
	;; [unrolled: 2-line block ×4, first 2 shown]
	v_cmp_eq_u32_e32 vcc_lo, s47, v3
	v_cndmask_b32_e32 v3, v15, v14, vcc_lo
	v_cmp_eq_u32_e32 vcc_lo, s47, v18
	v_add_nc_u64_e32 v[14:15], 2, v[12:13]
	v_cndmask_b32_e32 v11, v19, v11, vcc_lo
	s_delay_alu instid0(VALU_DEP_4) | instskip(NEXT) | instid1(VALU_DEP_2)
	v_cmp_ne_u32_e32 vcc_lo, 0, v3
	v_cmp_ne_u32_e64 s0, 0, v11
	s_delay_alu instid0(VALU_DEP_4) | instskip(NEXT) | instid1(VALU_DEP_1)
	v_dual_cndmask_b32 v3, v17, v15, vcc_lo :: v_dual_cndmask_b32 v11, v16, v14, vcc_lo
	v_dual_cndmask_b32 v3, v13, v3, s0 :: v_dual_bitop2_b32 v10, s44, v10 bitop3:0x14
	s_delay_alu instid0(VALU_DEP_1) | instskip(NEXT) | instid1(VALU_DEP_2)
	v_dual_cndmask_b32 v12, v12, v11, s0 :: v_dual_mov_b32 v11, v10
	v_xor_b32_e32 v13, v3, v10
	s_delay_alu instid0(VALU_DEP_2) | instskip(NEXT) | instid1(VALU_DEP_1)
	v_xor_b32_e32 v12, v12, v10
	v_sub_nc_u64_e32 v[10:11], v[12:13], v[10:11]
.LBB30_1294:                            ;   in Loop: Header=BB30_1292 Depth=1
	s_and_not1_saveexec_b32 s0, s77
	s_cbranch_execz .LBB30_1291
; %bb.1295:                             ;   in Loop: Header=BB30_1292 Depth=1
	v_cvt_f32_u32_e32 v3, s42
	s_sub_co_i32 s44, 0, s42
	s_delay_alu instid0(VALU_DEP_1) | instskip(SKIP_1) | instid1(TRANS32_DEP_1)
	v_rcp_iflag_f32_e32 v3, v3
	v_nop
	v_mul_f32_e32 v3, 0x4f7ffffe, v3
	s_delay_alu instid0(VALU_DEP_1) | instskip(NEXT) | instid1(VALU_DEP_1)
	v_cvt_u32_f32_e32 v3, v3
	v_mul_lo_u32 v10, s44, v3
	s_delay_alu instid0(VALU_DEP_1) | instskip(NEXT) | instid1(VALU_DEP_1)
	v_mul_hi_u32 v10, v3, v10
	v_add_nc_u32_e32 v3, v3, v10
	s_delay_alu instid0(VALU_DEP_1) | instskip(NEXT) | instid1(VALU_DEP_1)
	v_mul_hi_u32 v3, v8, v3
	v_mul_lo_u32 v10, v3, s42
	s_delay_alu instid0(VALU_DEP_1) | instskip(NEXT) | instid1(VALU_DEP_1)
	v_dual_add_nc_u32 v11, 1, v3 :: v_dual_sub_nc_u32 v10, v8, v10
	v_subrev_nc_u32_e32 v12, s42, v10
	v_cmp_le_u32_e32 vcc_lo, s42, v10
	s_delay_alu instid0(VALU_DEP_2) | instskip(NEXT) | instid1(VALU_DEP_1)
	v_dual_cndmask_b32 v10, v10, v12 :: v_dual_cndmask_b32 v3, v3, v11
	v_cmp_le_u32_e32 vcc_lo, s42, v10
	s_delay_alu instid0(VALU_DEP_2) | instskip(NEXT) | instid1(VALU_DEP_1)
	v_add_nc_u32_e32 v11, 1, v3
	v_dual_cndmask_b32 v10, v3, v11 :: v_dual_mov_b32 v11, v2
	s_branch .LBB30_1291
.LBB30_1296:
	s_mov_b32 s0, 0
	s_mov_b32 s1, s56
	;; [unrolled: 1-line block ×6, first 2 shown]
.LBB30_1297:
                                        ; implicit-def: $vgpr26
.LBB30_1298:
	s_and_not1_b32 s41, s56, exec_lo
	s_and_b32 s1, s1, exec_lo
	s_and_not1_b32 s42, s59, exec_lo
	s_and_b32 s31, s31, exec_lo
	s_or_b32 s76, s41, s1
	s_or_b32 s77, s42, s31
	s_and_not1_b32 s1, s60, exec_lo
	s_and_b32 s31, s38, exec_lo
	s_and_not1_b32 s38, s61, exec_lo
	s_and_b32 s40, s40, exec_lo
	s_or_b32 s78, s1, s31
	s_or_b32 s74, s38, s40
	;; [unrolled: 6-line block ×5, first 2 shown]
	s_or_not1_b32 s39, s0, exec_lo
.LBB30_1299:
	s_wait_xcnt 0x0
	s_or_b32 exec_lo, exec_lo, s79
	s_mov_b32 s1, 0
	s_mov_b32 s38, 0
	;; [unrolled: 1-line block ×3, first 2 shown]
                                        ; implicit-def: $sgpr0
                                        ; implicit-def: $vgpr2_vgpr3
                                        ; implicit-def: $vgpr0_vgpr1
	s_and_saveexec_b32 s79, s39
	s_cbranch_execz .LBB30_2139
; %bb.1300:
	s_mov_b32 s82, -1
	s_mov_b32 s1, s69
	s_mov_b32 s39, s71
	;; [unrolled: 1-line block ×10, first 2 shown]
	s_mov_b32 s80, exec_lo
	v_cmpx_gt_i32_e64 s57, v26
	s_cbranch_execz .LBB30_2047
; %bb.1301:
	s_wait_loadcnt 0x0
	v_mul_lo_u32 v0, s24, v26
	s_and_b32 s0, s58, 0xff
	s_delay_alu instid0(SALU_CYCLE_1) | instskip(NEXT) | instid1(VALU_DEP_1)
	s_cmp_lt_i32 s0, 11
	v_ashrrev_i32_e32 v1, 31, v0
	s_delay_alu instid0(VALU_DEP_1)
	v_add_nc_u64_e32 v[2:3], s[12:13], v[0:1]
	s_cbranch_scc1 .LBB30_1308
; %bb.1302:
	s_and_b32 s1, 0xffff, s0
	s_delay_alu instid0(SALU_CYCLE_1)
	s_cmp_gt_i32 s1, 25
	s_cbranch_scc0 .LBB30_1309
; %bb.1303:
	s_cmp_gt_i32 s1, 28
	s_cbranch_scc0 .LBB30_1310
; %bb.1304:
	;; [unrolled: 3-line block ×4, first 2 shown]
	s_cmp_eq_u32 s1, 46
	s_mov_b32 s38, 0
	s_cbranch_scc0 .LBB30_1327
; %bb.1307:
	global_load_b32 v0, v[2:3], off
	s_mov_b32 s31, -1
	s_mov_b32 s81, 0
	s_wait_loadcnt 0x0
	v_lshlrev_b32_e32 v0, 16, v0
	s_delay_alu instid0(VALU_DEP_1) | instskip(NEXT) | instid1(VALU_DEP_1)
	v_trunc_f32_e32 v0, v0
	v_mul_f32_e64 v1, 0x2f800000, |v0|
	s_delay_alu instid0(VALU_DEP_1) | instskip(NEXT) | instid1(VALU_DEP_1)
	v_floor_f32_e32 v1, v1
	v_fma_f32 v4, 0xcf800000, v1, |v0|
	v_ashrrev_i32_e32 v0, 31, v0
	v_cvt_u32_f32_e32 v5, v1
	s_delay_alu instid0(VALU_DEP_3) | instskip(NEXT) | instid1(VALU_DEP_2)
	v_cvt_u32_f32_e32 v4, v4
	v_dual_mov_b32 v1, v0 :: v_dual_bitop2_b32 v5, v5, v0 bitop3:0x14
	s_delay_alu instid0(VALU_DEP_2) | instskip(NEXT) | instid1(VALU_DEP_1)
	v_xor_b32_e32 v4, v4, v0
	v_sub_nc_u64_e32 v[0:1], v[4:5], v[0:1]
	s_branch .LBB30_1329
.LBB30_1308:
	s_mov_b32 s1, -1
	s_mov_b32 s31, 0
	s_mov_b32 s81, s69
                                        ; implicit-def: $vgpr0_vgpr1
	s_branch .LBB30_1390
.LBB30_1309:
	s_mov_b32 s38, -1
	s_mov_b32 s31, 0
	s_mov_b32 s81, s69
                                        ; implicit-def: $vgpr0_vgpr1
	s_branch .LBB30_1356
.LBB30_1310:
	s_mov_b32 s38, -1
	s_mov_b32 s31, 0
	s_mov_b32 s81, s69
                                        ; implicit-def: $vgpr0_vgpr1
	s_branch .LBB30_1339
.LBB30_1311:
	s_mov_b32 s38, -1
	s_mov_b32 s31, 0
	s_mov_b32 s81, s69
                                        ; implicit-def: $vgpr0_vgpr1
	s_branch .LBB30_1334
.LBB30_1312:
	s_mov_b32 s39, -1
	s_mov_b32 s0, s59
	s_mov_b32 s1, exec_lo
	v_cmpx_gt_i64_e64 v[6:7], v[4:5]
	s_cbranch_execz .LBB30_1319
; %bb.1313:
	s_delay_alu instid0(VALU_DEP_2) | instskip(SKIP_2) | instid1(VALU_DEP_1)
	v_lshlrev_b64_e32 v[0:1], 3, v[0:1]
	s_mov_b32 s0, 0
	s_xor_b32 s38, s11, -1
                                        ; implicit-def: $sgpr31
                                        ; implicit-def: $sgpr40
                                        ; implicit-def: $sgpr39
	v_lshl_add_u64 v[2:3], v[4:5], 3, v[0:1]
	v_add_nc_u64_e32 v[4:5], s[20:21], v[0:1]
	s_delay_alu instid0(VALU_DEP_2) | instskip(NEXT) | instid1(VALU_DEP_1)
	v_add_nc_u64_e32 v[2:3], s[20:21], v[2:3]
	v_add_nc_u64_e32 v[0:1], 8, v[2:3]
	s_delay_alu instid0(VALU_DEP_3)
	v_lshl_add_u64 v[2:3], v[6:7], 3, v[4:5]
	s_branch .LBB30_1315
.LBB30_1314:                            ;   in Loop: Header=BB30_1315 Depth=1
	s_or_b32 exec_lo, exec_lo, s41
	s_delay_alu instid0(SALU_CYCLE_1) | instskip(NEXT) | instid1(SALU_CYCLE_1)
	s_and_b32 s41, exec_lo, s40
	s_or_b32 s0, s41, s0
	s_and_not1_b32 s31, s31, exec_lo
	s_and_b32 s41, s39, exec_lo
	s_delay_alu instid0(SALU_CYCLE_1)
	s_or_b32 s31, s31, s41
	s_and_not1_b32 exec_lo, exec_lo, s0
	s_cbranch_execz .LBB30_1318
.LBB30_1315:                            ; =>This Inner Loop Header: Depth=1
	s_or_b32 s39, s39, exec_lo
	s_or_b32 s40, s40, exec_lo
	s_mov_b32 s41, exec_lo
	s_delay_alu instid0(VALU_DEP_2)
	v_cmpx_lt_u64_e64 v[0:1], v[2:3]
	s_cbranch_execz .LBB30_1314
; %bb.1316:                             ;   in Loop: Header=BB30_1315 Depth=1
	global_load_b128 v[4:7], v[0:1], off offset:-8
	s_wait_xcnt 0x0
	v_add_nc_u64_e32 v[0:1], 8, v[0:1]
	s_and_not1_b32 s40, s40, exec_lo
	s_and_not1_b32 s39, s39, exec_lo
	s_wait_loadcnt 0x0
	v_cmp_ge_i64_e32 vcc_lo, v[4:5], v[6:7]
	s_or_b32 s42, s38, vcc_lo
	s_delay_alu instid0(SALU_CYCLE_1) | instskip(NEXT) | instid1(SALU_CYCLE_1)
	s_and_b32 s42, s42, exec_lo
	s_or_b32 s40, s40, s42
	s_branch .LBB30_1314
.LBB30_1317:
	s_mov_b32 s38, -1
	s_mov_b32 s31, 0
	s_mov_b32 s81, s69
	s_branch .LBB30_1328
.LBB30_1318:
	s_or_b32 exec_lo, exec_lo, s0
	s_delay_alu instid0(SALU_CYCLE_1)
	s_or_b32 s0, s59, exec_lo
	s_or_not1_b32 s39, s31, exec_lo
.LBB30_1319:
	s_or_b32 exec_lo, exec_lo, s1
	s_mov_b32 s38, 0
	s_mov_b32 s31, s56
	s_and_saveexec_b32 s1, s39
	s_cbranch_execz .LBB30_3590
; %bb.1320:
	v_mul_lo_u32 v0, s33, v26
	s_and_b32 s38, s22, 0xff
	s_delay_alu instid0(SALU_CYCLE_1) | instskip(NEXT) | instid1(VALU_DEP_1)
	s_cmp_lt_i32 s38, 11
	v_ashrrev_i32_e32 v1, 31, v0
	s_delay_alu instid0(VALU_DEP_1)
	v_add_nc_u64_e32 v[0:1], s[2:3], v[0:1]
	s_cbranch_scc1 .LBB30_1453
; %bb.1321:
	s_and_b32 s39, 0xffff, s38
	s_delay_alu instid0(SALU_CYCLE_1)
	s_cmp_gt_i32 s39, 25
	s_cbranch_scc0 .LBB30_1580
; %bb.1322:
	s_cmp_gt_i32 s39, 28
	s_cbranch_scc0 .LBB30_1707
; %bb.1323:
	;; [unrolled: 3-line block ×4, first 2 shown]
	s_mov_b32 s41, 0
	s_mov_b32 s31, -1
	s_cmp_eq_u32 s39, 46
	s_mov_b32 s40, 0
	s_cbranch_scc0 .LBB30_3508
; %bb.1326:
	v_mov_b32_e32 v2, 0
	s_mov_b32 s40, -1
	s_mov_b32 s31, 0
	global_store_b32 v[0:1], v2, off
	s_branch .LBB30_3508
.LBB30_1327:
	s_mov_b32 s81, -1
	s_mov_b32 s31, 0
.LBB30_1328:
                                        ; implicit-def: $vgpr0_vgpr1
.LBB30_1329:
	s_and_b32 vcc_lo, exec_lo, s38
	s_cbranch_vccz .LBB30_1333
; %bb.1330:
	s_cmp_eq_u32 s1, 44
	s_cbranch_scc0 .LBB30_1332
; %bb.1331:
	global_load_u8 v6, v[2:3], off
	s_mov_b32 s81, 0
	s_mov_b32 s31, -1
	s_wait_loadcnt 0x0
	v_cmp_ne_u32_e32 vcc_lo, 0, v6
	v_lshlrev_b32_e32 v0, 23, v6
	s_delay_alu instid0(VALU_DEP_1) | instskip(NEXT) | instid1(VALU_DEP_1)
	v_trunc_f32_e32 v0, v0
	v_mul_f32_e64 v1, 0x2f800000, |v0|
	s_delay_alu instid0(VALU_DEP_1) | instskip(NEXT) | instid1(VALU_DEP_1)
	v_floor_f32_e32 v1, v1
	v_fma_f32 v4, 0xcf800000, v1, |v0|
	v_ashrrev_i32_e32 v0, 31, v0
	v_cvt_u32_f32_e32 v5, v1
	s_delay_alu instid0(VALU_DEP_3) | instskip(NEXT) | instid1(VALU_DEP_2)
	v_cvt_u32_f32_e32 v4, v4
	v_dual_mov_b32 v1, v0 :: v_dual_bitop2_b32 v5, v5, v0 bitop3:0x14
	s_delay_alu instid0(VALU_DEP_2) | instskip(NEXT) | instid1(VALU_DEP_1)
	v_xor_b32_e32 v4, v4, v0
	v_sub_nc_u64_e32 v[0:1], v[4:5], v[0:1]
	s_delay_alu instid0(VALU_DEP_1)
	v_dual_cndmask_b32 v1, 0, v1 :: v_dual_cndmask_b32 v0, 0, v0
	s_branch .LBB30_1333
.LBB30_1332:
	s_mov_b32 s81, -1
                                        ; implicit-def: $vgpr0_vgpr1
.LBB30_1333:
	s_mov_b32 s38, 0
.LBB30_1334:
	s_delay_alu instid0(SALU_CYCLE_1)
	s_and_b32 vcc_lo, exec_lo, s38
	s_cbranch_vccz .LBB30_1338
; %bb.1335:
	s_cmp_eq_u32 s1, 29
	s_cbranch_scc0 .LBB30_1337
; %bb.1336:
	global_load_b64 v[0:1], v[2:3], off
	s_mov_b32 s31, -1
	s_mov_b32 s81, 0
	s_branch .LBB30_1338
.LBB30_1337:
	s_mov_b32 s81, -1
                                        ; implicit-def: $vgpr0_vgpr1
.LBB30_1338:
	s_mov_b32 s38, 0
.LBB30_1339:
	s_delay_alu instid0(SALU_CYCLE_1)
	s_and_b32 vcc_lo, exec_lo, s38
	s_cbranch_vccz .LBB30_1355
; %bb.1340:
	s_cmp_lt_i32 s1, 27
	s_cbranch_scc1 .LBB30_1343
; %bb.1341:
	s_cmp_gt_i32 s1, 27
	s_cbranch_scc0 .LBB30_1344
; %bb.1342:
	s_wait_loadcnt 0x0
	global_load_b32 v0, v[2:3], off
	v_mov_b32_e32 v1, 0
	s_mov_b32 s31, 0
	s_branch .LBB30_1345
.LBB30_1343:
	s_mov_b32 s31, -1
                                        ; implicit-def: $vgpr0_vgpr1
	s_branch .LBB30_1348
.LBB30_1344:
	s_mov_b32 s31, -1
                                        ; implicit-def: $vgpr0_vgpr1
.LBB30_1345:
	s_delay_alu instid0(SALU_CYCLE_1)
	s_and_not1_b32 vcc_lo, exec_lo, s31
	s_cbranch_vccnz .LBB30_1347
; %bb.1346:
	s_wait_loadcnt 0x0
	global_load_u16 v0, v[2:3], off
	s_mov_b32 s31, 0
	s_delay_alu instid0(SALU_CYCLE_1)
	v_mov_b32_e32 v1, s31
	s_wait_loadcnt 0x0
	v_and_b32_e32 v0, 0xffff, v0
.LBB30_1347:
	s_mov_b32 s31, 0
.LBB30_1348:
	s_delay_alu instid0(SALU_CYCLE_1)
	s_and_not1_b32 vcc_lo, exec_lo, s31
	s_cbranch_vccnz .LBB30_1354
; %bb.1349:
	global_load_u8 v4, v[2:3], off
	s_mov_b32 s38, 0
	s_mov_b32 s31, exec_lo
	s_wait_loadcnt 0x0
	v_cmpx_lt_i16_e32 0x7f, v4
	s_xor_b32 s31, exec_lo, s31
	s_cbranch_execz .LBB30_1366
; %bb.1350:
	v_cmp_ne_u16_e32 vcc_lo, 0x80, v4
	s_and_b32 s38, vcc_lo, exec_lo
	s_and_not1_saveexec_b32 s31, s31
	s_cbranch_execnz .LBB30_1367
.LBB30_1351:
	s_or_b32 exec_lo, exec_lo, s31
	v_mov_b64_e32 v[0:1], 0
	s_and_saveexec_b32 s31, s38
	s_cbranch_execz .LBB30_1353
.LBB30_1352:
	v_and_b32_e32 v0, 0xffff, v4
	s_delay_alu instid0(VALU_DEP_1) | instskip(SKIP_1) | instid1(VALU_DEP_2)
	v_and_b32_e32 v1, 7, v0
	v_bfe_u32 v7, v0, 3, 4
	v_clz_i32_u32_e32 v5, v1
	s_delay_alu instid0(VALU_DEP_2) | instskip(NEXT) | instid1(VALU_DEP_2)
	v_cmp_eq_u32_e32 vcc_lo, 0, v7
	v_min_u32_e32 v5, 32, v5
	s_delay_alu instid0(VALU_DEP_1) | instskip(NEXT) | instid1(VALU_DEP_1)
	v_subrev_nc_u32_e32 v6, 28, v5
	v_dual_lshlrev_b32 v0, v6, v0 :: v_dual_sub_nc_u32 v5, 29, v5
	s_delay_alu instid0(VALU_DEP_1) | instskip(NEXT) | instid1(VALU_DEP_2)
	v_and_b32_e32 v0, 7, v0
	v_dual_cndmask_b32 v5, v7, v5 :: v_dual_lshlrev_b32 v4, 24, v4
	s_delay_alu instid0(VALU_DEP_2) | instskip(NEXT) | instid1(VALU_DEP_2)
	v_cndmask_b32_e32 v0, v1, v0, vcc_lo
	v_and_b32_e32 v1, 0x80000000, v4
	s_delay_alu instid0(VALU_DEP_3) | instskip(NEXT) | instid1(VALU_DEP_3)
	v_lshl_add_u32 v4, v5, 23, 0x3b800000
	v_lshlrev_b32_e32 v0, 20, v0
	s_delay_alu instid0(VALU_DEP_1) | instskip(NEXT) | instid1(VALU_DEP_1)
	v_or3_b32 v0, v1, v4, v0
	v_trunc_f32_e32 v0, v0
	s_delay_alu instid0(VALU_DEP_1) | instskip(NEXT) | instid1(VALU_DEP_1)
	v_mul_f32_e64 v1, 0x2f800000, |v0|
	v_floor_f32_e32 v1, v1
	s_delay_alu instid0(VALU_DEP_1) | instskip(SKIP_2) | instid1(VALU_DEP_3)
	v_fma_f32 v4, 0xcf800000, v1, |v0|
	v_ashrrev_i32_e32 v0, 31, v0
	v_cvt_u32_f32_e32 v5, v1
	v_cvt_u32_f32_e32 v4, v4
	s_delay_alu instid0(VALU_DEP_2) | instskip(NEXT) | instid1(VALU_DEP_2)
	v_dual_mov_b32 v1, v0 :: v_dual_bitop2_b32 v5, v5, v0 bitop3:0x14
	v_xor_b32_e32 v4, v4, v0
	s_delay_alu instid0(VALU_DEP_1)
	v_sub_nc_u64_e32 v[0:1], v[4:5], v[0:1]
.LBB30_1353:
	s_or_b32 exec_lo, exec_lo, s31
.LBB30_1354:
	s_mov_b32 s31, -1
.LBB30_1355:
	s_mov_b32 s38, 0
.LBB30_1356:
	s_delay_alu instid0(SALU_CYCLE_1)
	s_and_b32 vcc_lo, exec_lo, s38
	s_cbranch_vccz .LBB30_1389
; %bb.1357:
	s_cmp_gt_i32 s1, 22
	s_cbranch_scc0 .LBB30_1365
; %bb.1358:
	s_cmp_lt_i32 s1, 24
	s_cbranch_scc1 .LBB30_1368
; %bb.1359:
	s_cmp_gt_i32 s1, 24
	s_cbranch_scc0 .LBB30_1369
; %bb.1360:
	global_load_u8 v4, v[2:3], off
	s_mov_b32 s38, 0
	s_mov_b32 s31, exec_lo
	s_wait_loadcnt 0x0
	v_cmpx_lt_i16_e32 0x7f, v4
	s_xor_b32 s31, exec_lo, s31
	s_cbranch_execz .LBB30_1381
; %bb.1361:
	v_cmp_ne_u16_e32 vcc_lo, 0x80, v4
	s_and_b32 s38, vcc_lo, exec_lo
	s_and_not1_saveexec_b32 s31, s31
	s_cbranch_execnz .LBB30_1382
.LBB30_1362:
	s_or_b32 exec_lo, exec_lo, s31
	v_mov_b64_e32 v[0:1], 0
	s_and_saveexec_b32 s31, s38
	s_cbranch_execz .LBB30_1364
.LBB30_1363:
	v_and_b32_e32 v0, 0xffff, v4
	s_delay_alu instid0(VALU_DEP_1) | instskip(SKIP_1) | instid1(VALU_DEP_2)
	v_and_b32_e32 v1, 3, v0
	v_bfe_u32 v7, v0, 2, 5
	v_clz_i32_u32_e32 v5, v1
	s_delay_alu instid0(VALU_DEP_2) | instskip(NEXT) | instid1(VALU_DEP_2)
	v_cmp_eq_u32_e32 vcc_lo, 0, v7
	v_min_u32_e32 v5, 32, v5
	s_delay_alu instid0(VALU_DEP_1) | instskip(NEXT) | instid1(VALU_DEP_1)
	v_subrev_nc_u32_e32 v6, 29, v5
	v_dual_lshlrev_b32 v0, v6, v0 :: v_dual_sub_nc_u32 v5, 30, v5
	s_delay_alu instid0(VALU_DEP_1) | instskip(NEXT) | instid1(VALU_DEP_2)
	v_and_b32_e32 v0, 3, v0
	v_dual_cndmask_b32 v5, v7, v5 :: v_dual_lshlrev_b32 v4, 24, v4
	s_delay_alu instid0(VALU_DEP_2) | instskip(NEXT) | instid1(VALU_DEP_2)
	v_cndmask_b32_e32 v0, v1, v0, vcc_lo
	v_and_b32_e32 v1, 0x80000000, v4
	s_delay_alu instid0(VALU_DEP_3) | instskip(NEXT) | instid1(VALU_DEP_3)
	v_lshl_add_u32 v4, v5, 23, 0x37800000
	v_lshlrev_b32_e32 v0, 21, v0
	s_delay_alu instid0(VALU_DEP_1) | instskip(NEXT) | instid1(VALU_DEP_1)
	v_or3_b32 v0, v1, v4, v0
	v_trunc_f32_e32 v0, v0
	s_delay_alu instid0(VALU_DEP_1) | instskip(NEXT) | instid1(VALU_DEP_1)
	v_mul_f32_e64 v1, 0x2f800000, |v0|
	v_floor_f32_e32 v1, v1
	s_delay_alu instid0(VALU_DEP_1) | instskip(SKIP_2) | instid1(VALU_DEP_3)
	v_fma_f32 v4, 0xcf800000, v1, |v0|
	v_ashrrev_i32_e32 v0, 31, v0
	v_cvt_u32_f32_e32 v5, v1
	v_cvt_u32_f32_e32 v4, v4
	s_delay_alu instid0(VALU_DEP_2) | instskip(NEXT) | instid1(VALU_DEP_2)
	v_dual_mov_b32 v1, v0 :: v_dual_bitop2_b32 v5, v5, v0 bitop3:0x14
	v_xor_b32_e32 v4, v4, v0
	s_delay_alu instid0(VALU_DEP_1)
	v_sub_nc_u64_e32 v[0:1], v[4:5], v[0:1]
.LBB30_1364:
	s_or_b32 exec_lo, exec_lo, s31
	s_mov_b32 s31, 0
	s_branch .LBB30_1370
.LBB30_1365:
	s_mov_b32 s38, -1
                                        ; implicit-def: $vgpr0_vgpr1
	s_branch .LBB30_1376
.LBB30_1366:
	s_and_not1_saveexec_b32 s31, s31
	s_cbranch_execz .LBB30_1351
.LBB30_1367:
	v_cmp_ne_u16_e32 vcc_lo, 0, v4
	s_and_not1_b32 s38, s38, exec_lo
	s_and_b32 s39, vcc_lo, exec_lo
	s_delay_alu instid0(SALU_CYCLE_1)
	s_or_b32 s38, s38, s39
	s_or_b32 exec_lo, exec_lo, s31
	v_mov_b64_e32 v[0:1], 0
	s_and_saveexec_b32 s31, s38
	s_cbranch_execnz .LBB30_1352
	s_branch .LBB30_1353
.LBB30_1368:
	s_mov_b32 s31, -1
                                        ; implicit-def: $vgpr0_vgpr1
	s_branch .LBB30_1373
.LBB30_1369:
	s_mov_b32 s31, -1
                                        ; implicit-def: $vgpr0_vgpr1
.LBB30_1370:
	s_delay_alu instid0(SALU_CYCLE_1)
	s_and_b32 vcc_lo, exec_lo, s31
	s_cbranch_vccz .LBB30_1372
; %bb.1371:
	s_wait_loadcnt 0x0
	global_load_u8 v0, v[2:3], off
	s_wait_loadcnt 0x0
	v_lshlrev_b32_e32 v0, 24, v0
	s_delay_alu instid0(VALU_DEP_1) | instskip(NEXT) | instid1(VALU_DEP_1)
	v_and_b32_e32 v1, 0x7f000000, v0
	v_clz_i32_u32_e32 v4, v1
	v_cmp_ne_u32_e32 vcc_lo, 0, v1
	v_add_nc_u32_e32 v6, 0x1000000, v1
	s_delay_alu instid0(VALU_DEP_3) | instskip(NEXT) | instid1(VALU_DEP_1)
	v_min_u32_e32 v4, 32, v4
	v_sub_nc_u32_e64 v4, v4, 4 clamp
	s_delay_alu instid0(VALU_DEP_1) | instskip(NEXT) | instid1(VALU_DEP_1)
	v_dual_lshlrev_b32 v5, v4, v1 :: v_dual_lshlrev_b32 v4, 23, v4
	v_lshrrev_b32_e32 v5, 4, v5
	s_delay_alu instid0(VALU_DEP_1) | instskip(NEXT) | instid1(VALU_DEP_1)
	v_dual_sub_nc_u32 v4, v5, v4 :: v_dual_ashrrev_i32 v5, 8, v6
	v_add_nc_u32_e32 v4, 0x3c000000, v4
	s_delay_alu instid0(VALU_DEP_1) | instskip(NEXT) | instid1(VALU_DEP_1)
	v_and_or_b32 v4, 0x7f800000, v5, v4
	v_cndmask_b32_e32 v1, 0, v4, vcc_lo
	s_delay_alu instid0(VALU_DEP_1) | instskip(NEXT) | instid1(VALU_DEP_1)
	v_and_or_b32 v0, 0x80000000, v0, v1
	v_trunc_f32_e32 v0, v0
	s_delay_alu instid0(VALU_DEP_1) | instskip(NEXT) | instid1(VALU_DEP_1)
	v_mul_f32_e64 v1, 0x2f800000, |v0|
	v_floor_f32_e32 v1, v1
	s_delay_alu instid0(VALU_DEP_1) | instskip(SKIP_2) | instid1(VALU_DEP_3)
	v_fma_f32 v4, 0xcf800000, v1, |v0|
	v_ashrrev_i32_e32 v0, 31, v0
	v_cvt_u32_f32_e32 v5, v1
	v_cvt_u32_f32_e32 v4, v4
	s_delay_alu instid0(VALU_DEP_2) | instskip(NEXT) | instid1(VALU_DEP_2)
	v_dual_mov_b32 v1, v0 :: v_dual_bitop2_b32 v5, v5, v0 bitop3:0x14
	v_xor_b32_e32 v4, v4, v0
	s_delay_alu instid0(VALU_DEP_1)
	v_sub_nc_u64_e32 v[0:1], v[4:5], v[0:1]
.LBB30_1372:
	s_mov_b32 s31, 0
.LBB30_1373:
	s_delay_alu instid0(SALU_CYCLE_1)
	s_and_not1_b32 vcc_lo, exec_lo, s31
	s_cbranch_vccnz .LBB30_1375
; %bb.1374:
	s_wait_loadcnt 0x0
	global_load_u8 v0, v[2:3], off
	s_wait_loadcnt 0x0
	v_lshlrev_b32_e32 v1, 25, v0
	v_lshlrev_b16 v0, 8, v0
	s_delay_alu instid0(VALU_DEP_1) | instskip(SKIP_1) | instid1(VALU_DEP_2)
	v_and_or_b32 v5, 0x7f00, v0, 0.5
	v_bfe_i32 v0, v0, 0, 16
	v_add_f32_e32 v5, -0.5, v5
	v_lshrrev_b32_e32 v4, 4, v1
	v_cmp_gt_u32_e32 vcc_lo, 0x8000000, v1
	s_delay_alu instid0(VALU_DEP_2) | instskip(NEXT) | instid1(VALU_DEP_1)
	v_or_b32_e32 v4, 0x70000000, v4
	v_mul_f32_e32 v4, 0x7800000, v4
	s_delay_alu instid0(VALU_DEP_1) | instskip(NEXT) | instid1(VALU_DEP_1)
	v_cndmask_b32_e32 v1, v4, v5, vcc_lo
	v_and_or_b32 v0, 0x80000000, v0, v1
	s_delay_alu instid0(VALU_DEP_1) | instskip(NEXT) | instid1(VALU_DEP_1)
	v_trunc_f32_e32 v0, v0
	v_mul_f32_e64 v1, 0x2f800000, |v0|
	s_delay_alu instid0(VALU_DEP_1) | instskip(NEXT) | instid1(VALU_DEP_1)
	v_floor_f32_e32 v1, v1
	v_fma_f32 v4, 0xcf800000, v1, |v0|
	v_ashrrev_i32_e32 v0, 31, v0
	v_cvt_u32_f32_e32 v5, v1
	s_delay_alu instid0(VALU_DEP_3) | instskip(NEXT) | instid1(VALU_DEP_2)
	v_cvt_u32_f32_e32 v4, v4
	v_dual_mov_b32 v1, v0 :: v_dual_bitop2_b32 v5, v5, v0 bitop3:0x14
	s_delay_alu instid0(VALU_DEP_2) | instskip(NEXT) | instid1(VALU_DEP_1)
	v_xor_b32_e32 v4, v4, v0
	v_sub_nc_u64_e32 v[0:1], v[4:5], v[0:1]
.LBB30_1375:
	s_mov_b32 s38, 0
	s_mov_b32 s31, -1
.LBB30_1376:
	s_and_not1_b32 vcc_lo, exec_lo, s38
	s_cbranch_vccnz .LBB30_1389
; %bb.1377:
	s_cmp_gt_i32 s1, 14
	s_cbranch_scc0 .LBB30_1380
; %bb.1378:
	s_cmp_eq_u32 s1, 15
	s_cbranch_scc0 .LBB30_1383
; %bb.1379:
	s_wait_loadcnt 0x0
	global_load_u16 v0, v[2:3], off
	s_mov_b32 s31, -1
	s_mov_b32 s81, 0
	s_wait_loadcnt 0x0
	v_lshlrev_b32_e32 v0, 16, v0
	s_delay_alu instid0(VALU_DEP_1) | instskip(NEXT) | instid1(VALU_DEP_1)
	v_trunc_f32_e32 v0, v0
	v_mul_f32_e64 v1, 0x2f800000, |v0|
	s_delay_alu instid0(VALU_DEP_1) | instskip(NEXT) | instid1(VALU_DEP_1)
	v_floor_f32_e32 v1, v1
	v_fma_f32 v4, 0xcf800000, v1, |v0|
	v_ashrrev_i32_e32 v0, 31, v0
	v_cvt_u32_f32_e32 v5, v1
	s_delay_alu instid0(VALU_DEP_3) | instskip(NEXT) | instid1(VALU_DEP_2)
	v_cvt_u32_f32_e32 v4, v4
	v_dual_mov_b32 v1, v0 :: v_dual_bitop2_b32 v5, v5, v0 bitop3:0x14
	s_delay_alu instid0(VALU_DEP_2) | instskip(NEXT) | instid1(VALU_DEP_1)
	v_xor_b32_e32 v4, v4, v0
	v_sub_nc_u64_e32 v[0:1], v[4:5], v[0:1]
	s_branch .LBB30_1384
.LBB30_1380:
	s_mov_b32 s38, -1
                                        ; implicit-def: $vgpr0_vgpr1
	s_branch .LBB30_1385
.LBB30_1381:
	s_and_not1_saveexec_b32 s31, s31
	s_cbranch_execz .LBB30_1362
.LBB30_1382:
	v_cmp_ne_u16_e32 vcc_lo, 0, v4
	s_and_not1_b32 s38, s38, exec_lo
	s_and_b32 s39, vcc_lo, exec_lo
	s_delay_alu instid0(SALU_CYCLE_1)
	s_or_b32 s38, s38, s39
	s_or_b32 exec_lo, exec_lo, s31
	v_mov_b64_e32 v[0:1], 0
	s_and_saveexec_b32 s31, s38
	s_cbranch_execnz .LBB30_1363
	s_branch .LBB30_1364
.LBB30_1383:
	s_mov_b32 s81, -1
                                        ; implicit-def: $vgpr0_vgpr1
.LBB30_1384:
	s_mov_b32 s38, 0
.LBB30_1385:
	s_delay_alu instid0(SALU_CYCLE_1)
	s_and_b32 vcc_lo, exec_lo, s38
	s_cbranch_vccz .LBB30_1389
; %bb.1386:
	s_cmp_eq_u32 s1, 11
	s_cbranch_scc0 .LBB30_1388
; %bb.1387:
	s_wait_loadcnt 0x0
	global_load_u8 v0, v[2:3], off
	s_mov_b32 s81, 0
	s_mov_b32 s31, -1
	v_mov_b32_e32 v1, s81
	s_wait_loadcnt 0x0
	v_cmp_ne_u16_e32 vcc_lo, 0, v0
	v_cndmask_b32_e64 v0, 0, 1, vcc_lo
	s_branch .LBB30_1389
.LBB30_1388:
	s_mov_b32 s81, -1
                                        ; implicit-def: $vgpr0_vgpr1
.LBB30_1389:
	s_mov_b32 s1, 0
.LBB30_1390:
	s_delay_alu instid0(SALU_CYCLE_1)
	s_and_b32 vcc_lo, exec_lo, s1
	s_cbranch_vccz .LBB30_1439
; %bb.1391:
	s_and_b32 s0, 0xffff, s0
	s_delay_alu instid0(SALU_CYCLE_1)
	s_cmp_lt_i32 s0, 5
	s_cbranch_scc1 .LBB30_1396
; %bb.1392:
	s_cmp_lt_i32 s0, 8
	s_cbranch_scc1 .LBB30_1397
; %bb.1393:
	;; [unrolled: 3-line block ×3, first 2 shown]
	s_cmp_gt_i32 s0, 9
	s_cbranch_scc0 .LBB30_1399
; %bb.1395:
	s_wait_loadcnt 0x0
	global_load_b64 v[0:1], v[2:3], off
	s_mov_b32 s1, 0
	s_wait_loadcnt 0x0
	v_trunc_f64_e32 v[0:1], v[0:1]
	s_delay_alu instid0(VALU_DEP_1) | instskip(NEXT) | instid1(VALU_DEP_1)
	v_ldexp_f64 v[4:5], v[0:1], 0xffffffe0
	v_floor_f64_e32 v[4:5], v[4:5]
	s_delay_alu instid0(VALU_DEP_1) | instskip(SKIP_1) | instid1(VALU_DEP_2)
	v_fmamk_f64 v[6:7], v[4:5], 0xc1f00000, v[0:1]
	v_cvt_i32_f64_e32 v1, v[4:5]
	v_cvt_u32_f64_e32 v0, v[6:7]
	s_branch .LBB30_1400
.LBB30_1396:
	s_mov_b32 s1, -1
                                        ; implicit-def: $vgpr0_vgpr1
	s_branch .LBB30_1418
.LBB30_1397:
	s_mov_b32 s1, -1
                                        ; implicit-def: $vgpr0_vgpr1
	s_branch .LBB30_1406
.LBB30_1398:
	s_mov_b32 s1, -1
                                        ; implicit-def: $vgpr0_vgpr1
	s_branch .LBB30_1403
.LBB30_1399:
	s_mov_b32 s1, -1
                                        ; implicit-def: $vgpr0_vgpr1
.LBB30_1400:
	s_delay_alu instid0(SALU_CYCLE_1)
	s_and_not1_b32 vcc_lo, exec_lo, s1
	s_cbranch_vccnz .LBB30_1402
; %bb.1401:
	s_wait_loadcnt 0x0
	global_load_b32 v0, v[2:3], off
	s_wait_loadcnt 0x0
	v_trunc_f32_e32 v0, v0
	s_delay_alu instid0(VALU_DEP_1) | instskip(NEXT) | instid1(VALU_DEP_1)
	v_mul_f32_e64 v1, 0x2f800000, |v0|
	v_floor_f32_e32 v1, v1
	s_delay_alu instid0(VALU_DEP_1) | instskip(SKIP_2) | instid1(VALU_DEP_3)
	v_fma_f32 v4, 0xcf800000, v1, |v0|
	v_ashrrev_i32_e32 v0, 31, v0
	v_cvt_u32_f32_e32 v5, v1
	v_cvt_u32_f32_e32 v4, v4
	s_delay_alu instid0(VALU_DEP_2) | instskip(NEXT) | instid1(VALU_DEP_2)
	v_dual_mov_b32 v1, v0 :: v_dual_bitop2_b32 v5, v5, v0 bitop3:0x14
	v_xor_b32_e32 v4, v4, v0
	s_delay_alu instid0(VALU_DEP_1)
	v_sub_nc_u64_e32 v[0:1], v[4:5], v[0:1]
.LBB30_1402:
	s_mov_b32 s1, 0
.LBB30_1403:
	s_delay_alu instid0(SALU_CYCLE_1)
	s_and_not1_b32 vcc_lo, exec_lo, s1
	s_cbranch_vccnz .LBB30_1405
; %bb.1404:
	s_wait_loadcnt 0x0
	global_load_b32 v0, v[2:3], off
	s_wait_loadcnt 0x0
	v_cvt_f32_f16_e32 v0, v0
	s_delay_alu instid0(VALU_DEP_1) | instskip(NEXT) | instid1(VALU_DEP_1)
	v_cvt_i32_f32_e32 v0, v0
	v_ashrrev_i32_e32 v1, 31, v0
.LBB30_1405:
	s_mov_b32 s1, 0
.LBB30_1406:
	s_delay_alu instid0(SALU_CYCLE_1)
	s_and_not1_b32 vcc_lo, exec_lo, s1
	s_cbranch_vccnz .LBB30_1417
; %bb.1407:
	s_cmp_lt_i32 s0, 6
	s_cbranch_scc1 .LBB30_1410
; %bb.1408:
	s_cmp_gt_i32 s0, 6
	s_cbranch_scc0 .LBB30_1411
; %bb.1409:
	s_wait_loadcnt 0x0
	global_load_b64 v[0:1], v[2:3], off
	s_mov_b32 s1, 0
	s_wait_loadcnt 0x0
	v_trunc_f64_e32 v[0:1], v[0:1]
	s_delay_alu instid0(VALU_DEP_1) | instskip(NEXT) | instid1(VALU_DEP_1)
	v_ldexp_f64 v[4:5], v[0:1], 0xffffffe0
	v_floor_f64_e32 v[4:5], v[4:5]
	s_delay_alu instid0(VALU_DEP_1) | instskip(SKIP_1) | instid1(VALU_DEP_2)
	v_fmamk_f64 v[6:7], v[4:5], 0xc1f00000, v[0:1]
	v_cvt_i32_f64_e32 v1, v[4:5]
	v_cvt_u32_f64_e32 v0, v[6:7]
	s_branch .LBB30_1412
.LBB30_1410:
	s_mov_b32 s1, -1
                                        ; implicit-def: $vgpr0_vgpr1
	s_branch .LBB30_1415
.LBB30_1411:
	s_mov_b32 s1, -1
                                        ; implicit-def: $vgpr0_vgpr1
.LBB30_1412:
	s_delay_alu instid0(SALU_CYCLE_1)
	s_and_not1_b32 vcc_lo, exec_lo, s1
	s_cbranch_vccnz .LBB30_1414
; %bb.1413:
	s_wait_loadcnt 0x0
	global_load_b32 v0, v[2:3], off
	s_wait_loadcnt 0x0
	v_trunc_f32_e32 v0, v0
	s_delay_alu instid0(VALU_DEP_1) | instskip(NEXT) | instid1(VALU_DEP_1)
	v_mul_f32_e64 v1, 0x2f800000, |v0|
	v_floor_f32_e32 v1, v1
	s_delay_alu instid0(VALU_DEP_1) | instskip(SKIP_2) | instid1(VALU_DEP_3)
	v_fma_f32 v4, 0xcf800000, v1, |v0|
	v_ashrrev_i32_e32 v0, 31, v0
	v_cvt_u32_f32_e32 v5, v1
	v_cvt_u32_f32_e32 v4, v4
	s_delay_alu instid0(VALU_DEP_2) | instskip(NEXT) | instid1(VALU_DEP_2)
	v_dual_mov_b32 v1, v0 :: v_dual_bitop2_b32 v5, v5, v0 bitop3:0x14
	v_xor_b32_e32 v4, v4, v0
	s_delay_alu instid0(VALU_DEP_1)
	v_sub_nc_u64_e32 v[0:1], v[4:5], v[0:1]
.LBB30_1414:
	s_mov_b32 s1, 0
.LBB30_1415:
	s_delay_alu instid0(SALU_CYCLE_1)
	s_and_not1_b32 vcc_lo, exec_lo, s1
	s_cbranch_vccnz .LBB30_1417
; %bb.1416:
	s_wait_loadcnt 0x0
	global_load_u16 v0, v[2:3], off
	s_wait_loadcnt 0x0
	v_cvt_f32_f16_e32 v0, v0
	s_delay_alu instid0(VALU_DEP_1) | instskip(NEXT) | instid1(VALU_DEP_1)
	v_cvt_i32_f32_e32 v0, v0
	v_ashrrev_i32_e32 v1, 31, v0
.LBB30_1417:
	s_mov_b32 s1, 0
.LBB30_1418:
	s_delay_alu instid0(SALU_CYCLE_1)
	s_and_not1_b32 vcc_lo, exec_lo, s1
	s_cbranch_vccnz .LBB30_1438
; %bb.1419:
	s_cmp_lt_i32 s0, 2
	s_cbranch_scc1 .LBB30_1423
; %bb.1420:
	s_cmp_lt_i32 s0, 3
	s_cbranch_scc1 .LBB30_1424
; %bb.1421:
	s_cmp_gt_i32 s0, 3
	s_cbranch_scc0 .LBB30_1425
; %bb.1422:
	s_wait_loadcnt 0x0
	global_load_b64 v[0:1], v[2:3], off
	s_mov_b32 s1, 0
	s_branch .LBB30_1426
.LBB30_1423:
	s_mov_b32 s1, -1
                                        ; implicit-def: $vgpr0_vgpr1
	s_branch .LBB30_1432
.LBB30_1424:
	s_mov_b32 s1, -1
                                        ; implicit-def: $vgpr0_vgpr1
	s_branch .LBB30_1429
.LBB30_1425:
	s_mov_b32 s1, -1
                                        ; implicit-def: $vgpr0_vgpr1
.LBB30_1426:
	s_delay_alu instid0(SALU_CYCLE_1)
	s_and_not1_b32 vcc_lo, exec_lo, s1
	s_cbranch_vccnz .LBB30_1428
; %bb.1427:
	s_wait_loadcnt 0x0
	global_load_b32 v0, v[2:3], off
	s_wait_loadcnt 0x0
	v_ashrrev_i32_e32 v1, 31, v0
.LBB30_1428:
	s_mov_b32 s1, 0
.LBB30_1429:
	s_delay_alu instid0(SALU_CYCLE_1)
	s_and_not1_b32 vcc_lo, exec_lo, s1
	s_cbranch_vccnz .LBB30_1431
; %bb.1430:
	s_wait_loadcnt 0x0
	global_load_u16 v0, v[2:3], off
	s_wait_loadcnt 0x0
	v_bfe_i32 v0, v0, 0, 16
	s_delay_alu instid0(VALU_DEP_1)
	v_ashrrev_i32_e32 v1, 31, v0
.LBB30_1431:
	s_mov_b32 s1, 0
.LBB30_1432:
	s_delay_alu instid0(SALU_CYCLE_1)
	s_and_not1_b32 vcc_lo, exec_lo, s1
	s_cbranch_vccnz .LBB30_1438
; %bb.1433:
	s_cmp_gt_i32 s0, 0
	s_mov_b32 s0, 0
	s_cbranch_scc0 .LBB30_1435
; %bb.1434:
	s_wait_loadcnt 0x0
	global_load_i8 v0, v[2:3], off
	s_wait_loadcnt 0x0
	v_bfe_i32 v0, v0, 0, 16
	s_delay_alu instid0(VALU_DEP_1)
	v_ashrrev_i32_e32 v1, 31, v0
	s_branch .LBB30_1436
.LBB30_1435:
	s_mov_b32 s0, -1
                                        ; implicit-def: $vgpr0_vgpr1
.LBB30_1436:
	s_delay_alu instid0(SALU_CYCLE_1)
	s_and_not1_b32 vcc_lo, exec_lo, s0
	s_cbranch_vccnz .LBB30_1438
; %bb.1437:
	s_wait_loadcnt 0x0
	global_load_u8 v0, v[2:3], off
	s_mov_b32 s0, 0
	s_delay_alu instid0(SALU_CYCLE_1)
	v_mov_b32_e32 v1, s0
	s_wait_loadcnt 0x0
	v_and_b32_e32 v0, 0xffff, v0
.LBB30_1438:
	s_mov_b32 s31, -1
.LBB30_1439:
	s_delay_alu instid0(SALU_CYCLE_1)
	s_and_not1_b32 vcc_lo, exec_lo, s31
	s_cbranch_vccnz .LBB30_1447
; %bb.1440:
	s_wait_xcnt 0x0
	v_mul_lo_u32 v2, s25, v26
	s_and_b32 s0, s55, 0xff
	s_delay_alu instid0(SALU_CYCLE_1) | instskip(NEXT) | instid1(VALU_DEP_1)
	s_cmp_lt_i32 s0, 11
	v_ashrrev_i32_e32 v3, 31, v2
	s_delay_alu instid0(VALU_DEP_1)
	v_add_nc_u64_e32 v[4:5], s[14:15], v[2:3]
	s_cbranch_scc1 .LBB30_1448
; %bb.1441:
	s_and_b32 s1, 0xffff, s0
	s_delay_alu instid0(SALU_CYCLE_1)
	s_cmp_gt_i32 s1, 25
	s_cbranch_scc0 .LBB30_1449
; %bb.1442:
	s_cmp_gt_i32 s1, 28
	s_cbranch_scc0 .LBB30_1450
; %bb.1443:
	;; [unrolled: 3-line block ×4, first 2 shown]
	s_cmp_eq_u32 s1, 46
	s_mov_b32 s38, 0
	s_cbranch_scc0 .LBB30_1454
; %bb.1446:
	global_load_b32 v2, v[4:5], off
	s_mov_b32 s31, -1
	s_mov_b32 s82, 0
	s_wait_loadcnt 0x0
	v_lshlrev_b32_e32 v2, 16, v2
	s_delay_alu instid0(VALU_DEP_1) | instskip(NEXT) | instid1(VALU_DEP_1)
	v_trunc_f32_e32 v2, v2
	v_mul_f32_e64 v3, 0x2f800000, |v2|
	s_delay_alu instid0(VALU_DEP_1) | instskip(NEXT) | instid1(VALU_DEP_1)
	v_floor_f32_e32 v3, v3
	v_fma_f32 v6, 0xcf800000, v3, |v2|
	v_ashrrev_i32_e32 v2, 31, v2
	v_cvt_u32_f32_e32 v7, v3
	s_delay_alu instid0(VALU_DEP_3) | instskip(NEXT) | instid1(VALU_DEP_2)
	v_cvt_u32_f32_e32 v6, v6
	v_dual_mov_b32 v3, v2 :: v_dual_bitop2_b32 v7, v7, v2 bitop3:0x14
	s_delay_alu instid0(VALU_DEP_2) | instskip(NEXT) | instid1(VALU_DEP_1)
	v_xor_b32_e32 v6, v6, v2
	v_sub_nc_u64_e32 v[2:3], v[6:7], v[2:3]
	s_branch .LBB30_1456
.LBB30_1447:
	s_mov_b32 s0, 0
	s_mov_b32 s1, s76
	;; [unrolled: 1-line block ×10, first 2 shown]
	s_branch .LBB30_2045
.LBB30_1448:
	s_mov_b32 s1, -1
	s_mov_b32 s31, 0
	s_mov_b32 s82, s71
                                        ; implicit-def: $vgpr2_vgpr3
	s_branch .LBB30_1517
.LBB30_1449:
	s_mov_b32 s38, -1
	s_mov_b32 s31, 0
	s_mov_b32 s82, s71
                                        ; implicit-def: $vgpr2_vgpr3
	s_branch .LBB30_1483
.LBB30_1450:
	s_mov_b32 s38, -1
	s_mov_b32 s31, 0
	s_mov_b32 s82, s71
                                        ; implicit-def: $vgpr2_vgpr3
	s_branch .LBB30_1466
.LBB30_1451:
	s_mov_b32 s38, -1
	s_mov_b32 s31, 0
	s_mov_b32 s82, s71
                                        ; implicit-def: $vgpr2_vgpr3
	s_branch .LBB30_1461
.LBB30_1452:
	s_mov_b32 s38, -1
	s_mov_b32 s31, 0
	s_mov_b32 s82, s71
	s_branch .LBB30_1455
.LBB30_1453:
	s_mov_b32 s39, -1
	s_mov_b32 s40, 0
	s_mov_b32 s31, s56
	s_branch .LBB30_3547
.LBB30_1454:
	s_mov_b32 s31, 0
.LBB30_1455:
                                        ; implicit-def: $vgpr2_vgpr3
.LBB30_1456:
	s_and_b32 vcc_lo, exec_lo, s38
	s_cbranch_vccz .LBB30_1460
; %bb.1457:
	s_cmp_eq_u32 s1, 44
	s_cbranch_scc0 .LBB30_1459
; %bb.1458:
	global_load_u8 v8, v[4:5], off
	s_mov_b32 s82, 0
	s_mov_b32 s31, -1
	s_wait_loadcnt 0x0
	v_cmp_ne_u32_e32 vcc_lo, 0, v8
	v_lshlrev_b32_e32 v2, 23, v8
	s_delay_alu instid0(VALU_DEP_1) | instskip(NEXT) | instid1(VALU_DEP_1)
	v_trunc_f32_e32 v2, v2
	v_mul_f32_e64 v3, 0x2f800000, |v2|
	s_delay_alu instid0(VALU_DEP_1) | instskip(NEXT) | instid1(VALU_DEP_1)
	v_floor_f32_e32 v3, v3
	v_fma_f32 v6, 0xcf800000, v3, |v2|
	v_ashrrev_i32_e32 v2, 31, v2
	v_cvt_u32_f32_e32 v7, v3
	s_delay_alu instid0(VALU_DEP_3) | instskip(NEXT) | instid1(VALU_DEP_2)
	v_cvt_u32_f32_e32 v6, v6
	v_dual_mov_b32 v3, v2 :: v_dual_bitop2_b32 v7, v7, v2 bitop3:0x14
	s_delay_alu instid0(VALU_DEP_2) | instskip(NEXT) | instid1(VALU_DEP_1)
	v_xor_b32_e32 v6, v6, v2
	v_sub_nc_u64_e32 v[2:3], v[6:7], v[2:3]
	s_delay_alu instid0(VALU_DEP_1)
	v_dual_cndmask_b32 v3, 0, v3 :: v_dual_cndmask_b32 v2, 0, v2
	s_branch .LBB30_1460
.LBB30_1459:
	s_mov_b32 s82, -1
                                        ; implicit-def: $vgpr2_vgpr3
.LBB30_1460:
	s_mov_b32 s38, 0
.LBB30_1461:
	s_delay_alu instid0(SALU_CYCLE_1)
	s_and_b32 vcc_lo, exec_lo, s38
	s_cbranch_vccz .LBB30_1465
; %bb.1462:
	s_cmp_eq_u32 s1, 29
	s_cbranch_scc0 .LBB30_1464
; %bb.1463:
	global_load_b64 v[2:3], v[4:5], off
	s_mov_b32 s31, -1
	s_mov_b32 s82, 0
	s_branch .LBB30_1465
.LBB30_1464:
	s_mov_b32 s82, -1
                                        ; implicit-def: $vgpr2_vgpr3
.LBB30_1465:
	s_mov_b32 s38, 0
.LBB30_1466:
	s_delay_alu instid0(SALU_CYCLE_1)
	s_and_b32 vcc_lo, exec_lo, s38
	s_cbranch_vccz .LBB30_1482
; %bb.1467:
	s_cmp_lt_i32 s1, 27
	s_cbranch_scc1 .LBB30_1470
; %bb.1468:
	s_cmp_gt_i32 s1, 27
	s_cbranch_scc0 .LBB30_1471
; %bb.1469:
	s_wait_loadcnt 0x0
	global_load_b32 v2, v[4:5], off
	v_mov_b32_e32 v3, 0
	s_mov_b32 s31, 0
	s_branch .LBB30_1472
.LBB30_1470:
	s_mov_b32 s31, -1
                                        ; implicit-def: $vgpr2_vgpr3
	s_branch .LBB30_1475
.LBB30_1471:
	s_mov_b32 s31, -1
                                        ; implicit-def: $vgpr2_vgpr3
.LBB30_1472:
	s_delay_alu instid0(SALU_CYCLE_1)
	s_and_not1_b32 vcc_lo, exec_lo, s31
	s_cbranch_vccnz .LBB30_1474
; %bb.1473:
	s_wait_loadcnt 0x0
	global_load_u16 v2, v[4:5], off
	s_mov_b32 s31, 0
	s_delay_alu instid0(SALU_CYCLE_1)
	v_mov_b32_e32 v3, s31
	s_wait_loadcnt 0x0
	v_and_b32_e32 v2, 0xffff, v2
.LBB30_1474:
	s_mov_b32 s31, 0
.LBB30_1475:
	s_delay_alu instid0(SALU_CYCLE_1)
	s_and_not1_b32 vcc_lo, exec_lo, s31
	s_cbranch_vccnz .LBB30_1481
; %bb.1476:
	global_load_u8 v6, v[4:5], off
	s_mov_b32 s38, 0
	s_mov_b32 s31, exec_lo
	s_wait_loadcnt 0x0
	v_cmpx_lt_i16_e32 0x7f, v6
	s_xor_b32 s31, exec_lo, s31
	s_cbranch_execz .LBB30_1493
; %bb.1477:
	v_cmp_ne_u16_e32 vcc_lo, 0x80, v6
	s_and_b32 s38, vcc_lo, exec_lo
	s_and_not1_saveexec_b32 s31, s31
	s_cbranch_execnz .LBB30_1494
.LBB30_1478:
	s_or_b32 exec_lo, exec_lo, s31
	v_mov_b64_e32 v[2:3], 0
	s_and_saveexec_b32 s31, s38
	s_cbranch_execz .LBB30_1480
.LBB30_1479:
	v_and_b32_e32 v2, 0xffff, v6
	s_delay_alu instid0(VALU_DEP_1) | instskip(SKIP_1) | instid1(VALU_DEP_2)
	v_and_b32_e32 v3, 7, v2
	v_bfe_u32 v9, v2, 3, 4
	v_clz_i32_u32_e32 v7, v3
	s_delay_alu instid0(VALU_DEP_2) | instskip(NEXT) | instid1(VALU_DEP_2)
	v_cmp_eq_u32_e32 vcc_lo, 0, v9
	v_min_u32_e32 v7, 32, v7
	s_delay_alu instid0(VALU_DEP_1) | instskip(NEXT) | instid1(VALU_DEP_1)
	v_subrev_nc_u32_e32 v8, 28, v7
	v_dual_lshlrev_b32 v2, v8, v2 :: v_dual_sub_nc_u32 v7, 29, v7
	s_delay_alu instid0(VALU_DEP_1) | instskip(NEXT) | instid1(VALU_DEP_2)
	v_and_b32_e32 v2, 7, v2
	v_dual_cndmask_b32 v7, v9, v7 :: v_dual_lshlrev_b32 v6, 24, v6
	s_delay_alu instid0(VALU_DEP_2) | instskip(NEXT) | instid1(VALU_DEP_2)
	v_cndmask_b32_e32 v2, v3, v2, vcc_lo
	v_and_b32_e32 v3, 0x80000000, v6
	s_delay_alu instid0(VALU_DEP_3) | instskip(NEXT) | instid1(VALU_DEP_3)
	v_lshl_add_u32 v6, v7, 23, 0x3b800000
	v_lshlrev_b32_e32 v2, 20, v2
	s_delay_alu instid0(VALU_DEP_1) | instskip(NEXT) | instid1(VALU_DEP_1)
	v_or3_b32 v2, v3, v6, v2
	v_trunc_f32_e32 v2, v2
	s_delay_alu instid0(VALU_DEP_1) | instskip(NEXT) | instid1(VALU_DEP_1)
	v_mul_f32_e64 v3, 0x2f800000, |v2|
	v_floor_f32_e32 v3, v3
	s_delay_alu instid0(VALU_DEP_1) | instskip(SKIP_2) | instid1(VALU_DEP_3)
	v_fma_f32 v6, 0xcf800000, v3, |v2|
	v_ashrrev_i32_e32 v2, 31, v2
	v_cvt_u32_f32_e32 v7, v3
	v_cvt_u32_f32_e32 v6, v6
	s_delay_alu instid0(VALU_DEP_2) | instskip(NEXT) | instid1(VALU_DEP_2)
	v_dual_mov_b32 v3, v2 :: v_dual_bitop2_b32 v7, v7, v2 bitop3:0x14
	v_xor_b32_e32 v6, v6, v2
	s_delay_alu instid0(VALU_DEP_1)
	v_sub_nc_u64_e32 v[2:3], v[6:7], v[2:3]
.LBB30_1480:
	s_or_b32 exec_lo, exec_lo, s31
.LBB30_1481:
	s_mov_b32 s31, -1
.LBB30_1482:
	s_mov_b32 s38, 0
.LBB30_1483:
	s_delay_alu instid0(SALU_CYCLE_1)
	s_and_b32 vcc_lo, exec_lo, s38
	s_cbranch_vccz .LBB30_1516
; %bb.1484:
	s_cmp_gt_i32 s1, 22
	s_cbranch_scc0 .LBB30_1492
; %bb.1485:
	s_cmp_lt_i32 s1, 24
	s_cbranch_scc1 .LBB30_1495
; %bb.1486:
	s_cmp_gt_i32 s1, 24
	s_cbranch_scc0 .LBB30_1496
; %bb.1487:
	global_load_u8 v6, v[4:5], off
	s_mov_b32 s38, 0
	s_mov_b32 s31, exec_lo
	s_wait_loadcnt 0x0
	v_cmpx_lt_i16_e32 0x7f, v6
	s_xor_b32 s31, exec_lo, s31
	s_cbranch_execz .LBB30_1508
; %bb.1488:
	v_cmp_ne_u16_e32 vcc_lo, 0x80, v6
	s_and_b32 s38, vcc_lo, exec_lo
	s_and_not1_saveexec_b32 s31, s31
	s_cbranch_execnz .LBB30_1509
.LBB30_1489:
	s_or_b32 exec_lo, exec_lo, s31
	v_mov_b64_e32 v[2:3], 0
	s_and_saveexec_b32 s31, s38
	s_cbranch_execz .LBB30_1491
.LBB30_1490:
	v_and_b32_e32 v2, 0xffff, v6
	s_delay_alu instid0(VALU_DEP_1) | instskip(SKIP_1) | instid1(VALU_DEP_2)
	v_and_b32_e32 v3, 3, v2
	v_bfe_u32 v9, v2, 2, 5
	v_clz_i32_u32_e32 v7, v3
	s_delay_alu instid0(VALU_DEP_2) | instskip(NEXT) | instid1(VALU_DEP_2)
	v_cmp_eq_u32_e32 vcc_lo, 0, v9
	v_min_u32_e32 v7, 32, v7
	s_delay_alu instid0(VALU_DEP_1) | instskip(NEXT) | instid1(VALU_DEP_1)
	v_subrev_nc_u32_e32 v8, 29, v7
	v_dual_lshlrev_b32 v2, v8, v2 :: v_dual_sub_nc_u32 v7, 30, v7
	s_delay_alu instid0(VALU_DEP_1) | instskip(NEXT) | instid1(VALU_DEP_2)
	v_and_b32_e32 v2, 3, v2
	v_dual_cndmask_b32 v7, v9, v7 :: v_dual_lshlrev_b32 v6, 24, v6
	s_delay_alu instid0(VALU_DEP_2) | instskip(NEXT) | instid1(VALU_DEP_2)
	v_cndmask_b32_e32 v2, v3, v2, vcc_lo
	v_and_b32_e32 v3, 0x80000000, v6
	s_delay_alu instid0(VALU_DEP_3) | instskip(NEXT) | instid1(VALU_DEP_3)
	v_lshl_add_u32 v6, v7, 23, 0x37800000
	v_lshlrev_b32_e32 v2, 21, v2
	s_delay_alu instid0(VALU_DEP_1) | instskip(NEXT) | instid1(VALU_DEP_1)
	v_or3_b32 v2, v3, v6, v2
	v_trunc_f32_e32 v2, v2
	s_delay_alu instid0(VALU_DEP_1) | instskip(NEXT) | instid1(VALU_DEP_1)
	v_mul_f32_e64 v3, 0x2f800000, |v2|
	v_floor_f32_e32 v3, v3
	s_delay_alu instid0(VALU_DEP_1) | instskip(SKIP_2) | instid1(VALU_DEP_3)
	v_fma_f32 v6, 0xcf800000, v3, |v2|
	v_ashrrev_i32_e32 v2, 31, v2
	v_cvt_u32_f32_e32 v7, v3
	v_cvt_u32_f32_e32 v6, v6
	s_delay_alu instid0(VALU_DEP_2) | instskip(NEXT) | instid1(VALU_DEP_2)
	v_dual_mov_b32 v3, v2 :: v_dual_bitop2_b32 v7, v7, v2 bitop3:0x14
	v_xor_b32_e32 v6, v6, v2
	s_delay_alu instid0(VALU_DEP_1)
	v_sub_nc_u64_e32 v[2:3], v[6:7], v[2:3]
.LBB30_1491:
	s_or_b32 exec_lo, exec_lo, s31
	s_mov_b32 s31, 0
	s_branch .LBB30_1497
.LBB30_1492:
	s_mov_b32 s38, -1
                                        ; implicit-def: $vgpr2_vgpr3
	s_branch .LBB30_1503
.LBB30_1493:
	s_and_not1_saveexec_b32 s31, s31
	s_cbranch_execz .LBB30_1478
.LBB30_1494:
	v_cmp_ne_u16_e32 vcc_lo, 0, v6
	s_and_not1_b32 s38, s38, exec_lo
	s_and_b32 s39, vcc_lo, exec_lo
	s_delay_alu instid0(SALU_CYCLE_1)
	s_or_b32 s38, s38, s39
	s_or_b32 exec_lo, exec_lo, s31
	v_mov_b64_e32 v[2:3], 0
	s_and_saveexec_b32 s31, s38
	s_cbranch_execnz .LBB30_1479
	s_branch .LBB30_1480
.LBB30_1495:
	s_mov_b32 s31, -1
                                        ; implicit-def: $vgpr2_vgpr3
	s_branch .LBB30_1500
.LBB30_1496:
	s_mov_b32 s31, -1
                                        ; implicit-def: $vgpr2_vgpr3
.LBB30_1497:
	s_delay_alu instid0(SALU_CYCLE_1)
	s_and_b32 vcc_lo, exec_lo, s31
	s_cbranch_vccz .LBB30_1499
; %bb.1498:
	s_wait_loadcnt 0x0
	global_load_u8 v2, v[4:5], off
	s_wait_loadcnt 0x0
	v_lshlrev_b32_e32 v2, 24, v2
	s_delay_alu instid0(VALU_DEP_1) | instskip(NEXT) | instid1(VALU_DEP_1)
	v_and_b32_e32 v3, 0x7f000000, v2
	v_clz_i32_u32_e32 v6, v3
	v_cmp_ne_u32_e32 vcc_lo, 0, v3
	v_add_nc_u32_e32 v8, 0x1000000, v3
	s_delay_alu instid0(VALU_DEP_3) | instskip(NEXT) | instid1(VALU_DEP_1)
	v_min_u32_e32 v6, 32, v6
	v_sub_nc_u32_e64 v6, v6, 4 clamp
	s_delay_alu instid0(VALU_DEP_1) | instskip(NEXT) | instid1(VALU_DEP_1)
	v_dual_lshlrev_b32 v7, v6, v3 :: v_dual_lshlrev_b32 v6, 23, v6
	v_lshrrev_b32_e32 v7, 4, v7
	s_delay_alu instid0(VALU_DEP_1) | instskip(NEXT) | instid1(VALU_DEP_1)
	v_dual_sub_nc_u32 v6, v7, v6 :: v_dual_ashrrev_i32 v7, 8, v8
	v_add_nc_u32_e32 v6, 0x3c000000, v6
	s_delay_alu instid0(VALU_DEP_1) | instskip(NEXT) | instid1(VALU_DEP_1)
	v_and_or_b32 v6, 0x7f800000, v7, v6
	v_cndmask_b32_e32 v3, 0, v6, vcc_lo
	s_delay_alu instid0(VALU_DEP_1) | instskip(NEXT) | instid1(VALU_DEP_1)
	v_and_or_b32 v2, 0x80000000, v2, v3
	v_trunc_f32_e32 v2, v2
	s_delay_alu instid0(VALU_DEP_1) | instskip(NEXT) | instid1(VALU_DEP_1)
	v_mul_f32_e64 v3, 0x2f800000, |v2|
	v_floor_f32_e32 v3, v3
	s_delay_alu instid0(VALU_DEP_1) | instskip(SKIP_2) | instid1(VALU_DEP_3)
	v_fma_f32 v6, 0xcf800000, v3, |v2|
	v_ashrrev_i32_e32 v2, 31, v2
	v_cvt_u32_f32_e32 v7, v3
	v_cvt_u32_f32_e32 v6, v6
	s_delay_alu instid0(VALU_DEP_2) | instskip(NEXT) | instid1(VALU_DEP_2)
	v_dual_mov_b32 v3, v2 :: v_dual_bitop2_b32 v7, v7, v2 bitop3:0x14
	v_xor_b32_e32 v6, v6, v2
	s_delay_alu instid0(VALU_DEP_1)
	v_sub_nc_u64_e32 v[2:3], v[6:7], v[2:3]
.LBB30_1499:
	s_mov_b32 s31, 0
.LBB30_1500:
	s_delay_alu instid0(SALU_CYCLE_1)
	s_and_not1_b32 vcc_lo, exec_lo, s31
	s_cbranch_vccnz .LBB30_1502
; %bb.1501:
	s_wait_loadcnt 0x0
	global_load_u8 v2, v[4:5], off
	s_wait_loadcnt 0x0
	v_lshlrev_b32_e32 v3, 25, v2
	v_lshlrev_b16 v2, 8, v2
	s_delay_alu instid0(VALU_DEP_1) | instskip(SKIP_1) | instid1(VALU_DEP_2)
	v_and_or_b32 v7, 0x7f00, v2, 0.5
	v_bfe_i32 v2, v2, 0, 16
	v_add_f32_e32 v7, -0.5, v7
	v_lshrrev_b32_e32 v6, 4, v3
	v_cmp_gt_u32_e32 vcc_lo, 0x8000000, v3
	s_delay_alu instid0(VALU_DEP_2) | instskip(NEXT) | instid1(VALU_DEP_1)
	v_or_b32_e32 v6, 0x70000000, v6
	v_mul_f32_e32 v6, 0x7800000, v6
	s_delay_alu instid0(VALU_DEP_1) | instskip(NEXT) | instid1(VALU_DEP_1)
	v_cndmask_b32_e32 v3, v6, v7, vcc_lo
	v_and_or_b32 v2, 0x80000000, v2, v3
	s_delay_alu instid0(VALU_DEP_1) | instskip(NEXT) | instid1(VALU_DEP_1)
	v_trunc_f32_e32 v2, v2
	v_mul_f32_e64 v3, 0x2f800000, |v2|
	s_delay_alu instid0(VALU_DEP_1) | instskip(NEXT) | instid1(VALU_DEP_1)
	v_floor_f32_e32 v3, v3
	v_fma_f32 v6, 0xcf800000, v3, |v2|
	v_ashrrev_i32_e32 v2, 31, v2
	v_cvt_u32_f32_e32 v7, v3
	s_delay_alu instid0(VALU_DEP_3) | instskip(NEXT) | instid1(VALU_DEP_2)
	v_cvt_u32_f32_e32 v6, v6
	v_dual_mov_b32 v3, v2 :: v_dual_bitop2_b32 v7, v7, v2 bitop3:0x14
	s_delay_alu instid0(VALU_DEP_2) | instskip(NEXT) | instid1(VALU_DEP_1)
	v_xor_b32_e32 v6, v6, v2
	v_sub_nc_u64_e32 v[2:3], v[6:7], v[2:3]
.LBB30_1502:
	s_mov_b32 s38, 0
	s_mov_b32 s31, -1
.LBB30_1503:
	s_and_not1_b32 vcc_lo, exec_lo, s38
	s_cbranch_vccnz .LBB30_1516
; %bb.1504:
	s_cmp_gt_i32 s1, 14
	s_cbranch_scc0 .LBB30_1507
; %bb.1505:
	s_cmp_eq_u32 s1, 15
	s_cbranch_scc0 .LBB30_1510
; %bb.1506:
	s_wait_loadcnt 0x0
	global_load_u16 v2, v[4:5], off
	s_mov_b32 s31, -1
	s_mov_b32 s82, 0
	s_wait_loadcnt 0x0
	v_lshlrev_b32_e32 v2, 16, v2
	s_delay_alu instid0(VALU_DEP_1) | instskip(NEXT) | instid1(VALU_DEP_1)
	v_trunc_f32_e32 v2, v2
	v_mul_f32_e64 v3, 0x2f800000, |v2|
	s_delay_alu instid0(VALU_DEP_1) | instskip(NEXT) | instid1(VALU_DEP_1)
	v_floor_f32_e32 v3, v3
	v_fma_f32 v6, 0xcf800000, v3, |v2|
	v_ashrrev_i32_e32 v2, 31, v2
	v_cvt_u32_f32_e32 v7, v3
	s_delay_alu instid0(VALU_DEP_3) | instskip(NEXT) | instid1(VALU_DEP_2)
	v_cvt_u32_f32_e32 v6, v6
	v_dual_mov_b32 v3, v2 :: v_dual_bitop2_b32 v7, v7, v2 bitop3:0x14
	s_delay_alu instid0(VALU_DEP_2) | instskip(NEXT) | instid1(VALU_DEP_1)
	v_xor_b32_e32 v6, v6, v2
	v_sub_nc_u64_e32 v[2:3], v[6:7], v[2:3]
	s_branch .LBB30_1511
.LBB30_1507:
	s_mov_b32 s38, -1
                                        ; implicit-def: $vgpr2_vgpr3
	s_branch .LBB30_1512
.LBB30_1508:
	s_and_not1_saveexec_b32 s31, s31
	s_cbranch_execz .LBB30_1489
.LBB30_1509:
	v_cmp_ne_u16_e32 vcc_lo, 0, v6
	s_and_not1_b32 s38, s38, exec_lo
	s_and_b32 s39, vcc_lo, exec_lo
	s_delay_alu instid0(SALU_CYCLE_1)
	s_or_b32 s38, s38, s39
	s_or_b32 exec_lo, exec_lo, s31
	v_mov_b64_e32 v[2:3], 0
	s_and_saveexec_b32 s31, s38
	s_cbranch_execnz .LBB30_1490
	s_branch .LBB30_1491
.LBB30_1510:
	s_mov_b32 s82, -1
                                        ; implicit-def: $vgpr2_vgpr3
.LBB30_1511:
	s_mov_b32 s38, 0
.LBB30_1512:
	s_delay_alu instid0(SALU_CYCLE_1)
	s_and_b32 vcc_lo, exec_lo, s38
	s_cbranch_vccz .LBB30_1516
; %bb.1513:
	s_cmp_eq_u32 s1, 11
	s_cbranch_scc0 .LBB30_1515
; %bb.1514:
	s_wait_loadcnt 0x0
	global_load_u8 v2, v[4:5], off
	s_mov_b32 s82, 0
	s_mov_b32 s31, -1
	v_mov_b32_e32 v3, s82
	s_wait_loadcnt 0x0
	v_cmp_ne_u16_e32 vcc_lo, 0, v2
	v_cndmask_b32_e64 v2, 0, 1, vcc_lo
	s_branch .LBB30_1516
.LBB30_1515:
	s_mov_b32 s82, -1
                                        ; implicit-def: $vgpr2_vgpr3
.LBB30_1516:
	s_mov_b32 s1, 0
.LBB30_1517:
	s_delay_alu instid0(SALU_CYCLE_1)
	s_and_b32 vcc_lo, exec_lo, s1
	s_cbranch_vccz .LBB30_1566
; %bb.1518:
	s_and_b32 s0, 0xffff, s0
	s_delay_alu instid0(SALU_CYCLE_1)
	s_cmp_lt_i32 s0, 5
	s_cbranch_scc1 .LBB30_1523
; %bb.1519:
	s_cmp_lt_i32 s0, 8
	s_cbranch_scc1 .LBB30_1524
; %bb.1520:
	s_cmp_lt_i32 s0, 9
	s_cbranch_scc1 .LBB30_1525
; %bb.1521:
	s_cmp_gt_i32 s0, 9
	s_cbranch_scc0 .LBB30_1526
; %bb.1522:
	s_wait_loadcnt 0x0
	global_load_b64 v[2:3], v[4:5], off
	s_mov_b32 s1, 0
	s_wait_loadcnt 0x0
	v_trunc_f64_e32 v[2:3], v[2:3]
	s_delay_alu instid0(VALU_DEP_1) | instskip(NEXT) | instid1(VALU_DEP_1)
	v_ldexp_f64 v[6:7], v[2:3], 0xffffffe0
	v_floor_f64_e32 v[6:7], v[6:7]
	s_delay_alu instid0(VALU_DEP_1) | instskip(SKIP_1) | instid1(VALU_DEP_2)
	v_fmamk_f64 v[8:9], v[6:7], 0xc1f00000, v[2:3]
	v_cvt_i32_f64_e32 v3, v[6:7]
	v_cvt_u32_f64_e32 v2, v[8:9]
	s_branch .LBB30_1527
.LBB30_1523:
	s_mov_b32 s1, -1
                                        ; implicit-def: $vgpr2_vgpr3
	s_branch .LBB30_1545
.LBB30_1524:
	s_mov_b32 s1, -1
                                        ; implicit-def: $vgpr2_vgpr3
	s_branch .LBB30_1533
.LBB30_1525:
	s_mov_b32 s1, -1
                                        ; implicit-def: $vgpr2_vgpr3
	s_branch .LBB30_1530
.LBB30_1526:
	s_mov_b32 s1, -1
                                        ; implicit-def: $vgpr2_vgpr3
.LBB30_1527:
	s_delay_alu instid0(SALU_CYCLE_1)
	s_and_not1_b32 vcc_lo, exec_lo, s1
	s_cbranch_vccnz .LBB30_1529
; %bb.1528:
	s_wait_loadcnt 0x0
	global_load_b32 v2, v[4:5], off
	s_wait_loadcnt 0x0
	v_trunc_f32_e32 v2, v2
	s_delay_alu instid0(VALU_DEP_1) | instskip(NEXT) | instid1(VALU_DEP_1)
	v_mul_f32_e64 v3, 0x2f800000, |v2|
	v_floor_f32_e32 v3, v3
	s_delay_alu instid0(VALU_DEP_1) | instskip(SKIP_2) | instid1(VALU_DEP_3)
	v_fma_f32 v6, 0xcf800000, v3, |v2|
	v_ashrrev_i32_e32 v2, 31, v2
	v_cvt_u32_f32_e32 v7, v3
	v_cvt_u32_f32_e32 v6, v6
	s_delay_alu instid0(VALU_DEP_2) | instskip(NEXT) | instid1(VALU_DEP_2)
	v_dual_mov_b32 v3, v2 :: v_dual_bitop2_b32 v7, v7, v2 bitop3:0x14
	v_xor_b32_e32 v6, v6, v2
	s_delay_alu instid0(VALU_DEP_1)
	v_sub_nc_u64_e32 v[2:3], v[6:7], v[2:3]
.LBB30_1529:
	s_mov_b32 s1, 0
.LBB30_1530:
	s_delay_alu instid0(SALU_CYCLE_1)
	s_and_not1_b32 vcc_lo, exec_lo, s1
	s_cbranch_vccnz .LBB30_1532
; %bb.1531:
	s_wait_loadcnt 0x0
	global_load_b32 v2, v[4:5], off
	s_wait_loadcnt 0x0
	v_cvt_f32_f16_e32 v2, v2
	s_delay_alu instid0(VALU_DEP_1) | instskip(NEXT) | instid1(VALU_DEP_1)
	v_cvt_i32_f32_e32 v2, v2
	v_ashrrev_i32_e32 v3, 31, v2
.LBB30_1532:
	s_mov_b32 s1, 0
.LBB30_1533:
	s_delay_alu instid0(SALU_CYCLE_1)
	s_and_not1_b32 vcc_lo, exec_lo, s1
	s_cbranch_vccnz .LBB30_1544
; %bb.1534:
	s_cmp_lt_i32 s0, 6
	s_cbranch_scc1 .LBB30_1537
; %bb.1535:
	s_cmp_gt_i32 s0, 6
	s_cbranch_scc0 .LBB30_1538
; %bb.1536:
	s_wait_loadcnt 0x0
	global_load_b64 v[2:3], v[4:5], off
	s_mov_b32 s1, 0
	s_wait_loadcnt 0x0
	v_trunc_f64_e32 v[2:3], v[2:3]
	s_delay_alu instid0(VALU_DEP_1) | instskip(NEXT) | instid1(VALU_DEP_1)
	v_ldexp_f64 v[6:7], v[2:3], 0xffffffe0
	v_floor_f64_e32 v[6:7], v[6:7]
	s_delay_alu instid0(VALU_DEP_1) | instskip(SKIP_1) | instid1(VALU_DEP_2)
	v_fmamk_f64 v[8:9], v[6:7], 0xc1f00000, v[2:3]
	v_cvt_i32_f64_e32 v3, v[6:7]
	v_cvt_u32_f64_e32 v2, v[8:9]
	s_branch .LBB30_1539
.LBB30_1537:
	s_mov_b32 s1, -1
                                        ; implicit-def: $vgpr2_vgpr3
	s_branch .LBB30_1542
.LBB30_1538:
	s_mov_b32 s1, -1
                                        ; implicit-def: $vgpr2_vgpr3
.LBB30_1539:
	s_delay_alu instid0(SALU_CYCLE_1)
	s_and_not1_b32 vcc_lo, exec_lo, s1
	s_cbranch_vccnz .LBB30_1541
; %bb.1540:
	s_wait_loadcnt 0x0
	global_load_b32 v2, v[4:5], off
	s_wait_loadcnt 0x0
	v_trunc_f32_e32 v2, v2
	s_delay_alu instid0(VALU_DEP_1) | instskip(NEXT) | instid1(VALU_DEP_1)
	v_mul_f32_e64 v3, 0x2f800000, |v2|
	v_floor_f32_e32 v3, v3
	s_delay_alu instid0(VALU_DEP_1) | instskip(SKIP_2) | instid1(VALU_DEP_3)
	v_fma_f32 v6, 0xcf800000, v3, |v2|
	v_ashrrev_i32_e32 v2, 31, v2
	v_cvt_u32_f32_e32 v7, v3
	v_cvt_u32_f32_e32 v6, v6
	s_delay_alu instid0(VALU_DEP_2) | instskip(NEXT) | instid1(VALU_DEP_2)
	v_dual_mov_b32 v3, v2 :: v_dual_bitop2_b32 v7, v7, v2 bitop3:0x14
	v_xor_b32_e32 v6, v6, v2
	s_delay_alu instid0(VALU_DEP_1)
	v_sub_nc_u64_e32 v[2:3], v[6:7], v[2:3]
.LBB30_1541:
	s_mov_b32 s1, 0
.LBB30_1542:
	s_delay_alu instid0(SALU_CYCLE_1)
	s_and_not1_b32 vcc_lo, exec_lo, s1
	s_cbranch_vccnz .LBB30_1544
; %bb.1543:
	s_wait_loadcnt 0x0
	global_load_u16 v2, v[4:5], off
	s_wait_loadcnt 0x0
	v_cvt_f32_f16_e32 v2, v2
	s_delay_alu instid0(VALU_DEP_1) | instskip(NEXT) | instid1(VALU_DEP_1)
	v_cvt_i32_f32_e32 v2, v2
	v_ashrrev_i32_e32 v3, 31, v2
.LBB30_1544:
	s_mov_b32 s1, 0
.LBB30_1545:
	s_delay_alu instid0(SALU_CYCLE_1)
	s_and_not1_b32 vcc_lo, exec_lo, s1
	s_cbranch_vccnz .LBB30_1565
; %bb.1546:
	s_cmp_lt_i32 s0, 2
	s_cbranch_scc1 .LBB30_1550
; %bb.1547:
	s_cmp_lt_i32 s0, 3
	s_cbranch_scc1 .LBB30_1551
; %bb.1548:
	s_cmp_gt_i32 s0, 3
	s_cbranch_scc0 .LBB30_1552
; %bb.1549:
	s_wait_loadcnt 0x0
	global_load_b64 v[2:3], v[4:5], off
	s_mov_b32 s1, 0
	s_branch .LBB30_1553
.LBB30_1550:
	s_mov_b32 s1, -1
                                        ; implicit-def: $vgpr2_vgpr3
	s_branch .LBB30_1559
.LBB30_1551:
	s_mov_b32 s1, -1
                                        ; implicit-def: $vgpr2_vgpr3
	s_branch .LBB30_1556
.LBB30_1552:
	s_mov_b32 s1, -1
                                        ; implicit-def: $vgpr2_vgpr3
.LBB30_1553:
	s_delay_alu instid0(SALU_CYCLE_1)
	s_and_not1_b32 vcc_lo, exec_lo, s1
	s_cbranch_vccnz .LBB30_1555
; %bb.1554:
	s_wait_loadcnt 0x0
	global_load_b32 v2, v[4:5], off
	s_wait_loadcnt 0x0
	v_ashrrev_i32_e32 v3, 31, v2
.LBB30_1555:
	s_mov_b32 s1, 0
.LBB30_1556:
	s_delay_alu instid0(SALU_CYCLE_1)
	s_and_not1_b32 vcc_lo, exec_lo, s1
	s_cbranch_vccnz .LBB30_1558
; %bb.1557:
	s_wait_loadcnt 0x0
	global_load_u16 v2, v[4:5], off
	s_wait_loadcnt 0x0
	v_bfe_i32 v2, v2, 0, 16
	s_delay_alu instid0(VALU_DEP_1)
	v_ashrrev_i32_e32 v3, 31, v2
.LBB30_1558:
	s_mov_b32 s1, 0
.LBB30_1559:
	s_delay_alu instid0(SALU_CYCLE_1)
	s_and_not1_b32 vcc_lo, exec_lo, s1
	s_cbranch_vccnz .LBB30_1565
; %bb.1560:
	s_cmp_gt_i32 s0, 0
	s_mov_b32 s0, 0
	s_cbranch_scc0 .LBB30_1562
; %bb.1561:
	s_wait_loadcnt 0x0
	global_load_i8 v2, v[4:5], off
	s_wait_loadcnt 0x0
	v_bfe_i32 v2, v2, 0, 16
	s_delay_alu instid0(VALU_DEP_1)
	v_ashrrev_i32_e32 v3, 31, v2
	s_branch .LBB30_1563
.LBB30_1562:
	s_mov_b32 s0, -1
                                        ; implicit-def: $vgpr2_vgpr3
.LBB30_1563:
	s_delay_alu instid0(SALU_CYCLE_1)
	s_and_not1_b32 vcc_lo, exec_lo, s0
	s_cbranch_vccnz .LBB30_1565
; %bb.1564:
	s_wait_loadcnt 0x0
	global_load_u8 v2, v[4:5], off
	s_mov_b32 s0, 0
	s_delay_alu instid0(SALU_CYCLE_1)
	v_mov_b32_e32 v3, s0
	s_wait_loadcnt 0x0
	v_and_b32_e32 v2, 0xffff, v2
.LBB30_1565:
	s_mov_b32 s31, -1
.LBB30_1566:
	s_delay_alu instid0(SALU_CYCLE_1)
	s_and_not1_b32 vcc_lo, exec_lo, s31
	s_cbranch_vccnz .LBB30_1574
; %bb.1567:
	s_wait_xcnt 0x0
	v_mul_lo_u32 v4, s26, v26
	s_and_b32 s0, s36, 0xff
	s_delay_alu instid0(SALU_CYCLE_1) | instskip(NEXT) | instid1(VALU_DEP_1)
	s_cmp_lt_i32 s0, 11
	v_ashrrev_i32_e32 v5, 31, v4
	s_delay_alu instid0(VALU_DEP_1)
	v_add_nc_u64_e32 v[6:7], s[16:17], v[4:5]
	s_cbranch_scc1 .LBB30_1575
; %bb.1568:
	s_and_b32 s1, 0xffff, s0
	s_delay_alu instid0(SALU_CYCLE_1)
	s_cmp_gt_i32 s1, 25
	s_cbranch_scc0 .LBB30_1576
; %bb.1569:
	s_cmp_gt_i32 s1, 28
	s_cbranch_scc0 .LBB30_1577
; %bb.1570:
	s_cmp_gt_i32 s1, 43
	s_cbranch_scc0 .LBB30_1578
; %bb.1571:
	s_cmp_gt_i32 s1, 45
	s_cbranch_scc0 .LBB30_1579
; %bb.1572:
	s_cmp_eq_u32 s1, 46
	s_mov_b32 s38, 0
	s_cbranch_scc0 .LBB30_1581
; %bb.1573:
	global_load_b32 v4, v[6:7], off
	s_mov_b32 s31, -1
	s_mov_b32 s83, 0
	s_wait_loadcnt 0x0
	v_lshlrev_b32_e32 v4, 16, v4
	s_delay_alu instid0(VALU_DEP_1) | instskip(NEXT) | instid1(VALU_DEP_1)
	v_trunc_f32_e32 v4, v4
	v_mul_f32_e64 v5, 0x2f800000, |v4|
	s_delay_alu instid0(VALU_DEP_1) | instskip(NEXT) | instid1(VALU_DEP_1)
	v_floor_f32_e32 v5, v5
	v_fma_f32 v8, 0xcf800000, v5, |v4|
	v_ashrrev_i32_e32 v4, 31, v4
	v_cvt_u32_f32_e32 v9, v5
	s_delay_alu instid0(VALU_DEP_3) | instskip(NEXT) | instid1(VALU_DEP_2)
	v_cvt_u32_f32_e32 v8, v8
	v_dual_mov_b32 v5, v4 :: v_dual_bitop2_b32 v9, v9, v4 bitop3:0x14
	s_delay_alu instid0(VALU_DEP_2) | instskip(NEXT) | instid1(VALU_DEP_1)
	v_xor_b32_e32 v8, v8, v4
	v_sub_nc_u64_e32 v[4:5], v[8:9], v[4:5]
	s_branch .LBB30_1583
.LBB30_1574:
	s_mov_b32 s0, 0
	s_mov_b32 s1, s76
	;; [unrolled: 1-line block ×9, first 2 shown]
	s_branch .LBB30_2045
.LBB30_1575:
	s_mov_b32 s1, -1
	s_mov_b32 s31, 0
	s_mov_b32 s83, s70
                                        ; implicit-def: $vgpr4_vgpr5
	s_branch .LBB30_1644
.LBB30_1576:
	s_mov_b32 s38, -1
	s_mov_b32 s31, 0
	s_mov_b32 s83, s70
                                        ; implicit-def: $vgpr4_vgpr5
	s_branch .LBB30_1610
.LBB30_1577:
	s_mov_b32 s38, -1
	s_mov_b32 s31, 0
	s_mov_b32 s83, s70
                                        ; implicit-def: $vgpr4_vgpr5
	s_branch .LBB30_1593
.LBB30_1578:
	s_mov_b32 s38, -1
	s_mov_b32 s31, 0
	s_mov_b32 s83, s70
                                        ; implicit-def: $vgpr4_vgpr5
	s_branch .LBB30_1588
.LBB30_1579:
	s_mov_b32 s38, -1
	s_mov_b32 s31, 0
	s_mov_b32 s83, s70
	s_branch .LBB30_1582
.LBB30_1580:
	s_mov_b32 s41, -1
	s_mov_b32 s40, 0
	s_mov_b32 s31, s56
	s_branch .LBB30_3527
.LBB30_1581:
	s_mov_b32 s83, -1
	s_mov_b32 s31, 0
.LBB30_1582:
                                        ; implicit-def: $vgpr4_vgpr5
.LBB30_1583:
	s_and_b32 vcc_lo, exec_lo, s38
	s_cbranch_vccz .LBB30_1587
; %bb.1584:
	s_cmp_eq_u32 s1, 44
	s_cbranch_scc0 .LBB30_1586
; %bb.1585:
	global_load_u8 v10, v[6:7], off
	s_mov_b32 s83, 0
	s_mov_b32 s31, -1
	s_wait_loadcnt 0x0
	v_cmp_ne_u32_e32 vcc_lo, 0, v10
	v_lshlrev_b32_e32 v4, 23, v10
	s_delay_alu instid0(VALU_DEP_1) | instskip(NEXT) | instid1(VALU_DEP_1)
	v_trunc_f32_e32 v4, v4
	v_mul_f32_e64 v5, 0x2f800000, |v4|
	s_delay_alu instid0(VALU_DEP_1) | instskip(NEXT) | instid1(VALU_DEP_1)
	v_floor_f32_e32 v5, v5
	v_fma_f32 v8, 0xcf800000, v5, |v4|
	v_ashrrev_i32_e32 v4, 31, v4
	v_cvt_u32_f32_e32 v9, v5
	s_delay_alu instid0(VALU_DEP_3) | instskip(NEXT) | instid1(VALU_DEP_2)
	v_cvt_u32_f32_e32 v8, v8
	v_dual_mov_b32 v5, v4 :: v_dual_bitop2_b32 v9, v9, v4 bitop3:0x14
	s_delay_alu instid0(VALU_DEP_2) | instskip(NEXT) | instid1(VALU_DEP_1)
	v_xor_b32_e32 v8, v8, v4
	v_sub_nc_u64_e32 v[4:5], v[8:9], v[4:5]
	s_delay_alu instid0(VALU_DEP_1)
	v_dual_cndmask_b32 v5, 0, v5 :: v_dual_cndmask_b32 v4, 0, v4
	s_branch .LBB30_1587
.LBB30_1586:
	s_mov_b32 s83, -1
                                        ; implicit-def: $vgpr4_vgpr5
.LBB30_1587:
	s_mov_b32 s38, 0
.LBB30_1588:
	s_delay_alu instid0(SALU_CYCLE_1)
	s_and_b32 vcc_lo, exec_lo, s38
	s_cbranch_vccz .LBB30_1592
; %bb.1589:
	s_cmp_eq_u32 s1, 29
	s_cbranch_scc0 .LBB30_1591
; %bb.1590:
	global_load_b64 v[4:5], v[6:7], off
	s_mov_b32 s31, -1
	s_mov_b32 s83, 0
	s_branch .LBB30_1592
.LBB30_1591:
	s_mov_b32 s83, -1
                                        ; implicit-def: $vgpr4_vgpr5
.LBB30_1592:
	s_mov_b32 s38, 0
.LBB30_1593:
	s_delay_alu instid0(SALU_CYCLE_1)
	s_and_b32 vcc_lo, exec_lo, s38
	s_cbranch_vccz .LBB30_1609
; %bb.1594:
	s_cmp_lt_i32 s1, 27
	s_cbranch_scc1 .LBB30_1597
; %bb.1595:
	s_cmp_gt_i32 s1, 27
	s_cbranch_scc0 .LBB30_1598
; %bb.1596:
	s_wait_loadcnt 0x0
	global_load_b32 v4, v[6:7], off
	v_mov_b32_e32 v5, 0
	s_mov_b32 s31, 0
	s_branch .LBB30_1599
.LBB30_1597:
	s_mov_b32 s31, -1
                                        ; implicit-def: $vgpr4_vgpr5
	s_branch .LBB30_1602
.LBB30_1598:
	s_mov_b32 s31, -1
                                        ; implicit-def: $vgpr4_vgpr5
.LBB30_1599:
	s_delay_alu instid0(SALU_CYCLE_1)
	s_and_not1_b32 vcc_lo, exec_lo, s31
	s_cbranch_vccnz .LBB30_1601
; %bb.1600:
	s_wait_loadcnt 0x0
	global_load_u16 v4, v[6:7], off
	s_mov_b32 s31, 0
	s_delay_alu instid0(SALU_CYCLE_1)
	v_mov_b32_e32 v5, s31
	s_wait_loadcnt 0x0
	v_and_b32_e32 v4, 0xffff, v4
.LBB30_1601:
	s_mov_b32 s31, 0
.LBB30_1602:
	s_delay_alu instid0(SALU_CYCLE_1)
	s_and_not1_b32 vcc_lo, exec_lo, s31
	s_cbranch_vccnz .LBB30_1608
; %bb.1603:
	global_load_u8 v8, v[6:7], off
	s_mov_b32 s38, 0
	s_mov_b32 s31, exec_lo
	s_wait_loadcnt 0x0
	v_cmpx_lt_i16_e32 0x7f, v8
	s_xor_b32 s31, exec_lo, s31
	s_cbranch_execz .LBB30_1620
; %bb.1604:
	v_cmp_ne_u16_e32 vcc_lo, 0x80, v8
	s_and_b32 s38, vcc_lo, exec_lo
	s_and_not1_saveexec_b32 s31, s31
	s_cbranch_execnz .LBB30_1621
.LBB30_1605:
	s_or_b32 exec_lo, exec_lo, s31
	v_mov_b64_e32 v[4:5], 0
	s_and_saveexec_b32 s31, s38
	s_cbranch_execz .LBB30_1607
.LBB30_1606:
	v_and_b32_e32 v4, 0xffff, v8
	s_delay_alu instid0(VALU_DEP_1) | instskip(SKIP_1) | instid1(VALU_DEP_2)
	v_and_b32_e32 v5, 7, v4
	v_bfe_u32 v11, v4, 3, 4
	v_clz_i32_u32_e32 v9, v5
	s_delay_alu instid0(VALU_DEP_2) | instskip(NEXT) | instid1(VALU_DEP_2)
	v_cmp_eq_u32_e32 vcc_lo, 0, v11
	v_min_u32_e32 v9, 32, v9
	s_delay_alu instid0(VALU_DEP_1) | instskip(NEXT) | instid1(VALU_DEP_1)
	v_subrev_nc_u32_e32 v10, 28, v9
	v_dual_lshlrev_b32 v4, v10, v4 :: v_dual_sub_nc_u32 v9, 29, v9
	s_delay_alu instid0(VALU_DEP_1) | instskip(NEXT) | instid1(VALU_DEP_2)
	v_and_b32_e32 v4, 7, v4
	v_dual_cndmask_b32 v9, v11, v9 :: v_dual_lshlrev_b32 v8, 24, v8
	s_delay_alu instid0(VALU_DEP_2) | instskip(NEXT) | instid1(VALU_DEP_2)
	v_cndmask_b32_e32 v4, v5, v4, vcc_lo
	v_and_b32_e32 v5, 0x80000000, v8
	s_delay_alu instid0(VALU_DEP_3) | instskip(NEXT) | instid1(VALU_DEP_3)
	v_lshl_add_u32 v8, v9, 23, 0x3b800000
	v_lshlrev_b32_e32 v4, 20, v4
	s_delay_alu instid0(VALU_DEP_1) | instskip(NEXT) | instid1(VALU_DEP_1)
	v_or3_b32 v4, v5, v8, v4
	v_trunc_f32_e32 v4, v4
	s_delay_alu instid0(VALU_DEP_1) | instskip(NEXT) | instid1(VALU_DEP_1)
	v_mul_f32_e64 v5, 0x2f800000, |v4|
	v_floor_f32_e32 v5, v5
	s_delay_alu instid0(VALU_DEP_1) | instskip(SKIP_2) | instid1(VALU_DEP_3)
	v_fma_f32 v8, 0xcf800000, v5, |v4|
	v_ashrrev_i32_e32 v4, 31, v4
	v_cvt_u32_f32_e32 v9, v5
	v_cvt_u32_f32_e32 v8, v8
	s_delay_alu instid0(VALU_DEP_2) | instskip(NEXT) | instid1(VALU_DEP_2)
	v_dual_mov_b32 v5, v4 :: v_dual_bitop2_b32 v9, v9, v4 bitop3:0x14
	v_xor_b32_e32 v8, v8, v4
	s_delay_alu instid0(VALU_DEP_1)
	v_sub_nc_u64_e32 v[4:5], v[8:9], v[4:5]
.LBB30_1607:
	s_or_b32 exec_lo, exec_lo, s31
.LBB30_1608:
	s_mov_b32 s31, -1
.LBB30_1609:
	s_mov_b32 s38, 0
.LBB30_1610:
	s_delay_alu instid0(SALU_CYCLE_1)
	s_and_b32 vcc_lo, exec_lo, s38
	s_cbranch_vccz .LBB30_1643
; %bb.1611:
	s_cmp_gt_i32 s1, 22
	s_cbranch_scc0 .LBB30_1619
; %bb.1612:
	s_cmp_lt_i32 s1, 24
	s_cbranch_scc1 .LBB30_1622
; %bb.1613:
	s_cmp_gt_i32 s1, 24
	s_cbranch_scc0 .LBB30_1623
; %bb.1614:
	global_load_u8 v8, v[6:7], off
	s_mov_b32 s38, 0
	s_mov_b32 s31, exec_lo
	s_wait_loadcnt 0x0
	v_cmpx_lt_i16_e32 0x7f, v8
	s_xor_b32 s31, exec_lo, s31
	s_cbranch_execz .LBB30_1635
; %bb.1615:
	v_cmp_ne_u16_e32 vcc_lo, 0x80, v8
	s_and_b32 s38, vcc_lo, exec_lo
	s_and_not1_saveexec_b32 s31, s31
	s_cbranch_execnz .LBB30_1636
.LBB30_1616:
	s_or_b32 exec_lo, exec_lo, s31
	v_mov_b64_e32 v[4:5], 0
	s_and_saveexec_b32 s31, s38
	s_cbranch_execz .LBB30_1618
.LBB30_1617:
	v_and_b32_e32 v4, 0xffff, v8
	s_delay_alu instid0(VALU_DEP_1) | instskip(SKIP_1) | instid1(VALU_DEP_2)
	v_and_b32_e32 v5, 3, v4
	v_bfe_u32 v11, v4, 2, 5
	v_clz_i32_u32_e32 v9, v5
	s_delay_alu instid0(VALU_DEP_2) | instskip(NEXT) | instid1(VALU_DEP_2)
	v_cmp_eq_u32_e32 vcc_lo, 0, v11
	v_min_u32_e32 v9, 32, v9
	s_delay_alu instid0(VALU_DEP_1) | instskip(NEXT) | instid1(VALU_DEP_1)
	v_subrev_nc_u32_e32 v10, 29, v9
	v_dual_lshlrev_b32 v4, v10, v4 :: v_dual_sub_nc_u32 v9, 30, v9
	s_delay_alu instid0(VALU_DEP_1) | instskip(NEXT) | instid1(VALU_DEP_2)
	v_and_b32_e32 v4, 3, v4
	v_dual_cndmask_b32 v9, v11, v9 :: v_dual_lshlrev_b32 v8, 24, v8
	s_delay_alu instid0(VALU_DEP_2) | instskip(NEXT) | instid1(VALU_DEP_2)
	v_cndmask_b32_e32 v4, v5, v4, vcc_lo
	v_and_b32_e32 v5, 0x80000000, v8
	s_delay_alu instid0(VALU_DEP_3) | instskip(NEXT) | instid1(VALU_DEP_3)
	v_lshl_add_u32 v8, v9, 23, 0x37800000
	v_lshlrev_b32_e32 v4, 21, v4
	s_delay_alu instid0(VALU_DEP_1) | instskip(NEXT) | instid1(VALU_DEP_1)
	v_or3_b32 v4, v5, v8, v4
	v_trunc_f32_e32 v4, v4
	s_delay_alu instid0(VALU_DEP_1) | instskip(NEXT) | instid1(VALU_DEP_1)
	v_mul_f32_e64 v5, 0x2f800000, |v4|
	v_floor_f32_e32 v5, v5
	s_delay_alu instid0(VALU_DEP_1) | instskip(SKIP_2) | instid1(VALU_DEP_3)
	v_fma_f32 v8, 0xcf800000, v5, |v4|
	v_ashrrev_i32_e32 v4, 31, v4
	v_cvt_u32_f32_e32 v9, v5
	v_cvt_u32_f32_e32 v8, v8
	s_delay_alu instid0(VALU_DEP_2) | instskip(NEXT) | instid1(VALU_DEP_2)
	v_dual_mov_b32 v5, v4 :: v_dual_bitop2_b32 v9, v9, v4 bitop3:0x14
	v_xor_b32_e32 v8, v8, v4
	s_delay_alu instid0(VALU_DEP_1)
	v_sub_nc_u64_e32 v[4:5], v[8:9], v[4:5]
.LBB30_1618:
	s_or_b32 exec_lo, exec_lo, s31
	s_mov_b32 s31, 0
	s_branch .LBB30_1624
.LBB30_1619:
	s_mov_b32 s38, -1
                                        ; implicit-def: $vgpr4_vgpr5
	s_branch .LBB30_1630
.LBB30_1620:
	s_and_not1_saveexec_b32 s31, s31
	s_cbranch_execz .LBB30_1605
.LBB30_1621:
	v_cmp_ne_u16_e32 vcc_lo, 0, v8
	s_and_not1_b32 s38, s38, exec_lo
	s_and_b32 s39, vcc_lo, exec_lo
	s_delay_alu instid0(SALU_CYCLE_1)
	s_or_b32 s38, s38, s39
	s_or_b32 exec_lo, exec_lo, s31
	v_mov_b64_e32 v[4:5], 0
	s_and_saveexec_b32 s31, s38
	s_cbranch_execnz .LBB30_1606
	s_branch .LBB30_1607
.LBB30_1622:
	s_mov_b32 s31, -1
                                        ; implicit-def: $vgpr4_vgpr5
	s_branch .LBB30_1627
.LBB30_1623:
	s_mov_b32 s31, -1
                                        ; implicit-def: $vgpr4_vgpr5
.LBB30_1624:
	s_delay_alu instid0(SALU_CYCLE_1)
	s_and_b32 vcc_lo, exec_lo, s31
	s_cbranch_vccz .LBB30_1626
; %bb.1625:
	s_wait_loadcnt 0x0
	global_load_u8 v4, v[6:7], off
	s_wait_loadcnt 0x0
	v_lshlrev_b32_e32 v4, 24, v4
	s_delay_alu instid0(VALU_DEP_1) | instskip(NEXT) | instid1(VALU_DEP_1)
	v_and_b32_e32 v5, 0x7f000000, v4
	v_clz_i32_u32_e32 v8, v5
	v_cmp_ne_u32_e32 vcc_lo, 0, v5
	v_add_nc_u32_e32 v10, 0x1000000, v5
	s_delay_alu instid0(VALU_DEP_3) | instskip(NEXT) | instid1(VALU_DEP_1)
	v_min_u32_e32 v8, 32, v8
	v_sub_nc_u32_e64 v8, v8, 4 clamp
	s_delay_alu instid0(VALU_DEP_1) | instskip(NEXT) | instid1(VALU_DEP_1)
	v_dual_lshlrev_b32 v9, v8, v5 :: v_dual_lshlrev_b32 v8, 23, v8
	v_lshrrev_b32_e32 v9, 4, v9
	s_delay_alu instid0(VALU_DEP_1) | instskip(NEXT) | instid1(VALU_DEP_1)
	v_dual_sub_nc_u32 v8, v9, v8 :: v_dual_ashrrev_i32 v9, 8, v10
	v_add_nc_u32_e32 v8, 0x3c000000, v8
	s_delay_alu instid0(VALU_DEP_1) | instskip(NEXT) | instid1(VALU_DEP_1)
	v_and_or_b32 v8, 0x7f800000, v9, v8
	v_cndmask_b32_e32 v5, 0, v8, vcc_lo
	s_delay_alu instid0(VALU_DEP_1) | instskip(NEXT) | instid1(VALU_DEP_1)
	v_and_or_b32 v4, 0x80000000, v4, v5
	v_trunc_f32_e32 v4, v4
	s_delay_alu instid0(VALU_DEP_1) | instskip(NEXT) | instid1(VALU_DEP_1)
	v_mul_f32_e64 v5, 0x2f800000, |v4|
	v_floor_f32_e32 v5, v5
	s_delay_alu instid0(VALU_DEP_1) | instskip(SKIP_2) | instid1(VALU_DEP_3)
	v_fma_f32 v8, 0xcf800000, v5, |v4|
	v_ashrrev_i32_e32 v4, 31, v4
	v_cvt_u32_f32_e32 v9, v5
	v_cvt_u32_f32_e32 v8, v8
	s_delay_alu instid0(VALU_DEP_2) | instskip(NEXT) | instid1(VALU_DEP_2)
	v_dual_mov_b32 v5, v4 :: v_dual_bitop2_b32 v9, v9, v4 bitop3:0x14
	v_xor_b32_e32 v8, v8, v4
	s_delay_alu instid0(VALU_DEP_1)
	v_sub_nc_u64_e32 v[4:5], v[8:9], v[4:5]
.LBB30_1626:
	s_mov_b32 s31, 0
.LBB30_1627:
	s_delay_alu instid0(SALU_CYCLE_1)
	s_and_not1_b32 vcc_lo, exec_lo, s31
	s_cbranch_vccnz .LBB30_1629
; %bb.1628:
	s_wait_loadcnt 0x0
	global_load_u8 v4, v[6:7], off
	s_wait_loadcnt 0x0
	v_lshlrev_b32_e32 v5, 25, v4
	v_lshlrev_b16 v4, 8, v4
	s_delay_alu instid0(VALU_DEP_1) | instskip(SKIP_1) | instid1(VALU_DEP_2)
	v_and_or_b32 v9, 0x7f00, v4, 0.5
	v_bfe_i32 v4, v4, 0, 16
	v_add_f32_e32 v9, -0.5, v9
	v_lshrrev_b32_e32 v8, 4, v5
	v_cmp_gt_u32_e32 vcc_lo, 0x8000000, v5
	s_delay_alu instid0(VALU_DEP_2) | instskip(NEXT) | instid1(VALU_DEP_1)
	v_or_b32_e32 v8, 0x70000000, v8
	v_mul_f32_e32 v8, 0x7800000, v8
	s_delay_alu instid0(VALU_DEP_1) | instskip(NEXT) | instid1(VALU_DEP_1)
	v_cndmask_b32_e32 v5, v8, v9, vcc_lo
	v_and_or_b32 v4, 0x80000000, v4, v5
	s_delay_alu instid0(VALU_DEP_1) | instskip(NEXT) | instid1(VALU_DEP_1)
	v_trunc_f32_e32 v4, v4
	v_mul_f32_e64 v5, 0x2f800000, |v4|
	s_delay_alu instid0(VALU_DEP_1) | instskip(NEXT) | instid1(VALU_DEP_1)
	v_floor_f32_e32 v5, v5
	v_fma_f32 v8, 0xcf800000, v5, |v4|
	v_ashrrev_i32_e32 v4, 31, v4
	v_cvt_u32_f32_e32 v9, v5
	s_delay_alu instid0(VALU_DEP_3) | instskip(NEXT) | instid1(VALU_DEP_2)
	v_cvt_u32_f32_e32 v8, v8
	v_dual_mov_b32 v5, v4 :: v_dual_bitop2_b32 v9, v9, v4 bitop3:0x14
	s_delay_alu instid0(VALU_DEP_2) | instskip(NEXT) | instid1(VALU_DEP_1)
	v_xor_b32_e32 v8, v8, v4
	v_sub_nc_u64_e32 v[4:5], v[8:9], v[4:5]
.LBB30_1629:
	s_mov_b32 s38, 0
	s_mov_b32 s31, -1
.LBB30_1630:
	s_and_not1_b32 vcc_lo, exec_lo, s38
	s_cbranch_vccnz .LBB30_1643
; %bb.1631:
	s_cmp_gt_i32 s1, 14
	s_cbranch_scc0 .LBB30_1634
; %bb.1632:
	s_cmp_eq_u32 s1, 15
	s_cbranch_scc0 .LBB30_1637
; %bb.1633:
	s_wait_loadcnt 0x0
	global_load_u16 v4, v[6:7], off
	s_mov_b32 s31, -1
	s_mov_b32 s83, 0
	s_wait_loadcnt 0x0
	v_lshlrev_b32_e32 v4, 16, v4
	s_delay_alu instid0(VALU_DEP_1) | instskip(NEXT) | instid1(VALU_DEP_1)
	v_trunc_f32_e32 v4, v4
	v_mul_f32_e64 v5, 0x2f800000, |v4|
	s_delay_alu instid0(VALU_DEP_1) | instskip(NEXT) | instid1(VALU_DEP_1)
	v_floor_f32_e32 v5, v5
	v_fma_f32 v8, 0xcf800000, v5, |v4|
	v_ashrrev_i32_e32 v4, 31, v4
	v_cvt_u32_f32_e32 v9, v5
	s_delay_alu instid0(VALU_DEP_3) | instskip(NEXT) | instid1(VALU_DEP_2)
	v_cvt_u32_f32_e32 v8, v8
	v_dual_mov_b32 v5, v4 :: v_dual_bitop2_b32 v9, v9, v4 bitop3:0x14
	s_delay_alu instid0(VALU_DEP_2) | instskip(NEXT) | instid1(VALU_DEP_1)
	v_xor_b32_e32 v8, v8, v4
	v_sub_nc_u64_e32 v[4:5], v[8:9], v[4:5]
	s_branch .LBB30_1638
.LBB30_1634:
	s_mov_b32 s38, -1
                                        ; implicit-def: $vgpr4_vgpr5
	s_branch .LBB30_1639
.LBB30_1635:
	s_and_not1_saveexec_b32 s31, s31
	s_cbranch_execz .LBB30_1616
.LBB30_1636:
	v_cmp_ne_u16_e32 vcc_lo, 0, v8
	s_and_not1_b32 s38, s38, exec_lo
	s_and_b32 s39, vcc_lo, exec_lo
	s_delay_alu instid0(SALU_CYCLE_1)
	s_or_b32 s38, s38, s39
	s_or_b32 exec_lo, exec_lo, s31
	v_mov_b64_e32 v[4:5], 0
	s_and_saveexec_b32 s31, s38
	s_cbranch_execnz .LBB30_1617
	s_branch .LBB30_1618
.LBB30_1637:
	s_mov_b32 s83, -1
                                        ; implicit-def: $vgpr4_vgpr5
.LBB30_1638:
	s_mov_b32 s38, 0
.LBB30_1639:
	s_delay_alu instid0(SALU_CYCLE_1)
	s_and_b32 vcc_lo, exec_lo, s38
	s_cbranch_vccz .LBB30_1643
; %bb.1640:
	s_cmp_eq_u32 s1, 11
	s_cbranch_scc0 .LBB30_1642
; %bb.1641:
	s_wait_loadcnt 0x0
	global_load_u8 v4, v[6:7], off
	s_mov_b32 s83, 0
	s_mov_b32 s31, -1
	v_mov_b32_e32 v5, s83
	s_wait_loadcnt 0x0
	v_cmp_ne_u16_e32 vcc_lo, 0, v4
	v_cndmask_b32_e64 v4, 0, 1, vcc_lo
	s_branch .LBB30_1643
.LBB30_1642:
	s_mov_b32 s83, -1
                                        ; implicit-def: $vgpr4_vgpr5
.LBB30_1643:
	s_mov_b32 s1, 0
.LBB30_1644:
	s_delay_alu instid0(SALU_CYCLE_1)
	s_and_b32 vcc_lo, exec_lo, s1
	s_cbranch_vccz .LBB30_1693
; %bb.1645:
	s_and_b32 s0, 0xffff, s0
	s_delay_alu instid0(SALU_CYCLE_1)
	s_cmp_lt_i32 s0, 5
	s_cbranch_scc1 .LBB30_1650
; %bb.1646:
	s_cmp_lt_i32 s0, 8
	s_cbranch_scc1 .LBB30_1651
; %bb.1647:
	s_cmp_lt_i32 s0, 9
	s_cbranch_scc1 .LBB30_1652
; %bb.1648:
	s_cmp_gt_i32 s0, 9
	s_cbranch_scc0 .LBB30_1653
; %bb.1649:
	s_wait_loadcnt 0x0
	global_load_b64 v[4:5], v[6:7], off
	s_mov_b32 s1, 0
	s_wait_loadcnt 0x0
	v_trunc_f64_e32 v[4:5], v[4:5]
	s_delay_alu instid0(VALU_DEP_1) | instskip(NEXT) | instid1(VALU_DEP_1)
	v_ldexp_f64 v[8:9], v[4:5], 0xffffffe0
	v_floor_f64_e32 v[8:9], v[8:9]
	s_delay_alu instid0(VALU_DEP_1) | instskip(SKIP_1) | instid1(VALU_DEP_2)
	v_fmamk_f64 v[10:11], v[8:9], 0xc1f00000, v[4:5]
	v_cvt_i32_f64_e32 v5, v[8:9]
	v_cvt_u32_f64_e32 v4, v[10:11]
	s_branch .LBB30_1654
.LBB30_1650:
	s_mov_b32 s1, -1
                                        ; implicit-def: $vgpr4_vgpr5
	s_branch .LBB30_1672
.LBB30_1651:
	s_mov_b32 s1, -1
                                        ; implicit-def: $vgpr4_vgpr5
	s_branch .LBB30_1660
.LBB30_1652:
	s_mov_b32 s1, -1
                                        ; implicit-def: $vgpr4_vgpr5
	s_branch .LBB30_1657
.LBB30_1653:
	s_mov_b32 s1, -1
                                        ; implicit-def: $vgpr4_vgpr5
.LBB30_1654:
	s_delay_alu instid0(SALU_CYCLE_1)
	s_and_not1_b32 vcc_lo, exec_lo, s1
	s_cbranch_vccnz .LBB30_1656
; %bb.1655:
	s_wait_loadcnt 0x0
	global_load_b32 v4, v[6:7], off
	s_wait_loadcnt 0x0
	v_trunc_f32_e32 v4, v4
	s_delay_alu instid0(VALU_DEP_1) | instskip(NEXT) | instid1(VALU_DEP_1)
	v_mul_f32_e64 v5, 0x2f800000, |v4|
	v_floor_f32_e32 v5, v5
	s_delay_alu instid0(VALU_DEP_1) | instskip(SKIP_2) | instid1(VALU_DEP_3)
	v_fma_f32 v8, 0xcf800000, v5, |v4|
	v_ashrrev_i32_e32 v4, 31, v4
	v_cvt_u32_f32_e32 v9, v5
	v_cvt_u32_f32_e32 v8, v8
	s_delay_alu instid0(VALU_DEP_2) | instskip(NEXT) | instid1(VALU_DEP_2)
	v_dual_mov_b32 v5, v4 :: v_dual_bitop2_b32 v9, v9, v4 bitop3:0x14
	v_xor_b32_e32 v8, v8, v4
	s_delay_alu instid0(VALU_DEP_1)
	v_sub_nc_u64_e32 v[4:5], v[8:9], v[4:5]
.LBB30_1656:
	s_mov_b32 s1, 0
.LBB30_1657:
	s_delay_alu instid0(SALU_CYCLE_1)
	s_and_not1_b32 vcc_lo, exec_lo, s1
	s_cbranch_vccnz .LBB30_1659
; %bb.1658:
	s_wait_loadcnt 0x0
	global_load_b32 v4, v[6:7], off
	s_wait_loadcnt 0x0
	v_cvt_f32_f16_e32 v4, v4
	s_delay_alu instid0(VALU_DEP_1) | instskip(NEXT) | instid1(VALU_DEP_1)
	v_cvt_i32_f32_e32 v4, v4
	v_ashrrev_i32_e32 v5, 31, v4
.LBB30_1659:
	s_mov_b32 s1, 0
.LBB30_1660:
	s_delay_alu instid0(SALU_CYCLE_1)
	s_and_not1_b32 vcc_lo, exec_lo, s1
	s_cbranch_vccnz .LBB30_1671
; %bb.1661:
	s_cmp_lt_i32 s0, 6
	s_cbranch_scc1 .LBB30_1664
; %bb.1662:
	s_cmp_gt_i32 s0, 6
	s_cbranch_scc0 .LBB30_1665
; %bb.1663:
	s_wait_loadcnt 0x0
	global_load_b64 v[4:5], v[6:7], off
	s_mov_b32 s1, 0
	s_wait_loadcnt 0x0
	v_trunc_f64_e32 v[4:5], v[4:5]
	s_delay_alu instid0(VALU_DEP_1) | instskip(NEXT) | instid1(VALU_DEP_1)
	v_ldexp_f64 v[8:9], v[4:5], 0xffffffe0
	v_floor_f64_e32 v[8:9], v[8:9]
	s_delay_alu instid0(VALU_DEP_1) | instskip(SKIP_1) | instid1(VALU_DEP_2)
	v_fmamk_f64 v[10:11], v[8:9], 0xc1f00000, v[4:5]
	v_cvt_i32_f64_e32 v5, v[8:9]
	v_cvt_u32_f64_e32 v4, v[10:11]
	s_branch .LBB30_1666
.LBB30_1664:
	s_mov_b32 s1, -1
                                        ; implicit-def: $vgpr4_vgpr5
	s_branch .LBB30_1669
.LBB30_1665:
	s_mov_b32 s1, -1
                                        ; implicit-def: $vgpr4_vgpr5
.LBB30_1666:
	s_delay_alu instid0(SALU_CYCLE_1)
	s_and_not1_b32 vcc_lo, exec_lo, s1
	s_cbranch_vccnz .LBB30_1668
; %bb.1667:
	s_wait_loadcnt 0x0
	global_load_b32 v4, v[6:7], off
	s_wait_loadcnt 0x0
	v_trunc_f32_e32 v4, v4
	s_delay_alu instid0(VALU_DEP_1) | instskip(NEXT) | instid1(VALU_DEP_1)
	v_mul_f32_e64 v5, 0x2f800000, |v4|
	v_floor_f32_e32 v5, v5
	s_delay_alu instid0(VALU_DEP_1) | instskip(SKIP_2) | instid1(VALU_DEP_3)
	v_fma_f32 v8, 0xcf800000, v5, |v4|
	v_ashrrev_i32_e32 v4, 31, v4
	v_cvt_u32_f32_e32 v9, v5
	v_cvt_u32_f32_e32 v8, v8
	s_delay_alu instid0(VALU_DEP_2) | instskip(NEXT) | instid1(VALU_DEP_2)
	v_dual_mov_b32 v5, v4 :: v_dual_bitop2_b32 v9, v9, v4 bitop3:0x14
	v_xor_b32_e32 v8, v8, v4
	s_delay_alu instid0(VALU_DEP_1)
	v_sub_nc_u64_e32 v[4:5], v[8:9], v[4:5]
.LBB30_1668:
	s_mov_b32 s1, 0
.LBB30_1669:
	s_delay_alu instid0(SALU_CYCLE_1)
	s_and_not1_b32 vcc_lo, exec_lo, s1
	s_cbranch_vccnz .LBB30_1671
; %bb.1670:
	s_wait_loadcnt 0x0
	global_load_u16 v4, v[6:7], off
	s_wait_loadcnt 0x0
	v_cvt_f32_f16_e32 v4, v4
	s_delay_alu instid0(VALU_DEP_1) | instskip(NEXT) | instid1(VALU_DEP_1)
	v_cvt_i32_f32_e32 v4, v4
	v_ashrrev_i32_e32 v5, 31, v4
.LBB30_1671:
	s_mov_b32 s1, 0
.LBB30_1672:
	s_delay_alu instid0(SALU_CYCLE_1)
	s_and_not1_b32 vcc_lo, exec_lo, s1
	s_cbranch_vccnz .LBB30_1692
; %bb.1673:
	s_cmp_lt_i32 s0, 2
	s_cbranch_scc1 .LBB30_1677
; %bb.1674:
	s_cmp_lt_i32 s0, 3
	s_cbranch_scc1 .LBB30_1678
; %bb.1675:
	s_cmp_gt_i32 s0, 3
	s_cbranch_scc0 .LBB30_1679
; %bb.1676:
	s_wait_loadcnt 0x0
	global_load_b64 v[4:5], v[6:7], off
	s_mov_b32 s1, 0
	s_branch .LBB30_1680
.LBB30_1677:
	s_mov_b32 s1, -1
                                        ; implicit-def: $vgpr4_vgpr5
	s_branch .LBB30_1686
.LBB30_1678:
	s_mov_b32 s1, -1
                                        ; implicit-def: $vgpr4_vgpr5
	s_branch .LBB30_1683
.LBB30_1679:
	s_mov_b32 s1, -1
                                        ; implicit-def: $vgpr4_vgpr5
.LBB30_1680:
	s_delay_alu instid0(SALU_CYCLE_1)
	s_and_not1_b32 vcc_lo, exec_lo, s1
	s_cbranch_vccnz .LBB30_1682
; %bb.1681:
	s_wait_loadcnt 0x0
	global_load_b32 v4, v[6:7], off
	s_wait_loadcnt 0x0
	v_ashrrev_i32_e32 v5, 31, v4
.LBB30_1682:
	s_mov_b32 s1, 0
.LBB30_1683:
	s_delay_alu instid0(SALU_CYCLE_1)
	s_and_not1_b32 vcc_lo, exec_lo, s1
	s_cbranch_vccnz .LBB30_1685
; %bb.1684:
	s_wait_loadcnt 0x0
	global_load_u16 v4, v[6:7], off
	s_wait_loadcnt 0x0
	v_bfe_i32 v4, v4, 0, 16
	s_delay_alu instid0(VALU_DEP_1)
	v_ashrrev_i32_e32 v5, 31, v4
.LBB30_1685:
	s_mov_b32 s1, 0
.LBB30_1686:
	s_delay_alu instid0(SALU_CYCLE_1)
	s_and_not1_b32 vcc_lo, exec_lo, s1
	s_cbranch_vccnz .LBB30_1692
; %bb.1687:
	s_cmp_gt_i32 s0, 0
	s_mov_b32 s0, 0
	s_cbranch_scc0 .LBB30_1689
; %bb.1688:
	s_wait_loadcnt 0x0
	global_load_i8 v4, v[6:7], off
	s_wait_loadcnt 0x0
	v_bfe_i32 v4, v4, 0, 16
	s_delay_alu instid0(VALU_DEP_1)
	v_ashrrev_i32_e32 v5, 31, v4
	s_branch .LBB30_1690
.LBB30_1689:
	s_mov_b32 s0, -1
                                        ; implicit-def: $vgpr4_vgpr5
.LBB30_1690:
	s_delay_alu instid0(SALU_CYCLE_1)
	s_and_not1_b32 vcc_lo, exec_lo, s0
	s_cbranch_vccnz .LBB30_1692
; %bb.1691:
	s_wait_loadcnt 0x0
	global_load_u8 v4, v[6:7], off
	s_mov_b32 s0, 0
	s_delay_alu instid0(SALU_CYCLE_1)
	v_mov_b32_e32 v5, s0
	s_wait_loadcnt 0x0
	v_and_b32_e32 v4, 0xffff, v4
.LBB30_1692:
	s_mov_b32 s31, -1
.LBB30_1693:
	s_delay_alu instid0(SALU_CYCLE_1)
	s_and_not1_b32 vcc_lo, exec_lo, s31
	s_cbranch_vccnz .LBB30_1701
; %bb.1694:
	s_wait_xcnt 0x0
	v_mul_lo_u32 v6, s27, v26
	s_and_b32 s0, s23, 0xff
	s_delay_alu instid0(SALU_CYCLE_1) | instskip(NEXT) | instid1(VALU_DEP_1)
	s_cmp_lt_i32 s0, 11
	v_ashrrev_i32_e32 v7, 31, v6
	s_delay_alu instid0(VALU_DEP_1)
	v_add_nc_u64_e32 v[8:9], s[18:19], v[6:7]
	s_cbranch_scc1 .LBB30_1702
; %bb.1695:
	s_and_b32 s1, 0xffff, s0
	s_delay_alu instid0(SALU_CYCLE_1)
	s_cmp_gt_i32 s1, 25
	s_cbranch_scc0 .LBB30_1703
; %bb.1696:
	s_cmp_gt_i32 s1, 28
	s_cbranch_scc0 .LBB30_1704
; %bb.1697:
	;; [unrolled: 3-line block ×4, first 2 shown]
	s_cmp_eq_u32 s1, 46
	s_mov_b32 s38, 0
	s_cbranch_scc0 .LBB30_1708
; %bb.1700:
	global_load_b32 v6, v[8:9], off
	s_mov_b32 s31, -1
	s_mov_b32 s84, 0
	s_wait_loadcnt 0x0
	v_lshlrev_b32_e32 v6, 16, v6
	s_delay_alu instid0(VALU_DEP_1) | instskip(NEXT) | instid1(VALU_DEP_1)
	v_trunc_f32_e32 v6, v6
	v_mul_f32_e64 v7, 0x2f800000, |v6|
	s_delay_alu instid0(VALU_DEP_1) | instskip(NEXT) | instid1(VALU_DEP_1)
	v_floor_f32_e32 v7, v7
	v_fma_f32 v10, 0xcf800000, v7, |v6|
	v_ashrrev_i32_e32 v6, 31, v6
	v_cvt_u32_f32_e32 v11, v7
	s_delay_alu instid0(VALU_DEP_3) | instskip(NEXT) | instid1(VALU_DEP_2)
	v_cvt_u32_f32_e32 v10, v10
	v_dual_mov_b32 v7, v6 :: v_dual_bitop2_b32 v11, v11, v6 bitop3:0x14
	s_delay_alu instid0(VALU_DEP_2) | instskip(NEXT) | instid1(VALU_DEP_1)
	v_xor_b32_e32 v10, v10, v6
	v_sub_nc_u64_e32 v[6:7], v[10:11], v[6:7]
	s_branch .LBB30_1710
.LBB30_1701:
	s_mov_b32 s0, 0
	s_mov_b32 s1, s76
	;; [unrolled: 1-line block ×8, first 2 shown]
	s_branch .LBB30_2045
.LBB30_1702:
	s_mov_b32 s1, -1
	s_mov_b32 s31, 0
	s_mov_b32 s84, s73
                                        ; implicit-def: $vgpr6_vgpr7
	s_branch .LBB30_1771
.LBB30_1703:
	s_mov_b32 s38, -1
	s_mov_b32 s31, 0
	s_mov_b32 s84, s73
                                        ; implicit-def: $vgpr6_vgpr7
	s_branch .LBB30_1737
.LBB30_1704:
	s_mov_b32 s38, -1
	s_mov_b32 s31, 0
	s_mov_b32 s84, s73
                                        ; implicit-def: $vgpr6_vgpr7
	s_branch .LBB30_1720
.LBB30_1705:
	s_mov_b32 s38, -1
	s_mov_b32 s31, 0
	s_mov_b32 s84, s73
                                        ; implicit-def: $vgpr6_vgpr7
	s_branch .LBB30_1715
.LBB30_1706:
	s_mov_b32 s38, -1
	s_mov_b32 s31, 0
	s_mov_b32 s84, s73
	s_branch .LBB30_1709
.LBB30_1707:
	s_mov_b32 s41, -1
	s_mov_b32 s40, 0
	s_mov_b32 s31, s56
	s_branch .LBB30_3516
.LBB30_1708:
	s_mov_b32 s84, -1
	s_mov_b32 s31, 0
.LBB30_1709:
                                        ; implicit-def: $vgpr6_vgpr7
.LBB30_1710:
	s_and_b32 vcc_lo, exec_lo, s38
	s_cbranch_vccz .LBB30_1714
; %bb.1711:
	s_cmp_eq_u32 s1, 44
	s_cbranch_scc0 .LBB30_1713
; %bb.1712:
	global_load_u8 v12, v[8:9], off
	s_mov_b32 s84, 0
	s_mov_b32 s31, -1
	s_wait_loadcnt 0x0
	v_cmp_ne_u32_e32 vcc_lo, 0, v12
	v_lshlrev_b32_e32 v6, 23, v12
	s_delay_alu instid0(VALU_DEP_1) | instskip(NEXT) | instid1(VALU_DEP_1)
	v_trunc_f32_e32 v6, v6
	v_mul_f32_e64 v7, 0x2f800000, |v6|
	s_delay_alu instid0(VALU_DEP_1) | instskip(NEXT) | instid1(VALU_DEP_1)
	v_floor_f32_e32 v7, v7
	v_fma_f32 v10, 0xcf800000, v7, |v6|
	v_ashrrev_i32_e32 v6, 31, v6
	v_cvt_u32_f32_e32 v11, v7
	s_delay_alu instid0(VALU_DEP_3) | instskip(NEXT) | instid1(VALU_DEP_2)
	v_cvt_u32_f32_e32 v10, v10
	v_dual_mov_b32 v7, v6 :: v_dual_bitop2_b32 v11, v11, v6 bitop3:0x14
	s_delay_alu instid0(VALU_DEP_2) | instskip(NEXT) | instid1(VALU_DEP_1)
	v_xor_b32_e32 v10, v10, v6
	v_sub_nc_u64_e32 v[6:7], v[10:11], v[6:7]
	s_delay_alu instid0(VALU_DEP_1)
	v_dual_cndmask_b32 v7, 0, v7 :: v_dual_cndmask_b32 v6, 0, v6
	s_branch .LBB30_1714
.LBB30_1713:
	s_mov_b32 s84, -1
                                        ; implicit-def: $vgpr6_vgpr7
.LBB30_1714:
	s_mov_b32 s38, 0
.LBB30_1715:
	s_delay_alu instid0(SALU_CYCLE_1)
	s_and_b32 vcc_lo, exec_lo, s38
	s_cbranch_vccz .LBB30_1719
; %bb.1716:
	s_cmp_eq_u32 s1, 29
	s_cbranch_scc0 .LBB30_1718
; %bb.1717:
	global_load_b64 v[6:7], v[8:9], off
	s_mov_b32 s31, -1
	s_mov_b32 s84, 0
	s_branch .LBB30_1719
.LBB30_1718:
	s_mov_b32 s84, -1
                                        ; implicit-def: $vgpr6_vgpr7
.LBB30_1719:
	s_mov_b32 s38, 0
.LBB30_1720:
	s_delay_alu instid0(SALU_CYCLE_1)
	s_and_b32 vcc_lo, exec_lo, s38
	s_cbranch_vccz .LBB30_1736
; %bb.1721:
	s_cmp_lt_i32 s1, 27
	s_cbranch_scc1 .LBB30_1724
; %bb.1722:
	s_cmp_gt_i32 s1, 27
	s_cbranch_scc0 .LBB30_1725
; %bb.1723:
	s_wait_loadcnt 0x0
	global_load_b32 v6, v[8:9], off
	v_mov_b32_e32 v7, 0
	s_mov_b32 s31, 0
	s_branch .LBB30_1726
.LBB30_1724:
	s_mov_b32 s31, -1
                                        ; implicit-def: $vgpr6_vgpr7
	s_branch .LBB30_1729
.LBB30_1725:
	s_mov_b32 s31, -1
                                        ; implicit-def: $vgpr6_vgpr7
.LBB30_1726:
	s_delay_alu instid0(SALU_CYCLE_1)
	s_and_not1_b32 vcc_lo, exec_lo, s31
	s_cbranch_vccnz .LBB30_1728
; %bb.1727:
	s_wait_loadcnt 0x0
	global_load_u16 v6, v[8:9], off
	s_mov_b32 s31, 0
	s_delay_alu instid0(SALU_CYCLE_1)
	v_mov_b32_e32 v7, s31
	s_wait_loadcnt 0x0
	v_and_b32_e32 v6, 0xffff, v6
.LBB30_1728:
	s_mov_b32 s31, 0
.LBB30_1729:
	s_delay_alu instid0(SALU_CYCLE_1)
	s_and_not1_b32 vcc_lo, exec_lo, s31
	s_cbranch_vccnz .LBB30_1735
; %bb.1730:
	global_load_u8 v10, v[8:9], off
	s_mov_b32 s38, 0
	s_mov_b32 s31, exec_lo
	s_wait_loadcnt 0x0
	v_cmpx_lt_i16_e32 0x7f, v10
	s_xor_b32 s31, exec_lo, s31
	s_cbranch_execz .LBB30_1747
; %bb.1731:
	v_cmp_ne_u16_e32 vcc_lo, 0x80, v10
	s_and_b32 s38, vcc_lo, exec_lo
	s_and_not1_saveexec_b32 s31, s31
	s_cbranch_execnz .LBB30_1748
.LBB30_1732:
	s_or_b32 exec_lo, exec_lo, s31
	v_mov_b64_e32 v[6:7], 0
	s_and_saveexec_b32 s31, s38
	s_cbranch_execz .LBB30_1734
.LBB30_1733:
	v_and_b32_e32 v6, 0xffff, v10
	s_delay_alu instid0(VALU_DEP_1) | instskip(SKIP_1) | instid1(VALU_DEP_2)
	v_and_b32_e32 v7, 7, v6
	v_bfe_u32 v13, v6, 3, 4
	v_clz_i32_u32_e32 v11, v7
	s_delay_alu instid0(VALU_DEP_2) | instskip(NEXT) | instid1(VALU_DEP_2)
	v_cmp_eq_u32_e32 vcc_lo, 0, v13
	v_min_u32_e32 v11, 32, v11
	s_delay_alu instid0(VALU_DEP_1) | instskip(NEXT) | instid1(VALU_DEP_1)
	v_subrev_nc_u32_e32 v12, 28, v11
	v_dual_lshlrev_b32 v6, v12, v6 :: v_dual_sub_nc_u32 v11, 29, v11
	s_delay_alu instid0(VALU_DEP_1) | instskip(NEXT) | instid1(VALU_DEP_2)
	v_and_b32_e32 v6, 7, v6
	v_dual_cndmask_b32 v11, v13, v11 :: v_dual_lshlrev_b32 v10, 24, v10
	s_delay_alu instid0(VALU_DEP_2) | instskip(NEXT) | instid1(VALU_DEP_2)
	v_cndmask_b32_e32 v6, v7, v6, vcc_lo
	v_and_b32_e32 v7, 0x80000000, v10
	s_delay_alu instid0(VALU_DEP_3) | instskip(NEXT) | instid1(VALU_DEP_3)
	v_lshl_add_u32 v10, v11, 23, 0x3b800000
	v_lshlrev_b32_e32 v6, 20, v6
	s_delay_alu instid0(VALU_DEP_1) | instskip(NEXT) | instid1(VALU_DEP_1)
	v_or3_b32 v6, v7, v10, v6
	v_trunc_f32_e32 v6, v6
	s_delay_alu instid0(VALU_DEP_1) | instskip(NEXT) | instid1(VALU_DEP_1)
	v_mul_f32_e64 v7, 0x2f800000, |v6|
	v_floor_f32_e32 v7, v7
	s_delay_alu instid0(VALU_DEP_1) | instskip(SKIP_2) | instid1(VALU_DEP_3)
	v_fma_f32 v10, 0xcf800000, v7, |v6|
	v_ashrrev_i32_e32 v6, 31, v6
	v_cvt_u32_f32_e32 v11, v7
	v_cvt_u32_f32_e32 v10, v10
	s_delay_alu instid0(VALU_DEP_2) | instskip(NEXT) | instid1(VALU_DEP_2)
	v_dual_mov_b32 v7, v6 :: v_dual_bitop2_b32 v11, v11, v6 bitop3:0x14
	v_xor_b32_e32 v10, v10, v6
	s_delay_alu instid0(VALU_DEP_1)
	v_sub_nc_u64_e32 v[6:7], v[10:11], v[6:7]
.LBB30_1734:
	s_or_b32 exec_lo, exec_lo, s31
.LBB30_1735:
	s_mov_b32 s31, -1
.LBB30_1736:
	s_mov_b32 s38, 0
.LBB30_1737:
	s_delay_alu instid0(SALU_CYCLE_1)
	s_and_b32 vcc_lo, exec_lo, s38
	s_cbranch_vccz .LBB30_1770
; %bb.1738:
	s_cmp_gt_i32 s1, 22
	s_cbranch_scc0 .LBB30_1746
; %bb.1739:
	s_cmp_lt_i32 s1, 24
	s_cbranch_scc1 .LBB30_1749
; %bb.1740:
	s_cmp_gt_i32 s1, 24
	s_cbranch_scc0 .LBB30_1750
; %bb.1741:
	global_load_u8 v10, v[8:9], off
	s_mov_b32 s38, 0
	s_mov_b32 s31, exec_lo
	s_wait_loadcnt 0x0
	v_cmpx_lt_i16_e32 0x7f, v10
	s_xor_b32 s31, exec_lo, s31
	s_cbranch_execz .LBB30_1762
; %bb.1742:
	v_cmp_ne_u16_e32 vcc_lo, 0x80, v10
	s_and_b32 s38, vcc_lo, exec_lo
	s_and_not1_saveexec_b32 s31, s31
	s_cbranch_execnz .LBB30_1763
.LBB30_1743:
	s_or_b32 exec_lo, exec_lo, s31
	v_mov_b64_e32 v[6:7], 0
	s_and_saveexec_b32 s31, s38
	s_cbranch_execz .LBB30_1745
.LBB30_1744:
	v_and_b32_e32 v6, 0xffff, v10
	s_delay_alu instid0(VALU_DEP_1) | instskip(SKIP_1) | instid1(VALU_DEP_2)
	v_and_b32_e32 v7, 3, v6
	v_bfe_u32 v13, v6, 2, 5
	v_clz_i32_u32_e32 v11, v7
	s_delay_alu instid0(VALU_DEP_2) | instskip(NEXT) | instid1(VALU_DEP_2)
	v_cmp_eq_u32_e32 vcc_lo, 0, v13
	v_min_u32_e32 v11, 32, v11
	s_delay_alu instid0(VALU_DEP_1) | instskip(NEXT) | instid1(VALU_DEP_1)
	v_subrev_nc_u32_e32 v12, 29, v11
	v_dual_lshlrev_b32 v6, v12, v6 :: v_dual_sub_nc_u32 v11, 30, v11
	s_delay_alu instid0(VALU_DEP_1) | instskip(NEXT) | instid1(VALU_DEP_2)
	v_and_b32_e32 v6, 3, v6
	v_dual_cndmask_b32 v11, v13, v11 :: v_dual_lshlrev_b32 v10, 24, v10
	s_delay_alu instid0(VALU_DEP_2) | instskip(NEXT) | instid1(VALU_DEP_2)
	v_cndmask_b32_e32 v6, v7, v6, vcc_lo
	v_and_b32_e32 v7, 0x80000000, v10
	s_delay_alu instid0(VALU_DEP_3) | instskip(NEXT) | instid1(VALU_DEP_3)
	v_lshl_add_u32 v10, v11, 23, 0x37800000
	v_lshlrev_b32_e32 v6, 21, v6
	s_delay_alu instid0(VALU_DEP_1) | instskip(NEXT) | instid1(VALU_DEP_1)
	v_or3_b32 v6, v7, v10, v6
	v_trunc_f32_e32 v6, v6
	s_delay_alu instid0(VALU_DEP_1) | instskip(NEXT) | instid1(VALU_DEP_1)
	v_mul_f32_e64 v7, 0x2f800000, |v6|
	v_floor_f32_e32 v7, v7
	s_delay_alu instid0(VALU_DEP_1) | instskip(SKIP_2) | instid1(VALU_DEP_3)
	v_fma_f32 v10, 0xcf800000, v7, |v6|
	v_ashrrev_i32_e32 v6, 31, v6
	v_cvt_u32_f32_e32 v11, v7
	v_cvt_u32_f32_e32 v10, v10
	s_delay_alu instid0(VALU_DEP_2) | instskip(NEXT) | instid1(VALU_DEP_2)
	v_dual_mov_b32 v7, v6 :: v_dual_bitop2_b32 v11, v11, v6 bitop3:0x14
	v_xor_b32_e32 v10, v10, v6
	s_delay_alu instid0(VALU_DEP_1)
	v_sub_nc_u64_e32 v[6:7], v[10:11], v[6:7]
.LBB30_1745:
	s_or_b32 exec_lo, exec_lo, s31
	s_mov_b32 s31, 0
	s_branch .LBB30_1751
.LBB30_1746:
	s_mov_b32 s38, -1
                                        ; implicit-def: $vgpr6_vgpr7
	s_branch .LBB30_1757
.LBB30_1747:
	s_and_not1_saveexec_b32 s31, s31
	s_cbranch_execz .LBB30_1732
.LBB30_1748:
	v_cmp_ne_u16_e32 vcc_lo, 0, v10
	s_and_not1_b32 s38, s38, exec_lo
	s_and_b32 s39, vcc_lo, exec_lo
	s_delay_alu instid0(SALU_CYCLE_1)
	s_or_b32 s38, s38, s39
	s_or_b32 exec_lo, exec_lo, s31
	v_mov_b64_e32 v[6:7], 0
	s_and_saveexec_b32 s31, s38
	s_cbranch_execnz .LBB30_1733
	s_branch .LBB30_1734
.LBB30_1749:
	s_mov_b32 s31, -1
                                        ; implicit-def: $vgpr6_vgpr7
	s_branch .LBB30_1754
.LBB30_1750:
	s_mov_b32 s31, -1
                                        ; implicit-def: $vgpr6_vgpr7
.LBB30_1751:
	s_delay_alu instid0(SALU_CYCLE_1)
	s_and_b32 vcc_lo, exec_lo, s31
	s_cbranch_vccz .LBB30_1753
; %bb.1752:
	s_wait_loadcnt 0x0
	global_load_u8 v6, v[8:9], off
	s_wait_loadcnt 0x0
	v_lshlrev_b32_e32 v6, 24, v6
	s_delay_alu instid0(VALU_DEP_1) | instskip(NEXT) | instid1(VALU_DEP_1)
	v_and_b32_e32 v7, 0x7f000000, v6
	v_clz_i32_u32_e32 v10, v7
	v_cmp_ne_u32_e32 vcc_lo, 0, v7
	v_add_nc_u32_e32 v12, 0x1000000, v7
	s_delay_alu instid0(VALU_DEP_3) | instskip(NEXT) | instid1(VALU_DEP_1)
	v_min_u32_e32 v10, 32, v10
	v_sub_nc_u32_e64 v10, v10, 4 clamp
	s_delay_alu instid0(VALU_DEP_1) | instskip(NEXT) | instid1(VALU_DEP_1)
	v_dual_lshlrev_b32 v11, v10, v7 :: v_dual_lshlrev_b32 v10, 23, v10
	v_lshrrev_b32_e32 v11, 4, v11
	s_delay_alu instid0(VALU_DEP_1) | instskip(NEXT) | instid1(VALU_DEP_1)
	v_dual_sub_nc_u32 v10, v11, v10 :: v_dual_ashrrev_i32 v11, 8, v12
	v_add_nc_u32_e32 v10, 0x3c000000, v10
	s_delay_alu instid0(VALU_DEP_1) | instskip(NEXT) | instid1(VALU_DEP_1)
	v_and_or_b32 v10, 0x7f800000, v11, v10
	v_cndmask_b32_e32 v7, 0, v10, vcc_lo
	s_delay_alu instid0(VALU_DEP_1) | instskip(NEXT) | instid1(VALU_DEP_1)
	v_and_or_b32 v6, 0x80000000, v6, v7
	v_trunc_f32_e32 v6, v6
	s_delay_alu instid0(VALU_DEP_1) | instskip(NEXT) | instid1(VALU_DEP_1)
	v_mul_f32_e64 v7, 0x2f800000, |v6|
	v_floor_f32_e32 v7, v7
	s_delay_alu instid0(VALU_DEP_1) | instskip(SKIP_2) | instid1(VALU_DEP_3)
	v_fma_f32 v10, 0xcf800000, v7, |v6|
	v_ashrrev_i32_e32 v6, 31, v6
	v_cvt_u32_f32_e32 v11, v7
	v_cvt_u32_f32_e32 v10, v10
	s_delay_alu instid0(VALU_DEP_2) | instskip(NEXT) | instid1(VALU_DEP_2)
	v_dual_mov_b32 v7, v6 :: v_dual_bitop2_b32 v11, v11, v6 bitop3:0x14
	v_xor_b32_e32 v10, v10, v6
	s_delay_alu instid0(VALU_DEP_1)
	v_sub_nc_u64_e32 v[6:7], v[10:11], v[6:7]
.LBB30_1753:
	s_mov_b32 s31, 0
.LBB30_1754:
	s_delay_alu instid0(SALU_CYCLE_1)
	s_and_not1_b32 vcc_lo, exec_lo, s31
	s_cbranch_vccnz .LBB30_1756
; %bb.1755:
	s_wait_loadcnt 0x0
	global_load_u8 v6, v[8:9], off
	s_wait_loadcnt 0x0
	v_lshlrev_b32_e32 v7, 25, v6
	v_lshlrev_b16 v6, 8, v6
	s_delay_alu instid0(VALU_DEP_1) | instskip(SKIP_1) | instid1(VALU_DEP_2)
	v_and_or_b32 v11, 0x7f00, v6, 0.5
	v_bfe_i32 v6, v6, 0, 16
	v_add_f32_e32 v11, -0.5, v11
	v_lshrrev_b32_e32 v10, 4, v7
	v_cmp_gt_u32_e32 vcc_lo, 0x8000000, v7
	s_delay_alu instid0(VALU_DEP_2) | instskip(NEXT) | instid1(VALU_DEP_1)
	v_or_b32_e32 v10, 0x70000000, v10
	v_mul_f32_e32 v10, 0x7800000, v10
	s_delay_alu instid0(VALU_DEP_1) | instskip(NEXT) | instid1(VALU_DEP_1)
	v_cndmask_b32_e32 v7, v10, v11, vcc_lo
	v_and_or_b32 v6, 0x80000000, v6, v7
	s_delay_alu instid0(VALU_DEP_1) | instskip(NEXT) | instid1(VALU_DEP_1)
	v_trunc_f32_e32 v6, v6
	v_mul_f32_e64 v7, 0x2f800000, |v6|
	s_delay_alu instid0(VALU_DEP_1) | instskip(NEXT) | instid1(VALU_DEP_1)
	v_floor_f32_e32 v7, v7
	v_fma_f32 v10, 0xcf800000, v7, |v6|
	v_ashrrev_i32_e32 v6, 31, v6
	v_cvt_u32_f32_e32 v11, v7
	s_delay_alu instid0(VALU_DEP_3) | instskip(NEXT) | instid1(VALU_DEP_2)
	v_cvt_u32_f32_e32 v10, v10
	v_dual_mov_b32 v7, v6 :: v_dual_bitop2_b32 v11, v11, v6 bitop3:0x14
	s_delay_alu instid0(VALU_DEP_2) | instskip(NEXT) | instid1(VALU_DEP_1)
	v_xor_b32_e32 v10, v10, v6
	v_sub_nc_u64_e32 v[6:7], v[10:11], v[6:7]
.LBB30_1756:
	s_mov_b32 s38, 0
	s_mov_b32 s31, -1
.LBB30_1757:
	s_and_not1_b32 vcc_lo, exec_lo, s38
	s_cbranch_vccnz .LBB30_1770
; %bb.1758:
	s_cmp_gt_i32 s1, 14
	s_cbranch_scc0 .LBB30_1761
; %bb.1759:
	s_cmp_eq_u32 s1, 15
	s_cbranch_scc0 .LBB30_1764
; %bb.1760:
	s_wait_loadcnt 0x0
	global_load_u16 v6, v[8:9], off
	s_mov_b32 s31, -1
	s_mov_b32 s84, 0
	s_wait_loadcnt 0x0
	v_lshlrev_b32_e32 v6, 16, v6
	s_delay_alu instid0(VALU_DEP_1) | instskip(NEXT) | instid1(VALU_DEP_1)
	v_trunc_f32_e32 v6, v6
	v_mul_f32_e64 v7, 0x2f800000, |v6|
	s_delay_alu instid0(VALU_DEP_1) | instskip(NEXT) | instid1(VALU_DEP_1)
	v_floor_f32_e32 v7, v7
	v_fma_f32 v10, 0xcf800000, v7, |v6|
	v_ashrrev_i32_e32 v6, 31, v6
	v_cvt_u32_f32_e32 v11, v7
	s_delay_alu instid0(VALU_DEP_3) | instskip(NEXT) | instid1(VALU_DEP_2)
	v_cvt_u32_f32_e32 v10, v10
	v_dual_mov_b32 v7, v6 :: v_dual_bitop2_b32 v11, v11, v6 bitop3:0x14
	s_delay_alu instid0(VALU_DEP_2) | instskip(NEXT) | instid1(VALU_DEP_1)
	v_xor_b32_e32 v10, v10, v6
	v_sub_nc_u64_e32 v[6:7], v[10:11], v[6:7]
	s_branch .LBB30_1765
.LBB30_1761:
	s_mov_b32 s38, -1
                                        ; implicit-def: $vgpr6_vgpr7
	s_branch .LBB30_1766
.LBB30_1762:
	s_and_not1_saveexec_b32 s31, s31
	s_cbranch_execz .LBB30_1743
.LBB30_1763:
	v_cmp_ne_u16_e32 vcc_lo, 0, v10
	s_and_not1_b32 s38, s38, exec_lo
	s_and_b32 s39, vcc_lo, exec_lo
	s_delay_alu instid0(SALU_CYCLE_1)
	s_or_b32 s38, s38, s39
	s_or_b32 exec_lo, exec_lo, s31
	v_mov_b64_e32 v[6:7], 0
	s_and_saveexec_b32 s31, s38
	s_cbranch_execnz .LBB30_1744
	s_branch .LBB30_1745
.LBB30_1764:
	s_mov_b32 s84, -1
                                        ; implicit-def: $vgpr6_vgpr7
.LBB30_1765:
	s_mov_b32 s38, 0
.LBB30_1766:
	s_delay_alu instid0(SALU_CYCLE_1)
	s_and_b32 vcc_lo, exec_lo, s38
	s_cbranch_vccz .LBB30_1770
; %bb.1767:
	s_cmp_eq_u32 s1, 11
	s_cbranch_scc0 .LBB30_1769
; %bb.1768:
	s_wait_loadcnt 0x0
	global_load_u8 v6, v[8:9], off
	s_mov_b32 s84, 0
	s_mov_b32 s31, -1
	v_mov_b32_e32 v7, s84
	s_wait_loadcnt 0x0
	v_cmp_ne_u16_e32 vcc_lo, 0, v6
	v_cndmask_b32_e64 v6, 0, 1, vcc_lo
	s_branch .LBB30_1770
.LBB30_1769:
	s_mov_b32 s84, -1
                                        ; implicit-def: $vgpr6_vgpr7
.LBB30_1770:
	s_mov_b32 s1, 0
.LBB30_1771:
	s_delay_alu instid0(SALU_CYCLE_1)
	s_and_b32 vcc_lo, exec_lo, s1
	s_cbranch_vccz .LBB30_1820
; %bb.1772:
	s_and_b32 s0, 0xffff, s0
	s_delay_alu instid0(SALU_CYCLE_1)
	s_cmp_lt_i32 s0, 5
	s_cbranch_scc1 .LBB30_1777
; %bb.1773:
	s_cmp_lt_i32 s0, 8
	s_cbranch_scc1 .LBB30_1778
; %bb.1774:
	;; [unrolled: 3-line block ×3, first 2 shown]
	s_cmp_gt_i32 s0, 9
	s_cbranch_scc0 .LBB30_1780
; %bb.1776:
	s_wait_loadcnt 0x0
	global_load_b64 v[6:7], v[8:9], off
	s_mov_b32 s1, 0
	s_wait_loadcnt 0x0
	v_trunc_f64_e32 v[6:7], v[6:7]
	s_delay_alu instid0(VALU_DEP_1) | instskip(NEXT) | instid1(VALU_DEP_1)
	v_ldexp_f64 v[10:11], v[6:7], 0xffffffe0
	v_floor_f64_e32 v[10:11], v[10:11]
	s_delay_alu instid0(VALU_DEP_1) | instskip(SKIP_1) | instid1(VALU_DEP_2)
	v_fmamk_f64 v[12:13], v[10:11], 0xc1f00000, v[6:7]
	v_cvt_i32_f64_e32 v7, v[10:11]
	v_cvt_u32_f64_e32 v6, v[12:13]
	s_branch .LBB30_1781
.LBB30_1777:
	s_mov_b32 s1, -1
                                        ; implicit-def: $vgpr6_vgpr7
	s_branch .LBB30_1799
.LBB30_1778:
	s_mov_b32 s1, -1
                                        ; implicit-def: $vgpr6_vgpr7
	s_branch .LBB30_1787
.LBB30_1779:
	s_mov_b32 s1, -1
                                        ; implicit-def: $vgpr6_vgpr7
	s_branch .LBB30_1784
.LBB30_1780:
	s_mov_b32 s1, -1
                                        ; implicit-def: $vgpr6_vgpr7
.LBB30_1781:
	s_delay_alu instid0(SALU_CYCLE_1)
	s_and_not1_b32 vcc_lo, exec_lo, s1
	s_cbranch_vccnz .LBB30_1783
; %bb.1782:
	s_wait_loadcnt 0x0
	global_load_b32 v6, v[8:9], off
	s_wait_loadcnt 0x0
	v_trunc_f32_e32 v6, v6
	s_delay_alu instid0(VALU_DEP_1) | instskip(NEXT) | instid1(VALU_DEP_1)
	v_mul_f32_e64 v7, 0x2f800000, |v6|
	v_floor_f32_e32 v7, v7
	s_delay_alu instid0(VALU_DEP_1) | instskip(SKIP_2) | instid1(VALU_DEP_3)
	v_fma_f32 v10, 0xcf800000, v7, |v6|
	v_ashrrev_i32_e32 v6, 31, v6
	v_cvt_u32_f32_e32 v11, v7
	v_cvt_u32_f32_e32 v10, v10
	s_delay_alu instid0(VALU_DEP_2) | instskip(NEXT) | instid1(VALU_DEP_2)
	v_dual_mov_b32 v7, v6 :: v_dual_bitop2_b32 v11, v11, v6 bitop3:0x14
	v_xor_b32_e32 v10, v10, v6
	s_delay_alu instid0(VALU_DEP_1)
	v_sub_nc_u64_e32 v[6:7], v[10:11], v[6:7]
.LBB30_1783:
	s_mov_b32 s1, 0
.LBB30_1784:
	s_delay_alu instid0(SALU_CYCLE_1)
	s_and_not1_b32 vcc_lo, exec_lo, s1
	s_cbranch_vccnz .LBB30_1786
; %bb.1785:
	s_wait_loadcnt 0x0
	global_load_b32 v6, v[8:9], off
	s_wait_loadcnt 0x0
	v_cvt_f32_f16_e32 v6, v6
	s_delay_alu instid0(VALU_DEP_1) | instskip(NEXT) | instid1(VALU_DEP_1)
	v_cvt_i32_f32_e32 v6, v6
	v_ashrrev_i32_e32 v7, 31, v6
.LBB30_1786:
	s_mov_b32 s1, 0
.LBB30_1787:
	s_delay_alu instid0(SALU_CYCLE_1)
	s_and_not1_b32 vcc_lo, exec_lo, s1
	s_cbranch_vccnz .LBB30_1798
; %bb.1788:
	s_cmp_lt_i32 s0, 6
	s_cbranch_scc1 .LBB30_1791
; %bb.1789:
	s_cmp_gt_i32 s0, 6
	s_cbranch_scc0 .LBB30_1792
; %bb.1790:
	s_wait_loadcnt 0x0
	global_load_b64 v[6:7], v[8:9], off
	s_mov_b32 s1, 0
	s_wait_loadcnt 0x0
	v_trunc_f64_e32 v[6:7], v[6:7]
	s_delay_alu instid0(VALU_DEP_1) | instskip(NEXT) | instid1(VALU_DEP_1)
	v_ldexp_f64 v[10:11], v[6:7], 0xffffffe0
	v_floor_f64_e32 v[10:11], v[10:11]
	s_delay_alu instid0(VALU_DEP_1) | instskip(SKIP_1) | instid1(VALU_DEP_2)
	v_fmamk_f64 v[12:13], v[10:11], 0xc1f00000, v[6:7]
	v_cvt_i32_f64_e32 v7, v[10:11]
	v_cvt_u32_f64_e32 v6, v[12:13]
	s_branch .LBB30_1793
.LBB30_1791:
	s_mov_b32 s1, -1
                                        ; implicit-def: $vgpr6_vgpr7
	s_branch .LBB30_1796
.LBB30_1792:
	s_mov_b32 s1, -1
                                        ; implicit-def: $vgpr6_vgpr7
.LBB30_1793:
	s_delay_alu instid0(SALU_CYCLE_1)
	s_and_not1_b32 vcc_lo, exec_lo, s1
	s_cbranch_vccnz .LBB30_1795
; %bb.1794:
	s_wait_loadcnt 0x0
	global_load_b32 v6, v[8:9], off
	s_wait_loadcnt 0x0
	v_trunc_f32_e32 v6, v6
	s_delay_alu instid0(VALU_DEP_1) | instskip(NEXT) | instid1(VALU_DEP_1)
	v_mul_f32_e64 v7, 0x2f800000, |v6|
	v_floor_f32_e32 v7, v7
	s_delay_alu instid0(VALU_DEP_1) | instskip(SKIP_2) | instid1(VALU_DEP_3)
	v_fma_f32 v10, 0xcf800000, v7, |v6|
	v_ashrrev_i32_e32 v6, 31, v6
	v_cvt_u32_f32_e32 v11, v7
	v_cvt_u32_f32_e32 v10, v10
	s_delay_alu instid0(VALU_DEP_2) | instskip(NEXT) | instid1(VALU_DEP_2)
	v_dual_mov_b32 v7, v6 :: v_dual_bitop2_b32 v11, v11, v6 bitop3:0x14
	v_xor_b32_e32 v10, v10, v6
	s_delay_alu instid0(VALU_DEP_1)
	v_sub_nc_u64_e32 v[6:7], v[10:11], v[6:7]
.LBB30_1795:
	s_mov_b32 s1, 0
.LBB30_1796:
	s_delay_alu instid0(SALU_CYCLE_1)
	s_and_not1_b32 vcc_lo, exec_lo, s1
	s_cbranch_vccnz .LBB30_1798
; %bb.1797:
	s_wait_loadcnt 0x0
	global_load_u16 v6, v[8:9], off
	s_wait_loadcnt 0x0
	v_cvt_f32_f16_e32 v6, v6
	s_delay_alu instid0(VALU_DEP_1) | instskip(NEXT) | instid1(VALU_DEP_1)
	v_cvt_i32_f32_e32 v6, v6
	v_ashrrev_i32_e32 v7, 31, v6
.LBB30_1798:
	s_mov_b32 s1, 0
.LBB30_1799:
	s_delay_alu instid0(SALU_CYCLE_1)
	s_and_not1_b32 vcc_lo, exec_lo, s1
	s_cbranch_vccnz .LBB30_1819
; %bb.1800:
	s_cmp_lt_i32 s0, 2
	s_cbranch_scc1 .LBB30_1804
; %bb.1801:
	s_cmp_lt_i32 s0, 3
	s_cbranch_scc1 .LBB30_1805
; %bb.1802:
	s_cmp_gt_i32 s0, 3
	s_cbranch_scc0 .LBB30_1806
; %bb.1803:
	s_wait_loadcnt 0x0
	global_load_b64 v[6:7], v[8:9], off
	s_mov_b32 s1, 0
	s_branch .LBB30_1807
.LBB30_1804:
	s_mov_b32 s1, -1
                                        ; implicit-def: $vgpr6_vgpr7
	s_branch .LBB30_1813
.LBB30_1805:
	s_mov_b32 s1, -1
                                        ; implicit-def: $vgpr6_vgpr7
	s_branch .LBB30_1810
.LBB30_1806:
	s_mov_b32 s1, -1
                                        ; implicit-def: $vgpr6_vgpr7
.LBB30_1807:
	s_delay_alu instid0(SALU_CYCLE_1)
	s_and_not1_b32 vcc_lo, exec_lo, s1
	s_cbranch_vccnz .LBB30_1809
; %bb.1808:
	s_wait_loadcnt 0x0
	global_load_b32 v6, v[8:9], off
	s_wait_loadcnt 0x0
	v_ashrrev_i32_e32 v7, 31, v6
.LBB30_1809:
	s_mov_b32 s1, 0
.LBB30_1810:
	s_delay_alu instid0(SALU_CYCLE_1)
	s_and_not1_b32 vcc_lo, exec_lo, s1
	s_cbranch_vccnz .LBB30_1812
; %bb.1811:
	s_wait_loadcnt 0x0
	global_load_u16 v6, v[8:9], off
	s_wait_loadcnt 0x0
	v_bfe_i32 v6, v6, 0, 16
	s_delay_alu instid0(VALU_DEP_1)
	v_ashrrev_i32_e32 v7, 31, v6
.LBB30_1812:
	s_mov_b32 s1, 0
.LBB30_1813:
	s_delay_alu instid0(SALU_CYCLE_1)
	s_and_not1_b32 vcc_lo, exec_lo, s1
	s_cbranch_vccnz .LBB30_1819
; %bb.1814:
	s_cmp_gt_i32 s0, 0
	s_mov_b32 s0, 0
	s_cbranch_scc0 .LBB30_1816
; %bb.1815:
	s_wait_loadcnt 0x0
	global_load_i8 v6, v[8:9], off
	s_wait_loadcnt 0x0
	v_bfe_i32 v6, v6, 0, 16
	s_delay_alu instid0(VALU_DEP_1)
	v_ashrrev_i32_e32 v7, 31, v6
	s_branch .LBB30_1817
.LBB30_1816:
	s_mov_b32 s0, -1
                                        ; implicit-def: $vgpr6_vgpr7
.LBB30_1817:
	s_delay_alu instid0(SALU_CYCLE_1)
	s_and_not1_b32 vcc_lo, exec_lo, s0
	s_cbranch_vccnz .LBB30_1819
; %bb.1818:
	s_wait_loadcnt 0x0
	global_load_u8 v6, v[8:9], off
	s_mov_b32 s0, 0
	s_delay_alu instid0(SALU_CYCLE_1)
	v_mov_b32_e32 v7, s0
	s_wait_loadcnt 0x0
	v_and_b32_e32 v6, 0xffff, v6
.LBB30_1819:
	s_mov_b32 s31, -1
.LBB30_1820:
	s_delay_alu instid0(SALU_CYCLE_1)
	s_and_not1_b32 vcc_lo, exec_lo, s31
	s_cbranch_vccnz .LBB30_1828
; %bb.1821:
	s_wait_xcnt 0x0
	v_mul_lo_u32 v8, s53, v26
	s_and_b32 s0, s54, 0xff
	s_delay_alu instid0(SALU_CYCLE_1) | instskip(NEXT) | instid1(VALU_DEP_1)
	s_cmp_lt_i32 s0, 11
	v_ashrrev_i32_e32 v9, 31, v8
	s_delay_alu instid0(VALU_DEP_1)
	v_add_nc_u64_e32 v[8:9], s[34:35], v[8:9]
	s_cbranch_scc1 .LBB30_1829
; %bb.1822:
	s_and_b32 s1, 0xffff, s0
	s_delay_alu instid0(SALU_CYCLE_1)
	s_cmp_gt_i32 s1, 25
	s_cbranch_scc0 .LBB30_1830
; %bb.1823:
	s_cmp_gt_i32 s1, 28
	s_cbranch_scc0 .LBB30_1831
; %bb.1824:
	;; [unrolled: 3-line block ×4, first 2 shown]
	s_cmp_eq_u32 s1, 46
	s_mov_b32 s38, 0
	s_cbranch_scc0 .LBB30_1921
; %bb.1827:
	global_load_b32 v10, v[8:9], off
	s_mov_b32 s31, -1
	s_mov_b32 s85, 0
	s_wait_loadcnt 0x0
	v_lshlrev_b32_e32 v10, 16, v10
	s_delay_alu instid0(VALU_DEP_1) | instskip(NEXT) | instid1(VALU_DEP_1)
	v_trunc_f32_e32 v10, v10
	v_mul_f32_e64 v11, 0x2f800000, |v10|
	s_delay_alu instid0(VALU_DEP_1) | instskip(NEXT) | instid1(VALU_DEP_1)
	v_floor_f32_e32 v11, v11
	v_fma_f32 v12, 0xcf800000, v11, |v10|
	v_ashrrev_i32_e32 v10, 31, v10
	v_cvt_u32_f32_e32 v13, v11
	s_delay_alu instid0(VALU_DEP_3) | instskip(NEXT) | instid1(VALU_DEP_2)
	v_cvt_u32_f32_e32 v12, v12
	v_dual_mov_b32 v11, v10 :: v_dual_bitop2_b32 v13, v13, v10 bitop3:0x14
	s_delay_alu instid0(VALU_DEP_2) | instskip(NEXT) | instid1(VALU_DEP_1)
	v_xor_b32_e32 v12, v12, v10
	v_sub_nc_u64_e32 v[10:11], v[12:13], v[10:11]
	s_branch .LBB30_1923
.LBB30_1828:
	s_mov_b32 s0, 0
	s_mov_b32 s1, s76
	;; [unrolled: 1-line block ×7, first 2 shown]
	s_branch .LBB30_2045
.LBB30_1829:
	s_mov_b32 s1, -1
	s_mov_b32 s31, 0
	s_mov_b32 s85, s72
                                        ; implicit-def: $vgpr10_vgpr11
	s_branch .LBB30_1984
.LBB30_1830:
	s_mov_b32 s38, -1
	s_mov_b32 s31, 0
	s_mov_b32 s85, s72
                                        ; implicit-def: $vgpr10_vgpr11
	s_branch .LBB30_1950
.LBB30_1831:
	s_mov_b32 s38, -1
	s_mov_b32 s31, 0
	s_mov_b32 s85, s72
                                        ; implicit-def: $vgpr10_vgpr11
	s_branch .LBB30_1933
.LBB30_1832:
	s_mov_b32 s38, -1
	s_mov_b32 s31, 0
	s_mov_b32 s85, s72
                                        ; implicit-def: $vgpr10_vgpr11
	s_branch .LBB30_1928
.LBB30_1833:
	s_mov_b32 s38, -1
	s_mov_b32 s31, 0
	s_mov_b32 s85, s72
	s_branch .LBB30_1922
.LBB30_1834:
	s_mov_b32 s41, -1
	s_mov_b32 s31, 0
	s_mov_b32 s40, 0
.LBB30_1835:
	s_and_b32 vcc_lo, exec_lo, s41
	s_cbranch_vccz .LBB30_1838
; %bb.1836:
	s_cmp_eq_u32 s39, 44
	s_mov_b32 s31, -1
	s_cbranch_scc0 .LBB30_1838
; %bb.1837:
	s_wait_xcnt 0x0
	v_mov_b32_e32 v2, 0
	s_mov_b32 s40, -1
	s_mov_b32 s31, 0
	s_mov_b32 s41, 0
	global_store_b8 v[0:1], v2, off
	s_branch .LBB30_1839
.LBB30_1838:
	s_mov_b32 s41, 0
.LBB30_1839:
	s_delay_alu instid0(SALU_CYCLE_1)
	s_and_b32 vcc_lo, exec_lo, s41
	s_cbranch_vccz .LBB30_1842
; %bb.1840:
	s_cmp_eq_u32 s39, 29
	s_mov_b32 s31, -1
	s_cbranch_scc0 .LBB30_1842
; %bb.1841:
	s_wait_xcnt 0x0
	v_mov_b64_e32 v[2:3], 0
	s_mov_b32 s40, -1
	s_mov_b32 s31, 0
	s_mov_b32 s41, 0
	global_store_b64 v[0:1], v[2:3], off
	s_branch .LBB30_1843
.LBB30_1842:
	s_mov_b32 s41, 0
.LBB30_1843:
	s_delay_alu instid0(SALU_CYCLE_1)
	s_and_b32 vcc_lo, exec_lo, s41
	s_cbranch_vccz .LBB30_1853
; %bb.1844:
	s_cmp_lt_i32 s39, 27
	s_mov_b32 s40, -1
	s_cbranch_scc1 .LBB30_1850
; %bb.1845:
	s_cmp_gt_i32 s39, 27
	s_cbranch_scc0 .LBB30_1847
; %bb.1846:
	s_wait_xcnt 0x0
	v_mov_b32_e32 v2, 0
	s_mov_b32 s40, 0
	global_store_b32 v[0:1], v2, off
.LBB30_1847:
	s_and_not1_b32 vcc_lo, exec_lo, s40
	s_cbranch_vccnz .LBB30_1849
; %bb.1848:
	s_wait_xcnt 0x0
	v_mov_b32_e32 v2, 0
	global_store_b16 v[0:1], v2, off
.LBB30_1849:
	s_mov_b32 s40, 0
.LBB30_1850:
	s_delay_alu instid0(SALU_CYCLE_1)
	s_and_not1_b32 vcc_lo, exec_lo, s40
	s_cbranch_vccnz .LBB30_1852
; %bb.1851:
	s_wait_xcnt 0x0
	v_mov_b32_e32 v2, 0
	global_store_b8 v[0:1], v2, off
.LBB30_1852:
	s_mov_b32 s40, -1
.LBB30_1853:
	s_mov_b32 s41, 0
.LBB30_1854:
	s_delay_alu instid0(SALU_CYCLE_1)
	s_and_b32 vcc_lo, exec_lo, s41
	s_cbranch_vccz .LBB30_1873
; %bb.1855:
	s_cmp_gt_i32 s39, 22
	s_mov_b32 s41, -1
	s_cbranch_scc0 .LBB30_1865
; %bb.1856:
	s_cmp_lt_i32 s39, 24
	s_mov_b32 s40, -1
	s_cbranch_scc1 .LBB30_1862
; %bb.1857:
	s_cmp_gt_i32 s39, 24
	s_cbranch_scc0 .LBB30_1859
; %bb.1858:
	s_wait_xcnt 0x0
	v_mov_b32_e32 v2, 0
	s_mov_b32 s40, 0
	global_store_b8 v[0:1], v2, off
.LBB30_1859:
	s_and_not1_b32 vcc_lo, exec_lo, s40
	s_cbranch_vccnz .LBB30_1861
; %bb.1860:
	s_wait_xcnt 0x0
	v_mov_b32_e32 v2, 0
	global_store_b8 v[0:1], v2, off
.LBB30_1861:
	s_mov_b32 s40, 0
.LBB30_1862:
	s_delay_alu instid0(SALU_CYCLE_1)
	s_and_not1_b32 vcc_lo, exec_lo, s40
	s_cbranch_vccnz .LBB30_1864
; %bb.1863:
	s_wait_xcnt 0x0
	v_mov_b32_e32 v2, 0
	global_store_b8 v[0:1], v2, off
.LBB30_1864:
	s_mov_b32 s41, 0
	s_mov_b32 s40, -1
.LBB30_1865:
	s_and_not1_b32 vcc_lo, exec_lo, s41
	s_cbranch_vccnz .LBB30_1873
; %bb.1866:
	s_cmp_gt_i32 s39, 14
	s_mov_b32 s41, -1
	s_cbranch_scc0 .LBB30_1870
; %bb.1867:
	s_cmp_eq_u32 s39, 15
	s_mov_b32 s31, -1
	s_cbranch_scc0 .LBB30_1869
; %bb.1868:
	s_wait_xcnt 0x0
	v_mov_b32_e32 v2, 0
	s_mov_b32 s40, -1
	s_mov_b32 s31, 0
	global_store_b16 v[0:1], v2, off
.LBB30_1869:
	s_mov_b32 s41, 0
.LBB30_1870:
	s_delay_alu instid0(SALU_CYCLE_1)
	s_and_b32 vcc_lo, exec_lo, s41
	s_cbranch_vccz .LBB30_1873
; %bb.1871:
	s_cmp_eq_u32 s39, 11
	s_mov_b32 s31, -1
	s_cbranch_scc0 .LBB30_1873
; %bb.1872:
	s_wait_xcnt 0x0
	v_mov_b32_e32 v2, 0
	s_mov_b32 s40, -1
	s_mov_b32 s31, 0
	global_store_b8 v[0:1], v2, off
.LBB30_1873:
	s_mov_b32 s39, 0
.LBB30_1874:
	s_delay_alu instid0(SALU_CYCLE_1)
	s_and_b32 vcc_lo, exec_lo, s39
	s_cbranch_vccz .LBB30_1913
; %bb.1875:
	s_and_b32 s38, 0xffff, s38
	s_mov_b32 s39, -1
	s_cmp_lt_i32 s38, 5
	s_cbranch_scc1 .LBB30_1896
; %bb.1876:
	s_cmp_lt_i32 s38, 8
	s_cbranch_scc1 .LBB30_1886
; %bb.1877:
	;; [unrolled: 3-line block ×3, first 2 shown]
	s_cmp_gt_i32 s38, 9
	s_cbranch_scc0 .LBB30_1880
; %bb.1879:
	s_wait_xcnt 0x0
	v_mov_b32_e32 v2, 0
	s_mov_b32 s39, 0
	s_delay_alu instid0(VALU_DEP_1)
	v_dual_mov_b32 v3, v2 :: v_dual_mov_b32 v4, v2
	v_mov_b32_e32 v5, v2
	global_store_b128 v[0:1], v[2:5], off
.LBB30_1880:
	s_and_not1_b32 vcc_lo, exec_lo, s39
	s_cbranch_vccnz .LBB30_1882
; %bb.1881:
	s_wait_xcnt 0x0
	v_mov_b64_e32 v[2:3], 0
	global_store_b64 v[0:1], v[2:3], off
.LBB30_1882:
	s_mov_b32 s39, 0
.LBB30_1883:
	s_delay_alu instid0(SALU_CYCLE_1)
	s_and_not1_b32 vcc_lo, exec_lo, s39
	s_cbranch_vccnz .LBB30_1885
; %bb.1884:
	s_wait_xcnt 0x0
	v_mov_b32_e32 v2, 0
	global_store_b32 v[0:1], v2, off
.LBB30_1885:
	s_mov_b32 s39, 0
.LBB30_1886:
	s_delay_alu instid0(SALU_CYCLE_1)
	s_and_not1_b32 vcc_lo, exec_lo, s39
	s_cbranch_vccnz .LBB30_1895
; %bb.1887:
	s_cmp_lt_i32 s38, 6
	s_mov_b32 s39, -1
	s_cbranch_scc1 .LBB30_1893
; %bb.1888:
	s_cmp_gt_i32 s38, 6
	s_cbranch_scc0 .LBB30_1890
; %bb.1889:
	s_wait_xcnt 0x0
	v_mov_b64_e32 v[2:3], 0
	s_mov_b32 s39, 0
	global_store_b64 v[0:1], v[2:3], off
.LBB30_1890:
	s_and_not1_b32 vcc_lo, exec_lo, s39
	s_cbranch_vccnz .LBB30_1892
; %bb.1891:
	s_wait_xcnt 0x0
	v_mov_b32_e32 v2, 0
	global_store_b32 v[0:1], v2, off
.LBB30_1892:
	s_mov_b32 s39, 0
.LBB30_1893:
	s_delay_alu instid0(SALU_CYCLE_1)
	s_and_not1_b32 vcc_lo, exec_lo, s39
	s_cbranch_vccnz .LBB30_1895
; %bb.1894:
	s_wait_xcnt 0x0
	v_mov_b32_e32 v2, 0
	global_store_b16 v[0:1], v2, off
.LBB30_1895:
	s_mov_b32 s39, 0
.LBB30_1896:
	s_delay_alu instid0(SALU_CYCLE_1)
	s_and_not1_b32 vcc_lo, exec_lo, s39
	s_cbranch_vccnz .LBB30_1912
; %bb.1897:
	s_cmp_lt_i32 s38, 2
	s_mov_b32 s39, -1
	s_cbranch_scc1 .LBB30_1907
; %bb.1898:
	s_cmp_lt_i32 s38, 3
	s_cbranch_scc1 .LBB30_1904
; %bb.1899:
	s_cmp_gt_i32 s38, 3
	s_cbranch_scc0 .LBB30_1901
; %bb.1900:
	s_wait_xcnt 0x0
	v_mov_b64_e32 v[2:3], 0
	s_mov_b32 s39, 0
	global_store_b64 v[0:1], v[2:3], off
.LBB30_1901:
	s_and_not1_b32 vcc_lo, exec_lo, s39
	s_cbranch_vccnz .LBB30_1903
; %bb.1902:
	s_wait_xcnt 0x0
	v_mov_b32_e32 v2, 0
	global_store_b32 v[0:1], v2, off
.LBB30_1903:
	s_mov_b32 s39, 0
.LBB30_1904:
	s_delay_alu instid0(SALU_CYCLE_1)
	s_and_not1_b32 vcc_lo, exec_lo, s39
	s_cbranch_vccnz .LBB30_1906
; %bb.1905:
	s_wait_xcnt 0x0
	v_mov_b32_e32 v2, 0
	global_store_b16 v[0:1], v2, off
.LBB30_1906:
	s_mov_b32 s39, 0
.LBB30_1907:
	s_delay_alu instid0(SALU_CYCLE_1)
	s_and_not1_b32 vcc_lo, exec_lo, s39
	s_cbranch_vccnz .LBB30_1912
; %bb.1908:
	s_cmp_gt_i32 s38, 0
	s_mov_b32 s38, -1
	s_cbranch_scc0 .LBB30_1910
; %bb.1909:
	s_wait_xcnt 0x0
	v_mov_b32_e32 v2, 0
	s_mov_b32 s38, 0
	global_store_b8 v[0:1], v2, off
.LBB30_1910:
	s_and_not1_b32 vcc_lo, exec_lo, s38
	s_cbranch_vccnz .LBB30_1912
; %bb.1911:
	s_wait_xcnt 0x0
	v_mov_b32_e32 v2, 0
	global_store_b8 v[0:1], v2, off
.LBB30_1912:
	s_mov_b32 s40, -1
.LBB30_1913:
	s_delay_alu instid0(SALU_CYCLE_1)
	s_and_not1_b32 vcc_lo, exec_lo, s40
	s_cbranch_vccnz .LBB30_1915
; %bb.1914:
	v_add_nc_u32_e32 v26, 0x80, v26
	s_mov_b32 s39, -1
	s_branch .LBB30_1916
.LBB30_1915:
	s_mov_b32 s39, 0
                                        ; implicit-def: $vgpr26
.LBB30_1916:
	s_and_b32 s38, s31, exec_lo
	s_and_not1_b32 s0, s0, exec_lo
	s_and_b32 s31, s39, exec_lo
.LBB30_1917:
	s_wait_xcnt 0x0
	s_or_b32 exec_lo, exec_lo, s1
	s_delay_alu instid0(SALU_CYCLE_1)
	s_and_b32 s38, s38, exec_lo
	s_and_b32 s0, s0, exec_lo
	s_xor_b32 s1, exec_lo, -1
	s_and_b32 s31, s31, exec_lo
.LBB30_1918:
	s_or_b32 exec_lo, exec_lo, s60
	s_delay_alu instid0(SALU_CYCLE_1)
	s_and_b32 s40, s38, exec_lo
	s_and_b32 s39, s0, exec_lo
	;; [unrolled: 1-line block ×3, first 2 shown]
	s_xor_b32 s1, exec_lo, -1
	s_and_b32 s0, s31, exec_lo
.LBB30_1919:
	s_or_b32 exec_lo, exec_lo, s59
	s_delay_alu instid0(SALU_CYCLE_1)
	s_and_b32 s40, s40, exec_lo
	s_and_b32 s39, s39, exec_lo
	;; [unrolled: 1-line block ×4, first 2 shown]
	s_xor_b32 s1, exec_lo, -1
	s_and_b32 s0, s0, exec_lo
	s_or_b32 exec_lo, exec_lo, s56
	s_branch .LBB30_629
.LBB30_1920:
	s_mov_b32 s41, -1
	s_mov_b32 s40, 0
	s_mov_b32 s31, s56
	s_branch .LBB30_3512
.LBB30_1921:
	s_mov_b32 s85, -1
	s_mov_b32 s31, 0
.LBB30_1922:
                                        ; implicit-def: $vgpr10_vgpr11
.LBB30_1923:
	s_and_b32 vcc_lo, exec_lo, s38
	s_cbranch_vccz .LBB30_1927
; %bb.1924:
	s_cmp_eq_u32 s1, 44
	s_cbranch_scc0 .LBB30_1926
; %bb.1925:
	global_load_u8 v14, v[8:9], off
	s_mov_b32 s85, 0
	s_mov_b32 s31, -1
	s_wait_loadcnt 0x0
	v_cmp_ne_u32_e32 vcc_lo, 0, v14
	v_lshlrev_b32_e32 v10, 23, v14
	s_delay_alu instid0(VALU_DEP_1) | instskip(NEXT) | instid1(VALU_DEP_1)
	v_trunc_f32_e32 v10, v10
	v_mul_f32_e64 v11, 0x2f800000, |v10|
	s_delay_alu instid0(VALU_DEP_1) | instskip(NEXT) | instid1(VALU_DEP_1)
	v_floor_f32_e32 v11, v11
	v_fma_f32 v12, 0xcf800000, v11, |v10|
	v_ashrrev_i32_e32 v10, 31, v10
	v_cvt_u32_f32_e32 v13, v11
	s_delay_alu instid0(VALU_DEP_3) | instskip(NEXT) | instid1(VALU_DEP_2)
	v_cvt_u32_f32_e32 v12, v12
	v_dual_mov_b32 v11, v10 :: v_dual_bitop2_b32 v13, v13, v10 bitop3:0x14
	s_delay_alu instid0(VALU_DEP_2) | instskip(NEXT) | instid1(VALU_DEP_1)
	v_xor_b32_e32 v12, v12, v10
	v_sub_nc_u64_e32 v[10:11], v[12:13], v[10:11]
	s_delay_alu instid0(VALU_DEP_1)
	v_dual_cndmask_b32 v11, 0, v11 :: v_dual_cndmask_b32 v10, 0, v10
	s_branch .LBB30_1927
.LBB30_1926:
	s_mov_b32 s85, -1
                                        ; implicit-def: $vgpr10_vgpr11
.LBB30_1927:
	s_mov_b32 s38, 0
.LBB30_1928:
	s_delay_alu instid0(SALU_CYCLE_1)
	s_and_b32 vcc_lo, exec_lo, s38
	s_cbranch_vccz .LBB30_1932
; %bb.1929:
	s_cmp_eq_u32 s1, 29
	s_cbranch_scc0 .LBB30_1931
; %bb.1930:
	global_load_b64 v[10:11], v[8:9], off
	s_mov_b32 s31, -1
	s_mov_b32 s85, 0
	s_branch .LBB30_1932
.LBB30_1931:
	s_mov_b32 s85, -1
                                        ; implicit-def: $vgpr10_vgpr11
.LBB30_1932:
	s_mov_b32 s38, 0
.LBB30_1933:
	s_delay_alu instid0(SALU_CYCLE_1)
	s_and_b32 vcc_lo, exec_lo, s38
	s_cbranch_vccz .LBB30_1949
; %bb.1934:
	s_cmp_lt_i32 s1, 27
	s_cbranch_scc1 .LBB30_1937
; %bb.1935:
	s_cmp_gt_i32 s1, 27
	s_cbranch_scc0 .LBB30_1938
; %bb.1936:
	s_wait_loadcnt 0x0
	global_load_b32 v10, v[8:9], off
	v_mov_b32_e32 v11, 0
	s_mov_b32 s31, 0
	s_branch .LBB30_1939
.LBB30_1937:
	s_mov_b32 s31, -1
                                        ; implicit-def: $vgpr10_vgpr11
	s_branch .LBB30_1942
.LBB30_1938:
	s_mov_b32 s31, -1
                                        ; implicit-def: $vgpr10_vgpr11
.LBB30_1939:
	s_delay_alu instid0(SALU_CYCLE_1)
	s_and_not1_b32 vcc_lo, exec_lo, s31
	s_cbranch_vccnz .LBB30_1941
; %bb.1940:
	s_wait_loadcnt 0x0
	global_load_u16 v10, v[8:9], off
	s_mov_b32 s31, 0
	s_delay_alu instid0(SALU_CYCLE_1)
	v_mov_b32_e32 v11, s31
	s_wait_loadcnt 0x0
	v_and_b32_e32 v10, 0xffff, v10
.LBB30_1941:
	s_mov_b32 s31, 0
.LBB30_1942:
	s_delay_alu instid0(SALU_CYCLE_1)
	s_and_not1_b32 vcc_lo, exec_lo, s31
	s_cbranch_vccnz .LBB30_1948
; %bb.1943:
	global_load_u8 v12, v[8:9], off
	s_mov_b32 s38, 0
	s_mov_b32 s31, exec_lo
	s_wait_loadcnt 0x0
	v_cmpx_lt_i16_e32 0x7f, v12
	s_xor_b32 s31, exec_lo, s31
	s_cbranch_execz .LBB30_1960
; %bb.1944:
	v_cmp_ne_u16_e32 vcc_lo, 0x80, v12
	s_and_b32 s38, vcc_lo, exec_lo
	s_and_not1_saveexec_b32 s31, s31
	s_cbranch_execnz .LBB30_1961
.LBB30_1945:
	s_or_b32 exec_lo, exec_lo, s31
	v_mov_b64_e32 v[10:11], 0
	s_and_saveexec_b32 s31, s38
	s_cbranch_execz .LBB30_1947
.LBB30_1946:
	v_and_b32_e32 v10, 0xffff, v12
	s_delay_alu instid0(VALU_DEP_1) | instskip(SKIP_1) | instid1(VALU_DEP_2)
	v_and_b32_e32 v11, 7, v10
	v_bfe_u32 v15, v10, 3, 4
	v_clz_i32_u32_e32 v13, v11
	s_delay_alu instid0(VALU_DEP_2) | instskip(NEXT) | instid1(VALU_DEP_2)
	v_cmp_eq_u32_e32 vcc_lo, 0, v15
	v_min_u32_e32 v13, 32, v13
	s_delay_alu instid0(VALU_DEP_1) | instskip(NEXT) | instid1(VALU_DEP_1)
	v_subrev_nc_u32_e32 v14, 28, v13
	v_dual_lshlrev_b32 v10, v14, v10 :: v_dual_sub_nc_u32 v13, 29, v13
	s_delay_alu instid0(VALU_DEP_1) | instskip(NEXT) | instid1(VALU_DEP_2)
	v_dual_lshlrev_b32 v12, 24, v12 :: v_dual_bitop2_b32 v10, 7, v10 bitop3:0x40
	v_cndmask_b32_e32 v13, v15, v13, vcc_lo
	s_delay_alu instid0(VALU_DEP_2) | instskip(NEXT) | instid1(VALU_DEP_3)
	v_cndmask_b32_e32 v10, v11, v10, vcc_lo
	v_and_b32_e32 v11, 0x80000000, v12
	s_delay_alu instid0(VALU_DEP_3) | instskip(NEXT) | instid1(VALU_DEP_3)
	v_lshl_add_u32 v12, v13, 23, 0x3b800000
	v_lshlrev_b32_e32 v10, 20, v10
	s_delay_alu instid0(VALU_DEP_1) | instskip(NEXT) | instid1(VALU_DEP_1)
	v_or3_b32 v10, v11, v12, v10
	v_trunc_f32_e32 v10, v10
	s_delay_alu instid0(VALU_DEP_1) | instskip(NEXT) | instid1(VALU_DEP_1)
	v_mul_f32_e64 v11, 0x2f800000, |v10|
	v_floor_f32_e32 v11, v11
	s_delay_alu instid0(VALU_DEP_1) | instskip(SKIP_2) | instid1(VALU_DEP_3)
	v_fma_f32 v12, 0xcf800000, v11, |v10|
	v_ashrrev_i32_e32 v10, 31, v10
	v_cvt_u32_f32_e32 v13, v11
	v_cvt_u32_f32_e32 v12, v12
	s_delay_alu instid0(VALU_DEP_2) | instskip(NEXT) | instid1(VALU_DEP_2)
	v_dual_mov_b32 v11, v10 :: v_dual_bitop2_b32 v13, v13, v10 bitop3:0x14
	v_xor_b32_e32 v12, v12, v10
	s_delay_alu instid0(VALU_DEP_1)
	v_sub_nc_u64_e32 v[10:11], v[12:13], v[10:11]
.LBB30_1947:
	s_or_b32 exec_lo, exec_lo, s31
.LBB30_1948:
	s_mov_b32 s31, -1
.LBB30_1949:
	s_mov_b32 s38, 0
.LBB30_1950:
	s_delay_alu instid0(SALU_CYCLE_1)
	s_and_b32 vcc_lo, exec_lo, s38
	s_cbranch_vccz .LBB30_1983
; %bb.1951:
	s_cmp_gt_i32 s1, 22
	s_cbranch_scc0 .LBB30_1959
; %bb.1952:
	s_cmp_lt_i32 s1, 24
	s_cbranch_scc1 .LBB30_1962
; %bb.1953:
	s_cmp_gt_i32 s1, 24
	s_cbranch_scc0 .LBB30_1963
; %bb.1954:
	global_load_u8 v12, v[8:9], off
	s_mov_b32 s38, 0
	s_mov_b32 s31, exec_lo
	s_wait_loadcnt 0x0
	v_cmpx_lt_i16_e32 0x7f, v12
	s_xor_b32 s31, exec_lo, s31
	s_cbranch_execz .LBB30_1975
; %bb.1955:
	v_cmp_ne_u16_e32 vcc_lo, 0x80, v12
	s_and_b32 s38, vcc_lo, exec_lo
	s_and_not1_saveexec_b32 s31, s31
	s_cbranch_execnz .LBB30_1976
.LBB30_1956:
	s_or_b32 exec_lo, exec_lo, s31
	v_mov_b64_e32 v[10:11], 0
	s_and_saveexec_b32 s31, s38
	s_cbranch_execz .LBB30_1958
.LBB30_1957:
	v_and_b32_e32 v10, 0xffff, v12
	s_delay_alu instid0(VALU_DEP_1) | instskip(SKIP_1) | instid1(VALU_DEP_2)
	v_and_b32_e32 v11, 3, v10
	v_bfe_u32 v15, v10, 2, 5
	v_clz_i32_u32_e32 v13, v11
	s_delay_alu instid0(VALU_DEP_2) | instskip(NEXT) | instid1(VALU_DEP_2)
	v_cmp_eq_u32_e32 vcc_lo, 0, v15
	v_min_u32_e32 v13, 32, v13
	s_delay_alu instid0(VALU_DEP_1) | instskip(NEXT) | instid1(VALU_DEP_1)
	v_subrev_nc_u32_e32 v14, 29, v13
	v_dual_lshlrev_b32 v10, v14, v10 :: v_dual_sub_nc_u32 v13, 30, v13
	s_delay_alu instid0(VALU_DEP_1) | instskip(NEXT) | instid1(VALU_DEP_2)
	v_dual_lshlrev_b32 v12, 24, v12 :: v_dual_bitop2_b32 v10, 3, v10 bitop3:0x40
	v_cndmask_b32_e32 v13, v15, v13, vcc_lo
	s_delay_alu instid0(VALU_DEP_2) | instskip(NEXT) | instid1(VALU_DEP_3)
	v_cndmask_b32_e32 v10, v11, v10, vcc_lo
	v_and_b32_e32 v11, 0x80000000, v12
	s_delay_alu instid0(VALU_DEP_3) | instskip(NEXT) | instid1(VALU_DEP_3)
	v_lshl_add_u32 v12, v13, 23, 0x37800000
	v_lshlrev_b32_e32 v10, 21, v10
	s_delay_alu instid0(VALU_DEP_1) | instskip(NEXT) | instid1(VALU_DEP_1)
	v_or3_b32 v10, v11, v12, v10
	v_trunc_f32_e32 v10, v10
	s_delay_alu instid0(VALU_DEP_1) | instskip(NEXT) | instid1(VALU_DEP_1)
	v_mul_f32_e64 v11, 0x2f800000, |v10|
	v_floor_f32_e32 v11, v11
	s_delay_alu instid0(VALU_DEP_1) | instskip(SKIP_2) | instid1(VALU_DEP_3)
	v_fma_f32 v12, 0xcf800000, v11, |v10|
	v_ashrrev_i32_e32 v10, 31, v10
	v_cvt_u32_f32_e32 v13, v11
	v_cvt_u32_f32_e32 v12, v12
	s_delay_alu instid0(VALU_DEP_2) | instskip(NEXT) | instid1(VALU_DEP_2)
	v_dual_mov_b32 v11, v10 :: v_dual_bitop2_b32 v13, v13, v10 bitop3:0x14
	v_xor_b32_e32 v12, v12, v10
	s_delay_alu instid0(VALU_DEP_1)
	v_sub_nc_u64_e32 v[10:11], v[12:13], v[10:11]
.LBB30_1958:
	s_or_b32 exec_lo, exec_lo, s31
	s_mov_b32 s31, 0
	s_branch .LBB30_1964
.LBB30_1959:
	s_mov_b32 s38, -1
                                        ; implicit-def: $vgpr10_vgpr11
	s_branch .LBB30_1970
.LBB30_1960:
	s_and_not1_saveexec_b32 s31, s31
	s_cbranch_execz .LBB30_1945
.LBB30_1961:
	v_cmp_ne_u16_e32 vcc_lo, 0, v12
	s_and_not1_b32 s38, s38, exec_lo
	s_and_b32 s39, vcc_lo, exec_lo
	s_delay_alu instid0(SALU_CYCLE_1)
	s_or_b32 s38, s38, s39
	s_or_b32 exec_lo, exec_lo, s31
	v_mov_b64_e32 v[10:11], 0
	s_and_saveexec_b32 s31, s38
	s_cbranch_execnz .LBB30_1946
	s_branch .LBB30_1947
.LBB30_1962:
	s_mov_b32 s31, -1
                                        ; implicit-def: $vgpr10_vgpr11
	s_branch .LBB30_1967
.LBB30_1963:
	s_mov_b32 s31, -1
                                        ; implicit-def: $vgpr10_vgpr11
.LBB30_1964:
	s_delay_alu instid0(SALU_CYCLE_1)
	s_and_b32 vcc_lo, exec_lo, s31
	s_cbranch_vccz .LBB30_1966
; %bb.1965:
	s_wait_loadcnt 0x0
	global_load_u8 v10, v[8:9], off
	s_wait_loadcnt 0x0
	v_lshlrev_b32_e32 v10, 24, v10
	s_delay_alu instid0(VALU_DEP_1) | instskip(NEXT) | instid1(VALU_DEP_1)
	v_and_b32_e32 v11, 0x7f000000, v10
	v_clz_i32_u32_e32 v12, v11
	v_cmp_ne_u32_e32 vcc_lo, 0, v11
	v_add_nc_u32_e32 v14, 0x1000000, v11
	s_delay_alu instid0(VALU_DEP_3) | instskip(NEXT) | instid1(VALU_DEP_1)
	v_min_u32_e32 v12, 32, v12
	v_sub_nc_u32_e64 v12, v12, 4 clamp
	s_delay_alu instid0(VALU_DEP_1) | instskip(NEXT) | instid1(VALU_DEP_1)
	v_dual_lshlrev_b32 v13, v12, v11 :: v_dual_lshlrev_b32 v12, 23, v12
	v_lshrrev_b32_e32 v13, 4, v13
	s_delay_alu instid0(VALU_DEP_1) | instskip(NEXT) | instid1(VALU_DEP_1)
	v_dual_sub_nc_u32 v12, v13, v12 :: v_dual_ashrrev_i32 v13, 8, v14
	v_add_nc_u32_e32 v12, 0x3c000000, v12
	s_delay_alu instid0(VALU_DEP_1) | instskip(NEXT) | instid1(VALU_DEP_1)
	v_and_or_b32 v12, 0x7f800000, v13, v12
	v_cndmask_b32_e32 v11, 0, v12, vcc_lo
	s_delay_alu instid0(VALU_DEP_1) | instskip(NEXT) | instid1(VALU_DEP_1)
	v_and_or_b32 v10, 0x80000000, v10, v11
	v_trunc_f32_e32 v10, v10
	s_delay_alu instid0(VALU_DEP_1) | instskip(NEXT) | instid1(VALU_DEP_1)
	v_mul_f32_e64 v11, 0x2f800000, |v10|
	v_floor_f32_e32 v11, v11
	s_delay_alu instid0(VALU_DEP_1) | instskip(SKIP_2) | instid1(VALU_DEP_3)
	v_fma_f32 v12, 0xcf800000, v11, |v10|
	v_ashrrev_i32_e32 v10, 31, v10
	v_cvt_u32_f32_e32 v13, v11
	v_cvt_u32_f32_e32 v12, v12
	s_delay_alu instid0(VALU_DEP_2) | instskip(NEXT) | instid1(VALU_DEP_2)
	v_dual_mov_b32 v11, v10 :: v_dual_bitop2_b32 v13, v13, v10 bitop3:0x14
	v_xor_b32_e32 v12, v12, v10
	s_delay_alu instid0(VALU_DEP_1)
	v_sub_nc_u64_e32 v[10:11], v[12:13], v[10:11]
.LBB30_1966:
	s_mov_b32 s31, 0
.LBB30_1967:
	s_delay_alu instid0(SALU_CYCLE_1)
	s_and_not1_b32 vcc_lo, exec_lo, s31
	s_cbranch_vccnz .LBB30_1969
; %bb.1968:
	s_wait_loadcnt 0x0
	global_load_u8 v10, v[8:9], off
	s_wait_loadcnt 0x0
	v_lshlrev_b32_e32 v11, 25, v10
	v_lshlrev_b16 v10, 8, v10
	s_delay_alu instid0(VALU_DEP_1) | instskip(SKIP_1) | instid1(VALU_DEP_2)
	v_and_or_b32 v13, 0x7f00, v10, 0.5
	v_bfe_i32 v10, v10, 0, 16
	v_dual_add_f32 v13, -0.5, v13 :: v_dual_lshrrev_b32 v12, 4, v11
	v_cmp_gt_u32_e32 vcc_lo, 0x8000000, v11
	s_delay_alu instid0(VALU_DEP_2) | instskip(NEXT) | instid1(VALU_DEP_1)
	v_or_b32_e32 v12, 0x70000000, v12
	v_mul_f32_e32 v12, 0x7800000, v12
	s_delay_alu instid0(VALU_DEP_1) | instskip(NEXT) | instid1(VALU_DEP_1)
	v_cndmask_b32_e32 v11, v12, v13, vcc_lo
	v_and_or_b32 v10, 0x80000000, v10, v11
	s_delay_alu instid0(VALU_DEP_1) | instskip(NEXT) | instid1(VALU_DEP_1)
	v_trunc_f32_e32 v10, v10
	v_mul_f32_e64 v11, 0x2f800000, |v10|
	s_delay_alu instid0(VALU_DEP_1) | instskip(NEXT) | instid1(VALU_DEP_1)
	v_floor_f32_e32 v11, v11
	v_fma_f32 v12, 0xcf800000, v11, |v10|
	v_ashrrev_i32_e32 v10, 31, v10
	v_cvt_u32_f32_e32 v13, v11
	s_delay_alu instid0(VALU_DEP_3) | instskip(NEXT) | instid1(VALU_DEP_2)
	v_cvt_u32_f32_e32 v12, v12
	v_dual_mov_b32 v11, v10 :: v_dual_bitop2_b32 v13, v13, v10 bitop3:0x14
	s_delay_alu instid0(VALU_DEP_2) | instskip(NEXT) | instid1(VALU_DEP_1)
	v_xor_b32_e32 v12, v12, v10
	v_sub_nc_u64_e32 v[10:11], v[12:13], v[10:11]
.LBB30_1969:
	s_mov_b32 s38, 0
	s_mov_b32 s31, -1
.LBB30_1970:
	s_and_not1_b32 vcc_lo, exec_lo, s38
	s_cbranch_vccnz .LBB30_1983
; %bb.1971:
	s_cmp_gt_i32 s1, 14
	s_cbranch_scc0 .LBB30_1974
; %bb.1972:
	s_cmp_eq_u32 s1, 15
	s_cbranch_scc0 .LBB30_1977
; %bb.1973:
	s_wait_loadcnt 0x0
	global_load_u16 v10, v[8:9], off
	s_mov_b32 s31, -1
	s_mov_b32 s85, 0
	s_wait_loadcnt 0x0
	v_lshlrev_b32_e32 v10, 16, v10
	s_delay_alu instid0(VALU_DEP_1) | instskip(NEXT) | instid1(VALU_DEP_1)
	v_trunc_f32_e32 v10, v10
	v_mul_f32_e64 v11, 0x2f800000, |v10|
	s_delay_alu instid0(VALU_DEP_1) | instskip(NEXT) | instid1(VALU_DEP_1)
	v_floor_f32_e32 v11, v11
	v_fma_f32 v12, 0xcf800000, v11, |v10|
	v_ashrrev_i32_e32 v10, 31, v10
	v_cvt_u32_f32_e32 v13, v11
	s_delay_alu instid0(VALU_DEP_3) | instskip(NEXT) | instid1(VALU_DEP_2)
	v_cvt_u32_f32_e32 v12, v12
	v_dual_mov_b32 v11, v10 :: v_dual_bitop2_b32 v13, v13, v10 bitop3:0x14
	s_delay_alu instid0(VALU_DEP_2) | instskip(NEXT) | instid1(VALU_DEP_1)
	v_xor_b32_e32 v12, v12, v10
	v_sub_nc_u64_e32 v[10:11], v[12:13], v[10:11]
	s_branch .LBB30_1978
.LBB30_1974:
	s_mov_b32 s38, -1
                                        ; implicit-def: $vgpr10_vgpr11
	s_branch .LBB30_1979
.LBB30_1975:
	s_and_not1_saveexec_b32 s31, s31
	s_cbranch_execz .LBB30_1956
.LBB30_1976:
	v_cmp_ne_u16_e32 vcc_lo, 0, v12
	s_and_not1_b32 s38, s38, exec_lo
	s_and_b32 s39, vcc_lo, exec_lo
	s_delay_alu instid0(SALU_CYCLE_1)
	s_or_b32 s38, s38, s39
	s_or_b32 exec_lo, exec_lo, s31
	v_mov_b64_e32 v[10:11], 0
	s_and_saveexec_b32 s31, s38
	s_cbranch_execnz .LBB30_1957
	s_branch .LBB30_1958
.LBB30_1977:
	s_mov_b32 s85, -1
                                        ; implicit-def: $vgpr10_vgpr11
.LBB30_1978:
	s_mov_b32 s38, 0
.LBB30_1979:
	s_delay_alu instid0(SALU_CYCLE_1)
	s_and_b32 vcc_lo, exec_lo, s38
	s_cbranch_vccz .LBB30_1983
; %bb.1980:
	s_cmp_eq_u32 s1, 11
	s_cbranch_scc0 .LBB30_1982
; %bb.1981:
	s_wait_loadcnt 0x0
	global_load_u8 v10, v[8:9], off
	s_mov_b32 s85, 0
	s_mov_b32 s31, -1
	v_mov_b32_e32 v11, s85
	s_wait_loadcnt 0x0
	v_cmp_ne_u16_e32 vcc_lo, 0, v10
	v_cndmask_b32_e64 v10, 0, 1, vcc_lo
	s_branch .LBB30_1983
.LBB30_1982:
	s_mov_b32 s85, -1
                                        ; implicit-def: $vgpr10_vgpr11
.LBB30_1983:
	s_mov_b32 s1, 0
.LBB30_1984:
	s_delay_alu instid0(SALU_CYCLE_1)
	s_and_b32 vcc_lo, exec_lo, s1
	s_cbranch_vccz .LBB30_2033
; %bb.1985:
	s_and_b32 s0, 0xffff, s0
	s_delay_alu instid0(SALU_CYCLE_1)
	s_cmp_lt_i32 s0, 5
	s_cbranch_scc1 .LBB30_1990
; %bb.1986:
	s_cmp_lt_i32 s0, 8
	s_cbranch_scc1 .LBB30_1991
; %bb.1987:
	s_cmp_lt_i32 s0, 9
	s_cbranch_scc1 .LBB30_1992
; %bb.1988:
	s_cmp_gt_i32 s0, 9
	s_cbranch_scc0 .LBB30_1993
; %bb.1989:
	s_wait_loadcnt 0x0
	global_load_b64 v[10:11], v[8:9], off
	s_mov_b32 s1, 0
	s_wait_loadcnt 0x0
	v_trunc_f64_e32 v[10:11], v[10:11]
	s_delay_alu instid0(VALU_DEP_1) | instskip(NEXT) | instid1(VALU_DEP_1)
	v_ldexp_f64 v[12:13], v[10:11], 0xffffffe0
	v_floor_f64_e32 v[12:13], v[12:13]
	s_delay_alu instid0(VALU_DEP_1) | instskip(SKIP_1) | instid1(VALU_DEP_2)
	v_fmamk_f64 v[14:15], v[12:13], 0xc1f00000, v[10:11]
	v_cvt_i32_f64_e32 v11, v[12:13]
	v_cvt_u32_f64_e32 v10, v[14:15]
	s_branch .LBB30_1994
.LBB30_1990:
	s_mov_b32 s1, -1
                                        ; implicit-def: $vgpr10_vgpr11
	s_branch .LBB30_2012
.LBB30_1991:
	s_mov_b32 s1, -1
                                        ; implicit-def: $vgpr10_vgpr11
	s_branch .LBB30_2000
.LBB30_1992:
	s_mov_b32 s1, -1
                                        ; implicit-def: $vgpr10_vgpr11
	s_branch .LBB30_1997
.LBB30_1993:
	s_mov_b32 s1, -1
                                        ; implicit-def: $vgpr10_vgpr11
.LBB30_1994:
	s_delay_alu instid0(SALU_CYCLE_1)
	s_and_not1_b32 vcc_lo, exec_lo, s1
	s_cbranch_vccnz .LBB30_1996
; %bb.1995:
	s_wait_loadcnt 0x0
	global_load_b32 v10, v[8:9], off
	s_wait_loadcnt 0x0
	v_trunc_f32_e32 v10, v10
	s_delay_alu instid0(VALU_DEP_1) | instskip(NEXT) | instid1(VALU_DEP_1)
	v_mul_f32_e64 v11, 0x2f800000, |v10|
	v_floor_f32_e32 v11, v11
	s_delay_alu instid0(VALU_DEP_1) | instskip(SKIP_2) | instid1(VALU_DEP_3)
	v_fma_f32 v12, 0xcf800000, v11, |v10|
	v_ashrrev_i32_e32 v10, 31, v10
	v_cvt_u32_f32_e32 v13, v11
	v_cvt_u32_f32_e32 v12, v12
	s_delay_alu instid0(VALU_DEP_2) | instskip(NEXT) | instid1(VALU_DEP_2)
	v_dual_mov_b32 v11, v10 :: v_dual_bitop2_b32 v13, v13, v10 bitop3:0x14
	v_xor_b32_e32 v12, v12, v10
	s_delay_alu instid0(VALU_DEP_1)
	v_sub_nc_u64_e32 v[10:11], v[12:13], v[10:11]
.LBB30_1996:
	s_mov_b32 s1, 0
.LBB30_1997:
	s_delay_alu instid0(SALU_CYCLE_1)
	s_and_not1_b32 vcc_lo, exec_lo, s1
	s_cbranch_vccnz .LBB30_1999
; %bb.1998:
	s_wait_loadcnt 0x0
	global_load_b32 v10, v[8:9], off
	s_wait_loadcnt 0x0
	v_cvt_f32_f16_e32 v10, v10
	s_delay_alu instid0(VALU_DEP_1) | instskip(NEXT) | instid1(VALU_DEP_1)
	v_cvt_i32_f32_e32 v10, v10
	v_ashrrev_i32_e32 v11, 31, v10
.LBB30_1999:
	s_mov_b32 s1, 0
.LBB30_2000:
	s_delay_alu instid0(SALU_CYCLE_1)
	s_and_not1_b32 vcc_lo, exec_lo, s1
	s_cbranch_vccnz .LBB30_2011
; %bb.2001:
	s_cmp_lt_i32 s0, 6
	s_cbranch_scc1 .LBB30_2004
; %bb.2002:
	s_cmp_gt_i32 s0, 6
	s_cbranch_scc0 .LBB30_2005
; %bb.2003:
	s_wait_loadcnt 0x0
	global_load_b64 v[10:11], v[8:9], off
	s_mov_b32 s1, 0
	s_wait_loadcnt 0x0
	v_trunc_f64_e32 v[10:11], v[10:11]
	s_delay_alu instid0(VALU_DEP_1) | instskip(NEXT) | instid1(VALU_DEP_1)
	v_ldexp_f64 v[12:13], v[10:11], 0xffffffe0
	v_floor_f64_e32 v[12:13], v[12:13]
	s_delay_alu instid0(VALU_DEP_1) | instskip(SKIP_1) | instid1(VALU_DEP_2)
	v_fmamk_f64 v[14:15], v[12:13], 0xc1f00000, v[10:11]
	v_cvt_i32_f64_e32 v11, v[12:13]
	v_cvt_u32_f64_e32 v10, v[14:15]
	s_branch .LBB30_2006
.LBB30_2004:
	s_mov_b32 s1, -1
                                        ; implicit-def: $vgpr10_vgpr11
	s_branch .LBB30_2009
.LBB30_2005:
	s_mov_b32 s1, -1
                                        ; implicit-def: $vgpr10_vgpr11
.LBB30_2006:
	s_delay_alu instid0(SALU_CYCLE_1)
	s_and_not1_b32 vcc_lo, exec_lo, s1
	s_cbranch_vccnz .LBB30_2008
; %bb.2007:
	s_wait_loadcnt 0x0
	global_load_b32 v10, v[8:9], off
	s_wait_loadcnt 0x0
	v_trunc_f32_e32 v10, v10
	s_delay_alu instid0(VALU_DEP_1) | instskip(NEXT) | instid1(VALU_DEP_1)
	v_mul_f32_e64 v11, 0x2f800000, |v10|
	v_floor_f32_e32 v11, v11
	s_delay_alu instid0(VALU_DEP_1) | instskip(SKIP_2) | instid1(VALU_DEP_3)
	v_fma_f32 v12, 0xcf800000, v11, |v10|
	v_ashrrev_i32_e32 v10, 31, v10
	v_cvt_u32_f32_e32 v13, v11
	v_cvt_u32_f32_e32 v12, v12
	s_delay_alu instid0(VALU_DEP_2) | instskip(NEXT) | instid1(VALU_DEP_2)
	v_dual_mov_b32 v11, v10 :: v_dual_bitop2_b32 v13, v13, v10 bitop3:0x14
	v_xor_b32_e32 v12, v12, v10
	s_delay_alu instid0(VALU_DEP_1)
	v_sub_nc_u64_e32 v[10:11], v[12:13], v[10:11]
.LBB30_2008:
	s_mov_b32 s1, 0
.LBB30_2009:
	s_delay_alu instid0(SALU_CYCLE_1)
	s_and_not1_b32 vcc_lo, exec_lo, s1
	s_cbranch_vccnz .LBB30_2011
; %bb.2010:
	s_wait_loadcnt 0x0
	global_load_u16 v10, v[8:9], off
	s_wait_loadcnt 0x0
	v_cvt_f32_f16_e32 v10, v10
	s_delay_alu instid0(VALU_DEP_1) | instskip(NEXT) | instid1(VALU_DEP_1)
	v_cvt_i32_f32_e32 v10, v10
	v_ashrrev_i32_e32 v11, 31, v10
.LBB30_2011:
	s_mov_b32 s1, 0
.LBB30_2012:
	s_delay_alu instid0(SALU_CYCLE_1)
	s_and_not1_b32 vcc_lo, exec_lo, s1
	s_cbranch_vccnz .LBB30_2032
; %bb.2013:
	s_cmp_lt_i32 s0, 2
	s_cbranch_scc1 .LBB30_2017
; %bb.2014:
	s_cmp_lt_i32 s0, 3
	s_cbranch_scc1 .LBB30_2018
; %bb.2015:
	s_cmp_gt_i32 s0, 3
	s_cbranch_scc0 .LBB30_2019
; %bb.2016:
	s_wait_loadcnt 0x0
	global_load_b64 v[10:11], v[8:9], off
	s_mov_b32 s1, 0
	s_branch .LBB30_2020
.LBB30_2017:
	s_mov_b32 s1, -1
                                        ; implicit-def: $vgpr10_vgpr11
	s_branch .LBB30_2026
.LBB30_2018:
	s_mov_b32 s1, -1
                                        ; implicit-def: $vgpr10_vgpr11
	s_branch .LBB30_2023
.LBB30_2019:
	s_mov_b32 s1, -1
                                        ; implicit-def: $vgpr10_vgpr11
.LBB30_2020:
	s_delay_alu instid0(SALU_CYCLE_1)
	s_and_not1_b32 vcc_lo, exec_lo, s1
	s_cbranch_vccnz .LBB30_2022
; %bb.2021:
	s_wait_loadcnt 0x0
	global_load_b32 v10, v[8:9], off
	s_wait_loadcnt 0x0
	v_ashrrev_i32_e32 v11, 31, v10
.LBB30_2022:
	s_mov_b32 s1, 0
.LBB30_2023:
	s_delay_alu instid0(SALU_CYCLE_1)
	s_and_not1_b32 vcc_lo, exec_lo, s1
	s_cbranch_vccnz .LBB30_2025
; %bb.2024:
	s_wait_loadcnt 0x0
	global_load_u16 v10, v[8:9], off
	s_wait_loadcnt 0x0
	v_bfe_i32 v10, v10, 0, 16
	s_delay_alu instid0(VALU_DEP_1)
	v_ashrrev_i32_e32 v11, 31, v10
.LBB30_2025:
	s_mov_b32 s1, 0
.LBB30_2026:
	s_delay_alu instid0(SALU_CYCLE_1)
	s_and_not1_b32 vcc_lo, exec_lo, s1
	s_cbranch_vccnz .LBB30_2032
; %bb.2027:
	s_cmp_gt_i32 s0, 0
	s_mov_b32 s0, 0
	s_cbranch_scc0 .LBB30_2029
; %bb.2028:
	s_wait_loadcnt 0x0
	global_load_i8 v10, v[8:9], off
	s_wait_loadcnt 0x0
	v_bfe_i32 v10, v10, 0, 16
	s_delay_alu instid0(VALU_DEP_1)
	v_ashrrev_i32_e32 v11, 31, v10
	s_branch .LBB30_2030
.LBB30_2029:
	s_mov_b32 s0, -1
                                        ; implicit-def: $vgpr10_vgpr11
.LBB30_2030:
	s_delay_alu instid0(SALU_CYCLE_1)
	s_and_not1_b32 vcc_lo, exec_lo, s0
	s_cbranch_vccnz .LBB30_2032
; %bb.2031:
	global_load_u8 v8, v[8:9], off
	s_mov_b32 s0, 0
	s_wait_loadcnt 0x1
	v_mov_b32_e32 v11, s0
	s_wait_loadcnt 0x0
	v_and_b32_e32 v10, 0xffff, v8
.LBB30_2032:
	s_mov_b32 s31, -1
.LBB30_2033:
	s_delay_alu instid0(SALU_CYCLE_1)
	s_and_not1_b32 vcc_lo, exec_lo, s31
	s_cbranch_vccnz .LBB30_2044
; %bb.2034:
	s_wait_loadcnt 0x0
	v_cmp_eq_u64_e32 vcc_lo, s[4:5], v[0:1]
	s_mov_b32 s0, 0
	s_mov_b32 s39, -1
	s_mov_b32 s40, s74
	s_mov_b32 s38, s78
	;; [unrolled: 1-line block ×4, first 2 shown]
	s_and_b32 s41, s52, vcc_lo
	s_wait_xcnt 0x0
	s_and_saveexec_b32 s86, s41
	s_cbranch_execz .LBB30_4195
; %bb.2035:
	v_cmp_eq_u64_e32 vcc_lo, s[8:9], v[2:3]
	s_mov_b32 s38, -1
	s_mov_b32 s39, s78
	s_mov_b32 s31, s77
	;; [unrolled: 1-line block ×3, first 2 shown]
	s_and_b32 s1, s51, vcc_lo
	s_delay_alu instid0(SALU_CYCLE_1)
	s_and_saveexec_b32 s87, s1
	s_cbranch_execz .LBB30_3681
; %bb.2036:
	v_sub_nc_u64_e32 v[0:1], v[6:7], v[4:5]
	s_mov_b32 s1, 0
	s_mov_b32 s31, -1
	s_mov_b32 s39, s76
	s_delay_alu instid0(VALU_DEP_1) | instskip(SKIP_4) | instid1(SALU_CYCLE_1)
	v_cmp_le_i64_e32 vcc_lo, s[4:5], v[0:1]
	v_cmp_ge_i64_e64 s0, s[6:7], v[0:1]
	s_and_b32 s38, vcc_lo, s0
	s_mov_b32 s0, s77
	s_and_b32 s38, s50, s38
	s_and_saveexec_b32 s88, s38
	s_cbranch_execz .LBB30_3680
; %bb.2037:
	v_cmp_lt_i64_e64 s0, s[8:9], 1
	v_mov_b64_e32 v[0:1], 0
	s_xor_b32 s1, s37, -1
	s_delay_alu instid0(SALU_CYCLE_1) | instskip(NEXT) | instid1(SALU_CYCLE_1)
	s_or_b32 s0, s0, s1
	s_and_b32 vcc_lo, exec_lo, s0
	s_cbranch_vccnz .LBB30_2060
; %bb.2038:
	v_mul_u64_e32 v[8:9], s[8:9], v[10:11]
	s_mov_b32 s1, 0
	v_mov_b64_e32 v[0:1], 0
	s_mov_b32 s31, s1
	v_mov_b32_e32 v2, 0
	s_lshl_b64 s[40:41], s[30:31], 3
	s_mov_b64 s[38:39], 0xffffffff
	s_add_nc_u64 s[40:41], s[28:29], s[40:41]
	s_mov_b32 s31, s10
	s_add_nc_u64 s[40:41], s[40:41], 0x68
	s_branch .LBB30_2040
.LBB30_2039:                            ;   in Loop: Header=BB30_2040 Depth=1
	s_or_b32 exec_lo, exec_lo, s0
	s_delay_alu instid0(VALU_DEP_1)
	v_mul_u64_e32 v[12:13], s[42:43], v[10:11]
	s_load_b64 s[42:43], s[40:41], 0x40
	s_add_co_i32 s31, s31, -1
	s_wait_xcnt 0x0
	s_add_nc_u64 s[40:41], s[40:41], -8
	s_cmp_lg_u32 s31, 0
	s_delay_alu instid0(VALU_DEP_1) | instskip(SKIP_1) | instid1(VALU_DEP_1)
	v_sub_nc_u64_e32 v[8:9], v[8:9], v[12:13]
	s_wait_kmcnt 0x0
	v_mad_nc_u64_u32 v[0:1], v8, s42, v[0:1]
	s_delay_alu instid0(VALU_DEP_1) | instskip(NEXT) | instid1(VALU_DEP_1)
	v_mad_u32 v1, v9, s42, v1
	v_mad_u32 v1, v8, s43, v1
	v_mov_b64_e32 v[8:9], v[10:11]
	s_cbranch_scc0 .LBB30_2060
.LBB30_2040:                            ; =>This Inner Loop Header: Depth=1
	s_load_b64 s[42:43], s[40:41], 0x0
                                        ; implicit-def: $vgpr10_vgpr11
	s_mov_b32 s0, exec_lo
	s_wait_kmcnt 0x0
	s_delay_alu instid0(VALU_DEP_1) | instskip(NEXT) | instid1(VALU_DEP_1)
	v_or_b32_e32 v3, s43, v9
	v_cmpx_ne_u64_e32 0, v[2:3]
	s_xor_b32 s89, exec_lo, s0
	s_cbranch_execz .LBB30_2042
; %bb.2041:                             ;   in Loop: Header=BB30_2040 Depth=1
	s_ashr_i32 s44, s43, 31
	v_dual_mov_b32 v15, v2 :: v_dual_ashrrev_i32 v10, 31, v9
	s_mov_b32 s45, s44
	v_mov_b32_e32 v23, v2
	s_add_nc_u64 s[46:47], s[42:43], s[44:45]
	s_delay_alu instid0(VALU_DEP_2) | instskip(SKIP_1) | instid1(SALU_CYCLE_1)
	v_mov_b32_e32 v11, v10
	s_xor_b64 s[46:47], s[46:47], s[44:45]
	s_cvt_f32_u32 s0, s46
	s_cvt_f32_u32 s45, s47
	s_sub_nc_u64 s[92:93], 0, s[46:47]
	v_add_nc_u64_e32 v[12:13], v[8:9], v[10:11]
	v_mov_b32_e32 v19, v2
	s_fmamk_f32 s0, s45, 0x4f800000, s0
	s_delay_alu instid0(SALU_CYCLE_3) | instskip(NEXT) | instid1(VALU_DEP_2)
	v_s_rcp_f32 s0, s0
	v_xor_b32_e32 v14, v12, v10
	s_delay_alu instid0(VALU_DEP_3) | instskip(NEXT) | instid1(TRANS32_DEP_1)
	v_xor_b32_e32 v18, v13, v10
	s_mul_f32 s0, s0, 0x5f7ffffc
	s_delay_alu instid0(SALU_CYCLE_3) | instskip(NEXT) | instid1(SALU_CYCLE_3)
	s_mul_f32 s45, s0, 0x2f800000
	s_trunc_f32 s45, s45
	s_delay_alu instid0(SALU_CYCLE_3) | instskip(SKIP_1) | instid1(SALU_CYCLE_2)
	s_fmamk_f32 s0, s45, 0xcf800000, s0
	s_cvt_u32_f32 s91, s45
	s_cvt_u32_f32 s90, s0
	s_delay_alu instid0(SALU_CYCLE_3) | instskip(NEXT) | instid1(SALU_CYCLE_1)
	s_mul_u64 s[94:95], s[92:93], s[90:91]
	s_mul_hi_u32 s97, s90, s95
	s_mul_i32 s96, s90, s95
	s_mul_hi_u32 s0, s90, s94
	s_mul_i32 s98, s91, s94
	s_add_nc_u64 s[96:97], s[0:1], s[96:97]
	s_mul_hi_u32 s45, s91, s94
	s_mul_hi_u32 s99, s91, s95
	s_add_co_u32 s0, s96, s98
	s_add_co_ci_u32 s0, s97, s45
	s_mul_i32 s94, s91, s95
	s_add_co_ci_u32 s95, s99, 0
	s_delay_alu instid0(SALU_CYCLE_1) | instskip(NEXT) | instid1(SALU_CYCLE_1)
	s_add_nc_u64 s[94:95], s[0:1], s[94:95]
	s_add_co_u32 s90, s90, s94
	s_cselect_b32 s0, -1, 0
	s_delay_alu instid0(SALU_CYCLE_1) | instskip(SKIP_1) | instid1(SALU_CYCLE_1)
	s_cmp_lg_u32 s0, 0
	s_add_co_ci_u32 s91, s91, s95
	s_mul_u64 s[92:93], s[92:93], s[90:91]
	s_delay_alu instid0(SALU_CYCLE_1)
	s_mul_hi_u32 s95, s90, s93
	s_mul_i32 s94, s90, s93
	s_mul_hi_u32 s0, s90, s92
	s_mul_i32 s96, s91, s92
	s_add_nc_u64 s[94:95], s[0:1], s[94:95]
	s_mul_hi_u32 s45, s91, s92
	s_mul_hi_u32 s97, s91, s93
	s_add_co_u32 s0, s94, s96
	s_add_co_ci_u32 s0, s95, s45
	s_mul_i32 s92, s91, s93
	s_add_co_ci_u32 s93, s97, 0
	s_delay_alu instid0(SALU_CYCLE_1) | instskip(NEXT) | instid1(SALU_CYCLE_1)
	s_add_nc_u64 s[92:93], s[0:1], s[92:93]
	s_add_co_u32 s90, s90, s92
	s_cselect_b32 s0, -1, 0
	v_mul_hi_u32 v22, v14, s90
	s_cmp_lg_u32 s0, 0
	s_add_co_ci_u32 s0, s91, s93
	s_and_b64 s[92:93], s[90:91], s[38:39]
	v_mul_u64_e32 v[16:17], s[0:1], v[14:15]
	v_mul_u64_e32 v[12:13], s[92:93], v[18:19]
	;; [unrolled: 1-line block ×3, first 2 shown]
	s_delay_alu instid0(VALU_DEP_3) | instskip(NEXT) | instid1(VALU_DEP_1)
	v_add_nc_u64_e32 v[16:17], v[22:23], v[16:17]
	v_add_co_u32 v3, vcc_lo, v16, v12
	s_delay_alu instid0(VALU_DEP_2) | instskip(NEXT) | instid1(VALU_DEP_4)
	v_add_co_ci_u32_e32 v22, vcc_lo, v17, v13, vcc_lo
	v_add_co_ci_u32_e32 v21, vcc_lo, 0, v21, vcc_lo
	s_delay_alu instid0(VALU_DEP_1) | instskip(NEXT) | instid1(VALU_DEP_1)
	v_add_nc_u64_e32 v[12:13], v[22:23], v[20:21]
	v_mul_u64_e32 v[16:17], s[46:47], v[12:13]
	s_delay_alu instid0(VALU_DEP_1) | instskip(NEXT) | instid1(VALU_DEP_2)
	v_sub_nc_u32_e32 v3, v18, v17
	v_sub_co_u32 v11, vcc_lo, v14, v16
	s_delay_alu instid0(VALU_DEP_1) | instskip(NEXT) | instid1(VALU_DEP_3)
	v_sub_co_ci_u32_e64 v18, null, v18, v17, vcc_lo
	v_subrev_co_ci_u32_e64 v3, null, s47, v3, vcc_lo
	s_delay_alu instid0(VALU_DEP_3) | instskip(SKIP_1) | instid1(VALU_DEP_3)
	v_sub_co_u32 v14, s0, v11, s46
	v_add_nc_u64_e32 v[16:17], 1, v[12:13]
	v_subrev_co_ci_u32_e64 v3, null, 0, v3, s0
	s_delay_alu instid0(VALU_DEP_3) | instskip(SKIP_1) | instid1(VALU_DEP_3)
	v_cmp_le_u32_e32 vcc_lo, s46, v14
	v_cndmask_b32_e64 v14, 0, -1, vcc_lo
	v_cmp_le_u32_e32 vcc_lo, s47, v3
	v_cndmask_b32_e64 v15, 0, -1, vcc_lo
	;; [unrolled: 2-line block ×4, first 2 shown]
	v_cmp_eq_u32_e32 vcc_lo, s47, v3
	v_cndmask_b32_e32 v3, v15, v14, vcc_lo
	v_cmp_eq_u32_e32 vcc_lo, s47, v18
	v_add_nc_u64_e32 v[14:15], 2, v[12:13]
	v_cndmask_b32_e32 v11, v19, v11, vcc_lo
	s_delay_alu instid0(VALU_DEP_4) | instskip(NEXT) | instid1(VALU_DEP_2)
	v_cmp_ne_u32_e32 vcc_lo, 0, v3
	v_cmp_ne_u32_e64 s0, 0, v11
	s_delay_alu instid0(VALU_DEP_4) | instskip(NEXT) | instid1(VALU_DEP_1)
	v_dual_cndmask_b32 v3, v17, v15, vcc_lo :: v_dual_cndmask_b32 v11, v16, v14, vcc_lo
	v_dual_cndmask_b32 v3, v13, v3, s0 :: v_dual_bitop2_b32 v10, s44, v10 bitop3:0x14
	s_delay_alu instid0(VALU_DEP_1) | instskip(NEXT) | instid1(VALU_DEP_2)
	v_dual_cndmask_b32 v12, v12, v11, s0 :: v_dual_mov_b32 v11, v10
	v_xor_b32_e32 v13, v3, v10
	s_delay_alu instid0(VALU_DEP_2) | instskip(NEXT) | instid1(VALU_DEP_1)
	v_xor_b32_e32 v12, v12, v10
	v_sub_nc_u64_e32 v[10:11], v[12:13], v[10:11]
.LBB30_2042:                            ;   in Loop: Header=BB30_2040 Depth=1
	s_and_not1_saveexec_b32 s0, s89
	s_cbranch_execz .LBB30_2039
; %bb.2043:                             ;   in Loop: Header=BB30_2040 Depth=1
	v_cvt_f32_u32_e32 v3, s42
	s_sub_co_i32 s44, 0, s42
	s_delay_alu instid0(VALU_DEP_1) | instskip(SKIP_1) | instid1(TRANS32_DEP_1)
	v_rcp_iflag_f32_e32 v3, v3
	v_nop
	v_mul_f32_e32 v3, 0x4f7ffffe, v3
	s_delay_alu instid0(VALU_DEP_1) | instskip(NEXT) | instid1(VALU_DEP_1)
	v_cvt_u32_f32_e32 v3, v3
	v_mul_lo_u32 v10, s44, v3
	s_delay_alu instid0(VALU_DEP_1) | instskip(NEXT) | instid1(VALU_DEP_1)
	v_mul_hi_u32 v10, v3, v10
	v_add_nc_u32_e32 v3, v3, v10
	s_delay_alu instid0(VALU_DEP_1) | instskip(NEXT) | instid1(VALU_DEP_1)
	v_mul_hi_u32 v3, v8, v3
	v_mul_lo_u32 v10, v3, s42
	s_delay_alu instid0(VALU_DEP_1) | instskip(NEXT) | instid1(VALU_DEP_1)
	v_dual_add_nc_u32 v11, 1, v3 :: v_dual_sub_nc_u32 v10, v8, v10
	v_subrev_nc_u32_e32 v12, s42, v10
	v_cmp_le_u32_e32 vcc_lo, s42, v10
	s_delay_alu instid0(VALU_DEP_2) | instskip(NEXT) | instid1(VALU_DEP_1)
	v_dual_cndmask_b32 v10, v10, v12 :: v_dual_cndmask_b32 v3, v3, v11
	v_cmp_le_u32_e32 vcc_lo, s42, v10
	s_delay_alu instid0(VALU_DEP_2) | instskip(NEXT) | instid1(VALU_DEP_1)
	v_add_nc_u32_e32 v11, 1, v3
	v_dual_cndmask_b32 v10, v3, v11 :: v_dual_mov_b32 v11, v2
	s_branch .LBB30_2039
.LBB30_2044:
	s_mov_b32 s0, 0
	s_mov_b32 s1, s76
	;; [unrolled: 1-line block ×6, first 2 shown]
.LBB30_2045:
                                        ; implicit-def: $vgpr26
.LBB30_2046:
	s_and_not1_b32 s41, s76, exec_lo
	s_and_b32 s1, s1, exec_lo
	s_and_not1_b32 s42, s77, exec_lo
	s_and_b32 s31, s31, exec_lo
	s_or_b32 s45, s41, s1
	s_or_b32 s42, s42, s31
	s_and_not1_b32 s1, s78, exec_lo
	s_and_b32 s31, s38, exec_lo
	s_and_not1_b32 s38, s74, exec_lo
	s_and_b32 s40, s40, exec_lo
	s_or_b32 s44, s1, s31
	s_or_b32 s40, s38, s40
	;; [unrolled: 6-line block ×5, first 2 shown]
	s_or_not1_b32 s82, s0, exec_lo
.LBB30_2047:
	s_wait_xcnt 0x0
	s_or_b32 exec_lo, exec_lo, s80
	s_mov_b32 s47, 0
	s_mov_b32 s80, 0
	;; [unrolled: 1-line block ×3, first 2 shown]
                                        ; implicit-def: $sgpr0
                                        ; implicit-def: $vgpr2_vgpr3
                                        ; implicit-def: $vgpr0_vgpr1
	s_and_saveexec_b32 s46, s82
	s_cbranch_execz .LBB30_2138
; %bb.2048:
	v_cmp_gt_i32_e32 vcc_lo, s57, v26
	s_mov_b32 s57, 0
	s_mov_b32 s82, s1
                                        ; implicit-def: $sgpr0
                                        ; implicit-def: $vgpr2_vgpr3
                                        ; implicit-def: $vgpr0_vgpr1
	s_and_saveexec_b32 s47, vcc_lo
	s_cbranch_execz .LBB30_2137
; %bb.2049:
	s_wait_loadcnt 0x0
	v_mul_lo_u32 v0, s24, v26
	s_and_b32 s0, s58, 0xff
	s_delay_alu instid0(SALU_CYCLE_1) | instskip(NEXT) | instid1(VALU_DEP_1)
	s_cmp_lt_i32 s0, 11
	v_ashrrev_i32_e32 v1, 31, v0
	s_delay_alu instid0(VALU_DEP_1)
	v_add_nc_u64_e32 v[2:3], s[12:13], v[0:1]
	s_cbranch_scc1 .LBB30_2056
; %bb.2050:
	s_and_b32 s12, 0xffff, s0
	s_mov_b32 s24, 0
	s_cmp_gt_i32 s12, 25
	s_cbranch_scc0 .LBB30_2057
; %bb.2051:
	s_cmp_gt_i32 s12, 28
	s_cbranch_scc0 .LBB30_2058
; %bb.2052:
	;; [unrolled: 3-line block ×4, first 2 shown]
	s_cmp_eq_u32 s12, 46
	s_mov_b32 s58, 0
	s_cbranch_scc0 .LBB30_2075
; %bb.2055:
	global_load_b32 v0, v[2:3], off
	s_mov_b32 s13, 0
	s_mov_b32 s57, -1
	s_wait_loadcnt 0x0
	v_lshlrev_b32_e32 v0, 16, v0
	s_delay_alu instid0(VALU_DEP_1) | instskip(NEXT) | instid1(VALU_DEP_1)
	v_trunc_f32_e32 v0, v0
	v_mul_f32_e64 v1, 0x2f800000, |v0|
	s_delay_alu instid0(VALU_DEP_1) | instskip(NEXT) | instid1(VALU_DEP_1)
	v_floor_f32_e32 v1, v1
	v_fma_f32 v4, 0xcf800000, v1, |v0|
	v_ashrrev_i32_e32 v0, 31, v0
	v_cvt_u32_f32_e32 v5, v1
	s_delay_alu instid0(VALU_DEP_3) | instskip(NEXT) | instid1(VALU_DEP_2)
	v_cvt_u32_f32_e32 v4, v4
	v_dual_mov_b32 v1, v0 :: v_dual_bitop2_b32 v5, v5, v0 bitop3:0x14
	s_delay_alu instid0(VALU_DEP_2) | instskip(NEXT) | instid1(VALU_DEP_1)
	v_xor_b32_e32 v4, v4, v0
	v_sub_nc_u64_e32 v[0:1], v[4:5], v[0:1]
	s_branch .LBB30_2077
.LBB30_2056:
	s_mov_b32 s12, -1
	s_mov_b32 s24, 0
	s_mov_b32 s13, s1
                                        ; implicit-def: $vgpr0_vgpr1
	s_branch .LBB30_2136
.LBB30_2057:
	s_mov_b32 s58, -1
	s_mov_b32 s13, s1
                                        ; implicit-def: $vgpr0_vgpr1
	s_branch .LBB30_2104
.LBB30_2058:
	s_mov_b32 s58, -1
	s_mov_b32 s13, s1
                                        ; implicit-def: $vgpr0_vgpr1
	s_branch .LBB30_2087
.LBB30_2059:
	s_mov_b32 s58, -1
	s_mov_b32 s13, s1
                                        ; implicit-def: $vgpr0_vgpr1
	s_branch .LBB30_2082
.LBB30_2060:
	s_mov_b32 s39, -1
	s_mov_b32 s0, s77
	s_mov_b32 s1, exec_lo
	v_cmpx_gt_i64_e64 v[6:7], v[4:5]
	s_cbranch_execz .LBB30_2067
; %bb.2061:
	s_delay_alu instid0(VALU_DEP_2) | instskip(SKIP_2) | instid1(VALU_DEP_1)
	v_lshlrev_b64_e32 v[0:1], 3, v[0:1]
	s_mov_b32 s0, 0
	s_xor_b32 s38, s11, -1
                                        ; implicit-def: $sgpr31
                                        ; implicit-def: $sgpr40
                                        ; implicit-def: $sgpr39
	v_lshl_add_u64 v[2:3], v[4:5], 3, v[0:1]
	v_add_nc_u64_e32 v[4:5], s[20:21], v[0:1]
	s_delay_alu instid0(VALU_DEP_2) | instskip(NEXT) | instid1(VALU_DEP_1)
	v_add_nc_u64_e32 v[2:3], s[20:21], v[2:3]
	v_add_nc_u64_e32 v[0:1], 8, v[2:3]
	s_delay_alu instid0(VALU_DEP_3)
	v_lshl_add_u64 v[2:3], v[6:7], 3, v[4:5]
	s_branch .LBB30_2063
.LBB30_2062:                            ;   in Loop: Header=BB30_2063 Depth=1
	s_or_b32 exec_lo, exec_lo, s41
	s_delay_alu instid0(SALU_CYCLE_1) | instskip(NEXT) | instid1(SALU_CYCLE_1)
	s_and_b32 s41, exec_lo, s40
	s_or_b32 s0, s41, s0
	s_and_not1_b32 s31, s31, exec_lo
	s_and_b32 s41, s39, exec_lo
	s_delay_alu instid0(SALU_CYCLE_1)
	s_or_b32 s31, s31, s41
	s_and_not1_b32 exec_lo, exec_lo, s0
	s_cbranch_execz .LBB30_2066
.LBB30_2063:                            ; =>This Inner Loop Header: Depth=1
	s_or_b32 s39, s39, exec_lo
	s_or_b32 s40, s40, exec_lo
	s_mov_b32 s41, exec_lo
	s_delay_alu instid0(VALU_DEP_2)
	v_cmpx_lt_u64_e64 v[0:1], v[2:3]
	s_cbranch_execz .LBB30_2062
; %bb.2064:                             ;   in Loop: Header=BB30_2063 Depth=1
	global_load_b128 v[4:7], v[0:1], off offset:-8
	s_wait_xcnt 0x0
	v_add_nc_u64_e32 v[0:1], 8, v[0:1]
	s_and_not1_b32 s40, s40, exec_lo
	s_and_not1_b32 s39, s39, exec_lo
	s_wait_loadcnt 0x0
	v_cmp_ge_i64_e32 vcc_lo, v[4:5], v[6:7]
	s_or_b32 s42, s38, vcc_lo
	s_delay_alu instid0(SALU_CYCLE_1) | instskip(NEXT) | instid1(SALU_CYCLE_1)
	s_and_b32 s42, s42, exec_lo
	s_or_b32 s40, s40, s42
	s_branch .LBB30_2062
.LBB30_2065:
	s_mov_b32 s58, -1
	s_mov_b32 s13, s1
	s_branch .LBB30_2076
.LBB30_2066:
	s_or_b32 exec_lo, exec_lo, s0
	s_delay_alu instid0(SALU_CYCLE_1)
	s_or_b32 s0, s77, exec_lo
	s_or_not1_b32 s39, s31, exec_lo
.LBB30_2067:
	s_or_b32 exec_lo, exec_lo, s1
	s_mov_b32 s38, 0
	s_mov_b32 s31, s76
	s_and_saveexec_b32 s1, s39
	s_cbranch_execz .LBB30_3679
; %bb.2068:
	v_mul_lo_u32 v0, s33, v26
	s_and_b32 s38, s22, 0xff
	s_delay_alu instid0(SALU_CYCLE_1) | instskip(NEXT) | instid1(VALU_DEP_1)
	s_cmp_lt_i32 s38, 11
	v_ashrrev_i32_e32 v1, 31, v0
	s_delay_alu instid0(VALU_DEP_1)
	v_add_nc_u64_e32 v[0:1], s[2:3], v[0:1]
	s_cbranch_scc1 .LBB30_3501
; %bb.2069:
	s_and_b32 s39, 0xffff, s38
	s_delay_alu instid0(SALU_CYCLE_1)
	s_cmp_gt_i32 s39, 25
	s_cbranch_scc0 .LBB30_3503
; %bb.2070:
	s_cmp_gt_i32 s39, 28
	s_cbranch_scc0 .LBB30_3505
; %bb.2071:
	s_cmp_gt_i32 s39, 43
	s_cbranch_scc0 .LBB30_3593
; %bb.2072:
	s_cmp_gt_i32 s39, 45
	s_cbranch_scc0 .LBB30_3596
; %bb.2073:
	s_mov_b32 s41, 0
	s_mov_b32 s31, -1
	s_cmp_eq_u32 s39, 46
	s_mov_b32 s40, 0
	s_cbranch_scc0 .LBB30_3597
; %bb.2074:
	v_mov_b32_e32 v2, 0
	s_mov_b32 s40, -1
	s_mov_b32 s31, 0
	global_store_b32 v[0:1], v2, off
	s_branch .LBB30_3597
.LBB30_2075:
	s_mov_b32 s13, -1
.LBB30_2076:
                                        ; implicit-def: $vgpr0_vgpr1
.LBB30_2077:
	s_and_b32 vcc_lo, exec_lo, s58
	s_cbranch_vccz .LBB30_2081
; %bb.2078:
	s_cmp_eq_u32 s12, 44
	s_cbranch_scc0 .LBB30_2080
; %bb.2079:
	global_load_u8 v6, v[2:3], off
	s_mov_b32 s13, 0
	s_mov_b32 s57, -1
	s_wait_loadcnt 0x0
	v_cmp_ne_u32_e32 vcc_lo, 0, v6
	v_lshlrev_b32_e32 v0, 23, v6
	s_delay_alu instid0(VALU_DEP_1) | instskip(NEXT) | instid1(VALU_DEP_1)
	v_trunc_f32_e32 v0, v0
	v_mul_f32_e64 v1, 0x2f800000, |v0|
	s_delay_alu instid0(VALU_DEP_1) | instskip(NEXT) | instid1(VALU_DEP_1)
	v_floor_f32_e32 v1, v1
	v_fma_f32 v4, 0xcf800000, v1, |v0|
	v_ashrrev_i32_e32 v0, 31, v0
	v_cvt_u32_f32_e32 v5, v1
	s_delay_alu instid0(VALU_DEP_3) | instskip(NEXT) | instid1(VALU_DEP_2)
	v_cvt_u32_f32_e32 v4, v4
	v_dual_mov_b32 v1, v0 :: v_dual_bitop2_b32 v5, v5, v0 bitop3:0x14
	s_delay_alu instid0(VALU_DEP_2) | instskip(NEXT) | instid1(VALU_DEP_1)
	v_xor_b32_e32 v4, v4, v0
	v_sub_nc_u64_e32 v[0:1], v[4:5], v[0:1]
	s_delay_alu instid0(VALU_DEP_1)
	v_dual_cndmask_b32 v1, 0, v1 :: v_dual_cndmask_b32 v0, 0, v0
	s_branch .LBB30_2081
.LBB30_2080:
	s_mov_b32 s13, -1
                                        ; implicit-def: $vgpr0_vgpr1
.LBB30_2081:
	s_mov_b32 s58, 0
.LBB30_2082:
	s_delay_alu instid0(SALU_CYCLE_1)
	s_and_b32 vcc_lo, exec_lo, s58
	s_cbranch_vccz .LBB30_2086
; %bb.2083:
	s_cmp_eq_u32 s12, 29
	s_cbranch_scc0 .LBB30_2085
; %bb.2084:
	global_load_b64 v[0:1], v[2:3], off
	s_mov_b32 s13, 0
	s_mov_b32 s57, -1
	s_branch .LBB30_2086
.LBB30_2085:
	s_mov_b32 s13, -1
                                        ; implicit-def: $vgpr0_vgpr1
.LBB30_2086:
	s_mov_b32 s58, 0
.LBB30_2087:
	s_delay_alu instid0(SALU_CYCLE_1)
	s_and_b32 vcc_lo, exec_lo, s58
	s_cbranch_vccz .LBB30_2103
; %bb.2088:
	s_cmp_lt_i32 s12, 27
	s_cbranch_scc1 .LBB30_2091
; %bb.2089:
	s_cmp_gt_i32 s12, 27
	s_cbranch_scc0 .LBB30_2092
; %bb.2090:
	s_wait_loadcnt 0x0
	global_load_b32 v0, v[2:3], off
	v_mov_b32_e32 v1, 0
	s_mov_b32 s57, 0
	s_branch .LBB30_2093
.LBB30_2091:
	s_mov_b32 s57, -1
                                        ; implicit-def: $vgpr0_vgpr1
	s_branch .LBB30_2096
.LBB30_2092:
	s_mov_b32 s57, -1
                                        ; implicit-def: $vgpr0_vgpr1
.LBB30_2093:
	s_delay_alu instid0(SALU_CYCLE_1)
	s_and_not1_b32 vcc_lo, exec_lo, s57
	s_cbranch_vccnz .LBB30_2095
; %bb.2094:
	s_wait_loadcnt 0x0
	global_load_u16 v0, v[2:3], off
	s_mov_b32 s57, 0
	s_delay_alu instid0(SALU_CYCLE_1)
	v_mov_b32_e32 v1, s57
	s_wait_loadcnt 0x0
	v_and_b32_e32 v0, 0xffff, v0
.LBB30_2095:
	s_mov_b32 s57, 0
.LBB30_2096:
	s_delay_alu instid0(SALU_CYCLE_1)
	s_and_not1_b32 vcc_lo, exec_lo, s57
	s_cbranch_vccnz .LBB30_2102
; %bb.2097:
	global_load_u8 v4, v[2:3], off
	s_mov_b32 s58, 0
	s_mov_b32 s57, exec_lo
	s_wait_loadcnt 0x0
	v_cmpx_lt_i16_e32 0x7f, v4
	s_xor_b32 s57, exec_lo, s57
	s_cbranch_execz .LBB30_2114
; %bb.2098:
	v_cmp_ne_u16_e32 vcc_lo, 0x80, v4
	s_and_b32 s58, vcc_lo, exec_lo
	s_and_not1_saveexec_b32 s57, s57
	s_cbranch_execnz .LBB30_2115
.LBB30_2099:
	s_or_b32 exec_lo, exec_lo, s57
	v_mov_b64_e32 v[0:1], 0
	s_and_saveexec_b32 s57, s58
	s_cbranch_execz .LBB30_2101
.LBB30_2100:
	v_and_b32_e32 v0, 0xffff, v4
	s_delay_alu instid0(VALU_DEP_1) | instskip(SKIP_1) | instid1(VALU_DEP_2)
	v_and_b32_e32 v1, 7, v0
	v_bfe_u32 v7, v0, 3, 4
	v_clz_i32_u32_e32 v5, v1
	s_delay_alu instid0(VALU_DEP_2) | instskip(NEXT) | instid1(VALU_DEP_2)
	v_cmp_eq_u32_e32 vcc_lo, 0, v7
	v_min_u32_e32 v5, 32, v5
	s_delay_alu instid0(VALU_DEP_1) | instskip(NEXT) | instid1(VALU_DEP_1)
	v_subrev_nc_u32_e32 v6, 28, v5
	v_dual_lshlrev_b32 v0, v6, v0 :: v_dual_sub_nc_u32 v5, 29, v5
	s_delay_alu instid0(VALU_DEP_1) | instskip(NEXT) | instid1(VALU_DEP_2)
	v_and_b32_e32 v0, 7, v0
	v_dual_cndmask_b32 v5, v7, v5 :: v_dual_lshlrev_b32 v4, 24, v4
	s_delay_alu instid0(VALU_DEP_2) | instskip(NEXT) | instid1(VALU_DEP_2)
	v_cndmask_b32_e32 v0, v1, v0, vcc_lo
	v_and_b32_e32 v1, 0x80000000, v4
	s_delay_alu instid0(VALU_DEP_3) | instskip(NEXT) | instid1(VALU_DEP_3)
	v_lshl_add_u32 v4, v5, 23, 0x3b800000
	v_lshlrev_b32_e32 v0, 20, v0
	s_delay_alu instid0(VALU_DEP_1) | instskip(NEXT) | instid1(VALU_DEP_1)
	v_or3_b32 v0, v1, v4, v0
	v_trunc_f32_e32 v0, v0
	s_delay_alu instid0(VALU_DEP_1) | instskip(NEXT) | instid1(VALU_DEP_1)
	v_mul_f32_e64 v1, 0x2f800000, |v0|
	v_floor_f32_e32 v1, v1
	s_delay_alu instid0(VALU_DEP_1) | instskip(SKIP_2) | instid1(VALU_DEP_3)
	v_fma_f32 v4, 0xcf800000, v1, |v0|
	v_ashrrev_i32_e32 v0, 31, v0
	v_cvt_u32_f32_e32 v5, v1
	v_cvt_u32_f32_e32 v4, v4
	s_delay_alu instid0(VALU_DEP_2) | instskip(NEXT) | instid1(VALU_DEP_2)
	v_dual_mov_b32 v1, v0 :: v_dual_bitop2_b32 v5, v5, v0 bitop3:0x14
	v_xor_b32_e32 v4, v4, v0
	s_delay_alu instid0(VALU_DEP_1)
	v_sub_nc_u64_e32 v[0:1], v[4:5], v[0:1]
.LBB30_2101:
	s_or_b32 exec_lo, exec_lo, s57
.LBB30_2102:
	s_mov_b32 s57, -1
.LBB30_2103:
	s_mov_b32 s58, 0
.LBB30_2104:
	s_delay_alu instid0(SALU_CYCLE_1)
	s_and_b32 vcc_lo, exec_lo, s58
	s_cbranch_vccz .LBB30_2135
; %bb.2105:
	s_cmp_gt_i32 s12, 22
	s_cbranch_scc0 .LBB30_2113
; %bb.2106:
	s_cmp_lt_i32 s12, 24
	s_cbranch_scc1 .LBB30_2116
; %bb.2107:
	s_cmp_gt_i32 s12, 24
	s_cbranch_scc0 .LBB30_2117
; %bb.2108:
	global_load_u8 v4, v[2:3], off
	s_mov_b32 s57, 0
	s_mov_b32 s24, exec_lo
	s_wait_loadcnt 0x0
	v_cmpx_lt_i16_e32 0x7f, v4
	s_xor_b32 s24, exec_lo, s24
	s_cbranch_execz .LBB30_2129
; %bb.2109:
	v_cmp_ne_u16_e32 vcc_lo, 0x80, v4
	s_and_b32 s57, vcc_lo, exec_lo
	s_and_not1_saveexec_b32 s24, s24
	s_cbranch_execnz .LBB30_2130
.LBB30_2110:
	s_or_b32 exec_lo, exec_lo, s24
	v_mov_b64_e32 v[0:1], 0
	s_and_saveexec_b32 s24, s57
	s_cbranch_execz .LBB30_2112
.LBB30_2111:
	v_and_b32_e32 v0, 0xffff, v4
	s_delay_alu instid0(VALU_DEP_1) | instskip(SKIP_1) | instid1(VALU_DEP_2)
	v_and_b32_e32 v1, 3, v0
	v_bfe_u32 v7, v0, 2, 5
	v_clz_i32_u32_e32 v5, v1
	s_delay_alu instid0(VALU_DEP_2) | instskip(NEXT) | instid1(VALU_DEP_2)
	v_cmp_eq_u32_e32 vcc_lo, 0, v7
	v_min_u32_e32 v5, 32, v5
	s_delay_alu instid0(VALU_DEP_1) | instskip(NEXT) | instid1(VALU_DEP_1)
	v_subrev_nc_u32_e32 v6, 29, v5
	v_dual_lshlrev_b32 v0, v6, v0 :: v_dual_sub_nc_u32 v5, 30, v5
	s_delay_alu instid0(VALU_DEP_1) | instskip(NEXT) | instid1(VALU_DEP_2)
	v_and_b32_e32 v0, 3, v0
	v_dual_cndmask_b32 v5, v7, v5 :: v_dual_lshlrev_b32 v4, 24, v4
	s_delay_alu instid0(VALU_DEP_2) | instskip(NEXT) | instid1(VALU_DEP_2)
	v_cndmask_b32_e32 v0, v1, v0, vcc_lo
	v_and_b32_e32 v1, 0x80000000, v4
	s_delay_alu instid0(VALU_DEP_3) | instskip(NEXT) | instid1(VALU_DEP_3)
	v_lshl_add_u32 v4, v5, 23, 0x37800000
	v_lshlrev_b32_e32 v0, 21, v0
	s_delay_alu instid0(VALU_DEP_1) | instskip(NEXT) | instid1(VALU_DEP_1)
	v_or3_b32 v0, v1, v4, v0
	v_trunc_f32_e32 v0, v0
	s_delay_alu instid0(VALU_DEP_1) | instskip(NEXT) | instid1(VALU_DEP_1)
	v_mul_f32_e64 v1, 0x2f800000, |v0|
	v_floor_f32_e32 v1, v1
	s_delay_alu instid0(VALU_DEP_1) | instskip(SKIP_2) | instid1(VALU_DEP_3)
	v_fma_f32 v4, 0xcf800000, v1, |v0|
	v_ashrrev_i32_e32 v0, 31, v0
	v_cvt_u32_f32_e32 v5, v1
	v_cvt_u32_f32_e32 v4, v4
	s_delay_alu instid0(VALU_DEP_2) | instskip(NEXT) | instid1(VALU_DEP_2)
	v_dual_mov_b32 v1, v0 :: v_dual_bitop2_b32 v5, v5, v0 bitop3:0x14
	v_xor_b32_e32 v4, v4, v0
	s_delay_alu instid0(VALU_DEP_1)
	v_sub_nc_u64_e32 v[0:1], v[4:5], v[0:1]
.LBB30_2112:
	s_or_b32 exec_lo, exec_lo, s24
	s_mov_b32 s24, 0
	s_branch .LBB30_2118
.LBB30_2113:
	s_mov_b32 s24, -1
                                        ; implicit-def: $vgpr0_vgpr1
	s_branch .LBB30_2124
.LBB30_2114:
	s_and_not1_saveexec_b32 s57, s57
	s_cbranch_execz .LBB30_2099
.LBB30_2115:
	v_cmp_ne_u16_e32 vcc_lo, 0, v4
	s_and_not1_b32 s58, s58, exec_lo
	s_and_b32 s80, vcc_lo, exec_lo
	s_delay_alu instid0(SALU_CYCLE_1)
	s_or_b32 s58, s58, s80
	s_or_b32 exec_lo, exec_lo, s57
	v_mov_b64_e32 v[0:1], 0
	s_and_saveexec_b32 s57, s58
	s_cbranch_execnz .LBB30_2100
	s_branch .LBB30_2101
.LBB30_2116:
	s_mov_b32 s24, -1
                                        ; implicit-def: $vgpr0_vgpr1
	s_branch .LBB30_2121
.LBB30_2117:
	s_mov_b32 s24, -1
                                        ; implicit-def: $vgpr0_vgpr1
.LBB30_2118:
	s_delay_alu instid0(SALU_CYCLE_1)
	s_and_b32 vcc_lo, exec_lo, s24
	s_cbranch_vccz .LBB30_2120
; %bb.2119:
	s_wait_loadcnt 0x0
	global_load_u8 v0, v[2:3], off
	s_wait_loadcnt 0x0
	v_lshlrev_b32_e32 v0, 24, v0
	s_delay_alu instid0(VALU_DEP_1) | instskip(NEXT) | instid1(VALU_DEP_1)
	v_and_b32_e32 v1, 0x7f000000, v0
	v_clz_i32_u32_e32 v4, v1
	v_cmp_ne_u32_e32 vcc_lo, 0, v1
	v_add_nc_u32_e32 v6, 0x1000000, v1
	s_delay_alu instid0(VALU_DEP_3) | instskip(NEXT) | instid1(VALU_DEP_1)
	v_min_u32_e32 v4, 32, v4
	v_sub_nc_u32_e64 v4, v4, 4 clamp
	s_delay_alu instid0(VALU_DEP_1) | instskip(NEXT) | instid1(VALU_DEP_1)
	v_dual_lshlrev_b32 v5, v4, v1 :: v_dual_lshlrev_b32 v4, 23, v4
	v_lshrrev_b32_e32 v5, 4, v5
	s_delay_alu instid0(VALU_DEP_1) | instskip(NEXT) | instid1(VALU_DEP_1)
	v_dual_sub_nc_u32 v4, v5, v4 :: v_dual_ashrrev_i32 v5, 8, v6
	v_add_nc_u32_e32 v4, 0x3c000000, v4
	s_delay_alu instid0(VALU_DEP_1) | instskip(NEXT) | instid1(VALU_DEP_1)
	v_and_or_b32 v4, 0x7f800000, v5, v4
	v_cndmask_b32_e32 v1, 0, v4, vcc_lo
	s_delay_alu instid0(VALU_DEP_1) | instskip(NEXT) | instid1(VALU_DEP_1)
	v_and_or_b32 v0, 0x80000000, v0, v1
	v_trunc_f32_e32 v0, v0
	s_delay_alu instid0(VALU_DEP_1) | instskip(NEXT) | instid1(VALU_DEP_1)
	v_mul_f32_e64 v1, 0x2f800000, |v0|
	v_floor_f32_e32 v1, v1
	s_delay_alu instid0(VALU_DEP_1) | instskip(SKIP_2) | instid1(VALU_DEP_3)
	v_fma_f32 v4, 0xcf800000, v1, |v0|
	v_ashrrev_i32_e32 v0, 31, v0
	v_cvt_u32_f32_e32 v5, v1
	v_cvt_u32_f32_e32 v4, v4
	s_delay_alu instid0(VALU_DEP_2) | instskip(NEXT) | instid1(VALU_DEP_2)
	v_dual_mov_b32 v1, v0 :: v_dual_bitop2_b32 v5, v5, v0 bitop3:0x14
	v_xor_b32_e32 v4, v4, v0
	s_delay_alu instid0(VALU_DEP_1)
	v_sub_nc_u64_e32 v[0:1], v[4:5], v[0:1]
.LBB30_2120:
	s_mov_b32 s24, 0
.LBB30_2121:
	s_delay_alu instid0(SALU_CYCLE_1)
	s_and_not1_b32 vcc_lo, exec_lo, s24
	s_cbranch_vccnz .LBB30_2123
; %bb.2122:
	s_wait_loadcnt 0x0
	global_load_u8 v0, v[2:3], off
	s_wait_loadcnt 0x0
	v_lshlrev_b32_e32 v1, 25, v0
	v_lshlrev_b16 v0, 8, v0
	s_delay_alu instid0(VALU_DEP_1) | instskip(SKIP_1) | instid1(VALU_DEP_2)
	v_and_or_b32 v5, 0x7f00, v0, 0.5
	v_bfe_i32 v0, v0, 0, 16
	v_add_f32_e32 v5, -0.5, v5
	v_lshrrev_b32_e32 v4, 4, v1
	v_cmp_gt_u32_e32 vcc_lo, 0x8000000, v1
	s_delay_alu instid0(VALU_DEP_2) | instskip(NEXT) | instid1(VALU_DEP_1)
	v_or_b32_e32 v4, 0x70000000, v4
	v_mul_f32_e32 v4, 0x7800000, v4
	s_delay_alu instid0(VALU_DEP_1) | instskip(NEXT) | instid1(VALU_DEP_1)
	v_cndmask_b32_e32 v1, v4, v5, vcc_lo
	v_and_or_b32 v0, 0x80000000, v0, v1
	s_delay_alu instid0(VALU_DEP_1) | instskip(NEXT) | instid1(VALU_DEP_1)
	v_trunc_f32_e32 v0, v0
	v_mul_f32_e64 v1, 0x2f800000, |v0|
	s_delay_alu instid0(VALU_DEP_1) | instskip(NEXT) | instid1(VALU_DEP_1)
	v_floor_f32_e32 v1, v1
	v_fma_f32 v4, 0xcf800000, v1, |v0|
	v_ashrrev_i32_e32 v0, 31, v0
	v_cvt_u32_f32_e32 v5, v1
	s_delay_alu instid0(VALU_DEP_3) | instskip(NEXT) | instid1(VALU_DEP_2)
	v_cvt_u32_f32_e32 v4, v4
	v_dual_mov_b32 v1, v0 :: v_dual_bitop2_b32 v5, v5, v0 bitop3:0x14
	s_delay_alu instid0(VALU_DEP_2) | instskip(NEXT) | instid1(VALU_DEP_1)
	v_xor_b32_e32 v4, v4, v0
	v_sub_nc_u64_e32 v[0:1], v[4:5], v[0:1]
.LBB30_2123:
	s_mov_b32 s24, 0
	s_mov_b32 s57, -1
.LBB30_2124:
	s_and_not1_b32 vcc_lo, exec_lo, s24
	s_mov_b32 s24, 0
	s_cbranch_vccnz .LBB30_2135
; %bb.2125:
	s_cmp_gt_i32 s12, 14
	s_cbranch_scc0 .LBB30_2128
; %bb.2126:
	s_cmp_eq_u32 s12, 15
	s_cbranch_scc0 .LBB30_2131
; %bb.2127:
	s_wait_loadcnt 0x0
	global_load_u16 v0, v[2:3], off
	s_mov_b32 s13, 0
	s_mov_b32 s57, -1
	s_wait_loadcnt 0x0
	v_lshlrev_b32_e32 v0, 16, v0
	s_delay_alu instid0(VALU_DEP_1) | instskip(NEXT) | instid1(VALU_DEP_1)
	v_trunc_f32_e32 v0, v0
	v_mul_f32_e64 v1, 0x2f800000, |v0|
	s_delay_alu instid0(VALU_DEP_1) | instskip(NEXT) | instid1(VALU_DEP_1)
	v_floor_f32_e32 v1, v1
	v_fma_f32 v4, 0xcf800000, v1, |v0|
	v_ashrrev_i32_e32 v0, 31, v0
	v_cvt_u32_f32_e32 v5, v1
	s_delay_alu instid0(VALU_DEP_3) | instskip(NEXT) | instid1(VALU_DEP_2)
	v_cvt_u32_f32_e32 v4, v4
	v_dual_mov_b32 v1, v0 :: v_dual_bitop2_b32 v5, v5, v0 bitop3:0x14
	s_delay_alu instid0(VALU_DEP_2) | instskip(NEXT) | instid1(VALU_DEP_1)
	v_xor_b32_e32 v4, v4, v0
	v_sub_nc_u64_e32 v[0:1], v[4:5], v[0:1]
	s_branch .LBB30_2133
.LBB30_2128:
	s_mov_b32 s24, -1
	s_branch .LBB30_2132
.LBB30_2129:
	s_and_not1_saveexec_b32 s24, s24
	s_cbranch_execz .LBB30_2110
.LBB30_2130:
	v_cmp_ne_u16_e32 vcc_lo, 0, v4
	s_and_not1_b32 s57, s57, exec_lo
	s_and_b32 s58, vcc_lo, exec_lo
	s_delay_alu instid0(SALU_CYCLE_1)
	s_or_b32 s57, s57, s58
	s_or_b32 exec_lo, exec_lo, s24
	v_mov_b64_e32 v[0:1], 0
	s_and_saveexec_b32 s24, s57
	s_cbranch_execnz .LBB30_2111
	s_branch .LBB30_2112
.LBB30_2131:
	s_mov_b32 s13, -1
.LBB30_2132:
                                        ; implicit-def: $vgpr0_vgpr1
.LBB30_2133:
	s_and_b32 vcc_lo, exec_lo, s24
	s_mov_b32 s24, 0
	s_cbranch_vccz .LBB30_2135
; %bb.2134:
	s_cmp_lg_u32 s12, 11
	s_mov_b32 s24, -1
	s_cselect_b32 s12, -1, 0
	s_and_not1_b32 s13, s13, exec_lo
	s_and_b32 s12, s12, exec_lo
	s_delay_alu instid0(SALU_CYCLE_1)
	s_or_b32 s13, s13, s12
.LBB30_2135:
	s_mov_b32 s12, 0
.LBB30_2136:
	s_delay_alu instid0(SALU_CYCLE_1)
	s_and_b32 s80, s12, exec_lo
	s_and_not1_b32 s12, s1, exec_lo
	s_and_b32 s13, s13, exec_lo
	s_and_b32 s81, s57, exec_lo
	;; [unrolled: 1-line block ×3, first 2 shown]
	s_or_b32 s82, s12, s13
.LBB30_2137:
	s_wait_xcnt 0x0
	s_or_b32 exec_lo, exec_lo, s47
	s_delay_alu instid0(SALU_CYCLE_1)
	s_and_not1_b32 s1, s1, exec_lo
	s_and_b32 s12, s82, exec_lo
	s_and_b32 s81, s81, exec_lo
	;; [unrolled: 1-line block ×4, first 2 shown]
	s_or_b32 s1, s1, s12
.LBB30_2138:
	s_or_b32 exec_lo, exec_lo, s46
	s_delay_alu instid0(SALU_CYCLE_1)
	s_and_not1_b32 s12, s76, exec_lo
	s_and_b32 s13, s45, exec_lo
	s_and_not1_b32 s24, s78, exec_lo
	s_or_b32 s76, s12, s13
	s_and_not1_b32 s12, s77, exec_lo
	s_and_b32 s13, s42, exec_lo
	s_and_b32 s42, s44, exec_lo
	s_or_b32 s77, s12, s13
	s_and_not1_b32 s12, s74, exec_lo
	s_and_b32 s13, s40, exec_lo
	s_or_b32 s78, s24, s42
	s_and_not1_b32 s24, s75, exec_lo
	;; [unrolled: 3-line block ×7, first 2 shown]
	s_and_b32 s13, s1, exec_lo
	s_or_b32 s71, s24, s31
	s_and_b32 s31, s81, exec_lo
	s_and_b32 s38, s80, exec_lo
	;; [unrolled: 1-line block ×3, first 2 shown]
	s_or_b32 s69, s12, s13
.LBB30_2139:
	s_or_b32 exec_lo, exec_lo, s79
	s_delay_alu instid0(SALU_CYCLE_1)
	s_and_not1_b32 s12, s56, exec_lo
	s_and_b32 s13, s76, exec_lo
	s_and_not1_b32 s24, s60, exec_lo
	s_or_b32 s56, s12, s13
	s_and_not1_b32 s12, s59, exec_lo
	s_and_b32 s13, s77, exec_lo
	s_and_b32 s39, s78, exec_lo
	s_or_b32 s59, s12, s13
	s_and_not1_b32 s12, s61, exec_lo
	s_and_b32 s13, s74, exec_lo
	s_or_b32 s60, s24, s39
	s_and_not1_b32 s24, s62, exec_lo
	;; [unrolled: 3-line block ×7, first 2 shown]
	s_and_b32 s13, s69, exec_lo
	s_or_b32 s66, s24, s39
	s_and_b32 s31, s31, exec_lo
	s_and_b32 s38, s38, exec_lo
	;; [unrolled: 1-line block ×3, first 2 shown]
	s_or_b32 s67, s12, s13
	s_or_b32 exec_lo, exec_lo, s68
	s_mov_b32 s1, 0
	s_and_saveexec_b32 s12, s67
	s_cbranch_execz .LBB30_640
.LBB30_2140:
	s_mov_b32 s1, exec_lo
	s_and_not1_b32 s69, s69, exec_lo
	s_trap 2
	s_or_b32 exec_lo, exec_lo, s12
	s_and_saveexec_b32 s12, s69
	s_delay_alu instid0(SALU_CYCLE_1)
	s_xor_b32 s12, exec_lo, s12
	s_cbranch_execnz .LBB30_641
.LBB30_2141:
	s_or_b32 exec_lo, exec_lo, s12
	s_and_saveexec_b32 s12, s38
	s_cbranch_execz .LBB30_2187
.LBB30_2142:
	s_sext_i32_i16 s13, s0
	s_delay_alu instid0(SALU_CYCLE_1)
	s_cmp_lt_i32 s13, 5
	s_cbranch_scc1 .LBB30_2147
; %bb.2143:
	s_cmp_lt_i32 s13, 8
	s_cbranch_scc1 .LBB30_2148
; %bb.2144:
	;; [unrolled: 3-line block ×3, first 2 shown]
	s_cmp_gt_i32 s13, 9
	s_cbranch_scc0 .LBB30_2150
; %bb.2146:
	s_wait_loadcnt 0x0
	global_load_b64 v[0:1], v[2:3], off
	s_mov_b32 s13, 0
	s_wait_loadcnt 0x0
	v_trunc_f64_e32 v[0:1], v[0:1]
	s_delay_alu instid0(VALU_DEP_1) | instskip(NEXT) | instid1(VALU_DEP_1)
	v_ldexp_f64 v[4:5], v[0:1], 0xffffffe0
	v_floor_f64_e32 v[4:5], v[4:5]
	s_delay_alu instid0(VALU_DEP_1) | instskip(SKIP_1) | instid1(VALU_DEP_2)
	v_fmamk_f64 v[6:7], v[4:5], 0xc1f00000, v[0:1]
	v_cvt_i32_f64_e32 v1, v[4:5]
	v_cvt_u32_f64_e32 v0, v[6:7]
	s_branch .LBB30_2151
.LBB30_2147:
                                        ; implicit-def: $vgpr0_vgpr1
	s_branch .LBB30_2168
.LBB30_2148:
                                        ; implicit-def: $vgpr0_vgpr1
	s_branch .LBB30_2157
.LBB30_2149:
	s_mov_b32 s13, -1
                                        ; implicit-def: $vgpr0_vgpr1
	s_branch .LBB30_2154
.LBB30_2150:
	s_mov_b32 s13, -1
                                        ; implicit-def: $vgpr0_vgpr1
.LBB30_2151:
	s_delay_alu instid0(SALU_CYCLE_1)
	s_and_not1_b32 vcc_lo, exec_lo, s13
	s_cbranch_vccnz .LBB30_2153
; %bb.2152:
	s_wait_loadcnt 0x0
	global_load_b32 v0, v[2:3], off
	s_wait_loadcnt 0x0
	v_trunc_f32_e32 v0, v0
	s_delay_alu instid0(VALU_DEP_1) | instskip(NEXT) | instid1(VALU_DEP_1)
	v_mul_f32_e64 v1, 0x2f800000, |v0|
	v_floor_f32_e32 v1, v1
	s_delay_alu instid0(VALU_DEP_1) | instskip(SKIP_2) | instid1(VALU_DEP_3)
	v_fma_f32 v4, 0xcf800000, v1, |v0|
	v_ashrrev_i32_e32 v0, 31, v0
	v_cvt_u32_f32_e32 v5, v1
	v_cvt_u32_f32_e32 v4, v4
	s_delay_alu instid0(VALU_DEP_2) | instskip(NEXT) | instid1(VALU_DEP_2)
	v_dual_mov_b32 v1, v0 :: v_dual_bitop2_b32 v5, v5, v0 bitop3:0x14
	v_xor_b32_e32 v4, v4, v0
	s_delay_alu instid0(VALU_DEP_1)
	v_sub_nc_u64_e32 v[0:1], v[4:5], v[0:1]
.LBB30_2153:
	s_mov_b32 s13, 0
.LBB30_2154:
	s_delay_alu instid0(SALU_CYCLE_1)
	s_and_not1_b32 vcc_lo, exec_lo, s13
	s_cbranch_vccnz .LBB30_2156
; %bb.2155:
	s_wait_loadcnt 0x0
	global_load_b32 v0, v[2:3], off
	s_wait_loadcnt 0x0
	v_cvt_f32_f16_e32 v0, v0
	s_delay_alu instid0(VALU_DEP_1) | instskip(NEXT) | instid1(VALU_DEP_1)
	v_cvt_i32_f32_e32 v0, v0
	v_ashrrev_i32_e32 v1, 31, v0
.LBB30_2156:
	s_cbranch_execnz .LBB30_2167
.LBB30_2157:
	s_sext_i32_i16 s13, s0
	s_delay_alu instid0(SALU_CYCLE_1)
	s_cmp_lt_i32 s13, 6
	s_cbranch_scc1 .LBB30_2160
; %bb.2158:
	s_cmp_gt_i32 s13, 6
	s_cbranch_scc0 .LBB30_2161
; %bb.2159:
	s_wait_loadcnt 0x0
	global_load_b64 v[0:1], v[2:3], off
	s_mov_b32 s13, 0
	s_wait_loadcnt 0x0
	v_trunc_f64_e32 v[0:1], v[0:1]
	s_delay_alu instid0(VALU_DEP_1) | instskip(NEXT) | instid1(VALU_DEP_1)
	v_ldexp_f64 v[4:5], v[0:1], 0xffffffe0
	v_floor_f64_e32 v[4:5], v[4:5]
	s_delay_alu instid0(VALU_DEP_1) | instskip(SKIP_1) | instid1(VALU_DEP_2)
	v_fmamk_f64 v[6:7], v[4:5], 0xc1f00000, v[0:1]
	v_cvt_i32_f64_e32 v1, v[4:5]
	v_cvt_u32_f64_e32 v0, v[6:7]
	s_branch .LBB30_2162
.LBB30_2160:
	s_mov_b32 s13, -1
                                        ; implicit-def: $vgpr0_vgpr1
	s_branch .LBB30_2165
.LBB30_2161:
	s_mov_b32 s13, -1
                                        ; implicit-def: $vgpr0_vgpr1
.LBB30_2162:
	s_delay_alu instid0(SALU_CYCLE_1)
	s_and_not1_b32 vcc_lo, exec_lo, s13
	s_cbranch_vccnz .LBB30_2164
; %bb.2163:
	s_wait_loadcnt 0x0
	global_load_b32 v0, v[2:3], off
	s_wait_loadcnt 0x0
	v_trunc_f32_e32 v0, v0
	s_delay_alu instid0(VALU_DEP_1) | instskip(NEXT) | instid1(VALU_DEP_1)
	v_mul_f32_e64 v1, 0x2f800000, |v0|
	v_floor_f32_e32 v1, v1
	s_delay_alu instid0(VALU_DEP_1) | instskip(SKIP_2) | instid1(VALU_DEP_3)
	v_fma_f32 v4, 0xcf800000, v1, |v0|
	v_ashrrev_i32_e32 v0, 31, v0
	v_cvt_u32_f32_e32 v5, v1
	v_cvt_u32_f32_e32 v4, v4
	s_delay_alu instid0(VALU_DEP_2) | instskip(NEXT) | instid1(VALU_DEP_2)
	v_dual_mov_b32 v1, v0 :: v_dual_bitop2_b32 v5, v5, v0 bitop3:0x14
	v_xor_b32_e32 v4, v4, v0
	s_delay_alu instid0(VALU_DEP_1)
	v_sub_nc_u64_e32 v[0:1], v[4:5], v[0:1]
.LBB30_2164:
	s_mov_b32 s13, 0
.LBB30_2165:
	s_delay_alu instid0(SALU_CYCLE_1)
	s_and_not1_b32 vcc_lo, exec_lo, s13
	s_cbranch_vccnz .LBB30_2167
; %bb.2166:
	s_wait_loadcnt 0x0
	global_load_u16 v0, v[2:3], off
	s_wait_loadcnt 0x0
	v_cvt_f32_f16_e32 v0, v0
	s_delay_alu instid0(VALU_DEP_1) | instskip(NEXT) | instid1(VALU_DEP_1)
	v_cvt_i32_f32_e32 v0, v0
	v_ashrrev_i32_e32 v1, 31, v0
.LBB30_2167:
	s_cbranch_execnz .LBB30_2186
.LBB30_2168:
	s_sext_i32_i16 s13, s0
	s_delay_alu instid0(SALU_CYCLE_1)
	s_cmp_lt_i32 s13, 2
	s_cbranch_scc1 .LBB30_2172
; %bb.2169:
	s_cmp_lt_i32 s13, 3
	s_cbranch_scc1 .LBB30_2173
; %bb.2170:
	s_cmp_gt_i32 s13, 3
	s_cbranch_scc0 .LBB30_2174
; %bb.2171:
	s_wait_loadcnt 0x0
	global_load_b64 v[0:1], v[2:3], off
	s_mov_b32 s13, 0
	s_branch .LBB30_2175
.LBB30_2172:
                                        ; implicit-def: $vgpr0_vgpr1
	s_branch .LBB30_2181
.LBB30_2173:
	s_mov_b32 s13, -1
                                        ; implicit-def: $vgpr0_vgpr1
	s_branch .LBB30_2178
.LBB30_2174:
	s_mov_b32 s13, -1
                                        ; implicit-def: $vgpr0_vgpr1
.LBB30_2175:
	s_delay_alu instid0(SALU_CYCLE_1)
	s_and_not1_b32 vcc_lo, exec_lo, s13
	s_cbranch_vccnz .LBB30_2177
; %bb.2176:
	s_wait_loadcnt 0x0
	global_load_b32 v0, v[2:3], off
	s_wait_loadcnt 0x0
	v_ashrrev_i32_e32 v1, 31, v0
.LBB30_2177:
	s_mov_b32 s13, 0
.LBB30_2178:
	s_delay_alu instid0(SALU_CYCLE_1)
	s_and_not1_b32 vcc_lo, exec_lo, s13
	s_cbranch_vccnz .LBB30_2180
; %bb.2179:
	s_wait_loadcnt 0x0
	global_load_u16 v0, v[2:3], off
	s_wait_loadcnt 0x0
	v_bfe_i32 v0, v0, 0, 16
	s_delay_alu instid0(VALU_DEP_1)
	v_ashrrev_i32_e32 v1, 31, v0
.LBB30_2180:
	s_cbranch_execnz .LBB30_2186
.LBB30_2181:
	s_sext_i32_i16 s0, s0
	s_delay_alu instid0(SALU_CYCLE_1)
	s_cmp_gt_i32 s0, 0
	s_mov_b32 s0, 0
	s_cbranch_scc0 .LBB30_2183
; %bb.2182:
	s_wait_loadcnt 0x0
	global_load_i8 v0, v[2:3], off
	s_wait_loadcnt 0x0
	v_bfe_i32 v0, v0, 0, 16
	s_delay_alu instid0(VALU_DEP_1)
	v_ashrrev_i32_e32 v1, 31, v0
	s_branch .LBB30_2184
.LBB30_2183:
	s_mov_b32 s0, -1
                                        ; implicit-def: $vgpr0_vgpr1
.LBB30_2184:
	s_delay_alu instid0(SALU_CYCLE_1)
	s_and_not1_b32 vcc_lo, exec_lo, s0
	s_cbranch_vccnz .LBB30_2186
; %bb.2185:
	s_wait_loadcnt 0x0
	global_load_u8 v0, v[2:3], off
	s_mov_b32 s0, 0
	s_delay_alu instid0(SALU_CYCLE_1)
	v_mov_b32_e32 v1, s0
	s_wait_loadcnt 0x0
	v_and_b32_e32 v0, 0xffff, v0
.LBB30_2186:
	s_or_b32 s31, s31, exec_lo
.LBB30_2187:
	s_wait_xcnt 0x0
	s_or_b32 exec_lo, exec_lo, s12
	s_mov_b32 s38, 0
	s_mov_b32 s24, 0
	;; [unrolled: 1-line block ×3, first 2 shown]
                                        ; implicit-def: $sgpr0
                                        ; implicit-def: $vgpr4_vgpr5
                                        ; implicit-def: $vgpr2_vgpr3
	s_and_saveexec_b32 s12, s31
	s_cbranch_execz .LBB30_2195
; %bb.2188:
	s_wait_loadcnt 0x0
	v_mul_lo_u32 v2, s25, v26
	s_and_b32 s0, s55, 0xff
	s_delay_alu instid0(SALU_CYCLE_1) | instskip(NEXT) | instid1(VALU_DEP_1)
	s_cmp_lt_i32 s0, 11
	v_ashrrev_i32_e32 v3, 31, v2
	s_delay_alu instid0(VALU_DEP_1)
	v_add_nc_u64_e32 v[4:5], s[14:15], v[2:3]
	s_cbranch_scc1 .LBB30_2198
; %bb.2189:
	s_and_b32 s13, 0xffff, s0
	s_mov_b32 s15, 0
	s_cmp_gt_i32 s13, 25
	s_cbranch_scc0 .LBB30_2199
; %bb.2190:
	s_cmp_gt_i32 s13, 28
	s_cbranch_scc0 .LBB30_2200
; %bb.2191:
	;; [unrolled: 3-line block ×4, first 2 shown]
	s_cmp_eq_u32 s13, 46
	s_mov_b32 s25, 0
	s_cbranch_scc0 .LBB30_2203
; %bb.2194:
	global_load_b32 v2, v[4:5], off
	s_mov_b32 s14, 0
	s_mov_b32 s24, -1
	s_wait_loadcnt 0x0
	v_lshlrev_b32_e32 v2, 16, v2
	s_delay_alu instid0(VALU_DEP_1) | instskip(NEXT) | instid1(VALU_DEP_1)
	v_trunc_f32_e32 v2, v2
	v_mul_f32_e64 v3, 0x2f800000, |v2|
	s_delay_alu instid0(VALU_DEP_1) | instskip(NEXT) | instid1(VALU_DEP_1)
	v_floor_f32_e32 v3, v3
	v_fma_f32 v6, 0xcf800000, v3, |v2|
	v_ashrrev_i32_e32 v2, 31, v2
	v_cvt_u32_f32_e32 v7, v3
	s_delay_alu instid0(VALU_DEP_3) | instskip(NEXT) | instid1(VALU_DEP_2)
	v_cvt_u32_f32_e32 v6, v6
	v_dual_mov_b32 v3, v2 :: v_dual_bitop2_b32 v7, v7, v2 bitop3:0x14
	s_delay_alu instid0(VALU_DEP_2) | instskip(NEXT) | instid1(VALU_DEP_1)
	v_xor_b32_e32 v6, v6, v2
	v_sub_nc_u64_e32 v[2:3], v[6:7], v[2:3]
	s_branch .LBB30_2205
.LBB30_2195:
	s_or_b32 exec_lo, exec_lo, s12
	s_and_saveexec_b32 s12, s66
	s_cbranch_execnz .LBB30_2264
.LBB30_2196:
	s_or_b32 exec_lo, exec_lo, s12
	s_and_saveexec_b32 s12, s38
	s_delay_alu instid0(SALU_CYCLE_1)
	s_xor_b32 s12, exec_lo, s12
	s_cbranch_execz .LBB30_2265
.LBB30_2197:
	s_wait_loadcnt 0x0
	global_load_u8 v2, v[4:5], off
	s_mov_b32 s14, 0
	s_or_b32 s13, s13, exec_lo
	v_mov_b32_e32 v3, s14
	s_wait_loadcnt 0x0
	v_cmp_ne_u16_e32 vcc_lo, 0, v2
	v_cndmask_b32_e64 v2, 0, 1, vcc_lo
	s_wait_xcnt 0x0
	s_or_b32 exec_lo, exec_lo, s12
	s_and_saveexec_b32 s12, s24
	s_cbranch_execz .LBB30_2311
	s_branch .LBB30_2266
.LBB30_2198:
	s_mov_b32 s25, -1
	s_mov_b32 s15, 0
	s_mov_b32 s14, s66
                                        ; implicit-def: $vgpr2_vgpr3
	s_branch .LBB30_2263
.LBB30_2199:
	s_mov_b32 s14, s66
                                        ; implicit-def: $vgpr2_vgpr3
	s_cbranch_execnz .LBB30_2232
	s_branch .LBB30_2262
.LBB30_2200:
	s_mov_b32 s25, -1
	s_mov_b32 s14, s66
                                        ; implicit-def: $vgpr2_vgpr3
	s_branch .LBB30_2215
.LBB30_2201:
	s_mov_b32 s25, -1
	s_mov_b32 s14, s66
                                        ; implicit-def: $vgpr2_vgpr3
	s_branch .LBB30_2210
.LBB30_2202:
	s_mov_b32 s25, -1
	s_mov_b32 s14, s66
	s_branch .LBB30_2204
.LBB30_2203:
	s_mov_b32 s14, -1
.LBB30_2204:
                                        ; implicit-def: $vgpr2_vgpr3
.LBB30_2205:
	s_and_b32 vcc_lo, exec_lo, s25
	s_cbranch_vccz .LBB30_2209
; %bb.2206:
	s_cmp_eq_u32 s13, 44
	s_cbranch_scc0 .LBB30_2208
; %bb.2207:
	global_load_u8 v8, v[4:5], off
	s_mov_b32 s14, 0
	s_mov_b32 s24, -1
	s_wait_loadcnt 0x0
	v_cmp_ne_u32_e32 vcc_lo, 0, v8
	v_lshlrev_b32_e32 v2, 23, v8
	s_delay_alu instid0(VALU_DEP_1) | instskip(NEXT) | instid1(VALU_DEP_1)
	v_trunc_f32_e32 v2, v2
	v_mul_f32_e64 v3, 0x2f800000, |v2|
	s_delay_alu instid0(VALU_DEP_1) | instskip(NEXT) | instid1(VALU_DEP_1)
	v_floor_f32_e32 v3, v3
	v_fma_f32 v6, 0xcf800000, v3, |v2|
	v_ashrrev_i32_e32 v2, 31, v2
	v_cvt_u32_f32_e32 v7, v3
	s_delay_alu instid0(VALU_DEP_3) | instskip(NEXT) | instid1(VALU_DEP_2)
	v_cvt_u32_f32_e32 v6, v6
	v_dual_mov_b32 v3, v2 :: v_dual_bitop2_b32 v7, v7, v2 bitop3:0x14
	s_delay_alu instid0(VALU_DEP_2) | instskip(NEXT) | instid1(VALU_DEP_1)
	v_xor_b32_e32 v6, v6, v2
	v_sub_nc_u64_e32 v[2:3], v[6:7], v[2:3]
	s_delay_alu instid0(VALU_DEP_1)
	v_dual_cndmask_b32 v3, 0, v3 :: v_dual_cndmask_b32 v2, 0, v2
	s_branch .LBB30_2209
.LBB30_2208:
	s_mov_b32 s14, -1
                                        ; implicit-def: $vgpr2_vgpr3
.LBB30_2209:
	s_mov_b32 s25, 0
.LBB30_2210:
	s_delay_alu instid0(SALU_CYCLE_1)
	s_and_b32 vcc_lo, exec_lo, s25
	s_cbranch_vccz .LBB30_2214
; %bb.2211:
	s_cmp_eq_u32 s13, 29
	s_cbranch_scc0 .LBB30_2213
; %bb.2212:
	global_load_b64 v[2:3], v[4:5], off
	s_mov_b32 s14, 0
	s_mov_b32 s24, -1
	s_branch .LBB30_2214
.LBB30_2213:
	s_mov_b32 s14, -1
                                        ; implicit-def: $vgpr2_vgpr3
.LBB30_2214:
	s_mov_b32 s25, 0
.LBB30_2215:
	s_delay_alu instid0(SALU_CYCLE_1)
	s_and_b32 vcc_lo, exec_lo, s25
	s_cbranch_vccz .LBB30_2231
; %bb.2216:
	s_cmp_lt_i32 s13, 27
	s_cbranch_scc1 .LBB30_2219
; %bb.2217:
	s_cmp_gt_i32 s13, 27
	s_cbranch_scc0 .LBB30_2220
; %bb.2218:
	s_wait_loadcnt 0x0
	global_load_b32 v2, v[4:5], off
	v_mov_b32_e32 v3, 0
	s_mov_b32 s24, 0
	s_branch .LBB30_2221
.LBB30_2219:
	s_mov_b32 s24, -1
                                        ; implicit-def: $vgpr2_vgpr3
	s_branch .LBB30_2224
.LBB30_2220:
	s_mov_b32 s24, -1
                                        ; implicit-def: $vgpr2_vgpr3
.LBB30_2221:
	s_delay_alu instid0(SALU_CYCLE_1)
	s_and_not1_b32 vcc_lo, exec_lo, s24
	s_cbranch_vccnz .LBB30_2223
; %bb.2222:
	s_wait_loadcnt 0x0
	global_load_u16 v2, v[4:5], off
	s_mov_b32 s24, 0
	s_delay_alu instid0(SALU_CYCLE_1)
	v_mov_b32_e32 v3, s24
	s_wait_loadcnt 0x0
	v_and_b32_e32 v2, 0xffff, v2
.LBB30_2223:
	s_mov_b32 s24, 0
.LBB30_2224:
	s_delay_alu instid0(SALU_CYCLE_1)
	s_and_not1_b32 vcc_lo, exec_lo, s24
	s_cbranch_vccnz .LBB30_2230
; %bb.2225:
	global_load_u8 v6, v[4:5], off
	s_mov_b32 s25, 0
	s_mov_b32 s24, exec_lo
	s_wait_loadcnt 0x0
	v_cmpx_lt_i16_e32 0x7f, v6
	s_xor_b32 s24, exec_lo, s24
	s_cbranch_execz .LBB30_2241
; %bb.2226:
	v_cmp_ne_u16_e32 vcc_lo, 0x80, v6
	s_and_b32 s25, vcc_lo, exec_lo
	s_and_not1_saveexec_b32 s24, s24
	s_cbranch_execnz .LBB30_2242
.LBB30_2227:
	s_or_b32 exec_lo, exec_lo, s24
	v_mov_b64_e32 v[2:3], 0
	s_and_saveexec_b32 s24, s25
	s_cbranch_execz .LBB30_2229
.LBB30_2228:
	v_and_b32_e32 v2, 0xffff, v6
	s_delay_alu instid0(VALU_DEP_1) | instskip(SKIP_1) | instid1(VALU_DEP_2)
	v_and_b32_e32 v3, 7, v2
	v_bfe_u32 v9, v2, 3, 4
	v_clz_i32_u32_e32 v7, v3
	s_delay_alu instid0(VALU_DEP_2) | instskip(NEXT) | instid1(VALU_DEP_2)
	v_cmp_eq_u32_e32 vcc_lo, 0, v9
	v_min_u32_e32 v7, 32, v7
	s_delay_alu instid0(VALU_DEP_1) | instskip(NEXT) | instid1(VALU_DEP_1)
	v_subrev_nc_u32_e32 v8, 28, v7
	v_dual_lshlrev_b32 v2, v8, v2 :: v_dual_sub_nc_u32 v7, 29, v7
	s_delay_alu instid0(VALU_DEP_1) | instskip(NEXT) | instid1(VALU_DEP_2)
	v_and_b32_e32 v2, 7, v2
	v_dual_cndmask_b32 v7, v9, v7 :: v_dual_lshlrev_b32 v6, 24, v6
	s_delay_alu instid0(VALU_DEP_2) | instskip(NEXT) | instid1(VALU_DEP_2)
	v_cndmask_b32_e32 v2, v3, v2, vcc_lo
	v_and_b32_e32 v3, 0x80000000, v6
	s_delay_alu instid0(VALU_DEP_3) | instskip(NEXT) | instid1(VALU_DEP_3)
	v_lshl_add_u32 v6, v7, 23, 0x3b800000
	v_lshlrev_b32_e32 v2, 20, v2
	s_delay_alu instid0(VALU_DEP_1) | instskip(NEXT) | instid1(VALU_DEP_1)
	v_or3_b32 v2, v3, v6, v2
	v_trunc_f32_e32 v2, v2
	s_delay_alu instid0(VALU_DEP_1) | instskip(NEXT) | instid1(VALU_DEP_1)
	v_mul_f32_e64 v3, 0x2f800000, |v2|
	v_floor_f32_e32 v3, v3
	s_delay_alu instid0(VALU_DEP_1) | instskip(SKIP_2) | instid1(VALU_DEP_3)
	v_fma_f32 v6, 0xcf800000, v3, |v2|
	v_ashrrev_i32_e32 v2, 31, v2
	v_cvt_u32_f32_e32 v7, v3
	v_cvt_u32_f32_e32 v6, v6
	s_delay_alu instid0(VALU_DEP_2) | instskip(NEXT) | instid1(VALU_DEP_2)
	v_dual_mov_b32 v3, v2 :: v_dual_bitop2_b32 v7, v7, v2 bitop3:0x14
	v_xor_b32_e32 v6, v6, v2
	s_delay_alu instid0(VALU_DEP_1)
	v_sub_nc_u64_e32 v[2:3], v[6:7], v[2:3]
.LBB30_2229:
	s_or_b32 exec_lo, exec_lo, s24
.LBB30_2230:
	s_mov_b32 s24, -1
.LBB30_2231:
	s_branch .LBB30_2262
.LBB30_2232:
	s_cmp_gt_i32 s13, 22
	s_cbranch_scc0 .LBB30_2240
; %bb.2233:
	s_cmp_lt_i32 s13, 24
	s_cbranch_scc1 .LBB30_2243
; %bb.2234:
	s_cmp_gt_i32 s13, 24
	s_cbranch_scc0 .LBB30_2244
; %bb.2235:
	global_load_u8 v6, v[4:5], off
	s_mov_b32 s24, 0
	s_mov_b32 s15, exec_lo
	s_wait_loadcnt 0x0
	v_cmpx_lt_i16_e32 0x7f, v6
	s_xor_b32 s15, exec_lo, s15
	s_cbranch_execz .LBB30_2256
; %bb.2236:
	v_cmp_ne_u16_e32 vcc_lo, 0x80, v6
	s_and_b32 s24, vcc_lo, exec_lo
	s_and_not1_saveexec_b32 s15, s15
	s_cbranch_execnz .LBB30_2257
.LBB30_2237:
	s_or_b32 exec_lo, exec_lo, s15
	v_mov_b64_e32 v[2:3], 0
	s_and_saveexec_b32 s15, s24
	s_cbranch_execz .LBB30_2239
.LBB30_2238:
	v_and_b32_e32 v2, 0xffff, v6
	s_delay_alu instid0(VALU_DEP_1) | instskip(SKIP_1) | instid1(VALU_DEP_2)
	v_and_b32_e32 v3, 3, v2
	v_bfe_u32 v9, v2, 2, 5
	v_clz_i32_u32_e32 v7, v3
	s_delay_alu instid0(VALU_DEP_2) | instskip(NEXT) | instid1(VALU_DEP_2)
	v_cmp_eq_u32_e32 vcc_lo, 0, v9
	v_min_u32_e32 v7, 32, v7
	s_delay_alu instid0(VALU_DEP_1) | instskip(NEXT) | instid1(VALU_DEP_1)
	v_subrev_nc_u32_e32 v8, 29, v7
	v_dual_lshlrev_b32 v2, v8, v2 :: v_dual_sub_nc_u32 v7, 30, v7
	s_delay_alu instid0(VALU_DEP_1) | instskip(NEXT) | instid1(VALU_DEP_2)
	v_and_b32_e32 v2, 3, v2
	v_dual_cndmask_b32 v7, v9, v7 :: v_dual_lshlrev_b32 v6, 24, v6
	s_delay_alu instid0(VALU_DEP_2) | instskip(NEXT) | instid1(VALU_DEP_2)
	v_cndmask_b32_e32 v2, v3, v2, vcc_lo
	v_and_b32_e32 v3, 0x80000000, v6
	s_delay_alu instid0(VALU_DEP_3) | instskip(NEXT) | instid1(VALU_DEP_3)
	v_lshl_add_u32 v6, v7, 23, 0x37800000
	v_lshlrev_b32_e32 v2, 21, v2
	s_delay_alu instid0(VALU_DEP_1) | instskip(NEXT) | instid1(VALU_DEP_1)
	v_or3_b32 v2, v3, v6, v2
	v_trunc_f32_e32 v2, v2
	s_delay_alu instid0(VALU_DEP_1) | instskip(NEXT) | instid1(VALU_DEP_1)
	v_mul_f32_e64 v3, 0x2f800000, |v2|
	v_floor_f32_e32 v3, v3
	s_delay_alu instid0(VALU_DEP_1) | instskip(SKIP_2) | instid1(VALU_DEP_3)
	v_fma_f32 v6, 0xcf800000, v3, |v2|
	v_ashrrev_i32_e32 v2, 31, v2
	v_cvt_u32_f32_e32 v7, v3
	v_cvt_u32_f32_e32 v6, v6
	s_delay_alu instid0(VALU_DEP_2) | instskip(NEXT) | instid1(VALU_DEP_2)
	v_dual_mov_b32 v3, v2 :: v_dual_bitop2_b32 v7, v7, v2 bitop3:0x14
	v_xor_b32_e32 v6, v6, v2
	s_delay_alu instid0(VALU_DEP_1)
	v_sub_nc_u64_e32 v[2:3], v[6:7], v[2:3]
.LBB30_2239:
	s_or_b32 exec_lo, exec_lo, s15
	s_mov_b32 s15, 0
	s_branch .LBB30_2245
.LBB30_2240:
	s_mov_b32 s15, -1
                                        ; implicit-def: $vgpr2_vgpr3
	s_branch .LBB30_2251
.LBB30_2241:
	s_and_not1_saveexec_b32 s24, s24
	s_cbranch_execz .LBB30_2227
.LBB30_2242:
	v_cmp_ne_u16_e32 vcc_lo, 0, v6
	s_and_not1_b32 s25, s25, exec_lo
	s_and_b32 s31, vcc_lo, exec_lo
	s_delay_alu instid0(SALU_CYCLE_1)
	s_or_b32 s25, s25, s31
	s_or_b32 exec_lo, exec_lo, s24
	v_mov_b64_e32 v[2:3], 0
	s_and_saveexec_b32 s24, s25
	s_cbranch_execnz .LBB30_2228
	s_branch .LBB30_2229
.LBB30_2243:
	s_mov_b32 s15, -1
                                        ; implicit-def: $vgpr2_vgpr3
	s_branch .LBB30_2248
.LBB30_2244:
	s_mov_b32 s15, -1
                                        ; implicit-def: $vgpr2_vgpr3
.LBB30_2245:
	s_delay_alu instid0(SALU_CYCLE_1)
	s_and_b32 vcc_lo, exec_lo, s15
	s_cbranch_vccz .LBB30_2247
; %bb.2246:
	s_wait_loadcnt 0x0
	global_load_u8 v2, v[4:5], off
	s_wait_loadcnt 0x0
	v_lshlrev_b32_e32 v2, 24, v2
	s_delay_alu instid0(VALU_DEP_1) | instskip(NEXT) | instid1(VALU_DEP_1)
	v_and_b32_e32 v3, 0x7f000000, v2
	v_clz_i32_u32_e32 v6, v3
	v_cmp_ne_u32_e32 vcc_lo, 0, v3
	v_add_nc_u32_e32 v8, 0x1000000, v3
	s_delay_alu instid0(VALU_DEP_3) | instskip(NEXT) | instid1(VALU_DEP_1)
	v_min_u32_e32 v6, 32, v6
	v_sub_nc_u32_e64 v6, v6, 4 clamp
	s_delay_alu instid0(VALU_DEP_1) | instskip(NEXT) | instid1(VALU_DEP_1)
	v_dual_lshlrev_b32 v7, v6, v3 :: v_dual_lshlrev_b32 v6, 23, v6
	v_lshrrev_b32_e32 v7, 4, v7
	s_delay_alu instid0(VALU_DEP_1) | instskip(NEXT) | instid1(VALU_DEP_1)
	v_dual_sub_nc_u32 v6, v7, v6 :: v_dual_ashrrev_i32 v7, 8, v8
	v_add_nc_u32_e32 v6, 0x3c000000, v6
	s_delay_alu instid0(VALU_DEP_1) | instskip(NEXT) | instid1(VALU_DEP_1)
	v_and_or_b32 v6, 0x7f800000, v7, v6
	v_cndmask_b32_e32 v3, 0, v6, vcc_lo
	s_delay_alu instid0(VALU_DEP_1) | instskip(NEXT) | instid1(VALU_DEP_1)
	v_and_or_b32 v2, 0x80000000, v2, v3
	v_trunc_f32_e32 v2, v2
	s_delay_alu instid0(VALU_DEP_1) | instskip(NEXT) | instid1(VALU_DEP_1)
	v_mul_f32_e64 v3, 0x2f800000, |v2|
	v_floor_f32_e32 v3, v3
	s_delay_alu instid0(VALU_DEP_1) | instskip(SKIP_2) | instid1(VALU_DEP_3)
	v_fma_f32 v6, 0xcf800000, v3, |v2|
	v_ashrrev_i32_e32 v2, 31, v2
	v_cvt_u32_f32_e32 v7, v3
	v_cvt_u32_f32_e32 v6, v6
	s_delay_alu instid0(VALU_DEP_2) | instskip(NEXT) | instid1(VALU_DEP_2)
	v_dual_mov_b32 v3, v2 :: v_dual_bitop2_b32 v7, v7, v2 bitop3:0x14
	v_xor_b32_e32 v6, v6, v2
	s_delay_alu instid0(VALU_DEP_1)
	v_sub_nc_u64_e32 v[2:3], v[6:7], v[2:3]
.LBB30_2247:
	s_mov_b32 s15, 0
.LBB30_2248:
	s_delay_alu instid0(SALU_CYCLE_1)
	s_and_not1_b32 vcc_lo, exec_lo, s15
	s_cbranch_vccnz .LBB30_2250
; %bb.2249:
	s_wait_loadcnt 0x0
	global_load_u8 v2, v[4:5], off
	s_wait_loadcnt 0x0
	v_lshlrev_b32_e32 v3, 25, v2
	v_lshlrev_b16 v2, 8, v2
	s_delay_alu instid0(VALU_DEP_1) | instskip(SKIP_1) | instid1(VALU_DEP_2)
	v_and_or_b32 v7, 0x7f00, v2, 0.5
	v_bfe_i32 v2, v2, 0, 16
	v_add_f32_e32 v7, -0.5, v7
	v_lshrrev_b32_e32 v6, 4, v3
	v_cmp_gt_u32_e32 vcc_lo, 0x8000000, v3
	s_delay_alu instid0(VALU_DEP_2) | instskip(NEXT) | instid1(VALU_DEP_1)
	v_or_b32_e32 v6, 0x70000000, v6
	v_mul_f32_e32 v6, 0x7800000, v6
	s_delay_alu instid0(VALU_DEP_1) | instskip(NEXT) | instid1(VALU_DEP_1)
	v_cndmask_b32_e32 v3, v6, v7, vcc_lo
	v_and_or_b32 v2, 0x80000000, v2, v3
	s_delay_alu instid0(VALU_DEP_1) | instskip(NEXT) | instid1(VALU_DEP_1)
	v_trunc_f32_e32 v2, v2
	v_mul_f32_e64 v3, 0x2f800000, |v2|
	s_delay_alu instid0(VALU_DEP_1) | instskip(NEXT) | instid1(VALU_DEP_1)
	v_floor_f32_e32 v3, v3
	v_fma_f32 v6, 0xcf800000, v3, |v2|
	v_ashrrev_i32_e32 v2, 31, v2
	v_cvt_u32_f32_e32 v7, v3
	s_delay_alu instid0(VALU_DEP_3) | instskip(NEXT) | instid1(VALU_DEP_2)
	v_cvt_u32_f32_e32 v6, v6
	v_dual_mov_b32 v3, v2 :: v_dual_bitop2_b32 v7, v7, v2 bitop3:0x14
	s_delay_alu instid0(VALU_DEP_2) | instskip(NEXT) | instid1(VALU_DEP_1)
	v_xor_b32_e32 v6, v6, v2
	v_sub_nc_u64_e32 v[2:3], v[6:7], v[2:3]
.LBB30_2250:
	s_mov_b32 s15, 0
	s_mov_b32 s24, -1
.LBB30_2251:
	s_and_not1_b32 vcc_lo, exec_lo, s15
	s_mov_b32 s15, 0
	s_cbranch_vccnz .LBB30_2262
; %bb.2252:
	s_cmp_gt_i32 s13, 14
	s_cbranch_scc0 .LBB30_2255
; %bb.2253:
	s_cmp_eq_u32 s13, 15
	s_cbranch_scc0 .LBB30_2258
; %bb.2254:
	s_wait_loadcnt 0x0
	global_load_u16 v2, v[4:5], off
	s_mov_b32 s14, 0
	s_mov_b32 s24, -1
	s_wait_loadcnt 0x0
	v_lshlrev_b32_e32 v2, 16, v2
	s_delay_alu instid0(VALU_DEP_1) | instskip(NEXT) | instid1(VALU_DEP_1)
	v_trunc_f32_e32 v2, v2
	v_mul_f32_e64 v3, 0x2f800000, |v2|
	s_delay_alu instid0(VALU_DEP_1) | instskip(NEXT) | instid1(VALU_DEP_1)
	v_floor_f32_e32 v3, v3
	v_fma_f32 v6, 0xcf800000, v3, |v2|
	v_ashrrev_i32_e32 v2, 31, v2
	v_cvt_u32_f32_e32 v7, v3
	s_delay_alu instid0(VALU_DEP_3) | instskip(NEXT) | instid1(VALU_DEP_2)
	v_cvt_u32_f32_e32 v6, v6
	v_dual_mov_b32 v3, v2 :: v_dual_bitop2_b32 v7, v7, v2 bitop3:0x14
	s_delay_alu instid0(VALU_DEP_2) | instskip(NEXT) | instid1(VALU_DEP_1)
	v_xor_b32_e32 v6, v6, v2
	v_sub_nc_u64_e32 v[2:3], v[6:7], v[2:3]
	s_branch .LBB30_2260
.LBB30_2255:
	s_mov_b32 s15, -1
	s_branch .LBB30_2259
.LBB30_2256:
	s_and_not1_saveexec_b32 s15, s15
	s_cbranch_execz .LBB30_2237
.LBB30_2257:
	v_cmp_ne_u16_e32 vcc_lo, 0, v6
	s_and_not1_b32 s24, s24, exec_lo
	s_and_b32 s25, vcc_lo, exec_lo
	s_delay_alu instid0(SALU_CYCLE_1)
	s_or_b32 s24, s24, s25
	s_or_b32 exec_lo, exec_lo, s15
	v_mov_b64_e32 v[2:3], 0
	s_and_saveexec_b32 s15, s24
	s_cbranch_execnz .LBB30_2238
	s_branch .LBB30_2239
.LBB30_2258:
	s_mov_b32 s14, -1
.LBB30_2259:
                                        ; implicit-def: $vgpr2_vgpr3
.LBB30_2260:
	s_and_b32 vcc_lo, exec_lo, s15
	s_mov_b32 s15, 0
	s_cbranch_vccz .LBB30_2262
; %bb.2261:
	s_cmp_lg_u32 s13, 11
	s_mov_b32 s15, -1
	s_cselect_b32 s13, -1, 0
	s_and_not1_b32 s14, s14, exec_lo
	s_and_b32 s13, s13, exec_lo
	s_delay_alu instid0(SALU_CYCLE_1)
	s_or_b32 s14, s14, s13
.LBB30_2262:
	s_mov_b32 s25, 0
.LBB30_2263:
	s_and_b32 s13, s24, exec_lo
	s_and_b32 s24, s25, exec_lo
	s_and_not1_b32 s25, s66, exec_lo
	s_and_b32 s14, s14, exec_lo
	s_and_b32 s38, s15, exec_lo
	s_or_b32 s66, s25, s14
	s_wait_xcnt 0x0
	s_or_b32 exec_lo, exec_lo, s12
	s_and_saveexec_b32 s12, s66
	s_cbranch_execz .LBB30_2196
.LBB30_2264:
	s_or_b32 s1, s1, exec_lo
	s_and_not1_b32 s38, s38, exec_lo
	s_trap 2
	s_or_b32 exec_lo, exec_lo, s12
	s_and_saveexec_b32 s12, s38
	s_delay_alu instid0(SALU_CYCLE_1)
	s_xor_b32 s12, exec_lo, s12
	s_cbranch_execnz .LBB30_2197
.LBB30_2265:
	s_or_b32 exec_lo, exec_lo, s12
	s_and_saveexec_b32 s12, s24
	s_cbranch_execz .LBB30_2311
.LBB30_2266:
	s_sext_i32_i16 s14, s0
	s_delay_alu instid0(SALU_CYCLE_1)
	s_cmp_lt_i32 s14, 5
	s_cbranch_scc1 .LBB30_2271
; %bb.2267:
	s_cmp_lt_i32 s14, 8
	s_cbranch_scc1 .LBB30_2272
; %bb.2268:
	;; [unrolled: 3-line block ×3, first 2 shown]
	s_cmp_gt_i32 s14, 9
	s_cbranch_scc0 .LBB30_2274
; %bb.2270:
	s_wait_loadcnt 0x0
	global_load_b64 v[2:3], v[4:5], off
	s_mov_b32 s14, 0
	s_wait_loadcnt 0x0
	v_trunc_f64_e32 v[2:3], v[2:3]
	s_delay_alu instid0(VALU_DEP_1) | instskip(NEXT) | instid1(VALU_DEP_1)
	v_ldexp_f64 v[6:7], v[2:3], 0xffffffe0
	v_floor_f64_e32 v[6:7], v[6:7]
	s_delay_alu instid0(VALU_DEP_1) | instskip(SKIP_1) | instid1(VALU_DEP_2)
	v_fmamk_f64 v[8:9], v[6:7], 0xc1f00000, v[2:3]
	v_cvt_i32_f64_e32 v3, v[6:7]
	v_cvt_u32_f64_e32 v2, v[8:9]
	s_branch .LBB30_2275
.LBB30_2271:
                                        ; implicit-def: $vgpr2_vgpr3
	s_branch .LBB30_2292
.LBB30_2272:
                                        ; implicit-def: $vgpr2_vgpr3
	s_branch .LBB30_2281
.LBB30_2273:
	s_mov_b32 s14, -1
                                        ; implicit-def: $vgpr2_vgpr3
	s_branch .LBB30_2278
.LBB30_2274:
	s_mov_b32 s14, -1
                                        ; implicit-def: $vgpr2_vgpr3
.LBB30_2275:
	s_delay_alu instid0(SALU_CYCLE_1)
	s_and_not1_b32 vcc_lo, exec_lo, s14
	s_cbranch_vccnz .LBB30_2277
; %bb.2276:
	s_wait_loadcnt 0x0
	global_load_b32 v2, v[4:5], off
	s_wait_loadcnt 0x0
	v_trunc_f32_e32 v2, v2
	s_delay_alu instid0(VALU_DEP_1) | instskip(NEXT) | instid1(VALU_DEP_1)
	v_mul_f32_e64 v3, 0x2f800000, |v2|
	v_floor_f32_e32 v3, v3
	s_delay_alu instid0(VALU_DEP_1) | instskip(SKIP_2) | instid1(VALU_DEP_3)
	v_fma_f32 v6, 0xcf800000, v3, |v2|
	v_ashrrev_i32_e32 v2, 31, v2
	v_cvt_u32_f32_e32 v7, v3
	v_cvt_u32_f32_e32 v6, v6
	s_delay_alu instid0(VALU_DEP_2) | instskip(NEXT) | instid1(VALU_DEP_2)
	v_dual_mov_b32 v3, v2 :: v_dual_bitop2_b32 v7, v7, v2 bitop3:0x14
	v_xor_b32_e32 v6, v6, v2
	s_delay_alu instid0(VALU_DEP_1)
	v_sub_nc_u64_e32 v[2:3], v[6:7], v[2:3]
.LBB30_2277:
	s_mov_b32 s14, 0
.LBB30_2278:
	s_delay_alu instid0(SALU_CYCLE_1)
	s_and_not1_b32 vcc_lo, exec_lo, s14
	s_cbranch_vccnz .LBB30_2280
; %bb.2279:
	s_wait_loadcnt 0x0
	global_load_b32 v2, v[4:5], off
	s_wait_loadcnt 0x0
	v_cvt_f32_f16_e32 v2, v2
	s_delay_alu instid0(VALU_DEP_1) | instskip(NEXT) | instid1(VALU_DEP_1)
	v_cvt_i32_f32_e32 v2, v2
	v_ashrrev_i32_e32 v3, 31, v2
.LBB30_2280:
	s_cbranch_execnz .LBB30_2291
.LBB30_2281:
	s_sext_i32_i16 s14, s0
	s_delay_alu instid0(SALU_CYCLE_1)
	s_cmp_lt_i32 s14, 6
	s_cbranch_scc1 .LBB30_2284
; %bb.2282:
	s_cmp_gt_i32 s14, 6
	s_cbranch_scc0 .LBB30_2285
; %bb.2283:
	s_wait_loadcnt 0x0
	global_load_b64 v[2:3], v[4:5], off
	s_mov_b32 s14, 0
	s_wait_loadcnt 0x0
	v_trunc_f64_e32 v[2:3], v[2:3]
	s_delay_alu instid0(VALU_DEP_1) | instskip(NEXT) | instid1(VALU_DEP_1)
	v_ldexp_f64 v[6:7], v[2:3], 0xffffffe0
	v_floor_f64_e32 v[6:7], v[6:7]
	s_delay_alu instid0(VALU_DEP_1) | instskip(SKIP_1) | instid1(VALU_DEP_2)
	v_fmamk_f64 v[8:9], v[6:7], 0xc1f00000, v[2:3]
	v_cvt_i32_f64_e32 v3, v[6:7]
	v_cvt_u32_f64_e32 v2, v[8:9]
	s_branch .LBB30_2286
.LBB30_2284:
	s_mov_b32 s14, -1
                                        ; implicit-def: $vgpr2_vgpr3
	s_branch .LBB30_2289
.LBB30_2285:
	s_mov_b32 s14, -1
                                        ; implicit-def: $vgpr2_vgpr3
.LBB30_2286:
	s_delay_alu instid0(SALU_CYCLE_1)
	s_and_not1_b32 vcc_lo, exec_lo, s14
	s_cbranch_vccnz .LBB30_2288
; %bb.2287:
	s_wait_loadcnt 0x0
	global_load_b32 v2, v[4:5], off
	s_wait_loadcnt 0x0
	v_trunc_f32_e32 v2, v2
	s_delay_alu instid0(VALU_DEP_1) | instskip(NEXT) | instid1(VALU_DEP_1)
	v_mul_f32_e64 v3, 0x2f800000, |v2|
	v_floor_f32_e32 v3, v3
	s_delay_alu instid0(VALU_DEP_1) | instskip(SKIP_2) | instid1(VALU_DEP_3)
	v_fma_f32 v6, 0xcf800000, v3, |v2|
	v_ashrrev_i32_e32 v2, 31, v2
	v_cvt_u32_f32_e32 v7, v3
	v_cvt_u32_f32_e32 v6, v6
	s_delay_alu instid0(VALU_DEP_2) | instskip(NEXT) | instid1(VALU_DEP_2)
	v_dual_mov_b32 v3, v2 :: v_dual_bitop2_b32 v7, v7, v2 bitop3:0x14
	v_xor_b32_e32 v6, v6, v2
	s_delay_alu instid0(VALU_DEP_1)
	v_sub_nc_u64_e32 v[2:3], v[6:7], v[2:3]
.LBB30_2288:
	s_mov_b32 s14, 0
.LBB30_2289:
	s_delay_alu instid0(SALU_CYCLE_1)
	s_and_not1_b32 vcc_lo, exec_lo, s14
	s_cbranch_vccnz .LBB30_2291
; %bb.2290:
	s_wait_loadcnt 0x0
	global_load_u16 v2, v[4:5], off
	s_wait_loadcnt 0x0
	v_cvt_f32_f16_e32 v2, v2
	s_delay_alu instid0(VALU_DEP_1) | instskip(NEXT) | instid1(VALU_DEP_1)
	v_cvt_i32_f32_e32 v2, v2
	v_ashrrev_i32_e32 v3, 31, v2
.LBB30_2291:
	s_cbranch_execnz .LBB30_2310
.LBB30_2292:
	s_sext_i32_i16 s14, s0
	s_delay_alu instid0(SALU_CYCLE_1)
	s_cmp_lt_i32 s14, 2
	s_cbranch_scc1 .LBB30_2296
; %bb.2293:
	s_cmp_lt_i32 s14, 3
	s_cbranch_scc1 .LBB30_2297
; %bb.2294:
	s_cmp_gt_i32 s14, 3
	s_cbranch_scc0 .LBB30_2298
; %bb.2295:
	s_wait_loadcnt 0x0
	global_load_b64 v[2:3], v[4:5], off
	s_mov_b32 s14, 0
	s_branch .LBB30_2299
.LBB30_2296:
                                        ; implicit-def: $vgpr2_vgpr3
	s_branch .LBB30_2305
.LBB30_2297:
	s_mov_b32 s14, -1
                                        ; implicit-def: $vgpr2_vgpr3
	s_branch .LBB30_2302
.LBB30_2298:
	s_mov_b32 s14, -1
                                        ; implicit-def: $vgpr2_vgpr3
.LBB30_2299:
	s_delay_alu instid0(SALU_CYCLE_1)
	s_and_not1_b32 vcc_lo, exec_lo, s14
	s_cbranch_vccnz .LBB30_2301
; %bb.2300:
	s_wait_loadcnt 0x0
	global_load_b32 v2, v[4:5], off
	s_wait_loadcnt 0x0
	v_ashrrev_i32_e32 v3, 31, v2
.LBB30_2301:
	s_mov_b32 s14, 0
.LBB30_2302:
	s_delay_alu instid0(SALU_CYCLE_1)
	s_and_not1_b32 vcc_lo, exec_lo, s14
	s_cbranch_vccnz .LBB30_2304
; %bb.2303:
	s_wait_loadcnt 0x0
	global_load_u16 v2, v[4:5], off
	s_wait_loadcnt 0x0
	v_bfe_i32 v2, v2, 0, 16
	s_delay_alu instid0(VALU_DEP_1)
	v_ashrrev_i32_e32 v3, 31, v2
.LBB30_2304:
	s_cbranch_execnz .LBB30_2310
.LBB30_2305:
	s_sext_i32_i16 s0, s0
	s_delay_alu instid0(SALU_CYCLE_1)
	s_cmp_gt_i32 s0, 0
	s_mov_b32 s0, 0
	s_cbranch_scc0 .LBB30_2307
; %bb.2306:
	s_wait_loadcnt 0x0
	global_load_i8 v2, v[4:5], off
	s_wait_loadcnt 0x0
	v_bfe_i32 v2, v2, 0, 16
	s_delay_alu instid0(VALU_DEP_1)
	v_ashrrev_i32_e32 v3, 31, v2
	s_branch .LBB30_2308
.LBB30_2307:
	s_mov_b32 s0, -1
                                        ; implicit-def: $vgpr2_vgpr3
.LBB30_2308:
	s_delay_alu instid0(SALU_CYCLE_1)
	s_and_not1_b32 vcc_lo, exec_lo, s0
	s_cbranch_vccnz .LBB30_2310
; %bb.2309:
	s_wait_loadcnt 0x0
	global_load_u8 v2, v[4:5], off
	s_mov_b32 s0, 0
	s_delay_alu instid0(SALU_CYCLE_1)
	v_mov_b32_e32 v3, s0
	s_wait_loadcnt 0x0
	v_and_b32_e32 v2, 0xffff, v2
.LBB30_2310:
	s_or_b32 s13, s13, exec_lo
.LBB30_2311:
	s_wait_xcnt 0x0
	s_or_b32 exec_lo, exec_lo, s12
	s_mov_b32 s14, 0
	s_mov_b32 s24, 0
	;; [unrolled: 1-line block ×3, first 2 shown]
                                        ; implicit-def: $sgpr0
                                        ; implicit-def: $vgpr6_vgpr7
                                        ; implicit-def: $vgpr4_vgpr5
	s_and_saveexec_b32 s12, s13
	s_cbranch_execz .LBB30_2319
; %bb.2312:
	s_wait_loadcnt 0x0
	v_mul_lo_u32 v4, s26, v26
	s_and_b32 s0, s36, 0xff
	s_delay_alu instid0(SALU_CYCLE_1) | instskip(NEXT) | instid1(VALU_DEP_1)
	s_cmp_lt_i32 s0, 11
	v_ashrrev_i32_e32 v5, 31, v4
	s_delay_alu instid0(VALU_DEP_1)
	v_add_nc_u64_e32 v[6:7], s[16:17], v[4:5]
	s_cbranch_scc1 .LBB30_2322
; %bb.2313:
	s_and_b32 s13, 0xffff, s0
	s_mov_b32 s16, 0
	s_cmp_gt_i32 s13, 25
	s_cbranch_scc0 .LBB30_2323
; %bb.2314:
	s_cmp_gt_i32 s13, 28
	s_cbranch_scc0 .LBB30_2324
; %bb.2315:
	s_cmp_gt_i32 s13, 43
	s_cbranch_scc0 .LBB30_2325
; %bb.2316:
	s_cmp_gt_i32 s13, 45
	s_cbranch_scc0 .LBB30_2326
; %bb.2317:
	s_cmp_eq_u32 s13, 46
	s_mov_b32 s17, 0
	s_cbranch_scc0 .LBB30_2327
; %bb.2318:
	global_load_b32 v4, v[6:7], off
	s_mov_b32 s15, -1
	s_wait_loadcnt 0x0
	v_lshlrev_b32_e32 v4, 16, v4
	s_delay_alu instid0(VALU_DEP_1) | instskip(NEXT) | instid1(VALU_DEP_1)
	v_trunc_f32_e32 v4, v4
	v_mul_f32_e64 v5, 0x2f800000, |v4|
	s_delay_alu instid0(VALU_DEP_1) | instskip(NEXT) | instid1(VALU_DEP_1)
	v_floor_f32_e32 v5, v5
	v_fma_f32 v8, 0xcf800000, v5, |v4|
	v_ashrrev_i32_e32 v4, 31, v4
	v_cvt_u32_f32_e32 v9, v5
	s_delay_alu instid0(VALU_DEP_3) | instskip(NEXT) | instid1(VALU_DEP_2)
	v_cvt_u32_f32_e32 v8, v8
	v_dual_mov_b32 v5, v4 :: v_dual_bitop2_b32 v9, v9, v4 bitop3:0x14
	s_delay_alu instid0(VALU_DEP_2) | instskip(NEXT) | instid1(VALU_DEP_1)
	v_xor_b32_e32 v8, v8, v4
	v_sub_nc_u64_e32 v[4:5], v[8:9], v[4:5]
	s_branch .LBB30_2329
.LBB30_2319:
	s_or_b32 exec_lo, exec_lo, s12
	s_and_saveexec_b32 s12, s65
	s_cbranch_execnz .LBB30_2388
.LBB30_2320:
	s_or_b32 exec_lo, exec_lo, s12
	s_and_saveexec_b32 s12, s14
	s_delay_alu instid0(SALU_CYCLE_1)
	s_xor_b32 s12, exec_lo, s12
	s_cbranch_execz .LBB30_2389
.LBB30_2321:
	s_wait_loadcnt 0x0
	global_load_u8 v4, v[6:7], off
	s_mov_b32 s13, 0
	s_or_b32 s15, s15, exec_lo
	v_mov_b32_e32 v5, s13
	s_wait_loadcnt 0x0
	v_cmp_ne_u16_e32 vcc_lo, 0, v4
	v_cndmask_b32_e64 v4, 0, 1, vcc_lo
	s_wait_xcnt 0x0
	s_or_b32 exec_lo, exec_lo, s12
	s_and_saveexec_b32 s12, s24
	s_cbranch_execz .LBB30_2435
	s_branch .LBB30_2390
.LBB30_2322:
	s_mov_b32 s13, -1
	s_mov_b32 s16, 0
	s_mov_b32 s14, s65
                                        ; implicit-def: $vgpr4_vgpr5
	s_branch .LBB30_2387
.LBB30_2323:
	s_mov_b32 s14, s65
                                        ; implicit-def: $vgpr4_vgpr5
	s_cbranch_execnz .LBB30_2356
	s_branch .LBB30_2386
.LBB30_2324:
	s_mov_b32 s17, -1
	s_mov_b32 s14, s65
                                        ; implicit-def: $vgpr4_vgpr5
	s_branch .LBB30_2339
.LBB30_2325:
	s_mov_b32 s17, -1
	s_mov_b32 s14, s65
                                        ; implicit-def: $vgpr4_vgpr5
	s_branch .LBB30_2334
.LBB30_2326:
	s_mov_b32 s17, -1
	s_mov_b32 s14, s65
	s_branch .LBB30_2328
.LBB30_2327:
	s_mov_b32 s14, -1
.LBB30_2328:
                                        ; implicit-def: $vgpr4_vgpr5
.LBB30_2329:
	s_and_b32 vcc_lo, exec_lo, s17
	s_cbranch_vccz .LBB30_2333
; %bb.2330:
	s_cmp_eq_u32 s13, 44
	s_cbranch_scc0 .LBB30_2332
; %bb.2331:
	global_load_u8 v10, v[6:7], off
	s_mov_b32 s14, 0
	s_mov_b32 s15, -1
	s_wait_loadcnt 0x0
	v_cmp_ne_u32_e32 vcc_lo, 0, v10
	v_lshlrev_b32_e32 v4, 23, v10
	s_delay_alu instid0(VALU_DEP_1) | instskip(NEXT) | instid1(VALU_DEP_1)
	v_trunc_f32_e32 v4, v4
	v_mul_f32_e64 v5, 0x2f800000, |v4|
	s_delay_alu instid0(VALU_DEP_1) | instskip(NEXT) | instid1(VALU_DEP_1)
	v_floor_f32_e32 v5, v5
	v_fma_f32 v8, 0xcf800000, v5, |v4|
	v_ashrrev_i32_e32 v4, 31, v4
	v_cvt_u32_f32_e32 v9, v5
	s_delay_alu instid0(VALU_DEP_3) | instskip(NEXT) | instid1(VALU_DEP_2)
	v_cvt_u32_f32_e32 v8, v8
	v_dual_mov_b32 v5, v4 :: v_dual_bitop2_b32 v9, v9, v4 bitop3:0x14
	s_delay_alu instid0(VALU_DEP_2) | instskip(NEXT) | instid1(VALU_DEP_1)
	v_xor_b32_e32 v8, v8, v4
	v_sub_nc_u64_e32 v[4:5], v[8:9], v[4:5]
	s_delay_alu instid0(VALU_DEP_1)
	v_dual_cndmask_b32 v5, 0, v5 :: v_dual_cndmask_b32 v4, 0, v4
	s_branch .LBB30_2333
.LBB30_2332:
	s_mov_b32 s14, -1
                                        ; implicit-def: $vgpr4_vgpr5
.LBB30_2333:
	s_mov_b32 s17, 0
.LBB30_2334:
	s_delay_alu instid0(SALU_CYCLE_1)
	s_and_b32 vcc_lo, exec_lo, s17
	s_cbranch_vccz .LBB30_2338
; %bb.2335:
	s_cmp_eq_u32 s13, 29
	s_cbranch_scc0 .LBB30_2337
; %bb.2336:
	global_load_b64 v[4:5], v[6:7], off
	s_mov_b32 s14, 0
	s_mov_b32 s15, -1
	s_branch .LBB30_2338
.LBB30_2337:
	s_mov_b32 s14, -1
                                        ; implicit-def: $vgpr4_vgpr5
.LBB30_2338:
	s_mov_b32 s17, 0
.LBB30_2339:
	s_delay_alu instid0(SALU_CYCLE_1)
	s_and_b32 vcc_lo, exec_lo, s17
	s_cbranch_vccz .LBB30_2355
; %bb.2340:
	s_cmp_lt_i32 s13, 27
	s_cbranch_scc1 .LBB30_2343
; %bb.2341:
	s_cmp_gt_i32 s13, 27
	s_cbranch_scc0 .LBB30_2344
; %bb.2342:
	s_wait_loadcnt 0x0
	global_load_b32 v4, v[6:7], off
	v_mov_b32_e32 v5, 0
	s_mov_b32 s15, 0
	s_branch .LBB30_2345
.LBB30_2343:
	s_mov_b32 s15, -1
                                        ; implicit-def: $vgpr4_vgpr5
	s_branch .LBB30_2348
.LBB30_2344:
	s_mov_b32 s15, -1
                                        ; implicit-def: $vgpr4_vgpr5
.LBB30_2345:
	s_delay_alu instid0(SALU_CYCLE_1)
	s_and_not1_b32 vcc_lo, exec_lo, s15
	s_cbranch_vccnz .LBB30_2347
; %bb.2346:
	s_wait_loadcnt 0x0
	global_load_u16 v4, v[6:7], off
	s_mov_b32 s15, 0
	s_delay_alu instid0(SALU_CYCLE_1)
	v_mov_b32_e32 v5, s15
	s_wait_loadcnt 0x0
	v_and_b32_e32 v4, 0xffff, v4
.LBB30_2347:
	s_mov_b32 s15, 0
.LBB30_2348:
	s_delay_alu instid0(SALU_CYCLE_1)
	s_and_not1_b32 vcc_lo, exec_lo, s15
	s_cbranch_vccnz .LBB30_2354
; %bb.2349:
	global_load_u8 v8, v[6:7], off
	s_mov_b32 s17, 0
	s_mov_b32 s15, exec_lo
	s_wait_loadcnt 0x0
	v_cmpx_lt_i16_e32 0x7f, v8
	s_xor_b32 s15, exec_lo, s15
	s_cbranch_execz .LBB30_2365
; %bb.2350:
	v_cmp_ne_u16_e32 vcc_lo, 0x80, v8
	s_and_b32 s17, vcc_lo, exec_lo
	s_and_not1_saveexec_b32 s15, s15
	s_cbranch_execnz .LBB30_2366
.LBB30_2351:
	s_or_b32 exec_lo, exec_lo, s15
	v_mov_b64_e32 v[4:5], 0
	s_and_saveexec_b32 s15, s17
	s_cbranch_execz .LBB30_2353
.LBB30_2352:
	v_and_b32_e32 v4, 0xffff, v8
	s_delay_alu instid0(VALU_DEP_1) | instskip(SKIP_1) | instid1(VALU_DEP_2)
	v_and_b32_e32 v5, 7, v4
	v_bfe_u32 v11, v4, 3, 4
	v_clz_i32_u32_e32 v9, v5
	s_delay_alu instid0(VALU_DEP_2) | instskip(NEXT) | instid1(VALU_DEP_2)
	v_cmp_eq_u32_e32 vcc_lo, 0, v11
	v_min_u32_e32 v9, 32, v9
	s_delay_alu instid0(VALU_DEP_1) | instskip(NEXT) | instid1(VALU_DEP_1)
	v_subrev_nc_u32_e32 v10, 28, v9
	v_dual_lshlrev_b32 v4, v10, v4 :: v_dual_sub_nc_u32 v9, 29, v9
	s_delay_alu instid0(VALU_DEP_1) | instskip(NEXT) | instid1(VALU_DEP_2)
	v_and_b32_e32 v4, 7, v4
	v_dual_cndmask_b32 v9, v11, v9 :: v_dual_lshlrev_b32 v8, 24, v8
	s_delay_alu instid0(VALU_DEP_2) | instskip(NEXT) | instid1(VALU_DEP_2)
	v_cndmask_b32_e32 v4, v5, v4, vcc_lo
	v_and_b32_e32 v5, 0x80000000, v8
	s_delay_alu instid0(VALU_DEP_3) | instskip(NEXT) | instid1(VALU_DEP_3)
	v_lshl_add_u32 v8, v9, 23, 0x3b800000
	v_lshlrev_b32_e32 v4, 20, v4
	s_delay_alu instid0(VALU_DEP_1) | instskip(NEXT) | instid1(VALU_DEP_1)
	v_or3_b32 v4, v5, v8, v4
	v_trunc_f32_e32 v4, v4
	s_delay_alu instid0(VALU_DEP_1) | instskip(NEXT) | instid1(VALU_DEP_1)
	v_mul_f32_e64 v5, 0x2f800000, |v4|
	v_floor_f32_e32 v5, v5
	s_delay_alu instid0(VALU_DEP_1) | instskip(SKIP_2) | instid1(VALU_DEP_3)
	v_fma_f32 v8, 0xcf800000, v5, |v4|
	v_ashrrev_i32_e32 v4, 31, v4
	v_cvt_u32_f32_e32 v9, v5
	v_cvt_u32_f32_e32 v8, v8
	s_delay_alu instid0(VALU_DEP_2) | instskip(NEXT) | instid1(VALU_DEP_2)
	v_dual_mov_b32 v5, v4 :: v_dual_bitop2_b32 v9, v9, v4 bitop3:0x14
	v_xor_b32_e32 v8, v8, v4
	s_delay_alu instid0(VALU_DEP_1)
	v_sub_nc_u64_e32 v[4:5], v[8:9], v[4:5]
.LBB30_2353:
	s_or_b32 exec_lo, exec_lo, s15
.LBB30_2354:
	s_mov_b32 s15, -1
.LBB30_2355:
	s_branch .LBB30_2386
.LBB30_2356:
	s_cmp_gt_i32 s13, 22
	s_cbranch_scc0 .LBB30_2364
; %bb.2357:
	s_cmp_lt_i32 s13, 24
	s_cbranch_scc1 .LBB30_2367
; %bb.2358:
	s_cmp_gt_i32 s13, 24
	s_cbranch_scc0 .LBB30_2368
; %bb.2359:
	global_load_u8 v8, v[6:7], off
	s_mov_b32 s15, exec_lo
	s_wait_loadcnt 0x0
	v_cmpx_lt_i16_e32 0x7f, v8
	s_xor_b32 s15, exec_lo, s15
	s_cbranch_execz .LBB30_2380
; %bb.2360:
	v_cmp_ne_u16_e32 vcc_lo, 0x80, v8
	s_and_b32 s16, vcc_lo, exec_lo
	s_and_not1_saveexec_b32 s15, s15
	s_cbranch_execnz .LBB30_2381
.LBB30_2361:
	s_or_b32 exec_lo, exec_lo, s15
	v_mov_b64_e32 v[4:5], 0
	s_and_saveexec_b32 s15, s16
	s_cbranch_execz .LBB30_2363
.LBB30_2362:
	v_and_b32_e32 v4, 0xffff, v8
	s_delay_alu instid0(VALU_DEP_1) | instskip(SKIP_1) | instid1(VALU_DEP_2)
	v_and_b32_e32 v5, 3, v4
	v_bfe_u32 v11, v4, 2, 5
	v_clz_i32_u32_e32 v9, v5
	s_delay_alu instid0(VALU_DEP_2) | instskip(NEXT) | instid1(VALU_DEP_2)
	v_cmp_eq_u32_e32 vcc_lo, 0, v11
	v_min_u32_e32 v9, 32, v9
	s_delay_alu instid0(VALU_DEP_1) | instskip(NEXT) | instid1(VALU_DEP_1)
	v_subrev_nc_u32_e32 v10, 29, v9
	v_dual_lshlrev_b32 v4, v10, v4 :: v_dual_sub_nc_u32 v9, 30, v9
	s_delay_alu instid0(VALU_DEP_1) | instskip(NEXT) | instid1(VALU_DEP_2)
	v_and_b32_e32 v4, 3, v4
	v_dual_cndmask_b32 v9, v11, v9 :: v_dual_lshlrev_b32 v8, 24, v8
	s_delay_alu instid0(VALU_DEP_2) | instskip(NEXT) | instid1(VALU_DEP_2)
	v_cndmask_b32_e32 v4, v5, v4, vcc_lo
	v_and_b32_e32 v5, 0x80000000, v8
	s_delay_alu instid0(VALU_DEP_3) | instskip(NEXT) | instid1(VALU_DEP_3)
	v_lshl_add_u32 v8, v9, 23, 0x37800000
	v_lshlrev_b32_e32 v4, 21, v4
	s_delay_alu instid0(VALU_DEP_1) | instskip(NEXT) | instid1(VALU_DEP_1)
	v_or3_b32 v4, v5, v8, v4
	v_trunc_f32_e32 v4, v4
	s_delay_alu instid0(VALU_DEP_1) | instskip(NEXT) | instid1(VALU_DEP_1)
	v_mul_f32_e64 v5, 0x2f800000, |v4|
	v_floor_f32_e32 v5, v5
	s_delay_alu instid0(VALU_DEP_1) | instskip(SKIP_2) | instid1(VALU_DEP_3)
	v_fma_f32 v8, 0xcf800000, v5, |v4|
	v_ashrrev_i32_e32 v4, 31, v4
	v_cvt_u32_f32_e32 v9, v5
	v_cvt_u32_f32_e32 v8, v8
	s_delay_alu instid0(VALU_DEP_2) | instskip(NEXT) | instid1(VALU_DEP_2)
	v_dual_mov_b32 v5, v4 :: v_dual_bitop2_b32 v9, v9, v4 bitop3:0x14
	v_xor_b32_e32 v8, v8, v4
	s_delay_alu instid0(VALU_DEP_1)
	v_sub_nc_u64_e32 v[4:5], v[8:9], v[4:5]
.LBB30_2363:
	s_or_b32 exec_lo, exec_lo, s15
	s_mov_b32 s15, 0
	s_branch .LBB30_2369
.LBB30_2364:
	s_mov_b32 s16, -1
                                        ; implicit-def: $vgpr4_vgpr5
	s_branch .LBB30_2375
.LBB30_2365:
	s_and_not1_saveexec_b32 s15, s15
	s_cbranch_execz .LBB30_2351
.LBB30_2366:
	v_cmp_ne_u16_e32 vcc_lo, 0, v8
	s_and_not1_b32 s17, s17, exec_lo
	s_and_b32 s24, vcc_lo, exec_lo
	s_delay_alu instid0(SALU_CYCLE_1)
	s_or_b32 s17, s17, s24
	s_or_b32 exec_lo, exec_lo, s15
	v_mov_b64_e32 v[4:5], 0
	s_and_saveexec_b32 s15, s17
	s_cbranch_execnz .LBB30_2352
	s_branch .LBB30_2353
.LBB30_2367:
	s_mov_b32 s15, -1
                                        ; implicit-def: $vgpr4_vgpr5
	s_branch .LBB30_2372
.LBB30_2368:
	s_mov_b32 s15, -1
                                        ; implicit-def: $vgpr4_vgpr5
.LBB30_2369:
	s_delay_alu instid0(SALU_CYCLE_1)
	s_and_b32 vcc_lo, exec_lo, s15
	s_cbranch_vccz .LBB30_2371
; %bb.2370:
	s_wait_loadcnt 0x0
	global_load_u8 v4, v[6:7], off
	s_wait_loadcnt 0x0
	v_lshlrev_b32_e32 v4, 24, v4
	s_delay_alu instid0(VALU_DEP_1) | instskip(NEXT) | instid1(VALU_DEP_1)
	v_and_b32_e32 v5, 0x7f000000, v4
	v_clz_i32_u32_e32 v8, v5
	v_cmp_ne_u32_e32 vcc_lo, 0, v5
	v_add_nc_u32_e32 v10, 0x1000000, v5
	s_delay_alu instid0(VALU_DEP_3) | instskip(NEXT) | instid1(VALU_DEP_1)
	v_min_u32_e32 v8, 32, v8
	v_sub_nc_u32_e64 v8, v8, 4 clamp
	s_delay_alu instid0(VALU_DEP_1) | instskip(NEXT) | instid1(VALU_DEP_1)
	v_dual_lshlrev_b32 v9, v8, v5 :: v_dual_lshlrev_b32 v8, 23, v8
	v_lshrrev_b32_e32 v9, 4, v9
	s_delay_alu instid0(VALU_DEP_1) | instskip(NEXT) | instid1(VALU_DEP_1)
	v_dual_sub_nc_u32 v8, v9, v8 :: v_dual_ashrrev_i32 v9, 8, v10
	v_add_nc_u32_e32 v8, 0x3c000000, v8
	s_delay_alu instid0(VALU_DEP_1) | instskip(NEXT) | instid1(VALU_DEP_1)
	v_and_or_b32 v8, 0x7f800000, v9, v8
	v_cndmask_b32_e32 v5, 0, v8, vcc_lo
	s_delay_alu instid0(VALU_DEP_1) | instskip(NEXT) | instid1(VALU_DEP_1)
	v_and_or_b32 v4, 0x80000000, v4, v5
	v_trunc_f32_e32 v4, v4
	s_delay_alu instid0(VALU_DEP_1) | instskip(NEXT) | instid1(VALU_DEP_1)
	v_mul_f32_e64 v5, 0x2f800000, |v4|
	v_floor_f32_e32 v5, v5
	s_delay_alu instid0(VALU_DEP_1) | instskip(SKIP_2) | instid1(VALU_DEP_3)
	v_fma_f32 v8, 0xcf800000, v5, |v4|
	v_ashrrev_i32_e32 v4, 31, v4
	v_cvt_u32_f32_e32 v9, v5
	v_cvt_u32_f32_e32 v8, v8
	s_delay_alu instid0(VALU_DEP_2) | instskip(NEXT) | instid1(VALU_DEP_2)
	v_dual_mov_b32 v5, v4 :: v_dual_bitop2_b32 v9, v9, v4 bitop3:0x14
	v_xor_b32_e32 v8, v8, v4
	s_delay_alu instid0(VALU_DEP_1)
	v_sub_nc_u64_e32 v[4:5], v[8:9], v[4:5]
.LBB30_2371:
	s_mov_b32 s15, 0
.LBB30_2372:
	s_delay_alu instid0(SALU_CYCLE_1)
	s_and_not1_b32 vcc_lo, exec_lo, s15
	s_cbranch_vccnz .LBB30_2374
; %bb.2373:
	s_wait_loadcnt 0x0
	global_load_u8 v4, v[6:7], off
	s_wait_loadcnt 0x0
	v_lshlrev_b32_e32 v5, 25, v4
	v_lshlrev_b16 v4, 8, v4
	s_delay_alu instid0(VALU_DEP_1) | instskip(SKIP_1) | instid1(VALU_DEP_2)
	v_and_or_b32 v9, 0x7f00, v4, 0.5
	v_bfe_i32 v4, v4, 0, 16
	v_add_f32_e32 v9, -0.5, v9
	v_lshrrev_b32_e32 v8, 4, v5
	v_cmp_gt_u32_e32 vcc_lo, 0x8000000, v5
	s_delay_alu instid0(VALU_DEP_2) | instskip(NEXT) | instid1(VALU_DEP_1)
	v_or_b32_e32 v8, 0x70000000, v8
	v_mul_f32_e32 v8, 0x7800000, v8
	s_delay_alu instid0(VALU_DEP_1) | instskip(NEXT) | instid1(VALU_DEP_1)
	v_cndmask_b32_e32 v5, v8, v9, vcc_lo
	v_and_or_b32 v4, 0x80000000, v4, v5
	s_delay_alu instid0(VALU_DEP_1) | instskip(NEXT) | instid1(VALU_DEP_1)
	v_trunc_f32_e32 v4, v4
	v_mul_f32_e64 v5, 0x2f800000, |v4|
	s_delay_alu instid0(VALU_DEP_1) | instskip(NEXT) | instid1(VALU_DEP_1)
	v_floor_f32_e32 v5, v5
	v_fma_f32 v8, 0xcf800000, v5, |v4|
	v_ashrrev_i32_e32 v4, 31, v4
	v_cvt_u32_f32_e32 v9, v5
	s_delay_alu instid0(VALU_DEP_3) | instskip(NEXT) | instid1(VALU_DEP_2)
	v_cvt_u32_f32_e32 v8, v8
	v_dual_mov_b32 v5, v4 :: v_dual_bitop2_b32 v9, v9, v4 bitop3:0x14
	s_delay_alu instid0(VALU_DEP_2) | instskip(NEXT) | instid1(VALU_DEP_1)
	v_xor_b32_e32 v8, v8, v4
	v_sub_nc_u64_e32 v[4:5], v[8:9], v[4:5]
.LBB30_2374:
	s_mov_b32 s16, 0
	s_mov_b32 s15, -1
.LBB30_2375:
	s_and_not1_b32 vcc_lo, exec_lo, s16
	s_mov_b32 s16, 0
	s_cbranch_vccnz .LBB30_2386
; %bb.2376:
	s_cmp_gt_i32 s13, 14
	s_cbranch_scc0 .LBB30_2379
; %bb.2377:
	s_cmp_eq_u32 s13, 15
	s_cbranch_scc0 .LBB30_2382
; %bb.2378:
	s_wait_loadcnt 0x0
	global_load_u16 v4, v[6:7], off
	s_mov_b32 s14, 0
	s_mov_b32 s15, -1
	s_wait_loadcnt 0x0
	v_lshlrev_b32_e32 v4, 16, v4
	s_delay_alu instid0(VALU_DEP_1) | instskip(NEXT) | instid1(VALU_DEP_1)
	v_trunc_f32_e32 v4, v4
	v_mul_f32_e64 v5, 0x2f800000, |v4|
	s_delay_alu instid0(VALU_DEP_1) | instskip(NEXT) | instid1(VALU_DEP_1)
	v_floor_f32_e32 v5, v5
	v_fma_f32 v8, 0xcf800000, v5, |v4|
	v_ashrrev_i32_e32 v4, 31, v4
	v_cvt_u32_f32_e32 v9, v5
	s_delay_alu instid0(VALU_DEP_3) | instskip(NEXT) | instid1(VALU_DEP_2)
	v_cvt_u32_f32_e32 v8, v8
	v_dual_mov_b32 v5, v4 :: v_dual_bitop2_b32 v9, v9, v4 bitop3:0x14
	s_delay_alu instid0(VALU_DEP_2) | instskip(NEXT) | instid1(VALU_DEP_1)
	v_xor_b32_e32 v8, v8, v4
	v_sub_nc_u64_e32 v[4:5], v[8:9], v[4:5]
	s_branch .LBB30_2384
.LBB30_2379:
	s_mov_b32 s16, -1
	s_branch .LBB30_2383
.LBB30_2380:
	s_and_not1_saveexec_b32 s15, s15
	s_cbranch_execz .LBB30_2361
.LBB30_2381:
	v_cmp_ne_u16_e32 vcc_lo, 0, v8
	s_and_not1_b32 s16, s16, exec_lo
	s_and_b32 s17, vcc_lo, exec_lo
	s_delay_alu instid0(SALU_CYCLE_1)
	s_or_b32 s16, s16, s17
	s_or_b32 exec_lo, exec_lo, s15
	v_mov_b64_e32 v[4:5], 0
	s_and_saveexec_b32 s15, s16
	s_cbranch_execnz .LBB30_2362
	s_branch .LBB30_2363
.LBB30_2382:
	s_mov_b32 s14, -1
.LBB30_2383:
                                        ; implicit-def: $vgpr4_vgpr5
.LBB30_2384:
	s_and_b32 vcc_lo, exec_lo, s16
	s_mov_b32 s16, 0
	s_cbranch_vccz .LBB30_2386
; %bb.2385:
	s_cmp_lg_u32 s13, 11
	s_mov_b32 s16, -1
	s_cselect_b32 s13, -1, 0
	s_and_not1_b32 s14, s14, exec_lo
	s_and_b32 s13, s13, exec_lo
	s_delay_alu instid0(SALU_CYCLE_1)
	s_or_b32 s14, s14, s13
.LBB30_2386:
	s_mov_b32 s13, 0
.LBB30_2387:
	s_delay_alu instid0(SALU_CYCLE_1)
	s_and_b32 s24, s13, exec_lo
	s_and_not1_b32 s13, s65, exec_lo
	s_and_b32 s17, s14, exec_lo
	s_and_b32 s15, s15, exec_lo
	;; [unrolled: 1-line block ×3, first 2 shown]
	s_or_b32 s65, s13, s17
	s_wait_xcnt 0x0
	s_or_b32 exec_lo, exec_lo, s12
	s_and_saveexec_b32 s12, s65
	s_cbranch_execz .LBB30_2320
.LBB30_2388:
	s_or_b32 s1, s1, exec_lo
	s_and_not1_b32 s14, s14, exec_lo
	s_trap 2
	s_or_b32 exec_lo, exec_lo, s12
	s_and_saveexec_b32 s12, s14
	s_delay_alu instid0(SALU_CYCLE_1)
	s_xor_b32 s12, exec_lo, s12
	s_cbranch_execnz .LBB30_2321
.LBB30_2389:
	s_or_b32 exec_lo, exec_lo, s12
	s_and_saveexec_b32 s12, s24
	s_cbranch_execz .LBB30_2435
.LBB30_2390:
	s_sext_i32_i16 s13, s0
	s_delay_alu instid0(SALU_CYCLE_1)
	s_cmp_lt_i32 s13, 5
	s_cbranch_scc1 .LBB30_2395
; %bb.2391:
	s_cmp_lt_i32 s13, 8
	s_cbranch_scc1 .LBB30_2396
; %bb.2392:
	;; [unrolled: 3-line block ×3, first 2 shown]
	s_cmp_gt_i32 s13, 9
	s_cbranch_scc0 .LBB30_2398
; %bb.2394:
	s_wait_loadcnt 0x0
	global_load_b64 v[4:5], v[6:7], off
	s_mov_b32 s13, 0
	s_wait_loadcnt 0x0
	v_trunc_f64_e32 v[4:5], v[4:5]
	s_delay_alu instid0(VALU_DEP_1) | instskip(NEXT) | instid1(VALU_DEP_1)
	v_ldexp_f64 v[8:9], v[4:5], 0xffffffe0
	v_floor_f64_e32 v[8:9], v[8:9]
	s_delay_alu instid0(VALU_DEP_1) | instskip(SKIP_1) | instid1(VALU_DEP_2)
	v_fmamk_f64 v[10:11], v[8:9], 0xc1f00000, v[4:5]
	v_cvt_i32_f64_e32 v5, v[8:9]
	v_cvt_u32_f64_e32 v4, v[10:11]
	s_branch .LBB30_2399
.LBB30_2395:
                                        ; implicit-def: $vgpr4_vgpr5
	s_branch .LBB30_2416
.LBB30_2396:
                                        ; implicit-def: $vgpr4_vgpr5
	s_branch .LBB30_2405
.LBB30_2397:
	s_mov_b32 s13, -1
                                        ; implicit-def: $vgpr4_vgpr5
	s_branch .LBB30_2402
.LBB30_2398:
	s_mov_b32 s13, -1
                                        ; implicit-def: $vgpr4_vgpr5
.LBB30_2399:
	s_delay_alu instid0(SALU_CYCLE_1)
	s_and_not1_b32 vcc_lo, exec_lo, s13
	s_cbranch_vccnz .LBB30_2401
; %bb.2400:
	s_wait_loadcnt 0x0
	global_load_b32 v4, v[6:7], off
	s_wait_loadcnt 0x0
	v_trunc_f32_e32 v4, v4
	s_delay_alu instid0(VALU_DEP_1) | instskip(NEXT) | instid1(VALU_DEP_1)
	v_mul_f32_e64 v5, 0x2f800000, |v4|
	v_floor_f32_e32 v5, v5
	s_delay_alu instid0(VALU_DEP_1) | instskip(SKIP_2) | instid1(VALU_DEP_3)
	v_fma_f32 v8, 0xcf800000, v5, |v4|
	v_ashrrev_i32_e32 v4, 31, v4
	v_cvt_u32_f32_e32 v9, v5
	v_cvt_u32_f32_e32 v8, v8
	s_delay_alu instid0(VALU_DEP_2) | instskip(NEXT) | instid1(VALU_DEP_2)
	v_dual_mov_b32 v5, v4 :: v_dual_bitop2_b32 v9, v9, v4 bitop3:0x14
	v_xor_b32_e32 v8, v8, v4
	s_delay_alu instid0(VALU_DEP_1)
	v_sub_nc_u64_e32 v[4:5], v[8:9], v[4:5]
.LBB30_2401:
	s_mov_b32 s13, 0
.LBB30_2402:
	s_delay_alu instid0(SALU_CYCLE_1)
	s_and_not1_b32 vcc_lo, exec_lo, s13
	s_cbranch_vccnz .LBB30_2404
; %bb.2403:
	s_wait_loadcnt 0x0
	global_load_b32 v4, v[6:7], off
	s_wait_loadcnt 0x0
	v_cvt_f32_f16_e32 v4, v4
	s_delay_alu instid0(VALU_DEP_1) | instskip(NEXT) | instid1(VALU_DEP_1)
	v_cvt_i32_f32_e32 v4, v4
	v_ashrrev_i32_e32 v5, 31, v4
.LBB30_2404:
	s_cbranch_execnz .LBB30_2415
.LBB30_2405:
	s_sext_i32_i16 s13, s0
	s_delay_alu instid0(SALU_CYCLE_1)
	s_cmp_lt_i32 s13, 6
	s_cbranch_scc1 .LBB30_2408
; %bb.2406:
	s_cmp_gt_i32 s13, 6
	s_cbranch_scc0 .LBB30_2409
; %bb.2407:
	s_wait_loadcnt 0x0
	global_load_b64 v[4:5], v[6:7], off
	s_mov_b32 s13, 0
	s_wait_loadcnt 0x0
	v_trunc_f64_e32 v[4:5], v[4:5]
	s_delay_alu instid0(VALU_DEP_1) | instskip(NEXT) | instid1(VALU_DEP_1)
	v_ldexp_f64 v[8:9], v[4:5], 0xffffffe0
	v_floor_f64_e32 v[8:9], v[8:9]
	s_delay_alu instid0(VALU_DEP_1) | instskip(SKIP_1) | instid1(VALU_DEP_2)
	v_fmamk_f64 v[10:11], v[8:9], 0xc1f00000, v[4:5]
	v_cvt_i32_f64_e32 v5, v[8:9]
	v_cvt_u32_f64_e32 v4, v[10:11]
	s_branch .LBB30_2410
.LBB30_2408:
	s_mov_b32 s13, -1
                                        ; implicit-def: $vgpr4_vgpr5
	s_branch .LBB30_2413
.LBB30_2409:
	s_mov_b32 s13, -1
                                        ; implicit-def: $vgpr4_vgpr5
.LBB30_2410:
	s_delay_alu instid0(SALU_CYCLE_1)
	s_and_not1_b32 vcc_lo, exec_lo, s13
	s_cbranch_vccnz .LBB30_2412
; %bb.2411:
	s_wait_loadcnt 0x0
	global_load_b32 v4, v[6:7], off
	s_wait_loadcnt 0x0
	v_trunc_f32_e32 v4, v4
	s_delay_alu instid0(VALU_DEP_1) | instskip(NEXT) | instid1(VALU_DEP_1)
	v_mul_f32_e64 v5, 0x2f800000, |v4|
	v_floor_f32_e32 v5, v5
	s_delay_alu instid0(VALU_DEP_1) | instskip(SKIP_2) | instid1(VALU_DEP_3)
	v_fma_f32 v8, 0xcf800000, v5, |v4|
	v_ashrrev_i32_e32 v4, 31, v4
	v_cvt_u32_f32_e32 v9, v5
	v_cvt_u32_f32_e32 v8, v8
	s_delay_alu instid0(VALU_DEP_2) | instskip(NEXT) | instid1(VALU_DEP_2)
	v_dual_mov_b32 v5, v4 :: v_dual_bitop2_b32 v9, v9, v4 bitop3:0x14
	v_xor_b32_e32 v8, v8, v4
	s_delay_alu instid0(VALU_DEP_1)
	v_sub_nc_u64_e32 v[4:5], v[8:9], v[4:5]
.LBB30_2412:
	s_mov_b32 s13, 0
.LBB30_2413:
	s_delay_alu instid0(SALU_CYCLE_1)
	s_and_not1_b32 vcc_lo, exec_lo, s13
	s_cbranch_vccnz .LBB30_2415
; %bb.2414:
	s_wait_loadcnt 0x0
	global_load_u16 v4, v[6:7], off
	s_wait_loadcnt 0x0
	v_cvt_f32_f16_e32 v4, v4
	s_delay_alu instid0(VALU_DEP_1) | instskip(NEXT) | instid1(VALU_DEP_1)
	v_cvt_i32_f32_e32 v4, v4
	v_ashrrev_i32_e32 v5, 31, v4
.LBB30_2415:
	s_cbranch_execnz .LBB30_2434
.LBB30_2416:
	s_sext_i32_i16 s13, s0
	s_delay_alu instid0(SALU_CYCLE_1)
	s_cmp_lt_i32 s13, 2
	s_cbranch_scc1 .LBB30_2420
; %bb.2417:
	s_cmp_lt_i32 s13, 3
	s_cbranch_scc1 .LBB30_2421
; %bb.2418:
	s_cmp_gt_i32 s13, 3
	s_cbranch_scc0 .LBB30_2422
; %bb.2419:
	s_wait_loadcnt 0x0
	global_load_b64 v[4:5], v[6:7], off
	s_mov_b32 s13, 0
	s_branch .LBB30_2423
.LBB30_2420:
                                        ; implicit-def: $vgpr4_vgpr5
	s_branch .LBB30_2429
.LBB30_2421:
	s_mov_b32 s13, -1
                                        ; implicit-def: $vgpr4_vgpr5
	s_branch .LBB30_2426
.LBB30_2422:
	s_mov_b32 s13, -1
                                        ; implicit-def: $vgpr4_vgpr5
.LBB30_2423:
	s_delay_alu instid0(SALU_CYCLE_1)
	s_and_not1_b32 vcc_lo, exec_lo, s13
	s_cbranch_vccnz .LBB30_2425
; %bb.2424:
	s_wait_loadcnt 0x0
	global_load_b32 v4, v[6:7], off
	s_wait_loadcnt 0x0
	v_ashrrev_i32_e32 v5, 31, v4
.LBB30_2425:
	s_mov_b32 s13, 0
.LBB30_2426:
	s_delay_alu instid0(SALU_CYCLE_1)
	s_and_not1_b32 vcc_lo, exec_lo, s13
	s_cbranch_vccnz .LBB30_2428
; %bb.2427:
	s_wait_loadcnt 0x0
	global_load_u16 v4, v[6:7], off
	s_wait_loadcnt 0x0
	v_bfe_i32 v4, v4, 0, 16
	s_delay_alu instid0(VALU_DEP_1)
	v_ashrrev_i32_e32 v5, 31, v4
.LBB30_2428:
	s_cbranch_execnz .LBB30_2434
.LBB30_2429:
	s_sext_i32_i16 s0, s0
	s_delay_alu instid0(SALU_CYCLE_1)
	s_cmp_gt_i32 s0, 0
	s_mov_b32 s0, 0
	s_cbranch_scc0 .LBB30_2431
; %bb.2430:
	s_wait_loadcnt 0x0
	global_load_i8 v4, v[6:7], off
	s_wait_loadcnt 0x0
	v_bfe_i32 v4, v4, 0, 16
	s_delay_alu instid0(VALU_DEP_1)
	v_ashrrev_i32_e32 v5, 31, v4
	s_branch .LBB30_2432
.LBB30_2431:
	s_mov_b32 s0, -1
                                        ; implicit-def: $vgpr4_vgpr5
.LBB30_2432:
	s_delay_alu instid0(SALU_CYCLE_1)
	s_and_not1_b32 vcc_lo, exec_lo, s0
	s_cbranch_vccnz .LBB30_2434
; %bb.2433:
	s_wait_loadcnt 0x0
	global_load_u8 v4, v[6:7], off
	s_mov_b32 s0, 0
	s_delay_alu instid0(SALU_CYCLE_1)
	v_mov_b32_e32 v5, s0
	s_wait_loadcnt 0x0
	v_and_b32_e32 v4, 0xffff, v4
.LBB30_2434:
	s_or_b32 s15, s15, exec_lo
.LBB30_2435:
	s_wait_xcnt 0x0
	s_or_b32 exec_lo, exec_lo, s12
	s_mov_b32 s14, 0
	s_mov_b32 s16, 0
	;; [unrolled: 1-line block ×3, first 2 shown]
                                        ; implicit-def: $sgpr0
                                        ; implicit-def: $vgpr8_vgpr9
                                        ; implicit-def: $vgpr6_vgpr7
	s_and_saveexec_b32 s12, s15
	s_cbranch_execz .LBB30_2443
; %bb.2436:
	s_wait_loadcnt 0x0
	v_mul_lo_u32 v6, s27, v26
	s_and_b32 s0, s23, 0xff
	s_delay_alu instid0(SALU_CYCLE_1) | instskip(NEXT) | instid1(VALU_DEP_1)
	s_cmp_lt_i32 s0, 11
	v_ashrrev_i32_e32 v7, 31, v6
	s_delay_alu instid0(VALU_DEP_1)
	v_add_nc_u64_e32 v[8:9], s[18:19], v[6:7]
	s_cbranch_scc1 .LBB30_2446
; %bb.2437:
	s_and_b32 s13, 0xffff, s0
	s_mov_b32 s15, 0
	s_cmp_gt_i32 s13, 25
	s_cbranch_scc0 .LBB30_2447
; %bb.2438:
	s_cmp_gt_i32 s13, 28
	s_cbranch_scc0 .LBB30_2448
; %bb.2439:
	;; [unrolled: 3-line block ×4, first 2 shown]
	s_cmp_eq_u32 s13, 46
	s_mov_b32 s17, 0
	s_cbranch_scc0 .LBB30_2451
; %bb.2442:
	global_load_b32 v6, v[8:9], off
	s_mov_b32 s16, -1
	s_wait_loadcnt 0x0
	v_lshlrev_b32_e32 v6, 16, v6
	s_delay_alu instid0(VALU_DEP_1) | instskip(NEXT) | instid1(VALU_DEP_1)
	v_trunc_f32_e32 v6, v6
	v_mul_f32_e64 v7, 0x2f800000, |v6|
	s_delay_alu instid0(VALU_DEP_1) | instskip(NEXT) | instid1(VALU_DEP_1)
	v_floor_f32_e32 v7, v7
	v_fma_f32 v10, 0xcf800000, v7, |v6|
	v_ashrrev_i32_e32 v6, 31, v6
	v_cvt_u32_f32_e32 v11, v7
	s_delay_alu instid0(VALU_DEP_3) | instskip(NEXT) | instid1(VALU_DEP_2)
	v_cvt_u32_f32_e32 v10, v10
	v_dual_mov_b32 v7, v6 :: v_dual_bitop2_b32 v11, v11, v6 bitop3:0x14
	s_delay_alu instid0(VALU_DEP_2) | instskip(NEXT) | instid1(VALU_DEP_1)
	v_xor_b32_e32 v10, v10, v6
	v_sub_nc_u64_e32 v[6:7], v[10:11], v[6:7]
	s_branch .LBB30_2453
.LBB30_2443:
	s_or_b32 exec_lo, exec_lo, s12
	s_and_saveexec_b32 s12, s64
	s_cbranch_execnz .LBB30_2512
.LBB30_2444:
	s_or_b32 exec_lo, exec_lo, s12
	s_and_saveexec_b32 s12, s14
	s_delay_alu instid0(SALU_CYCLE_1)
	s_xor_b32 s12, exec_lo, s12
	s_cbranch_execz .LBB30_2513
.LBB30_2445:
	s_wait_loadcnt 0x0
	global_load_u8 v6, v[8:9], off
	s_mov_b32 s14, 0
	s_or_b32 s13, s13, exec_lo
	v_mov_b32_e32 v7, s14
	s_wait_loadcnt 0x0
	v_cmp_ne_u16_e32 vcc_lo, 0, v6
	v_cndmask_b32_e64 v6, 0, 1, vcc_lo
	s_wait_xcnt 0x0
	s_or_b32 exec_lo, exec_lo, s12
	s_and_saveexec_b32 s12, s16
	s_cbranch_execz .LBB30_2559
	s_branch .LBB30_2514
.LBB30_2446:
	s_mov_b32 s17, -1
	s_mov_b32 s15, 0
	s_mov_b32 s14, s64
                                        ; implicit-def: $vgpr6_vgpr7
	s_branch .LBB30_2511
.LBB30_2447:
	s_mov_b32 s14, s64
                                        ; implicit-def: $vgpr6_vgpr7
	s_cbranch_execnz .LBB30_2480
	s_branch .LBB30_2510
.LBB30_2448:
	s_mov_b32 s17, -1
	s_mov_b32 s14, s64
                                        ; implicit-def: $vgpr6_vgpr7
	s_branch .LBB30_2463
.LBB30_2449:
	s_mov_b32 s17, -1
	s_mov_b32 s14, s64
                                        ; implicit-def: $vgpr6_vgpr7
	s_branch .LBB30_2458
.LBB30_2450:
	s_mov_b32 s17, -1
	s_mov_b32 s14, s64
	s_branch .LBB30_2452
.LBB30_2451:
	s_mov_b32 s14, -1
.LBB30_2452:
                                        ; implicit-def: $vgpr6_vgpr7
.LBB30_2453:
	s_and_b32 vcc_lo, exec_lo, s17
	s_cbranch_vccz .LBB30_2457
; %bb.2454:
	s_cmp_eq_u32 s13, 44
	s_cbranch_scc0 .LBB30_2456
; %bb.2455:
	global_load_u8 v12, v[8:9], off
	s_mov_b32 s14, 0
	s_mov_b32 s16, -1
	s_wait_loadcnt 0x0
	v_cmp_ne_u32_e32 vcc_lo, 0, v12
	v_lshlrev_b32_e32 v6, 23, v12
	s_delay_alu instid0(VALU_DEP_1) | instskip(NEXT) | instid1(VALU_DEP_1)
	v_trunc_f32_e32 v6, v6
	v_mul_f32_e64 v7, 0x2f800000, |v6|
	s_delay_alu instid0(VALU_DEP_1) | instskip(NEXT) | instid1(VALU_DEP_1)
	v_floor_f32_e32 v7, v7
	v_fma_f32 v10, 0xcf800000, v7, |v6|
	v_ashrrev_i32_e32 v6, 31, v6
	v_cvt_u32_f32_e32 v11, v7
	s_delay_alu instid0(VALU_DEP_3) | instskip(NEXT) | instid1(VALU_DEP_2)
	v_cvt_u32_f32_e32 v10, v10
	v_dual_mov_b32 v7, v6 :: v_dual_bitop2_b32 v11, v11, v6 bitop3:0x14
	s_delay_alu instid0(VALU_DEP_2) | instskip(NEXT) | instid1(VALU_DEP_1)
	v_xor_b32_e32 v10, v10, v6
	v_sub_nc_u64_e32 v[6:7], v[10:11], v[6:7]
	s_delay_alu instid0(VALU_DEP_1)
	v_dual_cndmask_b32 v7, 0, v7 :: v_dual_cndmask_b32 v6, 0, v6
	s_branch .LBB30_2457
.LBB30_2456:
	s_mov_b32 s14, -1
                                        ; implicit-def: $vgpr6_vgpr7
.LBB30_2457:
	s_mov_b32 s17, 0
.LBB30_2458:
	s_delay_alu instid0(SALU_CYCLE_1)
	s_and_b32 vcc_lo, exec_lo, s17
	s_cbranch_vccz .LBB30_2462
; %bb.2459:
	s_cmp_eq_u32 s13, 29
	s_cbranch_scc0 .LBB30_2461
; %bb.2460:
	global_load_b64 v[6:7], v[8:9], off
	s_mov_b32 s14, 0
	s_mov_b32 s16, -1
	s_branch .LBB30_2462
.LBB30_2461:
	s_mov_b32 s14, -1
                                        ; implicit-def: $vgpr6_vgpr7
.LBB30_2462:
	s_mov_b32 s17, 0
.LBB30_2463:
	s_delay_alu instid0(SALU_CYCLE_1)
	s_and_b32 vcc_lo, exec_lo, s17
	s_cbranch_vccz .LBB30_2479
; %bb.2464:
	s_cmp_lt_i32 s13, 27
	s_cbranch_scc1 .LBB30_2467
; %bb.2465:
	s_cmp_gt_i32 s13, 27
	s_cbranch_scc0 .LBB30_2468
; %bb.2466:
	s_wait_loadcnt 0x0
	global_load_b32 v6, v[8:9], off
	v_mov_b32_e32 v7, 0
	s_mov_b32 s16, 0
	s_branch .LBB30_2469
.LBB30_2467:
	s_mov_b32 s16, -1
                                        ; implicit-def: $vgpr6_vgpr7
	s_branch .LBB30_2472
.LBB30_2468:
	s_mov_b32 s16, -1
                                        ; implicit-def: $vgpr6_vgpr7
.LBB30_2469:
	s_delay_alu instid0(SALU_CYCLE_1)
	s_and_not1_b32 vcc_lo, exec_lo, s16
	s_cbranch_vccnz .LBB30_2471
; %bb.2470:
	s_wait_loadcnt 0x0
	global_load_u16 v6, v[8:9], off
	s_mov_b32 s16, 0
	s_delay_alu instid0(SALU_CYCLE_1)
	v_mov_b32_e32 v7, s16
	s_wait_loadcnt 0x0
	v_and_b32_e32 v6, 0xffff, v6
.LBB30_2471:
	s_mov_b32 s16, 0
.LBB30_2472:
	s_delay_alu instid0(SALU_CYCLE_1)
	s_and_not1_b32 vcc_lo, exec_lo, s16
	s_cbranch_vccnz .LBB30_2478
; %bb.2473:
	global_load_u8 v10, v[8:9], off
	s_mov_b32 s17, 0
	s_mov_b32 s16, exec_lo
	s_wait_loadcnt 0x0
	v_cmpx_lt_i16_e32 0x7f, v10
	s_xor_b32 s16, exec_lo, s16
	s_cbranch_execz .LBB30_2489
; %bb.2474:
	v_cmp_ne_u16_e32 vcc_lo, 0x80, v10
	s_and_b32 s17, vcc_lo, exec_lo
	s_and_not1_saveexec_b32 s16, s16
	s_cbranch_execnz .LBB30_2490
.LBB30_2475:
	s_or_b32 exec_lo, exec_lo, s16
	v_mov_b64_e32 v[6:7], 0
	s_and_saveexec_b32 s16, s17
	s_cbranch_execz .LBB30_2477
.LBB30_2476:
	v_and_b32_e32 v6, 0xffff, v10
	s_delay_alu instid0(VALU_DEP_1) | instskip(SKIP_1) | instid1(VALU_DEP_2)
	v_and_b32_e32 v7, 7, v6
	v_bfe_u32 v13, v6, 3, 4
	v_clz_i32_u32_e32 v11, v7
	s_delay_alu instid0(VALU_DEP_2) | instskip(NEXT) | instid1(VALU_DEP_2)
	v_cmp_eq_u32_e32 vcc_lo, 0, v13
	v_min_u32_e32 v11, 32, v11
	s_delay_alu instid0(VALU_DEP_1) | instskip(NEXT) | instid1(VALU_DEP_1)
	v_subrev_nc_u32_e32 v12, 28, v11
	v_dual_lshlrev_b32 v6, v12, v6 :: v_dual_sub_nc_u32 v11, 29, v11
	s_delay_alu instid0(VALU_DEP_1) | instskip(NEXT) | instid1(VALU_DEP_2)
	v_and_b32_e32 v6, 7, v6
	v_dual_cndmask_b32 v11, v13, v11 :: v_dual_lshlrev_b32 v10, 24, v10
	s_delay_alu instid0(VALU_DEP_2) | instskip(NEXT) | instid1(VALU_DEP_2)
	v_cndmask_b32_e32 v6, v7, v6, vcc_lo
	v_and_b32_e32 v7, 0x80000000, v10
	s_delay_alu instid0(VALU_DEP_3) | instskip(NEXT) | instid1(VALU_DEP_3)
	v_lshl_add_u32 v10, v11, 23, 0x3b800000
	v_lshlrev_b32_e32 v6, 20, v6
	s_delay_alu instid0(VALU_DEP_1) | instskip(NEXT) | instid1(VALU_DEP_1)
	v_or3_b32 v6, v7, v10, v6
	v_trunc_f32_e32 v6, v6
	s_delay_alu instid0(VALU_DEP_1) | instskip(NEXT) | instid1(VALU_DEP_1)
	v_mul_f32_e64 v7, 0x2f800000, |v6|
	v_floor_f32_e32 v7, v7
	s_delay_alu instid0(VALU_DEP_1) | instskip(SKIP_2) | instid1(VALU_DEP_3)
	v_fma_f32 v10, 0xcf800000, v7, |v6|
	v_ashrrev_i32_e32 v6, 31, v6
	v_cvt_u32_f32_e32 v11, v7
	v_cvt_u32_f32_e32 v10, v10
	s_delay_alu instid0(VALU_DEP_2) | instskip(NEXT) | instid1(VALU_DEP_2)
	v_dual_mov_b32 v7, v6 :: v_dual_bitop2_b32 v11, v11, v6 bitop3:0x14
	v_xor_b32_e32 v10, v10, v6
	s_delay_alu instid0(VALU_DEP_1)
	v_sub_nc_u64_e32 v[6:7], v[10:11], v[6:7]
.LBB30_2477:
	s_or_b32 exec_lo, exec_lo, s16
.LBB30_2478:
	s_mov_b32 s16, -1
.LBB30_2479:
	s_branch .LBB30_2510
.LBB30_2480:
	s_cmp_gt_i32 s13, 22
	s_cbranch_scc0 .LBB30_2488
; %bb.2481:
	s_cmp_lt_i32 s13, 24
	s_cbranch_scc1 .LBB30_2491
; %bb.2482:
	s_cmp_gt_i32 s13, 24
	s_cbranch_scc0 .LBB30_2492
; %bb.2483:
	global_load_u8 v10, v[8:9], off
	s_mov_b32 s16, 0
	s_mov_b32 s15, exec_lo
	s_wait_loadcnt 0x0
	v_cmpx_lt_i16_e32 0x7f, v10
	s_xor_b32 s15, exec_lo, s15
	s_cbranch_execz .LBB30_2504
; %bb.2484:
	v_cmp_ne_u16_e32 vcc_lo, 0x80, v10
	s_and_b32 s16, vcc_lo, exec_lo
	s_and_not1_saveexec_b32 s15, s15
	s_cbranch_execnz .LBB30_2505
.LBB30_2485:
	s_or_b32 exec_lo, exec_lo, s15
	v_mov_b64_e32 v[6:7], 0
	s_and_saveexec_b32 s15, s16
	s_cbranch_execz .LBB30_2487
.LBB30_2486:
	v_and_b32_e32 v6, 0xffff, v10
	s_delay_alu instid0(VALU_DEP_1) | instskip(SKIP_1) | instid1(VALU_DEP_2)
	v_and_b32_e32 v7, 3, v6
	v_bfe_u32 v13, v6, 2, 5
	v_clz_i32_u32_e32 v11, v7
	s_delay_alu instid0(VALU_DEP_2) | instskip(NEXT) | instid1(VALU_DEP_2)
	v_cmp_eq_u32_e32 vcc_lo, 0, v13
	v_min_u32_e32 v11, 32, v11
	s_delay_alu instid0(VALU_DEP_1) | instskip(NEXT) | instid1(VALU_DEP_1)
	v_subrev_nc_u32_e32 v12, 29, v11
	v_dual_lshlrev_b32 v6, v12, v6 :: v_dual_sub_nc_u32 v11, 30, v11
	s_delay_alu instid0(VALU_DEP_1) | instskip(NEXT) | instid1(VALU_DEP_2)
	v_and_b32_e32 v6, 3, v6
	v_dual_cndmask_b32 v11, v13, v11 :: v_dual_lshlrev_b32 v10, 24, v10
	s_delay_alu instid0(VALU_DEP_2) | instskip(NEXT) | instid1(VALU_DEP_2)
	v_cndmask_b32_e32 v6, v7, v6, vcc_lo
	v_and_b32_e32 v7, 0x80000000, v10
	s_delay_alu instid0(VALU_DEP_3) | instskip(NEXT) | instid1(VALU_DEP_3)
	v_lshl_add_u32 v10, v11, 23, 0x37800000
	v_lshlrev_b32_e32 v6, 21, v6
	s_delay_alu instid0(VALU_DEP_1) | instskip(NEXT) | instid1(VALU_DEP_1)
	v_or3_b32 v6, v7, v10, v6
	v_trunc_f32_e32 v6, v6
	s_delay_alu instid0(VALU_DEP_1) | instskip(NEXT) | instid1(VALU_DEP_1)
	v_mul_f32_e64 v7, 0x2f800000, |v6|
	v_floor_f32_e32 v7, v7
	s_delay_alu instid0(VALU_DEP_1) | instskip(SKIP_2) | instid1(VALU_DEP_3)
	v_fma_f32 v10, 0xcf800000, v7, |v6|
	v_ashrrev_i32_e32 v6, 31, v6
	v_cvt_u32_f32_e32 v11, v7
	v_cvt_u32_f32_e32 v10, v10
	s_delay_alu instid0(VALU_DEP_2) | instskip(NEXT) | instid1(VALU_DEP_2)
	v_dual_mov_b32 v7, v6 :: v_dual_bitop2_b32 v11, v11, v6 bitop3:0x14
	v_xor_b32_e32 v10, v10, v6
	s_delay_alu instid0(VALU_DEP_1)
	v_sub_nc_u64_e32 v[6:7], v[10:11], v[6:7]
.LBB30_2487:
	s_or_b32 exec_lo, exec_lo, s15
	s_mov_b32 s15, 0
	s_branch .LBB30_2493
.LBB30_2488:
	s_mov_b32 s15, -1
                                        ; implicit-def: $vgpr6_vgpr7
	s_branch .LBB30_2499
.LBB30_2489:
	s_and_not1_saveexec_b32 s16, s16
	s_cbranch_execz .LBB30_2475
.LBB30_2490:
	v_cmp_ne_u16_e32 vcc_lo, 0, v10
	s_and_not1_b32 s17, s17, exec_lo
	s_and_b32 s18, vcc_lo, exec_lo
	s_delay_alu instid0(SALU_CYCLE_1)
	s_or_b32 s17, s17, s18
	s_or_b32 exec_lo, exec_lo, s16
	v_mov_b64_e32 v[6:7], 0
	s_and_saveexec_b32 s16, s17
	s_cbranch_execnz .LBB30_2476
	s_branch .LBB30_2477
.LBB30_2491:
	s_mov_b32 s15, -1
                                        ; implicit-def: $vgpr6_vgpr7
	s_branch .LBB30_2496
.LBB30_2492:
	s_mov_b32 s15, -1
                                        ; implicit-def: $vgpr6_vgpr7
.LBB30_2493:
	s_delay_alu instid0(SALU_CYCLE_1)
	s_and_b32 vcc_lo, exec_lo, s15
	s_cbranch_vccz .LBB30_2495
; %bb.2494:
	s_wait_loadcnt 0x0
	global_load_u8 v6, v[8:9], off
	s_wait_loadcnt 0x0
	v_lshlrev_b32_e32 v6, 24, v6
	s_delay_alu instid0(VALU_DEP_1) | instskip(NEXT) | instid1(VALU_DEP_1)
	v_and_b32_e32 v7, 0x7f000000, v6
	v_clz_i32_u32_e32 v10, v7
	v_cmp_ne_u32_e32 vcc_lo, 0, v7
	v_add_nc_u32_e32 v12, 0x1000000, v7
	s_delay_alu instid0(VALU_DEP_3) | instskip(NEXT) | instid1(VALU_DEP_1)
	v_min_u32_e32 v10, 32, v10
	v_sub_nc_u32_e64 v10, v10, 4 clamp
	s_delay_alu instid0(VALU_DEP_1) | instskip(NEXT) | instid1(VALU_DEP_1)
	v_dual_lshlrev_b32 v11, v10, v7 :: v_dual_lshlrev_b32 v10, 23, v10
	v_lshrrev_b32_e32 v11, 4, v11
	s_delay_alu instid0(VALU_DEP_1) | instskip(NEXT) | instid1(VALU_DEP_1)
	v_dual_sub_nc_u32 v10, v11, v10 :: v_dual_ashrrev_i32 v11, 8, v12
	v_add_nc_u32_e32 v10, 0x3c000000, v10
	s_delay_alu instid0(VALU_DEP_1) | instskip(NEXT) | instid1(VALU_DEP_1)
	v_and_or_b32 v10, 0x7f800000, v11, v10
	v_cndmask_b32_e32 v7, 0, v10, vcc_lo
	s_delay_alu instid0(VALU_DEP_1) | instskip(NEXT) | instid1(VALU_DEP_1)
	v_and_or_b32 v6, 0x80000000, v6, v7
	v_trunc_f32_e32 v6, v6
	s_delay_alu instid0(VALU_DEP_1) | instskip(NEXT) | instid1(VALU_DEP_1)
	v_mul_f32_e64 v7, 0x2f800000, |v6|
	v_floor_f32_e32 v7, v7
	s_delay_alu instid0(VALU_DEP_1) | instskip(SKIP_2) | instid1(VALU_DEP_3)
	v_fma_f32 v10, 0xcf800000, v7, |v6|
	v_ashrrev_i32_e32 v6, 31, v6
	v_cvt_u32_f32_e32 v11, v7
	v_cvt_u32_f32_e32 v10, v10
	s_delay_alu instid0(VALU_DEP_2) | instskip(NEXT) | instid1(VALU_DEP_2)
	v_dual_mov_b32 v7, v6 :: v_dual_bitop2_b32 v11, v11, v6 bitop3:0x14
	v_xor_b32_e32 v10, v10, v6
	s_delay_alu instid0(VALU_DEP_1)
	v_sub_nc_u64_e32 v[6:7], v[10:11], v[6:7]
.LBB30_2495:
	s_mov_b32 s15, 0
.LBB30_2496:
	s_delay_alu instid0(SALU_CYCLE_1)
	s_and_not1_b32 vcc_lo, exec_lo, s15
	s_cbranch_vccnz .LBB30_2498
; %bb.2497:
	s_wait_loadcnt 0x0
	global_load_u8 v6, v[8:9], off
	s_wait_loadcnt 0x0
	v_lshlrev_b32_e32 v7, 25, v6
	v_lshlrev_b16 v6, 8, v6
	s_delay_alu instid0(VALU_DEP_1) | instskip(SKIP_1) | instid1(VALU_DEP_2)
	v_and_or_b32 v11, 0x7f00, v6, 0.5
	v_bfe_i32 v6, v6, 0, 16
	v_add_f32_e32 v11, -0.5, v11
	v_lshrrev_b32_e32 v10, 4, v7
	v_cmp_gt_u32_e32 vcc_lo, 0x8000000, v7
	s_delay_alu instid0(VALU_DEP_2) | instskip(NEXT) | instid1(VALU_DEP_1)
	v_or_b32_e32 v10, 0x70000000, v10
	v_mul_f32_e32 v10, 0x7800000, v10
	s_delay_alu instid0(VALU_DEP_1) | instskip(NEXT) | instid1(VALU_DEP_1)
	v_cndmask_b32_e32 v7, v10, v11, vcc_lo
	v_and_or_b32 v6, 0x80000000, v6, v7
	s_delay_alu instid0(VALU_DEP_1) | instskip(NEXT) | instid1(VALU_DEP_1)
	v_trunc_f32_e32 v6, v6
	v_mul_f32_e64 v7, 0x2f800000, |v6|
	s_delay_alu instid0(VALU_DEP_1) | instskip(NEXT) | instid1(VALU_DEP_1)
	v_floor_f32_e32 v7, v7
	v_fma_f32 v10, 0xcf800000, v7, |v6|
	v_ashrrev_i32_e32 v6, 31, v6
	v_cvt_u32_f32_e32 v11, v7
	s_delay_alu instid0(VALU_DEP_3) | instskip(NEXT) | instid1(VALU_DEP_2)
	v_cvt_u32_f32_e32 v10, v10
	v_dual_mov_b32 v7, v6 :: v_dual_bitop2_b32 v11, v11, v6 bitop3:0x14
	s_delay_alu instid0(VALU_DEP_2) | instskip(NEXT) | instid1(VALU_DEP_1)
	v_xor_b32_e32 v10, v10, v6
	v_sub_nc_u64_e32 v[6:7], v[10:11], v[6:7]
.LBB30_2498:
	s_mov_b32 s15, 0
	s_mov_b32 s16, -1
.LBB30_2499:
	s_and_not1_b32 vcc_lo, exec_lo, s15
	s_mov_b32 s15, 0
	s_cbranch_vccnz .LBB30_2510
; %bb.2500:
	s_cmp_gt_i32 s13, 14
	s_cbranch_scc0 .LBB30_2503
; %bb.2501:
	s_cmp_eq_u32 s13, 15
	s_cbranch_scc0 .LBB30_2506
; %bb.2502:
	s_wait_loadcnt 0x0
	global_load_u16 v6, v[8:9], off
	s_mov_b32 s14, 0
	s_mov_b32 s16, -1
	s_wait_loadcnt 0x0
	v_lshlrev_b32_e32 v6, 16, v6
	s_delay_alu instid0(VALU_DEP_1) | instskip(NEXT) | instid1(VALU_DEP_1)
	v_trunc_f32_e32 v6, v6
	v_mul_f32_e64 v7, 0x2f800000, |v6|
	s_delay_alu instid0(VALU_DEP_1) | instskip(NEXT) | instid1(VALU_DEP_1)
	v_floor_f32_e32 v7, v7
	v_fma_f32 v10, 0xcf800000, v7, |v6|
	v_ashrrev_i32_e32 v6, 31, v6
	v_cvt_u32_f32_e32 v11, v7
	s_delay_alu instid0(VALU_DEP_3) | instskip(NEXT) | instid1(VALU_DEP_2)
	v_cvt_u32_f32_e32 v10, v10
	v_dual_mov_b32 v7, v6 :: v_dual_bitop2_b32 v11, v11, v6 bitop3:0x14
	s_delay_alu instid0(VALU_DEP_2) | instskip(NEXT) | instid1(VALU_DEP_1)
	v_xor_b32_e32 v10, v10, v6
	v_sub_nc_u64_e32 v[6:7], v[10:11], v[6:7]
	s_branch .LBB30_2508
.LBB30_2503:
	s_mov_b32 s15, -1
	s_branch .LBB30_2507
.LBB30_2504:
	s_and_not1_saveexec_b32 s15, s15
	s_cbranch_execz .LBB30_2485
.LBB30_2505:
	v_cmp_ne_u16_e32 vcc_lo, 0, v10
	s_and_not1_b32 s16, s16, exec_lo
	s_and_b32 s17, vcc_lo, exec_lo
	s_delay_alu instid0(SALU_CYCLE_1)
	s_or_b32 s16, s16, s17
	s_or_b32 exec_lo, exec_lo, s15
	v_mov_b64_e32 v[6:7], 0
	s_and_saveexec_b32 s15, s16
	s_cbranch_execnz .LBB30_2486
	s_branch .LBB30_2487
.LBB30_2506:
	s_mov_b32 s14, -1
.LBB30_2507:
                                        ; implicit-def: $vgpr6_vgpr7
.LBB30_2508:
	s_and_b32 vcc_lo, exec_lo, s15
	s_mov_b32 s15, 0
	s_cbranch_vccz .LBB30_2510
; %bb.2509:
	s_cmp_lg_u32 s13, 11
	s_mov_b32 s15, -1
	s_cselect_b32 s13, -1, 0
	s_and_not1_b32 s14, s14, exec_lo
	s_and_b32 s13, s13, exec_lo
	s_delay_alu instid0(SALU_CYCLE_1)
	s_or_b32 s14, s14, s13
.LBB30_2510:
	s_mov_b32 s17, 0
.LBB30_2511:
	s_and_b32 s13, s16, exec_lo
	s_and_b32 s16, s17, exec_lo
	s_and_not1_b32 s17, s64, exec_lo
	s_and_b32 s18, s14, exec_lo
	s_and_b32 s14, s15, exec_lo
	s_or_b32 s64, s17, s18
	s_wait_xcnt 0x0
	s_or_b32 exec_lo, exec_lo, s12
	s_and_saveexec_b32 s12, s64
	s_cbranch_execz .LBB30_2444
.LBB30_2512:
	s_or_b32 s1, s1, exec_lo
	s_and_not1_b32 s14, s14, exec_lo
	s_trap 2
	s_or_b32 exec_lo, exec_lo, s12
	s_and_saveexec_b32 s12, s14
	s_delay_alu instid0(SALU_CYCLE_1)
	s_xor_b32 s12, exec_lo, s12
	s_cbranch_execnz .LBB30_2445
.LBB30_2513:
	s_or_b32 exec_lo, exec_lo, s12
	s_and_saveexec_b32 s12, s16
	s_cbranch_execz .LBB30_2559
.LBB30_2514:
	s_sext_i32_i16 s14, s0
	s_delay_alu instid0(SALU_CYCLE_1)
	s_cmp_lt_i32 s14, 5
	s_cbranch_scc1 .LBB30_2519
; %bb.2515:
	s_cmp_lt_i32 s14, 8
	s_cbranch_scc1 .LBB30_2520
; %bb.2516:
	;; [unrolled: 3-line block ×3, first 2 shown]
	s_cmp_gt_i32 s14, 9
	s_cbranch_scc0 .LBB30_2522
; %bb.2518:
	s_wait_loadcnt 0x0
	global_load_b64 v[6:7], v[8:9], off
	s_mov_b32 s14, 0
	s_wait_loadcnt 0x0
	v_trunc_f64_e32 v[6:7], v[6:7]
	s_delay_alu instid0(VALU_DEP_1) | instskip(NEXT) | instid1(VALU_DEP_1)
	v_ldexp_f64 v[10:11], v[6:7], 0xffffffe0
	v_floor_f64_e32 v[10:11], v[10:11]
	s_delay_alu instid0(VALU_DEP_1) | instskip(SKIP_1) | instid1(VALU_DEP_2)
	v_fmamk_f64 v[12:13], v[10:11], 0xc1f00000, v[6:7]
	v_cvt_i32_f64_e32 v7, v[10:11]
	v_cvt_u32_f64_e32 v6, v[12:13]
	s_branch .LBB30_2523
.LBB30_2519:
                                        ; implicit-def: $vgpr6_vgpr7
	s_branch .LBB30_2540
.LBB30_2520:
                                        ; implicit-def: $vgpr6_vgpr7
	s_branch .LBB30_2529
.LBB30_2521:
	s_mov_b32 s14, -1
                                        ; implicit-def: $vgpr6_vgpr7
	s_branch .LBB30_2526
.LBB30_2522:
	s_mov_b32 s14, -1
                                        ; implicit-def: $vgpr6_vgpr7
.LBB30_2523:
	s_delay_alu instid0(SALU_CYCLE_1)
	s_and_not1_b32 vcc_lo, exec_lo, s14
	s_cbranch_vccnz .LBB30_2525
; %bb.2524:
	s_wait_loadcnt 0x0
	global_load_b32 v6, v[8:9], off
	s_wait_loadcnt 0x0
	v_trunc_f32_e32 v6, v6
	s_delay_alu instid0(VALU_DEP_1) | instskip(NEXT) | instid1(VALU_DEP_1)
	v_mul_f32_e64 v7, 0x2f800000, |v6|
	v_floor_f32_e32 v7, v7
	s_delay_alu instid0(VALU_DEP_1) | instskip(SKIP_2) | instid1(VALU_DEP_3)
	v_fma_f32 v10, 0xcf800000, v7, |v6|
	v_ashrrev_i32_e32 v6, 31, v6
	v_cvt_u32_f32_e32 v11, v7
	v_cvt_u32_f32_e32 v10, v10
	s_delay_alu instid0(VALU_DEP_2) | instskip(NEXT) | instid1(VALU_DEP_2)
	v_dual_mov_b32 v7, v6 :: v_dual_bitop2_b32 v11, v11, v6 bitop3:0x14
	v_xor_b32_e32 v10, v10, v6
	s_delay_alu instid0(VALU_DEP_1)
	v_sub_nc_u64_e32 v[6:7], v[10:11], v[6:7]
.LBB30_2525:
	s_mov_b32 s14, 0
.LBB30_2526:
	s_delay_alu instid0(SALU_CYCLE_1)
	s_and_not1_b32 vcc_lo, exec_lo, s14
	s_cbranch_vccnz .LBB30_2528
; %bb.2527:
	s_wait_loadcnt 0x0
	global_load_b32 v6, v[8:9], off
	s_wait_loadcnt 0x0
	v_cvt_f32_f16_e32 v6, v6
	s_delay_alu instid0(VALU_DEP_1) | instskip(NEXT) | instid1(VALU_DEP_1)
	v_cvt_i32_f32_e32 v6, v6
	v_ashrrev_i32_e32 v7, 31, v6
.LBB30_2528:
	s_cbranch_execnz .LBB30_2539
.LBB30_2529:
	s_sext_i32_i16 s14, s0
	s_delay_alu instid0(SALU_CYCLE_1)
	s_cmp_lt_i32 s14, 6
	s_cbranch_scc1 .LBB30_2532
; %bb.2530:
	s_cmp_gt_i32 s14, 6
	s_cbranch_scc0 .LBB30_2533
; %bb.2531:
	s_wait_loadcnt 0x0
	global_load_b64 v[6:7], v[8:9], off
	s_mov_b32 s14, 0
	s_wait_loadcnt 0x0
	v_trunc_f64_e32 v[6:7], v[6:7]
	s_delay_alu instid0(VALU_DEP_1) | instskip(NEXT) | instid1(VALU_DEP_1)
	v_ldexp_f64 v[10:11], v[6:7], 0xffffffe0
	v_floor_f64_e32 v[10:11], v[10:11]
	s_delay_alu instid0(VALU_DEP_1) | instskip(SKIP_1) | instid1(VALU_DEP_2)
	v_fmamk_f64 v[12:13], v[10:11], 0xc1f00000, v[6:7]
	v_cvt_i32_f64_e32 v7, v[10:11]
	v_cvt_u32_f64_e32 v6, v[12:13]
	s_branch .LBB30_2534
.LBB30_2532:
	s_mov_b32 s14, -1
                                        ; implicit-def: $vgpr6_vgpr7
	s_branch .LBB30_2537
.LBB30_2533:
	s_mov_b32 s14, -1
                                        ; implicit-def: $vgpr6_vgpr7
.LBB30_2534:
	s_delay_alu instid0(SALU_CYCLE_1)
	s_and_not1_b32 vcc_lo, exec_lo, s14
	s_cbranch_vccnz .LBB30_2536
; %bb.2535:
	s_wait_loadcnt 0x0
	global_load_b32 v6, v[8:9], off
	s_wait_loadcnt 0x0
	v_trunc_f32_e32 v6, v6
	s_delay_alu instid0(VALU_DEP_1) | instskip(NEXT) | instid1(VALU_DEP_1)
	v_mul_f32_e64 v7, 0x2f800000, |v6|
	v_floor_f32_e32 v7, v7
	s_delay_alu instid0(VALU_DEP_1) | instskip(SKIP_2) | instid1(VALU_DEP_3)
	v_fma_f32 v10, 0xcf800000, v7, |v6|
	v_ashrrev_i32_e32 v6, 31, v6
	v_cvt_u32_f32_e32 v11, v7
	v_cvt_u32_f32_e32 v10, v10
	s_delay_alu instid0(VALU_DEP_2) | instskip(NEXT) | instid1(VALU_DEP_2)
	v_dual_mov_b32 v7, v6 :: v_dual_bitop2_b32 v11, v11, v6 bitop3:0x14
	v_xor_b32_e32 v10, v10, v6
	s_delay_alu instid0(VALU_DEP_1)
	v_sub_nc_u64_e32 v[6:7], v[10:11], v[6:7]
.LBB30_2536:
	s_mov_b32 s14, 0
.LBB30_2537:
	s_delay_alu instid0(SALU_CYCLE_1)
	s_and_not1_b32 vcc_lo, exec_lo, s14
	s_cbranch_vccnz .LBB30_2539
; %bb.2538:
	s_wait_loadcnt 0x0
	global_load_u16 v6, v[8:9], off
	s_wait_loadcnt 0x0
	v_cvt_f32_f16_e32 v6, v6
	s_delay_alu instid0(VALU_DEP_1) | instskip(NEXT) | instid1(VALU_DEP_1)
	v_cvt_i32_f32_e32 v6, v6
	v_ashrrev_i32_e32 v7, 31, v6
.LBB30_2539:
	s_cbranch_execnz .LBB30_2558
.LBB30_2540:
	s_sext_i32_i16 s14, s0
	s_delay_alu instid0(SALU_CYCLE_1)
	s_cmp_lt_i32 s14, 2
	s_cbranch_scc1 .LBB30_2544
; %bb.2541:
	s_cmp_lt_i32 s14, 3
	s_cbranch_scc1 .LBB30_2545
; %bb.2542:
	s_cmp_gt_i32 s14, 3
	s_cbranch_scc0 .LBB30_2546
; %bb.2543:
	s_wait_loadcnt 0x0
	global_load_b64 v[6:7], v[8:9], off
	s_mov_b32 s14, 0
	s_branch .LBB30_2547
.LBB30_2544:
                                        ; implicit-def: $vgpr6_vgpr7
	s_branch .LBB30_2553
.LBB30_2545:
	s_mov_b32 s14, -1
                                        ; implicit-def: $vgpr6_vgpr7
	s_branch .LBB30_2550
.LBB30_2546:
	s_mov_b32 s14, -1
                                        ; implicit-def: $vgpr6_vgpr7
.LBB30_2547:
	s_delay_alu instid0(SALU_CYCLE_1)
	s_and_not1_b32 vcc_lo, exec_lo, s14
	s_cbranch_vccnz .LBB30_2549
; %bb.2548:
	s_wait_loadcnt 0x0
	global_load_b32 v6, v[8:9], off
	s_wait_loadcnt 0x0
	v_ashrrev_i32_e32 v7, 31, v6
.LBB30_2549:
	s_mov_b32 s14, 0
.LBB30_2550:
	s_delay_alu instid0(SALU_CYCLE_1)
	s_and_not1_b32 vcc_lo, exec_lo, s14
	s_cbranch_vccnz .LBB30_2552
; %bb.2551:
	s_wait_loadcnt 0x0
	global_load_u16 v6, v[8:9], off
	s_wait_loadcnt 0x0
	v_bfe_i32 v6, v6, 0, 16
	s_delay_alu instid0(VALU_DEP_1)
	v_ashrrev_i32_e32 v7, 31, v6
.LBB30_2552:
	s_cbranch_execnz .LBB30_2558
.LBB30_2553:
	s_sext_i32_i16 s0, s0
	s_delay_alu instid0(SALU_CYCLE_1)
	s_cmp_gt_i32 s0, 0
	s_mov_b32 s0, 0
	s_cbranch_scc0 .LBB30_2555
; %bb.2554:
	s_wait_loadcnt 0x0
	global_load_i8 v6, v[8:9], off
	s_wait_loadcnt 0x0
	v_bfe_i32 v6, v6, 0, 16
	s_delay_alu instid0(VALU_DEP_1)
	v_ashrrev_i32_e32 v7, 31, v6
	s_branch .LBB30_2556
.LBB30_2555:
	s_mov_b32 s0, -1
                                        ; implicit-def: $vgpr6_vgpr7
.LBB30_2556:
	s_delay_alu instid0(SALU_CYCLE_1)
	s_and_not1_b32 vcc_lo, exec_lo, s0
	s_cbranch_vccnz .LBB30_2558
; %bb.2557:
	s_wait_loadcnt 0x0
	global_load_u8 v6, v[8:9], off
	s_mov_b32 s0, 0
	s_delay_alu instid0(SALU_CYCLE_1)
	v_mov_b32_e32 v7, s0
	s_wait_loadcnt 0x0
	v_and_b32_e32 v6, 0xffff, v6
.LBB30_2558:
	s_or_b32 s13, s13, exec_lo
.LBB30_2559:
	s_wait_xcnt 0x0
	s_or_b32 exec_lo, exec_lo, s12
	s_mov_b32 s14, 0
	s_mov_b32 s17, 0
	;; [unrolled: 1-line block ×3, first 2 shown]
                                        ; implicit-def: $sgpr0
                                        ; implicit-def: $vgpr8_vgpr9
                                        ; implicit-def: $vgpr10_vgpr11
	s_and_saveexec_b32 s12, s13
	s_cbranch_execz .LBB30_2567
; %bb.2560:
	v_mul_lo_u32 v8, s53, v26
	s_and_b32 s0, s54, 0xff
	s_delay_alu instid0(SALU_CYCLE_1) | instskip(NEXT) | instid1(VALU_DEP_1)
	s_cmp_lt_i32 s0, 11
	v_ashrrev_i32_e32 v9, 31, v8
	s_delay_alu instid0(VALU_DEP_1)
	v_add_nc_u64_e32 v[8:9], s[34:35], v[8:9]
	s_cbranch_scc1 .LBB30_2570
; %bb.2561:
	s_and_b32 s13, 0xffff, s0
	s_mov_b32 s16, 0
	s_cmp_gt_i32 s13, 25
	s_cbranch_scc0 .LBB30_2571
; %bb.2562:
	s_cmp_gt_i32 s13, 28
	s_cbranch_scc0 .LBB30_2572
; %bb.2563:
	;; [unrolled: 3-line block ×4, first 2 shown]
	s_cmp_eq_u32 s13, 46
	s_cbranch_scc0 .LBB30_2575
; %bb.2566:
	s_wait_loadcnt 0x0
	global_load_b32 v10, v[8:9], off
	s_mov_b32 s15, -1
	s_wait_loadcnt 0x0
	v_lshlrev_b32_e32 v10, 16, v10
	s_delay_alu instid0(VALU_DEP_1) | instskip(NEXT) | instid1(VALU_DEP_1)
	v_trunc_f32_e32 v10, v10
	v_mul_f32_e64 v11, 0x2f800000, |v10|
	s_delay_alu instid0(VALU_DEP_1) | instskip(NEXT) | instid1(VALU_DEP_1)
	v_floor_f32_e32 v11, v11
	v_fma_f32 v12, 0xcf800000, v11, |v10|
	v_ashrrev_i32_e32 v10, 31, v10
	v_cvt_u32_f32_e32 v13, v11
	s_delay_alu instid0(VALU_DEP_3) | instskip(NEXT) | instid1(VALU_DEP_2)
	v_cvt_u32_f32_e32 v12, v12
	v_dual_mov_b32 v11, v10 :: v_dual_bitop2_b32 v13, v13, v10 bitop3:0x14
	s_delay_alu instid0(VALU_DEP_2) | instskip(NEXT) | instid1(VALU_DEP_1)
	v_xor_b32_e32 v12, v12, v10
	v_sub_nc_u64_e32 v[10:11], v[12:13], v[10:11]
	s_branch .LBB30_2577
.LBB30_2567:
	s_or_b32 exec_lo, exec_lo, s12
	s_and_saveexec_b32 s12, s63
	s_cbranch_execnz .LBB30_2636
.LBB30_2568:
	s_or_b32 exec_lo, exec_lo, s12
	s_and_saveexec_b32 s12, s14
	s_delay_alu instid0(SALU_CYCLE_1)
	s_xor_b32 s12, exec_lo, s12
	s_cbranch_execz .LBB30_2637
.LBB30_2569:
	s_wait_loadcnt 0x0
	global_load_u8 v10, v[8:9], off
	s_mov_b32 s13, 0
	s_or_b32 s15, s15, exec_lo
	v_mov_b32_e32 v11, s13
	s_wait_loadcnt 0x0
	v_cmp_ne_u16_e32 vcc_lo, 0, v10
	v_cndmask_b32_e64 v10, 0, 1, vcc_lo
	s_wait_xcnt 0x0
	s_or_b32 exec_lo, exec_lo, s12
	s_and_saveexec_b32 s12, s17
	s_cbranch_execz .LBB30_2683
	s_branch .LBB30_2638
.LBB30_2570:
	s_mov_b32 s13, -1
	s_mov_b32 s16, 0
	s_mov_b32 s14, s63
                                        ; implicit-def: $vgpr10_vgpr11
	s_branch .LBB30_2635
.LBB30_2571:
	s_mov_b32 s14, s63
                                        ; implicit-def: $vgpr10_vgpr11
	s_cbranch_execnz .LBB30_2604
	s_branch .LBB30_2634
.LBB30_2572:
	s_mov_b32 s17, -1
	s_mov_b32 s14, s63
                                        ; implicit-def: $vgpr10_vgpr11
	s_branch .LBB30_2587
.LBB30_2573:
	s_mov_b32 s17, -1
	s_mov_b32 s14, s63
                                        ; implicit-def: $vgpr10_vgpr11
	s_branch .LBB30_2582
.LBB30_2574:
	s_mov_b32 s17, -1
	s_mov_b32 s14, s63
	s_branch .LBB30_2576
.LBB30_2575:
	s_mov_b32 s14, -1
.LBB30_2576:
                                        ; implicit-def: $vgpr10_vgpr11
.LBB30_2577:
	s_and_b32 vcc_lo, exec_lo, s17
	s_cbranch_vccz .LBB30_2581
; %bb.2578:
	s_cmp_eq_u32 s13, 44
	s_cbranch_scc0 .LBB30_2580
; %bb.2579:
	global_load_u8 v14, v[8:9], off
	s_mov_b32 s14, 0
	s_mov_b32 s15, -1
	s_wait_loadcnt 0x0
	v_cmp_ne_u32_e32 vcc_lo, 0, v14
	v_lshlrev_b32_e32 v10, 23, v14
	s_delay_alu instid0(VALU_DEP_1) | instskip(NEXT) | instid1(VALU_DEP_1)
	v_trunc_f32_e32 v10, v10
	v_mul_f32_e64 v11, 0x2f800000, |v10|
	s_delay_alu instid0(VALU_DEP_1) | instskip(NEXT) | instid1(VALU_DEP_1)
	v_floor_f32_e32 v11, v11
	v_fma_f32 v12, 0xcf800000, v11, |v10|
	v_ashrrev_i32_e32 v10, 31, v10
	v_cvt_u32_f32_e32 v13, v11
	s_delay_alu instid0(VALU_DEP_3) | instskip(NEXT) | instid1(VALU_DEP_2)
	v_cvt_u32_f32_e32 v12, v12
	v_dual_mov_b32 v11, v10 :: v_dual_bitop2_b32 v13, v13, v10 bitop3:0x14
	s_delay_alu instid0(VALU_DEP_2) | instskip(NEXT) | instid1(VALU_DEP_1)
	v_xor_b32_e32 v12, v12, v10
	v_sub_nc_u64_e32 v[10:11], v[12:13], v[10:11]
	s_delay_alu instid0(VALU_DEP_1)
	v_dual_cndmask_b32 v11, 0, v11 :: v_dual_cndmask_b32 v10, 0, v10
	s_branch .LBB30_2581
.LBB30_2580:
	s_mov_b32 s14, -1
                                        ; implicit-def: $vgpr10_vgpr11
.LBB30_2581:
	s_mov_b32 s17, 0
.LBB30_2582:
	s_delay_alu instid0(SALU_CYCLE_1)
	s_and_b32 vcc_lo, exec_lo, s17
	s_cbranch_vccz .LBB30_2586
; %bb.2583:
	s_cmp_eq_u32 s13, 29
	s_cbranch_scc0 .LBB30_2585
; %bb.2584:
	s_wait_loadcnt 0x0
	global_load_b64 v[10:11], v[8:9], off
	s_mov_b32 s14, 0
	s_mov_b32 s15, -1
	s_branch .LBB30_2586
.LBB30_2585:
	s_mov_b32 s14, -1
                                        ; implicit-def: $vgpr10_vgpr11
.LBB30_2586:
	s_mov_b32 s17, 0
.LBB30_2587:
	s_delay_alu instid0(SALU_CYCLE_1)
	s_and_b32 vcc_lo, exec_lo, s17
	s_cbranch_vccz .LBB30_2603
; %bb.2588:
	s_cmp_lt_i32 s13, 27
	s_cbranch_scc1 .LBB30_2591
; %bb.2589:
	s_cmp_gt_i32 s13, 27
	s_cbranch_scc0 .LBB30_2592
; %bb.2590:
	s_wait_loadcnt 0x0
	global_load_b32 v10, v[8:9], off
	v_mov_b32_e32 v11, 0
	s_mov_b32 s15, 0
	s_branch .LBB30_2593
.LBB30_2591:
	s_mov_b32 s15, -1
                                        ; implicit-def: $vgpr10_vgpr11
	s_branch .LBB30_2596
.LBB30_2592:
	s_mov_b32 s15, -1
                                        ; implicit-def: $vgpr10_vgpr11
.LBB30_2593:
	s_delay_alu instid0(SALU_CYCLE_1)
	s_and_not1_b32 vcc_lo, exec_lo, s15
	s_cbranch_vccnz .LBB30_2595
; %bb.2594:
	s_wait_loadcnt 0x0
	global_load_u16 v10, v[8:9], off
	s_mov_b32 s15, 0
	s_delay_alu instid0(SALU_CYCLE_1)
	v_mov_b32_e32 v11, s15
	s_wait_loadcnt 0x0
	v_and_b32_e32 v10, 0xffff, v10
.LBB30_2595:
	s_mov_b32 s15, 0
.LBB30_2596:
	s_delay_alu instid0(SALU_CYCLE_1)
	s_and_not1_b32 vcc_lo, exec_lo, s15
	s_cbranch_vccnz .LBB30_2602
; %bb.2597:
	global_load_u8 v12, v[8:9], off
	s_mov_b32 s17, 0
	s_mov_b32 s15, exec_lo
	s_wait_loadcnt 0x0
	v_cmpx_lt_i16_e32 0x7f, v12
	s_xor_b32 s15, exec_lo, s15
	s_cbranch_execz .LBB30_2613
; %bb.2598:
	v_cmp_ne_u16_e32 vcc_lo, 0x80, v12
	s_and_b32 s17, vcc_lo, exec_lo
	s_and_not1_saveexec_b32 s15, s15
	s_cbranch_execnz .LBB30_2614
.LBB30_2599:
	s_or_b32 exec_lo, exec_lo, s15
	v_mov_b64_e32 v[10:11], 0
	s_and_saveexec_b32 s15, s17
	s_cbranch_execz .LBB30_2601
.LBB30_2600:
	v_and_b32_e32 v10, 0xffff, v12
	s_delay_alu instid0(VALU_DEP_1) | instskip(SKIP_1) | instid1(VALU_DEP_2)
	v_and_b32_e32 v11, 7, v10
	v_bfe_u32 v15, v10, 3, 4
	v_clz_i32_u32_e32 v13, v11
	s_delay_alu instid0(VALU_DEP_2) | instskip(NEXT) | instid1(VALU_DEP_2)
	v_cmp_eq_u32_e32 vcc_lo, 0, v15
	v_min_u32_e32 v13, 32, v13
	s_delay_alu instid0(VALU_DEP_1) | instskip(NEXT) | instid1(VALU_DEP_1)
	v_subrev_nc_u32_e32 v14, 28, v13
	v_dual_lshlrev_b32 v10, v14, v10 :: v_dual_sub_nc_u32 v13, 29, v13
	s_delay_alu instid0(VALU_DEP_1) | instskip(NEXT) | instid1(VALU_DEP_2)
	v_dual_lshlrev_b32 v12, 24, v12 :: v_dual_bitop2_b32 v10, 7, v10 bitop3:0x40
	v_cndmask_b32_e32 v13, v15, v13, vcc_lo
	s_delay_alu instid0(VALU_DEP_2) | instskip(NEXT) | instid1(VALU_DEP_3)
	v_cndmask_b32_e32 v10, v11, v10, vcc_lo
	v_and_b32_e32 v11, 0x80000000, v12
	s_delay_alu instid0(VALU_DEP_3) | instskip(NEXT) | instid1(VALU_DEP_3)
	v_lshl_add_u32 v12, v13, 23, 0x3b800000
	v_lshlrev_b32_e32 v10, 20, v10
	s_delay_alu instid0(VALU_DEP_1) | instskip(NEXT) | instid1(VALU_DEP_1)
	v_or3_b32 v10, v11, v12, v10
	v_trunc_f32_e32 v10, v10
	s_delay_alu instid0(VALU_DEP_1) | instskip(NEXT) | instid1(VALU_DEP_1)
	v_mul_f32_e64 v11, 0x2f800000, |v10|
	v_floor_f32_e32 v11, v11
	s_delay_alu instid0(VALU_DEP_1) | instskip(SKIP_2) | instid1(VALU_DEP_3)
	v_fma_f32 v12, 0xcf800000, v11, |v10|
	v_ashrrev_i32_e32 v10, 31, v10
	v_cvt_u32_f32_e32 v13, v11
	v_cvt_u32_f32_e32 v12, v12
	s_delay_alu instid0(VALU_DEP_2) | instskip(NEXT) | instid1(VALU_DEP_2)
	v_dual_mov_b32 v11, v10 :: v_dual_bitop2_b32 v13, v13, v10 bitop3:0x14
	v_xor_b32_e32 v12, v12, v10
	s_delay_alu instid0(VALU_DEP_1)
	v_sub_nc_u64_e32 v[10:11], v[12:13], v[10:11]
.LBB30_2601:
	s_or_b32 exec_lo, exec_lo, s15
.LBB30_2602:
	s_mov_b32 s15, -1
.LBB30_2603:
	s_branch .LBB30_2634
.LBB30_2604:
	s_cmp_gt_i32 s13, 22
	s_cbranch_scc0 .LBB30_2612
; %bb.2605:
	s_cmp_lt_i32 s13, 24
	s_cbranch_scc1 .LBB30_2615
; %bb.2606:
	s_cmp_gt_i32 s13, 24
	s_cbranch_scc0 .LBB30_2616
; %bb.2607:
	global_load_u8 v12, v[8:9], off
	s_mov_b32 s15, exec_lo
	s_wait_loadcnt 0x0
	v_cmpx_lt_i16_e32 0x7f, v12
	s_xor_b32 s15, exec_lo, s15
	s_cbranch_execz .LBB30_2628
; %bb.2608:
	v_cmp_ne_u16_e32 vcc_lo, 0x80, v12
	s_and_b32 s16, vcc_lo, exec_lo
	s_and_not1_saveexec_b32 s15, s15
	s_cbranch_execnz .LBB30_2629
.LBB30_2609:
	s_or_b32 exec_lo, exec_lo, s15
	v_mov_b64_e32 v[10:11], 0
	s_and_saveexec_b32 s15, s16
	s_cbranch_execz .LBB30_2611
.LBB30_2610:
	v_and_b32_e32 v10, 0xffff, v12
	s_delay_alu instid0(VALU_DEP_1) | instskip(SKIP_1) | instid1(VALU_DEP_2)
	v_and_b32_e32 v11, 3, v10
	v_bfe_u32 v15, v10, 2, 5
	v_clz_i32_u32_e32 v13, v11
	s_delay_alu instid0(VALU_DEP_2) | instskip(NEXT) | instid1(VALU_DEP_2)
	v_cmp_eq_u32_e32 vcc_lo, 0, v15
	v_min_u32_e32 v13, 32, v13
	s_delay_alu instid0(VALU_DEP_1) | instskip(NEXT) | instid1(VALU_DEP_1)
	v_subrev_nc_u32_e32 v14, 29, v13
	v_dual_lshlrev_b32 v10, v14, v10 :: v_dual_sub_nc_u32 v13, 30, v13
	s_delay_alu instid0(VALU_DEP_1) | instskip(NEXT) | instid1(VALU_DEP_2)
	v_dual_lshlrev_b32 v12, 24, v12 :: v_dual_bitop2_b32 v10, 3, v10 bitop3:0x40
	v_cndmask_b32_e32 v13, v15, v13, vcc_lo
	s_delay_alu instid0(VALU_DEP_2) | instskip(NEXT) | instid1(VALU_DEP_3)
	v_cndmask_b32_e32 v10, v11, v10, vcc_lo
	v_and_b32_e32 v11, 0x80000000, v12
	s_delay_alu instid0(VALU_DEP_3) | instskip(NEXT) | instid1(VALU_DEP_3)
	v_lshl_add_u32 v12, v13, 23, 0x37800000
	v_lshlrev_b32_e32 v10, 21, v10
	s_delay_alu instid0(VALU_DEP_1) | instskip(NEXT) | instid1(VALU_DEP_1)
	v_or3_b32 v10, v11, v12, v10
	v_trunc_f32_e32 v10, v10
	s_delay_alu instid0(VALU_DEP_1) | instskip(NEXT) | instid1(VALU_DEP_1)
	v_mul_f32_e64 v11, 0x2f800000, |v10|
	v_floor_f32_e32 v11, v11
	s_delay_alu instid0(VALU_DEP_1) | instskip(SKIP_2) | instid1(VALU_DEP_3)
	v_fma_f32 v12, 0xcf800000, v11, |v10|
	v_ashrrev_i32_e32 v10, 31, v10
	v_cvt_u32_f32_e32 v13, v11
	v_cvt_u32_f32_e32 v12, v12
	s_delay_alu instid0(VALU_DEP_2) | instskip(NEXT) | instid1(VALU_DEP_2)
	v_dual_mov_b32 v11, v10 :: v_dual_bitop2_b32 v13, v13, v10 bitop3:0x14
	v_xor_b32_e32 v12, v12, v10
	s_delay_alu instid0(VALU_DEP_1)
	v_sub_nc_u64_e32 v[10:11], v[12:13], v[10:11]
.LBB30_2611:
	s_or_b32 exec_lo, exec_lo, s15
	s_mov_b32 s15, 0
	s_branch .LBB30_2617
.LBB30_2612:
	s_mov_b32 s16, -1
                                        ; implicit-def: $vgpr10_vgpr11
	s_branch .LBB30_2623
.LBB30_2613:
	s_and_not1_saveexec_b32 s15, s15
	s_cbranch_execz .LBB30_2599
.LBB30_2614:
	v_cmp_ne_u16_e32 vcc_lo, 0, v12
	s_and_not1_b32 s17, s17, exec_lo
	s_and_b32 s18, vcc_lo, exec_lo
	s_delay_alu instid0(SALU_CYCLE_1)
	s_or_b32 s17, s17, s18
	s_or_b32 exec_lo, exec_lo, s15
	v_mov_b64_e32 v[10:11], 0
	s_and_saveexec_b32 s15, s17
	s_cbranch_execnz .LBB30_2600
	s_branch .LBB30_2601
.LBB30_2615:
	s_mov_b32 s15, -1
                                        ; implicit-def: $vgpr10_vgpr11
	s_branch .LBB30_2620
.LBB30_2616:
	s_mov_b32 s15, -1
                                        ; implicit-def: $vgpr10_vgpr11
.LBB30_2617:
	s_delay_alu instid0(SALU_CYCLE_1)
	s_and_b32 vcc_lo, exec_lo, s15
	s_cbranch_vccz .LBB30_2619
; %bb.2618:
	s_wait_loadcnt 0x0
	global_load_u8 v10, v[8:9], off
	s_wait_loadcnt 0x0
	v_lshlrev_b32_e32 v10, 24, v10
	s_delay_alu instid0(VALU_DEP_1) | instskip(NEXT) | instid1(VALU_DEP_1)
	v_and_b32_e32 v11, 0x7f000000, v10
	v_clz_i32_u32_e32 v12, v11
	v_cmp_ne_u32_e32 vcc_lo, 0, v11
	v_add_nc_u32_e32 v14, 0x1000000, v11
	s_delay_alu instid0(VALU_DEP_3) | instskip(NEXT) | instid1(VALU_DEP_1)
	v_min_u32_e32 v12, 32, v12
	v_sub_nc_u32_e64 v12, v12, 4 clamp
	s_delay_alu instid0(VALU_DEP_1) | instskip(NEXT) | instid1(VALU_DEP_1)
	v_dual_lshlrev_b32 v13, v12, v11 :: v_dual_lshlrev_b32 v12, 23, v12
	v_lshrrev_b32_e32 v13, 4, v13
	s_delay_alu instid0(VALU_DEP_1) | instskip(NEXT) | instid1(VALU_DEP_1)
	v_dual_sub_nc_u32 v12, v13, v12 :: v_dual_ashrrev_i32 v13, 8, v14
	v_add_nc_u32_e32 v12, 0x3c000000, v12
	s_delay_alu instid0(VALU_DEP_1) | instskip(NEXT) | instid1(VALU_DEP_1)
	v_and_or_b32 v12, 0x7f800000, v13, v12
	v_cndmask_b32_e32 v11, 0, v12, vcc_lo
	s_delay_alu instid0(VALU_DEP_1) | instskip(NEXT) | instid1(VALU_DEP_1)
	v_and_or_b32 v10, 0x80000000, v10, v11
	v_trunc_f32_e32 v10, v10
	s_delay_alu instid0(VALU_DEP_1) | instskip(NEXT) | instid1(VALU_DEP_1)
	v_mul_f32_e64 v11, 0x2f800000, |v10|
	v_floor_f32_e32 v11, v11
	s_delay_alu instid0(VALU_DEP_1) | instskip(SKIP_2) | instid1(VALU_DEP_3)
	v_fma_f32 v12, 0xcf800000, v11, |v10|
	v_ashrrev_i32_e32 v10, 31, v10
	v_cvt_u32_f32_e32 v13, v11
	v_cvt_u32_f32_e32 v12, v12
	s_delay_alu instid0(VALU_DEP_2) | instskip(NEXT) | instid1(VALU_DEP_2)
	v_dual_mov_b32 v11, v10 :: v_dual_bitop2_b32 v13, v13, v10 bitop3:0x14
	v_xor_b32_e32 v12, v12, v10
	s_delay_alu instid0(VALU_DEP_1)
	v_sub_nc_u64_e32 v[10:11], v[12:13], v[10:11]
.LBB30_2619:
	s_mov_b32 s15, 0
.LBB30_2620:
	s_delay_alu instid0(SALU_CYCLE_1)
	s_and_not1_b32 vcc_lo, exec_lo, s15
	s_cbranch_vccnz .LBB30_2622
; %bb.2621:
	s_wait_loadcnt 0x0
	global_load_u8 v10, v[8:9], off
	s_wait_loadcnt 0x0
	v_lshlrev_b32_e32 v11, 25, v10
	v_lshlrev_b16 v10, 8, v10
	s_delay_alu instid0(VALU_DEP_1) | instskip(SKIP_1) | instid1(VALU_DEP_2)
	v_and_or_b32 v13, 0x7f00, v10, 0.5
	v_bfe_i32 v10, v10, 0, 16
	v_dual_add_f32 v13, -0.5, v13 :: v_dual_lshrrev_b32 v12, 4, v11
	v_cmp_gt_u32_e32 vcc_lo, 0x8000000, v11
	s_delay_alu instid0(VALU_DEP_2) | instskip(NEXT) | instid1(VALU_DEP_1)
	v_or_b32_e32 v12, 0x70000000, v12
	v_mul_f32_e32 v12, 0x7800000, v12
	s_delay_alu instid0(VALU_DEP_1) | instskip(NEXT) | instid1(VALU_DEP_1)
	v_cndmask_b32_e32 v11, v12, v13, vcc_lo
	v_and_or_b32 v10, 0x80000000, v10, v11
	s_delay_alu instid0(VALU_DEP_1) | instskip(NEXT) | instid1(VALU_DEP_1)
	v_trunc_f32_e32 v10, v10
	v_mul_f32_e64 v11, 0x2f800000, |v10|
	s_delay_alu instid0(VALU_DEP_1) | instskip(NEXT) | instid1(VALU_DEP_1)
	v_floor_f32_e32 v11, v11
	v_fma_f32 v12, 0xcf800000, v11, |v10|
	v_ashrrev_i32_e32 v10, 31, v10
	v_cvt_u32_f32_e32 v13, v11
	s_delay_alu instid0(VALU_DEP_3) | instskip(NEXT) | instid1(VALU_DEP_2)
	v_cvt_u32_f32_e32 v12, v12
	v_dual_mov_b32 v11, v10 :: v_dual_bitop2_b32 v13, v13, v10 bitop3:0x14
	s_delay_alu instid0(VALU_DEP_2) | instskip(NEXT) | instid1(VALU_DEP_1)
	v_xor_b32_e32 v12, v12, v10
	v_sub_nc_u64_e32 v[10:11], v[12:13], v[10:11]
.LBB30_2622:
	s_mov_b32 s16, 0
	s_mov_b32 s15, -1
.LBB30_2623:
	s_and_not1_b32 vcc_lo, exec_lo, s16
	s_mov_b32 s16, 0
	s_cbranch_vccnz .LBB30_2634
; %bb.2624:
	s_cmp_gt_i32 s13, 14
	s_cbranch_scc0 .LBB30_2627
; %bb.2625:
	s_cmp_eq_u32 s13, 15
	s_cbranch_scc0 .LBB30_2630
; %bb.2626:
	s_wait_loadcnt 0x0
	global_load_u16 v10, v[8:9], off
	s_mov_b32 s14, 0
	s_mov_b32 s15, -1
	s_wait_loadcnt 0x0
	v_lshlrev_b32_e32 v10, 16, v10
	s_delay_alu instid0(VALU_DEP_1) | instskip(NEXT) | instid1(VALU_DEP_1)
	v_trunc_f32_e32 v10, v10
	v_mul_f32_e64 v11, 0x2f800000, |v10|
	s_delay_alu instid0(VALU_DEP_1) | instskip(NEXT) | instid1(VALU_DEP_1)
	v_floor_f32_e32 v11, v11
	v_fma_f32 v12, 0xcf800000, v11, |v10|
	v_ashrrev_i32_e32 v10, 31, v10
	v_cvt_u32_f32_e32 v13, v11
	s_delay_alu instid0(VALU_DEP_3) | instskip(NEXT) | instid1(VALU_DEP_2)
	v_cvt_u32_f32_e32 v12, v12
	v_dual_mov_b32 v11, v10 :: v_dual_bitop2_b32 v13, v13, v10 bitop3:0x14
	s_delay_alu instid0(VALU_DEP_2) | instskip(NEXT) | instid1(VALU_DEP_1)
	v_xor_b32_e32 v12, v12, v10
	v_sub_nc_u64_e32 v[10:11], v[12:13], v[10:11]
	s_branch .LBB30_2632
.LBB30_2627:
	s_mov_b32 s16, -1
	s_branch .LBB30_2631
.LBB30_2628:
	s_and_not1_saveexec_b32 s15, s15
	s_cbranch_execz .LBB30_2609
.LBB30_2629:
	v_cmp_ne_u16_e32 vcc_lo, 0, v12
	s_and_not1_b32 s16, s16, exec_lo
	s_and_b32 s17, vcc_lo, exec_lo
	s_delay_alu instid0(SALU_CYCLE_1)
	s_or_b32 s16, s16, s17
	s_or_b32 exec_lo, exec_lo, s15
	v_mov_b64_e32 v[10:11], 0
	s_and_saveexec_b32 s15, s16
	s_cbranch_execnz .LBB30_2610
	s_branch .LBB30_2611
.LBB30_2630:
	s_mov_b32 s14, -1
.LBB30_2631:
                                        ; implicit-def: $vgpr10_vgpr11
.LBB30_2632:
	s_and_b32 vcc_lo, exec_lo, s16
	s_mov_b32 s16, 0
	s_cbranch_vccz .LBB30_2634
; %bb.2633:
	s_cmp_lg_u32 s13, 11
	s_mov_b32 s16, -1
	s_cselect_b32 s13, -1, 0
	s_and_not1_b32 s14, s14, exec_lo
	s_and_b32 s13, s13, exec_lo
	s_delay_alu instid0(SALU_CYCLE_1)
	s_or_b32 s14, s14, s13
.LBB30_2634:
	s_mov_b32 s13, 0
.LBB30_2635:
	s_delay_alu instid0(SALU_CYCLE_1)
	s_and_b32 s17, s13, exec_lo
	s_and_not1_b32 s13, s63, exec_lo
	s_and_b32 s18, s14, exec_lo
	s_and_b32 s15, s15, exec_lo
	;; [unrolled: 1-line block ×3, first 2 shown]
	s_or_b32 s63, s13, s18
	s_wait_xcnt 0x0
	s_or_b32 exec_lo, exec_lo, s12
	s_and_saveexec_b32 s12, s63
	s_cbranch_execz .LBB30_2568
.LBB30_2636:
	s_or_b32 s1, s1, exec_lo
	s_and_not1_b32 s14, s14, exec_lo
	s_trap 2
	s_or_b32 exec_lo, exec_lo, s12
	s_and_saveexec_b32 s12, s14
	s_delay_alu instid0(SALU_CYCLE_1)
	s_xor_b32 s12, exec_lo, s12
	s_cbranch_execnz .LBB30_2569
.LBB30_2637:
	s_or_b32 exec_lo, exec_lo, s12
	s_and_saveexec_b32 s12, s17
	s_cbranch_execz .LBB30_2683
.LBB30_2638:
	s_sext_i32_i16 s13, s0
	s_delay_alu instid0(SALU_CYCLE_1)
	s_cmp_lt_i32 s13, 5
	s_cbranch_scc1 .LBB30_2643
; %bb.2639:
	s_cmp_lt_i32 s13, 8
	s_cbranch_scc1 .LBB30_2644
; %bb.2640:
	;; [unrolled: 3-line block ×3, first 2 shown]
	s_cmp_gt_i32 s13, 9
	s_cbranch_scc0 .LBB30_2646
; %bb.2642:
	s_wait_loadcnt 0x0
	global_load_b64 v[10:11], v[8:9], off
	s_mov_b32 s13, 0
	s_wait_loadcnt 0x0
	v_trunc_f64_e32 v[10:11], v[10:11]
	s_delay_alu instid0(VALU_DEP_1) | instskip(NEXT) | instid1(VALU_DEP_1)
	v_ldexp_f64 v[12:13], v[10:11], 0xffffffe0
	v_floor_f64_e32 v[12:13], v[12:13]
	s_delay_alu instid0(VALU_DEP_1) | instskip(SKIP_1) | instid1(VALU_DEP_2)
	v_fmamk_f64 v[14:15], v[12:13], 0xc1f00000, v[10:11]
	v_cvt_i32_f64_e32 v11, v[12:13]
	v_cvt_u32_f64_e32 v10, v[14:15]
	s_branch .LBB30_2647
.LBB30_2643:
                                        ; implicit-def: $vgpr10_vgpr11
	s_branch .LBB30_2664
.LBB30_2644:
                                        ; implicit-def: $vgpr10_vgpr11
	s_branch .LBB30_2653
.LBB30_2645:
	s_mov_b32 s13, -1
                                        ; implicit-def: $vgpr10_vgpr11
	s_branch .LBB30_2650
.LBB30_2646:
	s_mov_b32 s13, -1
                                        ; implicit-def: $vgpr10_vgpr11
.LBB30_2647:
	s_delay_alu instid0(SALU_CYCLE_1)
	s_and_not1_b32 vcc_lo, exec_lo, s13
	s_cbranch_vccnz .LBB30_2649
; %bb.2648:
	s_wait_loadcnt 0x0
	global_load_b32 v10, v[8:9], off
	s_wait_loadcnt 0x0
	v_trunc_f32_e32 v10, v10
	s_delay_alu instid0(VALU_DEP_1) | instskip(NEXT) | instid1(VALU_DEP_1)
	v_mul_f32_e64 v11, 0x2f800000, |v10|
	v_floor_f32_e32 v11, v11
	s_delay_alu instid0(VALU_DEP_1) | instskip(SKIP_2) | instid1(VALU_DEP_3)
	v_fma_f32 v12, 0xcf800000, v11, |v10|
	v_ashrrev_i32_e32 v10, 31, v10
	v_cvt_u32_f32_e32 v13, v11
	v_cvt_u32_f32_e32 v12, v12
	s_delay_alu instid0(VALU_DEP_2) | instskip(NEXT) | instid1(VALU_DEP_2)
	v_dual_mov_b32 v11, v10 :: v_dual_bitop2_b32 v13, v13, v10 bitop3:0x14
	v_xor_b32_e32 v12, v12, v10
	s_delay_alu instid0(VALU_DEP_1)
	v_sub_nc_u64_e32 v[10:11], v[12:13], v[10:11]
.LBB30_2649:
	s_mov_b32 s13, 0
.LBB30_2650:
	s_delay_alu instid0(SALU_CYCLE_1)
	s_and_not1_b32 vcc_lo, exec_lo, s13
	s_cbranch_vccnz .LBB30_2652
; %bb.2651:
	s_wait_loadcnt 0x0
	global_load_b32 v10, v[8:9], off
	s_wait_loadcnt 0x0
	v_cvt_f32_f16_e32 v10, v10
	s_delay_alu instid0(VALU_DEP_1) | instskip(NEXT) | instid1(VALU_DEP_1)
	v_cvt_i32_f32_e32 v10, v10
	v_ashrrev_i32_e32 v11, 31, v10
.LBB30_2652:
	s_cbranch_execnz .LBB30_2663
.LBB30_2653:
	s_sext_i32_i16 s13, s0
	s_delay_alu instid0(SALU_CYCLE_1)
	s_cmp_lt_i32 s13, 6
	s_cbranch_scc1 .LBB30_2656
; %bb.2654:
	s_cmp_gt_i32 s13, 6
	s_cbranch_scc0 .LBB30_2657
; %bb.2655:
	s_wait_loadcnt 0x0
	global_load_b64 v[10:11], v[8:9], off
	s_mov_b32 s13, 0
	s_wait_loadcnt 0x0
	v_trunc_f64_e32 v[10:11], v[10:11]
	s_delay_alu instid0(VALU_DEP_1) | instskip(NEXT) | instid1(VALU_DEP_1)
	v_ldexp_f64 v[12:13], v[10:11], 0xffffffe0
	v_floor_f64_e32 v[12:13], v[12:13]
	s_delay_alu instid0(VALU_DEP_1) | instskip(SKIP_1) | instid1(VALU_DEP_2)
	v_fmamk_f64 v[14:15], v[12:13], 0xc1f00000, v[10:11]
	v_cvt_i32_f64_e32 v11, v[12:13]
	v_cvt_u32_f64_e32 v10, v[14:15]
	s_branch .LBB30_2658
.LBB30_2656:
	s_mov_b32 s13, -1
                                        ; implicit-def: $vgpr10_vgpr11
	s_branch .LBB30_2661
.LBB30_2657:
	s_mov_b32 s13, -1
                                        ; implicit-def: $vgpr10_vgpr11
.LBB30_2658:
	s_delay_alu instid0(SALU_CYCLE_1)
	s_and_not1_b32 vcc_lo, exec_lo, s13
	s_cbranch_vccnz .LBB30_2660
; %bb.2659:
	s_wait_loadcnt 0x0
	global_load_b32 v10, v[8:9], off
	s_wait_loadcnt 0x0
	v_trunc_f32_e32 v10, v10
	s_delay_alu instid0(VALU_DEP_1) | instskip(NEXT) | instid1(VALU_DEP_1)
	v_mul_f32_e64 v11, 0x2f800000, |v10|
	v_floor_f32_e32 v11, v11
	s_delay_alu instid0(VALU_DEP_1) | instskip(SKIP_2) | instid1(VALU_DEP_3)
	v_fma_f32 v12, 0xcf800000, v11, |v10|
	v_ashrrev_i32_e32 v10, 31, v10
	v_cvt_u32_f32_e32 v13, v11
	v_cvt_u32_f32_e32 v12, v12
	s_delay_alu instid0(VALU_DEP_2) | instskip(NEXT) | instid1(VALU_DEP_2)
	v_dual_mov_b32 v11, v10 :: v_dual_bitop2_b32 v13, v13, v10 bitop3:0x14
	v_xor_b32_e32 v12, v12, v10
	s_delay_alu instid0(VALU_DEP_1)
	v_sub_nc_u64_e32 v[10:11], v[12:13], v[10:11]
.LBB30_2660:
	s_mov_b32 s13, 0
.LBB30_2661:
	s_delay_alu instid0(SALU_CYCLE_1)
	s_and_not1_b32 vcc_lo, exec_lo, s13
	s_cbranch_vccnz .LBB30_2663
; %bb.2662:
	s_wait_loadcnt 0x0
	global_load_u16 v10, v[8:9], off
	s_wait_loadcnt 0x0
	v_cvt_f32_f16_e32 v10, v10
	s_delay_alu instid0(VALU_DEP_1) | instskip(NEXT) | instid1(VALU_DEP_1)
	v_cvt_i32_f32_e32 v10, v10
	v_ashrrev_i32_e32 v11, 31, v10
.LBB30_2663:
	s_cbranch_execnz .LBB30_2682
.LBB30_2664:
	s_sext_i32_i16 s13, s0
	s_delay_alu instid0(SALU_CYCLE_1)
	s_cmp_lt_i32 s13, 2
	s_cbranch_scc1 .LBB30_2668
; %bb.2665:
	s_cmp_lt_i32 s13, 3
	s_cbranch_scc1 .LBB30_2669
; %bb.2666:
	s_cmp_gt_i32 s13, 3
	s_cbranch_scc0 .LBB30_2670
; %bb.2667:
	s_wait_loadcnt 0x0
	global_load_b64 v[10:11], v[8:9], off
	s_mov_b32 s13, 0
	s_branch .LBB30_2671
.LBB30_2668:
                                        ; implicit-def: $vgpr10_vgpr11
	s_branch .LBB30_2677
.LBB30_2669:
	s_mov_b32 s13, -1
                                        ; implicit-def: $vgpr10_vgpr11
	s_branch .LBB30_2674
.LBB30_2670:
	s_mov_b32 s13, -1
                                        ; implicit-def: $vgpr10_vgpr11
.LBB30_2671:
	s_delay_alu instid0(SALU_CYCLE_1)
	s_and_not1_b32 vcc_lo, exec_lo, s13
	s_cbranch_vccnz .LBB30_2673
; %bb.2672:
	s_wait_loadcnt 0x0
	global_load_b32 v10, v[8:9], off
	s_wait_loadcnt 0x0
	v_ashrrev_i32_e32 v11, 31, v10
.LBB30_2673:
	s_mov_b32 s13, 0
.LBB30_2674:
	s_delay_alu instid0(SALU_CYCLE_1)
	s_and_not1_b32 vcc_lo, exec_lo, s13
	s_cbranch_vccnz .LBB30_2676
; %bb.2675:
	s_wait_loadcnt 0x0
	global_load_u16 v10, v[8:9], off
	s_wait_loadcnt 0x0
	v_bfe_i32 v10, v10, 0, 16
	s_delay_alu instid0(VALU_DEP_1)
	v_ashrrev_i32_e32 v11, 31, v10
.LBB30_2676:
	s_cbranch_execnz .LBB30_2682
.LBB30_2677:
	s_sext_i32_i16 s0, s0
	s_delay_alu instid0(SALU_CYCLE_1)
	s_cmp_gt_i32 s0, 0
	s_mov_b32 s0, 0
	s_cbranch_scc0 .LBB30_2679
; %bb.2678:
	s_wait_loadcnt 0x0
	global_load_i8 v10, v[8:9], off
	s_wait_loadcnt 0x0
	v_bfe_i32 v10, v10, 0, 16
	s_delay_alu instid0(VALU_DEP_1)
	v_ashrrev_i32_e32 v11, 31, v10
	s_branch .LBB30_2680
.LBB30_2679:
	s_mov_b32 s0, -1
                                        ; implicit-def: $vgpr10_vgpr11
.LBB30_2680:
	s_delay_alu instid0(SALU_CYCLE_1)
	s_and_not1_b32 vcc_lo, exec_lo, s0
	s_cbranch_vccnz .LBB30_2682
; %bb.2681:
	global_load_u8 v8, v[8:9], off
	s_mov_b32 s0, 0
	s_wait_loadcnt 0x1
	v_mov_b32_e32 v11, s0
	s_wait_loadcnt 0x0
	v_and_b32_e32 v10, 0xffff, v8
.LBB30_2682:
	s_or_b32 s15, s15, exec_lo
.LBB30_2683:
	s_wait_xcnt 0x0
	s_or_b32 exec_lo, exec_lo, s12
	s_mov_b32 s0, 0
	s_and_saveexec_b32 s12, s15
	s_delay_alu instid0(SALU_CYCLE_1)
	s_xor_b32 s12, exec_lo, s12
	s_cbranch_execz .LBB30_2685
; %bb.2684:
	s_wait_loadcnt 0x0
	v_cmp_ne_u64_e32 vcc_lo, s[4:5], v[0:1]
	s_xor_b32 s13, s52, -1
	s_and_not1_b32 s14, s62, exec_lo
	s_mov_b32 s0, exec_lo
	s_or_b32 s13, s13, vcc_lo
	s_delay_alu instid0(SALU_CYCLE_1) | instskip(NEXT) | instid1(SALU_CYCLE_1)
	s_and_b32 s13, s13, exec_lo
	s_or_b32 s62, s14, s13
.LBB30_2685:
	s_or_b32 exec_lo, exec_lo, s12
	s_and_saveexec_b32 s12, s62
	s_cbranch_execnz .LBB30_2722
.LBB30_2686:
	s_or_b32 exec_lo, exec_lo, s12
	s_mov_b32 s13, 0
	s_and_saveexec_b32 s12, s0
	s_delay_alu instid0(SALU_CYCLE_1)
	s_xor_b32 s0, exec_lo, s12
	s_cbranch_execz .LBB30_2688
; %bb.2687:
	s_wait_loadcnt 0x0
	v_cmp_ne_u64_e32 vcc_lo, s[8:9], v[2:3]
	s_xor_b32 s12, s51, -1
	s_and_not1_b32 s14, s61, exec_lo
	s_mov_b32 s13, exec_lo
	s_or_b32 s12, s12, vcc_lo
	s_delay_alu instid0(SALU_CYCLE_1) | instskip(NEXT) | instid1(SALU_CYCLE_1)
	s_and_b32 s12, s12, exec_lo
	s_or_b32 s61, s14, s12
.LBB30_2688:
	s_or_b32 exec_lo, exec_lo, s0
	s_and_saveexec_b32 s0, s61
	s_cbranch_execnz .LBB30_2723
.LBB30_2689:
	s_or_b32 exec_lo, exec_lo, s0
	s_mov_b32 s12, 0
	s_and_saveexec_b32 s0, s13
	s_delay_alu instid0(SALU_CYCLE_1)
	s_xor_b32 s13, exec_lo, s0
	s_cbranch_execz .LBB30_2701
; %bb.2690:
	s_wait_loadcnt 0x0
	v_sub_nc_u64_e32 v[0:1], v[6:7], v[4:5]
	s_mov_b32 s12, exec_lo
	s_delay_alu instid0(VALU_DEP_1) | instskip(SKIP_3) | instid1(SALU_CYCLE_1)
	v_cmp_le_i64_e32 vcc_lo, s[4:5], v[0:1]
	v_cmp_ge_i64_e64 s0, s[6:7], v[0:1]
	s_and_not1_b32 s4, s60, exec_lo
	s_and_b32 s0, vcc_lo, s0
	s_and_b32 s0, s50, s0
	s_delay_alu instid0(SALU_CYCLE_1) | instskip(NEXT) | instid1(SALU_CYCLE_1)
	s_xor_b32 s0, s0, -1
	s_and_b32 s0, s0, exec_lo
	s_delay_alu instid0(SALU_CYCLE_1)
	s_or_b32 s60, s4, s0
	s_or_b32 exec_lo, exec_lo, s13
	s_and_saveexec_b32 s0, s60
	s_cbranch_execz .LBB30_2702
.LBB30_2691:
	s_or_b32 s1, s1, exec_lo
	s_and_not1_b32 s12, s12, exec_lo
	s_trap 2
	s_or_b32 exec_lo, exec_lo, s0
	s_mov_b32 s5, 0
	s_and_saveexec_b32 s16, s12
	s_cbranch_execnz .LBB30_2703
.LBB30_2692:
	s_or_b32 exec_lo, exec_lo, s16
	s_and_saveexec_b32 s0, s59
	s_cbranch_execnz .LBB30_2721
.LBB30_2693:
	s_or_b32 exec_lo, exec_lo, s0
	s_mov_b32 s7, 0
	s_mov_b32 s6, 0
                                        ; implicit-def: $sgpr0
                                        ; implicit-def: $vgpr0_vgpr1
	s_and_saveexec_b32 s4, s5
	s_cbranch_execz .LBB30_2710
; %bb.2694:
	s_wait_loadcnt 0x0
	v_mul_lo_u32 v0, s33, v26
	s_and_b32 s0, s22, 0xff
	s_delay_alu instid0(SALU_CYCLE_1) | instskip(NEXT) | instid1(VALU_DEP_1)
	s_cmp_lt_i32 s0, 11
	v_ashrrev_i32_e32 v1, 31, v0
	s_delay_alu instid0(VALU_DEP_1)
	v_add_nc_u64_e32 v[0:1], s[2:3], v[0:1]
	s_cbranch_scc1 .LBB30_2718
; %bb.2695:
	s_and_b32 s6, 0xffff, s0
	s_mov_b32 s7, -1
	s_cmp_gt_i32 s6, 25
	s_mov_b32 s5, s56
	s_cbranch_scc0 .LBB30_2743
; %bb.2696:
	s_cmp_gt_i32 s6, 28
	s_mov_b32 s5, s56
	s_cbranch_scc0 .LBB30_2733
; %bb.2697:
	;; [unrolled: 4-line block ×4, first 2 shown]
	s_cmp_eq_u32 s6, 46
	s_mov_b32 s5, -1
	s_cbranch_scc0 .LBB30_2724
; %bb.2700:
	v_mov_b32_e32 v2, 0
	s_mov_b32 s5, 0
	s_mov_b32 s7, 0
	global_store_b32 v[0:1], v2, off
	s_branch .LBB30_2725
.LBB30_2701:
	s_or_b32 exec_lo, exec_lo, s13
	s_and_saveexec_b32 s0, s60
	s_cbranch_execnz .LBB30_2691
.LBB30_2702:
	s_or_b32 exec_lo, exec_lo, s0
	s_mov_b32 s5, 0
	s_and_saveexec_b32 s16, s12
	s_cbranch_execz .LBB30_2692
.LBB30_2703:
	v_cmp_lt_i64_e64 s0, s[8:9], 1
	s_wait_loadcnt 0x0
	v_mov_b64_e32 v[0:1], 0
	s_xor_b32 s4, s37, -1
	s_delay_alu instid0(SALU_CYCLE_1) | instskip(NEXT) | instid1(SALU_CYCLE_1)
	s_or_b32 s0, s0, s4
	s_and_b32 vcc_lo, exec_lo, s0
	s_cbranch_vccnz .LBB30_2713
; %bb.2704:
	v_mul_u64_e32 v[8:9], s[8:9], v[10:11]
	s_mov_b32 s31, 0
	v_mov_b64_e32 v[0:1], 0
	s_lshl_b64 s[6:7], s[30:31], 3
	v_mov_b32_e32 v2, 0
	s_add_nc_u64 s[6:7], s[28:29], s[6:7]
	s_mov_b64 s[4:5], 0xffffffff
	s_add_nc_u64 s[6:7], s[6:7], 0x68
	s_branch .LBB30_2706
.LBB30_2705:                            ;   in Loop: Header=BB30_2706 Depth=1
	s_or_b32 exec_lo, exec_lo, s0
	s_delay_alu instid0(VALU_DEP_1)
	v_mul_u64_e32 v[12:13], s[8:9], v[10:11]
	s_load_b64 s[8:9], s[6:7], 0x40
	s_add_co_i32 s10, s10, -1
	s_wait_xcnt 0x0
	s_add_nc_u64 s[6:7], s[6:7], -8
	s_cmp_lg_u32 s10, 0
	s_delay_alu instid0(VALU_DEP_1) | instskip(SKIP_1) | instid1(VALU_DEP_1)
	v_sub_nc_u64_e32 v[8:9], v[8:9], v[12:13]
	s_wait_kmcnt 0x0
	v_mad_nc_u64_u32 v[0:1], v8, s8, v[0:1]
	s_delay_alu instid0(VALU_DEP_1) | instskip(NEXT) | instid1(VALU_DEP_1)
	v_mad_u32 v1, v9, s8, v1
	v_mad_u32 v1, v8, s9, v1
	v_mov_b64_e32 v[8:9], v[10:11]
	s_cbranch_scc0 .LBB30_2713
.LBB30_2706:                            ; =>This Inner Loop Header: Depth=1
	s_load_b64 s[8:9], s[6:7], 0x0
                                        ; implicit-def: $vgpr10_vgpr11
	s_mov_b32 s0, exec_lo
	s_wait_kmcnt 0x0
	s_delay_alu instid0(VALU_DEP_1) | instskip(NEXT) | instid1(VALU_DEP_1)
	v_or_b32_e32 v3, s9, v9
	v_cmpx_ne_u64_e32 0, v[2:3]
	s_xor_b32 s17, exec_lo, s0
	s_cbranch_execz .LBB30_2708
; %bb.2707:                             ;   in Loop: Header=BB30_2706 Depth=1
	s_ashr_i32 s12, s9, 31
	v_dual_mov_b32 v15, v2 :: v_dual_ashrrev_i32 v10, 31, v9
	s_mov_b32 s13, s12
	v_mov_b32_e32 v23, v2
	s_add_nc_u64 s[14:15], s[8:9], s[12:13]
	s_delay_alu instid0(VALU_DEP_2) | instskip(SKIP_1) | instid1(SALU_CYCLE_1)
	v_mov_b32_e32 v11, v10
	s_xor_b64 s[14:15], s[14:15], s[12:13]
	s_cvt_f32_u32 s0, s14
	s_cvt_f32_u32 s13, s15
	s_sub_nc_u64 s[24:25], 0, s[14:15]
	v_add_nc_u64_e32 v[12:13], v[8:9], v[10:11]
	v_mov_b32_e32 v19, v2
	s_fmamk_f32 s0, s13, 0x4f800000, s0
	s_delay_alu instid0(SALU_CYCLE_3) | instskip(NEXT) | instid1(VALU_DEP_2)
	v_s_rcp_f32 s0, s0
	v_xor_b32_e32 v14, v12, v10
	s_delay_alu instid0(VALU_DEP_3) | instskip(NEXT) | instid1(TRANS32_DEP_1)
	v_xor_b32_e32 v18, v13, v10
	s_mul_f32 s0, s0, 0x5f7ffffc
	s_delay_alu instid0(SALU_CYCLE_3) | instskip(NEXT) | instid1(SALU_CYCLE_3)
	s_mul_f32 s13, s0, 0x2f800000
	s_trunc_f32 s13, s13
	s_delay_alu instid0(SALU_CYCLE_3) | instskip(SKIP_1) | instid1(SALU_CYCLE_2)
	s_fmamk_f32 s0, s13, 0xcf800000, s0
	s_cvt_u32_f32 s19, s13
	s_cvt_u32_f32 s18, s0
	s_delay_alu instid0(SALU_CYCLE_3) | instskip(NEXT) | instid1(SALU_CYCLE_1)
	s_mul_u64 s[26:27], s[24:25], s[18:19]
	s_mul_hi_u32 s35, s18, s27
	s_mul_i32 s34, s18, s27
	s_mul_hi_u32 s30, s18, s26
	s_mul_i32 s13, s19, s26
	s_add_nc_u64 s[34:35], s[30:31], s[34:35]
	s_mul_hi_u32 s0, s19, s26
	s_mul_hi_u32 s23, s19, s27
	s_add_co_u32 s13, s34, s13
	s_add_co_ci_u32 s30, s35, s0
	s_mul_i32 s26, s19, s27
	s_add_co_ci_u32 s27, s23, 0
	s_delay_alu instid0(SALU_CYCLE_1) | instskip(NEXT) | instid1(SALU_CYCLE_1)
	s_add_nc_u64 s[26:27], s[30:31], s[26:27]
	s_add_co_u32 s18, s18, s26
	s_cselect_b32 s0, -1, 0
	s_delay_alu instid0(SALU_CYCLE_1) | instskip(SKIP_1) | instid1(SALU_CYCLE_1)
	s_cmp_lg_u32 s0, 0
	s_add_co_ci_u32 s19, s19, s27
	s_mul_u64 s[24:25], s[24:25], s[18:19]
	s_delay_alu instid0(SALU_CYCLE_1)
	s_mul_hi_u32 s27, s18, s25
	s_mul_i32 s26, s18, s25
	s_mul_hi_u32 s30, s18, s24
	s_mul_i32 s13, s19, s24
	s_add_nc_u64 s[26:27], s[30:31], s[26:27]
	s_mul_hi_u32 s0, s19, s24
	s_mul_hi_u32 s23, s19, s25
	s_add_co_u32 s13, s26, s13
	s_add_co_ci_u32 s30, s27, s0
	s_mul_i32 s24, s19, s25
	s_add_co_ci_u32 s25, s23, 0
	s_delay_alu instid0(SALU_CYCLE_1) | instskip(NEXT) | instid1(SALU_CYCLE_1)
	s_add_nc_u64 s[24:25], s[30:31], s[24:25]
	s_add_co_u32 s0, s18, s24
	s_cselect_b32 s13, -1, 0
	v_mul_hi_u32 v22, v14, s0
	s_cmp_lg_u32 s13, 0
	s_add_co_ci_u32 s30, s19, s25
	s_and_b64 s[18:19], s[0:1], s[4:5]
	v_mul_u64_e32 v[16:17], s[30:31], v[14:15]
	v_mul_u64_e32 v[12:13], s[18:19], v[18:19]
	;; [unrolled: 1-line block ×3, first 2 shown]
	s_delay_alu instid0(VALU_DEP_3) | instskip(NEXT) | instid1(VALU_DEP_1)
	v_add_nc_u64_e32 v[16:17], v[22:23], v[16:17]
	v_add_co_u32 v3, vcc_lo, v16, v12
	s_delay_alu instid0(VALU_DEP_2) | instskip(NEXT) | instid1(VALU_DEP_4)
	v_add_co_ci_u32_e32 v22, vcc_lo, v17, v13, vcc_lo
	v_add_co_ci_u32_e32 v21, vcc_lo, 0, v21, vcc_lo
	s_delay_alu instid0(VALU_DEP_1) | instskip(NEXT) | instid1(VALU_DEP_1)
	v_add_nc_u64_e32 v[12:13], v[22:23], v[20:21]
	v_mul_u64_e32 v[16:17], s[14:15], v[12:13]
	s_delay_alu instid0(VALU_DEP_1) | instskip(NEXT) | instid1(VALU_DEP_2)
	v_sub_nc_u32_e32 v3, v18, v17
	v_sub_co_u32 v11, vcc_lo, v14, v16
	s_delay_alu instid0(VALU_DEP_1) | instskip(NEXT) | instid1(VALU_DEP_3)
	v_sub_co_ci_u32_e64 v18, null, v18, v17, vcc_lo
	v_subrev_co_ci_u32_e64 v3, null, s15, v3, vcc_lo
	s_delay_alu instid0(VALU_DEP_3) | instskip(SKIP_1) | instid1(VALU_DEP_3)
	v_sub_co_u32 v14, s0, v11, s14
	v_add_nc_u64_e32 v[16:17], 1, v[12:13]
	v_subrev_co_ci_u32_e64 v3, null, 0, v3, s0
	s_delay_alu instid0(VALU_DEP_3) | instskip(SKIP_1) | instid1(VALU_DEP_3)
	v_cmp_le_u32_e32 vcc_lo, s14, v14
	v_cndmask_b32_e64 v14, 0, -1, vcc_lo
	v_cmp_le_u32_e32 vcc_lo, s15, v3
	v_cndmask_b32_e64 v15, 0, -1, vcc_lo
	;; [unrolled: 2-line block ×4, first 2 shown]
	v_cmp_eq_u32_e32 vcc_lo, s15, v3
	v_cndmask_b32_e32 v3, v15, v14, vcc_lo
	v_cmp_eq_u32_e32 vcc_lo, s15, v18
	v_add_nc_u64_e32 v[14:15], 2, v[12:13]
	v_cndmask_b32_e32 v11, v19, v11, vcc_lo
	s_delay_alu instid0(VALU_DEP_4) | instskip(NEXT) | instid1(VALU_DEP_2)
	v_cmp_ne_u32_e32 vcc_lo, 0, v3
	v_cmp_ne_u32_e64 s0, 0, v11
	s_delay_alu instid0(VALU_DEP_4) | instskip(NEXT) | instid1(VALU_DEP_1)
	v_dual_cndmask_b32 v3, v17, v15, vcc_lo :: v_dual_cndmask_b32 v11, v16, v14, vcc_lo
	v_dual_cndmask_b32 v3, v13, v3, s0 :: v_dual_bitop2_b32 v10, s12, v10 bitop3:0x14
	s_delay_alu instid0(VALU_DEP_1) | instskip(NEXT) | instid1(VALU_DEP_2)
	v_dual_cndmask_b32 v12, v12, v11, s0 :: v_dual_mov_b32 v11, v10
	v_xor_b32_e32 v13, v3, v10
	s_delay_alu instid0(VALU_DEP_2) | instskip(NEXT) | instid1(VALU_DEP_1)
	v_xor_b32_e32 v12, v12, v10
	v_sub_nc_u64_e32 v[10:11], v[12:13], v[10:11]
.LBB30_2708:                            ;   in Loop: Header=BB30_2706 Depth=1
	s_and_not1_saveexec_b32 s0, s17
	s_cbranch_execz .LBB30_2705
; %bb.2709:                             ;   in Loop: Header=BB30_2706 Depth=1
	v_cvt_f32_u32_e32 v3, s8
	s_sub_co_i32 s12, 0, s8
	s_delay_alu instid0(VALU_DEP_1) | instskip(SKIP_1) | instid1(TRANS32_DEP_1)
	v_rcp_iflag_f32_e32 v3, v3
	v_nop
	v_mul_f32_e32 v3, 0x4f7ffffe, v3
	s_delay_alu instid0(VALU_DEP_1) | instskip(NEXT) | instid1(VALU_DEP_1)
	v_cvt_u32_f32_e32 v3, v3
	v_mul_lo_u32 v10, s12, v3
	s_delay_alu instid0(VALU_DEP_1) | instskip(NEXT) | instid1(VALU_DEP_1)
	v_mul_hi_u32 v10, v3, v10
	v_add_nc_u32_e32 v3, v3, v10
	s_delay_alu instid0(VALU_DEP_1) | instskip(NEXT) | instid1(VALU_DEP_1)
	v_mul_hi_u32 v3, v8, v3
	v_mul_lo_u32 v10, v3, s8
	s_delay_alu instid0(VALU_DEP_1) | instskip(NEXT) | instid1(VALU_DEP_1)
	v_dual_add_nc_u32 v11, 1, v3 :: v_dual_sub_nc_u32 v10, v8, v10
	v_subrev_nc_u32_e32 v12, s8, v10
	v_cmp_le_u32_e32 vcc_lo, s8, v10
	s_delay_alu instid0(VALU_DEP_2) | instskip(NEXT) | instid1(VALU_DEP_1)
	v_dual_cndmask_b32 v10, v10, v12 :: v_dual_cndmask_b32 v3, v3, v11
	v_cmp_le_u32_e32 vcc_lo, s8, v10
	s_delay_alu instid0(VALU_DEP_2) | instskip(NEXT) | instid1(VALU_DEP_1)
	v_add_nc_u32_e32 v11, 1, v3
	v_dual_cndmask_b32 v10, v3, v11 :: v_dual_mov_b32 v11, v2
	s_branch .LBB30_2705
.LBB30_2710:
	s_or_b32 exec_lo, exec_lo, s4
	s_and_saveexec_b32 s4, s56
	s_cbranch_execnz .LBB30_2763
.LBB30_2711:
	s_or_b32 exec_lo, exec_lo, s4
	s_and_saveexec_b32 s4, s7
	s_delay_alu instid0(SALU_CYCLE_1)
	s_xor_b32 s4, exec_lo, s4
	s_cbranch_execz .LBB30_2764
.LBB30_2712:
	s_wait_loadcnt 0x0
	v_mov_b32_e32 v2, 0
	global_store_b8 v[0:1], v2, off
	s_wait_xcnt 0x0
	s_or_b32 exec_lo, exec_lo, s4
	s_and_saveexec_b32 s4, s6
	s_delay_alu instid0(SALU_CYCLE_1)
	s_xor_b32 s4, exec_lo, s4
	s_cbranch_execz .LBB30_2802
	s_branch .LBB30_2765
.LBB30_2713:
	s_mov_b32 s4, s59
	s_mov_b32 s0, exec_lo
	v_cmpx_gt_i64_e64 v[6:7], v[4:5]
	s_cbranch_execz .LBB30_2720
; %bb.2714:
	s_delay_alu instid0(VALU_DEP_2) | instskip(SKIP_2) | instid1(VALU_DEP_1)
	v_lshlrev_b64_e32 v[0:1], 3, v[0:1]
	s_mov_b32 s4, 0
	s_xor_b32 s6, s11, -1
                                        ; implicit-def: $sgpr5
                                        ; implicit-def: $sgpr8
                                        ; implicit-def: $sgpr7
	v_lshl_add_u64 v[2:3], v[4:5], 3, v[0:1]
	v_add_nc_u64_e32 v[4:5], s[20:21], v[0:1]
	s_delay_alu instid0(VALU_DEP_2) | instskip(NEXT) | instid1(VALU_DEP_1)
	v_add_nc_u64_e32 v[2:3], s[20:21], v[2:3]
	v_add_nc_u64_e32 v[0:1], 8, v[2:3]
	s_delay_alu instid0(VALU_DEP_3)
	v_lshl_add_u64 v[2:3], v[6:7], 3, v[4:5]
	s_branch .LBB30_2716
.LBB30_2715:                            ;   in Loop: Header=BB30_2716 Depth=1
	s_or_b32 exec_lo, exec_lo, s9
	s_xor_b32 s9, s7, -1
	s_and_b32 s10, exec_lo, s8
	s_delay_alu instid0(SALU_CYCLE_1) | instskip(SKIP_2) | instid1(SALU_CYCLE_1)
	s_or_b32 s4, s10, s4
	s_and_not1_b32 s5, s5, exec_lo
	s_and_b32 s9, s9, exec_lo
	s_or_b32 s5, s5, s9
	s_and_not1_b32 exec_lo, exec_lo, s4
	s_cbranch_execz .LBB30_2719
.LBB30_2716:                            ; =>This Inner Loop Header: Depth=1
	s_or_b32 s7, s7, exec_lo
	s_or_b32 s8, s8, exec_lo
	s_mov_b32 s9, exec_lo
	s_delay_alu instid0(VALU_DEP_2)
	v_cmpx_lt_u64_e64 v[0:1], v[2:3]
	s_cbranch_execz .LBB30_2715
; %bb.2717:                             ;   in Loop: Header=BB30_2716 Depth=1
	global_load_b128 v[4:7], v[0:1], off offset:-8
	s_wait_xcnt 0x0
	v_add_nc_u64_e32 v[0:1], 8, v[0:1]
	s_and_not1_b32 s8, s8, exec_lo
	s_and_not1_b32 s7, s7, exec_lo
	s_wait_loadcnt 0x0
	v_cmp_ge_i64_e32 vcc_lo, v[4:5], v[6:7]
	s_or_b32 s10, s6, vcc_lo
	s_delay_alu instid0(SALU_CYCLE_1) | instskip(NEXT) | instid1(SALU_CYCLE_1)
	s_and_b32 s10, s10, exec_lo
	s_or_b32 s8, s8, s10
	s_branch .LBB30_2715
.LBB30_2718:
	s_mov_b32 s8, 0
	s_mov_b32 s7, -1
	s_mov_b32 s5, s56
	s_branch .LBB30_2762
.LBB30_2719:
	s_or_b32 exec_lo, exec_lo, s4
	s_delay_alu instid0(SALU_CYCLE_1) | instskip(SKIP_1) | instid1(SALU_CYCLE_1)
	s_and_not1_b32 s4, s59, exec_lo
	s_and_b32 s5, s5, exec_lo
	s_or_b32 s4, s4, s5
.LBB30_2720:
	s_or_b32 exec_lo, exec_lo, s0
	s_delay_alu instid0(SALU_CYCLE_1)
	s_and_not1_b32 s0, s59, exec_lo
	s_and_b32 s4, s4, exec_lo
	s_mov_b32 s5, exec_lo
	s_or_b32 s59, s0, s4
	s_or_b32 exec_lo, exec_lo, s16
	s_and_saveexec_b32 s0, s59
	s_cbranch_execz .LBB30_2693
.LBB30_2721:
	s_or_b32 s1, s1, exec_lo
	s_and_not1_b32 s5, s5, exec_lo
	s_trap 2
	s_branch .LBB30_2693
.LBB30_2722:
	s_or_b32 s1, s1, exec_lo
	s_and_not1_b32 s0, s0, exec_lo
	s_trap 2
	s_branch .LBB30_2686
.LBB30_2723:
	s_or_b32 s1, s1, exec_lo
	s_and_not1_b32 s13, s13, exec_lo
	s_trap 2
	s_branch .LBB30_2689
.LBB30_2724:
	s_mov_b32 s7, 0
.LBB30_2725:
	s_delay_alu instid0(SALU_CYCLE_1)
	s_and_b32 vcc_lo, exec_lo, s7
	s_cbranch_vccz .LBB30_2728
; %bb.2726:
	s_cmp_eq_u32 s6, 44
	s_mov_b32 s5, -1
	s_cbranch_scc0 .LBB30_2728
; %bb.2727:
	s_wait_xcnt 0x0
	v_mov_b32_e32 v2, 0
	s_mov_b32 s5, 0
	s_mov_b32 s7, 0
	global_store_b8 v[0:1], v2, off
	s_branch .LBB30_2729
.LBB30_2728:
	s_mov_b32 s7, 0
.LBB30_2729:
	s_delay_alu instid0(SALU_CYCLE_1)
	s_and_b32 vcc_lo, exec_lo, s7
	s_cbranch_vccz .LBB30_2732
; %bb.2730:
	s_cmp_eq_u32 s6, 29
	s_mov_b32 s5, -1
	s_cbranch_scc0 .LBB30_2732
; %bb.2731:
	s_wait_xcnt 0x0
	v_mov_b64_e32 v[2:3], 0
	s_mov_b32 s5, 0
	s_mov_b32 s7, 0
	global_store_b64 v[0:1], v[2:3], off
	s_branch .LBB30_2733
.LBB30_2732:
	s_mov_b32 s7, 0
.LBB30_2733:
	s_delay_alu instid0(SALU_CYCLE_1)
	s_and_b32 vcc_lo, exec_lo, s7
	s_cbranch_vccz .LBB30_2742
; %bb.2734:
	s_cmp_lt_i32 s6, 27
	s_mov_b32 s7, -1
	s_cbranch_scc1 .LBB30_2740
; %bb.2735:
	s_cmp_gt_i32 s6, 27
	s_cbranch_scc0 .LBB30_2737
; %bb.2736:
	s_wait_xcnt 0x0
	v_mov_b32_e32 v2, 0
	s_mov_b32 s7, 0
	global_store_b32 v[0:1], v2, off
.LBB30_2737:
	s_and_not1_b32 vcc_lo, exec_lo, s7
	s_cbranch_vccnz .LBB30_2739
; %bb.2738:
	s_wait_xcnt 0x0
	v_mov_b32_e32 v2, 0
	global_store_b16 v[0:1], v2, off
.LBB30_2739:
	s_mov_b32 s7, 0
.LBB30_2740:
	s_delay_alu instid0(SALU_CYCLE_1)
	s_and_not1_b32 vcc_lo, exec_lo, s7
	s_cbranch_vccnz .LBB30_2742
; %bb.2741:
	s_wait_xcnt 0x0
	v_mov_b32_e32 v2, 0
	global_store_b8 v[0:1], v2, off
.LBB30_2742:
	s_mov_b32 s7, 0
.LBB30_2743:
	s_delay_alu instid0(SALU_CYCLE_1)
	s_and_b32 vcc_lo, exec_lo, s7
	s_mov_b32 s7, 0
	s_cbranch_vccz .LBB30_2761
; %bb.2744:
	s_cmp_gt_i32 s6, 22
	s_mov_b32 s8, -1
	s_cbranch_scc0 .LBB30_2754
; %bb.2745:
	s_cmp_lt_i32 s6, 24
	s_cbranch_scc1 .LBB30_2751
; %bb.2746:
	s_cmp_gt_i32 s6, 24
	s_cbranch_scc0 .LBB30_2748
; %bb.2747:
	s_wait_xcnt 0x0
	v_mov_b32_e32 v2, 0
	s_mov_b32 s8, 0
	global_store_b8 v[0:1], v2, off
.LBB30_2748:
	s_and_not1_b32 vcc_lo, exec_lo, s8
	s_cbranch_vccnz .LBB30_2750
; %bb.2749:
	s_wait_xcnt 0x0
	v_mov_b32_e32 v2, 0
	global_store_b8 v[0:1], v2, off
.LBB30_2750:
	s_mov_b32 s8, 0
.LBB30_2751:
	s_delay_alu instid0(SALU_CYCLE_1)
	s_and_not1_b32 vcc_lo, exec_lo, s8
	s_cbranch_vccnz .LBB30_2753
; %bb.2752:
	s_wait_xcnt 0x0
	v_mov_b32_e32 v2, 0
	global_store_b8 v[0:1], v2, off
.LBB30_2753:
	s_mov_b32 s8, 0
.LBB30_2754:
	s_delay_alu instid0(SALU_CYCLE_1)
	s_and_not1_b32 vcc_lo, exec_lo, s8
	s_mov_b32 s8, 0
	s_cbranch_vccnz .LBB30_2762
; %bb.2755:
	s_cmp_gt_i32 s6, 14
	s_mov_b32 s8, -1
	s_cbranch_scc0 .LBB30_2759
; %bb.2756:
	s_cmp_eq_u32 s6, 15
	s_mov_b32 s5, -1
	s_cbranch_scc0 .LBB30_2758
; %bb.2757:
	s_wait_xcnt 0x0
	v_mov_b32_e32 v2, 0
	s_mov_b32 s5, 0
	global_store_b16 v[0:1], v2, off
.LBB30_2758:
	s_mov_b32 s8, 0
.LBB30_2759:
	s_delay_alu instid0(SALU_CYCLE_1)
	s_and_b32 vcc_lo, exec_lo, s8
	s_mov_b32 s8, 0
	s_cbranch_vccz .LBB30_2762
; %bb.2760:
	s_cmp_lg_u32 s6, 11
	s_mov_b32 s8, -1
	s_cselect_b32 s6, -1, 0
	s_and_not1_b32 s5, s5, exec_lo
	s_and_b32 s6, s6, exec_lo
	s_delay_alu instid0(SALU_CYCLE_1)
	s_or_b32 s5, s5, s6
	s_branch .LBB30_2762
.LBB30_2761:
	s_mov_b32 s8, 0
.LBB30_2762:
	s_and_not1_b32 s9, s56, exec_lo
	s_and_b32 s5, s5, exec_lo
	s_and_b32 s6, s7, exec_lo
	;; [unrolled: 1-line block ×3, first 2 shown]
	s_or_b32 s56, s9, s5
	s_wait_xcnt 0x0
	s_or_b32 exec_lo, exec_lo, s4
	s_and_saveexec_b32 s4, s56
	s_cbranch_execz .LBB30_2711
.LBB30_2763:
	s_or_b32 s1, s1, exec_lo
	s_and_not1_b32 s7, s7, exec_lo
	s_trap 2
	s_or_b32 exec_lo, exec_lo, s4
	s_and_saveexec_b32 s4, s7
	s_delay_alu instid0(SALU_CYCLE_1)
	s_xor_b32 s4, exec_lo, s4
	s_cbranch_execnz .LBB30_2712
.LBB30_2764:
	s_or_b32 exec_lo, exec_lo, s4
	s_and_saveexec_b32 s4, s6
	s_delay_alu instid0(SALU_CYCLE_1)
	s_xor_b32 s4, exec_lo, s4
	s_cbranch_execz .LBB30_2802
.LBB30_2765:
	s_sext_i32_i16 s6, s0
	s_mov_b32 s5, -1
	s_cmp_lt_i32 s6, 5
	s_cbranch_scc1 .LBB30_2786
; %bb.2766:
	s_cmp_lt_i32 s6, 8
	s_cbranch_scc1 .LBB30_2776
; %bb.2767:
	;; [unrolled: 3-line block ×3, first 2 shown]
	s_cmp_gt_i32 s6, 9
	s_cbranch_scc0 .LBB30_2770
; %bb.2769:
	s_wait_loadcnt 0x0
	v_mov_b32_e32 v2, 0
	s_mov_b32 s5, 0
	s_delay_alu instid0(VALU_DEP_1)
	v_dual_mov_b32 v3, v2 :: v_dual_mov_b32 v4, v2
	v_mov_b32_e32 v5, v2
	global_store_b128 v[0:1], v[2:5], off
.LBB30_2770:
	s_and_not1_b32 vcc_lo, exec_lo, s5
	s_cbranch_vccnz .LBB30_2772
; %bb.2771:
	s_wait_loadcnt 0x0
	v_mov_b64_e32 v[2:3], 0
	global_store_b64 v[0:1], v[2:3], off
.LBB30_2772:
	s_mov_b32 s5, 0
.LBB30_2773:
	s_delay_alu instid0(SALU_CYCLE_1)
	s_and_not1_b32 vcc_lo, exec_lo, s5
	s_cbranch_vccnz .LBB30_2775
; %bb.2774:
	s_wait_loadcnt 0x0
	v_mov_b32_e32 v2, 0
	global_store_b32 v[0:1], v2, off
.LBB30_2775:
	s_mov_b32 s5, 0
.LBB30_2776:
	s_delay_alu instid0(SALU_CYCLE_1)
	s_and_not1_b32 vcc_lo, exec_lo, s5
	s_cbranch_vccnz .LBB30_2785
; %bb.2777:
	s_sext_i32_i16 s6, s0
	s_mov_b32 s5, -1
	s_cmp_lt_i32 s6, 6
	s_cbranch_scc1 .LBB30_2783
; %bb.2778:
	s_cmp_gt_i32 s6, 6
	s_cbranch_scc0 .LBB30_2780
; %bb.2779:
	s_wait_loadcnt 0x0
	v_mov_b64_e32 v[2:3], 0
	s_mov_b32 s5, 0
	global_store_b64 v[0:1], v[2:3], off
.LBB30_2780:
	s_and_not1_b32 vcc_lo, exec_lo, s5
	s_cbranch_vccnz .LBB30_2782
; %bb.2781:
	s_wait_loadcnt 0x0
	v_mov_b32_e32 v2, 0
	global_store_b32 v[0:1], v2, off
.LBB30_2782:
	s_mov_b32 s5, 0
.LBB30_2783:
	s_delay_alu instid0(SALU_CYCLE_1)
	s_and_not1_b32 vcc_lo, exec_lo, s5
	s_cbranch_vccnz .LBB30_2785
; %bb.2784:
	s_wait_loadcnt 0x0
	v_mov_b32_e32 v2, 0
	global_store_b16 v[0:1], v2, off
.LBB30_2785:
	s_mov_b32 s5, 0
.LBB30_2786:
	s_delay_alu instid0(SALU_CYCLE_1)
	s_and_not1_b32 vcc_lo, exec_lo, s5
	s_cbranch_vccnz .LBB30_2802
; %bb.2787:
	s_sext_i32_i16 s6, s0
	s_mov_b32 s5, -1
	s_cmp_lt_i32 s6, 2
	s_cbranch_scc1 .LBB30_2797
; %bb.2788:
	s_cmp_lt_i32 s6, 3
	s_cbranch_scc1 .LBB30_2794
; %bb.2789:
	s_cmp_gt_i32 s6, 3
	s_cbranch_scc0 .LBB30_2791
; %bb.2790:
	s_wait_loadcnt 0x0
	v_mov_b64_e32 v[2:3], 0
	s_mov_b32 s5, 0
	global_store_b64 v[0:1], v[2:3], off
.LBB30_2791:
	s_and_not1_b32 vcc_lo, exec_lo, s5
	s_cbranch_vccnz .LBB30_2793
; %bb.2792:
	s_wait_loadcnt 0x0
	v_mov_b32_e32 v2, 0
	global_store_b32 v[0:1], v2, off
.LBB30_2793:
	s_mov_b32 s5, 0
.LBB30_2794:
	s_delay_alu instid0(SALU_CYCLE_1)
	s_and_not1_b32 vcc_lo, exec_lo, s5
	s_cbranch_vccnz .LBB30_2796
; %bb.2795:
	s_wait_loadcnt 0x0
	v_mov_b32_e32 v2, 0
	global_store_b16 v[0:1], v2, off
.LBB30_2796:
	s_mov_b32 s5, 0
.LBB30_2797:
	s_delay_alu instid0(SALU_CYCLE_1)
	s_and_not1_b32 vcc_lo, exec_lo, s5
	s_cbranch_vccnz .LBB30_2802
; %bb.2798:
	s_sext_i32_i16 s0, s0
	s_delay_alu instid0(SALU_CYCLE_1)
	s_cmp_gt_i32 s0, 0
	s_mov_b32 s0, -1
	s_cbranch_scc0 .LBB30_2800
; %bb.2799:
	s_wait_loadcnt 0x0
	v_mov_b32_e32 v2, 0
	s_mov_b32 s0, 0
	global_store_b8 v[0:1], v2, off
.LBB30_2800:
	s_and_not1_b32 vcc_lo, exec_lo, s0
	s_cbranch_vccnz .LBB30_2802
; %bb.2801:
	s_wait_loadcnt 0x0
	v_mov_b32_e32 v2, 0
	global_store_b8 v[0:1], v2, off
.LBB30_2802:
	s_wait_xcnt 0x0
	s_or_b32 exec_lo, exec_lo, s4
	s_delay_alu instid0(SALU_CYCLE_1)
	s_and_b32 s34, s1, exec_lo
                                        ; implicit-def: $vgpr26
.LBB30_2803:
	s_or_saveexec_b32 s35, s49
	s_mov_b32 s4, 0
                                        ; implicit-def: $vgpr20_vgpr21
                                        ; implicit-def: $sgpr0
	s_xor_b32 exec_lo, exec_lo, s35
	s_cbranch_execz .LBB30_3436
; %bb.2804:
	s_wait_loadcnt 0x0
	v_mov_b32_e32 v0, 0
	s_clause 0x1
	s_load_b32 s55, s[28:29], 0x34
	s_load_b64 s[6:7], s[28:29], 0x8
	global_load_u8 v4, v0, s[28:29] offset:241
	s_wait_kmcnt 0x0
	v_mul_lo_u32 v0, s55, v26
	s_delay_alu instid0(VALU_DEP_1) | instskip(SKIP_3) | instid1(VALU_DEP_2)
	v_ashrrev_i32_e32 v1, 31, v0
	s_wait_loadcnt 0x0
	v_and_b32_e32 v2, 0xffff, v4
	v_readfirstlane_b32 s30, v4
	v_cmp_gt_i32_e32 vcc_lo, 11, v2
	v_add_nc_u64_e32 v[2:3], s[6:7], v[0:1]
	s_cbranch_vccnz .LBB30_2811
; %bb.2805:
	s_and_b32 s0, 0xffff, s30
	s_delay_alu instid0(SALU_CYCLE_1)
	s_cmp_gt_i32 s0, 25
	s_cbranch_scc0 .LBB30_2813
; %bb.2806:
	s_cmp_gt_i32 s0, 28
	s_cbranch_scc0 .LBB30_2814
; %bb.2807:
	;; [unrolled: 3-line block ×4, first 2 shown]
	s_cmp_eq_u32 s0, 46
	s_mov_b32 s8, 0
	s_cbranch_scc0 .LBB30_2817
; %bb.2810:
	global_load_b32 v0, v[2:3], off
	s_mov_b32 s1, 0
	s_mov_b32 s5, -1
	s_wait_loadcnt 0x0
	v_lshlrev_b32_e32 v0, 16, v0
	s_delay_alu instid0(VALU_DEP_1) | instskip(NEXT) | instid1(VALU_DEP_1)
	v_trunc_f32_e32 v0, v0
	v_mul_f32_e64 v1, 0x2f800000, |v0|
	s_delay_alu instid0(VALU_DEP_1) | instskip(NEXT) | instid1(VALU_DEP_1)
	v_floor_f32_e32 v1, v1
	v_fma_f32 v4, 0xcf800000, v1, |v0|
	v_ashrrev_i32_e32 v0, 31, v0
	v_cvt_u32_f32_e32 v5, v1
	s_delay_alu instid0(VALU_DEP_3) | instskip(NEXT) | instid1(VALU_DEP_2)
	v_cvt_u32_f32_e32 v4, v4
	v_dual_mov_b32 v1, v0 :: v_dual_bitop2_b32 v5, v5, v0 bitop3:0x14
	s_delay_alu instid0(VALU_DEP_2) | instskip(NEXT) | instid1(VALU_DEP_1)
	v_xor_b32_e32 v4, v4, v0
	v_sub_nc_u64_e32 v[0:1], v[4:5], v[0:1]
	s_branch .LBB30_2819
.LBB30_2811:
	s_mov_b32 s5, 0
	s_mov_b32 s36, s34
                                        ; implicit-def: $vgpr0_vgpr1
	s_cbranch_execnz .LBB30_2877
.LBB30_2812:
	s_and_not1_b32 vcc_lo, exec_lo, s5
	s_cbranch_vccz .LBB30_2922
	s_branch .LBB30_3434
.LBB30_2813:
	s_mov_b32 s5, 0
	s_mov_b32 s1, 0
                                        ; implicit-def: $vgpr0_vgpr1
	s_cbranch_execnz .LBB30_2844
	s_branch .LBB30_2873
.LBB30_2814:
	s_mov_b32 s5, 0
	s_mov_b32 s1, 0
                                        ; implicit-def: $vgpr0_vgpr1
	s_cbranch_execz .LBB30_2843
	s_branch .LBB30_2828
.LBB30_2815:
	s_mov_b32 s5, 0
	s_mov_b32 s1, 0
                                        ; implicit-def: $vgpr0_vgpr1
	s_cbranch_execnz .LBB30_2824
	s_branch .LBB30_2827
.LBB30_2816:
	s_mov_b32 s8, -1
	s_mov_b32 s5, 0
	s_mov_b32 s1, 0
	s_branch .LBB30_2818
.LBB30_2817:
	s_mov_b32 s1, -1
	s_mov_b32 s5, 0
.LBB30_2818:
                                        ; implicit-def: $vgpr0_vgpr1
.LBB30_2819:
	s_and_b32 vcc_lo, exec_lo, s8
	s_cbranch_vccz .LBB30_2822
; %bb.2820:
	s_cmp_eq_u32 s0, 44
	s_cbranch_scc0 .LBB30_2823
; %bb.2821:
	global_load_u8 v6, v[2:3], off
	s_mov_b32 s1, 0
	s_mov_b32 s5, -1
	s_wait_loadcnt 0x0
	v_cmp_ne_u32_e32 vcc_lo, 0, v6
	v_lshlrev_b32_e32 v0, 23, v6
	s_delay_alu instid0(VALU_DEP_1) | instskip(NEXT) | instid1(VALU_DEP_1)
	v_trunc_f32_e32 v0, v0
	v_mul_f32_e64 v1, 0x2f800000, |v0|
	s_delay_alu instid0(VALU_DEP_1) | instskip(NEXT) | instid1(VALU_DEP_1)
	v_floor_f32_e32 v1, v1
	v_fma_f32 v4, 0xcf800000, v1, |v0|
	v_ashrrev_i32_e32 v0, 31, v0
	v_cvt_u32_f32_e32 v5, v1
	s_delay_alu instid0(VALU_DEP_3) | instskip(NEXT) | instid1(VALU_DEP_2)
	v_cvt_u32_f32_e32 v4, v4
	v_dual_mov_b32 v1, v0 :: v_dual_bitop2_b32 v5, v5, v0 bitop3:0x14
	s_delay_alu instid0(VALU_DEP_2) | instskip(NEXT) | instid1(VALU_DEP_1)
	v_xor_b32_e32 v4, v4, v0
	v_sub_nc_u64_e32 v[0:1], v[4:5], v[0:1]
	s_delay_alu instid0(VALU_DEP_1)
	v_dual_cndmask_b32 v1, 0, v1 :: v_dual_cndmask_b32 v0, 0, v0
.LBB30_2822:
	s_branch .LBB30_2827
.LBB30_2823:
	s_mov_b32 s1, -1
                                        ; implicit-def: $vgpr0_vgpr1
	s_branch .LBB30_2827
.LBB30_2824:
	s_cmp_eq_u32 s0, 29
	s_cbranch_scc0 .LBB30_2826
; %bb.2825:
	global_load_b64 v[0:1], v[2:3], off
	s_mov_b32 s1, 0
	s_mov_b32 s5, -1
	s_branch .LBB30_2827
.LBB30_2826:
	s_mov_b32 s1, -1
                                        ; implicit-def: $vgpr0_vgpr1
.LBB30_2827:
	s_branch .LBB30_2843
.LBB30_2828:
	s_cmp_lt_i32 s0, 27
	s_cbranch_scc1 .LBB30_2831
; %bb.2829:
	s_cmp_gt_i32 s0, 27
	s_cbranch_scc0 .LBB30_2832
; %bb.2830:
	s_wait_loadcnt 0x0
	global_load_b32 v0, v[2:3], off
	v_mov_b32_e32 v1, 0
	s_mov_b32 s5, 0
	s_branch .LBB30_2833
.LBB30_2831:
	s_mov_b32 s5, -1
                                        ; implicit-def: $vgpr0_vgpr1
	s_branch .LBB30_2836
.LBB30_2832:
	s_mov_b32 s5, -1
                                        ; implicit-def: $vgpr0_vgpr1
.LBB30_2833:
	s_delay_alu instid0(SALU_CYCLE_1)
	s_and_not1_b32 vcc_lo, exec_lo, s5
	s_cbranch_vccnz .LBB30_2835
; %bb.2834:
	s_wait_loadcnt 0x0
	global_load_u16 v0, v[2:3], off
	s_mov_b32 s5, 0
	s_delay_alu instid0(SALU_CYCLE_1)
	v_mov_b32_e32 v1, s5
	s_wait_loadcnt 0x0
	v_and_b32_e32 v0, 0xffff, v0
.LBB30_2835:
	s_mov_b32 s5, 0
.LBB30_2836:
	s_delay_alu instid0(SALU_CYCLE_1)
	s_and_not1_b32 vcc_lo, exec_lo, s5
	s_cbranch_vccnz .LBB30_2842
; %bb.2837:
	global_load_u8 v4, v[2:3], off
	s_mov_b32 s8, 0
	s_mov_b32 s5, exec_lo
	s_wait_loadcnt 0x0
	v_cmpx_lt_i16_e32 0x7f, v4
	s_xor_b32 s5, exec_lo, s5
	s_cbranch_execz .LBB30_2853
; %bb.2838:
	v_cmp_ne_u16_e32 vcc_lo, 0x80, v4
	s_and_b32 s8, vcc_lo, exec_lo
	s_and_not1_saveexec_b32 s5, s5
	s_cbranch_execnz .LBB30_2854
.LBB30_2839:
	s_or_b32 exec_lo, exec_lo, s5
	v_mov_b64_e32 v[0:1], 0
	s_and_saveexec_b32 s5, s8
	s_cbranch_execz .LBB30_2841
.LBB30_2840:
	v_and_b32_e32 v0, 0xffff, v4
	s_delay_alu instid0(VALU_DEP_1) | instskip(SKIP_1) | instid1(VALU_DEP_2)
	v_and_b32_e32 v1, 7, v0
	v_bfe_u32 v7, v0, 3, 4
	v_clz_i32_u32_e32 v5, v1
	s_delay_alu instid0(VALU_DEP_2) | instskip(NEXT) | instid1(VALU_DEP_2)
	v_cmp_eq_u32_e32 vcc_lo, 0, v7
	v_min_u32_e32 v5, 32, v5
	s_delay_alu instid0(VALU_DEP_1) | instskip(NEXT) | instid1(VALU_DEP_1)
	v_subrev_nc_u32_e32 v6, 28, v5
	v_dual_lshlrev_b32 v0, v6, v0 :: v_dual_sub_nc_u32 v5, 29, v5
	s_delay_alu instid0(VALU_DEP_1) | instskip(NEXT) | instid1(VALU_DEP_2)
	v_and_b32_e32 v0, 7, v0
	v_dual_cndmask_b32 v5, v7, v5 :: v_dual_lshlrev_b32 v4, 24, v4
	s_delay_alu instid0(VALU_DEP_2) | instskip(NEXT) | instid1(VALU_DEP_2)
	v_cndmask_b32_e32 v0, v1, v0, vcc_lo
	v_and_b32_e32 v1, 0x80000000, v4
	s_delay_alu instid0(VALU_DEP_3) | instskip(NEXT) | instid1(VALU_DEP_3)
	v_lshl_add_u32 v4, v5, 23, 0x3b800000
	v_lshlrev_b32_e32 v0, 20, v0
	s_delay_alu instid0(VALU_DEP_1) | instskip(NEXT) | instid1(VALU_DEP_1)
	v_or3_b32 v0, v1, v4, v0
	v_trunc_f32_e32 v0, v0
	s_delay_alu instid0(VALU_DEP_1) | instskip(NEXT) | instid1(VALU_DEP_1)
	v_mul_f32_e64 v1, 0x2f800000, |v0|
	v_floor_f32_e32 v1, v1
	s_delay_alu instid0(VALU_DEP_1) | instskip(SKIP_2) | instid1(VALU_DEP_3)
	v_fma_f32 v4, 0xcf800000, v1, |v0|
	v_ashrrev_i32_e32 v0, 31, v0
	v_cvt_u32_f32_e32 v5, v1
	v_cvt_u32_f32_e32 v4, v4
	s_delay_alu instid0(VALU_DEP_2) | instskip(NEXT) | instid1(VALU_DEP_2)
	v_dual_mov_b32 v1, v0 :: v_dual_bitop2_b32 v5, v5, v0 bitop3:0x14
	v_xor_b32_e32 v4, v4, v0
	s_delay_alu instid0(VALU_DEP_1)
	v_sub_nc_u64_e32 v[0:1], v[4:5], v[0:1]
.LBB30_2841:
	s_or_b32 exec_lo, exec_lo, s5
.LBB30_2842:
	s_mov_b32 s5, -1
.LBB30_2843:
	s_branch .LBB30_2873
.LBB30_2844:
	s_cmp_gt_i32 s0, 22
	s_cbranch_scc0 .LBB30_2852
; %bb.2845:
	s_cmp_lt_i32 s0, 24
	s_cbranch_scc1 .LBB30_2855
; %bb.2846:
	s_cmp_gt_i32 s0, 24
	s_cbranch_scc0 .LBB30_2856
; %bb.2847:
	global_load_u8 v4, v[2:3], off
	s_mov_b32 s5, 0
	s_mov_b32 s4, exec_lo
	s_wait_loadcnt 0x0
	v_cmpx_lt_i16_e32 0x7f, v4
	s_xor_b32 s4, exec_lo, s4
	s_cbranch_execz .LBB30_2867
; %bb.2848:
	v_cmp_ne_u16_e32 vcc_lo, 0x80, v4
	s_and_b32 s5, vcc_lo, exec_lo
	s_and_not1_saveexec_b32 s4, s4
	s_cbranch_execnz .LBB30_2868
.LBB30_2849:
	s_or_b32 exec_lo, exec_lo, s4
	v_mov_b64_e32 v[0:1], 0
	s_and_saveexec_b32 s4, s5
	s_cbranch_execz .LBB30_2851
.LBB30_2850:
	v_and_b32_e32 v0, 0xffff, v4
	s_delay_alu instid0(VALU_DEP_1) | instskip(SKIP_1) | instid1(VALU_DEP_2)
	v_and_b32_e32 v1, 3, v0
	v_bfe_u32 v7, v0, 2, 5
	v_clz_i32_u32_e32 v5, v1
	s_delay_alu instid0(VALU_DEP_2) | instskip(NEXT) | instid1(VALU_DEP_2)
	v_cmp_eq_u32_e32 vcc_lo, 0, v7
	v_min_u32_e32 v5, 32, v5
	s_delay_alu instid0(VALU_DEP_1) | instskip(NEXT) | instid1(VALU_DEP_1)
	v_subrev_nc_u32_e32 v6, 29, v5
	v_dual_lshlrev_b32 v0, v6, v0 :: v_dual_sub_nc_u32 v5, 30, v5
	s_delay_alu instid0(VALU_DEP_1) | instskip(NEXT) | instid1(VALU_DEP_2)
	v_and_b32_e32 v0, 3, v0
	v_dual_cndmask_b32 v5, v7, v5 :: v_dual_lshlrev_b32 v4, 24, v4
	s_delay_alu instid0(VALU_DEP_2) | instskip(NEXT) | instid1(VALU_DEP_2)
	v_cndmask_b32_e32 v0, v1, v0, vcc_lo
	v_and_b32_e32 v1, 0x80000000, v4
	s_delay_alu instid0(VALU_DEP_3) | instskip(NEXT) | instid1(VALU_DEP_3)
	v_lshl_add_u32 v4, v5, 23, 0x37800000
	v_lshlrev_b32_e32 v0, 21, v0
	s_delay_alu instid0(VALU_DEP_1) | instskip(NEXT) | instid1(VALU_DEP_1)
	v_or3_b32 v0, v1, v4, v0
	v_trunc_f32_e32 v0, v0
	s_delay_alu instid0(VALU_DEP_1) | instskip(NEXT) | instid1(VALU_DEP_1)
	v_mul_f32_e64 v1, 0x2f800000, |v0|
	v_floor_f32_e32 v1, v1
	s_delay_alu instid0(VALU_DEP_1) | instskip(SKIP_2) | instid1(VALU_DEP_3)
	v_fma_f32 v4, 0xcf800000, v1, |v0|
	v_ashrrev_i32_e32 v0, 31, v0
	v_cvt_u32_f32_e32 v5, v1
	v_cvt_u32_f32_e32 v4, v4
	s_delay_alu instid0(VALU_DEP_2) | instskip(NEXT) | instid1(VALU_DEP_2)
	v_dual_mov_b32 v1, v0 :: v_dual_bitop2_b32 v5, v5, v0 bitop3:0x14
	v_xor_b32_e32 v4, v4, v0
	s_delay_alu instid0(VALU_DEP_1)
	v_sub_nc_u64_e32 v[0:1], v[4:5], v[0:1]
.LBB30_2851:
	s_or_b32 exec_lo, exec_lo, s4
	s_mov_b32 s4, 0
	s_branch .LBB30_2857
.LBB30_2852:
                                        ; implicit-def: $vgpr0_vgpr1
	s_mov_b32 s4, 0
	s_branch .LBB30_2863
.LBB30_2853:
	s_and_not1_saveexec_b32 s5, s5
	s_cbranch_execz .LBB30_2839
.LBB30_2854:
	v_cmp_ne_u16_e32 vcc_lo, 0, v4
	s_and_not1_b32 s8, s8, exec_lo
	s_and_b32 s9, vcc_lo, exec_lo
	s_delay_alu instid0(SALU_CYCLE_1)
	s_or_b32 s8, s8, s9
	s_or_b32 exec_lo, exec_lo, s5
	v_mov_b64_e32 v[0:1], 0
	s_and_saveexec_b32 s5, s8
	s_cbranch_execnz .LBB30_2840
	s_branch .LBB30_2841
.LBB30_2855:
	s_mov_b32 s4, -1
                                        ; implicit-def: $vgpr0_vgpr1
	s_branch .LBB30_2860
.LBB30_2856:
	s_mov_b32 s4, -1
                                        ; implicit-def: $vgpr0_vgpr1
.LBB30_2857:
	s_delay_alu instid0(SALU_CYCLE_1)
	s_and_b32 vcc_lo, exec_lo, s4
	s_cbranch_vccz .LBB30_2859
; %bb.2858:
	s_wait_loadcnt 0x0
	global_load_u8 v0, v[2:3], off
	s_wait_loadcnt 0x0
	v_lshlrev_b32_e32 v0, 24, v0
	s_delay_alu instid0(VALU_DEP_1) | instskip(NEXT) | instid1(VALU_DEP_1)
	v_and_b32_e32 v1, 0x7f000000, v0
	v_clz_i32_u32_e32 v4, v1
	v_cmp_ne_u32_e32 vcc_lo, 0, v1
	v_add_nc_u32_e32 v6, 0x1000000, v1
	s_delay_alu instid0(VALU_DEP_3) | instskip(NEXT) | instid1(VALU_DEP_1)
	v_min_u32_e32 v4, 32, v4
	v_sub_nc_u32_e64 v4, v4, 4 clamp
	s_delay_alu instid0(VALU_DEP_1) | instskip(NEXT) | instid1(VALU_DEP_1)
	v_dual_lshlrev_b32 v5, v4, v1 :: v_dual_lshlrev_b32 v4, 23, v4
	v_lshrrev_b32_e32 v5, 4, v5
	s_delay_alu instid0(VALU_DEP_1) | instskip(NEXT) | instid1(VALU_DEP_1)
	v_dual_sub_nc_u32 v4, v5, v4 :: v_dual_ashrrev_i32 v5, 8, v6
	v_add_nc_u32_e32 v4, 0x3c000000, v4
	s_delay_alu instid0(VALU_DEP_1) | instskip(NEXT) | instid1(VALU_DEP_1)
	v_and_or_b32 v4, 0x7f800000, v5, v4
	v_cndmask_b32_e32 v1, 0, v4, vcc_lo
	s_delay_alu instid0(VALU_DEP_1) | instskip(NEXT) | instid1(VALU_DEP_1)
	v_and_or_b32 v0, 0x80000000, v0, v1
	v_trunc_f32_e32 v0, v0
	s_delay_alu instid0(VALU_DEP_1) | instskip(NEXT) | instid1(VALU_DEP_1)
	v_mul_f32_e64 v1, 0x2f800000, |v0|
	v_floor_f32_e32 v1, v1
	s_delay_alu instid0(VALU_DEP_1) | instskip(SKIP_2) | instid1(VALU_DEP_3)
	v_fma_f32 v4, 0xcf800000, v1, |v0|
	v_ashrrev_i32_e32 v0, 31, v0
	v_cvt_u32_f32_e32 v5, v1
	v_cvt_u32_f32_e32 v4, v4
	s_delay_alu instid0(VALU_DEP_2) | instskip(NEXT) | instid1(VALU_DEP_2)
	v_dual_mov_b32 v1, v0 :: v_dual_bitop2_b32 v5, v5, v0 bitop3:0x14
	v_xor_b32_e32 v4, v4, v0
	s_delay_alu instid0(VALU_DEP_1)
	v_sub_nc_u64_e32 v[0:1], v[4:5], v[0:1]
.LBB30_2859:
	s_mov_b32 s4, 0
.LBB30_2860:
	s_delay_alu instid0(SALU_CYCLE_1)
	s_and_not1_b32 vcc_lo, exec_lo, s4
	s_cbranch_vccnz .LBB30_2862
; %bb.2861:
	s_wait_loadcnt 0x0
	global_load_u8 v0, v[2:3], off
	s_wait_loadcnt 0x0
	v_lshlrev_b32_e32 v1, 25, v0
	v_lshlrev_b16 v0, 8, v0
	s_delay_alu instid0(VALU_DEP_1) | instskip(SKIP_1) | instid1(VALU_DEP_2)
	v_and_or_b32 v5, 0x7f00, v0, 0.5
	v_bfe_i32 v0, v0, 0, 16
	v_add_f32_e32 v5, -0.5, v5
	v_lshrrev_b32_e32 v4, 4, v1
	v_cmp_gt_u32_e32 vcc_lo, 0x8000000, v1
	s_delay_alu instid0(VALU_DEP_2) | instskip(NEXT) | instid1(VALU_DEP_1)
	v_or_b32_e32 v4, 0x70000000, v4
	v_mul_f32_e32 v4, 0x7800000, v4
	s_delay_alu instid0(VALU_DEP_1) | instskip(NEXT) | instid1(VALU_DEP_1)
	v_cndmask_b32_e32 v1, v4, v5, vcc_lo
	v_and_or_b32 v0, 0x80000000, v0, v1
	s_delay_alu instid0(VALU_DEP_1) | instskip(NEXT) | instid1(VALU_DEP_1)
	v_trunc_f32_e32 v0, v0
	v_mul_f32_e64 v1, 0x2f800000, |v0|
	s_delay_alu instid0(VALU_DEP_1) | instskip(NEXT) | instid1(VALU_DEP_1)
	v_floor_f32_e32 v1, v1
	v_fma_f32 v4, 0xcf800000, v1, |v0|
	v_ashrrev_i32_e32 v0, 31, v0
	v_cvt_u32_f32_e32 v5, v1
	s_delay_alu instid0(VALU_DEP_3) | instskip(NEXT) | instid1(VALU_DEP_2)
	v_cvt_u32_f32_e32 v4, v4
	v_dual_mov_b32 v1, v0 :: v_dual_bitop2_b32 v5, v5, v0 bitop3:0x14
	s_delay_alu instid0(VALU_DEP_2) | instskip(NEXT) | instid1(VALU_DEP_1)
	v_xor_b32_e32 v4, v4, v0
	v_sub_nc_u64_e32 v[0:1], v[4:5], v[0:1]
.LBB30_2862:
	s_mov_b32 s5, -1
	s_mov_b32 s4, 0
	s_cbranch_execnz .LBB30_2873
.LBB30_2863:
	s_cmp_gt_i32 s0, 14
	s_cbranch_scc0 .LBB30_2866
; %bb.2864:
	s_cmp_eq_u32 s0, 15
	s_cbranch_scc0 .LBB30_2869
; %bb.2865:
	s_wait_loadcnt 0x0
	global_load_u16 v0, v[2:3], off
	s_mov_b32 s1, 0
	s_mov_b32 s5, -1
	s_wait_loadcnt 0x0
	v_lshlrev_b32_e32 v0, 16, v0
	s_delay_alu instid0(VALU_DEP_1) | instskip(NEXT) | instid1(VALU_DEP_1)
	v_trunc_f32_e32 v0, v0
	v_mul_f32_e64 v1, 0x2f800000, |v0|
	s_delay_alu instid0(VALU_DEP_1) | instskip(NEXT) | instid1(VALU_DEP_1)
	v_floor_f32_e32 v1, v1
	v_fma_f32 v4, 0xcf800000, v1, |v0|
	v_ashrrev_i32_e32 v0, 31, v0
	v_cvt_u32_f32_e32 v5, v1
	s_delay_alu instid0(VALU_DEP_3) | instskip(NEXT) | instid1(VALU_DEP_2)
	v_cvt_u32_f32_e32 v4, v4
	v_dual_mov_b32 v1, v0 :: v_dual_bitop2_b32 v5, v5, v0 bitop3:0x14
	s_delay_alu instid0(VALU_DEP_2) | instskip(NEXT) | instid1(VALU_DEP_1)
	v_xor_b32_e32 v4, v4, v0
	v_sub_nc_u64_e32 v[0:1], v[4:5], v[0:1]
	s_branch .LBB30_2871
.LBB30_2866:
	s_mov_b32 s4, -1
	s_branch .LBB30_2870
.LBB30_2867:
	s_and_not1_saveexec_b32 s4, s4
	s_cbranch_execz .LBB30_2849
.LBB30_2868:
	v_cmp_ne_u16_e32 vcc_lo, 0, v4
	s_and_not1_b32 s5, s5, exec_lo
	s_and_b32 s8, vcc_lo, exec_lo
	s_delay_alu instid0(SALU_CYCLE_1)
	s_or_b32 s5, s5, s8
	s_or_b32 exec_lo, exec_lo, s4
	v_mov_b64_e32 v[0:1], 0
	s_and_saveexec_b32 s4, s5
	s_cbranch_execnz .LBB30_2850
	s_branch .LBB30_2851
.LBB30_2869:
	s_mov_b32 s1, -1
.LBB30_2870:
                                        ; implicit-def: $vgpr0_vgpr1
.LBB30_2871:
	s_and_b32 vcc_lo, exec_lo, s4
	s_mov_b32 s4, 0
	s_cbranch_vccz .LBB30_2873
; %bb.2872:
	s_cmp_lg_u32 s0, 11
	s_mov_b32 s4, -1
	s_cselect_b32 s1, -1, 0
.LBB30_2873:
	s_delay_alu instid0(SALU_CYCLE_1)
	s_and_b32 vcc_lo, exec_lo, s1
	s_mov_b32 s36, s34
	s_cbranch_vccnz .LBB30_2934
; %bb.2874:
	s_and_not1_b32 vcc_lo, exec_lo, s4
	s_cbranch_vccnz .LBB30_2876
.LBB30_2875:
	s_wait_loadcnt 0x0
	global_load_u8 v0, v[2:3], off
	s_mov_b32 s0, 0
	s_mov_b32 s5, -1
	v_mov_b32_e32 v1, s0
	s_wait_loadcnt 0x0
	v_cmp_ne_u16_e32 vcc_lo, 0, v0
	v_cndmask_b32_e64 v0, 0, 1, vcc_lo
.LBB30_2876:
	s_branch .LBB30_2812
.LBB30_2877:
	s_and_b32 s0, 0xffff, s30
	s_delay_alu instid0(SALU_CYCLE_1)
	s_cmp_lt_i32 s0, 5
	s_cbranch_scc1 .LBB30_2882
; %bb.2878:
	s_cmp_lt_i32 s0, 8
	s_cbranch_scc1 .LBB30_2883
; %bb.2879:
	;; [unrolled: 3-line block ×3, first 2 shown]
	s_cmp_gt_i32 s0, 9
	s_cbranch_scc0 .LBB30_2885
; %bb.2881:
	s_wait_loadcnt 0x0
	global_load_b64 v[0:1], v[2:3], off
	s_mov_b32 s1, 0
	s_wait_loadcnt 0x0
	v_trunc_f64_e32 v[0:1], v[0:1]
	s_delay_alu instid0(VALU_DEP_1) | instskip(NEXT) | instid1(VALU_DEP_1)
	v_ldexp_f64 v[4:5], v[0:1], 0xffffffe0
	v_floor_f64_e32 v[4:5], v[4:5]
	s_delay_alu instid0(VALU_DEP_1) | instskip(SKIP_1) | instid1(VALU_DEP_2)
	v_fmamk_f64 v[6:7], v[4:5], 0xc1f00000, v[0:1]
	v_cvt_i32_f64_e32 v1, v[4:5]
	v_cvt_u32_f64_e32 v0, v[6:7]
	s_branch .LBB30_2886
.LBB30_2882:
                                        ; implicit-def: $vgpr0_vgpr1
	s_branch .LBB30_2903
.LBB30_2883:
                                        ; implicit-def: $vgpr0_vgpr1
	s_branch .LBB30_2892
.LBB30_2884:
	s_mov_b32 s1, -1
                                        ; implicit-def: $vgpr0_vgpr1
	s_branch .LBB30_2889
.LBB30_2885:
	s_mov_b32 s1, -1
                                        ; implicit-def: $vgpr0_vgpr1
.LBB30_2886:
	s_delay_alu instid0(SALU_CYCLE_1)
	s_and_not1_b32 vcc_lo, exec_lo, s1
	s_cbranch_vccnz .LBB30_2888
; %bb.2887:
	s_wait_loadcnt 0x0
	global_load_b32 v0, v[2:3], off
	s_wait_loadcnt 0x0
	v_trunc_f32_e32 v0, v0
	s_delay_alu instid0(VALU_DEP_1) | instskip(NEXT) | instid1(VALU_DEP_1)
	v_mul_f32_e64 v1, 0x2f800000, |v0|
	v_floor_f32_e32 v1, v1
	s_delay_alu instid0(VALU_DEP_1) | instskip(SKIP_2) | instid1(VALU_DEP_3)
	v_fma_f32 v4, 0xcf800000, v1, |v0|
	v_ashrrev_i32_e32 v0, 31, v0
	v_cvt_u32_f32_e32 v5, v1
	v_cvt_u32_f32_e32 v4, v4
	s_delay_alu instid0(VALU_DEP_2) | instskip(NEXT) | instid1(VALU_DEP_2)
	v_dual_mov_b32 v1, v0 :: v_dual_bitop2_b32 v5, v5, v0 bitop3:0x14
	v_xor_b32_e32 v4, v4, v0
	s_delay_alu instid0(VALU_DEP_1)
	v_sub_nc_u64_e32 v[0:1], v[4:5], v[0:1]
.LBB30_2888:
	s_mov_b32 s1, 0
.LBB30_2889:
	s_delay_alu instid0(SALU_CYCLE_1)
	s_and_not1_b32 vcc_lo, exec_lo, s1
	s_cbranch_vccnz .LBB30_2891
; %bb.2890:
	s_wait_loadcnt 0x0
	global_load_b32 v0, v[2:3], off
	s_wait_loadcnt 0x0
	v_cvt_f32_f16_e32 v0, v0
	s_delay_alu instid0(VALU_DEP_1) | instskip(NEXT) | instid1(VALU_DEP_1)
	v_cvt_i32_f32_e32 v0, v0
	v_ashrrev_i32_e32 v1, 31, v0
.LBB30_2891:
	s_cbranch_execnz .LBB30_2902
.LBB30_2892:
	s_cmp_lt_i32 s0, 6
	s_cbranch_scc1 .LBB30_2895
; %bb.2893:
	s_cmp_gt_i32 s0, 6
	s_cbranch_scc0 .LBB30_2896
; %bb.2894:
	s_wait_loadcnt 0x0
	global_load_b64 v[0:1], v[2:3], off
	s_mov_b32 s1, 0
	s_wait_loadcnt 0x0
	v_trunc_f64_e32 v[0:1], v[0:1]
	s_delay_alu instid0(VALU_DEP_1) | instskip(NEXT) | instid1(VALU_DEP_1)
	v_ldexp_f64 v[4:5], v[0:1], 0xffffffe0
	v_floor_f64_e32 v[4:5], v[4:5]
	s_delay_alu instid0(VALU_DEP_1) | instskip(SKIP_1) | instid1(VALU_DEP_2)
	v_fmamk_f64 v[6:7], v[4:5], 0xc1f00000, v[0:1]
	v_cvt_i32_f64_e32 v1, v[4:5]
	v_cvt_u32_f64_e32 v0, v[6:7]
	s_branch .LBB30_2897
.LBB30_2895:
	s_mov_b32 s1, -1
                                        ; implicit-def: $vgpr0_vgpr1
	s_branch .LBB30_2900
.LBB30_2896:
	s_mov_b32 s1, -1
                                        ; implicit-def: $vgpr0_vgpr1
.LBB30_2897:
	s_delay_alu instid0(SALU_CYCLE_1)
	s_and_not1_b32 vcc_lo, exec_lo, s1
	s_cbranch_vccnz .LBB30_2899
; %bb.2898:
	s_wait_loadcnt 0x0
	global_load_b32 v0, v[2:3], off
	s_wait_loadcnt 0x0
	v_trunc_f32_e32 v0, v0
	s_delay_alu instid0(VALU_DEP_1) | instskip(NEXT) | instid1(VALU_DEP_1)
	v_mul_f32_e64 v1, 0x2f800000, |v0|
	v_floor_f32_e32 v1, v1
	s_delay_alu instid0(VALU_DEP_1) | instskip(SKIP_2) | instid1(VALU_DEP_3)
	v_fma_f32 v4, 0xcf800000, v1, |v0|
	v_ashrrev_i32_e32 v0, 31, v0
	v_cvt_u32_f32_e32 v5, v1
	v_cvt_u32_f32_e32 v4, v4
	s_delay_alu instid0(VALU_DEP_2) | instskip(NEXT) | instid1(VALU_DEP_2)
	v_dual_mov_b32 v1, v0 :: v_dual_bitop2_b32 v5, v5, v0 bitop3:0x14
	v_xor_b32_e32 v4, v4, v0
	s_delay_alu instid0(VALU_DEP_1)
	v_sub_nc_u64_e32 v[0:1], v[4:5], v[0:1]
.LBB30_2899:
	s_mov_b32 s1, 0
.LBB30_2900:
	s_delay_alu instid0(SALU_CYCLE_1)
	s_and_not1_b32 vcc_lo, exec_lo, s1
	s_cbranch_vccnz .LBB30_2902
; %bb.2901:
	s_wait_loadcnt 0x0
	global_load_u16 v0, v[2:3], off
	s_wait_loadcnt 0x0
	v_cvt_f32_f16_e32 v0, v0
	s_delay_alu instid0(VALU_DEP_1) | instskip(NEXT) | instid1(VALU_DEP_1)
	v_cvt_i32_f32_e32 v0, v0
	v_ashrrev_i32_e32 v1, 31, v0
.LBB30_2902:
	s_cbranch_execnz .LBB30_2921
.LBB30_2903:
	s_cmp_lt_i32 s0, 2
	s_cbranch_scc1 .LBB30_2907
; %bb.2904:
	s_cmp_lt_i32 s0, 3
	s_cbranch_scc1 .LBB30_2908
; %bb.2905:
	s_cmp_gt_i32 s0, 3
	s_cbranch_scc0 .LBB30_2909
; %bb.2906:
	s_wait_loadcnt 0x0
	global_load_b64 v[0:1], v[2:3], off
	s_mov_b32 s1, 0
	s_branch .LBB30_2910
.LBB30_2907:
                                        ; implicit-def: $vgpr0_vgpr1
	s_branch .LBB30_2916
.LBB30_2908:
	s_mov_b32 s1, -1
                                        ; implicit-def: $vgpr0_vgpr1
	s_branch .LBB30_2913
.LBB30_2909:
	s_mov_b32 s1, -1
                                        ; implicit-def: $vgpr0_vgpr1
.LBB30_2910:
	s_delay_alu instid0(SALU_CYCLE_1)
	s_and_not1_b32 vcc_lo, exec_lo, s1
	s_cbranch_vccnz .LBB30_2912
; %bb.2911:
	s_wait_loadcnt 0x0
	global_load_b32 v0, v[2:3], off
	s_wait_loadcnt 0x0
	v_ashrrev_i32_e32 v1, 31, v0
.LBB30_2912:
	s_mov_b32 s1, 0
.LBB30_2913:
	s_delay_alu instid0(SALU_CYCLE_1)
	s_and_not1_b32 vcc_lo, exec_lo, s1
	s_cbranch_vccnz .LBB30_2915
; %bb.2914:
	s_wait_loadcnt 0x0
	global_load_u16 v0, v[2:3], off
	s_wait_loadcnt 0x0
	v_bfe_i32 v0, v0, 0, 16
	s_delay_alu instid0(VALU_DEP_1)
	v_ashrrev_i32_e32 v1, 31, v0
.LBB30_2915:
	s_cbranch_execnz .LBB30_2921
.LBB30_2916:
	s_cmp_gt_i32 s0, 0
	s_mov_b32 s0, 0
	s_cbranch_scc0 .LBB30_2918
; %bb.2917:
	s_wait_loadcnt 0x0
	global_load_i8 v0, v[2:3], off
	s_wait_loadcnt 0x0
	v_bfe_i32 v0, v0, 0, 16
	s_delay_alu instid0(VALU_DEP_1)
	v_ashrrev_i32_e32 v1, 31, v0
	s_branch .LBB30_2919
.LBB30_2918:
	s_mov_b32 s0, -1
                                        ; implicit-def: $vgpr0_vgpr1
.LBB30_2919:
	s_delay_alu instid0(SALU_CYCLE_1)
	s_and_not1_b32 vcc_lo, exec_lo, s0
	s_cbranch_vccnz .LBB30_2921
; %bb.2920:
	s_wait_loadcnt 0x0
	global_load_u8 v0, v[2:3], off
	s_mov_b32 s0, 0
	s_delay_alu instid0(SALU_CYCLE_1)
	v_mov_b32_e32 v1, s0
	s_wait_loadcnt 0x0
	v_and_b32_e32 v0, 0xffff, v0
.LBB30_2921:
.LBB30_2922:
	s_wait_xcnt 0x0
	v_mov_b32_e32 v2, 0
	s_clause 0x1
	s_load_b32 s61, s[28:29], 0x38
	s_load_b64 s[8:9], s[28:29], 0x10
	global_load_u8 v6, v2, s[28:29] offset:242
	s_wait_kmcnt 0x0
	v_mul_lo_u32 v2, s61, v26
	s_delay_alu instid0(VALU_DEP_1) | instskip(SKIP_3) | instid1(VALU_DEP_2)
	v_ashrrev_i32_e32 v3, 31, v2
	s_wait_loadcnt 0x0
	v_and_b32_e32 v4, 0xffff, v6
	v_readfirstlane_b32 s31, v6
	v_cmp_gt_i32_e32 vcc_lo, 11, v4
	v_add_nc_u64_e32 v[4:5], s[8:9], v[2:3]
	s_cbranch_vccnz .LBB30_2929
; %bb.2923:
	s_and_b32 s0, 0xffff, s31
	s_mov_b32 s4, 0
	s_cmp_gt_i32 s0, 25
	s_cbranch_scc0 .LBB30_2931
; %bb.2924:
	s_cmp_gt_i32 s0, 28
	s_cbranch_scc0 .LBB30_2932
; %bb.2925:
	;; [unrolled: 3-line block ×4, first 2 shown]
	s_cmp_eq_u32 s0, 46
	s_mov_b32 s10, 0
	s_cbranch_scc0 .LBB30_2936
; %bb.2928:
	global_load_b32 v2, v[4:5], off
	s_mov_b32 s1, 0
	s_mov_b32 s5, -1
	s_wait_loadcnt 0x0
	v_lshlrev_b32_e32 v2, 16, v2
	s_delay_alu instid0(VALU_DEP_1) | instskip(NEXT) | instid1(VALU_DEP_1)
	v_trunc_f32_e32 v2, v2
	v_mul_f32_e64 v3, 0x2f800000, |v2|
	s_delay_alu instid0(VALU_DEP_1) | instskip(NEXT) | instid1(VALU_DEP_1)
	v_floor_f32_e32 v3, v3
	v_fma_f32 v6, 0xcf800000, v3, |v2|
	v_ashrrev_i32_e32 v2, 31, v2
	v_cvt_u32_f32_e32 v7, v3
	s_delay_alu instid0(VALU_DEP_3) | instskip(NEXT) | instid1(VALU_DEP_2)
	v_cvt_u32_f32_e32 v6, v6
	v_dual_mov_b32 v3, v2 :: v_dual_bitop2_b32 v7, v7, v2 bitop3:0x14
	s_delay_alu instid0(VALU_DEP_2) | instskip(NEXT) | instid1(VALU_DEP_1)
	v_xor_b32_e32 v6, v6, v2
	v_sub_nc_u64_e32 v[2:3], v[6:7], v[2:3]
	s_branch .LBB30_2938
.LBB30_2929:
	s_mov_b32 s5, 0
                                        ; implicit-def: $vgpr2_vgpr3
	s_cbranch_execnz .LBB30_2999
.LBB30_2930:
	s_and_not1_b32 vcc_lo, exec_lo, s5
	s_cbranch_vccnz .LBB30_3434
	s_branch .LBB30_3046
.LBB30_2931:
	s_mov_b32 s5, 0
	s_mov_b32 s1, 0
                                        ; implicit-def: $vgpr2_vgpr3
	s_cbranch_execnz .LBB30_2965
	s_branch .LBB30_2995
.LBB30_2932:
	s_mov_b32 s10, -1
	s_mov_b32 s5, 0
	s_mov_b32 s1, 0
                                        ; implicit-def: $vgpr2_vgpr3
	s_branch .LBB30_2948
.LBB30_2933:
	s_mov_b32 s10, -1
	s_mov_b32 s5, 0
	s_mov_b32 s1, 0
                                        ; implicit-def: $vgpr2_vgpr3
	s_branch .LBB30_2943
.LBB30_2934:
	s_or_b32 s36, s34, exec_lo
	s_trap 2
	s_cbranch_execz .LBB30_2875
	s_branch .LBB30_2876
.LBB30_2935:
	s_mov_b32 s10, -1
	s_mov_b32 s5, 0
	s_mov_b32 s1, 0
	s_branch .LBB30_2937
.LBB30_2936:
	s_mov_b32 s1, -1
	s_mov_b32 s5, 0
.LBB30_2937:
                                        ; implicit-def: $vgpr2_vgpr3
.LBB30_2938:
	s_and_b32 vcc_lo, exec_lo, s10
	s_cbranch_vccz .LBB30_2942
; %bb.2939:
	s_cmp_eq_u32 s0, 44
	s_cbranch_scc0 .LBB30_2941
; %bb.2940:
	global_load_u8 v8, v[4:5], off
	s_mov_b32 s1, 0
	s_mov_b32 s5, -1
	s_wait_loadcnt 0x0
	v_cmp_ne_u32_e32 vcc_lo, 0, v8
	v_lshlrev_b32_e32 v2, 23, v8
	s_delay_alu instid0(VALU_DEP_1) | instskip(NEXT) | instid1(VALU_DEP_1)
	v_trunc_f32_e32 v2, v2
	v_mul_f32_e64 v3, 0x2f800000, |v2|
	s_delay_alu instid0(VALU_DEP_1) | instskip(NEXT) | instid1(VALU_DEP_1)
	v_floor_f32_e32 v3, v3
	v_fma_f32 v6, 0xcf800000, v3, |v2|
	v_ashrrev_i32_e32 v2, 31, v2
	v_cvt_u32_f32_e32 v7, v3
	s_delay_alu instid0(VALU_DEP_3) | instskip(NEXT) | instid1(VALU_DEP_2)
	v_cvt_u32_f32_e32 v6, v6
	v_dual_mov_b32 v3, v2 :: v_dual_bitop2_b32 v7, v7, v2 bitop3:0x14
	s_delay_alu instid0(VALU_DEP_2) | instskip(NEXT) | instid1(VALU_DEP_1)
	v_xor_b32_e32 v6, v6, v2
	v_sub_nc_u64_e32 v[2:3], v[6:7], v[2:3]
	s_delay_alu instid0(VALU_DEP_1)
	v_dual_cndmask_b32 v3, 0, v3 :: v_dual_cndmask_b32 v2, 0, v2
	s_branch .LBB30_2942
.LBB30_2941:
	s_mov_b32 s1, -1
                                        ; implicit-def: $vgpr2_vgpr3
.LBB30_2942:
	s_mov_b32 s10, 0
.LBB30_2943:
	s_delay_alu instid0(SALU_CYCLE_1)
	s_and_b32 vcc_lo, exec_lo, s10
	s_cbranch_vccz .LBB30_2947
; %bb.2944:
	s_cmp_eq_u32 s0, 29
	s_cbranch_scc0 .LBB30_2946
; %bb.2945:
	global_load_b64 v[2:3], v[4:5], off
	s_mov_b32 s1, 0
	s_mov_b32 s5, -1
	s_branch .LBB30_2947
.LBB30_2946:
	s_mov_b32 s1, -1
                                        ; implicit-def: $vgpr2_vgpr3
.LBB30_2947:
	s_mov_b32 s10, 0
.LBB30_2948:
	s_delay_alu instid0(SALU_CYCLE_1)
	s_and_b32 vcc_lo, exec_lo, s10
	s_cbranch_vccz .LBB30_2964
; %bb.2949:
	s_cmp_lt_i32 s0, 27
	s_cbranch_scc1 .LBB30_2952
; %bb.2950:
	s_cmp_gt_i32 s0, 27
	s_cbranch_scc0 .LBB30_2953
; %bb.2951:
	s_wait_loadcnt 0x0
	global_load_b32 v2, v[4:5], off
	v_mov_b32_e32 v3, 0
	s_mov_b32 s5, 0
	s_branch .LBB30_2954
.LBB30_2952:
	s_mov_b32 s5, -1
                                        ; implicit-def: $vgpr2_vgpr3
	s_branch .LBB30_2957
.LBB30_2953:
	s_mov_b32 s5, -1
                                        ; implicit-def: $vgpr2_vgpr3
.LBB30_2954:
	s_delay_alu instid0(SALU_CYCLE_1)
	s_and_not1_b32 vcc_lo, exec_lo, s5
	s_cbranch_vccnz .LBB30_2956
; %bb.2955:
	s_wait_loadcnt 0x0
	global_load_u16 v2, v[4:5], off
	s_mov_b32 s5, 0
	s_delay_alu instid0(SALU_CYCLE_1)
	v_mov_b32_e32 v3, s5
	s_wait_loadcnt 0x0
	v_and_b32_e32 v2, 0xffff, v2
.LBB30_2956:
	s_mov_b32 s5, 0
.LBB30_2957:
	s_delay_alu instid0(SALU_CYCLE_1)
	s_and_not1_b32 vcc_lo, exec_lo, s5
	s_cbranch_vccnz .LBB30_2963
; %bb.2958:
	global_load_u8 v6, v[4:5], off
	s_mov_b32 s10, 0
	s_mov_b32 s5, exec_lo
	s_wait_loadcnt 0x0
	v_cmpx_lt_i16_e32 0x7f, v6
	s_xor_b32 s5, exec_lo, s5
	s_cbranch_execz .LBB30_2974
; %bb.2959:
	v_cmp_ne_u16_e32 vcc_lo, 0x80, v6
	s_and_b32 s10, vcc_lo, exec_lo
	s_and_not1_saveexec_b32 s5, s5
	s_cbranch_execnz .LBB30_2975
.LBB30_2960:
	s_or_b32 exec_lo, exec_lo, s5
	v_mov_b64_e32 v[2:3], 0
	s_and_saveexec_b32 s5, s10
	s_cbranch_execz .LBB30_2962
.LBB30_2961:
	v_and_b32_e32 v2, 0xffff, v6
	s_delay_alu instid0(VALU_DEP_1) | instskip(SKIP_1) | instid1(VALU_DEP_2)
	v_and_b32_e32 v3, 7, v2
	v_bfe_u32 v9, v2, 3, 4
	v_clz_i32_u32_e32 v7, v3
	s_delay_alu instid0(VALU_DEP_2) | instskip(NEXT) | instid1(VALU_DEP_2)
	v_cmp_eq_u32_e32 vcc_lo, 0, v9
	v_min_u32_e32 v7, 32, v7
	s_delay_alu instid0(VALU_DEP_1) | instskip(NEXT) | instid1(VALU_DEP_1)
	v_subrev_nc_u32_e32 v8, 28, v7
	v_dual_lshlrev_b32 v2, v8, v2 :: v_dual_sub_nc_u32 v7, 29, v7
	s_delay_alu instid0(VALU_DEP_1) | instskip(NEXT) | instid1(VALU_DEP_2)
	v_and_b32_e32 v2, 7, v2
	v_dual_cndmask_b32 v7, v9, v7 :: v_dual_lshlrev_b32 v6, 24, v6
	s_delay_alu instid0(VALU_DEP_2) | instskip(NEXT) | instid1(VALU_DEP_2)
	v_cndmask_b32_e32 v2, v3, v2, vcc_lo
	v_and_b32_e32 v3, 0x80000000, v6
	s_delay_alu instid0(VALU_DEP_3) | instskip(NEXT) | instid1(VALU_DEP_3)
	v_lshl_add_u32 v6, v7, 23, 0x3b800000
	v_lshlrev_b32_e32 v2, 20, v2
	s_delay_alu instid0(VALU_DEP_1) | instskip(NEXT) | instid1(VALU_DEP_1)
	v_or3_b32 v2, v3, v6, v2
	v_trunc_f32_e32 v2, v2
	s_delay_alu instid0(VALU_DEP_1) | instskip(NEXT) | instid1(VALU_DEP_1)
	v_mul_f32_e64 v3, 0x2f800000, |v2|
	v_floor_f32_e32 v3, v3
	s_delay_alu instid0(VALU_DEP_1) | instskip(SKIP_2) | instid1(VALU_DEP_3)
	v_fma_f32 v6, 0xcf800000, v3, |v2|
	v_ashrrev_i32_e32 v2, 31, v2
	v_cvt_u32_f32_e32 v7, v3
	v_cvt_u32_f32_e32 v6, v6
	s_delay_alu instid0(VALU_DEP_2) | instskip(NEXT) | instid1(VALU_DEP_2)
	v_dual_mov_b32 v3, v2 :: v_dual_bitop2_b32 v7, v7, v2 bitop3:0x14
	v_xor_b32_e32 v6, v6, v2
	s_delay_alu instid0(VALU_DEP_1)
	v_sub_nc_u64_e32 v[2:3], v[6:7], v[2:3]
.LBB30_2962:
	s_or_b32 exec_lo, exec_lo, s5
.LBB30_2963:
	s_mov_b32 s5, -1
.LBB30_2964:
	s_branch .LBB30_2995
.LBB30_2965:
	s_cmp_gt_i32 s0, 22
	s_cbranch_scc0 .LBB30_2973
; %bb.2966:
	s_cmp_lt_i32 s0, 24
	s_cbranch_scc1 .LBB30_2976
; %bb.2967:
	s_cmp_gt_i32 s0, 24
	s_cbranch_scc0 .LBB30_2977
; %bb.2968:
	global_load_u8 v6, v[4:5], off
	s_mov_b32 s5, 0
	s_mov_b32 s4, exec_lo
	s_wait_loadcnt 0x0
	v_cmpx_lt_i16_e32 0x7f, v6
	s_xor_b32 s4, exec_lo, s4
	s_cbranch_execz .LBB30_2989
; %bb.2969:
	v_cmp_ne_u16_e32 vcc_lo, 0x80, v6
	s_and_b32 s5, vcc_lo, exec_lo
	s_and_not1_saveexec_b32 s4, s4
	s_cbranch_execnz .LBB30_2990
.LBB30_2970:
	s_or_b32 exec_lo, exec_lo, s4
	v_mov_b64_e32 v[2:3], 0
	s_and_saveexec_b32 s4, s5
	s_cbranch_execz .LBB30_2972
.LBB30_2971:
	v_and_b32_e32 v2, 0xffff, v6
	s_delay_alu instid0(VALU_DEP_1) | instskip(SKIP_1) | instid1(VALU_DEP_2)
	v_and_b32_e32 v3, 3, v2
	v_bfe_u32 v9, v2, 2, 5
	v_clz_i32_u32_e32 v7, v3
	s_delay_alu instid0(VALU_DEP_2) | instskip(NEXT) | instid1(VALU_DEP_2)
	v_cmp_eq_u32_e32 vcc_lo, 0, v9
	v_min_u32_e32 v7, 32, v7
	s_delay_alu instid0(VALU_DEP_1) | instskip(NEXT) | instid1(VALU_DEP_1)
	v_subrev_nc_u32_e32 v8, 29, v7
	v_dual_lshlrev_b32 v2, v8, v2 :: v_dual_sub_nc_u32 v7, 30, v7
	s_delay_alu instid0(VALU_DEP_1) | instskip(NEXT) | instid1(VALU_DEP_2)
	v_and_b32_e32 v2, 3, v2
	v_dual_cndmask_b32 v7, v9, v7 :: v_dual_lshlrev_b32 v6, 24, v6
	s_delay_alu instid0(VALU_DEP_2) | instskip(NEXT) | instid1(VALU_DEP_2)
	v_cndmask_b32_e32 v2, v3, v2, vcc_lo
	v_and_b32_e32 v3, 0x80000000, v6
	s_delay_alu instid0(VALU_DEP_3) | instskip(NEXT) | instid1(VALU_DEP_3)
	v_lshl_add_u32 v6, v7, 23, 0x37800000
	v_lshlrev_b32_e32 v2, 21, v2
	s_delay_alu instid0(VALU_DEP_1) | instskip(NEXT) | instid1(VALU_DEP_1)
	v_or3_b32 v2, v3, v6, v2
	v_trunc_f32_e32 v2, v2
	s_delay_alu instid0(VALU_DEP_1) | instskip(NEXT) | instid1(VALU_DEP_1)
	v_mul_f32_e64 v3, 0x2f800000, |v2|
	v_floor_f32_e32 v3, v3
	s_delay_alu instid0(VALU_DEP_1) | instskip(SKIP_2) | instid1(VALU_DEP_3)
	v_fma_f32 v6, 0xcf800000, v3, |v2|
	v_ashrrev_i32_e32 v2, 31, v2
	v_cvt_u32_f32_e32 v7, v3
	v_cvt_u32_f32_e32 v6, v6
	s_delay_alu instid0(VALU_DEP_2) | instskip(NEXT) | instid1(VALU_DEP_2)
	v_dual_mov_b32 v3, v2 :: v_dual_bitop2_b32 v7, v7, v2 bitop3:0x14
	v_xor_b32_e32 v6, v6, v2
	s_delay_alu instid0(VALU_DEP_1)
	v_sub_nc_u64_e32 v[2:3], v[6:7], v[2:3]
.LBB30_2972:
	s_or_b32 exec_lo, exec_lo, s4
	s_mov_b32 s4, 0
	s_branch .LBB30_2978
.LBB30_2973:
	s_mov_b32 s4, -1
                                        ; implicit-def: $vgpr2_vgpr3
	s_branch .LBB30_2984
.LBB30_2974:
	s_and_not1_saveexec_b32 s5, s5
	s_cbranch_execz .LBB30_2960
.LBB30_2975:
	v_cmp_ne_u16_e32 vcc_lo, 0, v6
	s_and_not1_b32 s10, s10, exec_lo
	s_and_b32 s11, vcc_lo, exec_lo
	s_delay_alu instid0(SALU_CYCLE_1)
	s_or_b32 s10, s10, s11
	s_or_b32 exec_lo, exec_lo, s5
	v_mov_b64_e32 v[2:3], 0
	s_and_saveexec_b32 s5, s10
	s_cbranch_execnz .LBB30_2961
	s_branch .LBB30_2962
.LBB30_2976:
	s_mov_b32 s4, -1
                                        ; implicit-def: $vgpr2_vgpr3
	s_branch .LBB30_2981
.LBB30_2977:
	s_mov_b32 s4, -1
                                        ; implicit-def: $vgpr2_vgpr3
.LBB30_2978:
	s_delay_alu instid0(SALU_CYCLE_1)
	s_and_b32 vcc_lo, exec_lo, s4
	s_cbranch_vccz .LBB30_2980
; %bb.2979:
	s_wait_loadcnt 0x0
	global_load_u8 v2, v[4:5], off
	s_wait_loadcnt 0x0
	v_lshlrev_b32_e32 v2, 24, v2
	s_delay_alu instid0(VALU_DEP_1) | instskip(NEXT) | instid1(VALU_DEP_1)
	v_and_b32_e32 v3, 0x7f000000, v2
	v_clz_i32_u32_e32 v6, v3
	v_cmp_ne_u32_e32 vcc_lo, 0, v3
	v_add_nc_u32_e32 v8, 0x1000000, v3
	s_delay_alu instid0(VALU_DEP_3) | instskip(NEXT) | instid1(VALU_DEP_1)
	v_min_u32_e32 v6, 32, v6
	v_sub_nc_u32_e64 v6, v6, 4 clamp
	s_delay_alu instid0(VALU_DEP_1) | instskip(NEXT) | instid1(VALU_DEP_1)
	v_dual_lshlrev_b32 v7, v6, v3 :: v_dual_lshlrev_b32 v6, 23, v6
	v_lshrrev_b32_e32 v7, 4, v7
	s_delay_alu instid0(VALU_DEP_1) | instskip(NEXT) | instid1(VALU_DEP_1)
	v_dual_sub_nc_u32 v6, v7, v6 :: v_dual_ashrrev_i32 v7, 8, v8
	v_add_nc_u32_e32 v6, 0x3c000000, v6
	s_delay_alu instid0(VALU_DEP_1) | instskip(NEXT) | instid1(VALU_DEP_1)
	v_and_or_b32 v6, 0x7f800000, v7, v6
	v_cndmask_b32_e32 v3, 0, v6, vcc_lo
	s_delay_alu instid0(VALU_DEP_1) | instskip(NEXT) | instid1(VALU_DEP_1)
	v_and_or_b32 v2, 0x80000000, v2, v3
	v_trunc_f32_e32 v2, v2
	s_delay_alu instid0(VALU_DEP_1) | instskip(NEXT) | instid1(VALU_DEP_1)
	v_mul_f32_e64 v3, 0x2f800000, |v2|
	v_floor_f32_e32 v3, v3
	s_delay_alu instid0(VALU_DEP_1) | instskip(SKIP_2) | instid1(VALU_DEP_3)
	v_fma_f32 v6, 0xcf800000, v3, |v2|
	v_ashrrev_i32_e32 v2, 31, v2
	v_cvt_u32_f32_e32 v7, v3
	v_cvt_u32_f32_e32 v6, v6
	s_delay_alu instid0(VALU_DEP_2) | instskip(NEXT) | instid1(VALU_DEP_2)
	v_dual_mov_b32 v3, v2 :: v_dual_bitop2_b32 v7, v7, v2 bitop3:0x14
	v_xor_b32_e32 v6, v6, v2
	s_delay_alu instid0(VALU_DEP_1)
	v_sub_nc_u64_e32 v[2:3], v[6:7], v[2:3]
.LBB30_2980:
	s_mov_b32 s4, 0
.LBB30_2981:
	s_delay_alu instid0(SALU_CYCLE_1)
	s_and_not1_b32 vcc_lo, exec_lo, s4
	s_cbranch_vccnz .LBB30_2983
; %bb.2982:
	s_wait_loadcnt 0x0
	global_load_u8 v2, v[4:5], off
	s_wait_loadcnt 0x0
	v_lshlrev_b32_e32 v3, 25, v2
	v_lshlrev_b16 v2, 8, v2
	s_delay_alu instid0(VALU_DEP_1) | instskip(SKIP_1) | instid1(VALU_DEP_2)
	v_and_or_b32 v7, 0x7f00, v2, 0.5
	v_bfe_i32 v2, v2, 0, 16
	v_add_f32_e32 v7, -0.5, v7
	v_lshrrev_b32_e32 v6, 4, v3
	v_cmp_gt_u32_e32 vcc_lo, 0x8000000, v3
	s_delay_alu instid0(VALU_DEP_2) | instskip(NEXT) | instid1(VALU_DEP_1)
	v_or_b32_e32 v6, 0x70000000, v6
	v_mul_f32_e32 v6, 0x7800000, v6
	s_delay_alu instid0(VALU_DEP_1) | instskip(NEXT) | instid1(VALU_DEP_1)
	v_cndmask_b32_e32 v3, v6, v7, vcc_lo
	v_and_or_b32 v2, 0x80000000, v2, v3
	s_delay_alu instid0(VALU_DEP_1) | instskip(NEXT) | instid1(VALU_DEP_1)
	v_trunc_f32_e32 v2, v2
	v_mul_f32_e64 v3, 0x2f800000, |v2|
	s_delay_alu instid0(VALU_DEP_1) | instskip(NEXT) | instid1(VALU_DEP_1)
	v_floor_f32_e32 v3, v3
	v_fma_f32 v6, 0xcf800000, v3, |v2|
	v_ashrrev_i32_e32 v2, 31, v2
	v_cvt_u32_f32_e32 v7, v3
	s_delay_alu instid0(VALU_DEP_3) | instskip(NEXT) | instid1(VALU_DEP_2)
	v_cvt_u32_f32_e32 v6, v6
	v_dual_mov_b32 v3, v2 :: v_dual_bitop2_b32 v7, v7, v2 bitop3:0x14
	s_delay_alu instid0(VALU_DEP_2) | instskip(NEXT) | instid1(VALU_DEP_1)
	v_xor_b32_e32 v6, v6, v2
	v_sub_nc_u64_e32 v[2:3], v[6:7], v[2:3]
.LBB30_2983:
	s_mov_b32 s4, 0
	s_mov_b32 s5, -1
.LBB30_2984:
	s_and_not1_b32 vcc_lo, exec_lo, s4
	s_mov_b32 s4, 0
	s_cbranch_vccnz .LBB30_2995
; %bb.2985:
	s_cmp_gt_i32 s0, 14
	s_cbranch_scc0 .LBB30_2988
; %bb.2986:
	s_cmp_eq_u32 s0, 15
	s_cbranch_scc0 .LBB30_2991
; %bb.2987:
	s_wait_loadcnt 0x0
	global_load_u16 v2, v[4:5], off
	s_mov_b32 s1, 0
	s_mov_b32 s5, -1
	s_wait_loadcnt 0x0
	v_lshlrev_b32_e32 v2, 16, v2
	s_delay_alu instid0(VALU_DEP_1) | instskip(NEXT) | instid1(VALU_DEP_1)
	v_trunc_f32_e32 v2, v2
	v_mul_f32_e64 v3, 0x2f800000, |v2|
	s_delay_alu instid0(VALU_DEP_1) | instskip(NEXT) | instid1(VALU_DEP_1)
	v_floor_f32_e32 v3, v3
	v_fma_f32 v6, 0xcf800000, v3, |v2|
	v_ashrrev_i32_e32 v2, 31, v2
	v_cvt_u32_f32_e32 v7, v3
	s_delay_alu instid0(VALU_DEP_3) | instskip(NEXT) | instid1(VALU_DEP_2)
	v_cvt_u32_f32_e32 v6, v6
	v_dual_mov_b32 v3, v2 :: v_dual_bitop2_b32 v7, v7, v2 bitop3:0x14
	s_delay_alu instid0(VALU_DEP_2) | instskip(NEXT) | instid1(VALU_DEP_1)
	v_xor_b32_e32 v6, v6, v2
	v_sub_nc_u64_e32 v[2:3], v[6:7], v[2:3]
	s_branch .LBB30_2993
.LBB30_2988:
	s_mov_b32 s4, -1
	s_branch .LBB30_2992
.LBB30_2989:
	s_and_not1_saveexec_b32 s4, s4
	s_cbranch_execz .LBB30_2970
.LBB30_2990:
	v_cmp_ne_u16_e32 vcc_lo, 0, v6
	s_and_not1_b32 s5, s5, exec_lo
	s_and_b32 s10, vcc_lo, exec_lo
	s_delay_alu instid0(SALU_CYCLE_1)
	s_or_b32 s5, s5, s10
	s_or_b32 exec_lo, exec_lo, s4
	v_mov_b64_e32 v[2:3], 0
	s_and_saveexec_b32 s4, s5
	s_cbranch_execnz .LBB30_2971
	s_branch .LBB30_2972
.LBB30_2991:
	s_mov_b32 s1, -1
.LBB30_2992:
                                        ; implicit-def: $vgpr2_vgpr3
.LBB30_2993:
	s_and_b32 vcc_lo, exec_lo, s4
	s_mov_b32 s4, 0
	s_cbranch_vccz .LBB30_2995
; %bb.2994:
	s_cmp_lg_u32 s0, 11
	s_mov_b32 s4, -1
	s_cselect_b32 s1, -1, 0
.LBB30_2995:
	s_delay_alu instid0(SALU_CYCLE_1)
	s_and_b32 vcc_lo, exec_lo, s1
	s_cbranch_vccnz .LBB30_3058
; %bb.2996:
	s_and_not1_b32 vcc_lo, exec_lo, s4
	s_cbranch_vccnz .LBB30_2998
.LBB30_2997:
	s_wait_loadcnt 0x0
	global_load_u8 v2, v[4:5], off
	s_mov_b32 s0, 0
	s_mov_b32 s5, -1
	v_mov_b32_e32 v3, s0
	s_wait_loadcnt 0x0
	v_cmp_ne_u16_e32 vcc_lo, 0, v2
	v_cndmask_b32_e64 v2, 0, 1, vcc_lo
.LBB30_2998:
	s_branch .LBB30_2930
.LBB30_2999:
	s_and_b32 s0, 0xffff, s31
	s_delay_alu instid0(SALU_CYCLE_1)
	s_cmp_lt_i32 s0, 5
	s_cbranch_scc1 .LBB30_3004
; %bb.3000:
	s_cmp_lt_i32 s0, 8
	s_cbranch_scc1 .LBB30_3005
; %bb.3001:
	;; [unrolled: 3-line block ×3, first 2 shown]
	s_cmp_gt_i32 s0, 9
	s_cbranch_scc0 .LBB30_3007
; %bb.3003:
	s_wait_loadcnt 0x0
	global_load_b64 v[2:3], v[4:5], off
	s_mov_b32 s1, 0
	s_wait_loadcnt 0x0
	v_trunc_f64_e32 v[2:3], v[2:3]
	s_delay_alu instid0(VALU_DEP_1) | instskip(NEXT) | instid1(VALU_DEP_1)
	v_ldexp_f64 v[6:7], v[2:3], 0xffffffe0
	v_floor_f64_e32 v[6:7], v[6:7]
	s_delay_alu instid0(VALU_DEP_1) | instskip(SKIP_1) | instid1(VALU_DEP_2)
	v_fmamk_f64 v[8:9], v[6:7], 0xc1f00000, v[2:3]
	v_cvt_i32_f64_e32 v3, v[6:7]
	v_cvt_u32_f64_e32 v2, v[8:9]
	s_branch .LBB30_3008
.LBB30_3004:
                                        ; implicit-def: $vgpr2_vgpr3
	s_branch .LBB30_3026
.LBB30_3005:
	s_mov_b32 s1, -1
                                        ; implicit-def: $vgpr2_vgpr3
	s_branch .LBB30_3014
.LBB30_3006:
	s_mov_b32 s1, -1
                                        ; implicit-def: $vgpr2_vgpr3
	s_branch .LBB30_3011
.LBB30_3007:
	s_mov_b32 s1, -1
                                        ; implicit-def: $vgpr2_vgpr3
.LBB30_3008:
	s_delay_alu instid0(SALU_CYCLE_1)
	s_and_not1_b32 vcc_lo, exec_lo, s1
	s_cbranch_vccnz .LBB30_3010
; %bb.3009:
	s_wait_loadcnt 0x0
	global_load_b32 v2, v[4:5], off
	s_wait_loadcnt 0x0
	v_trunc_f32_e32 v2, v2
	s_delay_alu instid0(VALU_DEP_1) | instskip(NEXT) | instid1(VALU_DEP_1)
	v_mul_f32_e64 v3, 0x2f800000, |v2|
	v_floor_f32_e32 v3, v3
	s_delay_alu instid0(VALU_DEP_1) | instskip(SKIP_2) | instid1(VALU_DEP_3)
	v_fma_f32 v6, 0xcf800000, v3, |v2|
	v_ashrrev_i32_e32 v2, 31, v2
	v_cvt_u32_f32_e32 v7, v3
	v_cvt_u32_f32_e32 v6, v6
	s_delay_alu instid0(VALU_DEP_2) | instskip(NEXT) | instid1(VALU_DEP_2)
	v_dual_mov_b32 v3, v2 :: v_dual_bitop2_b32 v7, v7, v2 bitop3:0x14
	v_xor_b32_e32 v6, v6, v2
	s_delay_alu instid0(VALU_DEP_1)
	v_sub_nc_u64_e32 v[2:3], v[6:7], v[2:3]
.LBB30_3010:
	s_mov_b32 s1, 0
.LBB30_3011:
	s_delay_alu instid0(SALU_CYCLE_1)
	s_and_not1_b32 vcc_lo, exec_lo, s1
	s_cbranch_vccnz .LBB30_3013
; %bb.3012:
	s_wait_loadcnt 0x0
	global_load_b32 v2, v[4:5], off
	s_wait_loadcnt 0x0
	v_cvt_f32_f16_e32 v2, v2
	s_delay_alu instid0(VALU_DEP_1) | instskip(NEXT) | instid1(VALU_DEP_1)
	v_cvt_i32_f32_e32 v2, v2
	v_ashrrev_i32_e32 v3, 31, v2
.LBB30_3013:
	s_mov_b32 s1, 0
.LBB30_3014:
	s_delay_alu instid0(SALU_CYCLE_1)
	s_and_not1_b32 vcc_lo, exec_lo, s1
	s_cbranch_vccnz .LBB30_3025
; %bb.3015:
	s_cmp_lt_i32 s0, 6
	s_cbranch_scc1 .LBB30_3018
; %bb.3016:
	s_cmp_gt_i32 s0, 6
	s_cbranch_scc0 .LBB30_3019
; %bb.3017:
	s_wait_loadcnt 0x0
	global_load_b64 v[2:3], v[4:5], off
	s_mov_b32 s1, 0
	s_wait_loadcnt 0x0
	v_trunc_f64_e32 v[2:3], v[2:3]
	s_delay_alu instid0(VALU_DEP_1) | instskip(NEXT) | instid1(VALU_DEP_1)
	v_ldexp_f64 v[6:7], v[2:3], 0xffffffe0
	v_floor_f64_e32 v[6:7], v[6:7]
	s_delay_alu instid0(VALU_DEP_1) | instskip(SKIP_1) | instid1(VALU_DEP_2)
	v_fmamk_f64 v[8:9], v[6:7], 0xc1f00000, v[2:3]
	v_cvt_i32_f64_e32 v3, v[6:7]
	v_cvt_u32_f64_e32 v2, v[8:9]
	s_branch .LBB30_3020
.LBB30_3018:
	s_mov_b32 s1, -1
                                        ; implicit-def: $vgpr2_vgpr3
	s_branch .LBB30_3023
.LBB30_3019:
	s_mov_b32 s1, -1
                                        ; implicit-def: $vgpr2_vgpr3
.LBB30_3020:
	s_delay_alu instid0(SALU_CYCLE_1)
	s_and_not1_b32 vcc_lo, exec_lo, s1
	s_cbranch_vccnz .LBB30_3022
; %bb.3021:
	s_wait_loadcnt 0x0
	global_load_b32 v2, v[4:5], off
	s_wait_loadcnt 0x0
	v_trunc_f32_e32 v2, v2
	s_delay_alu instid0(VALU_DEP_1) | instskip(NEXT) | instid1(VALU_DEP_1)
	v_mul_f32_e64 v3, 0x2f800000, |v2|
	v_floor_f32_e32 v3, v3
	s_delay_alu instid0(VALU_DEP_1) | instskip(SKIP_2) | instid1(VALU_DEP_3)
	v_fma_f32 v6, 0xcf800000, v3, |v2|
	v_ashrrev_i32_e32 v2, 31, v2
	v_cvt_u32_f32_e32 v7, v3
	v_cvt_u32_f32_e32 v6, v6
	s_delay_alu instid0(VALU_DEP_2) | instskip(NEXT) | instid1(VALU_DEP_2)
	v_dual_mov_b32 v3, v2 :: v_dual_bitop2_b32 v7, v7, v2 bitop3:0x14
	v_xor_b32_e32 v6, v6, v2
	s_delay_alu instid0(VALU_DEP_1)
	v_sub_nc_u64_e32 v[2:3], v[6:7], v[2:3]
.LBB30_3022:
	s_mov_b32 s1, 0
.LBB30_3023:
	s_delay_alu instid0(SALU_CYCLE_1)
	s_and_not1_b32 vcc_lo, exec_lo, s1
	s_cbranch_vccnz .LBB30_3025
; %bb.3024:
	s_wait_loadcnt 0x0
	global_load_u16 v2, v[4:5], off
	s_wait_loadcnt 0x0
	v_cvt_f32_f16_e32 v2, v2
	s_delay_alu instid0(VALU_DEP_1) | instskip(NEXT) | instid1(VALU_DEP_1)
	v_cvt_i32_f32_e32 v2, v2
	v_ashrrev_i32_e32 v3, 31, v2
.LBB30_3025:
	s_cbranch_execnz .LBB30_3045
.LBB30_3026:
	s_cmp_lt_i32 s0, 2
	s_cbranch_scc1 .LBB30_3030
; %bb.3027:
	s_cmp_lt_i32 s0, 3
	s_cbranch_scc1 .LBB30_3031
; %bb.3028:
	s_cmp_gt_i32 s0, 3
	s_cbranch_scc0 .LBB30_3032
; %bb.3029:
	s_wait_loadcnt 0x0
	global_load_b64 v[2:3], v[4:5], off
	s_mov_b32 s1, 0
	s_branch .LBB30_3033
.LBB30_3030:
	s_mov_b32 s1, -1
                                        ; implicit-def: $vgpr2_vgpr3
	s_branch .LBB30_3039
.LBB30_3031:
	s_mov_b32 s1, -1
                                        ; implicit-def: $vgpr2_vgpr3
	s_branch .LBB30_3036
.LBB30_3032:
	s_mov_b32 s1, -1
                                        ; implicit-def: $vgpr2_vgpr3
.LBB30_3033:
	s_delay_alu instid0(SALU_CYCLE_1)
	s_and_not1_b32 vcc_lo, exec_lo, s1
	s_cbranch_vccnz .LBB30_3035
; %bb.3034:
	s_wait_loadcnt 0x0
	global_load_b32 v2, v[4:5], off
	s_wait_loadcnt 0x0
	v_ashrrev_i32_e32 v3, 31, v2
.LBB30_3035:
	s_mov_b32 s1, 0
.LBB30_3036:
	s_delay_alu instid0(SALU_CYCLE_1)
	s_and_not1_b32 vcc_lo, exec_lo, s1
	s_cbranch_vccnz .LBB30_3038
; %bb.3037:
	s_wait_loadcnt 0x0
	global_load_u16 v2, v[4:5], off
	s_wait_loadcnt 0x0
	v_bfe_i32 v2, v2, 0, 16
	s_delay_alu instid0(VALU_DEP_1)
	v_ashrrev_i32_e32 v3, 31, v2
.LBB30_3038:
	s_mov_b32 s1, 0
.LBB30_3039:
	s_delay_alu instid0(SALU_CYCLE_1)
	s_and_not1_b32 vcc_lo, exec_lo, s1
	s_cbranch_vccnz .LBB30_3045
; %bb.3040:
	s_cmp_gt_i32 s0, 0
	s_mov_b32 s0, 0
	s_cbranch_scc0 .LBB30_3042
; %bb.3041:
	s_wait_loadcnt 0x0
	global_load_i8 v2, v[4:5], off
	s_wait_loadcnt 0x0
	v_bfe_i32 v2, v2, 0, 16
	s_delay_alu instid0(VALU_DEP_1)
	v_ashrrev_i32_e32 v3, 31, v2
	s_branch .LBB30_3043
.LBB30_3042:
	s_mov_b32 s0, -1
                                        ; implicit-def: $vgpr2_vgpr3
.LBB30_3043:
	s_delay_alu instid0(SALU_CYCLE_1)
	s_and_not1_b32 vcc_lo, exec_lo, s0
	s_cbranch_vccnz .LBB30_3045
; %bb.3044:
	s_wait_loadcnt 0x0
	global_load_u8 v2, v[4:5], off
	s_mov_b32 s0, 0
	s_delay_alu instid0(SALU_CYCLE_1)
	v_mov_b32_e32 v3, s0
	s_wait_loadcnt 0x0
	v_and_b32_e32 v2, 0xffff, v2
.LBB30_3045:
.LBB30_3046:
	s_wait_xcnt 0x0
	v_mov_b32_e32 v4, 0
	s_clause 0x1
	s_load_b32 s48, s[28:29], 0x3c
	s_load_b64 s[10:11], s[28:29], 0x18
	global_load_u8 v8, v4, s[28:29] offset:243
	s_wait_kmcnt 0x0
	v_mul_lo_u32 v4, s48, v26
	s_delay_alu instid0(VALU_DEP_1) | instskip(SKIP_3) | instid1(VALU_DEP_2)
	v_ashrrev_i32_e32 v5, 31, v4
	s_wait_loadcnt 0x0
	v_and_b32_e32 v6, 0xffff, v8
	v_readfirstlane_b32 s49, v8
	v_cmp_gt_i32_e32 vcc_lo, 11, v6
	v_add_nc_u64_e32 v[6:7], s[10:11], v[4:5]
	s_cbranch_vccnz .LBB30_3053
; %bb.3047:
	s_and_b32 s0, 0xffff, s49
	s_mov_b32 s4, 0
	s_cmp_gt_i32 s0, 25
	s_cbranch_scc0 .LBB30_3055
; %bb.3048:
	s_cmp_gt_i32 s0, 28
	s_cbranch_scc0 .LBB30_3056
; %bb.3049:
	;; [unrolled: 3-line block ×4, first 2 shown]
	s_cmp_eq_u32 s0, 46
	s_mov_b32 s12, 0
	s_cbranch_scc0 .LBB30_3060
; %bb.3052:
	global_load_b32 v5, v[6:7], off
	s_mov_b32 s1, 0
	s_mov_b32 s5, -1
	s_wait_loadcnt 0x0
	v_lshlrev_b32_e32 v5, 16, v5
	s_delay_alu instid0(VALU_DEP_1) | instskip(NEXT) | instid1(VALU_DEP_1)
	v_trunc_f32_e32 v5, v5
	v_mul_f32_e64 v8, 0x2f800000, |v5|
	s_delay_alu instid0(VALU_DEP_1) | instskip(SKIP_1) | instid1(VALU_DEP_2)
	v_floor_f32_e32 v9, v8
	v_ashrrev_i32_e32 v8, 31, v5
	v_fma_f32 v10, 0xcf800000, v9, |v5|
	v_cvt_u32_f32_e32 v5, v9
	s_delay_alu instid0(VALU_DEP_3) | instskip(NEXT) | instid1(VALU_DEP_3)
	v_mov_b32_e32 v9, v8
	v_cvt_u32_f32_e32 v10, v10
	s_delay_alu instid0(VALU_DEP_3) | instskip(NEXT) | instid1(VALU_DEP_2)
	v_xor_b32_e32 v11, v5, v8
	v_xor_b32_e32 v10, v10, v8
	s_delay_alu instid0(VALU_DEP_1)
	v_sub_nc_u64_e32 v[8:9], v[10:11], v[8:9]
	s_branch .LBB30_3062
.LBB30_3053:
	s_mov_b32 s5, 0
                                        ; implicit-def: $vgpr8_vgpr9
	s_cbranch_execnz .LBB30_3124
.LBB30_3054:
	s_and_not1_b32 vcc_lo, exec_lo, s5
	s_cbranch_vccnz .LBB30_3434
	s_branch .LBB30_3172
.LBB30_3055:
	s_mov_b32 s12, -1
	s_mov_b32 s5, 0
	s_mov_b32 s1, 0
                                        ; implicit-def: $vgpr8_vgpr9
	s_branch .LBB30_3089
.LBB30_3056:
	s_mov_b32 s12, -1
	s_mov_b32 s5, 0
	s_mov_b32 s1, 0
                                        ; implicit-def: $vgpr8_vgpr9
	s_branch .LBB30_3072
.LBB30_3057:
	s_mov_b32 s12, -1
	s_mov_b32 s5, 0
	s_mov_b32 s1, 0
                                        ; implicit-def: $vgpr8_vgpr9
	s_branch .LBB30_3067
.LBB30_3058:
	s_or_b32 s36, s36, exec_lo
	s_trap 2
	s_cbranch_execz .LBB30_2997
	s_branch .LBB30_2998
.LBB30_3059:
	s_mov_b32 s12, -1
	s_mov_b32 s5, 0
	s_mov_b32 s1, 0
	s_branch .LBB30_3061
.LBB30_3060:
	s_mov_b32 s1, -1
	s_mov_b32 s5, 0
.LBB30_3061:
                                        ; implicit-def: $vgpr8_vgpr9
.LBB30_3062:
	s_and_b32 vcc_lo, exec_lo, s12
	s_cbranch_vccz .LBB30_3066
; %bb.3063:
	s_cmp_eq_u32 s0, 44
	s_cbranch_scc0 .LBB30_3065
; %bb.3064:
	global_load_u8 v5, v[6:7], off
	s_mov_b32 s1, 0
	s_mov_b32 s5, -1
	s_wait_loadcnt 0x0
	v_lshlrev_b32_e32 v8, 23, v5
	v_cmp_ne_u32_e32 vcc_lo, 0, v5
	s_delay_alu instid0(VALU_DEP_2) | instskip(NEXT) | instid1(VALU_DEP_1)
	v_trunc_f32_e32 v8, v8
	v_mul_f32_e64 v9, 0x2f800000, |v8|
	s_delay_alu instid0(VALU_DEP_1) | instskip(NEXT) | instid1(VALU_DEP_1)
	v_floor_f32_e32 v9, v9
	v_fma_f32 v10, 0xcf800000, v9, |v8|
	v_ashrrev_i32_e32 v8, 31, v8
	v_cvt_u32_f32_e32 v11, v9
	s_delay_alu instid0(VALU_DEP_3) | instskip(NEXT) | instid1(VALU_DEP_2)
	v_cvt_u32_f32_e32 v10, v10
	v_dual_mov_b32 v9, v8 :: v_dual_bitop2_b32 v11, v11, v8 bitop3:0x14
	s_delay_alu instid0(VALU_DEP_2) | instskip(NEXT) | instid1(VALU_DEP_1)
	v_xor_b32_e32 v10, v10, v8
	v_sub_nc_u64_e32 v[8:9], v[10:11], v[8:9]
	s_delay_alu instid0(VALU_DEP_1)
	v_dual_cndmask_b32 v9, 0, v9 :: v_dual_cndmask_b32 v8, 0, v8
	s_branch .LBB30_3066
.LBB30_3065:
	s_mov_b32 s1, -1
                                        ; implicit-def: $vgpr8_vgpr9
.LBB30_3066:
	s_mov_b32 s12, 0
.LBB30_3067:
	s_delay_alu instid0(SALU_CYCLE_1)
	s_and_b32 vcc_lo, exec_lo, s12
	s_cbranch_vccz .LBB30_3071
; %bb.3068:
	s_cmp_eq_u32 s0, 29
	s_cbranch_scc0 .LBB30_3070
; %bb.3069:
	global_load_b64 v[8:9], v[6:7], off
	s_mov_b32 s1, 0
	s_mov_b32 s5, -1
	s_branch .LBB30_3071
.LBB30_3070:
	s_mov_b32 s1, -1
                                        ; implicit-def: $vgpr8_vgpr9
.LBB30_3071:
	s_mov_b32 s12, 0
.LBB30_3072:
	s_delay_alu instid0(SALU_CYCLE_1)
	s_and_b32 vcc_lo, exec_lo, s12
	s_cbranch_vccz .LBB30_3088
; %bb.3073:
	s_cmp_lt_i32 s0, 27
	s_cbranch_scc1 .LBB30_3076
; %bb.3074:
	s_cmp_gt_i32 s0, 27
	s_cbranch_scc0 .LBB30_3077
; %bb.3075:
	s_wait_loadcnt 0x0
	global_load_b32 v8, v[6:7], off
	v_mov_b32_e32 v9, 0
	s_mov_b32 s5, 0
	s_branch .LBB30_3078
.LBB30_3076:
	s_mov_b32 s5, -1
                                        ; implicit-def: $vgpr8_vgpr9
	s_branch .LBB30_3081
.LBB30_3077:
	s_mov_b32 s5, -1
                                        ; implicit-def: $vgpr8_vgpr9
.LBB30_3078:
	s_delay_alu instid0(SALU_CYCLE_1)
	s_and_not1_b32 vcc_lo, exec_lo, s5
	s_cbranch_vccnz .LBB30_3080
; %bb.3079:
	global_load_u16 v5, v[6:7], off
	s_mov_b32 s5, 0
	s_wait_loadcnt 0x1
	v_mov_b32_e32 v9, s5
	s_wait_loadcnt 0x0
	v_and_b32_e32 v8, 0xffff, v5
.LBB30_3080:
	s_mov_b32 s5, 0
.LBB30_3081:
	s_delay_alu instid0(SALU_CYCLE_1)
	s_and_not1_b32 vcc_lo, exec_lo, s5
	s_cbranch_vccnz .LBB30_3087
; %bb.3082:
	global_load_u8 v5, v[6:7], off
	s_mov_b32 s12, 0
	s_mov_b32 s5, exec_lo
	s_wait_loadcnt 0x0
	v_cmpx_lt_i16_e32 0x7f, v5
	s_xor_b32 s5, exec_lo, s5
	s_cbranch_execz .LBB30_3099
; %bb.3083:
	v_cmp_ne_u16_e32 vcc_lo, 0x80, v5
	s_and_b32 s12, vcc_lo, exec_lo
	s_and_not1_saveexec_b32 s5, s5
	s_cbranch_execnz .LBB30_3100
.LBB30_3084:
	s_or_b32 exec_lo, exec_lo, s5
	v_mov_b64_e32 v[8:9], 0
	s_and_saveexec_b32 s5, s12
	s_cbranch_execz .LBB30_3086
.LBB30_3085:
	v_and_b32_e32 v8, 0xffff, v5
	s_delay_alu instid0(VALU_DEP_1) | instskip(SKIP_1) | instid1(VALU_DEP_2)
	v_and_b32_e32 v9, 7, v8
	v_bfe_u32 v12, v8, 3, 4
	v_clz_i32_u32_e32 v10, v9
	s_delay_alu instid0(VALU_DEP_2) | instskip(NEXT) | instid1(VALU_DEP_2)
	v_cmp_eq_u32_e32 vcc_lo, 0, v12
	v_min_u32_e32 v10, 32, v10
	s_delay_alu instid0(VALU_DEP_1) | instskip(NEXT) | instid1(VALU_DEP_1)
	v_subrev_nc_u32_e32 v11, 28, v10
	v_dual_lshlrev_b32 v8, v11, v8 :: v_dual_sub_nc_u32 v10, 29, v10
	s_delay_alu instid0(VALU_DEP_1) | instskip(NEXT) | instid1(VALU_DEP_1)
	v_dual_lshlrev_b32 v5, 24, v5 :: v_dual_bitop2_b32 v8, 7, v8 bitop3:0x40
	v_dual_cndmask_b32 v10, v12, v10, vcc_lo :: v_dual_cndmask_b32 v8, v9, v8, vcc_lo
	s_delay_alu instid0(VALU_DEP_2) | instskip(NEXT) | instid1(VALU_DEP_2)
	v_and_b32_e32 v5, 0x80000000, v5
	v_lshl_add_u32 v9, v10, 23, 0x3b800000
	s_delay_alu instid0(VALU_DEP_3) | instskip(NEXT) | instid1(VALU_DEP_1)
	v_lshlrev_b32_e32 v8, 20, v8
	v_or3_b32 v5, v5, v9, v8
	s_delay_alu instid0(VALU_DEP_1) | instskip(NEXT) | instid1(VALU_DEP_1)
	v_trunc_f32_e32 v5, v5
	v_mul_f32_e64 v8, 0x2f800000, |v5|
	s_delay_alu instid0(VALU_DEP_1) | instskip(SKIP_1) | instid1(VALU_DEP_2)
	v_floor_f32_e32 v9, v8
	v_ashrrev_i32_e32 v8, 31, v5
	v_fma_f32 v10, 0xcf800000, v9, |v5|
	v_cvt_u32_f32_e32 v5, v9
	s_delay_alu instid0(VALU_DEP_3) | instskip(NEXT) | instid1(VALU_DEP_3)
	v_mov_b32_e32 v9, v8
	v_cvt_u32_f32_e32 v10, v10
	s_delay_alu instid0(VALU_DEP_3) | instskip(NEXT) | instid1(VALU_DEP_2)
	v_xor_b32_e32 v11, v5, v8
	v_xor_b32_e32 v10, v10, v8
	s_delay_alu instid0(VALU_DEP_1)
	v_sub_nc_u64_e32 v[8:9], v[10:11], v[8:9]
.LBB30_3086:
	s_or_b32 exec_lo, exec_lo, s5
.LBB30_3087:
	s_mov_b32 s5, -1
.LBB30_3088:
	s_mov_b32 s12, 0
.LBB30_3089:
	s_delay_alu instid0(SALU_CYCLE_1)
	s_and_b32 vcc_lo, exec_lo, s12
	s_cbranch_vccz .LBB30_3120
; %bb.3090:
	s_cmp_gt_i32 s0, 22
	s_cbranch_scc0 .LBB30_3098
; %bb.3091:
	s_cmp_lt_i32 s0, 24
	s_cbranch_scc1 .LBB30_3101
; %bb.3092:
	s_cmp_gt_i32 s0, 24
	s_cbranch_scc0 .LBB30_3102
; %bb.3093:
	global_load_u8 v5, v[6:7], off
	s_mov_b32 s5, 0
	s_mov_b32 s4, exec_lo
	s_wait_loadcnt 0x0
	v_cmpx_lt_i16_e32 0x7f, v5
	s_xor_b32 s4, exec_lo, s4
	s_cbranch_execz .LBB30_3114
; %bb.3094:
	v_cmp_ne_u16_e32 vcc_lo, 0x80, v5
	s_and_b32 s5, vcc_lo, exec_lo
	s_and_not1_saveexec_b32 s4, s4
	s_cbranch_execnz .LBB30_3115
.LBB30_3095:
	s_or_b32 exec_lo, exec_lo, s4
	v_mov_b64_e32 v[8:9], 0
	s_and_saveexec_b32 s4, s5
	s_cbranch_execz .LBB30_3097
.LBB30_3096:
	v_and_b32_e32 v8, 0xffff, v5
	s_delay_alu instid0(VALU_DEP_1) | instskip(SKIP_1) | instid1(VALU_DEP_2)
	v_and_b32_e32 v9, 3, v8
	v_bfe_u32 v12, v8, 2, 5
	v_clz_i32_u32_e32 v10, v9
	s_delay_alu instid0(VALU_DEP_2) | instskip(NEXT) | instid1(VALU_DEP_2)
	v_cmp_eq_u32_e32 vcc_lo, 0, v12
	v_min_u32_e32 v10, 32, v10
	s_delay_alu instid0(VALU_DEP_1) | instskip(NEXT) | instid1(VALU_DEP_1)
	v_subrev_nc_u32_e32 v11, 29, v10
	v_dual_lshlrev_b32 v8, v11, v8 :: v_dual_sub_nc_u32 v10, 30, v10
	s_delay_alu instid0(VALU_DEP_1) | instskip(NEXT) | instid1(VALU_DEP_1)
	v_dual_lshlrev_b32 v5, 24, v5 :: v_dual_bitop2_b32 v8, 3, v8 bitop3:0x40
	v_dual_cndmask_b32 v10, v12, v10, vcc_lo :: v_dual_cndmask_b32 v8, v9, v8, vcc_lo
	s_delay_alu instid0(VALU_DEP_2) | instskip(NEXT) | instid1(VALU_DEP_2)
	v_and_b32_e32 v5, 0x80000000, v5
	v_lshl_add_u32 v9, v10, 23, 0x37800000
	s_delay_alu instid0(VALU_DEP_3) | instskip(NEXT) | instid1(VALU_DEP_1)
	v_lshlrev_b32_e32 v8, 21, v8
	v_or3_b32 v5, v5, v9, v8
	s_delay_alu instid0(VALU_DEP_1) | instskip(NEXT) | instid1(VALU_DEP_1)
	v_trunc_f32_e32 v5, v5
	v_mul_f32_e64 v8, 0x2f800000, |v5|
	s_delay_alu instid0(VALU_DEP_1) | instskip(SKIP_1) | instid1(VALU_DEP_2)
	v_floor_f32_e32 v9, v8
	v_ashrrev_i32_e32 v8, 31, v5
	v_fma_f32 v10, 0xcf800000, v9, |v5|
	v_cvt_u32_f32_e32 v5, v9
	s_delay_alu instid0(VALU_DEP_3) | instskip(NEXT) | instid1(VALU_DEP_3)
	v_mov_b32_e32 v9, v8
	v_cvt_u32_f32_e32 v10, v10
	s_delay_alu instid0(VALU_DEP_3) | instskip(NEXT) | instid1(VALU_DEP_2)
	v_xor_b32_e32 v11, v5, v8
	v_xor_b32_e32 v10, v10, v8
	s_delay_alu instid0(VALU_DEP_1)
	v_sub_nc_u64_e32 v[8:9], v[10:11], v[8:9]
.LBB30_3097:
	s_or_b32 exec_lo, exec_lo, s4
	s_mov_b32 s4, 0
	s_branch .LBB30_3103
.LBB30_3098:
	s_mov_b32 s4, -1
                                        ; implicit-def: $vgpr8_vgpr9
	s_branch .LBB30_3109
.LBB30_3099:
	s_and_not1_saveexec_b32 s5, s5
	s_cbranch_execz .LBB30_3084
.LBB30_3100:
	v_cmp_ne_u16_e32 vcc_lo, 0, v5
	s_and_not1_b32 s12, s12, exec_lo
	s_and_b32 s13, vcc_lo, exec_lo
	s_delay_alu instid0(SALU_CYCLE_1)
	s_or_b32 s12, s12, s13
	s_or_b32 exec_lo, exec_lo, s5
	v_mov_b64_e32 v[8:9], 0
	s_and_saveexec_b32 s5, s12
	s_cbranch_execnz .LBB30_3085
	s_branch .LBB30_3086
.LBB30_3101:
	s_mov_b32 s4, -1
                                        ; implicit-def: $vgpr8_vgpr9
	s_branch .LBB30_3106
.LBB30_3102:
	s_mov_b32 s4, -1
                                        ; implicit-def: $vgpr8_vgpr9
.LBB30_3103:
	s_delay_alu instid0(SALU_CYCLE_1)
	s_and_b32 vcc_lo, exec_lo, s4
	s_cbranch_vccz .LBB30_3105
; %bb.3104:
	global_load_u8 v5, v[6:7], off
	s_wait_loadcnt 0x0
	v_lshlrev_b32_e32 v5, 24, v5
	s_delay_alu instid0(VALU_DEP_1) | instskip(NEXT) | instid1(VALU_DEP_1)
	v_and_b32_e32 v8, 0x7f000000, v5
	v_clz_i32_u32_e32 v9, v8
	v_cmp_ne_u32_e32 vcc_lo, 0, v8
	v_add_nc_u32_e32 v11, 0x1000000, v8
	s_delay_alu instid0(VALU_DEP_3) | instskip(NEXT) | instid1(VALU_DEP_1)
	v_min_u32_e32 v9, 32, v9
	v_sub_nc_u32_e64 v9, v9, 4 clamp
	s_delay_alu instid0(VALU_DEP_1) | instskip(NEXT) | instid1(VALU_DEP_1)
	v_dual_lshlrev_b32 v10, v9, v8 :: v_dual_lshlrev_b32 v9, 23, v9
	v_lshrrev_b32_e32 v10, 4, v10
	s_delay_alu instid0(VALU_DEP_1) | instskip(NEXT) | instid1(VALU_DEP_1)
	v_dual_sub_nc_u32 v9, v10, v9 :: v_dual_ashrrev_i32 v10, 8, v11
	v_add_nc_u32_e32 v9, 0x3c000000, v9
	s_delay_alu instid0(VALU_DEP_1) | instskip(NEXT) | instid1(VALU_DEP_1)
	v_and_or_b32 v9, 0x7f800000, v10, v9
	v_cndmask_b32_e32 v8, 0, v9, vcc_lo
	s_delay_alu instid0(VALU_DEP_1) | instskip(NEXT) | instid1(VALU_DEP_1)
	v_and_or_b32 v5, 0x80000000, v5, v8
	v_trunc_f32_e32 v5, v5
	s_delay_alu instid0(VALU_DEP_1) | instskip(NEXT) | instid1(VALU_DEP_1)
	v_mul_f32_e64 v8, 0x2f800000, |v5|
	v_floor_f32_e32 v9, v8
	v_ashrrev_i32_e32 v8, 31, v5
	s_delay_alu instid0(VALU_DEP_2) | instskip(SKIP_1) | instid1(VALU_DEP_3)
	v_fma_f32 v10, 0xcf800000, v9, |v5|
	v_cvt_u32_f32_e32 v5, v9
	v_mov_b32_e32 v9, v8
	s_delay_alu instid0(VALU_DEP_3) | instskip(NEXT) | instid1(VALU_DEP_3)
	v_cvt_u32_f32_e32 v10, v10
	v_xor_b32_e32 v11, v5, v8
	s_delay_alu instid0(VALU_DEP_2) | instskip(NEXT) | instid1(VALU_DEP_1)
	v_xor_b32_e32 v10, v10, v8
	v_sub_nc_u64_e32 v[8:9], v[10:11], v[8:9]
.LBB30_3105:
	s_mov_b32 s4, 0
.LBB30_3106:
	s_delay_alu instid0(SALU_CYCLE_1)
	s_and_not1_b32 vcc_lo, exec_lo, s4
	s_cbranch_vccnz .LBB30_3108
; %bb.3107:
	global_load_u8 v5, v[6:7], off
	s_wait_loadcnt 0x0
	v_lshlrev_b32_e32 v8, 25, v5
	v_lshlrev_b16 v5, 8, v5
	s_delay_alu instid0(VALU_DEP_1) | instskip(SKIP_1) | instid1(VALU_DEP_2)
	v_and_or_b32 v10, 0x7f00, v5, 0.5
	v_bfe_i32 v5, v5, 0, 16
	v_dual_add_f32 v10, -0.5, v10 :: v_dual_lshrrev_b32 v9, 4, v8
	v_cmp_gt_u32_e32 vcc_lo, 0x8000000, v8
	s_delay_alu instid0(VALU_DEP_2) | instskip(NEXT) | instid1(VALU_DEP_1)
	v_or_b32_e32 v9, 0x70000000, v9
	v_mul_f32_e32 v9, 0x7800000, v9
	s_delay_alu instid0(VALU_DEP_1) | instskip(NEXT) | instid1(VALU_DEP_1)
	v_cndmask_b32_e32 v8, v9, v10, vcc_lo
	v_and_or_b32 v5, 0x80000000, v5, v8
	s_delay_alu instid0(VALU_DEP_1) | instskip(NEXT) | instid1(VALU_DEP_1)
	v_trunc_f32_e32 v5, v5
	v_mul_f32_e64 v8, 0x2f800000, |v5|
	s_delay_alu instid0(VALU_DEP_1) | instskip(SKIP_1) | instid1(VALU_DEP_2)
	v_floor_f32_e32 v9, v8
	v_ashrrev_i32_e32 v8, 31, v5
	v_fma_f32 v10, 0xcf800000, v9, |v5|
	v_cvt_u32_f32_e32 v5, v9
	s_delay_alu instid0(VALU_DEP_3) | instskip(NEXT) | instid1(VALU_DEP_3)
	v_mov_b32_e32 v9, v8
	v_cvt_u32_f32_e32 v10, v10
	s_delay_alu instid0(VALU_DEP_3) | instskip(NEXT) | instid1(VALU_DEP_2)
	v_xor_b32_e32 v11, v5, v8
	v_xor_b32_e32 v10, v10, v8
	s_delay_alu instid0(VALU_DEP_1)
	v_sub_nc_u64_e32 v[8:9], v[10:11], v[8:9]
.LBB30_3108:
	s_mov_b32 s4, 0
	s_mov_b32 s5, -1
.LBB30_3109:
	s_and_not1_b32 vcc_lo, exec_lo, s4
	s_mov_b32 s4, 0
	s_cbranch_vccnz .LBB30_3120
; %bb.3110:
	s_cmp_gt_i32 s0, 14
	s_cbranch_scc0 .LBB30_3113
; %bb.3111:
	s_cmp_eq_u32 s0, 15
	s_cbranch_scc0 .LBB30_3116
; %bb.3112:
	global_load_u16 v5, v[6:7], off
	s_mov_b32 s1, 0
	s_mov_b32 s5, -1
	s_wait_loadcnt 0x0
	v_lshlrev_b32_e32 v5, 16, v5
	s_delay_alu instid0(VALU_DEP_1) | instskip(NEXT) | instid1(VALU_DEP_1)
	v_trunc_f32_e32 v5, v5
	v_mul_f32_e64 v8, 0x2f800000, |v5|
	s_delay_alu instid0(VALU_DEP_1) | instskip(SKIP_1) | instid1(VALU_DEP_2)
	v_floor_f32_e32 v9, v8
	v_ashrrev_i32_e32 v8, 31, v5
	v_fma_f32 v10, 0xcf800000, v9, |v5|
	v_cvt_u32_f32_e32 v5, v9
	s_delay_alu instid0(VALU_DEP_3) | instskip(NEXT) | instid1(VALU_DEP_3)
	v_mov_b32_e32 v9, v8
	v_cvt_u32_f32_e32 v10, v10
	s_delay_alu instid0(VALU_DEP_3) | instskip(NEXT) | instid1(VALU_DEP_2)
	v_xor_b32_e32 v11, v5, v8
	v_xor_b32_e32 v10, v10, v8
	s_delay_alu instid0(VALU_DEP_1)
	v_sub_nc_u64_e32 v[8:9], v[10:11], v[8:9]
	s_branch .LBB30_3118
.LBB30_3113:
	s_mov_b32 s4, -1
	s_branch .LBB30_3117
.LBB30_3114:
	s_and_not1_saveexec_b32 s4, s4
	s_cbranch_execz .LBB30_3095
.LBB30_3115:
	v_cmp_ne_u16_e32 vcc_lo, 0, v5
	s_and_not1_b32 s5, s5, exec_lo
	s_and_b32 s12, vcc_lo, exec_lo
	s_delay_alu instid0(SALU_CYCLE_1)
	s_or_b32 s5, s5, s12
	s_or_b32 exec_lo, exec_lo, s4
	v_mov_b64_e32 v[8:9], 0
	s_and_saveexec_b32 s4, s5
	s_cbranch_execnz .LBB30_3096
	s_branch .LBB30_3097
.LBB30_3116:
	s_mov_b32 s1, -1
.LBB30_3117:
                                        ; implicit-def: $vgpr8_vgpr9
.LBB30_3118:
	s_and_b32 vcc_lo, exec_lo, s4
	s_mov_b32 s4, 0
	s_cbranch_vccz .LBB30_3120
; %bb.3119:
	s_cmp_lg_u32 s0, 11
	s_mov_b32 s4, -1
	s_cselect_b32 s1, -1, 0
.LBB30_3120:
	s_delay_alu instid0(SALU_CYCLE_1)
	s_and_b32 vcc_lo, exec_lo, s1
	s_cbranch_vccnz .LBB30_3183
; %bb.3121:
	s_and_not1_b32 vcc_lo, exec_lo, s4
	s_cbranch_vccnz .LBB30_3123
.LBB30_3122:
	global_load_u8 v5, v[6:7], off
	s_mov_b32 s0, 0
	s_mov_b32 s5, -1
	s_wait_loadcnt 0x1
	v_mov_b32_e32 v9, s0
	s_wait_loadcnt 0x0
	v_cmp_ne_u16_e32 vcc_lo, 0, v5
	v_cndmask_b32_e64 v8, 0, 1, vcc_lo
.LBB30_3123:
	s_branch .LBB30_3054
.LBB30_3124:
	s_and_b32 s0, 0xffff, s49
	s_delay_alu instid0(SALU_CYCLE_1)
	s_cmp_lt_i32 s0, 5
	s_cbranch_scc1 .LBB30_3129
; %bb.3125:
	s_cmp_lt_i32 s0, 8
	s_cbranch_scc1 .LBB30_3130
; %bb.3126:
	;; [unrolled: 3-line block ×3, first 2 shown]
	s_cmp_gt_i32 s0, 9
	s_cbranch_scc0 .LBB30_3132
; %bb.3128:
	s_wait_loadcnt 0x0
	global_load_b64 v[8:9], v[6:7], off
	s_mov_b32 s1, 0
	s_wait_loadcnt 0x0
	v_trunc_f64_e32 v[8:9], v[8:9]
	s_delay_alu instid0(VALU_DEP_1) | instskip(NEXT) | instid1(VALU_DEP_1)
	v_ldexp_f64 v[10:11], v[8:9], 0xffffffe0
	v_floor_f64_e32 v[10:11], v[10:11]
	s_delay_alu instid0(VALU_DEP_1) | instskip(SKIP_1) | instid1(VALU_DEP_2)
	v_fmamk_f64 v[12:13], v[10:11], 0xc1f00000, v[8:9]
	v_cvt_i32_f64_e32 v9, v[10:11]
	v_cvt_u32_f64_e32 v8, v[12:13]
	s_branch .LBB30_3133
.LBB30_3129:
	s_mov_b32 s1, -1
                                        ; implicit-def: $vgpr8_vgpr9
	s_branch .LBB30_3151
.LBB30_3130:
	s_mov_b32 s1, -1
                                        ; implicit-def: $vgpr8_vgpr9
	s_branch .LBB30_3139
.LBB30_3131:
	s_mov_b32 s1, -1
                                        ; implicit-def: $vgpr8_vgpr9
	s_branch .LBB30_3136
.LBB30_3132:
	s_mov_b32 s1, -1
                                        ; implicit-def: $vgpr8_vgpr9
.LBB30_3133:
	s_delay_alu instid0(SALU_CYCLE_1)
	s_and_not1_b32 vcc_lo, exec_lo, s1
	s_cbranch_vccnz .LBB30_3135
; %bb.3134:
	global_load_b32 v5, v[6:7], off
	s_wait_loadcnt 0x0
	v_trunc_f32_e32 v5, v5
	s_delay_alu instid0(VALU_DEP_1) | instskip(NEXT) | instid1(VALU_DEP_1)
	v_mul_f32_e64 v8, 0x2f800000, |v5|
	v_floor_f32_e32 v9, v8
	v_ashrrev_i32_e32 v8, 31, v5
	s_delay_alu instid0(VALU_DEP_2) | instskip(SKIP_1) | instid1(VALU_DEP_3)
	v_fma_f32 v10, 0xcf800000, v9, |v5|
	v_cvt_u32_f32_e32 v5, v9
	v_mov_b32_e32 v9, v8
	s_delay_alu instid0(VALU_DEP_3) | instskip(NEXT) | instid1(VALU_DEP_3)
	v_cvt_u32_f32_e32 v10, v10
	v_xor_b32_e32 v11, v5, v8
	s_delay_alu instid0(VALU_DEP_2) | instskip(NEXT) | instid1(VALU_DEP_1)
	v_xor_b32_e32 v10, v10, v8
	v_sub_nc_u64_e32 v[8:9], v[10:11], v[8:9]
.LBB30_3135:
	s_mov_b32 s1, 0
.LBB30_3136:
	s_delay_alu instid0(SALU_CYCLE_1)
	s_and_not1_b32 vcc_lo, exec_lo, s1
	s_cbranch_vccnz .LBB30_3138
; %bb.3137:
	global_load_b32 v5, v[6:7], off
	s_wait_loadcnt 0x0
	v_cvt_f32_f16_e32 v5, v5
	s_delay_alu instid0(VALU_DEP_1) | instskip(NEXT) | instid1(VALU_DEP_1)
	v_cvt_i32_f32_e32 v8, v5
	v_ashrrev_i32_e32 v9, 31, v8
.LBB30_3138:
	s_mov_b32 s1, 0
.LBB30_3139:
	s_delay_alu instid0(SALU_CYCLE_1)
	s_and_not1_b32 vcc_lo, exec_lo, s1
	s_cbranch_vccnz .LBB30_3150
; %bb.3140:
	s_cmp_lt_i32 s0, 6
	s_cbranch_scc1 .LBB30_3143
; %bb.3141:
	s_cmp_gt_i32 s0, 6
	s_cbranch_scc0 .LBB30_3144
; %bb.3142:
	s_wait_loadcnt 0x0
	global_load_b64 v[8:9], v[6:7], off
	s_mov_b32 s1, 0
	s_wait_loadcnt 0x0
	v_trunc_f64_e32 v[8:9], v[8:9]
	s_delay_alu instid0(VALU_DEP_1) | instskip(NEXT) | instid1(VALU_DEP_1)
	v_ldexp_f64 v[10:11], v[8:9], 0xffffffe0
	v_floor_f64_e32 v[10:11], v[10:11]
	s_delay_alu instid0(VALU_DEP_1) | instskip(SKIP_1) | instid1(VALU_DEP_2)
	v_fmamk_f64 v[12:13], v[10:11], 0xc1f00000, v[8:9]
	v_cvt_i32_f64_e32 v9, v[10:11]
	v_cvt_u32_f64_e32 v8, v[12:13]
	s_branch .LBB30_3145
.LBB30_3143:
	s_mov_b32 s1, -1
                                        ; implicit-def: $vgpr8_vgpr9
	s_branch .LBB30_3148
.LBB30_3144:
	s_mov_b32 s1, -1
                                        ; implicit-def: $vgpr8_vgpr9
.LBB30_3145:
	s_delay_alu instid0(SALU_CYCLE_1)
	s_and_not1_b32 vcc_lo, exec_lo, s1
	s_cbranch_vccnz .LBB30_3147
; %bb.3146:
	global_load_b32 v5, v[6:7], off
	s_wait_loadcnt 0x0
	v_trunc_f32_e32 v5, v5
	s_delay_alu instid0(VALU_DEP_1) | instskip(NEXT) | instid1(VALU_DEP_1)
	v_mul_f32_e64 v8, 0x2f800000, |v5|
	v_floor_f32_e32 v9, v8
	v_ashrrev_i32_e32 v8, 31, v5
	s_delay_alu instid0(VALU_DEP_2) | instskip(SKIP_1) | instid1(VALU_DEP_3)
	v_fma_f32 v10, 0xcf800000, v9, |v5|
	v_cvt_u32_f32_e32 v5, v9
	v_mov_b32_e32 v9, v8
	s_delay_alu instid0(VALU_DEP_3) | instskip(NEXT) | instid1(VALU_DEP_3)
	v_cvt_u32_f32_e32 v10, v10
	v_xor_b32_e32 v11, v5, v8
	s_delay_alu instid0(VALU_DEP_2) | instskip(NEXT) | instid1(VALU_DEP_1)
	v_xor_b32_e32 v10, v10, v8
	v_sub_nc_u64_e32 v[8:9], v[10:11], v[8:9]
.LBB30_3147:
	s_mov_b32 s1, 0
.LBB30_3148:
	s_delay_alu instid0(SALU_CYCLE_1)
	s_and_not1_b32 vcc_lo, exec_lo, s1
	s_cbranch_vccnz .LBB30_3150
; %bb.3149:
	global_load_u16 v5, v[6:7], off
	s_wait_loadcnt 0x0
	v_cvt_f32_f16_e32 v5, v5
	s_delay_alu instid0(VALU_DEP_1) | instskip(NEXT) | instid1(VALU_DEP_1)
	v_cvt_i32_f32_e32 v8, v5
	v_ashrrev_i32_e32 v9, 31, v8
.LBB30_3150:
	s_mov_b32 s1, 0
.LBB30_3151:
	s_delay_alu instid0(SALU_CYCLE_1)
	s_and_not1_b32 vcc_lo, exec_lo, s1
	s_cbranch_vccnz .LBB30_3171
; %bb.3152:
	s_cmp_lt_i32 s0, 2
	s_cbranch_scc1 .LBB30_3156
; %bb.3153:
	s_cmp_lt_i32 s0, 3
	s_cbranch_scc1 .LBB30_3157
; %bb.3154:
	s_cmp_gt_i32 s0, 3
	s_cbranch_scc0 .LBB30_3158
; %bb.3155:
	s_wait_loadcnt 0x0
	global_load_b64 v[8:9], v[6:7], off
	s_mov_b32 s1, 0
	s_branch .LBB30_3159
.LBB30_3156:
	s_mov_b32 s1, -1
                                        ; implicit-def: $vgpr8_vgpr9
	s_branch .LBB30_3165
.LBB30_3157:
	s_mov_b32 s1, -1
                                        ; implicit-def: $vgpr8_vgpr9
	s_branch .LBB30_3162
.LBB30_3158:
	s_mov_b32 s1, -1
                                        ; implicit-def: $vgpr8_vgpr9
.LBB30_3159:
	s_delay_alu instid0(SALU_CYCLE_1)
	s_and_not1_b32 vcc_lo, exec_lo, s1
	s_cbranch_vccnz .LBB30_3161
; %bb.3160:
	s_wait_loadcnt 0x0
	global_load_b32 v8, v[6:7], off
	s_wait_loadcnt 0x0
	v_ashrrev_i32_e32 v9, 31, v8
.LBB30_3161:
	s_mov_b32 s1, 0
.LBB30_3162:
	s_delay_alu instid0(SALU_CYCLE_1)
	s_and_not1_b32 vcc_lo, exec_lo, s1
	s_cbranch_vccnz .LBB30_3164
; %bb.3163:
	global_load_u16 v5, v[6:7], off
	s_wait_loadcnt 0x0
	v_bfe_i32 v8, v5, 0, 16
	s_delay_alu instid0(VALU_DEP_1)
	v_ashrrev_i32_e32 v9, 31, v8
.LBB30_3164:
	s_mov_b32 s1, 0
.LBB30_3165:
	s_delay_alu instid0(SALU_CYCLE_1)
	s_and_not1_b32 vcc_lo, exec_lo, s1
	s_cbranch_vccnz .LBB30_3171
; %bb.3166:
	s_cmp_gt_i32 s0, 0
	s_mov_b32 s0, 0
	s_cbranch_scc0 .LBB30_3168
; %bb.3167:
	global_load_i8 v5, v[6:7], off
	s_wait_loadcnt 0x0
	v_bfe_i32 v8, v5, 0, 16
	s_delay_alu instid0(VALU_DEP_1)
	v_ashrrev_i32_e32 v9, 31, v8
	s_branch .LBB30_3169
.LBB30_3168:
	s_mov_b32 s0, -1
                                        ; implicit-def: $vgpr8_vgpr9
.LBB30_3169:
	s_delay_alu instid0(SALU_CYCLE_1)
	s_and_not1_b32 vcc_lo, exec_lo, s0
	s_cbranch_vccnz .LBB30_3171
; %bb.3170:
	global_load_u8 v5, v[6:7], off
	s_mov_b32 s0, 0
	s_wait_loadcnt 0x1
	v_mov_b32_e32 v9, s0
	s_wait_loadcnt 0x0
	v_and_b32_e32 v8, 0xffff, v5
.LBB30_3171:
.LBB30_3172:
	s_clause 0x2
	s_load_b32 s50, s[28:29], 0x40
	s_load_b64 s[12:13], s[28:29], 0x20
	s_load_b32 s0, s[28:29], 0xf4
	s_wait_kmcnt 0x0
	v_mul_lo_u32 v6, s50, v26
	s_and_b32 s51, s0, 0xff
	s_delay_alu instid0(SALU_CYCLE_1) | instskip(NEXT) | instid1(VALU_DEP_1)
	s_cmp_lt_i32 s51, 11
	v_ashrrev_i32_e32 v7, 31, v6
	s_delay_alu instid0(VALU_DEP_1)
	v_add_nc_u64_e32 v[10:11], s[12:13], v[6:7]
	s_cbranch_scc1 .LBB30_3179
; %bb.3173:
	s_and_b32 s0, 0xffff, s51
	s_mov_b32 s4, 0
	s_cmp_gt_i32 s0, 25
	s_cbranch_scc0 .LBB30_3180
; %bb.3174:
	s_cmp_gt_i32 s0, 28
	s_cbranch_scc0 .LBB30_3181
; %bb.3175:
	;; [unrolled: 3-line block ×4, first 2 shown]
	s_cmp_eq_u32 s0, 46
	s_mov_b32 s14, 0
	s_cbranch_scc0 .LBB30_3185
; %bb.3178:
	global_load_b32 v5, v[10:11], off
	s_mov_b32 s1, 0
	s_mov_b32 s5, -1
	s_wait_loadcnt 0x0
	v_lshlrev_b32_e32 v5, 16, v5
	s_delay_alu instid0(VALU_DEP_1) | instskip(NEXT) | instid1(VALU_DEP_1)
	v_trunc_f32_e32 v5, v5
	v_mul_f32_e64 v7, 0x2f800000, |v5|
	v_ashrrev_i32_e32 v12, 31, v5
	s_delay_alu instid0(VALU_DEP_2) | instskip(NEXT) | instid1(VALU_DEP_1)
	v_floor_f32_e32 v7, v7
	v_fma_f32 v13, 0xcf800000, v7, |v5|
	v_cvt_u32_f32_e32 v5, v7
	s_delay_alu instid0(VALU_DEP_2) | instskip(NEXT) | instid1(VALU_DEP_2)
	v_cvt_u32_f32_e32 v7, v13
	v_dual_mov_b32 v13, v12 :: v_dual_bitop2_b32 v15, v5, v12 bitop3:0x14
	s_delay_alu instid0(VALU_DEP_2) | instskip(NEXT) | instid1(VALU_DEP_1)
	v_xor_b32_e32 v14, v7, v12
	v_sub_nc_u64_e32 v[12:13], v[14:15], v[12:13]
	s_branch .LBB30_3187
.LBB30_3179:
	s_mov_b32 s0, -1
	s_mov_b32 s5, 0
                                        ; implicit-def: $vgpr12_vgpr13
	s_branch .LBB30_3249
.LBB30_3180:
	s_mov_b32 s14, -1
	s_mov_b32 s5, 0
	s_mov_b32 s1, 0
                                        ; implicit-def: $vgpr12_vgpr13
	s_branch .LBB30_3214
.LBB30_3181:
	s_mov_b32 s14, -1
	s_mov_b32 s5, 0
	s_mov_b32 s1, 0
                                        ; implicit-def: $vgpr12_vgpr13
	s_branch .LBB30_3197
.LBB30_3182:
	s_mov_b32 s14, -1
	s_mov_b32 s5, 0
	s_mov_b32 s1, 0
                                        ; implicit-def: $vgpr12_vgpr13
	s_branch .LBB30_3192
.LBB30_3183:
	s_or_b32 s36, s36, exec_lo
	s_trap 2
	s_cbranch_execz .LBB30_3122
	s_branch .LBB30_3123
.LBB30_3184:
	s_mov_b32 s14, -1
	s_mov_b32 s5, 0
	s_mov_b32 s1, 0
	s_branch .LBB30_3186
.LBB30_3185:
	s_mov_b32 s1, -1
	s_mov_b32 s5, 0
.LBB30_3186:
                                        ; implicit-def: $vgpr12_vgpr13
.LBB30_3187:
	s_and_b32 vcc_lo, exec_lo, s14
	s_cbranch_vccz .LBB30_3191
; %bb.3188:
	s_cmp_eq_u32 s0, 44
	s_cbranch_scc0 .LBB30_3190
; %bb.3189:
	global_load_u8 v5, v[10:11], off
	s_mov_b32 s1, 0
	s_mov_b32 s5, -1
	s_wait_loadcnt 0x0
	v_lshlrev_b32_e32 v7, 23, v5
	v_cmp_ne_u32_e32 vcc_lo, 0, v5
	s_delay_alu instid0(VALU_DEP_2) | instskip(NEXT) | instid1(VALU_DEP_1)
	v_trunc_f32_e32 v7, v7
	v_mul_f32_e64 v12, 0x2f800000, |v7|
	s_delay_alu instid0(VALU_DEP_1) | instskip(SKIP_1) | instid1(VALU_DEP_2)
	v_floor_f32_e32 v13, v12
	v_ashrrev_i32_e32 v12, 31, v7
	v_fma_f32 v14, 0xcf800000, v13, |v7|
	v_cvt_u32_f32_e32 v7, v13
	s_delay_alu instid0(VALU_DEP_3) | instskip(NEXT) | instid1(VALU_DEP_3)
	v_mov_b32_e32 v13, v12
	v_cvt_u32_f32_e32 v14, v14
	s_delay_alu instid0(VALU_DEP_3) | instskip(NEXT) | instid1(VALU_DEP_2)
	v_xor_b32_e32 v15, v7, v12
	v_xor_b32_e32 v14, v14, v12
	s_delay_alu instid0(VALU_DEP_1) | instskip(NEXT) | instid1(VALU_DEP_1)
	v_sub_nc_u64_e32 v[12:13], v[14:15], v[12:13]
	v_dual_cndmask_b32 v13, 0, v13 :: v_dual_cndmask_b32 v12, 0, v12
	s_branch .LBB30_3191
.LBB30_3190:
	s_mov_b32 s1, -1
                                        ; implicit-def: $vgpr12_vgpr13
.LBB30_3191:
	s_mov_b32 s14, 0
.LBB30_3192:
	s_delay_alu instid0(SALU_CYCLE_1)
	s_and_b32 vcc_lo, exec_lo, s14
	s_cbranch_vccz .LBB30_3196
; %bb.3193:
	s_cmp_eq_u32 s0, 29
	s_cbranch_scc0 .LBB30_3195
; %bb.3194:
	global_load_b64 v[12:13], v[10:11], off
	s_mov_b32 s1, 0
	s_mov_b32 s5, -1
	s_branch .LBB30_3196
.LBB30_3195:
	s_mov_b32 s1, -1
                                        ; implicit-def: $vgpr12_vgpr13
.LBB30_3196:
	s_mov_b32 s14, 0
.LBB30_3197:
	s_delay_alu instid0(SALU_CYCLE_1)
	s_and_b32 vcc_lo, exec_lo, s14
	s_cbranch_vccz .LBB30_3213
; %bb.3198:
	s_cmp_lt_i32 s0, 27
	s_cbranch_scc1 .LBB30_3201
; %bb.3199:
	s_cmp_gt_i32 s0, 27
	s_cbranch_scc0 .LBB30_3202
; %bb.3200:
	s_wait_loadcnt 0x0
	global_load_b32 v12, v[10:11], off
	v_mov_b32_e32 v13, 0
	s_mov_b32 s5, 0
	s_branch .LBB30_3203
.LBB30_3201:
	s_mov_b32 s5, -1
                                        ; implicit-def: $vgpr12_vgpr13
	s_branch .LBB30_3206
.LBB30_3202:
	s_mov_b32 s5, -1
                                        ; implicit-def: $vgpr12_vgpr13
.LBB30_3203:
	s_delay_alu instid0(SALU_CYCLE_1)
	s_and_not1_b32 vcc_lo, exec_lo, s5
	s_cbranch_vccnz .LBB30_3205
; %bb.3204:
	global_load_u16 v5, v[10:11], off
	s_mov_b32 s5, 0
	s_wait_loadcnt 0x1
	v_mov_b32_e32 v13, s5
	s_wait_loadcnt 0x0
	v_and_b32_e32 v12, 0xffff, v5
.LBB30_3205:
	s_mov_b32 s5, 0
.LBB30_3206:
	s_delay_alu instid0(SALU_CYCLE_1)
	s_and_not1_b32 vcc_lo, exec_lo, s5
	s_cbranch_vccnz .LBB30_3212
; %bb.3207:
	global_load_u8 v5, v[10:11], off
	s_mov_b32 s14, 0
	s_mov_b32 s5, exec_lo
	s_wait_loadcnt 0x0
	v_cmpx_lt_i16_e32 0x7f, v5
	s_xor_b32 s5, exec_lo, s5
	s_cbranch_execz .LBB30_3224
; %bb.3208:
	v_cmp_ne_u16_e32 vcc_lo, 0x80, v5
	s_and_b32 s14, vcc_lo, exec_lo
	s_and_not1_saveexec_b32 s5, s5
	s_cbranch_execnz .LBB30_3225
.LBB30_3209:
	s_or_b32 exec_lo, exec_lo, s5
	v_mov_b64_e32 v[12:13], 0
	s_and_saveexec_b32 s5, s14
	s_cbranch_execz .LBB30_3211
.LBB30_3210:
	v_and_b32_e32 v7, 0xffff, v5
	s_delay_alu instid0(VALU_DEP_1) | instskip(SKIP_1) | instid1(VALU_DEP_2)
	v_and_b32_e32 v12, 7, v7
	v_bfe_u32 v15, v7, 3, 4
	v_clz_i32_u32_e32 v13, v12
	s_delay_alu instid0(VALU_DEP_2) | instskip(NEXT) | instid1(VALU_DEP_2)
	v_cmp_eq_u32_e32 vcc_lo, 0, v15
	v_min_u32_e32 v13, 32, v13
	s_delay_alu instid0(VALU_DEP_1) | instskip(NEXT) | instid1(VALU_DEP_1)
	v_subrev_nc_u32_e32 v14, 28, v13
	v_dual_lshlrev_b32 v7, v14, v7 :: v_dual_sub_nc_u32 v13, 29, v13
	s_delay_alu instid0(VALU_DEP_1) | instskip(NEXT) | instid1(VALU_DEP_1)
	v_dual_lshlrev_b32 v5, 24, v5 :: v_dual_bitop2_b32 v7, 7, v7 bitop3:0x40
	v_dual_cndmask_b32 v7, v12, v7, vcc_lo :: v_dual_cndmask_b32 v13, v15, v13, vcc_lo
	s_delay_alu instid0(VALU_DEP_2) | instskip(NEXT) | instid1(VALU_DEP_2)
	v_and_b32_e32 v5, 0x80000000, v5
	v_lshlrev_b32_e32 v7, 20, v7
	s_delay_alu instid0(VALU_DEP_3) | instskip(NEXT) | instid1(VALU_DEP_1)
	v_lshl_add_u32 v12, v13, 23, 0x3b800000
	v_or3_b32 v5, v5, v12, v7
	s_delay_alu instid0(VALU_DEP_1) | instskip(NEXT) | instid1(VALU_DEP_1)
	v_trunc_f32_e32 v5, v5
	v_mul_f32_e64 v7, 0x2f800000, |v5|
	v_ashrrev_i32_e32 v12, 31, v5
	s_delay_alu instid0(VALU_DEP_2) | instskip(NEXT) | instid1(VALU_DEP_1)
	v_floor_f32_e32 v7, v7
	v_fma_f32 v13, 0xcf800000, v7, |v5|
	v_cvt_u32_f32_e32 v5, v7
	s_delay_alu instid0(VALU_DEP_2) | instskip(NEXT) | instid1(VALU_DEP_2)
	v_cvt_u32_f32_e32 v7, v13
	v_dual_mov_b32 v13, v12 :: v_dual_bitop2_b32 v15, v5, v12 bitop3:0x14
	s_delay_alu instid0(VALU_DEP_2) | instskip(NEXT) | instid1(VALU_DEP_1)
	v_xor_b32_e32 v14, v7, v12
	v_sub_nc_u64_e32 v[12:13], v[14:15], v[12:13]
.LBB30_3211:
	s_or_b32 exec_lo, exec_lo, s5
.LBB30_3212:
	s_mov_b32 s5, -1
.LBB30_3213:
	s_mov_b32 s14, 0
.LBB30_3214:
	s_delay_alu instid0(SALU_CYCLE_1)
	s_and_b32 vcc_lo, exec_lo, s14
	s_cbranch_vccz .LBB30_3245
; %bb.3215:
	s_cmp_gt_i32 s0, 22
	s_cbranch_scc0 .LBB30_3223
; %bb.3216:
	s_cmp_lt_i32 s0, 24
	s_cbranch_scc1 .LBB30_3226
; %bb.3217:
	s_cmp_gt_i32 s0, 24
	s_cbranch_scc0 .LBB30_3227
; %bb.3218:
	global_load_u8 v5, v[10:11], off
	s_mov_b32 s5, 0
	s_mov_b32 s4, exec_lo
	s_wait_loadcnt 0x0
	v_cmpx_lt_i16_e32 0x7f, v5
	s_xor_b32 s4, exec_lo, s4
	s_cbranch_execz .LBB30_3239
; %bb.3219:
	v_cmp_ne_u16_e32 vcc_lo, 0x80, v5
	s_and_b32 s5, vcc_lo, exec_lo
	s_and_not1_saveexec_b32 s4, s4
	s_cbranch_execnz .LBB30_3240
.LBB30_3220:
	s_or_b32 exec_lo, exec_lo, s4
	v_mov_b64_e32 v[12:13], 0
	s_and_saveexec_b32 s4, s5
	s_cbranch_execz .LBB30_3222
.LBB30_3221:
	v_and_b32_e32 v7, 0xffff, v5
	s_delay_alu instid0(VALU_DEP_1) | instskip(SKIP_1) | instid1(VALU_DEP_2)
	v_and_b32_e32 v12, 3, v7
	v_bfe_u32 v15, v7, 2, 5
	v_clz_i32_u32_e32 v13, v12
	s_delay_alu instid0(VALU_DEP_2) | instskip(NEXT) | instid1(VALU_DEP_2)
	v_cmp_eq_u32_e32 vcc_lo, 0, v15
	v_min_u32_e32 v13, 32, v13
	s_delay_alu instid0(VALU_DEP_1) | instskip(NEXT) | instid1(VALU_DEP_1)
	v_subrev_nc_u32_e32 v14, 29, v13
	v_dual_lshlrev_b32 v7, v14, v7 :: v_dual_sub_nc_u32 v13, 30, v13
	s_delay_alu instid0(VALU_DEP_1) | instskip(NEXT) | instid1(VALU_DEP_1)
	v_dual_lshlrev_b32 v5, 24, v5 :: v_dual_bitop2_b32 v7, 3, v7 bitop3:0x40
	v_dual_cndmask_b32 v7, v12, v7, vcc_lo :: v_dual_cndmask_b32 v13, v15, v13, vcc_lo
	s_delay_alu instid0(VALU_DEP_2) | instskip(NEXT) | instid1(VALU_DEP_2)
	v_and_b32_e32 v5, 0x80000000, v5
	v_lshlrev_b32_e32 v7, 21, v7
	s_delay_alu instid0(VALU_DEP_3) | instskip(NEXT) | instid1(VALU_DEP_1)
	v_lshl_add_u32 v12, v13, 23, 0x37800000
	v_or3_b32 v5, v5, v12, v7
	s_delay_alu instid0(VALU_DEP_1) | instskip(NEXT) | instid1(VALU_DEP_1)
	v_trunc_f32_e32 v5, v5
	v_mul_f32_e64 v7, 0x2f800000, |v5|
	v_ashrrev_i32_e32 v12, 31, v5
	s_delay_alu instid0(VALU_DEP_2) | instskip(NEXT) | instid1(VALU_DEP_1)
	v_floor_f32_e32 v7, v7
	v_fma_f32 v13, 0xcf800000, v7, |v5|
	v_cvt_u32_f32_e32 v5, v7
	s_delay_alu instid0(VALU_DEP_2) | instskip(NEXT) | instid1(VALU_DEP_2)
	v_cvt_u32_f32_e32 v7, v13
	v_dual_mov_b32 v13, v12 :: v_dual_bitop2_b32 v15, v5, v12 bitop3:0x14
	s_delay_alu instid0(VALU_DEP_2) | instskip(NEXT) | instid1(VALU_DEP_1)
	v_xor_b32_e32 v14, v7, v12
	v_sub_nc_u64_e32 v[12:13], v[14:15], v[12:13]
.LBB30_3222:
	s_or_b32 exec_lo, exec_lo, s4
	s_mov_b32 s4, 0
	s_branch .LBB30_3228
.LBB30_3223:
	s_mov_b32 s4, -1
                                        ; implicit-def: $vgpr12_vgpr13
	s_branch .LBB30_3234
.LBB30_3224:
	s_and_not1_saveexec_b32 s5, s5
	s_cbranch_execz .LBB30_3209
.LBB30_3225:
	v_cmp_ne_u16_e32 vcc_lo, 0, v5
	s_and_not1_b32 s14, s14, exec_lo
	s_and_b32 s15, vcc_lo, exec_lo
	s_delay_alu instid0(SALU_CYCLE_1)
	s_or_b32 s14, s14, s15
	s_or_b32 exec_lo, exec_lo, s5
	v_mov_b64_e32 v[12:13], 0
	s_and_saveexec_b32 s5, s14
	s_cbranch_execnz .LBB30_3210
	s_branch .LBB30_3211
.LBB30_3226:
	s_mov_b32 s4, -1
                                        ; implicit-def: $vgpr12_vgpr13
	s_branch .LBB30_3231
.LBB30_3227:
	s_mov_b32 s4, -1
                                        ; implicit-def: $vgpr12_vgpr13
.LBB30_3228:
	s_delay_alu instid0(SALU_CYCLE_1)
	s_and_b32 vcc_lo, exec_lo, s4
	s_cbranch_vccz .LBB30_3230
; %bb.3229:
	global_load_u8 v5, v[10:11], off
	s_wait_loadcnt 0x0
	v_lshlrev_b32_e32 v5, 24, v5
	s_delay_alu instid0(VALU_DEP_1) | instskip(NEXT) | instid1(VALU_DEP_1)
	v_and_b32_e32 v7, 0x7f000000, v5
	v_clz_i32_u32_e32 v12, v7
	v_cmp_ne_u32_e32 vcc_lo, 0, v7
	v_add_nc_u32_e32 v14, 0x1000000, v7
	s_delay_alu instid0(VALU_DEP_3) | instskip(NEXT) | instid1(VALU_DEP_1)
	v_min_u32_e32 v12, 32, v12
	v_sub_nc_u32_e64 v12, v12, 4 clamp
	s_delay_alu instid0(VALU_DEP_1) | instskip(NEXT) | instid1(VALU_DEP_1)
	v_dual_lshlrev_b32 v13, v12, v7 :: v_dual_lshlrev_b32 v12, 23, v12
	v_lshrrev_b32_e32 v13, 4, v13
	s_delay_alu instid0(VALU_DEP_1) | instskip(NEXT) | instid1(VALU_DEP_1)
	v_dual_sub_nc_u32 v12, v13, v12 :: v_dual_ashrrev_i32 v13, 8, v14
	v_add_nc_u32_e32 v12, 0x3c000000, v12
	s_delay_alu instid0(VALU_DEP_1) | instskip(NEXT) | instid1(VALU_DEP_1)
	v_and_or_b32 v12, 0x7f800000, v13, v12
	v_cndmask_b32_e32 v7, 0, v12, vcc_lo
	s_delay_alu instid0(VALU_DEP_1) | instskip(NEXT) | instid1(VALU_DEP_1)
	v_and_or_b32 v5, 0x80000000, v5, v7
	v_trunc_f32_e32 v5, v5
	s_delay_alu instid0(VALU_DEP_1) | instskip(SKIP_1) | instid1(VALU_DEP_2)
	v_mul_f32_e64 v7, 0x2f800000, |v5|
	v_ashrrev_i32_e32 v12, 31, v5
	v_floor_f32_e32 v7, v7
	s_delay_alu instid0(VALU_DEP_1) | instskip(SKIP_1) | instid1(VALU_DEP_2)
	v_fma_f32 v13, 0xcf800000, v7, |v5|
	v_cvt_u32_f32_e32 v5, v7
	v_cvt_u32_f32_e32 v7, v13
	s_delay_alu instid0(VALU_DEP_2) | instskip(NEXT) | instid1(VALU_DEP_2)
	v_dual_mov_b32 v13, v12 :: v_dual_bitop2_b32 v15, v5, v12 bitop3:0x14
	v_xor_b32_e32 v14, v7, v12
	s_delay_alu instid0(VALU_DEP_1)
	v_sub_nc_u64_e32 v[12:13], v[14:15], v[12:13]
.LBB30_3230:
	s_mov_b32 s4, 0
.LBB30_3231:
	s_delay_alu instid0(SALU_CYCLE_1)
	s_and_not1_b32 vcc_lo, exec_lo, s4
	s_cbranch_vccnz .LBB30_3233
; %bb.3232:
	global_load_u8 v5, v[10:11], off
	s_wait_loadcnt 0x0
	v_lshlrev_b32_e32 v7, 25, v5
	v_lshlrev_b16 v5, 8, v5
	s_delay_alu instid0(VALU_DEP_1) | instskip(NEXT) | instid1(VALU_DEP_3)
	v_and_or_b32 v13, 0x7f00, v5, 0.5
	v_lshrrev_b32_e32 v12, 4, v7
	v_bfe_i32 v5, v5, 0, 16
	s_delay_alu instid0(VALU_DEP_3) | instskip(NEXT) | instid1(VALU_DEP_3)
	v_add_f32_e32 v13, -0.5, v13
	v_or_b32_e32 v12, 0x70000000, v12
	s_delay_alu instid0(VALU_DEP_1) | instskip(SKIP_1) | instid1(VALU_DEP_2)
	v_mul_f32_e32 v12, 0x7800000, v12
	v_cmp_gt_u32_e32 vcc_lo, 0x8000000, v7
	v_cndmask_b32_e32 v7, v12, v13, vcc_lo
	s_delay_alu instid0(VALU_DEP_1) | instskip(NEXT) | instid1(VALU_DEP_1)
	v_and_or_b32 v5, 0x80000000, v5, v7
	v_trunc_f32_e32 v5, v5
	s_delay_alu instid0(VALU_DEP_1) | instskip(SKIP_1) | instid1(VALU_DEP_2)
	v_mul_f32_e64 v7, 0x2f800000, |v5|
	v_ashrrev_i32_e32 v12, 31, v5
	v_floor_f32_e32 v7, v7
	s_delay_alu instid0(VALU_DEP_1) | instskip(SKIP_1) | instid1(VALU_DEP_2)
	v_fma_f32 v13, 0xcf800000, v7, |v5|
	v_cvt_u32_f32_e32 v5, v7
	v_cvt_u32_f32_e32 v7, v13
	s_delay_alu instid0(VALU_DEP_2) | instskip(NEXT) | instid1(VALU_DEP_2)
	v_dual_mov_b32 v13, v12 :: v_dual_bitop2_b32 v15, v5, v12 bitop3:0x14
	v_xor_b32_e32 v14, v7, v12
	s_delay_alu instid0(VALU_DEP_1)
	v_sub_nc_u64_e32 v[12:13], v[14:15], v[12:13]
.LBB30_3233:
	s_mov_b32 s4, 0
	s_mov_b32 s5, -1
.LBB30_3234:
	s_and_not1_b32 vcc_lo, exec_lo, s4
	s_mov_b32 s4, 0
	s_cbranch_vccnz .LBB30_3245
; %bb.3235:
	s_cmp_gt_i32 s0, 14
	s_cbranch_scc0 .LBB30_3238
; %bb.3236:
	s_cmp_eq_u32 s0, 15
	s_cbranch_scc0 .LBB30_3241
; %bb.3237:
	global_load_u16 v5, v[10:11], off
	s_mov_b32 s1, 0
	s_mov_b32 s5, -1
	s_wait_loadcnt 0x0
	v_lshlrev_b32_e32 v5, 16, v5
	s_delay_alu instid0(VALU_DEP_1) | instskip(NEXT) | instid1(VALU_DEP_1)
	v_trunc_f32_e32 v5, v5
	v_mul_f32_e64 v7, 0x2f800000, |v5|
	v_ashrrev_i32_e32 v12, 31, v5
	s_delay_alu instid0(VALU_DEP_2) | instskip(NEXT) | instid1(VALU_DEP_1)
	v_floor_f32_e32 v7, v7
	v_fma_f32 v13, 0xcf800000, v7, |v5|
	v_cvt_u32_f32_e32 v5, v7
	s_delay_alu instid0(VALU_DEP_2) | instskip(NEXT) | instid1(VALU_DEP_2)
	v_cvt_u32_f32_e32 v7, v13
	v_dual_mov_b32 v13, v12 :: v_dual_bitop2_b32 v15, v5, v12 bitop3:0x14
	s_delay_alu instid0(VALU_DEP_2) | instskip(NEXT) | instid1(VALU_DEP_1)
	v_xor_b32_e32 v14, v7, v12
	v_sub_nc_u64_e32 v[12:13], v[14:15], v[12:13]
	s_branch .LBB30_3243
.LBB30_3238:
	s_mov_b32 s4, -1
	s_branch .LBB30_3242
.LBB30_3239:
	s_and_not1_saveexec_b32 s4, s4
	s_cbranch_execz .LBB30_3220
.LBB30_3240:
	v_cmp_ne_u16_e32 vcc_lo, 0, v5
	s_and_not1_b32 s5, s5, exec_lo
	s_and_b32 s14, vcc_lo, exec_lo
	s_delay_alu instid0(SALU_CYCLE_1)
	s_or_b32 s5, s5, s14
	s_or_b32 exec_lo, exec_lo, s4
	v_mov_b64_e32 v[12:13], 0
	s_and_saveexec_b32 s4, s5
	s_cbranch_execnz .LBB30_3221
	s_branch .LBB30_3222
.LBB30_3241:
	s_mov_b32 s1, -1
.LBB30_3242:
                                        ; implicit-def: $vgpr12_vgpr13
.LBB30_3243:
	s_and_b32 vcc_lo, exec_lo, s4
	s_mov_b32 s4, 0
	s_cbranch_vccz .LBB30_3245
; %bb.3244:
	s_cmp_lg_u32 s0, 11
	s_mov_b32 s4, -1
	s_cselect_b32 s1, -1, 0
.LBB30_3245:
	s_delay_alu instid0(SALU_CYCLE_1)
	s_and_b32 vcc_lo, exec_lo, s1
	s_cbranch_vccnz .LBB30_3310
; %bb.3246:
	s_and_not1_b32 vcc_lo, exec_lo, s4
	s_cbranch_vccnz .LBB30_3248
.LBB30_3247:
	global_load_u8 v5, v[10:11], off
	s_mov_b32 s0, 0
	s_mov_b32 s5, -1
	s_wait_loadcnt 0x1
	v_mov_b32_e32 v13, s0
	s_wait_loadcnt 0x0
	v_cmp_ne_u16_e32 vcc_lo, 0, v5
	v_cndmask_b32_e64 v12, 0, 1, vcc_lo
.LBB30_3248:
	s_mov_b32 s0, 0
.LBB30_3249:
	s_delay_alu instid0(SALU_CYCLE_1)
	s_and_b32 vcc_lo, exec_lo, s0
	s_cbranch_vccz .LBB30_3298
; %bb.3250:
	s_and_b32 s0, 0xffff, s51
	s_delay_alu instid0(SALU_CYCLE_1)
	s_cmp_lt_i32 s0, 5
	s_cbranch_scc1 .LBB30_3255
; %bb.3251:
	s_cmp_lt_i32 s0, 8
	s_cbranch_scc1 .LBB30_3256
; %bb.3252:
	;; [unrolled: 3-line block ×3, first 2 shown]
	s_cmp_gt_i32 s0, 9
	s_cbranch_scc0 .LBB30_3258
; %bb.3254:
	s_wait_loadcnt 0x0
	global_load_b64 v[12:13], v[10:11], off
	s_mov_b32 s1, 0
	s_wait_loadcnt 0x0
	v_trunc_f64_e32 v[12:13], v[12:13]
	s_delay_alu instid0(VALU_DEP_1) | instskip(NEXT) | instid1(VALU_DEP_1)
	v_ldexp_f64 v[14:15], v[12:13], 0xffffffe0
	v_floor_f64_e32 v[14:15], v[14:15]
	s_delay_alu instid0(VALU_DEP_1) | instskip(SKIP_1) | instid1(VALU_DEP_2)
	v_fmamk_f64 v[16:17], v[14:15], 0xc1f00000, v[12:13]
	v_cvt_i32_f64_e32 v13, v[14:15]
	v_cvt_u32_f64_e32 v12, v[16:17]
	s_branch .LBB30_3259
.LBB30_3255:
	s_mov_b32 s1, -1
                                        ; implicit-def: $vgpr12_vgpr13
	s_branch .LBB30_3277
.LBB30_3256:
	s_mov_b32 s1, -1
                                        ; implicit-def: $vgpr12_vgpr13
	s_branch .LBB30_3265
.LBB30_3257:
	s_mov_b32 s1, -1
                                        ; implicit-def: $vgpr12_vgpr13
	s_branch .LBB30_3262
.LBB30_3258:
	s_mov_b32 s1, -1
                                        ; implicit-def: $vgpr12_vgpr13
.LBB30_3259:
	s_delay_alu instid0(SALU_CYCLE_1)
	s_and_not1_b32 vcc_lo, exec_lo, s1
	s_cbranch_vccnz .LBB30_3261
; %bb.3260:
	global_load_b32 v5, v[10:11], off
	s_wait_loadcnt 0x0
	v_trunc_f32_e32 v5, v5
	s_delay_alu instid0(VALU_DEP_1) | instskip(SKIP_1) | instid1(VALU_DEP_2)
	v_mul_f32_e64 v7, 0x2f800000, |v5|
	v_ashrrev_i32_e32 v12, 31, v5
	v_floor_f32_e32 v7, v7
	s_delay_alu instid0(VALU_DEP_1) | instskip(SKIP_1) | instid1(VALU_DEP_2)
	v_fma_f32 v13, 0xcf800000, v7, |v5|
	v_cvt_u32_f32_e32 v5, v7
	v_cvt_u32_f32_e32 v7, v13
	s_delay_alu instid0(VALU_DEP_2) | instskip(NEXT) | instid1(VALU_DEP_2)
	v_dual_mov_b32 v13, v12 :: v_dual_bitop2_b32 v15, v5, v12 bitop3:0x14
	v_xor_b32_e32 v14, v7, v12
	s_delay_alu instid0(VALU_DEP_1)
	v_sub_nc_u64_e32 v[12:13], v[14:15], v[12:13]
.LBB30_3261:
	s_mov_b32 s1, 0
.LBB30_3262:
	s_delay_alu instid0(SALU_CYCLE_1)
	s_and_not1_b32 vcc_lo, exec_lo, s1
	s_cbranch_vccnz .LBB30_3264
; %bb.3263:
	global_load_b32 v5, v[10:11], off
	s_wait_loadcnt 0x0
	v_cvt_f32_f16_e32 v5, v5
	s_delay_alu instid0(VALU_DEP_1) | instskip(NEXT) | instid1(VALU_DEP_1)
	v_cvt_i32_f32_e32 v12, v5
	v_ashrrev_i32_e32 v13, 31, v12
.LBB30_3264:
	s_mov_b32 s1, 0
.LBB30_3265:
	s_delay_alu instid0(SALU_CYCLE_1)
	s_and_not1_b32 vcc_lo, exec_lo, s1
	s_cbranch_vccnz .LBB30_3276
; %bb.3266:
	s_cmp_lt_i32 s0, 6
	s_cbranch_scc1 .LBB30_3269
; %bb.3267:
	s_cmp_gt_i32 s0, 6
	s_cbranch_scc0 .LBB30_3270
; %bb.3268:
	s_wait_loadcnt 0x0
	global_load_b64 v[12:13], v[10:11], off
	s_mov_b32 s1, 0
	s_wait_loadcnt 0x0
	v_trunc_f64_e32 v[12:13], v[12:13]
	s_delay_alu instid0(VALU_DEP_1) | instskip(NEXT) | instid1(VALU_DEP_1)
	v_ldexp_f64 v[14:15], v[12:13], 0xffffffe0
	v_floor_f64_e32 v[14:15], v[14:15]
	s_delay_alu instid0(VALU_DEP_1) | instskip(SKIP_1) | instid1(VALU_DEP_2)
	v_fmamk_f64 v[16:17], v[14:15], 0xc1f00000, v[12:13]
	v_cvt_i32_f64_e32 v13, v[14:15]
	v_cvt_u32_f64_e32 v12, v[16:17]
	s_branch .LBB30_3271
.LBB30_3269:
	s_mov_b32 s1, -1
                                        ; implicit-def: $vgpr12_vgpr13
	s_branch .LBB30_3274
.LBB30_3270:
	s_mov_b32 s1, -1
                                        ; implicit-def: $vgpr12_vgpr13
.LBB30_3271:
	s_delay_alu instid0(SALU_CYCLE_1)
	s_and_not1_b32 vcc_lo, exec_lo, s1
	s_cbranch_vccnz .LBB30_3273
; %bb.3272:
	global_load_b32 v5, v[10:11], off
	s_wait_loadcnt 0x0
	v_trunc_f32_e32 v5, v5
	s_delay_alu instid0(VALU_DEP_1) | instskip(SKIP_1) | instid1(VALU_DEP_2)
	v_mul_f32_e64 v7, 0x2f800000, |v5|
	v_ashrrev_i32_e32 v12, 31, v5
	v_floor_f32_e32 v7, v7
	s_delay_alu instid0(VALU_DEP_1) | instskip(SKIP_1) | instid1(VALU_DEP_2)
	v_fma_f32 v13, 0xcf800000, v7, |v5|
	v_cvt_u32_f32_e32 v5, v7
	v_cvt_u32_f32_e32 v7, v13
	s_delay_alu instid0(VALU_DEP_2) | instskip(NEXT) | instid1(VALU_DEP_2)
	v_dual_mov_b32 v13, v12 :: v_dual_bitop2_b32 v15, v5, v12 bitop3:0x14
	v_xor_b32_e32 v14, v7, v12
	s_delay_alu instid0(VALU_DEP_1)
	v_sub_nc_u64_e32 v[12:13], v[14:15], v[12:13]
.LBB30_3273:
	s_mov_b32 s1, 0
.LBB30_3274:
	s_delay_alu instid0(SALU_CYCLE_1)
	s_and_not1_b32 vcc_lo, exec_lo, s1
	s_cbranch_vccnz .LBB30_3276
; %bb.3275:
	global_load_u16 v5, v[10:11], off
	s_wait_loadcnt 0x0
	v_cvt_f32_f16_e32 v5, v5
	s_delay_alu instid0(VALU_DEP_1) | instskip(NEXT) | instid1(VALU_DEP_1)
	v_cvt_i32_f32_e32 v12, v5
	v_ashrrev_i32_e32 v13, 31, v12
.LBB30_3276:
	s_mov_b32 s1, 0
.LBB30_3277:
	s_delay_alu instid0(SALU_CYCLE_1)
	s_and_not1_b32 vcc_lo, exec_lo, s1
	s_cbranch_vccnz .LBB30_3297
; %bb.3278:
	s_cmp_lt_i32 s0, 2
	s_cbranch_scc1 .LBB30_3282
; %bb.3279:
	s_cmp_lt_i32 s0, 3
	s_cbranch_scc1 .LBB30_3283
; %bb.3280:
	s_cmp_gt_i32 s0, 3
	s_cbranch_scc0 .LBB30_3284
; %bb.3281:
	s_wait_loadcnt 0x0
	global_load_b64 v[12:13], v[10:11], off
	s_mov_b32 s1, 0
	s_branch .LBB30_3285
.LBB30_3282:
	s_mov_b32 s1, -1
                                        ; implicit-def: $vgpr12_vgpr13
	s_branch .LBB30_3291
.LBB30_3283:
	s_mov_b32 s1, -1
                                        ; implicit-def: $vgpr12_vgpr13
	s_branch .LBB30_3288
.LBB30_3284:
	s_mov_b32 s1, -1
                                        ; implicit-def: $vgpr12_vgpr13
.LBB30_3285:
	s_delay_alu instid0(SALU_CYCLE_1)
	s_and_not1_b32 vcc_lo, exec_lo, s1
	s_cbranch_vccnz .LBB30_3287
; %bb.3286:
	s_wait_loadcnt 0x0
	global_load_b32 v12, v[10:11], off
	s_wait_loadcnt 0x0
	v_ashrrev_i32_e32 v13, 31, v12
.LBB30_3287:
	s_mov_b32 s1, 0
.LBB30_3288:
	s_delay_alu instid0(SALU_CYCLE_1)
	s_and_not1_b32 vcc_lo, exec_lo, s1
	s_cbranch_vccnz .LBB30_3290
; %bb.3289:
	global_load_u16 v5, v[10:11], off
	s_wait_loadcnt 0x0
	v_bfe_i32 v12, v5, 0, 16
	s_delay_alu instid0(VALU_DEP_1)
	v_ashrrev_i32_e32 v13, 31, v12
.LBB30_3290:
	s_mov_b32 s1, 0
.LBB30_3291:
	s_delay_alu instid0(SALU_CYCLE_1)
	s_and_not1_b32 vcc_lo, exec_lo, s1
	s_cbranch_vccnz .LBB30_3297
; %bb.3292:
	s_cmp_gt_i32 s0, 0
	s_mov_b32 s0, 0
	s_cbranch_scc0 .LBB30_3294
; %bb.3293:
	global_load_i8 v5, v[10:11], off
	s_wait_loadcnt 0x0
	v_bfe_i32 v12, v5, 0, 16
	s_delay_alu instid0(VALU_DEP_1)
	v_ashrrev_i32_e32 v13, 31, v12
	s_branch .LBB30_3295
.LBB30_3294:
	s_mov_b32 s0, -1
                                        ; implicit-def: $vgpr12_vgpr13
.LBB30_3295:
	s_delay_alu instid0(SALU_CYCLE_1)
	s_and_not1_b32 vcc_lo, exec_lo, s0
	s_cbranch_vccnz .LBB30_3297
; %bb.3296:
	global_load_u8 v5, v[10:11], off
	s_mov_b32 s0, 0
	s_wait_loadcnt 0x1
	v_mov_b32_e32 v13, s0
	s_wait_loadcnt 0x0
	v_and_b32_e32 v12, 0xffff, v5
.LBB30_3297:
	s_mov_b32 s5, -1
.LBB30_3298:
	s_delay_alu instid0(SALU_CYCLE_1)
	s_and_not1_b32 vcc_lo, exec_lo, s5
	s_cbranch_vccnz .LBB30_3434
; %bb.3299:
	s_clause 0x1
	s_load_b32 s52, s[28:29], 0x44
	s_load_b64 s[14:15], s[28:29], 0x28
	s_wait_kmcnt 0x0
	v_mul_lo_u32 v10, s52, v26
	s_delay_alu instid0(VALU_DEP_1)
	v_dual_mov_b32 v5, 0 :: v_dual_ashrrev_i32 v11, 31, v10
	global_load_u8 v5, v5, s[28:29] offset:245
	v_add_nc_u64_e32 v[14:15], s[14:15], v[10:11]
	s_wait_loadcnt 0x0
	v_and_b32_e32 v7, 0xffff, v5
	v_readfirstlane_b32 s53, v5
	s_delay_alu instid0(VALU_DEP_2)
	v_cmp_gt_i32_e32 vcc_lo, 11, v7
	s_cbranch_vccnz .LBB30_3306
; %bb.3300:
	s_and_b32 s0, 0xffff, s53
	s_mov_b32 s4, 0
	s_cmp_gt_i32 s0, 25
	s_cbranch_scc0 .LBB30_3307
; %bb.3301:
	s_cmp_gt_i32 s0, 28
	s_cbranch_scc0 .LBB30_3308
; %bb.3302:
	;; [unrolled: 3-line block ×4, first 2 shown]
	s_cmp_eq_u32 s0, 46
	s_mov_b32 s16, 0
	s_cbranch_scc0 .LBB30_3312
; %bb.3305:
	global_load_b32 v5, v[14:15], off
	s_mov_b32 s1, 0
	s_mov_b32 s5, -1
	s_wait_loadcnt 0x0
	v_lshlrev_b32_e32 v5, 16, v5
	s_delay_alu instid0(VALU_DEP_1) | instskip(NEXT) | instid1(VALU_DEP_1)
	v_trunc_f32_e32 v5, v5
	v_mul_f32_e64 v7, 0x2f800000, |v5|
	v_ashrrev_i32_e32 v16, 31, v5
	s_delay_alu instid0(VALU_DEP_2) | instskip(NEXT) | instid1(VALU_DEP_2)
	v_floor_f32_e32 v7, v7
	v_mov_b32_e32 v17, v16
	s_delay_alu instid0(VALU_DEP_2) | instskip(SKIP_1) | instid1(VALU_DEP_2)
	v_fma_f32 v11, 0xcf800000, v7, |v5|
	v_cvt_u32_f32_e32 v5, v7
	v_cvt_u32_f32_e32 v7, v11
	s_delay_alu instid0(VALU_DEP_2) | instskip(NEXT) | instid1(VALU_DEP_2)
	v_xor_b32_e32 v19, v5, v16
	v_xor_b32_e32 v18, v7, v16
	s_delay_alu instid0(VALU_DEP_1)
	v_sub_nc_u64_e32 v[16:17], v[18:19], v[16:17]
	s_branch .LBB30_3314
.LBB30_3306:
	s_mov_b32 s0, -1
	s_mov_b32 s5, 0
                                        ; implicit-def: $vgpr16_vgpr17
	s_branch .LBB30_3376
.LBB30_3307:
	s_mov_b32 s16, -1
	s_mov_b32 s5, 0
	s_mov_b32 s1, 0
                                        ; implicit-def: $vgpr16_vgpr17
	s_branch .LBB30_3341
.LBB30_3308:
	s_mov_b32 s16, -1
	s_mov_b32 s5, 0
	s_mov_b32 s1, 0
                                        ; implicit-def: $vgpr16_vgpr17
	s_branch .LBB30_3324
.LBB30_3309:
	s_mov_b32 s16, -1
	s_mov_b32 s5, 0
	s_mov_b32 s1, 0
                                        ; implicit-def: $vgpr16_vgpr17
	s_branch .LBB30_3319
.LBB30_3310:
	s_or_b32 s36, s36, exec_lo
	s_trap 2
	s_cbranch_execz .LBB30_3247
	s_branch .LBB30_3248
.LBB30_3311:
	s_mov_b32 s16, -1
	s_mov_b32 s5, 0
	s_mov_b32 s1, 0
	s_branch .LBB30_3313
.LBB30_3312:
	s_mov_b32 s1, -1
	s_mov_b32 s5, 0
.LBB30_3313:
                                        ; implicit-def: $vgpr16_vgpr17
.LBB30_3314:
	s_and_b32 vcc_lo, exec_lo, s16
	s_cbranch_vccz .LBB30_3318
; %bb.3315:
	s_cmp_eq_u32 s0, 44
	s_cbranch_scc0 .LBB30_3317
; %bb.3316:
	global_load_u8 v5, v[14:15], off
	s_mov_b32 s1, 0
	s_mov_b32 s5, -1
	s_wait_loadcnt 0x0
	v_lshlrev_b32_e32 v7, 23, v5
	v_cmp_ne_u32_e32 vcc_lo, 0, v5
	s_delay_alu instid0(VALU_DEP_2) | instskip(NEXT) | instid1(VALU_DEP_1)
	v_trunc_f32_e32 v7, v7
	v_mul_f32_e64 v11, 0x2f800000, |v7|
	v_ashrrev_i32_e32 v16, 31, v7
	s_delay_alu instid0(VALU_DEP_2) | instskip(NEXT) | instid1(VALU_DEP_1)
	v_floor_f32_e32 v11, v11
	v_fma_f32 v17, 0xcf800000, v11, |v7|
	v_cvt_u32_f32_e32 v7, v11
	s_delay_alu instid0(VALU_DEP_2) | instskip(NEXT) | instid1(VALU_DEP_2)
	v_cvt_u32_f32_e32 v11, v17
	v_dual_mov_b32 v17, v16 :: v_dual_bitop2_b32 v19, v7, v16 bitop3:0x14
	s_delay_alu instid0(VALU_DEP_2) | instskip(NEXT) | instid1(VALU_DEP_1)
	v_xor_b32_e32 v18, v11, v16
	v_sub_nc_u64_e32 v[16:17], v[18:19], v[16:17]
	s_delay_alu instid0(VALU_DEP_1)
	v_dual_cndmask_b32 v17, 0, v17 :: v_dual_cndmask_b32 v16, 0, v16
	s_branch .LBB30_3318
.LBB30_3317:
	s_mov_b32 s1, -1
                                        ; implicit-def: $vgpr16_vgpr17
.LBB30_3318:
	s_mov_b32 s16, 0
.LBB30_3319:
	s_delay_alu instid0(SALU_CYCLE_1)
	s_and_b32 vcc_lo, exec_lo, s16
	s_cbranch_vccz .LBB30_3323
; %bb.3320:
	s_cmp_eq_u32 s0, 29
	s_cbranch_scc0 .LBB30_3322
; %bb.3321:
	global_load_b64 v[16:17], v[14:15], off
	s_mov_b32 s1, 0
	s_mov_b32 s5, -1
	s_branch .LBB30_3323
.LBB30_3322:
	s_mov_b32 s1, -1
                                        ; implicit-def: $vgpr16_vgpr17
.LBB30_3323:
	s_mov_b32 s16, 0
.LBB30_3324:
	s_delay_alu instid0(SALU_CYCLE_1)
	s_and_b32 vcc_lo, exec_lo, s16
	s_cbranch_vccz .LBB30_3340
; %bb.3325:
	s_cmp_lt_i32 s0, 27
	s_cbranch_scc1 .LBB30_3328
; %bb.3326:
	s_cmp_gt_i32 s0, 27
	s_cbranch_scc0 .LBB30_3329
; %bb.3327:
	s_wait_loadcnt 0x0
	global_load_b32 v16, v[14:15], off
	v_mov_b32_e32 v17, 0
	s_mov_b32 s5, 0
	s_branch .LBB30_3330
.LBB30_3328:
	s_mov_b32 s5, -1
                                        ; implicit-def: $vgpr16_vgpr17
	s_branch .LBB30_3333
.LBB30_3329:
	s_mov_b32 s5, -1
                                        ; implicit-def: $vgpr16_vgpr17
.LBB30_3330:
	s_delay_alu instid0(SALU_CYCLE_1)
	s_and_not1_b32 vcc_lo, exec_lo, s5
	s_cbranch_vccnz .LBB30_3332
; %bb.3331:
	global_load_u16 v5, v[14:15], off
	s_mov_b32 s5, 0
	s_wait_loadcnt 0x1
	v_mov_b32_e32 v17, s5
	s_wait_loadcnt 0x0
	v_and_b32_e32 v16, 0xffff, v5
.LBB30_3332:
	s_mov_b32 s5, 0
.LBB30_3333:
	s_delay_alu instid0(SALU_CYCLE_1)
	s_and_not1_b32 vcc_lo, exec_lo, s5
	s_cbranch_vccnz .LBB30_3339
; %bb.3334:
	global_load_u8 v5, v[14:15], off
	s_mov_b32 s16, 0
	s_mov_b32 s5, exec_lo
	s_wait_loadcnt 0x0
	v_cmpx_lt_i16_e32 0x7f, v5
	s_xor_b32 s5, exec_lo, s5
	s_cbranch_execz .LBB30_3351
; %bb.3335:
	v_cmp_ne_u16_e32 vcc_lo, 0x80, v5
	s_and_b32 s16, vcc_lo, exec_lo
	s_and_not1_saveexec_b32 s5, s5
	s_cbranch_execnz .LBB30_3352
.LBB30_3336:
	s_or_b32 exec_lo, exec_lo, s5
	v_mov_b64_e32 v[16:17], 0
	s_and_saveexec_b32 s5, s16
	s_cbranch_execz .LBB30_3338
.LBB30_3337:
	v_and_b32_e32 v7, 0xffff, v5
	s_delay_alu instid0(VALU_DEP_1) | instskip(SKIP_1) | instid1(VALU_DEP_2)
	v_and_b32_e32 v11, 7, v7
	v_bfe_u32 v18, v7, 3, 4
	v_clz_i32_u32_e32 v16, v11
	s_delay_alu instid0(VALU_DEP_2) | instskip(NEXT) | instid1(VALU_DEP_2)
	v_cmp_eq_u32_e32 vcc_lo, 0, v18
	v_min_u32_e32 v16, 32, v16
	s_delay_alu instid0(VALU_DEP_1) | instskip(NEXT) | instid1(VALU_DEP_1)
	v_subrev_nc_u32_e32 v17, 28, v16
	v_dual_lshlrev_b32 v7, v17, v7 :: v_dual_sub_nc_u32 v16, 29, v16
	s_delay_alu instid0(VALU_DEP_1) | instskip(NEXT) | instid1(VALU_DEP_1)
	v_dual_lshlrev_b32 v5, 24, v5 :: v_dual_bitop2_b32 v7, 7, v7 bitop3:0x40
	v_dual_cndmask_b32 v16, v18, v16 :: v_dual_cndmask_b32 v7, v11, v7
	s_delay_alu instid0(VALU_DEP_2) | instskip(NEXT) | instid1(VALU_DEP_2)
	v_and_b32_e32 v5, 0x80000000, v5
	v_lshl_add_u32 v11, v16, 23, 0x3b800000
	s_delay_alu instid0(VALU_DEP_3) | instskip(NEXT) | instid1(VALU_DEP_1)
	v_lshlrev_b32_e32 v7, 20, v7
	v_or3_b32 v5, v5, v11, v7
	s_delay_alu instid0(VALU_DEP_1) | instskip(NEXT) | instid1(VALU_DEP_1)
	v_trunc_f32_e32 v5, v5
	v_mul_f32_e64 v7, 0x2f800000, |v5|
	v_ashrrev_i32_e32 v16, 31, v5
	s_delay_alu instid0(VALU_DEP_2) | instskip(NEXT) | instid1(VALU_DEP_2)
	v_floor_f32_e32 v7, v7
	v_mov_b32_e32 v17, v16
	s_delay_alu instid0(VALU_DEP_2) | instskip(SKIP_1) | instid1(VALU_DEP_2)
	v_fma_f32 v11, 0xcf800000, v7, |v5|
	v_cvt_u32_f32_e32 v5, v7
	v_cvt_u32_f32_e32 v7, v11
	s_delay_alu instid0(VALU_DEP_2) | instskip(NEXT) | instid1(VALU_DEP_2)
	v_xor_b32_e32 v19, v5, v16
	v_xor_b32_e32 v18, v7, v16
	s_delay_alu instid0(VALU_DEP_1)
	v_sub_nc_u64_e32 v[16:17], v[18:19], v[16:17]
.LBB30_3338:
	s_or_b32 exec_lo, exec_lo, s5
.LBB30_3339:
	s_mov_b32 s5, -1
.LBB30_3340:
	s_mov_b32 s16, 0
.LBB30_3341:
	s_delay_alu instid0(SALU_CYCLE_1)
	s_and_b32 vcc_lo, exec_lo, s16
	s_cbranch_vccz .LBB30_3372
; %bb.3342:
	s_cmp_gt_i32 s0, 22
	s_cbranch_scc0 .LBB30_3350
; %bb.3343:
	s_cmp_lt_i32 s0, 24
	s_cbranch_scc1 .LBB30_3353
; %bb.3344:
	s_cmp_gt_i32 s0, 24
	s_cbranch_scc0 .LBB30_3354
; %bb.3345:
	global_load_u8 v5, v[14:15], off
	s_mov_b32 s5, 0
	s_mov_b32 s4, exec_lo
	s_wait_loadcnt 0x0
	v_cmpx_lt_i16_e32 0x7f, v5
	s_xor_b32 s4, exec_lo, s4
	s_cbranch_execz .LBB30_3366
; %bb.3346:
	v_cmp_ne_u16_e32 vcc_lo, 0x80, v5
	s_and_b32 s5, vcc_lo, exec_lo
	s_and_not1_saveexec_b32 s4, s4
	s_cbranch_execnz .LBB30_3367
.LBB30_3347:
	s_or_b32 exec_lo, exec_lo, s4
	v_mov_b64_e32 v[16:17], 0
	s_and_saveexec_b32 s4, s5
	s_cbranch_execz .LBB30_3349
.LBB30_3348:
	v_and_b32_e32 v7, 0xffff, v5
	s_delay_alu instid0(VALU_DEP_1) | instskip(SKIP_1) | instid1(VALU_DEP_2)
	v_and_b32_e32 v11, 3, v7
	v_bfe_u32 v18, v7, 2, 5
	v_clz_i32_u32_e32 v16, v11
	s_delay_alu instid0(VALU_DEP_2) | instskip(NEXT) | instid1(VALU_DEP_2)
	v_cmp_eq_u32_e32 vcc_lo, 0, v18
	v_min_u32_e32 v16, 32, v16
	s_delay_alu instid0(VALU_DEP_1) | instskip(NEXT) | instid1(VALU_DEP_1)
	v_subrev_nc_u32_e32 v17, 29, v16
	v_dual_lshlrev_b32 v7, v17, v7 :: v_dual_sub_nc_u32 v16, 30, v16
	s_delay_alu instid0(VALU_DEP_1) | instskip(NEXT) | instid1(VALU_DEP_1)
	v_dual_lshlrev_b32 v5, 24, v5 :: v_dual_bitop2_b32 v7, 3, v7 bitop3:0x40
	v_dual_cndmask_b32 v16, v18, v16 :: v_dual_cndmask_b32 v7, v11, v7
	s_delay_alu instid0(VALU_DEP_2) | instskip(NEXT) | instid1(VALU_DEP_2)
	v_and_b32_e32 v5, 0x80000000, v5
	v_lshl_add_u32 v11, v16, 23, 0x37800000
	s_delay_alu instid0(VALU_DEP_3) | instskip(NEXT) | instid1(VALU_DEP_1)
	v_lshlrev_b32_e32 v7, 21, v7
	v_or3_b32 v5, v5, v11, v7
	s_delay_alu instid0(VALU_DEP_1) | instskip(NEXT) | instid1(VALU_DEP_1)
	v_trunc_f32_e32 v5, v5
	v_mul_f32_e64 v7, 0x2f800000, |v5|
	v_ashrrev_i32_e32 v16, 31, v5
	s_delay_alu instid0(VALU_DEP_2) | instskip(NEXT) | instid1(VALU_DEP_2)
	v_floor_f32_e32 v7, v7
	v_mov_b32_e32 v17, v16
	s_delay_alu instid0(VALU_DEP_2) | instskip(SKIP_1) | instid1(VALU_DEP_2)
	v_fma_f32 v11, 0xcf800000, v7, |v5|
	v_cvt_u32_f32_e32 v5, v7
	v_cvt_u32_f32_e32 v7, v11
	s_delay_alu instid0(VALU_DEP_2) | instskip(NEXT) | instid1(VALU_DEP_2)
	v_xor_b32_e32 v19, v5, v16
	v_xor_b32_e32 v18, v7, v16
	s_delay_alu instid0(VALU_DEP_1)
	v_sub_nc_u64_e32 v[16:17], v[18:19], v[16:17]
.LBB30_3349:
	s_or_b32 exec_lo, exec_lo, s4
	s_mov_b32 s4, 0
	s_branch .LBB30_3355
.LBB30_3350:
	s_mov_b32 s4, -1
                                        ; implicit-def: $vgpr16_vgpr17
	s_branch .LBB30_3361
.LBB30_3351:
	s_and_not1_saveexec_b32 s5, s5
	s_cbranch_execz .LBB30_3336
.LBB30_3352:
	v_cmp_ne_u16_e32 vcc_lo, 0, v5
	s_and_not1_b32 s16, s16, exec_lo
	s_and_b32 s17, vcc_lo, exec_lo
	s_delay_alu instid0(SALU_CYCLE_1)
	s_or_b32 s16, s16, s17
	s_or_b32 exec_lo, exec_lo, s5
	v_mov_b64_e32 v[16:17], 0
	s_and_saveexec_b32 s5, s16
	s_cbranch_execnz .LBB30_3337
	s_branch .LBB30_3338
.LBB30_3353:
	s_mov_b32 s4, -1
                                        ; implicit-def: $vgpr16_vgpr17
	s_branch .LBB30_3358
.LBB30_3354:
	s_mov_b32 s4, -1
                                        ; implicit-def: $vgpr16_vgpr17
.LBB30_3355:
	s_delay_alu instid0(SALU_CYCLE_1)
	s_and_b32 vcc_lo, exec_lo, s4
	s_cbranch_vccz .LBB30_3357
; %bb.3356:
	global_load_u8 v5, v[14:15], off
	s_wait_loadcnt 0x0
	v_lshlrev_b32_e32 v5, 24, v5
	s_delay_alu instid0(VALU_DEP_1) | instskip(NEXT) | instid1(VALU_DEP_1)
	v_and_b32_e32 v7, 0x7f000000, v5
	v_clz_i32_u32_e32 v11, v7
	v_add_nc_u32_e32 v17, 0x1000000, v7
	v_cmp_ne_u32_e32 vcc_lo, 0, v7
	s_delay_alu instid0(VALU_DEP_3) | instskip(NEXT) | instid1(VALU_DEP_1)
	v_min_u32_e32 v11, 32, v11
	v_sub_nc_u32_e64 v11, v11, 4 clamp
	s_delay_alu instid0(VALU_DEP_1) | instskip(NEXT) | instid1(VALU_DEP_1)
	v_lshlrev_b32_e32 v16, v11, v7
	v_dual_lshlrev_b32 v11, 23, v11 :: v_dual_lshrrev_b32 v16, 4, v16
	s_delay_alu instid0(VALU_DEP_1) | instskip(NEXT) | instid1(VALU_DEP_1)
	v_dual_sub_nc_u32 v11, v16, v11 :: v_dual_ashrrev_i32 v16, 8, v17
	v_add_nc_u32_e32 v11, 0x3c000000, v11
	s_delay_alu instid0(VALU_DEP_1) | instskip(NEXT) | instid1(VALU_DEP_1)
	v_and_or_b32 v11, 0x7f800000, v16, v11
	v_cndmask_b32_e32 v7, 0, v11, vcc_lo
	s_delay_alu instid0(VALU_DEP_1) | instskip(NEXT) | instid1(VALU_DEP_1)
	v_and_or_b32 v5, 0x80000000, v5, v7
	v_trunc_f32_e32 v5, v5
	s_delay_alu instid0(VALU_DEP_1) | instskip(SKIP_1) | instid1(VALU_DEP_2)
	v_mul_f32_e64 v7, 0x2f800000, |v5|
	v_ashrrev_i32_e32 v16, 31, v5
	v_floor_f32_e32 v7, v7
	s_delay_alu instid0(VALU_DEP_1) | instskip(SKIP_1) | instid1(VALU_DEP_4)
	v_fma_f32 v11, 0xcf800000, v7, |v5|
	v_cvt_u32_f32_e32 v5, v7
	v_mov_b32_e32 v17, v16
	s_delay_alu instid0(VALU_DEP_3) | instskip(NEXT) | instid1(VALU_DEP_3)
	v_cvt_u32_f32_e32 v7, v11
	v_xor_b32_e32 v19, v5, v16
	s_delay_alu instid0(VALU_DEP_2) | instskip(NEXT) | instid1(VALU_DEP_1)
	v_xor_b32_e32 v18, v7, v16
	v_sub_nc_u64_e32 v[16:17], v[18:19], v[16:17]
.LBB30_3357:
	s_mov_b32 s4, 0
.LBB30_3358:
	s_delay_alu instid0(SALU_CYCLE_1)
	s_and_not1_b32 vcc_lo, exec_lo, s4
	s_cbranch_vccnz .LBB30_3360
; %bb.3359:
	global_load_u8 v5, v[14:15], off
	s_wait_loadcnt 0x0
	v_lshlrev_b32_e32 v7, 25, v5
	v_lshlrev_b16 v5, 8, v5
	s_delay_alu instid0(VALU_DEP_1) | instskip(SKIP_1) | instid1(VALU_DEP_2)
	v_and_or_b32 v16, 0x7f00, v5, 0.5
	v_bfe_i32 v5, v5, 0, 16
	v_dual_add_f32 v16, -0.5, v16 :: v_dual_lshrrev_b32 v11, 4, v7
	v_cmp_gt_u32_e32 vcc_lo, 0x8000000, v7
	s_delay_alu instid0(VALU_DEP_2) | instskip(NEXT) | instid1(VALU_DEP_1)
	v_or_b32_e32 v11, 0x70000000, v11
	v_mul_f32_e32 v11, 0x7800000, v11
	s_delay_alu instid0(VALU_DEP_1) | instskip(NEXT) | instid1(VALU_DEP_1)
	v_cndmask_b32_e32 v7, v11, v16, vcc_lo
	v_and_or_b32 v5, 0x80000000, v5, v7
	s_delay_alu instid0(VALU_DEP_1) | instskip(NEXT) | instid1(VALU_DEP_1)
	v_trunc_f32_e32 v5, v5
	v_mul_f32_e64 v7, 0x2f800000, |v5|
	v_ashrrev_i32_e32 v16, 31, v5
	s_delay_alu instid0(VALU_DEP_2) | instskip(NEXT) | instid1(VALU_DEP_2)
	v_floor_f32_e32 v7, v7
	v_mov_b32_e32 v17, v16
	s_delay_alu instid0(VALU_DEP_2) | instskip(SKIP_1) | instid1(VALU_DEP_2)
	v_fma_f32 v11, 0xcf800000, v7, |v5|
	v_cvt_u32_f32_e32 v5, v7
	v_cvt_u32_f32_e32 v7, v11
	s_delay_alu instid0(VALU_DEP_2) | instskip(NEXT) | instid1(VALU_DEP_2)
	v_xor_b32_e32 v19, v5, v16
	v_xor_b32_e32 v18, v7, v16
	s_delay_alu instid0(VALU_DEP_1)
	v_sub_nc_u64_e32 v[16:17], v[18:19], v[16:17]
.LBB30_3360:
	s_mov_b32 s4, 0
	s_mov_b32 s5, -1
.LBB30_3361:
	s_and_not1_b32 vcc_lo, exec_lo, s4
	s_mov_b32 s4, 0
	s_cbranch_vccnz .LBB30_3372
; %bb.3362:
	s_cmp_gt_i32 s0, 14
	s_cbranch_scc0 .LBB30_3365
; %bb.3363:
	s_cmp_eq_u32 s0, 15
	s_cbranch_scc0 .LBB30_3368
; %bb.3364:
	global_load_u16 v5, v[14:15], off
	s_mov_b32 s1, 0
	s_mov_b32 s5, -1
	s_wait_loadcnt 0x0
	v_lshlrev_b32_e32 v5, 16, v5
	s_delay_alu instid0(VALU_DEP_1) | instskip(NEXT) | instid1(VALU_DEP_1)
	v_trunc_f32_e32 v5, v5
	v_mul_f32_e64 v7, 0x2f800000, |v5|
	v_ashrrev_i32_e32 v16, 31, v5
	s_delay_alu instid0(VALU_DEP_2) | instskip(NEXT) | instid1(VALU_DEP_2)
	v_floor_f32_e32 v7, v7
	v_mov_b32_e32 v17, v16
	s_delay_alu instid0(VALU_DEP_2) | instskip(SKIP_1) | instid1(VALU_DEP_2)
	v_fma_f32 v11, 0xcf800000, v7, |v5|
	v_cvt_u32_f32_e32 v5, v7
	v_cvt_u32_f32_e32 v7, v11
	s_delay_alu instid0(VALU_DEP_2) | instskip(NEXT) | instid1(VALU_DEP_2)
	v_xor_b32_e32 v19, v5, v16
	v_xor_b32_e32 v18, v7, v16
	s_delay_alu instid0(VALU_DEP_1)
	v_sub_nc_u64_e32 v[16:17], v[18:19], v[16:17]
	s_branch .LBB30_3370
.LBB30_3365:
	s_mov_b32 s4, -1
	s_branch .LBB30_3369
.LBB30_3366:
	s_and_not1_saveexec_b32 s4, s4
	s_cbranch_execz .LBB30_3347
.LBB30_3367:
	v_cmp_ne_u16_e32 vcc_lo, 0, v5
	s_and_not1_b32 s5, s5, exec_lo
	s_and_b32 s16, vcc_lo, exec_lo
	s_delay_alu instid0(SALU_CYCLE_1)
	s_or_b32 s5, s5, s16
	s_or_b32 exec_lo, exec_lo, s4
	v_mov_b64_e32 v[16:17], 0
	s_and_saveexec_b32 s4, s5
	s_cbranch_execnz .LBB30_3348
	s_branch .LBB30_3349
.LBB30_3368:
	s_mov_b32 s1, -1
.LBB30_3369:
                                        ; implicit-def: $vgpr16_vgpr17
.LBB30_3370:
	s_and_b32 vcc_lo, exec_lo, s4
	s_mov_b32 s4, 0
	s_cbranch_vccz .LBB30_3372
; %bb.3371:
	s_cmp_lg_u32 s0, 11
	s_mov_b32 s4, -1
	s_cselect_b32 s1, -1, 0
.LBB30_3372:
	s_delay_alu instid0(SALU_CYCLE_1)
	s_and_b32 vcc_lo, exec_lo, s1
	s_cbranch_vccnz .LBB30_3499
; %bb.3373:
	s_and_not1_b32 vcc_lo, exec_lo, s4
	s_cbranch_vccnz .LBB30_3375
.LBB30_3374:
	global_load_u8 v5, v[14:15], off
	s_mov_b32 s0, 0
	s_mov_b32 s5, -1
	s_wait_loadcnt 0x1
	v_mov_b32_e32 v17, s0
	s_wait_loadcnt 0x0
	v_cmp_ne_u16_e32 vcc_lo, 0, v5
	v_cndmask_b32_e64 v16, 0, 1, vcc_lo
.LBB30_3375:
	s_mov_b32 s0, 0
.LBB30_3376:
	s_delay_alu instid0(SALU_CYCLE_1)
	s_and_b32 vcc_lo, exec_lo, s0
	s_cbranch_vccz .LBB30_3425
; %bb.3377:
	s_and_b32 s0, 0xffff, s53
	s_delay_alu instid0(SALU_CYCLE_1)
	s_cmp_lt_i32 s0, 5
	s_cbranch_scc1 .LBB30_3382
; %bb.3378:
	s_cmp_lt_i32 s0, 8
	s_cbranch_scc1 .LBB30_3383
; %bb.3379:
	;; [unrolled: 3-line block ×3, first 2 shown]
	s_cmp_gt_i32 s0, 9
	s_cbranch_scc0 .LBB30_3385
; %bb.3381:
	s_wait_loadcnt 0x0
	global_load_b64 v[16:17], v[14:15], off
	s_mov_b32 s1, 0
	s_wait_loadcnt 0x0
	v_trunc_f64_e32 v[16:17], v[16:17]
	s_delay_alu instid0(VALU_DEP_1) | instskip(NEXT) | instid1(VALU_DEP_1)
	v_ldexp_f64 v[18:19], v[16:17], 0xffffffe0
	v_floor_f64_e32 v[18:19], v[18:19]
	s_delay_alu instid0(VALU_DEP_1) | instskip(SKIP_1) | instid1(VALU_DEP_2)
	v_fmamk_f64 v[20:21], v[18:19], 0xc1f00000, v[16:17]
	v_cvt_i32_f64_e32 v17, v[18:19]
	v_cvt_u32_f64_e32 v16, v[20:21]
	s_branch .LBB30_3386
.LBB30_3382:
	s_mov_b32 s1, -1
                                        ; implicit-def: $vgpr16_vgpr17
	s_branch .LBB30_3404
.LBB30_3383:
	s_mov_b32 s1, -1
                                        ; implicit-def: $vgpr16_vgpr17
	s_branch .LBB30_3392
.LBB30_3384:
	s_mov_b32 s1, -1
                                        ; implicit-def: $vgpr16_vgpr17
	s_branch .LBB30_3389
.LBB30_3385:
	s_mov_b32 s1, -1
                                        ; implicit-def: $vgpr16_vgpr17
.LBB30_3386:
	s_delay_alu instid0(SALU_CYCLE_1)
	s_and_not1_b32 vcc_lo, exec_lo, s1
	s_cbranch_vccnz .LBB30_3388
; %bb.3387:
	global_load_b32 v5, v[14:15], off
	s_wait_loadcnt 0x0
	v_trunc_f32_e32 v5, v5
	s_delay_alu instid0(VALU_DEP_1) | instskip(SKIP_1) | instid1(VALU_DEP_2)
	v_mul_f32_e64 v7, 0x2f800000, |v5|
	v_ashrrev_i32_e32 v16, 31, v5
	v_floor_f32_e32 v7, v7
	s_delay_alu instid0(VALU_DEP_1) | instskip(SKIP_1) | instid1(VALU_DEP_4)
	v_fma_f32 v11, 0xcf800000, v7, |v5|
	v_cvt_u32_f32_e32 v5, v7
	v_mov_b32_e32 v17, v16
	s_delay_alu instid0(VALU_DEP_3) | instskip(NEXT) | instid1(VALU_DEP_3)
	v_cvt_u32_f32_e32 v7, v11
	v_xor_b32_e32 v19, v5, v16
	s_delay_alu instid0(VALU_DEP_2) | instskip(NEXT) | instid1(VALU_DEP_1)
	v_xor_b32_e32 v18, v7, v16
	v_sub_nc_u64_e32 v[16:17], v[18:19], v[16:17]
.LBB30_3388:
	s_mov_b32 s1, 0
.LBB30_3389:
	s_delay_alu instid0(SALU_CYCLE_1)
	s_and_not1_b32 vcc_lo, exec_lo, s1
	s_cbranch_vccnz .LBB30_3391
; %bb.3390:
	global_load_b32 v5, v[14:15], off
	s_wait_loadcnt 0x0
	v_cvt_f32_f16_e32 v5, v5
	s_delay_alu instid0(VALU_DEP_1) | instskip(NEXT) | instid1(VALU_DEP_1)
	v_cvt_i32_f32_e32 v16, v5
	v_ashrrev_i32_e32 v17, 31, v16
.LBB30_3391:
	s_mov_b32 s1, 0
.LBB30_3392:
	s_delay_alu instid0(SALU_CYCLE_1)
	s_and_not1_b32 vcc_lo, exec_lo, s1
	s_cbranch_vccnz .LBB30_3403
; %bb.3393:
	s_cmp_lt_i32 s0, 6
	s_cbranch_scc1 .LBB30_3396
; %bb.3394:
	s_cmp_gt_i32 s0, 6
	s_cbranch_scc0 .LBB30_3397
; %bb.3395:
	s_wait_loadcnt 0x0
	global_load_b64 v[16:17], v[14:15], off
	s_mov_b32 s1, 0
	s_wait_loadcnt 0x0
	v_trunc_f64_e32 v[16:17], v[16:17]
	s_delay_alu instid0(VALU_DEP_1) | instskip(NEXT) | instid1(VALU_DEP_1)
	v_ldexp_f64 v[18:19], v[16:17], 0xffffffe0
	v_floor_f64_e32 v[18:19], v[18:19]
	s_delay_alu instid0(VALU_DEP_1) | instskip(SKIP_1) | instid1(VALU_DEP_2)
	v_fmamk_f64 v[20:21], v[18:19], 0xc1f00000, v[16:17]
	v_cvt_i32_f64_e32 v17, v[18:19]
	v_cvt_u32_f64_e32 v16, v[20:21]
	s_branch .LBB30_3398
.LBB30_3396:
	s_mov_b32 s1, -1
                                        ; implicit-def: $vgpr16_vgpr17
	s_branch .LBB30_3401
.LBB30_3397:
	s_mov_b32 s1, -1
                                        ; implicit-def: $vgpr16_vgpr17
.LBB30_3398:
	s_delay_alu instid0(SALU_CYCLE_1)
	s_and_not1_b32 vcc_lo, exec_lo, s1
	s_cbranch_vccnz .LBB30_3400
; %bb.3399:
	global_load_b32 v5, v[14:15], off
	s_wait_loadcnt 0x0
	v_trunc_f32_e32 v5, v5
	s_delay_alu instid0(VALU_DEP_1) | instskip(SKIP_1) | instid1(VALU_DEP_2)
	v_mul_f32_e64 v7, 0x2f800000, |v5|
	v_ashrrev_i32_e32 v16, 31, v5
	v_floor_f32_e32 v7, v7
	s_delay_alu instid0(VALU_DEP_1) | instskip(SKIP_1) | instid1(VALU_DEP_4)
	v_fma_f32 v11, 0xcf800000, v7, |v5|
	v_cvt_u32_f32_e32 v5, v7
	v_mov_b32_e32 v17, v16
	s_delay_alu instid0(VALU_DEP_3) | instskip(NEXT) | instid1(VALU_DEP_3)
	v_cvt_u32_f32_e32 v7, v11
	v_xor_b32_e32 v19, v5, v16
	s_delay_alu instid0(VALU_DEP_2) | instskip(NEXT) | instid1(VALU_DEP_1)
	v_xor_b32_e32 v18, v7, v16
	v_sub_nc_u64_e32 v[16:17], v[18:19], v[16:17]
.LBB30_3400:
	s_mov_b32 s1, 0
.LBB30_3401:
	s_delay_alu instid0(SALU_CYCLE_1)
	s_and_not1_b32 vcc_lo, exec_lo, s1
	s_cbranch_vccnz .LBB30_3403
; %bb.3402:
	global_load_u16 v5, v[14:15], off
	s_wait_loadcnt 0x0
	v_cvt_f32_f16_e32 v5, v5
	s_delay_alu instid0(VALU_DEP_1) | instskip(NEXT) | instid1(VALU_DEP_1)
	v_cvt_i32_f32_e32 v16, v5
	v_ashrrev_i32_e32 v17, 31, v16
.LBB30_3403:
	s_mov_b32 s1, 0
.LBB30_3404:
	s_delay_alu instid0(SALU_CYCLE_1)
	s_and_not1_b32 vcc_lo, exec_lo, s1
	s_cbranch_vccnz .LBB30_3424
; %bb.3405:
	s_cmp_lt_i32 s0, 2
	s_cbranch_scc1 .LBB30_3409
; %bb.3406:
	s_cmp_lt_i32 s0, 3
	s_cbranch_scc1 .LBB30_3410
; %bb.3407:
	s_cmp_gt_i32 s0, 3
	s_cbranch_scc0 .LBB30_3411
; %bb.3408:
	s_wait_loadcnt 0x0
	global_load_b64 v[16:17], v[14:15], off
	s_mov_b32 s1, 0
	s_branch .LBB30_3412
.LBB30_3409:
	s_mov_b32 s1, -1
                                        ; implicit-def: $vgpr16_vgpr17
	s_branch .LBB30_3418
.LBB30_3410:
	s_mov_b32 s1, -1
                                        ; implicit-def: $vgpr16_vgpr17
	s_branch .LBB30_3415
.LBB30_3411:
	s_mov_b32 s1, -1
                                        ; implicit-def: $vgpr16_vgpr17
.LBB30_3412:
	s_delay_alu instid0(SALU_CYCLE_1)
	s_and_not1_b32 vcc_lo, exec_lo, s1
	s_cbranch_vccnz .LBB30_3414
; %bb.3413:
	s_wait_loadcnt 0x0
	global_load_b32 v16, v[14:15], off
	s_wait_loadcnt 0x0
	v_ashrrev_i32_e32 v17, 31, v16
.LBB30_3414:
	s_mov_b32 s1, 0
.LBB30_3415:
	s_delay_alu instid0(SALU_CYCLE_1)
	s_and_not1_b32 vcc_lo, exec_lo, s1
	s_cbranch_vccnz .LBB30_3417
; %bb.3416:
	global_load_u16 v5, v[14:15], off
	s_wait_loadcnt 0x0
	v_bfe_i32 v16, v5, 0, 16
	s_delay_alu instid0(VALU_DEP_1)
	v_ashrrev_i32_e32 v17, 31, v16
.LBB30_3417:
	s_mov_b32 s1, 0
.LBB30_3418:
	s_delay_alu instid0(SALU_CYCLE_1)
	s_and_not1_b32 vcc_lo, exec_lo, s1
	s_cbranch_vccnz .LBB30_3424
; %bb.3419:
	s_cmp_gt_i32 s0, 0
	s_mov_b32 s0, 0
	s_cbranch_scc0 .LBB30_3421
; %bb.3420:
	global_load_i8 v5, v[14:15], off
	s_wait_loadcnt 0x0
	v_bfe_i32 v16, v5, 0, 16
	s_delay_alu instid0(VALU_DEP_1)
	v_ashrrev_i32_e32 v17, 31, v16
	s_branch .LBB30_3422
.LBB30_3421:
	s_mov_b32 s0, -1
                                        ; implicit-def: $vgpr16_vgpr17
.LBB30_3422:
	s_delay_alu instid0(SALU_CYCLE_1)
	s_and_not1_b32 vcc_lo, exec_lo, s0
	s_cbranch_vccnz .LBB30_3424
; %bb.3423:
	global_load_u8 v5, v[14:15], off
	s_mov_b32 s0, 0
	s_wait_loadcnt 0x1
	v_mov_b32_e32 v17, s0
	s_wait_loadcnt 0x0
	v_and_b32_e32 v16, 0xffff, v5
.LBB30_3424:
	s_mov_b32 s5, -1
.LBB30_3425:
	s_delay_alu instid0(SALU_CYCLE_1)
	s_and_not1_b32 vcc_lo, exec_lo, s5
	s_cbranch_vccnz .LBB30_3434
; %bb.3426:
	s_load_b64 s[0:1], s[28:29], 0x48
	s_get_pc_i64 s[4:5]
	s_add_nc_u64 s[4:5], s[4:5], .str.1@rel64+4
	s_delay_alu instid0(SALU_CYCLE_1) | instskip(SKIP_3) | instid1(SALU_CYCLE_1)
	s_cmp_eq_u64 s[4:5], 0
	s_wait_kmcnt 0x0
	v_cmp_ne_u64_e32 vcc_lo, s[0:1], v[0:1]
	s_cselect_b32 s0, -1, 0
	s_or_b32 s0, s0, vcc_lo
	s_delay_alu instid0(SALU_CYCLE_1) | instskip(NEXT) | instid1(SALU_CYCLE_1)
	s_and_saveexec_b32 s1, s0
	s_xor_b32 s0, exec_lo, s1
	s_cbranch_execnz .LBB30_3809
.LBB30_3427:
	s_or_saveexec_b32 s37, s0
	s_mov_b32 s1, 0
	s_mov_b32 s4, 0
                                        ; implicit-def: $vgpr20_vgpr21
                                        ; implicit-def: $sgpr0
	s_xor_b32 exec_lo, exec_lo, s37
	s_cbranch_execz .LBB30_4323
; %bb.3428:
	s_load_b64 s[0:1], s[28:29], 0x58
	s_get_pc_i64 s[4:5]
	s_add_nc_u64 s[4:5], s[4:5], .str.2@rel64+4
	s_mov_b32 s38, s36
	s_cmp_eq_u64 s[4:5], 0
	s_wait_kmcnt 0x0
	v_cmp_ne_u64_e32 vcc_lo, s[0:1], v[2:3]
	s_cselect_b32 s0, -1, 0
	s_delay_alu instid0(SALU_CYCLE_1) | instskip(NEXT) | instid1(SALU_CYCLE_1)
	s_or_b32 s0, s0, vcc_lo
	s_and_saveexec_b32 s1, s0
	s_delay_alu instid0(SALU_CYCLE_1)
	s_xor_b32 s0, exec_lo, s1
	s_cbranch_execnz .LBB30_3938
.LBB30_3429:
	s_or_saveexec_b32 s39, s0
	s_mov_b32 s1, 0
	s_mov_b32 s4, 0
                                        ; implicit-def: $vgpr20_vgpr21
                                        ; implicit-def: $sgpr0
	s_xor_b32 exec_lo, exec_lo, s39
	s_cbranch_execz .LBB30_4322
; %bb.3430:
	s_load_b64 s[16:17], s[28:29], 0x50
	v_sub_nc_u64_e32 v[14:15], v[12:13], v[8:9]
	s_get_pc_i64 s[4:5]
	s_add_nc_u64 s[4:5], s[4:5], .str.3@rel64+4
	s_mov_b32 s40, s38
	s_delay_alu instid0(VALU_DEP_1)
	v_cmp_gt_i64_e32 vcc_lo, v[0:1], v[14:15]
	s_wait_kmcnt 0x0
	v_cmp_lt_i64_e64 s0, s[16:17], v[14:15]
	s_or_b32 s0, vcc_lo, s0
	s_cmp_eq_u64 s[4:5], 0
	s_cselect_b32 s1, -1, 0
	s_delay_alu instid0(SALU_CYCLE_1) | instskip(NEXT) | instid1(SALU_CYCLE_1)
	s_or_b32 s0, s1, s0
	s_and_saveexec_b32 s1, s0
	s_delay_alu instid0(SALU_CYCLE_1)
	s_xor_b32 s0, exec_lo, s1
	s_cbranch_execnz .LBB30_4067
.LBB30_3431:
	s_or_saveexec_b32 s41, s0
	s_mov_b32 s1, 0
	s_mov_b32 s4, 0
                                        ; implicit-def: $vgpr20_vgpr21
                                        ; implicit-def: $sgpr0
	s_xor_b32 exec_lo, exec_lo, s41
	s_cbranch_execz .LBB30_4321
; %bb.3432:
	s_load_b32 s45, s[28:29], 0x60
	v_cmp_lt_i64_e32 vcc_lo, 0, v[2:3]
	v_mov_b64_e32 v[14:15], 0
	s_wait_kmcnt 0x0
	s_add_co_i32 s4, s45, -1
	s_delay_alu instid0(SALU_CYCLE_1) | instskip(SKIP_1) | instid1(SALU_CYCLE_1)
	s_cmp_gt_i32 s4, -1
	s_cselect_b32 s0, -1, 0
	s_and_b32 s47, vcc_lo, s0
	s_delay_alu instid0(SALU_CYCLE_1)
	s_and_saveexec_b32 s42, s47
	s_cbranch_execz .LBB30_3484
; %bb.3433:
	s_wait_loadcnt 0x0
	v_mul_u64_e32 v[18:19], v[16:17], v[2:3]
	s_mov_b32 s5, s1
	v_mov_b64_e32 v[14:15], 0
	s_lshl_b64 s[20:21], s[4:5], 3
	v_mov_b32_e32 v16, 0
	s_add_nc_u64 s[20:21], s[28:29], s[20:21]
	s_mov_b64 s[18:19], 0xffffffff
	s_add_nc_u64 s[20:21], s[20:21], 0x68
	s_mov_b32 s5, s45
	s_branch .LBB30_3480
.LBB30_3434:
	s_mov_b32 s1, 0
	s_mov_b32 s4, 0
                                        ; implicit-def: $vgpr20_vgpr21
                                        ; implicit-def: $sgpr0
.LBB30_3435:
	s_and_not1_b32 s2, s34, exec_lo
	s_and_b32 s3, s36, exec_lo
	s_and_b32 s4, s4, exec_lo
	;; [unrolled: 1-line block ×3, first 2 shown]
	s_or_b32 s34, s2, s3
.LBB30_3436:
	s_wait_xcnt 0x0
	s_or_b32 exec_lo, exec_lo, s35
	s_and_saveexec_b32 s1, s34
	s_cbranch_execz .LBB30_3439
; %bb.3437:
	; divergent unreachable
	s_or_b32 exec_lo, exec_lo, s1
	s_and_saveexec_b32 s1, s48
	s_delay_alu instid0(SALU_CYCLE_1)
	s_xor_b32 s1, exec_lo, s1
	s_cbranch_execnz .LBB30_3440
.LBB30_3438:
	s_or_b32 exec_lo, exec_lo, s1
	s_and_saveexec_b32 s1, s4
	s_cbranch_execnz .LBB30_3441
	s_branch .LBB30_3478
.LBB30_3439:
	s_or_b32 exec_lo, exec_lo, s1
	s_and_saveexec_b32 s1, s48
	s_delay_alu instid0(SALU_CYCLE_1)
	s_xor_b32 s1, exec_lo, s1
	s_cbranch_execz .LBB30_3438
.LBB30_3440:
	s_wait_loadcnt 0x0
	v_mov_b32_e32 v0, 0
	global_store_b8 v[20:21], v0, off
	s_wait_xcnt 0x0
	s_or_b32 exec_lo, exec_lo, s1
	s_and_saveexec_b32 s1, s4
	s_cbranch_execz .LBB30_3478
.LBB30_3441:
	s_sext_i32_i16 s2, s0
	s_mov_b32 s1, -1
	s_cmp_lt_i32 s2, 5
	s_cbranch_scc1 .LBB30_3462
; %bb.3442:
	s_cmp_lt_i32 s2, 8
	s_cbranch_scc1 .LBB30_3452
; %bb.3443:
	;; [unrolled: 3-line block ×3, first 2 shown]
	s_cmp_gt_i32 s2, 9
	s_cbranch_scc0 .LBB30_3446
; %bb.3445:
	s_wait_loadcnt 0x0
	v_mov_b32_e32 v0, 0
	s_mov_b32 s1, 0
	s_delay_alu instid0(VALU_DEP_1)
	v_dual_mov_b32 v1, v0 :: v_dual_mov_b32 v2, v0
	v_mov_b32_e32 v3, v0
	global_store_b128 v[20:21], v[0:3], off
.LBB30_3446:
	s_and_not1_b32 vcc_lo, exec_lo, s1
	s_cbranch_vccnz .LBB30_3448
; %bb.3447:
	s_wait_loadcnt 0x0
	v_mov_b64_e32 v[0:1], 0
	global_store_b64 v[20:21], v[0:1], off
.LBB30_3448:
	s_mov_b32 s1, 0
.LBB30_3449:
	s_delay_alu instid0(SALU_CYCLE_1)
	s_and_not1_b32 vcc_lo, exec_lo, s1
	s_cbranch_vccnz .LBB30_3451
; %bb.3450:
	s_wait_loadcnt 0x0
	v_mov_b32_e32 v0, 0
	global_store_b32 v[20:21], v0, off
.LBB30_3451:
	s_mov_b32 s1, 0
.LBB30_3452:
	s_delay_alu instid0(SALU_CYCLE_1)
	s_and_not1_b32 vcc_lo, exec_lo, s1
	s_cbranch_vccnz .LBB30_3461
; %bb.3453:
	s_sext_i32_i16 s2, s0
	s_mov_b32 s1, -1
	s_cmp_lt_i32 s2, 6
	s_cbranch_scc1 .LBB30_3459
; %bb.3454:
	s_cmp_gt_i32 s2, 6
	s_cbranch_scc0 .LBB30_3456
; %bb.3455:
	s_wait_loadcnt 0x0
	v_mov_b64_e32 v[0:1], 0
	s_mov_b32 s1, 0
	global_store_b64 v[20:21], v[0:1], off
.LBB30_3456:
	s_and_not1_b32 vcc_lo, exec_lo, s1
	s_cbranch_vccnz .LBB30_3458
; %bb.3457:
	s_wait_loadcnt 0x0
	v_mov_b32_e32 v0, 0
	global_store_b32 v[20:21], v0, off
.LBB30_3458:
	s_mov_b32 s1, 0
.LBB30_3459:
	s_delay_alu instid0(SALU_CYCLE_1)
	s_and_not1_b32 vcc_lo, exec_lo, s1
	s_cbranch_vccnz .LBB30_3461
; %bb.3460:
	s_wait_loadcnt 0x0
	v_mov_b32_e32 v0, 0
	global_store_b16 v[20:21], v0, off
.LBB30_3461:
	s_mov_b32 s1, 0
.LBB30_3462:
	s_delay_alu instid0(SALU_CYCLE_1)
	s_and_not1_b32 vcc_lo, exec_lo, s1
	s_cbranch_vccnz .LBB30_3478
; %bb.3463:
	s_sext_i32_i16 s2, s0
	s_mov_b32 s1, -1
	s_cmp_lt_i32 s2, 2
	s_cbranch_scc1 .LBB30_3473
; %bb.3464:
	s_cmp_lt_i32 s2, 3
	s_cbranch_scc1 .LBB30_3470
; %bb.3465:
	s_cmp_gt_i32 s2, 3
	s_cbranch_scc0 .LBB30_3467
; %bb.3466:
	s_wait_loadcnt 0x0
	v_mov_b64_e32 v[0:1], 0
	s_mov_b32 s1, 0
	global_store_b64 v[20:21], v[0:1], off
.LBB30_3467:
	s_and_not1_b32 vcc_lo, exec_lo, s1
	s_cbranch_vccnz .LBB30_3469
; %bb.3468:
	s_wait_loadcnt 0x0
	v_mov_b32_e32 v0, 0
	global_store_b32 v[20:21], v0, off
.LBB30_3469:
	s_mov_b32 s1, 0
.LBB30_3470:
	s_delay_alu instid0(SALU_CYCLE_1)
	s_and_not1_b32 vcc_lo, exec_lo, s1
	s_cbranch_vccnz .LBB30_3472
; %bb.3471:
	s_wait_loadcnt 0x0
	v_mov_b32_e32 v0, 0
	global_store_b16 v[20:21], v0, off
.LBB30_3472:
	s_mov_b32 s1, 0
.LBB30_3473:
	s_delay_alu instid0(SALU_CYCLE_1)
	s_and_not1_b32 vcc_lo, exec_lo, s1
	s_cbranch_vccnz .LBB30_3478
; %bb.3474:
	s_sext_i32_i16 s0, s0
	s_delay_alu instid0(SALU_CYCLE_1)
	s_cmp_gt_i32 s0, 0
	s_mov_b32 s0, -1
	s_cbranch_scc0 .LBB30_3476
; %bb.3475:
	s_wait_loadcnt 0x0
	v_mov_b32_e32 v0, 0
	s_mov_b32 s0, 0
	global_store_b8 v[20:21], v0, off
.LBB30_3476:
	s_and_not1_b32 vcc_lo, exec_lo, s0
	s_cbranch_vccnz .LBB30_3478
; %bb.3477:
	s_wait_loadcnt 0x0
	v_mov_b32_e32 v0, 0
	global_store_b8 v[20:21], v0, off
	s_endpgm
.LBB30_3478:
	s_endpgm
.LBB30_3479:                            ;   in Loop: Header=BB30_3480 Depth=1
	s_or_b32 exec_lo, exec_lo, s0
	s_delay_alu instid0(VALU_DEP_1)
	v_mul_u64_e32 v[22:23], s[22:23], v[20:21]
	s_load_b64 s[22:23], s[20:21], 0x40
	s_add_co_i32 s5, s5, -1
	s_wait_xcnt 0x0
	s_add_nc_u64 s[20:21], s[20:21], -8
	s_cmp_eq_u32 s5, 0
	s_delay_alu instid0(VALU_DEP_1) | instskip(SKIP_1) | instid1(VALU_DEP_1)
	v_sub_nc_u64_e32 v[18:19], v[18:19], v[22:23]
	s_wait_kmcnt 0x0
	v_mad_nc_u64_u32 v[14:15], v18, s22, v[14:15]
	s_delay_alu instid0(VALU_DEP_1) | instskip(NEXT) | instid1(VALU_DEP_1)
	v_mad_u32 v5, v19, s22, v15
	v_mad_u32 v15, v18, s23, v5
	v_mov_b64_e32 v[18:19], v[20:21]
	s_cbranch_scc1 .LBB30_3484
.LBB30_3480:                            ; =>This Inner Loop Header: Depth=1
	s_load_b64 s[22:23], s[20:21], 0x0
                                        ; implicit-def: $vgpr20_vgpr21
	s_mov_b32 s0, exec_lo
	s_wait_kmcnt 0x0
	s_delay_alu instid0(VALU_DEP_1) | instskip(NEXT) | instid1(VALU_DEP_1)
	v_or_b32_e32 v17, s23, v19
	v_cmpx_ne_u64_e32 0, v[16:17]
	s_xor_b32 s43, exec_lo, s0
	s_cbranch_execz .LBB30_3482
; %bb.3481:                             ;   in Loop: Header=BB30_3480 Depth=1
	s_ashr_i32 s24, s23, 31
	v_dual_mov_b32 v25, v16 :: v_dual_ashrrev_i32 v20, 31, v19
	s_mov_b32 s25, s24
	s_delay_alu instid0(SALU_CYCLE_1) | instskip(NEXT) | instid1(VALU_DEP_1)
	s_add_nc_u64 s[26:27], s[22:23], s[24:25]
	v_mov_b32_e32 v21, v20
	s_xor_b64 s[26:27], s[26:27], s[24:25]
	s_delay_alu instid0(SALU_CYCLE_1)
	s_cvt_f32_u32 s0, s26
	s_cvt_f32_u32 s25, s27
	s_sub_nc_u64 s[58:59], 0, s[26:27]
	v_add_nc_u64_e32 v[22:23], v[18:19], v[20:21]
	v_mov_b32_e32 v31, v16
	s_fmamk_f32 s0, s25, 0x4f800000, s0
	s_delay_alu instid0(SALU_CYCLE_3) | instskip(NEXT) | instid1(VALU_DEP_2)
	v_s_rcp_f32 s0, s0
	v_xor_b32_e32 v24, v22, v20
	s_delay_alu instid0(VALU_DEP_3) | instskip(NEXT) | instid1(TRANS32_DEP_1)
	v_dual_mov_b32 v35, v16 :: v_dual_bitop2_b32 v30, v23, v20 bitop3:0x14
	s_mul_f32 s0, s0, 0x5f7ffffc
	s_delay_alu instid0(SALU_CYCLE_3) | instskip(NEXT) | instid1(SALU_CYCLE_3)
	s_mul_f32 s25, s0, 0x2f800000
	s_trunc_f32 s25, s25
	s_delay_alu instid0(SALU_CYCLE_3) | instskip(SKIP_1) | instid1(SALU_CYCLE_2)
	s_fmamk_f32 s0, s25, 0xcf800000, s0
	s_cvt_u32_f32 s57, s25
	s_cvt_u32_f32 s56, s0
	s_delay_alu instid0(SALU_CYCLE_3) | instskip(NEXT) | instid1(SALU_CYCLE_1)
	s_mul_u64 s[62:63], s[58:59], s[56:57]
	s_mul_hi_u32 s65, s56, s63
	s_mul_i32 s64, s56, s63
	s_mul_hi_u32 s0, s56, s62
	s_mul_i32 s44, s57, s62
	s_add_nc_u64 s[64:65], s[0:1], s[64:65]
	s_mul_hi_u32 s25, s57, s62
	s_mul_hi_u32 s46, s57, s63
	s_add_co_u32 s0, s64, s44
	s_add_co_ci_u32 s0, s65, s25
	s_mul_i32 s62, s57, s63
	s_add_co_ci_u32 s63, s46, 0
	s_delay_alu instid0(SALU_CYCLE_1) | instskip(NEXT) | instid1(SALU_CYCLE_1)
	s_add_nc_u64 s[62:63], s[0:1], s[62:63]
	s_add_co_u32 s56, s56, s62
	s_cselect_b32 s0, -1, 0
	s_delay_alu instid0(SALU_CYCLE_1) | instskip(SKIP_1) | instid1(SALU_CYCLE_1)
	s_cmp_lg_u32 s0, 0
	s_add_co_ci_u32 s57, s57, s63
	s_mul_u64 s[58:59], s[58:59], s[56:57]
	s_delay_alu instid0(SALU_CYCLE_1)
	s_mul_hi_u32 s63, s56, s59
	s_mul_i32 s62, s56, s59
	s_mul_hi_u32 s0, s56, s58
	s_mul_i32 s44, s57, s58
	s_add_nc_u64 s[62:63], s[0:1], s[62:63]
	s_mul_hi_u32 s25, s57, s58
	s_mul_hi_u32 s46, s57, s59
	s_add_co_u32 s0, s62, s44
	s_add_co_ci_u32 s0, s63, s25
	s_mul_i32 s58, s57, s59
	s_add_co_ci_u32 s59, s46, 0
	s_delay_alu instid0(SALU_CYCLE_1) | instskip(NEXT) | instid1(SALU_CYCLE_1)
	s_add_nc_u64 s[58:59], s[0:1], s[58:59]
	s_add_co_u32 s44, s56, s58
	s_cselect_b32 s0, -1, 0
	v_mul_hi_u32 v34, v24, s44
	s_cmp_lg_u32 s0, 0
	s_add_co_ci_u32 s0, s57, s59
	s_and_b64 s[56:57], s[44:45], s[18:19]
	v_mul_u64_e32 v[28:29], s[0:1], v[24:25]
	v_mul_u64_e32 v[22:23], s[56:57], v[30:31]
	;; [unrolled: 1-line block ×3, first 2 shown]
	s_delay_alu instid0(VALU_DEP_3) | instskip(NEXT) | instid1(VALU_DEP_1)
	v_add_nc_u64_e32 v[28:29], v[34:35], v[28:29]
	v_add_co_u32 v5, vcc_lo, v28, v22
	s_delay_alu instid0(VALU_DEP_2) | instskip(NEXT) | instid1(VALU_DEP_4)
	v_add_co_ci_u32_e32 v34, vcc_lo, v29, v23, vcc_lo
	v_add_co_ci_u32_e32 v33, vcc_lo, 0, v33, vcc_lo
	s_delay_alu instid0(VALU_DEP_1) | instskip(NEXT) | instid1(VALU_DEP_1)
	v_add_nc_u64_e32 v[22:23], v[34:35], v[32:33]
	v_mul_u64_e32 v[28:29], s[26:27], v[22:23]
	s_delay_alu instid0(VALU_DEP_1) | instskip(NEXT) | instid1(VALU_DEP_2)
	v_sub_nc_u32_e32 v5, v30, v29
	v_sub_co_u32 v7, vcc_lo, v24, v28
	s_delay_alu instid0(VALU_DEP_1) | instskip(NEXT) | instid1(VALU_DEP_3)
	v_sub_co_ci_u32_e64 v17, null, v30, v29, vcc_lo
	v_subrev_co_ci_u32_e64 v5, null, s27, v5, vcc_lo
	s_delay_alu instid0(VALU_DEP_3) | instskip(SKIP_1) | instid1(VALU_DEP_3)
	v_sub_co_u32 v11, s0, v7, s26
	v_add_nc_u64_e32 v[24:25], 2, v[22:23]
	v_subrev_co_ci_u32_e64 v5, null, 0, v5, s0
	s_delay_alu instid0(VALU_DEP_3) | instskip(SKIP_2) | instid1(VALU_DEP_4)
	v_cmp_le_u32_e32 vcc_lo, s26, v11
	v_add_nc_u64_e32 v[28:29], 1, v[22:23]
	v_cndmask_b32_e64 v11, 0, -1, vcc_lo
	v_cmp_le_u32_e32 vcc_lo, s27, v5
	v_cndmask_b32_e64 v21, 0, -1, vcc_lo
	v_cmp_le_u32_e32 vcc_lo, s26, v7
	;; [unrolled: 2-line block ×3, first 2 shown]
	v_cndmask_b32_e64 v27, 0, -1, vcc_lo
	v_cmp_eq_u32_e32 vcc_lo, s27, v5
	v_cndmask_b32_e32 v5, v21, v11, vcc_lo
	v_cmp_eq_u32_e32 vcc_lo, s27, v17
	s_delay_alu instid0(VALU_DEP_4) | instskip(NEXT) | instid1(VALU_DEP_3)
	v_cndmask_b32_e32 v7, v27, v7, vcc_lo
	v_cmp_ne_u32_e32 vcc_lo, 0, v5
	v_cndmask_b32_e32 v5, v29, v25, vcc_lo
	s_delay_alu instid0(VALU_DEP_3) | instskip(SKIP_1) | instid1(VALU_DEP_2)
	v_cmp_ne_u32_e64 s0, 0, v7
	v_cndmask_b32_e32 v7, v28, v24, vcc_lo
	v_dual_cndmask_b32 v5, v23, v5, s0 :: v_dual_bitop2_b32 v20, s24, v20 bitop3:0x14
	s_delay_alu instid0(VALU_DEP_1) | instskip(NEXT) | instid1(VALU_DEP_2)
	v_dual_cndmask_b32 v7, v22, v7, s0 :: v_dual_mov_b32 v21, v20
	v_xor_b32_e32 v23, v5, v20
	s_delay_alu instid0(VALU_DEP_2) | instskip(NEXT) | instid1(VALU_DEP_1)
	v_xor_b32_e32 v22, v7, v20
	v_sub_nc_u64_e32 v[20:21], v[22:23], v[20:21]
.LBB30_3482:                            ;   in Loop: Header=BB30_3480 Depth=1
	s_and_not1_saveexec_b32 s0, s43
	s_cbranch_execz .LBB30_3479
; %bb.3483:                             ;   in Loop: Header=BB30_3480 Depth=1
	v_cvt_f32_u32_e32 v5, s22
	s_sub_co_i32 s24, 0, s22
	v_mov_b32_e32 v21, v16
	s_delay_alu instid0(VALU_DEP_2) | instskip(SKIP_1) | instid1(TRANS32_DEP_1)
	v_rcp_iflag_f32_e32 v5, v5
	v_nop
	v_mul_f32_e32 v5, 0x4f7ffffe, v5
	s_delay_alu instid0(VALU_DEP_1) | instskip(NEXT) | instid1(VALU_DEP_1)
	v_cvt_u32_f32_e32 v5, v5
	v_mul_lo_u32 v7, s24, v5
	s_delay_alu instid0(VALU_DEP_1) | instskip(NEXT) | instid1(VALU_DEP_1)
	v_mul_hi_u32 v7, v5, v7
	v_add_nc_u32_e32 v5, v5, v7
	s_delay_alu instid0(VALU_DEP_1) | instskip(NEXT) | instid1(VALU_DEP_1)
	v_mul_hi_u32 v5, v18, v5
	v_mul_lo_u32 v7, v5, s22
	s_delay_alu instid0(VALU_DEP_1) | instskip(NEXT) | instid1(VALU_DEP_1)
	v_dual_add_nc_u32 v11, 1, v5 :: v_dual_sub_nc_u32 v7, v18, v7
	v_subrev_nc_u32_e32 v17, s22, v7
	v_cmp_le_u32_e32 vcc_lo, s22, v7
	s_delay_alu instid0(VALU_DEP_2) | instskip(NEXT) | instid1(VALU_DEP_1)
	v_dual_cndmask_b32 v7, v7, v17, vcc_lo :: v_dual_cndmask_b32 v5, v5, v11, vcc_lo
	v_cmp_le_u32_e32 vcc_lo, s22, v7
	s_delay_alu instid0(VALU_DEP_2) | instskip(NEXT) | instid1(VALU_DEP_1)
	v_add_nc_u32_e32 v11, 1, v5
	v_cndmask_b32_e32 v20, v5, v11, vcc_lo
	s_branch .LBB30_3479
.LBB30_3484:
	s_or_b32 exec_lo, exec_lo, s42
	s_load_b64 s[18:19], s[28:29], 0xe8
	s_get_pc_i64 s[0:1]
	s_add_nc_u64 s[0:1], s[0:1], .str.4@rel64+4
	s_mov_b32 s20, -1
	s_cmp_lg_u64 s[0:1], 0
	s_mov_b32 s42, s40
	s_cselect_b32 s46, -1, 0
	s_mov_b32 s0, exec_lo
	v_cmpx_gt_i64_e64 v[12:13], v[8:9]
	s_cbranch_execz .LBB30_3491
; %bb.3485:
	v_lshlrev_b64_e32 v[14:15], 3, v[14:15]
	s_mov_b32 s5, 0
	s_xor_b32 s20, s46, -1
                                        ; implicit-def: $sgpr1
                                        ; implicit-def: $sgpr22
                                        ; implicit-def: $sgpr21
	s_delay_alu instid0(VALU_DEP_1) | instskip(SKIP_2) | instid1(VALU_DEP_2)
	v_lshl_add_u64 v[8:9], v[8:9], 3, v[14:15]
	s_wait_kmcnt 0x0
	v_add_nc_u64_e32 v[14:15], s[18:19], v[14:15]
	v_add_nc_u64_e32 v[8:9], s[18:19], v[8:9]
	s_delay_alu instid0(VALU_DEP_2) | instskip(NEXT) | instid1(VALU_DEP_2)
	v_lshl_add_u64 v[12:13], v[12:13], 3, v[14:15]
	v_add_nc_u64_e32 v[8:9], 8, v[8:9]
	s_branch .LBB30_3487
.LBB30_3486:                            ;   in Loop: Header=BB30_3487 Depth=1
	s_or_b32 exec_lo, exec_lo, s23
	s_xor_b32 s23, s21, -1
	s_and_b32 s24, exec_lo, s22
	s_delay_alu instid0(SALU_CYCLE_1) | instskip(SKIP_2) | instid1(SALU_CYCLE_1)
	s_or_b32 s5, s24, s5
	s_and_not1_b32 s1, s1, exec_lo
	s_and_b32 s23, s23, exec_lo
	s_or_b32 s1, s1, s23
	s_and_not1_b32 exec_lo, exec_lo, s5
	s_cbranch_execz .LBB30_3489
.LBB30_3487:                            ; =>This Inner Loop Header: Depth=1
	s_or_b32 s21, s21, exec_lo
	s_or_b32 s22, s22, exec_lo
	s_mov_b32 s23, exec_lo
	s_delay_alu instid0(VALU_DEP_1)
	v_cmpx_lt_u64_e64 v[8:9], v[12:13]
	s_cbranch_execz .LBB30_3486
; %bb.3488:                             ;   in Loop: Header=BB30_3487 Depth=1
	s_wait_loadcnt 0x0
	global_load_b128 v[14:17], v[8:9], off offset:-8
	s_wait_xcnt 0x0
	v_add_nc_u64_e32 v[8:9], 8, v[8:9]
	s_and_not1_b32 s22, s22, exec_lo
	s_and_not1_b32 s21, s21, exec_lo
	s_wait_loadcnt 0x0
	v_cmp_ge_i64_e32 vcc_lo, v[14:15], v[16:17]
	s_or_b32 s24, s20, vcc_lo
	s_delay_alu instid0(SALU_CYCLE_1) | instskip(NEXT) | instid1(SALU_CYCLE_1)
	s_and_b32 s24, s24, exec_lo
	s_or_b32 s22, s22, s24
	s_branch .LBB30_3486
.LBB30_3489:
	s_or_b32 exec_lo, exec_lo, s5
	s_mov_b32 s5, -1
	s_mov_b32 s20, s40
	s_and_saveexec_b32 s21, s1
	s_delay_alu instid0(SALU_CYCLE_1)
	s_xor_b32 s1, exec_lo, s21
	s_cbranch_execnz .LBB30_3594
.LBB30_3490:
	s_or_b32 exec_lo, exec_lo, s1
	s_delay_alu instid0(SALU_CYCLE_1) | instskip(SKIP_1) | instid1(SALU_CYCLE_1)
	s_and_not1_b32 s1, s40, exec_lo
	s_and_b32 s20, s20, exec_lo
	s_or_b32 s42, s1, s20
	s_or_not1_b32 s20, s5, exec_lo
.LBB30_3491:
	s_or_b32 exec_lo, exec_lo, s0
	s_mov_b32 s1, 0
	s_mov_b32 s5, 0
                                        ; implicit-def: $vgpr20_vgpr21
                                        ; implicit-def: $sgpr0
	s_and_saveexec_b32 s43, s20
	s_cbranch_execz .LBB30_4320
; %bb.3492:
	v_add_nc_u32_e32 v5, 0x80, v26
	s_and_b32 s56, 0xffff, s30
	s_delay_alu instid0(SALU_CYCLE_1) | instskip(NEXT) | instid1(VALU_DEP_1)
	s_cmp_lt_i32 s56, 11
	v_mul_lo_u32 v8, s55, v5
	s_delay_alu instid0(VALU_DEP_1) | instskip(NEXT) | instid1(VALU_DEP_1)
	v_ashrrev_i32_e32 v9, 31, v8
	v_add_nc_u64_e32 v[12:13], s[6:7], v[8:9]
	s_cbranch_scc1 .LBB30_3500
; %bb.3493:
	s_cmp_gt_i32 s56, 25
	s_cbranch_scc0 .LBB30_3502
; %bb.3494:
	s_cmp_gt_i32 s56, 28
	s_cbranch_scc0 .LBB30_3504
	;; [unrolled: 3-line block ×4, first 2 shown]
; %bb.3497:
	s_cmp_eq_u32 s56, 46
	s_mov_b32 s20, 0
	s_cbranch_scc0 .LBB30_3682
; %bb.3498:
	global_load_b32 v7, v[12:13], off
	s_mov_b32 s0, 0
	s_mov_b32 s5, -1
	s_wait_loadcnt 0x0
	v_lshlrev_b32_e32 v7, 16, v7
	s_delay_alu instid0(VALU_DEP_1) | instskip(NEXT) | instid1(VALU_DEP_1)
	v_trunc_f32_e32 v7, v7
	v_mul_f32_e64 v9, 0x2f800000, |v7|
	v_ashrrev_i32_e32 v14, 31, v7
	s_delay_alu instid0(VALU_DEP_2) | instskip(NEXT) | instid1(VALU_DEP_2)
	v_floor_f32_e32 v9, v9
	v_mov_b32_e32 v15, v14
	s_delay_alu instid0(VALU_DEP_2) | instskip(SKIP_1) | instid1(VALU_DEP_2)
	v_fma_f32 v11, 0xcf800000, v9, |v7|
	v_cvt_u32_f32_e32 v7, v9
	v_cvt_u32_f32_e32 v9, v11
	s_delay_alu instid0(VALU_DEP_2) | instskip(NEXT) | instid1(VALU_DEP_2)
	v_xor_b32_e32 v17, v7, v14
	v_xor_b32_e32 v16, v9, v14
	s_delay_alu instid0(VALU_DEP_1)
	v_sub_nc_u64_e32 v[20:21], v[16:17], v[14:15]
	s_branch .LBB30_3684
.LBB30_3499:
	s_or_b32 s36, s36, exec_lo
	s_trap 2
	s_cbranch_execz .LBB30_3374
	s_branch .LBB30_3375
.LBB30_3500:
	s_mov_b32 s0, -1
	s_mov_b32 s44, s42
                                        ; implicit-def: $vgpr20_vgpr21
	s_branch .LBB30_3746
.LBB30_3501:
	s_mov_b32 s39, -1
	s_mov_b32 s40, 0
	s_mov_b32 s31, s76
	s_branch .LBB30_3636
.LBB30_3502:
	s_mov_b32 s20, -1
	s_mov_b32 s0, 0
                                        ; implicit-def: $vgpr20_vgpr21
	s_branch .LBB30_3711
.LBB30_3503:
	s_mov_b32 s41, -1
	s_mov_b32 s40, 0
	s_mov_b32 s31, s76
	s_branch .LBB30_3616
.LBB30_3504:
	s_mov_b32 s20, -1
	s_mov_b32 s0, 0
                                        ; implicit-def: $vgpr20_vgpr21
	s_branch .LBB30_3694
.LBB30_3505:
	s_mov_b32 s41, -1
	s_mov_b32 s40, 0
	s_mov_b32 s31, s76
	s_branch .LBB30_3605
.LBB30_3506:
	s_mov_b32 s20, -1
	s_mov_b32 s0, 0
                                        ; implicit-def: $vgpr20_vgpr21
	s_branch .LBB30_3689
.LBB30_3507:
	s_mov_b32 s41, -1
	s_mov_b32 s40, 0
	s_mov_b32 s31, s56
.LBB30_3508:
	s_and_b32 vcc_lo, exec_lo, s41
	s_cbranch_vccz .LBB30_3511
; %bb.3509:
	s_cmp_eq_u32 s39, 44
	s_mov_b32 s31, -1
	s_cbranch_scc0 .LBB30_3511
; %bb.3510:
	s_wait_xcnt 0x0
	v_mov_b32_e32 v2, 0
	s_mov_b32 s40, -1
	s_mov_b32 s31, 0
	global_store_b8 v[0:1], v2, off
.LBB30_3511:
	s_mov_b32 s41, 0
.LBB30_3512:
	s_delay_alu instid0(SALU_CYCLE_1)
	s_and_b32 vcc_lo, exec_lo, s41
	s_cbranch_vccz .LBB30_3515
; %bb.3513:
	s_cmp_eq_u32 s39, 29
	s_mov_b32 s31, -1
	s_cbranch_scc0 .LBB30_3515
; %bb.3514:
	s_wait_xcnt 0x0
	v_mov_b64_e32 v[2:3], 0
	s_mov_b32 s40, -1
	s_mov_b32 s31, 0
	s_mov_b32 s41, 0
	global_store_b64 v[0:1], v[2:3], off
	s_branch .LBB30_3516
.LBB30_3515:
	s_mov_b32 s41, 0
.LBB30_3516:
	s_delay_alu instid0(SALU_CYCLE_1)
	s_and_b32 vcc_lo, exec_lo, s41
	s_cbranch_vccz .LBB30_3526
; %bb.3517:
	s_cmp_lt_i32 s39, 27
	s_mov_b32 s40, -1
	s_cbranch_scc1 .LBB30_3523
; %bb.3518:
	s_cmp_gt_i32 s39, 27
	s_cbranch_scc0 .LBB30_3520
; %bb.3519:
	s_wait_xcnt 0x0
	v_mov_b32_e32 v2, 0
	s_mov_b32 s40, 0
	global_store_b32 v[0:1], v2, off
.LBB30_3520:
	s_and_not1_b32 vcc_lo, exec_lo, s40
	s_cbranch_vccnz .LBB30_3522
; %bb.3521:
	s_wait_xcnt 0x0
	v_mov_b32_e32 v2, 0
	global_store_b16 v[0:1], v2, off
.LBB30_3522:
	s_mov_b32 s40, 0
.LBB30_3523:
	s_delay_alu instid0(SALU_CYCLE_1)
	s_and_not1_b32 vcc_lo, exec_lo, s40
	s_cbranch_vccnz .LBB30_3525
; %bb.3524:
	s_wait_xcnt 0x0
	v_mov_b32_e32 v2, 0
	global_store_b8 v[0:1], v2, off
.LBB30_3525:
	s_mov_b32 s40, -1
.LBB30_3526:
	s_mov_b32 s41, 0
.LBB30_3527:
	s_delay_alu instid0(SALU_CYCLE_1)
	s_and_b32 vcc_lo, exec_lo, s41
	s_cbranch_vccz .LBB30_3546
; %bb.3528:
	s_cmp_gt_i32 s39, 22
	s_mov_b32 s41, -1
	s_cbranch_scc0 .LBB30_3538
; %bb.3529:
	s_cmp_lt_i32 s39, 24
	s_mov_b32 s40, -1
	s_cbranch_scc1 .LBB30_3535
; %bb.3530:
	s_cmp_gt_i32 s39, 24
	s_cbranch_scc0 .LBB30_3532
; %bb.3531:
	s_wait_xcnt 0x0
	v_mov_b32_e32 v2, 0
	s_mov_b32 s40, 0
	global_store_b8 v[0:1], v2, off
.LBB30_3532:
	s_and_not1_b32 vcc_lo, exec_lo, s40
	s_cbranch_vccnz .LBB30_3534
; %bb.3533:
	s_wait_xcnt 0x0
	v_mov_b32_e32 v2, 0
	global_store_b8 v[0:1], v2, off
.LBB30_3534:
	s_mov_b32 s40, 0
.LBB30_3535:
	s_delay_alu instid0(SALU_CYCLE_1)
	s_and_not1_b32 vcc_lo, exec_lo, s40
	s_cbranch_vccnz .LBB30_3537
; %bb.3536:
	s_wait_xcnt 0x0
	v_mov_b32_e32 v2, 0
	global_store_b8 v[0:1], v2, off
.LBB30_3537:
	s_mov_b32 s41, 0
	s_mov_b32 s40, -1
.LBB30_3538:
	s_and_not1_b32 vcc_lo, exec_lo, s41
	s_cbranch_vccnz .LBB30_3546
; %bb.3539:
	s_cmp_gt_i32 s39, 14
	s_mov_b32 s41, -1
	s_cbranch_scc0 .LBB30_3543
; %bb.3540:
	s_cmp_eq_u32 s39, 15
	s_mov_b32 s31, -1
	s_cbranch_scc0 .LBB30_3542
; %bb.3541:
	s_wait_xcnt 0x0
	v_mov_b32_e32 v2, 0
	s_mov_b32 s40, -1
	s_mov_b32 s31, 0
	global_store_b16 v[0:1], v2, off
.LBB30_3542:
	s_mov_b32 s41, 0
.LBB30_3543:
	s_delay_alu instid0(SALU_CYCLE_1)
	s_and_b32 vcc_lo, exec_lo, s41
	s_cbranch_vccz .LBB30_3546
; %bb.3544:
	s_cmp_eq_u32 s39, 11
	s_mov_b32 s31, -1
	s_cbranch_scc0 .LBB30_3546
; %bb.3545:
	s_wait_xcnt 0x0
	v_mov_b32_e32 v2, 0
	s_mov_b32 s40, -1
	s_mov_b32 s31, 0
	global_store_b8 v[0:1], v2, off
.LBB30_3546:
	s_mov_b32 s39, 0
.LBB30_3547:
	s_delay_alu instid0(SALU_CYCLE_1)
	s_and_b32 vcc_lo, exec_lo, s39
	s_cbranch_vccz .LBB30_3586
; %bb.3548:
	s_and_b32 s38, 0xffff, s38
	s_mov_b32 s39, -1
	s_cmp_lt_i32 s38, 5
	s_cbranch_scc1 .LBB30_3569
; %bb.3549:
	s_cmp_lt_i32 s38, 8
	s_cbranch_scc1 .LBB30_3559
; %bb.3550:
	;; [unrolled: 3-line block ×3, first 2 shown]
	s_cmp_gt_i32 s38, 9
	s_cbranch_scc0 .LBB30_3553
; %bb.3552:
	s_wait_xcnt 0x0
	v_mov_b32_e32 v2, 0
	s_mov_b32 s39, 0
	s_delay_alu instid0(VALU_DEP_1)
	v_dual_mov_b32 v3, v2 :: v_dual_mov_b32 v4, v2
	v_mov_b32_e32 v5, v2
	global_store_b128 v[0:1], v[2:5], off
.LBB30_3553:
	s_and_not1_b32 vcc_lo, exec_lo, s39
	s_cbranch_vccnz .LBB30_3555
; %bb.3554:
	s_wait_xcnt 0x0
	v_mov_b64_e32 v[2:3], 0
	global_store_b64 v[0:1], v[2:3], off
.LBB30_3555:
	s_mov_b32 s39, 0
.LBB30_3556:
	s_delay_alu instid0(SALU_CYCLE_1)
	s_and_not1_b32 vcc_lo, exec_lo, s39
	s_cbranch_vccnz .LBB30_3558
; %bb.3557:
	s_wait_xcnt 0x0
	v_mov_b32_e32 v2, 0
	global_store_b32 v[0:1], v2, off
.LBB30_3558:
	s_mov_b32 s39, 0
.LBB30_3559:
	s_delay_alu instid0(SALU_CYCLE_1)
	s_and_not1_b32 vcc_lo, exec_lo, s39
	s_cbranch_vccnz .LBB30_3568
; %bb.3560:
	s_cmp_lt_i32 s38, 6
	s_mov_b32 s39, -1
	s_cbranch_scc1 .LBB30_3566
; %bb.3561:
	s_cmp_gt_i32 s38, 6
	s_cbranch_scc0 .LBB30_3563
; %bb.3562:
	s_wait_xcnt 0x0
	v_mov_b64_e32 v[2:3], 0
	s_mov_b32 s39, 0
	global_store_b64 v[0:1], v[2:3], off
.LBB30_3563:
	s_and_not1_b32 vcc_lo, exec_lo, s39
	s_cbranch_vccnz .LBB30_3565
; %bb.3564:
	s_wait_xcnt 0x0
	v_mov_b32_e32 v2, 0
	global_store_b32 v[0:1], v2, off
.LBB30_3565:
	s_mov_b32 s39, 0
.LBB30_3566:
	s_delay_alu instid0(SALU_CYCLE_1)
	s_and_not1_b32 vcc_lo, exec_lo, s39
	s_cbranch_vccnz .LBB30_3568
; %bb.3567:
	s_wait_xcnt 0x0
	v_mov_b32_e32 v2, 0
	global_store_b16 v[0:1], v2, off
.LBB30_3568:
	s_mov_b32 s39, 0
.LBB30_3569:
	s_delay_alu instid0(SALU_CYCLE_1)
	s_and_not1_b32 vcc_lo, exec_lo, s39
	s_cbranch_vccnz .LBB30_3585
; %bb.3570:
	s_cmp_lt_i32 s38, 2
	s_mov_b32 s39, -1
	s_cbranch_scc1 .LBB30_3580
; %bb.3571:
	s_cmp_lt_i32 s38, 3
	s_cbranch_scc1 .LBB30_3577
; %bb.3572:
	s_cmp_gt_i32 s38, 3
	s_cbranch_scc0 .LBB30_3574
; %bb.3573:
	s_wait_xcnt 0x0
	v_mov_b64_e32 v[2:3], 0
	s_mov_b32 s39, 0
	global_store_b64 v[0:1], v[2:3], off
.LBB30_3574:
	s_and_not1_b32 vcc_lo, exec_lo, s39
	s_cbranch_vccnz .LBB30_3576
; %bb.3575:
	s_wait_xcnt 0x0
	v_mov_b32_e32 v2, 0
	global_store_b32 v[0:1], v2, off
.LBB30_3576:
	s_mov_b32 s39, 0
.LBB30_3577:
	s_delay_alu instid0(SALU_CYCLE_1)
	s_and_not1_b32 vcc_lo, exec_lo, s39
	s_cbranch_vccnz .LBB30_3579
; %bb.3578:
	s_wait_xcnt 0x0
	v_mov_b32_e32 v2, 0
	global_store_b16 v[0:1], v2, off
.LBB30_3579:
	s_mov_b32 s39, 0
.LBB30_3580:
	s_delay_alu instid0(SALU_CYCLE_1)
	s_and_not1_b32 vcc_lo, exec_lo, s39
	s_cbranch_vccnz .LBB30_3585
; %bb.3581:
	s_cmp_gt_i32 s38, 0
	s_mov_b32 s38, -1
	s_cbranch_scc0 .LBB30_3583
; %bb.3582:
	s_wait_xcnt 0x0
	v_mov_b32_e32 v2, 0
	s_mov_b32 s38, 0
	global_store_b8 v[0:1], v2, off
.LBB30_3583:
	s_and_not1_b32 vcc_lo, exec_lo, s38
	s_cbranch_vccnz .LBB30_3585
; %bb.3584:
	s_wait_xcnt 0x0
	v_mov_b32_e32 v2, 0
	global_store_b8 v[0:1], v2, off
.LBB30_3585:
	s_mov_b32 s40, -1
.LBB30_3586:
	s_delay_alu instid0(SALU_CYCLE_1)
	s_and_not1_b32 vcc_lo, exec_lo, s40
	s_cbranch_vccnz .LBB30_3588
; %bb.3587:
	v_add_nc_u32_e32 v26, 0x80, v26
	s_mov_b32 s38, -1
	s_branch .LBB30_3589
.LBB30_3588:
	s_mov_b32 s38, 0
                                        ; implicit-def: $vgpr26
.LBB30_3589:
	s_and_not1_b32 s39, s56, exec_lo
	s_and_b32 s31, s31, exec_lo
	s_and_not1_b32 s0, s0, exec_lo
	s_or_b32 s31, s39, s31
	s_and_b32 s38, s38, exec_lo
.LBB30_3590:
	s_wait_xcnt 0x0
	s_or_b32 exec_lo, exec_lo, s1
	s_delay_alu instid0(SALU_CYCLE_1)
	s_and_not1_b32 s1, s56, exec_lo
	s_and_b32 s31, s31, exec_lo
	s_and_not1_b32 s40, s59, exec_lo
	s_and_b32 s0, s0, exec_lo
	s_or_b32 s39, s1, s31
	s_or_b32 s0, s40, s0
	s_xor_b32 s31, exec_lo, -1
	s_and_b32 s1, s38, exec_lo
.LBB30_3591:
	s_or_b32 exec_lo, exec_lo, s76
	s_delay_alu instid0(SALU_CYCLE_1)
	s_and_not1_b32 s38, s56, exec_lo
	s_and_b32 s39, s39, exec_lo
	s_and_b32 s0, s0, exec_lo
	s_or_b32 s40, s38, s39
	s_and_not1_b32 s38, s59, exec_lo
	s_and_not1_b32 s39, s60, exec_lo
	s_and_b32 s41, s31, exec_lo
	s_or_b32 s31, s38, s0
	s_or_b32 s39, s39, s41
	s_xor_b32 s38, exec_lo, -1
	s_and_b32 s0, s1, exec_lo
.LBB30_3592:
	s_or_b32 exec_lo, exec_lo, s75
	s_delay_alu instid0(SALU_CYCLE_1)
	s_and_not1_b32 s1, s56, exec_lo
	s_and_b32 s40, s40, exec_lo
	s_and_not1_b32 s41, s59, exec_lo
	s_and_b32 s31, s31, exec_lo
	s_or_b32 s1, s1, s40
	s_or_b32 s31, s41, s31
	s_and_not1_b32 s40, s60, exec_lo
	s_and_b32 s39, s39, exec_lo
	s_and_not1_b32 s41, s61, exec_lo
	s_and_b32 s42, s38, exec_lo
	s_or_b32 s38, s40, s39
	s_or_b32 s40, s41, s42
	s_xor_b32 s39, exec_lo, -1
	s_and_b32 s0, s0, exec_lo
	s_or_b32 exec_lo, exec_lo, s74
	s_branch .LBB30_1298
.LBB30_3593:
	s_mov_b32 s41, -1
	s_mov_b32 s40, 0
	s_mov_b32 s31, s76
	s_branch .LBB30_3601
.LBB30_3594:
	s_or_b32 s20, s40, exec_lo
	s_xor_b32 s5, exec_lo, -1
	s_trap 2
	s_branch .LBB30_3490
.LBB30_3595:
	s_mov_b32 s20, -1
	s_mov_b32 s0, 0
	s_branch .LBB30_3683
.LBB30_3596:
	s_mov_b32 s41, -1
	s_mov_b32 s40, 0
	s_mov_b32 s31, s76
.LBB30_3597:
	s_and_b32 vcc_lo, exec_lo, s41
	s_cbranch_vccz .LBB30_3600
; %bb.3598:
	s_cmp_eq_u32 s39, 44
	s_mov_b32 s31, -1
	s_cbranch_scc0 .LBB30_3600
; %bb.3599:
	s_wait_xcnt 0x0
	v_mov_b32_e32 v2, 0
	s_mov_b32 s40, -1
	s_mov_b32 s31, 0
	global_store_b8 v[0:1], v2, off
.LBB30_3600:
	s_mov_b32 s41, 0
.LBB30_3601:
	s_delay_alu instid0(SALU_CYCLE_1)
	s_and_b32 vcc_lo, exec_lo, s41
	s_cbranch_vccz .LBB30_3604
; %bb.3602:
	s_cmp_eq_u32 s39, 29
	s_mov_b32 s31, -1
	s_cbranch_scc0 .LBB30_3604
; %bb.3603:
	s_wait_xcnt 0x0
	v_mov_b64_e32 v[2:3], 0
	s_mov_b32 s40, -1
	s_mov_b32 s31, 0
	s_mov_b32 s41, 0
	global_store_b64 v[0:1], v[2:3], off
	s_branch .LBB30_3605
.LBB30_3604:
	s_mov_b32 s41, 0
.LBB30_3605:
	s_delay_alu instid0(SALU_CYCLE_1)
	s_and_b32 vcc_lo, exec_lo, s41
	s_cbranch_vccz .LBB30_3615
; %bb.3606:
	s_cmp_lt_i32 s39, 27
	s_mov_b32 s40, -1
	s_cbranch_scc1 .LBB30_3612
; %bb.3607:
	s_cmp_gt_i32 s39, 27
	s_cbranch_scc0 .LBB30_3609
; %bb.3608:
	s_wait_xcnt 0x0
	v_mov_b32_e32 v2, 0
	s_mov_b32 s40, 0
	global_store_b32 v[0:1], v2, off
.LBB30_3609:
	s_and_not1_b32 vcc_lo, exec_lo, s40
	s_cbranch_vccnz .LBB30_3611
; %bb.3610:
	s_wait_xcnt 0x0
	v_mov_b32_e32 v2, 0
	global_store_b16 v[0:1], v2, off
.LBB30_3611:
	s_mov_b32 s40, 0
.LBB30_3612:
	s_delay_alu instid0(SALU_CYCLE_1)
	s_and_not1_b32 vcc_lo, exec_lo, s40
	s_cbranch_vccnz .LBB30_3614
; %bb.3613:
	s_wait_xcnt 0x0
	v_mov_b32_e32 v2, 0
	global_store_b8 v[0:1], v2, off
.LBB30_3614:
	s_mov_b32 s40, -1
.LBB30_3615:
	s_mov_b32 s41, 0
.LBB30_3616:
	s_delay_alu instid0(SALU_CYCLE_1)
	s_and_b32 vcc_lo, exec_lo, s41
	s_cbranch_vccz .LBB30_3635
; %bb.3617:
	s_cmp_gt_i32 s39, 22
	s_mov_b32 s41, -1
	s_cbranch_scc0 .LBB30_3627
; %bb.3618:
	s_cmp_lt_i32 s39, 24
	s_mov_b32 s40, -1
	s_cbranch_scc1 .LBB30_3624
; %bb.3619:
	s_cmp_gt_i32 s39, 24
	s_cbranch_scc0 .LBB30_3621
; %bb.3620:
	s_wait_xcnt 0x0
	v_mov_b32_e32 v2, 0
	s_mov_b32 s40, 0
	global_store_b8 v[0:1], v2, off
.LBB30_3621:
	s_and_not1_b32 vcc_lo, exec_lo, s40
	s_cbranch_vccnz .LBB30_3623
; %bb.3622:
	s_wait_xcnt 0x0
	v_mov_b32_e32 v2, 0
	global_store_b8 v[0:1], v2, off
.LBB30_3623:
	s_mov_b32 s40, 0
.LBB30_3624:
	s_delay_alu instid0(SALU_CYCLE_1)
	s_and_not1_b32 vcc_lo, exec_lo, s40
	s_cbranch_vccnz .LBB30_3626
; %bb.3625:
	s_wait_xcnt 0x0
	v_mov_b32_e32 v2, 0
	global_store_b8 v[0:1], v2, off
.LBB30_3626:
	s_mov_b32 s41, 0
	s_mov_b32 s40, -1
.LBB30_3627:
	s_and_not1_b32 vcc_lo, exec_lo, s41
	s_cbranch_vccnz .LBB30_3635
; %bb.3628:
	s_cmp_gt_i32 s39, 14
	s_mov_b32 s41, -1
	s_cbranch_scc0 .LBB30_3632
; %bb.3629:
	s_cmp_eq_u32 s39, 15
	s_mov_b32 s31, -1
	s_cbranch_scc0 .LBB30_3631
; %bb.3630:
	s_wait_xcnt 0x0
	v_mov_b32_e32 v2, 0
	s_mov_b32 s40, -1
	s_mov_b32 s31, 0
	global_store_b16 v[0:1], v2, off
.LBB30_3631:
	s_mov_b32 s41, 0
.LBB30_3632:
	s_delay_alu instid0(SALU_CYCLE_1)
	s_and_b32 vcc_lo, exec_lo, s41
	s_cbranch_vccz .LBB30_3635
; %bb.3633:
	s_cmp_eq_u32 s39, 11
	s_mov_b32 s31, -1
	s_cbranch_scc0 .LBB30_3635
; %bb.3634:
	s_wait_xcnt 0x0
	v_mov_b32_e32 v2, 0
	s_mov_b32 s40, -1
	s_mov_b32 s31, 0
	global_store_b8 v[0:1], v2, off
.LBB30_3635:
	s_mov_b32 s39, 0
.LBB30_3636:
	s_delay_alu instid0(SALU_CYCLE_1)
	s_and_b32 vcc_lo, exec_lo, s39
	s_cbranch_vccz .LBB30_3675
; %bb.3637:
	s_and_b32 s38, 0xffff, s38
	s_mov_b32 s39, -1
	s_cmp_lt_i32 s38, 5
	s_cbranch_scc1 .LBB30_3658
; %bb.3638:
	s_cmp_lt_i32 s38, 8
	s_cbranch_scc1 .LBB30_3648
; %bb.3639:
	s_cmp_lt_i32 s38, 9
	s_cbranch_scc1 .LBB30_3645
; %bb.3640:
	s_cmp_gt_i32 s38, 9
	s_cbranch_scc0 .LBB30_3642
; %bb.3641:
	s_wait_xcnt 0x0
	v_mov_b32_e32 v2, 0
	s_mov_b32 s39, 0
	s_delay_alu instid0(VALU_DEP_1)
	v_dual_mov_b32 v3, v2 :: v_dual_mov_b32 v4, v2
	v_mov_b32_e32 v5, v2
	global_store_b128 v[0:1], v[2:5], off
.LBB30_3642:
	s_and_not1_b32 vcc_lo, exec_lo, s39
	s_cbranch_vccnz .LBB30_3644
; %bb.3643:
	s_wait_xcnt 0x0
	v_mov_b64_e32 v[2:3], 0
	global_store_b64 v[0:1], v[2:3], off
.LBB30_3644:
	s_mov_b32 s39, 0
.LBB30_3645:
	s_delay_alu instid0(SALU_CYCLE_1)
	s_and_not1_b32 vcc_lo, exec_lo, s39
	s_cbranch_vccnz .LBB30_3647
; %bb.3646:
	s_wait_xcnt 0x0
	v_mov_b32_e32 v2, 0
	global_store_b32 v[0:1], v2, off
.LBB30_3647:
	s_mov_b32 s39, 0
.LBB30_3648:
	s_delay_alu instid0(SALU_CYCLE_1)
	s_and_not1_b32 vcc_lo, exec_lo, s39
	s_cbranch_vccnz .LBB30_3657
; %bb.3649:
	s_cmp_lt_i32 s38, 6
	s_mov_b32 s39, -1
	s_cbranch_scc1 .LBB30_3655
; %bb.3650:
	s_cmp_gt_i32 s38, 6
	s_cbranch_scc0 .LBB30_3652
; %bb.3651:
	s_wait_xcnt 0x0
	v_mov_b64_e32 v[2:3], 0
	s_mov_b32 s39, 0
	global_store_b64 v[0:1], v[2:3], off
.LBB30_3652:
	s_and_not1_b32 vcc_lo, exec_lo, s39
	s_cbranch_vccnz .LBB30_3654
; %bb.3653:
	s_wait_xcnt 0x0
	v_mov_b32_e32 v2, 0
	global_store_b32 v[0:1], v2, off
.LBB30_3654:
	s_mov_b32 s39, 0
.LBB30_3655:
	s_delay_alu instid0(SALU_CYCLE_1)
	s_and_not1_b32 vcc_lo, exec_lo, s39
	s_cbranch_vccnz .LBB30_3657
; %bb.3656:
	s_wait_xcnt 0x0
	v_mov_b32_e32 v2, 0
	global_store_b16 v[0:1], v2, off
.LBB30_3657:
	s_mov_b32 s39, 0
.LBB30_3658:
	s_delay_alu instid0(SALU_CYCLE_1)
	s_and_not1_b32 vcc_lo, exec_lo, s39
	s_cbranch_vccnz .LBB30_3674
; %bb.3659:
	s_cmp_lt_i32 s38, 2
	s_mov_b32 s39, -1
	s_cbranch_scc1 .LBB30_3669
; %bb.3660:
	s_cmp_lt_i32 s38, 3
	s_cbranch_scc1 .LBB30_3666
; %bb.3661:
	s_cmp_gt_i32 s38, 3
	s_cbranch_scc0 .LBB30_3663
; %bb.3662:
	s_wait_xcnt 0x0
	v_mov_b64_e32 v[2:3], 0
	s_mov_b32 s39, 0
	global_store_b64 v[0:1], v[2:3], off
.LBB30_3663:
	s_and_not1_b32 vcc_lo, exec_lo, s39
	s_cbranch_vccnz .LBB30_3665
; %bb.3664:
	s_wait_xcnt 0x0
	v_mov_b32_e32 v2, 0
	global_store_b32 v[0:1], v2, off
.LBB30_3665:
	s_mov_b32 s39, 0
.LBB30_3666:
	s_delay_alu instid0(SALU_CYCLE_1)
	s_and_not1_b32 vcc_lo, exec_lo, s39
	s_cbranch_vccnz .LBB30_3668
; %bb.3667:
	s_wait_xcnt 0x0
	v_mov_b32_e32 v2, 0
	global_store_b16 v[0:1], v2, off
.LBB30_3668:
	s_mov_b32 s39, 0
.LBB30_3669:
	s_delay_alu instid0(SALU_CYCLE_1)
	s_and_not1_b32 vcc_lo, exec_lo, s39
	s_cbranch_vccnz .LBB30_3674
; %bb.3670:
	s_cmp_gt_i32 s38, 0
	s_mov_b32 s38, -1
	s_cbranch_scc0 .LBB30_3672
; %bb.3671:
	s_wait_xcnt 0x0
	v_mov_b32_e32 v2, 0
	s_mov_b32 s38, 0
	global_store_b8 v[0:1], v2, off
.LBB30_3672:
	s_and_not1_b32 vcc_lo, exec_lo, s38
	s_cbranch_vccnz .LBB30_3674
; %bb.3673:
	s_wait_xcnt 0x0
	v_mov_b32_e32 v2, 0
	global_store_b8 v[0:1], v2, off
.LBB30_3674:
	s_mov_b32 s40, -1
.LBB30_3675:
	s_delay_alu instid0(SALU_CYCLE_1)
	s_and_not1_b32 vcc_lo, exec_lo, s40
	s_cbranch_vccnz .LBB30_3677
; %bb.3676:
	v_add_nc_u32_e32 v26, 0x80, v26
	s_mov_b32 s38, -1
	s_branch .LBB30_3678
.LBB30_3677:
	s_mov_b32 s38, 0
                                        ; implicit-def: $vgpr26
.LBB30_3678:
	s_and_not1_b32 s39, s76, exec_lo
	s_and_b32 s31, s31, exec_lo
	s_and_not1_b32 s0, s0, exec_lo
	s_or_b32 s31, s39, s31
	s_and_b32 s38, s38, exec_lo
.LBB30_3679:
	s_wait_xcnt 0x0
	s_or_b32 exec_lo, exec_lo, s1
	s_delay_alu instid0(SALU_CYCLE_1)
	s_and_not1_b32 s1, s76, exec_lo
	s_and_b32 s31, s31, exec_lo
	s_and_not1_b32 s40, s77, exec_lo
	s_and_b32 s0, s0, exec_lo
	s_or_b32 s39, s1, s31
	s_or_b32 s0, s40, s0
	s_xor_b32 s31, exec_lo, -1
	s_and_b32 s1, s38, exec_lo
.LBB30_3680:
	s_or_b32 exec_lo, exec_lo, s88
	s_delay_alu instid0(SALU_CYCLE_1)
	s_and_not1_b32 s38, s76, exec_lo
	s_and_b32 s39, s39, exec_lo
	s_and_b32 s0, s0, exec_lo
	s_or_b32 s40, s38, s39
	s_and_not1_b32 s38, s77, exec_lo
	s_and_not1_b32 s39, s78, exec_lo
	s_and_b32 s41, s31, exec_lo
	s_or_b32 s31, s38, s0
	s_or_b32 s39, s39, s41
	s_xor_b32 s38, exec_lo, -1
	s_and_b32 s0, s1, exec_lo
.LBB30_3681:
	s_or_b32 exec_lo, exec_lo, s87
	s_delay_alu instid0(SALU_CYCLE_1)
	s_and_not1_b32 s1, s76, exec_lo
	s_and_b32 s40, s40, exec_lo
	s_and_not1_b32 s41, s77, exec_lo
	s_and_b32 s31, s31, exec_lo
	s_or_b32 s1, s1, s40
	s_or_b32 s31, s41, s31
	s_and_not1_b32 s40, s78, exec_lo
	s_and_b32 s39, s39, exec_lo
	s_and_not1_b32 s41, s74, exec_lo
	s_and_b32 s42, s38, exec_lo
	s_or_b32 s38, s40, s39
	s_or_b32 s40, s41, s42
	s_xor_b32 s39, exec_lo, -1
	s_and_b32 s0, s0, exec_lo
	s_or_b32 exec_lo, exec_lo, s86
	s_branch .LBB30_2046
.LBB30_3682:
	s_mov_b32 s0, -1
.LBB30_3683:
                                        ; implicit-def: $vgpr20_vgpr21
.LBB30_3684:
	s_and_b32 vcc_lo, exec_lo, s20
	s_cbranch_vccz .LBB30_3688
; %bb.3685:
	s_cmp_eq_u32 s56, 44
	s_cbranch_scc0 .LBB30_3687
; %bb.3686:
	global_load_u8 v7, v[12:13], off
	s_mov_b32 s0, 0
	s_mov_b32 s5, -1
	s_wait_loadcnt 0x0
	v_lshlrev_b32_e32 v9, 23, v7
	v_cmp_ne_u32_e32 vcc_lo, 0, v7
	s_delay_alu instid0(VALU_DEP_2) | instskip(NEXT) | instid1(VALU_DEP_1)
	v_trunc_f32_e32 v9, v9
	v_mul_f32_e64 v11, 0x2f800000, |v9|
	v_ashrrev_i32_e32 v14, 31, v9
	s_delay_alu instid0(VALU_DEP_2) | instskip(NEXT) | instid1(VALU_DEP_1)
	v_floor_f32_e32 v11, v11
	v_fma_f32 v15, 0xcf800000, v11, |v9|
	v_cvt_u32_f32_e32 v9, v11
	s_delay_alu instid0(VALU_DEP_2) | instskip(NEXT) | instid1(VALU_DEP_2)
	v_cvt_u32_f32_e32 v11, v15
	v_dual_mov_b32 v15, v14 :: v_dual_bitop2_b32 v17, v9, v14 bitop3:0x14
	s_delay_alu instid0(VALU_DEP_2) | instskip(NEXT) | instid1(VALU_DEP_1)
	v_xor_b32_e32 v16, v11, v14
	v_sub_nc_u64_e32 v[14:15], v[16:17], v[14:15]
	s_delay_alu instid0(VALU_DEP_1)
	v_dual_cndmask_b32 v21, 0, v15 :: v_dual_cndmask_b32 v20, 0, v14
	s_branch .LBB30_3688
.LBB30_3687:
	s_mov_b32 s0, -1
                                        ; implicit-def: $vgpr20_vgpr21
.LBB30_3688:
	s_mov_b32 s20, 0
.LBB30_3689:
	s_delay_alu instid0(SALU_CYCLE_1)
	s_and_b32 vcc_lo, exec_lo, s20
	s_cbranch_vccz .LBB30_3693
; %bb.3690:
	s_cmp_eq_u32 s56, 29
	s_cbranch_scc0 .LBB30_3692
; %bb.3691:
	global_load_b64 v[20:21], v[12:13], off
	s_mov_b32 s0, 0
	s_mov_b32 s5, -1
	s_branch .LBB30_3693
.LBB30_3692:
	s_mov_b32 s0, -1
                                        ; implicit-def: $vgpr20_vgpr21
.LBB30_3693:
	s_mov_b32 s20, 0
.LBB30_3694:
	s_delay_alu instid0(SALU_CYCLE_1)
	s_and_b32 vcc_lo, exec_lo, s20
	s_cbranch_vccz .LBB30_3710
; %bb.3695:
	s_cmp_lt_i32 s56, 27
	s_cbranch_scc1 .LBB30_3698
; %bb.3696:
	s_cmp_gt_i32 s56, 27
	s_cbranch_scc0 .LBB30_3699
; %bb.3697:
	s_wait_loadcnt 0x0
	global_load_b32 v20, v[12:13], off
	v_mov_b32_e32 v21, 0
	s_mov_b32 s5, 0
	s_branch .LBB30_3700
.LBB30_3698:
	s_mov_b32 s5, -1
                                        ; implicit-def: $vgpr20_vgpr21
	s_branch .LBB30_3703
.LBB30_3699:
	s_mov_b32 s5, -1
                                        ; implicit-def: $vgpr20_vgpr21
.LBB30_3700:
	s_delay_alu instid0(SALU_CYCLE_1)
	s_and_not1_b32 vcc_lo, exec_lo, s5
	s_cbranch_vccnz .LBB30_3702
; %bb.3701:
	global_load_u16 v7, v[12:13], off
	s_mov_b32 s5, 0
	s_wait_loadcnt 0x1
	v_mov_b32_e32 v21, s5
	s_wait_loadcnt 0x0
	v_and_b32_e32 v20, 0xffff, v7
.LBB30_3702:
	s_mov_b32 s5, 0
.LBB30_3703:
	s_delay_alu instid0(SALU_CYCLE_1)
	s_and_not1_b32 vcc_lo, exec_lo, s5
	s_cbranch_vccnz .LBB30_3709
; %bb.3704:
	global_load_u8 v7, v[12:13], off
	s_mov_b32 s20, 0
	s_mov_b32 s5, exec_lo
	s_wait_loadcnt 0x0
	v_cmpx_lt_i16_e32 0x7f, v7
	s_xor_b32 s5, exec_lo, s5
	s_cbranch_execz .LBB30_3721
; %bb.3705:
	v_cmp_ne_u16_e32 vcc_lo, 0x80, v7
	s_and_b32 s20, vcc_lo, exec_lo
	s_and_not1_saveexec_b32 s5, s5
	s_cbranch_execnz .LBB30_3722
.LBB30_3706:
	s_or_b32 exec_lo, exec_lo, s5
	v_mov_b64_e32 v[20:21], 0
	s_and_saveexec_b32 s5, s20
	s_cbranch_execz .LBB30_3708
.LBB30_3707:
	v_and_b32_e32 v9, 0xffff, v7
	s_delay_alu instid0(VALU_DEP_1) | instskip(SKIP_1) | instid1(VALU_DEP_2)
	v_and_b32_e32 v11, 7, v9
	v_bfe_u32 v16, v9, 3, 4
	v_clz_i32_u32_e32 v14, v11
	s_delay_alu instid0(VALU_DEP_2) | instskip(NEXT) | instid1(VALU_DEP_2)
	v_cmp_eq_u32_e32 vcc_lo, 0, v16
	v_min_u32_e32 v14, 32, v14
	s_delay_alu instid0(VALU_DEP_1) | instskip(NEXT) | instid1(VALU_DEP_1)
	v_subrev_nc_u32_e32 v15, 28, v14
	v_dual_lshlrev_b32 v9, v15, v9 :: v_dual_sub_nc_u32 v14, 29, v14
	s_delay_alu instid0(VALU_DEP_1) | instskip(NEXT) | instid1(VALU_DEP_1)
	v_dual_lshlrev_b32 v7, 24, v7 :: v_dual_bitop2_b32 v9, 7, v9 bitop3:0x40
	v_dual_cndmask_b32 v14, v16, v14 :: v_dual_cndmask_b32 v9, v11, v9
	s_delay_alu instid0(VALU_DEP_2) | instskip(NEXT) | instid1(VALU_DEP_2)
	v_and_b32_e32 v7, 0x80000000, v7
	v_lshl_add_u32 v11, v14, 23, 0x3b800000
	s_delay_alu instid0(VALU_DEP_3) | instskip(NEXT) | instid1(VALU_DEP_1)
	v_lshlrev_b32_e32 v9, 20, v9
	v_or3_b32 v7, v7, v11, v9
	s_delay_alu instid0(VALU_DEP_1) | instskip(NEXT) | instid1(VALU_DEP_1)
	v_trunc_f32_e32 v7, v7
	v_mul_f32_e64 v9, 0x2f800000, |v7|
	v_ashrrev_i32_e32 v14, 31, v7
	s_delay_alu instid0(VALU_DEP_2) | instskip(NEXT) | instid1(VALU_DEP_2)
	v_floor_f32_e32 v9, v9
	v_mov_b32_e32 v15, v14
	s_delay_alu instid0(VALU_DEP_2) | instskip(SKIP_1) | instid1(VALU_DEP_2)
	v_fma_f32 v11, 0xcf800000, v9, |v7|
	v_cvt_u32_f32_e32 v7, v9
	v_cvt_u32_f32_e32 v9, v11
	s_delay_alu instid0(VALU_DEP_2) | instskip(NEXT) | instid1(VALU_DEP_2)
	v_xor_b32_e32 v17, v7, v14
	v_xor_b32_e32 v16, v9, v14
	s_delay_alu instid0(VALU_DEP_1)
	v_sub_nc_u64_e32 v[20:21], v[16:17], v[14:15]
.LBB30_3708:
	s_or_b32 exec_lo, exec_lo, s5
.LBB30_3709:
	s_mov_b32 s5, -1
.LBB30_3710:
	s_mov_b32 s20, 0
.LBB30_3711:
	s_delay_alu instid0(SALU_CYCLE_1)
	s_and_b32 vcc_lo, exec_lo, s20
	s_cbranch_vccz .LBB30_3742
; %bb.3712:
	s_cmp_gt_i32 s56, 22
	s_cbranch_scc0 .LBB30_3720
; %bb.3713:
	s_cmp_lt_i32 s56, 24
	s_cbranch_scc1 .LBB30_3723
; %bb.3714:
	s_cmp_gt_i32 s56, 24
	s_cbranch_scc0 .LBB30_3724
; %bb.3715:
	global_load_u8 v7, v[12:13], off
	s_mov_b32 s5, 0
	s_mov_b32 s1, exec_lo
	s_wait_loadcnt 0x0
	v_cmpx_lt_i16_e32 0x7f, v7
	s_xor_b32 s1, exec_lo, s1
	s_cbranch_execz .LBB30_3736
; %bb.3716:
	v_cmp_ne_u16_e32 vcc_lo, 0x80, v7
	s_and_b32 s5, vcc_lo, exec_lo
	s_and_not1_saveexec_b32 s1, s1
	s_cbranch_execnz .LBB30_3737
.LBB30_3717:
	s_or_b32 exec_lo, exec_lo, s1
	v_mov_b64_e32 v[20:21], 0
	s_and_saveexec_b32 s1, s5
	s_cbranch_execz .LBB30_3719
.LBB30_3718:
	v_and_b32_e32 v9, 0xffff, v7
	s_delay_alu instid0(VALU_DEP_1) | instskip(SKIP_1) | instid1(VALU_DEP_2)
	v_and_b32_e32 v11, 3, v9
	v_bfe_u32 v16, v9, 2, 5
	v_clz_i32_u32_e32 v14, v11
	s_delay_alu instid0(VALU_DEP_2) | instskip(NEXT) | instid1(VALU_DEP_2)
	v_cmp_eq_u32_e32 vcc_lo, 0, v16
	v_min_u32_e32 v14, 32, v14
	s_delay_alu instid0(VALU_DEP_1) | instskip(NEXT) | instid1(VALU_DEP_1)
	v_subrev_nc_u32_e32 v15, 29, v14
	v_dual_lshlrev_b32 v9, v15, v9 :: v_dual_sub_nc_u32 v14, 30, v14
	s_delay_alu instid0(VALU_DEP_1) | instskip(NEXT) | instid1(VALU_DEP_1)
	v_dual_lshlrev_b32 v7, 24, v7 :: v_dual_bitop2_b32 v9, 3, v9 bitop3:0x40
	v_dual_cndmask_b32 v14, v16, v14 :: v_dual_cndmask_b32 v9, v11, v9
	s_delay_alu instid0(VALU_DEP_2) | instskip(NEXT) | instid1(VALU_DEP_2)
	v_and_b32_e32 v7, 0x80000000, v7
	v_lshl_add_u32 v11, v14, 23, 0x37800000
	s_delay_alu instid0(VALU_DEP_3) | instskip(NEXT) | instid1(VALU_DEP_1)
	v_lshlrev_b32_e32 v9, 21, v9
	v_or3_b32 v7, v7, v11, v9
	s_delay_alu instid0(VALU_DEP_1) | instskip(NEXT) | instid1(VALU_DEP_1)
	v_trunc_f32_e32 v7, v7
	v_mul_f32_e64 v9, 0x2f800000, |v7|
	v_ashrrev_i32_e32 v14, 31, v7
	s_delay_alu instid0(VALU_DEP_2) | instskip(NEXT) | instid1(VALU_DEP_2)
	v_floor_f32_e32 v9, v9
	v_mov_b32_e32 v15, v14
	s_delay_alu instid0(VALU_DEP_2) | instskip(SKIP_1) | instid1(VALU_DEP_2)
	v_fma_f32 v11, 0xcf800000, v9, |v7|
	v_cvt_u32_f32_e32 v7, v9
	v_cvt_u32_f32_e32 v9, v11
	s_delay_alu instid0(VALU_DEP_2) | instskip(NEXT) | instid1(VALU_DEP_2)
	v_xor_b32_e32 v17, v7, v14
	v_xor_b32_e32 v16, v9, v14
	s_delay_alu instid0(VALU_DEP_1)
	v_sub_nc_u64_e32 v[20:21], v[16:17], v[14:15]
.LBB30_3719:
	s_or_b32 exec_lo, exec_lo, s1
	s_mov_b32 s1, 0
	s_branch .LBB30_3725
.LBB30_3720:
	s_mov_b32 s1, -1
                                        ; implicit-def: $vgpr20_vgpr21
	s_branch .LBB30_3731
.LBB30_3721:
	s_and_not1_saveexec_b32 s5, s5
	s_cbranch_execz .LBB30_3706
.LBB30_3722:
	v_cmp_ne_u16_e32 vcc_lo, 0, v7
	s_and_not1_b32 s20, s20, exec_lo
	s_and_b32 s21, vcc_lo, exec_lo
	s_delay_alu instid0(SALU_CYCLE_1)
	s_or_b32 s20, s20, s21
	s_or_b32 exec_lo, exec_lo, s5
	v_mov_b64_e32 v[20:21], 0
	s_and_saveexec_b32 s5, s20
	s_cbranch_execnz .LBB30_3707
	s_branch .LBB30_3708
.LBB30_3723:
	s_mov_b32 s1, -1
                                        ; implicit-def: $vgpr20_vgpr21
	s_branch .LBB30_3728
.LBB30_3724:
	s_mov_b32 s1, -1
                                        ; implicit-def: $vgpr20_vgpr21
.LBB30_3725:
	s_delay_alu instid0(SALU_CYCLE_1)
	s_and_b32 vcc_lo, exec_lo, s1
	s_cbranch_vccz .LBB30_3727
; %bb.3726:
	global_load_u8 v7, v[12:13], off
	s_wait_loadcnt 0x0
	v_lshlrev_b32_e32 v7, 24, v7
	s_delay_alu instid0(VALU_DEP_1) | instskip(NEXT) | instid1(VALU_DEP_1)
	v_and_b32_e32 v9, 0x7f000000, v7
	v_clz_i32_u32_e32 v11, v9
	v_add_nc_u32_e32 v15, 0x1000000, v9
	v_cmp_ne_u32_e32 vcc_lo, 0, v9
	s_delay_alu instid0(VALU_DEP_3) | instskip(NEXT) | instid1(VALU_DEP_1)
	v_min_u32_e32 v11, 32, v11
	v_sub_nc_u32_e64 v11, v11, 4 clamp
	s_delay_alu instid0(VALU_DEP_1) | instskip(NEXT) | instid1(VALU_DEP_1)
	v_dual_lshlrev_b32 v14, v11, v9 :: v_dual_lshlrev_b32 v11, 23, v11
	v_lshrrev_b32_e32 v14, 4, v14
	s_delay_alu instid0(VALU_DEP_1) | instskip(SKIP_1) | instid1(VALU_DEP_2)
	v_sub_nc_u32_e32 v11, v14, v11
	v_ashrrev_i32_e32 v14, 8, v15
	v_add_nc_u32_e32 v11, 0x3c000000, v11
	s_delay_alu instid0(VALU_DEP_1) | instskip(NEXT) | instid1(VALU_DEP_1)
	v_and_or_b32 v11, 0x7f800000, v14, v11
	v_cndmask_b32_e32 v9, 0, v11, vcc_lo
	s_delay_alu instid0(VALU_DEP_1) | instskip(NEXT) | instid1(VALU_DEP_1)
	v_and_or_b32 v7, 0x80000000, v7, v9
	v_trunc_f32_e32 v7, v7
	s_delay_alu instid0(VALU_DEP_1) | instskip(SKIP_1) | instid1(VALU_DEP_2)
	v_mul_f32_e64 v9, 0x2f800000, |v7|
	v_ashrrev_i32_e32 v14, 31, v7
	v_floor_f32_e32 v9, v9
	s_delay_alu instid0(VALU_DEP_2) | instskip(NEXT) | instid1(VALU_DEP_2)
	v_mov_b32_e32 v15, v14
	v_fma_f32 v11, 0xcf800000, v9, |v7|
	v_cvt_u32_f32_e32 v7, v9
	s_delay_alu instid0(VALU_DEP_2) | instskip(NEXT) | instid1(VALU_DEP_2)
	v_cvt_u32_f32_e32 v9, v11
	v_xor_b32_e32 v17, v7, v14
	s_delay_alu instid0(VALU_DEP_2) | instskip(NEXT) | instid1(VALU_DEP_1)
	v_xor_b32_e32 v16, v9, v14
	v_sub_nc_u64_e32 v[20:21], v[16:17], v[14:15]
.LBB30_3727:
	s_mov_b32 s1, 0
.LBB30_3728:
	s_delay_alu instid0(SALU_CYCLE_1)
	s_and_not1_b32 vcc_lo, exec_lo, s1
	s_cbranch_vccnz .LBB30_3730
; %bb.3729:
	global_load_u8 v7, v[12:13], off
	s_wait_loadcnt 0x0
	v_lshlrev_b32_e32 v9, 25, v7
	v_lshlrev_b16 v7, 8, v7
	s_delay_alu instid0(VALU_DEP_1) | instskip(SKIP_1) | instid1(VALU_DEP_2)
	v_and_or_b32 v14, 0x7f00, v7, 0.5
	v_bfe_i32 v7, v7, 0, 16
	v_dual_add_f32 v14, -0.5, v14 :: v_dual_lshrrev_b32 v11, 4, v9
	v_cmp_gt_u32_e32 vcc_lo, 0x8000000, v9
	s_delay_alu instid0(VALU_DEP_2) | instskip(NEXT) | instid1(VALU_DEP_1)
	v_or_b32_e32 v11, 0x70000000, v11
	v_mul_f32_e32 v11, 0x7800000, v11
	s_delay_alu instid0(VALU_DEP_1) | instskip(NEXT) | instid1(VALU_DEP_1)
	v_cndmask_b32_e32 v9, v11, v14, vcc_lo
	v_and_or_b32 v7, 0x80000000, v7, v9
	s_delay_alu instid0(VALU_DEP_1) | instskip(NEXT) | instid1(VALU_DEP_1)
	v_trunc_f32_e32 v7, v7
	v_mul_f32_e64 v9, 0x2f800000, |v7|
	v_ashrrev_i32_e32 v14, 31, v7
	s_delay_alu instid0(VALU_DEP_2) | instskip(NEXT) | instid1(VALU_DEP_2)
	v_floor_f32_e32 v9, v9
	v_mov_b32_e32 v15, v14
	s_delay_alu instid0(VALU_DEP_2) | instskip(SKIP_1) | instid1(VALU_DEP_2)
	v_fma_f32 v11, 0xcf800000, v9, |v7|
	v_cvt_u32_f32_e32 v7, v9
	v_cvt_u32_f32_e32 v9, v11
	s_delay_alu instid0(VALU_DEP_2) | instskip(NEXT) | instid1(VALU_DEP_2)
	v_xor_b32_e32 v17, v7, v14
	v_xor_b32_e32 v16, v9, v14
	s_delay_alu instid0(VALU_DEP_1)
	v_sub_nc_u64_e32 v[20:21], v[16:17], v[14:15]
.LBB30_3730:
	s_mov_b32 s1, 0
	s_mov_b32 s5, -1
.LBB30_3731:
	s_and_not1_b32 vcc_lo, exec_lo, s1
	s_mov_b32 s1, 0
	s_cbranch_vccnz .LBB30_3742
; %bb.3732:
	s_cmp_gt_i32 s56, 14
	s_cbranch_scc0 .LBB30_3735
; %bb.3733:
	s_cmp_eq_u32 s56, 15
	s_cbranch_scc0 .LBB30_3738
; %bb.3734:
	global_load_u16 v7, v[12:13], off
	s_mov_b32 s0, 0
	s_mov_b32 s5, -1
	s_wait_loadcnt 0x0
	v_lshlrev_b32_e32 v7, 16, v7
	s_delay_alu instid0(VALU_DEP_1) | instskip(NEXT) | instid1(VALU_DEP_1)
	v_trunc_f32_e32 v7, v7
	v_mul_f32_e64 v9, 0x2f800000, |v7|
	v_ashrrev_i32_e32 v14, 31, v7
	s_delay_alu instid0(VALU_DEP_2) | instskip(NEXT) | instid1(VALU_DEP_2)
	v_floor_f32_e32 v9, v9
	v_mov_b32_e32 v15, v14
	s_delay_alu instid0(VALU_DEP_2) | instskip(SKIP_1) | instid1(VALU_DEP_2)
	v_fma_f32 v11, 0xcf800000, v9, |v7|
	v_cvt_u32_f32_e32 v7, v9
	v_cvt_u32_f32_e32 v9, v11
	s_delay_alu instid0(VALU_DEP_2) | instskip(NEXT) | instid1(VALU_DEP_2)
	v_xor_b32_e32 v17, v7, v14
	v_xor_b32_e32 v16, v9, v14
	s_delay_alu instid0(VALU_DEP_1)
	v_sub_nc_u64_e32 v[20:21], v[16:17], v[14:15]
	s_branch .LBB30_3740
.LBB30_3735:
	s_mov_b32 s1, -1
	s_branch .LBB30_3739
.LBB30_3736:
	s_and_not1_saveexec_b32 s1, s1
	s_cbranch_execz .LBB30_3717
.LBB30_3737:
	v_cmp_ne_u16_e32 vcc_lo, 0, v7
	s_and_not1_b32 s5, s5, exec_lo
	s_and_b32 s20, vcc_lo, exec_lo
	s_delay_alu instid0(SALU_CYCLE_1)
	s_or_b32 s5, s5, s20
	s_or_b32 exec_lo, exec_lo, s1
	v_mov_b64_e32 v[20:21], 0
	s_and_saveexec_b32 s1, s5
	s_cbranch_execnz .LBB30_3718
	s_branch .LBB30_3719
.LBB30_3738:
	s_mov_b32 s0, -1
.LBB30_3739:
                                        ; implicit-def: $vgpr20_vgpr21
.LBB30_3740:
	s_and_b32 vcc_lo, exec_lo, s1
	s_mov_b32 s1, 0
	s_cbranch_vccz .LBB30_3742
; %bb.3741:
	s_cmp_lg_u32 s56, 11
	s_mov_b32 s1, -1
	s_cselect_b32 s0, -1, 0
.LBB30_3742:
	s_delay_alu instid0(SALU_CYCLE_1)
	s_and_b32 vcc_lo, exec_lo, s0
	s_mov_b32 s44, s42
	s_cbranch_vccnz .LBB30_3807
; %bb.3743:
	s_and_not1_b32 vcc_lo, exec_lo, s1
	s_cbranch_vccnz .LBB30_3745
.LBB30_3744:
	global_load_u8 v7, v[12:13], off
	s_mov_b32 s0, 0
	s_mov_b32 s5, -1
	s_wait_loadcnt 0x1
	v_mov_b32_e32 v21, s0
	s_wait_loadcnt 0x0
	v_cmp_ne_u16_e32 vcc_lo, 0, v7
	v_cndmask_b32_e64 v20, 0, 1, vcc_lo
.LBB30_3745:
	s_mov_b32 s0, 0
.LBB30_3746:
	s_delay_alu instid0(SALU_CYCLE_1)
	s_and_b32 vcc_lo, exec_lo, s0
	s_cbranch_vccz .LBB30_3795
; %bb.3747:
	s_cmp_lt_i32 s56, 5
	s_cbranch_scc1 .LBB30_3752
; %bb.3748:
	s_cmp_lt_i32 s56, 8
	s_cbranch_scc1 .LBB30_3753
	;; [unrolled: 3-line block ×3, first 2 shown]
; %bb.3750:
	s_cmp_gt_i32 s56, 9
	s_cbranch_scc0 .LBB30_3755
; %bb.3751:
	global_load_b64 v[14:15], v[12:13], off
	s_mov_b32 s0, 0
	s_wait_loadcnt 0x0
	v_trunc_f64_e32 v[14:15], v[14:15]
	s_delay_alu instid0(VALU_DEP_1) | instskip(NEXT) | instid1(VALU_DEP_1)
	v_ldexp_f64 v[16:17], v[14:15], 0xffffffe0
	v_floor_f64_e32 v[16:17], v[16:17]
	s_delay_alu instid0(VALU_DEP_1) | instskip(SKIP_1) | instid1(VALU_DEP_2)
	v_fmamk_f64 v[14:15], v[16:17], 0xc1f00000, v[14:15]
	v_cvt_i32_f64_e32 v21, v[16:17]
	v_cvt_u32_f64_e32 v20, v[14:15]
	s_branch .LBB30_3756
.LBB30_3752:
	s_mov_b32 s0, -1
                                        ; implicit-def: $vgpr20_vgpr21
	s_branch .LBB30_3774
.LBB30_3753:
	s_mov_b32 s0, -1
                                        ; implicit-def: $vgpr20_vgpr21
	s_branch .LBB30_3762
.LBB30_3754:
	s_mov_b32 s0, -1
                                        ; implicit-def: $vgpr20_vgpr21
	s_branch .LBB30_3759
.LBB30_3755:
	s_mov_b32 s0, -1
                                        ; implicit-def: $vgpr20_vgpr21
.LBB30_3756:
	s_delay_alu instid0(SALU_CYCLE_1)
	s_and_not1_b32 vcc_lo, exec_lo, s0
	s_cbranch_vccnz .LBB30_3758
; %bb.3757:
	global_load_b32 v7, v[12:13], off
	s_wait_loadcnt 0x0
	v_trunc_f32_e32 v7, v7
	s_delay_alu instid0(VALU_DEP_1) | instskip(SKIP_1) | instid1(VALU_DEP_2)
	v_mul_f32_e64 v9, 0x2f800000, |v7|
	v_ashrrev_i32_e32 v14, 31, v7
	v_floor_f32_e32 v9, v9
	s_delay_alu instid0(VALU_DEP_1) | instskip(SKIP_1) | instid1(VALU_DEP_4)
	v_fma_f32 v11, 0xcf800000, v9, |v7|
	v_cvt_u32_f32_e32 v7, v9
	v_mov_b32_e32 v15, v14
	s_delay_alu instid0(VALU_DEP_3) | instskip(NEXT) | instid1(VALU_DEP_3)
	v_cvt_u32_f32_e32 v9, v11
	v_xor_b32_e32 v17, v7, v14
	s_delay_alu instid0(VALU_DEP_2) | instskip(NEXT) | instid1(VALU_DEP_1)
	v_xor_b32_e32 v16, v9, v14
	v_sub_nc_u64_e32 v[20:21], v[16:17], v[14:15]
.LBB30_3758:
	s_mov_b32 s0, 0
.LBB30_3759:
	s_delay_alu instid0(SALU_CYCLE_1)
	s_and_not1_b32 vcc_lo, exec_lo, s0
	s_cbranch_vccnz .LBB30_3761
; %bb.3760:
	global_load_b32 v7, v[12:13], off
	s_wait_loadcnt 0x0
	v_cvt_f32_f16_e32 v7, v7
	s_delay_alu instid0(VALU_DEP_1) | instskip(NEXT) | instid1(VALU_DEP_1)
	v_cvt_i32_f32_e32 v20, v7
	v_ashrrev_i32_e32 v21, 31, v20
.LBB30_3761:
	s_mov_b32 s0, 0
.LBB30_3762:
	s_delay_alu instid0(SALU_CYCLE_1)
	s_and_not1_b32 vcc_lo, exec_lo, s0
	s_cbranch_vccnz .LBB30_3773
; %bb.3763:
	s_cmp_lt_i32 s56, 6
	s_cbranch_scc1 .LBB30_3766
; %bb.3764:
	s_cmp_gt_i32 s56, 6
	s_cbranch_scc0 .LBB30_3767
; %bb.3765:
	global_load_b64 v[14:15], v[12:13], off
	s_mov_b32 s0, 0
	s_wait_loadcnt 0x0
	v_trunc_f64_e32 v[14:15], v[14:15]
	s_delay_alu instid0(VALU_DEP_1) | instskip(NEXT) | instid1(VALU_DEP_1)
	v_ldexp_f64 v[16:17], v[14:15], 0xffffffe0
	v_floor_f64_e32 v[16:17], v[16:17]
	s_delay_alu instid0(VALU_DEP_1) | instskip(SKIP_1) | instid1(VALU_DEP_2)
	v_fmamk_f64 v[14:15], v[16:17], 0xc1f00000, v[14:15]
	v_cvt_i32_f64_e32 v21, v[16:17]
	v_cvt_u32_f64_e32 v20, v[14:15]
	s_branch .LBB30_3768
.LBB30_3766:
	s_mov_b32 s0, -1
                                        ; implicit-def: $vgpr20_vgpr21
	s_branch .LBB30_3771
.LBB30_3767:
	s_mov_b32 s0, -1
                                        ; implicit-def: $vgpr20_vgpr21
.LBB30_3768:
	s_delay_alu instid0(SALU_CYCLE_1)
	s_and_not1_b32 vcc_lo, exec_lo, s0
	s_cbranch_vccnz .LBB30_3770
; %bb.3769:
	global_load_b32 v7, v[12:13], off
	s_wait_loadcnt 0x0
	v_trunc_f32_e32 v7, v7
	s_delay_alu instid0(VALU_DEP_1) | instskip(SKIP_1) | instid1(VALU_DEP_2)
	v_mul_f32_e64 v9, 0x2f800000, |v7|
	v_ashrrev_i32_e32 v14, 31, v7
	v_floor_f32_e32 v9, v9
	s_delay_alu instid0(VALU_DEP_1) | instskip(SKIP_1) | instid1(VALU_DEP_4)
	v_fma_f32 v11, 0xcf800000, v9, |v7|
	v_cvt_u32_f32_e32 v7, v9
	v_mov_b32_e32 v15, v14
	s_delay_alu instid0(VALU_DEP_3) | instskip(NEXT) | instid1(VALU_DEP_3)
	v_cvt_u32_f32_e32 v9, v11
	v_xor_b32_e32 v17, v7, v14
	s_delay_alu instid0(VALU_DEP_2) | instskip(NEXT) | instid1(VALU_DEP_1)
	v_xor_b32_e32 v16, v9, v14
	v_sub_nc_u64_e32 v[20:21], v[16:17], v[14:15]
.LBB30_3770:
	s_mov_b32 s0, 0
.LBB30_3771:
	s_delay_alu instid0(SALU_CYCLE_1)
	s_and_not1_b32 vcc_lo, exec_lo, s0
	s_cbranch_vccnz .LBB30_3773
; %bb.3772:
	global_load_u16 v7, v[12:13], off
	s_wait_loadcnt 0x0
	v_cvt_f32_f16_e32 v7, v7
	s_delay_alu instid0(VALU_DEP_1) | instskip(NEXT) | instid1(VALU_DEP_1)
	v_cvt_i32_f32_e32 v20, v7
	v_ashrrev_i32_e32 v21, 31, v20
.LBB30_3773:
	s_mov_b32 s0, 0
.LBB30_3774:
	s_delay_alu instid0(SALU_CYCLE_1)
	s_and_not1_b32 vcc_lo, exec_lo, s0
	s_cbranch_vccnz .LBB30_3794
; %bb.3775:
	s_cmp_lt_i32 s56, 2
	s_cbranch_scc1 .LBB30_3779
; %bb.3776:
	s_cmp_lt_i32 s56, 3
	s_cbranch_scc1 .LBB30_3780
; %bb.3777:
	s_cmp_gt_i32 s56, 3
	s_cbranch_scc0 .LBB30_3781
; %bb.3778:
	s_wait_loadcnt 0x0
	global_load_b64 v[20:21], v[12:13], off
	s_mov_b32 s0, 0
	s_branch .LBB30_3782
.LBB30_3779:
	s_mov_b32 s0, -1
                                        ; implicit-def: $vgpr20_vgpr21
	s_branch .LBB30_3788
.LBB30_3780:
	s_mov_b32 s0, -1
                                        ; implicit-def: $vgpr20_vgpr21
	s_branch .LBB30_3785
.LBB30_3781:
	s_mov_b32 s0, -1
                                        ; implicit-def: $vgpr20_vgpr21
.LBB30_3782:
	s_delay_alu instid0(SALU_CYCLE_1)
	s_and_not1_b32 vcc_lo, exec_lo, s0
	s_cbranch_vccnz .LBB30_3784
; %bb.3783:
	s_wait_loadcnt 0x0
	global_load_b32 v20, v[12:13], off
	s_wait_loadcnt 0x0
	v_ashrrev_i32_e32 v21, 31, v20
.LBB30_3784:
	s_mov_b32 s0, 0
.LBB30_3785:
	s_delay_alu instid0(SALU_CYCLE_1)
	s_and_not1_b32 vcc_lo, exec_lo, s0
	s_cbranch_vccnz .LBB30_3787
; %bb.3786:
	global_load_u16 v7, v[12:13], off
	s_wait_loadcnt 0x0
	v_bfe_i32 v20, v7, 0, 16
	s_delay_alu instid0(VALU_DEP_1)
	v_ashrrev_i32_e32 v21, 31, v20
.LBB30_3787:
	s_mov_b32 s0, 0
.LBB30_3788:
	s_delay_alu instid0(SALU_CYCLE_1)
	s_and_not1_b32 vcc_lo, exec_lo, s0
	s_cbranch_vccnz .LBB30_3794
; %bb.3789:
	s_cmp_gt_i32 s56, 0
	s_mov_b32 s0, 0
	s_cbranch_scc0 .LBB30_3791
; %bb.3790:
	global_load_i8 v7, v[12:13], off
	s_wait_loadcnt 0x0
	v_bfe_i32 v20, v7, 0, 16
	s_delay_alu instid0(VALU_DEP_1)
	v_ashrrev_i32_e32 v21, 31, v20
	s_branch .LBB30_3792
.LBB30_3791:
	s_mov_b32 s0, -1
                                        ; implicit-def: $vgpr20_vgpr21
.LBB30_3792:
	s_delay_alu instid0(SALU_CYCLE_1)
	s_and_not1_b32 vcc_lo, exec_lo, s0
	s_cbranch_vccnz .LBB30_3794
; %bb.3793:
	global_load_u8 v7, v[12:13], off
	s_mov_b32 s0, 0
	s_wait_loadcnt 0x1
	v_mov_b32_e32 v21, s0
	s_wait_loadcnt 0x0
	v_and_b32_e32 v20, 0xffff, v7
.LBB30_3794:
	s_mov_b32 s5, -1
.LBB30_3795:
	s_delay_alu instid0(SALU_CYCLE_1)
	s_and_not1_b32 vcc_lo, exec_lo, s5
	s_cbranch_vccnz .LBB30_4318
; %bb.3796:
	s_wait_xcnt 0x0
	v_mul_lo_u32 v12, s61, v5
	s_and_b32 s57, 0xffff, s31
	s_delay_alu instid0(SALU_CYCLE_1) | instskip(NEXT) | instid1(VALU_DEP_1)
	s_cmp_lt_i32 s57, 11
	v_ashrrev_i32_e32 v13, 31, v12
	s_delay_alu instid0(VALU_DEP_1)
	v_add_nc_u64_e32 v[14:15], s[8:9], v[12:13]
	s_cbranch_scc1 .LBB30_3803
; %bb.3797:
	s_cmp_gt_i32 s57, 25
	s_mov_b32 s1, 0
	s_cbranch_scc0 .LBB30_3804
; %bb.3798:
	s_cmp_gt_i32 s57, 28
	s_cbranch_scc0 .LBB30_3805
; %bb.3799:
	s_cmp_gt_i32 s57, 43
	s_cbranch_scc0 .LBB30_3806
; %bb.3800:
	s_cmp_gt_i32 s57, 45
	s_cbranch_scc0 .LBB30_3808
; %bb.3801:
	s_cmp_eq_u32 s57, 46
	s_mov_b32 s20, 0
	s_cbranch_scc0 .LBB30_3810
; %bb.3802:
	global_load_b32 v5, v[14:15], off
	s_mov_b32 s0, 0
	s_mov_b32 s5, -1
	s_wait_loadcnt 0x0
	v_lshlrev_b32_e32 v5, 16, v5
	s_delay_alu instid0(VALU_DEP_1) | instskip(NEXT) | instid1(VALU_DEP_1)
	v_trunc_f32_e32 v5, v5
	v_mul_f32_e64 v7, 0x2f800000, |v5|
	v_ashrrev_i32_e32 v16, 31, v5
	s_delay_alu instid0(VALU_DEP_2) | instskip(NEXT) | instid1(VALU_DEP_2)
	v_floor_f32_e32 v7, v7
	v_mov_b32_e32 v17, v16
	s_delay_alu instid0(VALU_DEP_2) | instskip(SKIP_1) | instid1(VALU_DEP_2)
	v_fma_f32 v9, 0xcf800000, v7, |v5|
	v_cvt_u32_f32_e32 v5, v7
	v_cvt_u32_f32_e32 v7, v9
	s_delay_alu instid0(VALU_DEP_2) | instskip(NEXT) | instid1(VALU_DEP_2)
	v_xor_b32_e32 v19, v5, v16
	v_xor_b32_e32 v18, v7, v16
	s_delay_alu instid0(VALU_DEP_1)
	v_sub_nc_u64_e32 v[22:23], v[18:19], v[16:17]
	s_branch .LBB30_3812
.LBB30_3803:
	s_mov_b32 s0, -1
	s_mov_b32 s5, 0
                                        ; implicit-def: $vgpr22_vgpr23
	s_branch .LBB30_3874
.LBB30_3804:
	s_mov_b32 s20, -1
	s_mov_b32 s5, 0
	s_mov_b32 s0, 0
                                        ; implicit-def: $vgpr22_vgpr23
	s_branch .LBB30_3839
.LBB30_3805:
	s_mov_b32 s20, -1
	s_mov_b32 s5, 0
	s_mov_b32 s0, 0
                                        ; implicit-def: $vgpr22_vgpr23
	s_branch .LBB30_3822
.LBB30_3806:
	s_mov_b32 s20, -1
	s_mov_b32 s5, 0
	s_mov_b32 s0, 0
                                        ; implicit-def: $vgpr22_vgpr23
	s_branch .LBB30_3817
.LBB30_3807:
	s_or_b32 s44, s42, exec_lo
	s_trap 2
	s_cbranch_execz .LBB30_3744
	s_branch .LBB30_3745
.LBB30_3808:
	s_mov_b32 s20, -1
	s_mov_b32 s5, 0
	s_mov_b32 s0, 0
	s_branch .LBB30_3811
.LBB30_3809:
	s_or_b32 s36, s36, exec_lo
	s_trap 2
                                        ; implicit-def: $vgpr0_vgpr1
                                        ; implicit-def: $vgpr2_vgpr3
                                        ; implicit-def: $vgpr4
                                        ; implicit-def: $vgpr8_vgpr9
                                        ; implicit-def: $vgpr6
                                        ; implicit-def: $vgpr12_vgpr13
                                        ; implicit-def: $vgpr10
                                        ; implicit-def: $vgpr16_vgpr17
                                        ; implicit-def: $vgpr26
	s_branch .LBB30_3427
.LBB30_3810:
	s_mov_b32 s0, -1
	s_mov_b32 s5, 0
.LBB30_3811:
                                        ; implicit-def: $vgpr22_vgpr23
.LBB30_3812:
	s_and_b32 vcc_lo, exec_lo, s20
	s_cbranch_vccz .LBB30_3816
; %bb.3813:
	s_cmp_eq_u32 s57, 44
	s_cbranch_scc0 .LBB30_3815
; %bb.3814:
	global_load_u8 v5, v[14:15], off
	s_mov_b32 s0, 0
	s_mov_b32 s5, -1
	s_wait_loadcnt 0x0
	v_lshlrev_b32_e32 v7, 23, v5
	v_cmp_ne_u32_e32 vcc_lo, 0, v5
	s_delay_alu instid0(VALU_DEP_2) | instskip(NEXT) | instid1(VALU_DEP_1)
	v_trunc_f32_e32 v7, v7
	v_mul_f32_e64 v9, 0x2f800000, |v7|
	v_ashrrev_i32_e32 v16, 31, v7
	s_delay_alu instid0(VALU_DEP_2) | instskip(NEXT) | instid1(VALU_DEP_2)
	v_floor_f32_e32 v9, v9
	v_mov_b32_e32 v17, v16
	s_delay_alu instid0(VALU_DEP_2) | instskip(SKIP_1) | instid1(VALU_DEP_2)
	v_fma_f32 v11, 0xcf800000, v9, |v7|
	v_cvt_u32_f32_e32 v7, v9
	v_cvt_u32_f32_e32 v9, v11
	s_delay_alu instid0(VALU_DEP_2) | instskip(NEXT) | instid1(VALU_DEP_2)
	v_xor_b32_e32 v19, v7, v16
	v_xor_b32_e32 v18, v9, v16
	s_delay_alu instid0(VALU_DEP_1) | instskip(NEXT) | instid1(VALU_DEP_1)
	v_sub_nc_u64_e32 v[16:17], v[18:19], v[16:17]
	v_dual_cndmask_b32 v23, 0, v17 :: v_dual_cndmask_b32 v22, 0, v16
	s_branch .LBB30_3816
.LBB30_3815:
	s_mov_b32 s0, -1
                                        ; implicit-def: $vgpr22_vgpr23
.LBB30_3816:
	s_mov_b32 s20, 0
.LBB30_3817:
	s_delay_alu instid0(SALU_CYCLE_1)
	s_and_b32 vcc_lo, exec_lo, s20
	s_cbranch_vccz .LBB30_3821
; %bb.3818:
	s_cmp_eq_u32 s57, 29
	s_cbranch_scc0 .LBB30_3820
; %bb.3819:
	global_load_b64 v[22:23], v[14:15], off
	s_mov_b32 s0, 0
	s_mov_b32 s5, -1
	s_branch .LBB30_3821
.LBB30_3820:
	s_mov_b32 s0, -1
                                        ; implicit-def: $vgpr22_vgpr23
.LBB30_3821:
	s_mov_b32 s20, 0
.LBB30_3822:
	s_delay_alu instid0(SALU_CYCLE_1)
	s_and_b32 vcc_lo, exec_lo, s20
	s_cbranch_vccz .LBB30_3838
; %bb.3823:
	s_cmp_lt_i32 s57, 27
	s_cbranch_scc1 .LBB30_3826
; %bb.3824:
	s_cmp_gt_i32 s57, 27
	s_cbranch_scc0 .LBB30_3827
; %bb.3825:
	s_wait_loadcnt 0x0
	global_load_b32 v22, v[14:15], off
	v_mov_b32_e32 v23, 0
	s_mov_b32 s5, 0
	s_branch .LBB30_3828
.LBB30_3826:
	s_mov_b32 s5, -1
                                        ; implicit-def: $vgpr22_vgpr23
	s_branch .LBB30_3831
.LBB30_3827:
	s_mov_b32 s5, -1
                                        ; implicit-def: $vgpr22_vgpr23
.LBB30_3828:
	s_delay_alu instid0(SALU_CYCLE_1)
	s_and_not1_b32 vcc_lo, exec_lo, s5
	s_cbranch_vccnz .LBB30_3830
; %bb.3829:
	global_load_u16 v5, v[14:15], off
	s_mov_b32 s5, 0
	s_wait_loadcnt 0x1
	v_mov_b32_e32 v23, s5
	s_wait_loadcnt 0x0
	v_and_b32_e32 v22, 0xffff, v5
.LBB30_3830:
	s_mov_b32 s5, 0
.LBB30_3831:
	s_delay_alu instid0(SALU_CYCLE_1)
	s_and_not1_b32 vcc_lo, exec_lo, s5
	s_cbranch_vccnz .LBB30_3837
; %bb.3832:
	global_load_u8 v5, v[14:15], off
	s_mov_b32 s20, 0
	s_mov_b32 s5, exec_lo
	s_wait_loadcnt 0x0
	v_cmpx_lt_i16_e32 0x7f, v5
	s_xor_b32 s5, exec_lo, s5
	s_cbranch_execz .LBB30_3849
; %bb.3833:
	v_cmp_ne_u16_e32 vcc_lo, 0x80, v5
	s_and_b32 s20, vcc_lo, exec_lo
	s_and_not1_saveexec_b32 s5, s5
	s_cbranch_execnz .LBB30_3850
.LBB30_3834:
	s_or_b32 exec_lo, exec_lo, s5
	v_mov_b64_e32 v[22:23], 0
	s_and_saveexec_b32 s5, s20
	s_cbranch_execz .LBB30_3836
.LBB30_3835:
	v_and_b32_e32 v7, 0xffff, v5
	s_delay_alu instid0(VALU_DEP_1) | instskip(SKIP_1) | instid1(VALU_DEP_2)
	v_dual_lshlrev_b32 v5, 24, v5 :: v_dual_bitop2_b32 v9, 7, v7 bitop3:0x40
	v_bfe_u32 v16, v7, 3, 4
	v_and_b32_e32 v5, 0x80000000, v5
	s_delay_alu instid0(VALU_DEP_3) | instskip(NEXT) | instid1(VALU_DEP_3)
	v_clz_i32_u32_e32 v11, v9
	v_cmp_eq_u32_e32 vcc_lo, 0, v16
	s_delay_alu instid0(VALU_DEP_2) | instskip(NEXT) | instid1(VALU_DEP_1)
	v_min_u32_e32 v11, 32, v11
	v_subrev_nc_u32_e32 v13, 28, v11
	v_sub_nc_u32_e32 v11, 29, v11
	s_delay_alu instid0(VALU_DEP_2) | instskip(NEXT) | instid1(VALU_DEP_2)
	v_lshlrev_b32_e32 v7, v13, v7
	v_cndmask_b32_e32 v11, v16, v11, vcc_lo
	s_delay_alu instid0(VALU_DEP_2) | instskip(NEXT) | instid1(VALU_DEP_1)
	v_and_b32_e32 v7, 7, v7
	v_cndmask_b32_e32 v7, v9, v7, vcc_lo
	s_delay_alu instid0(VALU_DEP_3) | instskip(NEXT) | instid1(VALU_DEP_2)
	v_lshl_add_u32 v9, v11, 23, 0x3b800000
	v_lshlrev_b32_e32 v7, 20, v7
	s_delay_alu instid0(VALU_DEP_1) | instskip(NEXT) | instid1(VALU_DEP_1)
	v_or3_b32 v5, v5, v9, v7
	v_trunc_f32_e32 v5, v5
	s_delay_alu instid0(VALU_DEP_1) | instskip(SKIP_1) | instid1(VALU_DEP_2)
	v_mul_f32_e64 v7, 0x2f800000, |v5|
	v_ashrrev_i32_e32 v16, 31, v5
	v_floor_f32_e32 v7, v7
	s_delay_alu instid0(VALU_DEP_2) | instskip(NEXT) | instid1(VALU_DEP_2)
	v_mov_b32_e32 v17, v16
	v_fma_f32 v9, 0xcf800000, v7, |v5|
	v_cvt_u32_f32_e32 v5, v7
	s_delay_alu instid0(VALU_DEP_2) | instskip(NEXT) | instid1(VALU_DEP_2)
	v_cvt_u32_f32_e32 v7, v9
	v_xor_b32_e32 v19, v5, v16
	s_delay_alu instid0(VALU_DEP_2) | instskip(NEXT) | instid1(VALU_DEP_1)
	v_xor_b32_e32 v18, v7, v16
	v_sub_nc_u64_e32 v[22:23], v[18:19], v[16:17]
.LBB30_3836:
	s_or_b32 exec_lo, exec_lo, s5
.LBB30_3837:
	s_mov_b32 s5, -1
.LBB30_3838:
	s_mov_b32 s20, 0
.LBB30_3839:
	s_delay_alu instid0(SALU_CYCLE_1)
	s_and_b32 vcc_lo, exec_lo, s20
	s_cbranch_vccz .LBB30_3870
; %bb.3840:
	s_cmp_gt_i32 s57, 22
	s_cbranch_scc0 .LBB30_3848
; %bb.3841:
	s_cmp_lt_i32 s57, 24
	s_cbranch_scc1 .LBB30_3851
; %bb.3842:
	s_cmp_gt_i32 s57, 24
	s_cbranch_scc0 .LBB30_3852
; %bb.3843:
	global_load_u8 v5, v[14:15], off
	s_mov_b32 s5, 0
	s_mov_b32 s1, exec_lo
	s_wait_loadcnt 0x0
	v_cmpx_lt_i16_e32 0x7f, v5
	s_xor_b32 s1, exec_lo, s1
	s_cbranch_execz .LBB30_3864
; %bb.3844:
	v_cmp_ne_u16_e32 vcc_lo, 0x80, v5
	s_and_b32 s5, vcc_lo, exec_lo
	s_and_not1_saveexec_b32 s1, s1
	s_cbranch_execnz .LBB30_3865
.LBB30_3845:
	s_or_b32 exec_lo, exec_lo, s1
	v_mov_b64_e32 v[22:23], 0
	s_and_saveexec_b32 s1, s5
	s_cbranch_execz .LBB30_3847
.LBB30_3846:
	v_and_b32_e32 v7, 0xffff, v5
	s_delay_alu instid0(VALU_DEP_1) | instskip(SKIP_1) | instid1(VALU_DEP_2)
	v_dual_lshlrev_b32 v5, 24, v5 :: v_dual_bitop2_b32 v9, 3, v7 bitop3:0x40
	v_bfe_u32 v16, v7, 2, 5
	v_and_b32_e32 v5, 0x80000000, v5
	s_delay_alu instid0(VALU_DEP_3) | instskip(NEXT) | instid1(VALU_DEP_3)
	v_clz_i32_u32_e32 v11, v9
	v_cmp_eq_u32_e32 vcc_lo, 0, v16
	s_delay_alu instid0(VALU_DEP_2) | instskip(NEXT) | instid1(VALU_DEP_1)
	v_min_u32_e32 v11, 32, v11
	v_subrev_nc_u32_e32 v13, 29, v11
	v_sub_nc_u32_e32 v11, 30, v11
	s_delay_alu instid0(VALU_DEP_2) | instskip(NEXT) | instid1(VALU_DEP_2)
	v_lshlrev_b32_e32 v7, v13, v7
	v_cndmask_b32_e32 v11, v16, v11, vcc_lo
	s_delay_alu instid0(VALU_DEP_2) | instskip(NEXT) | instid1(VALU_DEP_1)
	v_and_b32_e32 v7, 3, v7
	v_cndmask_b32_e32 v7, v9, v7, vcc_lo
	s_delay_alu instid0(VALU_DEP_3) | instskip(NEXT) | instid1(VALU_DEP_2)
	v_lshl_add_u32 v9, v11, 23, 0x37800000
	v_lshlrev_b32_e32 v7, 21, v7
	s_delay_alu instid0(VALU_DEP_1) | instskip(NEXT) | instid1(VALU_DEP_1)
	v_or3_b32 v5, v5, v9, v7
	v_trunc_f32_e32 v5, v5
	s_delay_alu instid0(VALU_DEP_1) | instskip(SKIP_1) | instid1(VALU_DEP_2)
	v_mul_f32_e64 v7, 0x2f800000, |v5|
	v_ashrrev_i32_e32 v16, 31, v5
	v_floor_f32_e32 v7, v7
	s_delay_alu instid0(VALU_DEP_2) | instskip(NEXT) | instid1(VALU_DEP_2)
	v_mov_b32_e32 v17, v16
	v_fma_f32 v9, 0xcf800000, v7, |v5|
	v_cvt_u32_f32_e32 v5, v7
	s_delay_alu instid0(VALU_DEP_2) | instskip(NEXT) | instid1(VALU_DEP_2)
	v_cvt_u32_f32_e32 v7, v9
	v_xor_b32_e32 v19, v5, v16
	s_delay_alu instid0(VALU_DEP_2) | instskip(NEXT) | instid1(VALU_DEP_1)
	v_xor_b32_e32 v18, v7, v16
	v_sub_nc_u64_e32 v[22:23], v[18:19], v[16:17]
.LBB30_3847:
	s_or_b32 exec_lo, exec_lo, s1
	s_mov_b32 s1, 0
	s_branch .LBB30_3853
.LBB30_3848:
	s_mov_b32 s1, -1
                                        ; implicit-def: $vgpr22_vgpr23
	s_branch .LBB30_3859
.LBB30_3849:
	s_and_not1_saveexec_b32 s5, s5
	s_cbranch_execz .LBB30_3834
.LBB30_3850:
	v_cmp_ne_u16_e32 vcc_lo, 0, v5
	s_and_not1_b32 s20, s20, exec_lo
	s_and_b32 s21, vcc_lo, exec_lo
	s_delay_alu instid0(SALU_CYCLE_1)
	s_or_b32 s20, s20, s21
	s_or_b32 exec_lo, exec_lo, s5
	v_mov_b64_e32 v[22:23], 0
	s_and_saveexec_b32 s5, s20
	s_cbranch_execnz .LBB30_3835
	s_branch .LBB30_3836
.LBB30_3851:
	s_mov_b32 s1, -1
                                        ; implicit-def: $vgpr22_vgpr23
	s_branch .LBB30_3856
.LBB30_3852:
	s_mov_b32 s1, -1
                                        ; implicit-def: $vgpr22_vgpr23
.LBB30_3853:
	s_delay_alu instid0(SALU_CYCLE_1)
	s_and_b32 vcc_lo, exec_lo, s1
	s_cbranch_vccz .LBB30_3855
; %bb.3854:
	global_load_u8 v5, v[14:15], off
	s_wait_loadcnt 0x0
	v_lshlrev_b32_e32 v5, 24, v5
	s_delay_alu instid0(VALU_DEP_1) | instskip(NEXT) | instid1(VALU_DEP_1)
	v_and_b32_e32 v7, 0x7f000000, v5
	v_clz_i32_u32_e32 v9, v7
	v_add_nc_u32_e32 v13, 0x1000000, v7
	v_cmp_ne_u32_e32 vcc_lo, 0, v7
	s_delay_alu instid0(VALU_DEP_3) | instskip(NEXT) | instid1(VALU_DEP_1)
	v_min_u32_e32 v9, 32, v9
	v_sub_nc_u32_e64 v9, v9, 4 clamp
	s_delay_alu instid0(VALU_DEP_1) | instskip(NEXT) | instid1(VALU_DEP_1)
	v_dual_lshlrev_b32 v11, v9, v7 :: v_dual_lshlrev_b32 v9, 23, v9
	v_lshrrev_b32_e32 v11, 4, v11
	s_delay_alu instid0(VALU_DEP_1) | instskip(SKIP_1) | instid1(VALU_DEP_2)
	v_sub_nc_u32_e32 v9, v11, v9
	v_ashrrev_i32_e32 v11, 8, v13
	v_add_nc_u32_e32 v9, 0x3c000000, v9
	s_delay_alu instid0(VALU_DEP_1) | instskip(NEXT) | instid1(VALU_DEP_1)
	v_and_or_b32 v9, 0x7f800000, v11, v9
	v_cndmask_b32_e32 v7, 0, v9, vcc_lo
	s_delay_alu instid0(VALU_DEP_1) | instskip(NEXT) | instid1(VALU_DEP_1)
	v_and_or_b32 v5, 0x80000000, v5, v7
	v_trunc_f32_e32 v5, v5
	s_delay_alu instid0(VALU_DEP_1) | instskip(SKIP_1) | instid1(VALU_DEP_2)
	v_mul_f32_e64 v7, 0x2f800000, |v5|
	v_ashrrev_i32_e32 v16, 31, v5
	v_floor_f32_e32 v7, v7
	s_delay_alu instid0(VALU_DEP_2) | instskip(NEXT) | instid1(VALU_DEP_2)
	v_mov_b32_e32 v17, v16
	v_fma_f32 v9, 0xcf800000, v7, |v5|
	v_cvt_u32_f32_e32 v5, v7
	s_delay_alu instid0(VALU_DEP_2) | instskip(NEXT) | instid1(VALU_DEP_2)
	v_cvt_u32_f32_e32 v7, v9
	v_xor_b32_e32 v19, v5, v16
	s_delay_alu instid0(VALU_DEP_2) | instskip(NEXT) | instid1(VALU_DEP_1)
	v_xor_b32_e32 v18, v7, v16
	v_sub_nc_u64_e32 v[22:23], v[18:19], v[16:17]
.LBB30_3855:
	s_mov_b32 s1, 0
.LBB30_3856:
	s_delay_alu instid0(SALU_CYCLE_1)
	s_and_not1_b32 vcc_lo, exec_lo, s1
	s_cbranch_vccnz .LBB30_3858
; %bb.3857:
	global_load_u8 v5, v[14:15], off
	s_wait_loadcnt 0x0
	v_lshlrev_b32_e32 v7, 25, v5
	v_lshlrev_b16 v5, 8, v5
	s_delay_alu instid0(VALU_DEP_1) | instskip(SKIP_1) | instid1(VALU_DEP_2)
	v_and_or_b32 v11, 0x7f00, v5, 0.5
	v_bfe_i32 v5, v5, 0, 16
	v_add_f32_e32 v11, -0.5, v11
	v_lshrrev_b32_e32 v9, 4, v7
	v_cmp_gt_u32_e32 vcc_lo, 0x8000000, v7
	s_delay_alu instid0(VALU_DEP_2) | instskip(NEXT) | instid1(VALU_DEP_1)
	v_or_b32_e32 v9, 0x70000000, v9
	v_mul_f32_e32 v9, 0x7800000, v9
	s_delay_alu instid0(VALU_DEP_1) | instskip(NEXT) | instid1(VALU_DEP_1)
	v_cndmask_b32_e32 v7, v9, v11, vcc_lo
	v_and_or_b32 v5, 0x80000000, v5, v7
	s_delay_alu instid0(VALU_DEP_1) | instskip(NEXT) | instid1(VALU_DEP_1)
	v_trunc_f32_e32 v5, v5
	v_mul_f32_e64 v7, 0x2f800000, |v5|
	v_ashrrev_i32_e32 v16, 31, v5
	s_delay_alu instid0(VALU_DEP_2) | instskip(NEXT) | instid1(VALU_DEP_2)
	v_floor_f32_e32 v7, v7
	v_mov_b32_e32 v17, v16
	s_delay_alu instid0(VALU_DEP_2) | instskip(SKIP_1) | instid1(VALU_DEP_2)
	v_fma_f32 v9, 0xcf800000, v7, |v5|
	v_cvt_u32_f32_e32 v5, v7
	v_cvt_u32_f32_e32 v7, v9
	s_delay_alu instid0(VALU_DEP_2) | instskip(NEXT) | instid1(VALU_DEP_2)
	v_xor_b32_e32 v19, v5, v16
	v_xor_b32_e32 v18, v7, v16
	s_delay_alu instid0(VALU_DEP_1)
	v_sub_nc_u64_e32 v[22:23], v[18:19], v[16:17]
.LBB30_3858:
	s_mov_b32 s1, 0
	s_mov_b32 s5, -1
.LBB30_3859:
	s_and_not1_b32 vcc_lo, exec_lo, s1
	s_mov_b32 s1, 0
	s_cbranch_vccnz .LBB30_3870
; %bb.3860:
	s_cmp_gt_i32 s57, 14
	s_cbranch_scc0 .LBB30_3863
; %bb.3861:
	s_cmp_eq_u32 s57, 15
	s_cbranch_scc0 .LBB30_3866
; %bb.3862:
	global_load_u16 v5, v[14:15], off
	s_mov_b32 s0, 0
	s_mov_b32 s5, -1
	s_wait_loadcnt 0x0
	v_lshlrev_b32_e32 v5, 16, v5
	s_delay_alu instid0(VALU_DEP_1) | instskip(NEXT) | instid1(VALU_DEP_1)
	v_trunc_f32_e32 v5, v5
	v_mul_f32_e64 v7, 0x2f800000, |v5|
	v_ashrrev_i32_e32 v16, 31, v5
	s_delay_alu instid0(VALU_DEP_2) | instskip(NEXT) | instid1(VALU_DEP_2)
	v_floor_f32_e32 v7, v7
	v_mov_b32_e32 v17, v16
	s_delay_alu instid0(VALU_DEP_2) | instskip(SKIP_1) | instid1(VALU_DEP_2)
	v_fma_f32 v9, 0xcf800000, v7, |v5|
	v_cvt_u32_f32_e32 v5, v7
	v_cvt_u32_f32_e32 v7, v9
	s_delay_alu instid0(VALU_DEP_2) | instskip(NEXT) | instid1(VALU_DEP_2)
	v_xor_b32_e32 v19, v5, v16
	v_xor_b32_e32 v18, v7, v16
	s_delay_alu instid0(VALU_DEP_1)
	v_sub_nc_u64_e32 v[22:23], v[18:19], v[16:17]
	s_branch .LBB30_3868
.LBB30_3863:
	s_mov_b32 s1, -1
	s_branch .LBB30_3867
.LBB30_3864:
	s_and_not1_saveexec_b32 s1, s1
	s_cbranch_execz .LBB30_3845
.LBB30_3865:
	v_cmp_ne_u16_e32 vcc_lo, 0, v5
	s_and_not1_b32 s5, s5, exec_lo
	s_and_b32 s20, vcc_lo, exec_lo
	s_delay_alu instid0(SALU_CYCLE_1)
	s_or_b32 s5, s5, s20
	s_or_b32 exec_lo, exec_lo, s1
	v_mov_b64_e32 v[22:23], 0
	s_and_saveexec_b32 s1, s5
	s_cbranch_execnz .LBB30_3846
	s_branch .LBB30_3847
.LBB30_3866:
	s_mov_b32 s0, -1
.LBB30_3867:
                                        ; implicit-def: $vgpr22_vgpr23
.LBB30_3868:
	s_and_b32 vcc_lo, exec_lo, s1
	s_mov_b32 s1, 0
	s_cbranch_vccz .LBB30_3870
; %bb.3869:
	s_cmp_lg_u32 s57, 11
	s_mov_b32 s1, -1
	s_cselect_b32 s0, -1, 0
.LBB30_3870:
	s_delay_alu instid0(SALU_CYCLE_1)
	s_and_b32 vcc_lo, exec_lo, s0
	s_cbranch_vccnz .LBB30_3935
; %bb.3871:
	s_and_not1_b32 vcc_lo, exec_lo, s1
	s_cbranch_vccnz .LBB30_3873
.LBB30_3872:
	global_load_u8 v5, v[14:15], off
	s_mov_b32 s0, 0
	s_mov_b32 s5, -1
	s_wait_loadcnt 0x1
	v_mov_b32_e32 v23, s0
	s_wait_loadcnt 0x0
	v_cmp_ne_u16_e32 vcc_lo, 0, v5
	v_cndmask_b32_e64 v22, 0, 1, vcc_lo
.LBB30_3873:
	s_mov_b32 s0, 0
.LBB30_3874:
	s_delay_alu instid0(SALU_CYCLE_1)
	s_and_b32 vcc_lo, exec_lo, s0
	s_cbranch_vccz .LBB30_3923
; %bb.3875:
	s_cmp_lt_i32 s57, 5
	s_cbranch_scc1 .LBB30_3880
; %bb.3876:
	s_cmp_lt_i32 s57, 8
	s_cbranch_scc1 .LBB30_3881
	;; [unrolled: 3-line block ×3, first 2 shown]
; %bb.3878:
	s_cmp_gt_i32 s57, 9
	s_cbranch_scc0 .LBB30_3883
; %bb.3879:
	s_wait_loadcnt 0x0
	global_load_b64 v[16:17], v[14:15], off
	s_mov_b32 s0, 0
	s_wait_loadcnt 0x0
	v_trunc_f64_e32 v[16:17], v[16:17]
	s_delay_alu instid0(VALU_DEP_1) | instskip(NEXT) | instid1(VALU_DEP_1)
	v_ldexp_f64 v[18:19], v[16:17], 0xffffffe0
	v_floor_f64_e32 v[18:19], v[18:19]
	s_delay_alu instid0(VALU_DEP_1) | instskip(SKIP_1) | instid1(VALU_DEP_2)
	v_fmamk_f64 v[16:17], v[18:19], 0xc1f00000, v[16:17]
	v_cvt_i32_f64_e32 v23, v[18:19]
	v_cvt_u32_f64_e32 v22, v[16:17]
	s_branch .LBB30_3884
.LBB30_3880:
	s_mov_b32 s0, -1
                                        ; implicit-def: $vgpr22_vgpr23
	s_branch .LBB30_3902
.LBB30_3881:
	s_mov_b32 s0, -1
                                        ; implicit-def: $vgpr22_vgpr23
	s_branch .LBB30_3890
.LBB30_3882:
	s_mov_b32 s0, -1
                                        ; implicit-def: $vgpr22_vgpr23
	s_branch .LBB30_3887
.LBB30_3883:
	s_mov_b32 s0, -1
                                        ; implicit-def: $vgpr22_vgpr23
.LBB30_3884:
	s_delay_alu instid0(SALU_CYCLE_1)
	s_and_not1_b32 vcc_lo, exec_lo, s0
	s_cbranch_vccnz .LBB30_3886
; %bb.3885:
	global_load_b32 v5, v[14:15], off
	s_wait_loadcnt 0x0
	v_trunc_f32_e32 v5, v5
	s_delay_alu instid0(VALU_DEP_1) | instskip(SKIP_1) | instid1(VALU_DEP_2)
	v_mul_f32_e64 v7, 0x2f800000, |v5|
	v_ashrrev_i32_e32 v16, 31, v5
	v_floor_f32_e32 v7, v7
	s_delay_alu instid0(VALU_DEP_1) | instskip(SKIP_1) | instid1(VALU_DEP_4)
	v_fma_f32 v9, 0xcf800000, v7, |v5|
	v_cvt_u32_f32_e32 v5, v7
	v_mov_b32_e32 v17, v16
	s_delay_alu instid0(VALU_DEP_3) | instskip(NEXT) | instid1(VALU_DEP_3)
	v_cvt_u32_f32_e32 v7, v9
	v_xor_b32_e32 v19, v5, v16
	s_delay_alu instid0(VALU_DEP_2) | instskip(NEXT) | instid1(VALU_DEP_1)
	v_xor_b32_e32 v18, v7, v16
	v_sub_nc_u64_e32 v[22:23], v[18:19], v[16:17]
.LBB30_3886:
	s_mov_b32 s0, 0
.LBB30_3887:
	s_delay_alu instid0(SALU_CYCLE_1)
	s_and_not1_b32 vcc_lo, exec_lo, s0
	s_cbranch_vccnz .LBB30_3889
; %bb.3888:
	global_load_b32 v5, v[14:15], off
	s_wait_loadcnt 0x0
	v_cvt_f32_f16_e32 v5, v5
	s_delay_alu instid0(VALU_DEP_1) | instskip(NEXT) | instid1(VALU_DEP_1)
	v_cvt_i32_f32_e32 v22, v5
	v_ashrrev_i32_e32 v23, 31, v22
.LBB30_3889:
	s_mov_b32 s0, 0
.LBB30_3890:
	s_delay_alu instid0(SALU_CYCLE_1)
	s_and_not1_b32 vcc_lo, exec_lo, s0
	s_cbranch_vccnz .LBB30_3901
; %bb.3891:
	s_cmp_lt_i32 s57, 6
	s_cbranch_scc1 .LBB30_3894
; %bb.3892:
	s_cmp_gt_i32 s57, 6
	s_cbranch_scc0 .LBB30_3895
; %bb.3893:
	s_wait_loadcnt 0x0
	global_load_b64 v[16:17], v[14:15], off
	s_mov_b32 s0, 0
	s_wait_loadcnt 0x0
	v_trunc_f64_e32 v[16:17], v[16:17]
	s_delay_alu instid0(VALU_DEP_1) | instskip(NEXT) | instid1(VALU_DEP_1)
	v_ldexp_f64 v[18:19], v[16:17], 0xffffffe0
	v_floor_f64_e32 v[18:19], v[18:19]
	s_delay_alu instid0(VALU_DEP_1) | instskip(SKIP_1) | instid1(VALU_DEP_2)
	v_fmamk_f64 v[16:17], v[18:19], 0xc1f00000, v[16:17]
	v_cvt_i32_f64_e32 v23, v[18:19]
	v_cvt_u32_f64_e32 v22, v[16:17]
	s_branch .LBB30_3896
.LBB30_3894:
	s_mov_b32 s0, -1
                                        ; implicit-def: $vgpr22_vgpr23
	s_branch .LBB30_3899
.LBB30_3895:
	s_mov_b32 s0, -1
                                        ; implicit-def: $vgpr22_vgpr23
.LBB30_3896:
	s_delay_alu instid0(SALU_CYCLE_1)
	s_and_not1_b32 vcc_lo, exec_lo, s0
	s_cbranch_vccnz .LBB30_3898
; %bb.3897:
	global_load_b32 v5, v[14:15], off
	s_wait_loadcnt 0x0
	v_trunc_f32_e32 v5, v5
	s_delay_alu instid0(VALU_DEP_1) | instskip(SKIP_1) | instid1(VALU_DEP_2)
	v_mul_f32_e64 v7, 0x2f800000, |v5|
	v_ashrrev_i32_e32 v16, 31, v5
	v_floor_f32_e32 v7, v7
	s_delay_alu instid0(VALU_DEP_1) | instskip(SKIP_1) | instid1(VALU_DEP_4)
	v_fma_f32 v9, 0xcf800000, v7, |v5|
	v_cvt_u32_f32_e32 v5, v7
	v_mov_b32_e32 v17, v16
	s_delay_alu instid0(VALU_DEP_3) | instskip(NEXT) | instid1(VALU_DEP_3)
	v_cvt_u32_f32_e32 v7, v9
	v_xor_b32_e32 v19, v5, v16
	s_delay_alu instid0(VALU_DEP_2) | instskip(NEXT) | instid1(VALU_DEP_1)
	v_xor_b32_e32 v18, v7, v16
	v_sub_nc_u64_e32 v[22:23], v[18:19], v[16:17]
.LBB30_3898:
	s_mov_b32 s0, 0
.LBB30_3899:
	s_delay_alu instid0(SALU_CYCLE_1)
	s_and_not1_b32 vcc_lo, exec_lo, s0
	s_cbranch_vccnz .LBB30_3901
; %bb.3900:
	global_load_u16 v5, v[14:15], off
	s_wait_loadcnt 0x0
	v_cvt_f32_f16_e32 v5, v5
	s_delay_alu instid0(VALU_DEP_1) | instskip(NEXT) | instid1(VALU_DEP_1)
	v_cvt_i32_f32_e32 v22, v5
	v_ashrrev_i32_e32 v23, 31, v22
.LBB30_3901:
	s_mov_b32 s0, 0
.LBB30_3902:
	s_delay_alu instid0(SALU_CYCLE_1)
	s_and_not1_b32 vcc_lo, exec_lo, s0
	s_cbranch_vccnz .LBB30_3922
; %bb.3903:
	s_cmp_lt_i32 s57, 2
	s_cbranch_scc1 .LBB30_3907
; %bb.3904:
	s_cmp_lt_i32 s57, 3
	s_cbranch_scc1 .LBB30_3908
; %bb.3905:
	s_cmp_gt_i32 s57, 3
	s_cbranch_scc0 .LBB30_3909
; %bb.3906:
	s_wait_loadcnt 0x0
	global_load_b64 v[22:23], v[14:15], off
	s_mov_b32 s0, 0
	s_branch .LBB30_3910
.LBB30_3907:
	s_mov_b32 s0, -1
                                        ; implicit-def: $vgpr22_vgpr23
	s_branch .LBB30_3916
.LBB30_3908:
	s_mov_b32 s0, -1
                                        ; implicit-def: $vgpr22_vgpr23
	s_branch .LBB30_3913
.LBB30_3909:
	s_mov_b32 s0, -1
                                        ; implicit-def: $vgpr22_vgpr23
.LBB30_3910:
	s_delay_alu instid0(SALU_CYCLE_1)
	s_and_not1_b32 vcc_lo, exec_lo, s0
	s_cbranch_vccnz .LBB30_3912
; %bb.3911:
	s_wait_loadcnt 0x0
	global_load_b32 v22, v[14:15], off
	s_wait_loadcnt 0x0
	v_ashrrev_i32_e32 v23, 31, v22
.LBB30_3912:
	s_mov_b32 s0, 0
.LBB30_3913:
	s_delay_alu instid0(SALU_CYCLE_1)
	s_and_not1_b32 vcc_lo, exec_lo, s0
	s_cbranch_vccnz .LBB30_3915
; %bb.3914:
	global_load_u16 v5, v[14:15], off
	s_wait_loadcnt 0x0
	v_bfe_i32 v22, v5, 0, 16
	s_delay_alu instid0(VALU_DEP_1)
	v_ashrrev_i32_e32 v23, 31, v22
.LBB30_3915:
	s_mov_b32 s0, 0
.LBB30_3916:
	s_delay_alu instid0(SALU_CYCLE_1)
	s_and_not1_b32 vcc_lo, exec_lo, s0
	s_cbranch_vccnz .LBB30_3922
; %bb.3917:
	s_cmp_gt_i32 s57, 0
	s_mov_b32 s0, 0
	s_cbranch_scc0 .LBB30_3919
; %bb.3918:
	global_load_i8 v5, v[14:15], off
	s_wait_loadcnt 0x0
	v_bfe_i32 v22, v5, 0, 16
	s_delay_alu instid0(VALU_DEP_1)
	v_ashrrev_i32_e32 v23, 31, v22
	s_branch .LBB30_3920
.LBB30_3919:
	s_mov_b32 s0, -1
                                        ; implicit-def: $vgpr22_vgpr23
.LBB30_3920:
	s_delay_alu instid0(SALU_CYCLE_1)
	s_and_not1_b32 vcc_lo, exec_lo, s0
	s_cbranch_vccnz .LBB30_3922
; %bb.3921:
	global_load_u8 v5, v[14:15], off
	s_mov_b32 s0, 0
	s_wait_loadcnt 0x1
	v_mov_b32_e32 v23, s0
	s_wait_loadcnt 0x0
	v_and_b32_e32 v22, 0xffff, v5
.LBB30_3922:
	s_mov_b32 s5, -1
.LBB30_3923:
	s_delay_alu instid0(SALU_CYCLE_1)
	s_and_not1_b32 vcc_lo, exec_lo, s5
	s_cbranch_vccnz .LBB30_4318
; %bb.3924:
	s_lshl_b32 s62, s48, 7
	s_and_b32 s58, 0xffff, s49
	s_wait_xcnt 0x0
	v_add_nc_u32_e32 v14, s62, v4
	s_cmp_lt_i32 s58, 11
	s_delay_alu instid0(VALU_DEP_1) | instskip(SKIP_1) | instid1(VALU_DEP_1)
	v_ashrrev_i32_e32 v15, 31, v14
	s_wait_loadcnt 0x0
	v_add_nc_u64_e32 v[16:17], s[10:11], v[14:15]
	s_cbranch_scc1 .LBB30_3931
; %bb.3925:
	s_cmp_gt_i32 s58, 25
	s_mov_b32 s1, 0
	s_cbranch_scc0 .LBB30_3932
; %bb.3926:
	s_cmp_gt_i32 s58, 28
	s_cbranch_scc0 .LBB30_3933
; %bb.3927:
	s_cmp_gt_i32 s58, 43
	;; [unrolled: 3-line block ×3, first 2 shown]
	s_cbranch_scc0 .LBB30_3936
; %bb.3929:
	s_cmp_eq_u32 s58, 46
	s_mov_b32 s20, 0
	s_cbranch_scc0 .LBB30_3939
; %bb.3930:
	global_load_b32 v4, v[16:17], off
	s_mov_b32 s0, 0
	s_mov_b32 s5, -1
	s_wait_loadcnt 0x0
	v_lshlrev_b32_e32 v4, 16, v4
	s_delay_alu instid0(VALU_DEP_1) | instskip(NEXT) | instid1(VALU_DEP_1)
	v_trunc_f32_e32 v4, v4
	v_mul_f32_e64 v5, 0x2f800000, |v4|
	s_delay_alu instid0(VALU_DEP_1) | instskip(NEXT) | instid1(VALU_DEP_1)
	v_floor_f32_e32 v5, v5
	v_fma_f32 v7, 0xcf800000, v5, |v4|
	v_ashrrev_i32_e32 v4, 31, v4
	v_cvt_u32_f32_e32 v9, v5
	s_delay_alu instid0(VALU_DEP_3) | instskip(NEXT) | instid1(VALU_DEP_2)
	v_cvt_u32_f32_e32 v7, v7
	v_dual_mov_b32 v5, v4 :: v_dual_bitop2_b32 v19, v9, v4 bitop3:0x14
	s_delay_alu instid0(VALU_DEP_2) | instskip(NEXT) | instid1(VALU_DEP_1)
	v_xor_b32_e32 v18, v7, v4
	v_sub_nc_u64_e32 v[4:5], v[18:19], v[4:5]
	s_branch .LBB30_3941
.LBB30_3931:
	s_mov_b32 s0, -1
	s_mov_b32 s5, 0
                                        ; implicit-def: $vgpr4_vgpr5
	s_branch .LBB30_4003
.LBB30_3932:
	s_mov_b32 s20, -1
	s_mov_b32 s5, 0
	s_mov_b32 s0, 0
                                        ; implicit-def: $vgpr4_vgpr5
	s_branch .LBB30_3968
.LBB30_3933:
	s_mov_b32 s20, -1
	s_mov_b32 s5, 0
	s_mov_b32 s0, 0
                                        ; implicit-def: $vgpr4_vgpr5
	s_branch .LBB30_3951
.LBB30_3934:
	s_mov_b32 s20, -1
	s_mov_b32 s5, 0
	s_mov_b32 s0, 0
                                        ; implicit-def: $vgpr4_vgpr5
	s_branch .LBB30_3946
.LBB30_3935:
	s_or_b32 s44, s44, exec_lo
	s_trap 2
	s_cbranch_execz .LBB30_3872
	s_branch .LBB30_3873
.LBB30_3936:
	s_mov_b32 s20, -1
	s_mov_b32 s5, 0
	s_mov_b32 s0, 0
	s_branch .LBB30_3940
.LBB30_3937:
	s_or_b32 exec_lo, exec_lo, s56
	s_branch .LBB30_629
.LBB30_3938:
	s_or_b32 s38, s36, exec_lo
	s_trap 2
                                        ; implicit-def: $vgpr0_vgpr1
                                        ; implicit-def: $vgpr2_vgpr3
                                        ; implicit-def: $vgpr4
                                        ; implicit-def: $vgpr8_vgpr9
                                        ; implicit-def: $vgpr6
                                        ; implicit-def: $vgpr12_vgpr13
                                        ; implicit-def: $vgpr10
                                        ; implicit-def: $vgpr16_vgpr17
                                        ; implicit-def: $vgpr26
	s_branch .LBB30_3429
.LBB30_3939:
	s_mov_b32 s0, -1
	s_mov_b32 s5, 0
.LBB30_3940:
                                        ; implicit-def: $vgpr4_vgpr5
.LBB30_3941:
	s_and_b32 vcc_lo, exec_lo, s20
	s_cbranch_vccz .LBB30_3945
; %bb.3942:
	s_cmp_eq_u32 s58, 44
	s_cbranch_scc0 .LBB30_3944
; %bb.3943:
	global_load_u8 v7, v[16:17], off
	s_mov_b32 s0, 0
	s_mov_b32 s5, -1
	s_wait_loadcnt 0x0
	v_cmp_ne_u32_e32 vcc_lo, 0, v7
	v_lshlrev_b32_e32 v4, 23, v7
	s_delay_alu instid0(VALU_DEP_1) | instskip(NEXT) | instid1(VALU_DEP_1)
	v_trunc_f32_e32 v4, v4
	v_mul_f32_e64 v5, 0x2f800000, |v4|
	s_delay_alu instid0(VALU_DEP_1) | instskip(NEXT) | instid1(VALU_DEP_1)
	v_floor_f32_e32 v5, v5
	v_fma_f32 v9, 0xcf800000, v5, |v4|
	v_ashrrev_i32_e32 v4, 31, v4
	v_cvt_u32_f32_e32 v11, v5
	s_delay_alu instid0(VALU_DEP_3) | instskip(NEXT) | instid1(VALU_DEP_2)
	v_cvt_u32_f32_e32 v9, v9
	v_dual_mov_b32 v5, v4 :: v_dual_bitop2_b32 v19, v11, v4 bitop3:0x14
	s_delay_alu instid0(VALU_DEP_2) | instskip(NEXT) | instid1(VALU_DEP_1)
	v_xor_b32_e32 v18, v9, v4
	v_sub_nc_u64_e32 v[4:5], v[18:19], v[4:5]
	s_delay_alu instid0(VALU_DEP_1)
	v_dual_cndmask_b32 v5, 0, v5 :: v_dual_cndmask_b32 v4, 0, v4
	s_branch .LBB30_3945
.LBB30_3944:
	s_mov_b32 s0, -1
                                        ; implicit-def: $vgpr4_vgpr5
.LBB30_3945:
	s_mov_b32 s20, 0
.LBB30_3946:
	s_delay_alu instid0(SALU_CYCLE_1)
	s_and_b32 vcc_lo, exec_lo, s20
	s_cbranch_vccz .LBB30_3950
; %bb.3947:
	s_cmp_eq_u32 s58, 29
	s_cbranch_scc0 .LBB30_3949
; %bb.3948:
	global_load_b64 v[4:5], v[16:17], off
	s_mov_b32 s0, 0
	s_mov_b32 s5, -1
	s_branch .LBB30_3950
.LBB30_3949:
	s_mov_b32 s0, -1
                                        ; implicit-def: $vgpr4_vgpr5
.LBB30_3950:
	s_mov_b32 s20, 0
.LBB30_3951:
	s_delay_alu instid0(SALU_CYCLE_1)
	s_and_b32 vcc_lo, exec_lo, s20
	s_cbranch_vccz .LBB30_3967
; %bb.3952:
	s_cmp_lt_i32 s58, 27
	s_cbranch_scc1 .LBB30_3955
; %bb.3953:
	s_cmp_gt_i32 s58, 27
	s_cbranch_scc0 .LBB30_3956
; %bb.3954:
	s_wait_loadcnt 0x0
	global_load_b32 v4, v[16:17], off
	v_mov_b32_e32 v5, 0
	s_mov_b32 s5, 0
	s_branch .LBB30_3957
.LBB30_3955:
	s_mov_b32 s5, -1
                                        ; implicit-def: $vgpr4_vgpr5
	s_branch .LBB30_3960
.LBB30_3956:
	s_mov_b32 s5, -1
                                        ; implicit-def: $vgpr4_vgpr5
.LBB30_3957:
	s_delay_alu instid0(SALU_CYCLE_1)
	s_and_not1_b32 vcc_lo, exec_lo, s5
	s_cbranch_vccnz .LBB30_3959
; %bb.3958:
	s_wait_loadcnt 0x0
	global_load_u16 v4, v[16:17], off
	s_mov_b32 s5, 0
	s_delay_alu instid0(SALU_CYCLE_1)
	v_mov_b32_e32 v5, s5
	s_wait_loadcnt 0x0
	v_and_b32_e32 v4, 0xffff, v4
.LBB30_3959:
	s_mov_b32 s5, 0
.LBB30_3960:
	s_delay_alu instid0(SALU_CYCLE_1)
	s_and_not1_b32 vcc_lo, exec_lo, s5
	s_cbranch_vccnz .LBB30_3966
; %bb.3961:
	global_load_u8 v7, v[16:17], off
	s_mov_b32 s20, 0
	s_mov_b32 s5, exec_lo
	s_wait_loadcnt 0x0
	v_cmpx_lt_i16_e32 0x7f, v7
	s_xor_b32 s5, exec_lo, s5
	s_cbranch_execz .LBB30_3978
; %bb.3962:
	v_cmp_ne_u16_e32 vcc_lo, 0x80, v7
	s_and_b32 s20, vcc_lo, exec_lo
	s_and_not1_saveexec_b32 s5, s5
	s_cbranch_execnz .LBB30_3979
.LBB30_3963:
	s_or_b32 exec_lo, exec_lo, s5
	v_mov_b64_e32 v[4:5], 0
	s_and_saveexec_b32 s5, s20
	s_cbranch_execz .LBB30_3965
.LBB30_3964:
	v_and_b32_e32 v4, 0xffff, v7
	s_delay_alu instid0(VALU_DEP_1) | instskip(SKIP_1) | instid1(VALU_DEP_2)
	v_and_b32_e32 v5, 7, v4
	v_bfe_u32 v13, v4, 3, 4
	v_clz_i32_u32_e32 v9, v5
	s_delay_alu instid0(VALU_DEP_2) | instskip(NEXT) | instid1(VALU_DEP_2)
	v_cmp_eq_u32_e32 vcc_lo, 0, v13
	v_min_u32_e32 v9, 32, v9
	s_delay_alu instid0(VALU_DEP_1) | instskip(NEXT) | instid1(VALU_DEP_1)
	v_subrev_nc_u32_e32 v11, 28, v9
	v_dual_lshlrev_b32 v4, v11, v4 :: v_dual_sub_nc_u32 v9, 29, v9
	s_delay_alu instid0(VALU_DEP_1) | instskip(NEXT) | instid1(VALU_DEP_2)
	v_dual_lshlrev_b32 v7, 24, v7 :: v_dual_bitop2_b32 v4, 7, v4 bitop3:0x40
	v_cndmask_b32_e32 v9, v13, v9, vcc_lo
	s_delay_alu instid0(VALU_DEP_2) | instskip(NEXT) | instid1(VALU_DEP_3)
	v_cndmask_b32_e32 v4, v5, v4, vcc_lo
	v_and_b32_e32 v5, 0x80000000, v7
	s_delay_alu instid0(VALU_DEP_3) | instskip(NEXT) | instid1(VALU_DEP_3)
	v_lshl_add_u32 v7, v9, 23, 0x3b800000
	v_lshlrev_b32_e32 v4, 20, v4
	s_delay_alu instid0(VALU_DEP_1) | instskip(NEXT) | instid1(VALU_DEP_1)
	v_or3_b32 v4, v5, v7, v4
	v_trunc_f32_e32 v4, v4
	s_delay_alu instid0(VALU_DEP_1) | instskip(NEXT) | instid1(VALU_DEP_1)
	v_mul_f32_e64 v5, 0x2f800000, |v4|
	v_floor_f32_e32 v5, v5
	s_delay_alu instid0(VALU_DEP_1) | instskip(SKIP_2) | instid1(VALU_DEP_3)
	v_fma_f32 v7, 0xcf800000, v5, |v4|
	v_ashrrev_i32_e32 v4, 31, v4
	v_cvt_u32_f32_e32 v9, v5
	v_cvt_u32_f32_e32 v7, v7
	s_delay_alu instid0(VALU_DEP_2) | instskip(NEXT) | instid1(VALU_DEP_2)
	v_dual_mov_b32 v5, v4 :: v_dual_bitop2_b32 v19, v9, v4 bitop3:0x14
	v_xor_b32_e32 v18, v7, v4
	s_delay_alu instid0(VALU_DEP_1)
	v_sub_nc_u64_e32 v[4:5], v[18:19], v[4:5]
.LBB30_3965:
	s_or_b32 exec_lo, exec_lo, s5
.LBB30_3966:
	s_mov_b32 s5, -1
.LBB30_3967:
	s_mov_b32 s20, 0
.LBB30_3968:
	s_delay_alu instid0(SALU_CYCLE_1)
	s_and_b32 vcc_lo, exec_lo, s20
	s_cbranch_vccz .LBB30_3999
; %bb.3969:
	s_cmp_gt_i32 s58, 22
	s_cbranch_scc0 .LBB30_3977
; %bb.3970:
	s_cmp_lt_i32 s58, 24
	s_cbranch_scc1 .LBB30_3980
; %bb.3971:
	s_cmp_gt_i32 s58, 24
	s_cbranch_scc0 .LBB30_3981
; %bb.3972:
	global_load_u8 v7, v[16:17], off
	s_mov_b32 s5, 0
	s_mov_b32 s1, exec_lo
	s_wait_loadcnt 0x0
	v_cmpx_lt_i16_e32 0x7f, v7
	s_xor_b32 s1, exec_lo, s1
	s_cbranch_execz .LBB30_3993
; %bb.3973:
	v_cmp_ne_u16_e32 vcc_lo, 0x80, v7
	s_and_b32 s5, vcc_lo, exec_lo
	s_and_not1_saveexec_b32 s1, s1
	s_cbranch_execnz .LBB30_3994
.LBB30_3974:
	s_or_b32 exec_lo, exec_lo, s1
	v_mov_b64_e32 v[4:5], 0
	s_and_saveexec_b32 s1, s5
	s_cbranch_execz .LBB30_3976
.LBB30_3975:
	v_and_b32_e32 v4, 0xffff, v7
	s_delay_alu instid0(VALU_DEP_1) | instskip(SKIP_1) | instid1(VALU_DEP_2)
	v_and_b32_e32 v5, 3, v4
	v_bfe_u32 v13, v4, 2, 5
	v_clz_i32_u32_e32 v9, v5
	s_delay_alu instid0(VALU_DEP_2) | instskip(NEXT) | instid1(VALU_DEP_2)
	v_cmp_eq_u32_e32 vcc_lo, 0, v13
	v_min_u32_e32 v9, 32, v9
	s_delay_alu instid0(VALU_DEP_1) | instskip(NEXT) | instid1(VALU_DEP_1)
	v_subrev_nc_u32_e32 v11, 29, v9
	v_dual_lshlrev_b32 v4, v11, v4 :: v_dual_sub_nc_u32 v9, 30, v9
	s_delay_alu instid0(VALU_DEP_1) | instskip(NEXT) | instid1(VALU_DEP_2)
	v_dual_lshlrev_b32 v7, 24, v7 :: v_dual_bitop2_b32 v4, 3, v4 bitop3:0x40
	v_cndmask_b32_e32 v9, v13, v9, vcc_lo
	s_delay_alu instid0(VALU_DEP_2) | instskip(NEXT) | instid1(VALU_DEP_3)
	v_cndmask_b32_e32 v4, v5, v4, vcc_lo
	v_and_b32_e32 v5, 0x80000000, v7
	s_delay_alu instid0(VALU_DEP_3) | instskip(NEXT) | instid1(VALU_DEP_3)
	v_lshl_add_u32 v7, v9, 23, 0x37800000
	v_lshlrev_b32_e32 v4, 21, v4
	s_delay_alu instid0(VALU_DEP_1) | instskip(NEXT) | instid1(VALU_DEP_1)
	v_or3_b32 v4, v5, v7, v4
	v_trunc_f32_e32 v4, v4
	s_delay_alu instid0(VALU_DEP_1) | instskip(NEXT) | instid1(VALU_DEP_1)
	v_mul_f32_e64 v5, 0x2f800000, |v4|
	v_floor_f32_e32 v5, v5
	s_delay_alu instid0(VALU_DEP_1) | instskip(SKIP_2) | instid1(VALU_DEP_3)
	v_fma_f32 v7, 0xcf800000, v5, |v4|
	v_ashrrev_i32_e32 v4, 31, v4
	v_cvt_u32_f32_e32 v9, v5
	v_cvt_u32_f32_e32 v7, v7
	s_delay_alu instid0(VALU_DEP_2) | instskip(NEXT) | instid1(VALU_DEP_2)
	v_dual_mov_b32 v5, v4 :: v_dual_bitop2_b32 v19, v9, v4 bitop3:0x14
	v_xor_b32_e32 v18, v7, v4
	s_delay_alu instid0(VALU_DEP_1)
	v_sub_nc_u64_e32 v[4:5], v[18:19], v[4:5]
.LBB30_3976:
	s_or_b32 exec_lo, exec_lo, s1
	s_mov_b32 s1, 0
	s_branch .LBB30_3982
.LBB30_3977:
	s_mov_b32 s1, -1
                                        ; implicit-def: $vgpr4_vgpr5
	s_branch .LBB30_3988
.LBB30_3978:
	s_and_not1_saveexec_b32 s5, s5
	s_cbranch_execz .LBB30_3963
.LBB30_3979:
	v_cmp_ne_u16_e32 vcc_lo, 0, v7
	s_and_not1_b32 s20, s20, exec_lo
	s_and_b32 s21, vcc_lo, exec_lo
	s_delay_alu instid0(SALU_CYCLE_1)
	s_or_b32 s20, s20, s21
	s_or_b32 exec_lo, exec_lo, s5
	v_mov_b64_e32 v[4:5], 0
	s_and_saveexec_b32 s5, s20
	s_cbranch_execnz .LBB30_3964
	s_branch .LBB30_3965
.LBB30_3980:
	s_mov_b32 s1, -1
                                        ; implicit-def: $vgpr4_vgpr5
	s_branch .LBB30_3985
.LBB30_3981:
	s_mov_b32 s1, -1
                                        ; implicit-def: $vgpr4_vgpr5
.LBB30_3982:
	s_delay_alu instid0(SALU_CYCLE_1)
	s_and_b32 vcc_lo, exec_lo, s1
	s_cbranch_vccz .LBB30_3984
; %bb.3983:
	s_wait_loadcnt 0x0
	global_load_u8 v4, v[16:17], off
	s_wait_loadcnt 0x0
	v_lshlrev_b32_e32 v4, 24, v4
	s_delay_alu instid0(VALU_DEP_1) | instskip(NEXT) | instid1(VALU_DEP_1)
	v_and_b32_e32 v5, 0x7f000000, v4
	v_clz_i32_u32_e32 v7, v5
	v_add_nc_u32_e32 v11, 0x1000000, v5
	v_cmp_ne_u32_e32 vcc_lo, 0, v5
	s_delay_alu instid0(VALU_DEP_3) | instskip(NEXT) | instid1(VALU_DEP_1)
	v_min_u32_e32 v7, 32, v7
	v_sub_nc_u32_e64 v7, v7, 4 clamp
	s_delay_alu instid0(VALU_DEP_1) | instskip(NEXT) | instid1(VALU_DEP_1)
	v_dual_lshlrev_b32 v9, v7, v5 :: v_dual_lshlrev_b32 v7, 23, v7
	v_lshrrev_b32_e32 v9, 4, v9
	s_delay_alu instid0(VALU_DEP_1) | instskip(SKIP_1) | instid1(VALU_DEP_2)
	v_sub_nc_u32_e32 v7, v9, v7
	v_ashrrev_i32_e32 v9, 8, v11
	v_add_nc_u32_e32 v7, 0x3c000000, v7
	s_delay_alu instid0(VALU_DEP_1) | instskip(NEXT) | instid1(VALU_DEP_1)
	v_and_or_b32 v7, 0x7f800000, v9, v7
	v_cndmask_b32_e32 v5, 0, v7, vcc_lo
	s_delay_alu instid0(VALU_DEP_1) | instskip(NEXT) | instid1(VALU_DEP_1)
	v_and_or_b32 v4, 0x80000000, v4, v5
	v_trunc_f32_e32 v4, v4
	s_delay_alu instid0(VALU_DEP_1) | instskip(NEXT) | instid1(VALU_DEP_1)
	v_mul_f32_e64 v5, 0x2f800000, |v4|
	v_floor_f32_e32 v5, v5
	s_delay_alu instid0(VALU_DEP_1) | instskip(SKIP_2) | instid1(VALU_DEP_3)
	v_fma_f32 v7, 0xcf800000, v5, |v4|
	v_ashrrev_i32_e32 v4, 31, v4
	v_cvt_u32_f32_e32 v9, v5
	v_cvt_u32_f32_e32 v7, v7
	s_delay_alu instid0(VALU_DEP_2) | instskip(NEXT) | instid1(VALU_DEP_2)
	v_dual_mov_b32 v5, v4 :: v_dual_bitop2_b32 v19, v9, v4 bitop3:0x14
	v_xor_b32_e32 v18, v7, v4
	s_delay_alu instid0(VALU_DEP_1)
	v_sub_nc_u64_e32 v[4:5], v[18:19], v[4:5]
.LBB30_3984:
	s_mov_b32 s1, 0
.LBB30_3985:
	s_delay_alu instid0(SALU_CYCLE_1)
	s_and_not1_b32 vcc_lo, exec_lo, s1
	s_cbranch_vccnz .LBB30_3987
; %bb.3986:
	s_wait_loadcnt 0x0
	global_load_u8 v4, v[16:17], off
	s_wait_loadcnt 0x0
	v_lshlrev_b32_e32 v5, 25, v4
	v_lshlrev_b16 v4, 8, v4
	s_delay_alu instid0(VALU_DEP_1) | instskip(SKIP_1) | instid1(VALU_DEP_2)
	v_and_or_b32 v9, 0x7f00, v4, 0.5
	v_bfe_i32 v4, v4, 0, 16
	v_add_f32_e32 v9, -0.5, v9
	v_lshrrev_b32_e32 v7, 4, v5
	v_cmp_gt_u32_e32 vcc_lo, 0x8000000, v5
	s_delay_alu instid0(VALU_DEP_2) | instskip(NEXT) | instid1(VALU_DEP_1)
	v_or_b32_e32 v7, 0x70000000, v7
	v_mul_f32_e32 v7, 0x7800000, v7
	s_delay_alu instid0(VALU_DEP_1) | instskip(NEXT) | instid1(VALU_DEP_1)
	v_cndmask_b32_e32 v5, v7, v9, vcc_lo
	v_and_or_b32 v4, 0x80000000, v4, v5
	s_delay_alu instid0(VALU_DEP_1) | instskip(NEXT) | instid1(VALU_DEP_1)
	v_trunc_f32_e32 v4, v4
	v_mul_f32_e64 v5, 0x2f800000, |v4|
	s_delay_alu instid0(VALU_DEP_1) | instskip(NEXT) | instid1(VALU_DEP_1)
	v_floor_f32_e32 v5, v5
	v_fma_f32 v7, 0xcf800000, v5, |v4|
	v_ashrrev_i32_e32 v4, 31, v4
	v_cvt_u32_f32_e32 v9, v5
	s_delay_alu instid0(VALU_DEP_3) | instskip(NEXT) | instid1(VALU_DEP_2)
	v_cvt_u32_f32_e32 v7, v7
	v_dual_mov_b32 v5, v4 :: v_dual_bitop2_b32 v19, v9, v4 bitop3:0x14
	s_delay_alu instid0(VALU_DEP_2) | instskip(NEXT) | instid1(VALU_DEP_1)
	v_xor_b32_e32 v18, v7, v4
	v_sub_nc_u64_e32 v[4:5], v[18:19], v[4:5]
.LBB30_3987:
	s_mov_b32 s1, 0
	s_mov_b32 s5, -1
.LBB30_3988:
	s_and_not1_b32 vcc_lo, exec_lo, s1
	s_mov_b32 s1, 0
	s_cbranch_vccnz .LBB30_3999
; %bb.3989:
	s_cmp_gt_i32 s58, 14
	s_cbranch_scc0 .LBB30_3992
; %bb.3990:
	s_cmp_eq_u32 s58, 15
	s_cbranch_scc0 .LBB30_3995
; %bb.3991:
	s_wait_loadcnt 0x0
	global_load_u16 v4, v[16:17], off
	s_mov_b32 s0, 0
	s_mov_b32 s5, -1
	s_wait_loadcnt 0x0
	v_lshlrev_b32_e32 v4, 16, v4
	s_delay_alu instid0(VALU_DEP_1) | instskip(NEXT) | instid1(VALU_DEP_1)
	v_trunc_f32_e32 v4, v4
	v_mul_f32_e64 v5, 0x2f800000, |v4|
	s_delay_alu instid0(VALU_DEP_1) | instskip(NEXT) | instid1(VALU_DEP_1)
	v_floor_f32_e32 v5, v5
	v_fma_f32 v7, 0xcf800000, v5, |v4|
	v_ashrrev_i32_e32 v4, 31, v4
	v_cvt_u32_f32_e32 v9, v5
	s_delay_alu instid0(VALU_DEP_3) | instskip(NEXT) | instid1(VALU_DEP_2)
	v_cvt_u32_f32_e32 v7, v7
	v_dual_mov_b32 v5, v4 :: v_dual_bitop2_b32 v19, v9, v4 bitop3:0x14
	s_delay_alu instid0(VALU_DEP_2) | instskip(NEXT) | instid1(VALU_DEP_1)
	v_xor_b32_e32 v18, v7, v4
	v_sub_nc_u64_e32 v[4:5], v[18:19], v[4:5]
	s_branch .LBB30_3997
.LBB30_3992:
	s_mov_b32 s1, -1
	s_branch .LBB30_3996
.LBB30_3993:
	s_and_not1_saveexec_b32 s1, s1
	s_cbranch_execz .LBB30_3974
.LBB30_3994:
	v_cmp_ne_u16_e32 vcc_lo, 0, v7
	s_and_not1_b32 s5, s5, exec_lo
	s_and_b32 s20, vcc_lo, exec_lo
	s_delay_alu instid0(SALU_CYCLE_1)
	s_or_b32 s5, s5, s20
	s_or_b32 exec_lo, exec_lo, s1
	v_mov_b64_e32 v[4:5], 0
	s_and_saveexec_b32 s1, s5
	s_cbranch_execnz .LBB30_3975
	s_branch .LBB30_3976
.LBB30_3995:
	s_mov_b32 s0, -1
.LBB30_3996:
                                        ; implicit-def: $vgpr4_vgpr5
.LBB30_3997:
	s_and_b32 vcc_lo, exec_lo, s1
	s_mov_b32 s1, 0
	s_cbranch_vccz .LBB30_3999
; %bb.3998:
	s_cmp_lg_u32 s58, 11
	s_mov_b32 s1, -1
	s_cselect_b32 s0, -1, 0
.LBB30_3999:
	s_delay_alu instid0(SALU_CYCLE_1)
	s_and_b32 vcc_lo, exec_lo, s0
	s_cbranch_vccnz .LBB30_4064
; %bb.4000:
	s_and_not1_b32 vcc_lo, exec_lo, s1
	s_cbranch_vccnz .LBB30_4002
.LBB30_4001:
	s_wait_loadcnt 0x0
	global_load_u8 v4, v[16:17], off
	s_mov_b32 s0, 0
	s_mov_b32 s5, -1
	v_mov_b32_e32 v5, s0
	s_wait_loadcnt 0x0
	v_cmp_ne_u16_e32 vcc_lo, 0, v4
	v_cndmask_b32_e64 v4, 0, 1, vcc_lo
.LBB30_4002:
	s_mov_b32 s0, 0
.LBB30_4003:
	s_delay_alu instid0(SALU_CYCLE_1)
	s_and_b32 vcc_lo, exec_lo, s0
	s_cbranch_vccz .LBB30_4052
; %bb.4004:
	s_cmp_lt_i32 s58, 5
	s_cbranch_scc1 .LBB30_4009
; %bb.4005:
	s_cmp_lt_i32 s58, 8
	s_cbranch_scc1 .LBB30_4010
	;; [unrolled: 3-line block ×3, first 2 shown]
; %bb.4007:
	s_cmp_gt_i32 s58, 9
	s_cbranch_scc0 .LBB30_4012
; %bb.4008:
	s_wait_loadcnt 0x0
	global_load_b64 v[4:5], v[16:17], off
	s_mov_b32 s0, 0
	s_wait_loadcnt 0x0
	v_trunc_f64_e32 v[4:5], v[4:5]
	s_delay_alu instid0(VALU_DEP_1) | instskip(NEXT) | instid1(VALU_DEP_1)
	v_ldexp_f64 v[18:19], v[4:5], 0xffffffe0
	v_floor_f64_e32 v[18:19], v[18:19]
	s_delay_alu instid0(VALU_DEP_1) | instskip(SKIP_1) | instid1(VALU_DEP_2)
	v_fmamk_f64 v[24:25], v[18:19], 0xc1f00000, v[4:5]
	v_cvt_i32_f64_e32 v5, v[18:19]
	v_cvt_u32_f64_e32 v4, v[24:25]
	s_branch .LBB30_4013
.LBB30_4009:
	s_mov_b32 s0, -1
                                        ; implicit-def: $vgpr4_vgpr5
	s_branch .LBB30_4031
.LBB30_4010:
	s_mov_b32 s0, -1
                                        ; implicit-def: $vgpr4_vgpr5
	s_branch .LBB30_4019
.LBB30_4011:
	s_mov_b32 s0, -1
                                        ; implicit-def: $vgpr4_vgpr5
	s_branch .LBB30_4016
.LBB30_4012:
	s_mov_b32 s0, -1
                                        ; implicit-def: $vgpr4_vgpr5
.LBB30_4013:
	s_delay_alu instid0(SALU_CYCLE_1)
	s_and_not1_b32 vcc_lo, exec_lo, s0
	s_cbranch_vccnz .LBB30_4015
; %bb.4014:
	s_wait_loadcnt 0x0
	global_load_b32 v4, v[16:17], off
	s_wait_loadcnt 0x0
	v_trunc_f32_e32 v4, v4
	s_delay_alu instid0(VALU_DEP_1) | instskip(NEXT) | instid1(VALU_DEP_1)
	v_mul_f32_e64 v5, 0x2f800000, |v4|
	v_floor_f32_e32 v5, v5
	s_delay_alu instid0(VALU_DEP_1) | instskip(SKIP_2) | instid1(VALU_DEP_3)
	v_fma_f32 v7, 0xcf800000, v5, |v4|
	v_ashrrev_i32_e32 v4, 31, v4
	v_cvt_u32_f32_e32 v9, v5
	v_cvt_u32_f32_e32 v7, v7
	s_delay_alu instid0(VALU_DEP_2) | instskip(NEXT) | instid1(VALU_DEP_2)
	v_dual_mov_b32 v5, v4 :: v_dual_bitop2_b32 v19, v9, v4 bitop3:0x14
	v_xor_b32_e32 v18, v7, v4
	s_delay_alu instid0(VALU_DEP_1)
	v_sub_nc_u64_e32 v[4:5], v[18:19], v[4:5]
.LBB30_4015:
	s_mov_b32 s0, 0
.LBB30_4016:
	s_delay_alu instid0(SALU_CYCLE_1)
	s_and_not1_b32 vcc_lo, exec_lo, s0
	s_cbranch_vccnz .LBB30_4018
; %bb.4017:
	s_wait_loadcnt 0x0
	global_load_b32 v4, v[16:17], off
	s_wait_loadcnt 0x0
	v_cvt_f32_f16_e32 v4, v4
	s_delay_alu instid0(VALU_DEP_1) | instskip(NEXT) | instid1(VALU_DEP_1)
	v_cvt_i32_f32_e32 v4, v4
	v_ashrrev_i32_e32 v5, 31, v4
.LBB30_4018:
	s_mov_b32 s0, 0
.LBB30_4019:
	s_delay_alu instid0(SALU_CYCLE_1)
	s_and_not1_b32 vcc_lo, exec_lo, s0
	s_cbranch_vccnz .LBB30_4030
; %bb.4020:
	s_cmp_lt_i32 s58, 6
	s_cbranch_scc1 .LBB30_4023
; %bb.4021:
	s_cmp_gt_i32 s58, 6
	s_cbranch_scc0 .LBB30_4024
; %bb.4022:
	s_wait_loadcnt 0x0
	global_load_b64 v[4:5], v[16:17], off
	s_mov_b32 s0, 0
	s_wait_loadcnt 0x0
	v_trunc_f64_e32 v[4:5], v[4:5]
	s_delay_alu instid0(VALU_DEP_1) | instskip(NEXT) | instid1(VALU_DEP_1)
	v_ldexp_f64 v[18:19], v[4:5], 0xffffffe0
	v_floor_f64_e32 v[18:19], v[18:19]
	s_delay_alu instid0(VALU_DEP_1) | instskip(SKIP_1) | instid1(VALU_DEP_2)
	v_fmamk_f64 v[24:25], v[18:19], 0xc1f00000, v[4:5]
	v_cvt_i32_f64_e32 v5, v[18:19]
	v_cvt_u32_f64_e32 v4, v[24:25]
	s_branch .LBB30_4025
.LBB30_4023:
	s_mov_b32 s0, -1
                                        ; implicit-def: $vgpr4_vgpr5
	s_branch .LBB30_4028
.LBB30_4024:
	s_mov_b32 s0, -1
                                        ; implicit-def: $vgpr4_vgpr5
.LBB30_4025:
	s_delay_alu instid0(SALU_CYCLE_1)
	s_and_not1_b32 vcc_lo, exec_lo, s0
	s_cbranch_vccnz .LBB30_4027
; %bb.4026:
	s_wait_loadcnt 0x0
	global_load_b32 v4, v[16:17], off
	s_wait_loadcnt 0x0
	v_trunc_f32_e32 v4, v4
	s_delay_alu instid0(VALU_DEP_1) | instskip(NEXT) | instid1(VALU_DEP_1)
	v_mul_f32_e64 v5, 0x2f800000, |v4|
	v_floor_f32_e32 v5, v5
	s_delay_alu instid0(VALU_DEP_1) | instskip(SKIP_2) | instid1(VALU_DEP_3)
	v_fma_f32 v7, 0xcf800000, v5, |v4|
	v_ashrrev_i32_e32 v4, 31, v4
	v_cvt_u32_f32_e32 v9, v5
	v_cvt_u32_f32_e32 v7, v7
	s_delay_alu instid0(VALU_DEP_2) | instskip(NEXT) | instid1(VALU_DEP_2)
	v_dual_mov_b32 v5, v4 :: v_dual_bitop2_b32 v19, v9, v4 bitop3:0x14
	v_xor_b32_e32 v18, v7, v4
	s_delay_alu instid0(VALU_DEP_1)
	v_sub_nc_u64_e32 v[4:5], v[18:19], v[4:5]
.LBB30_4027:
	s_mov_b32 s0, 0
.LBB30_4028:
	s_delay_alu instid0(SALU_CYCLE_1)
	s_and_not1_b32 vcc_lo, exec_lo, s0
	s_cbranch_vccnz .LBB30_4030
; %bb.4029:
	s_wait_loadcnt 0x0
	global_load_u16 v4, v[16:17], off
	s_wait_loadcnt 0x0
	v_cvt_f32_f16_e32 v4, v4
	s_delay_alu instid0(VALU_DEP_1) | instskip(NEXT) | instid1(VALU_DEP_1)
	v_cvt_i32_f32_e32 v4, v4
	v_ashrrev_i32_e32 v5, 31, v4
.LBB30_4030:
	s_mov_b32 s0, 0
.LBB30_4031:
	s_delay_alu instid0(SALU_CYCLE_1)
	s_and_not1_b32 vcc_lo, exec_lo, s0
	s_cbranch_vccnz .LBB30_4051
; %bb.4032:
	s_cmp_lt_i32 s58, 2
	s_cbranch_scc1 .LBB30_4036
; %bb.4033:
	s_cmp_lt_i32 s58, 3
	s_cbranch_scc1 .LBB30_4037
; %bb.4034:
	s_cmp_gt_i32 s58, 3
	s_cbranch_scc0 .LBB30_4038
; %bb.4035:
	s_wait_loadcnt 0x0
	global_load_b64 v[4:5], v[16:17], off
	s_mov_b32 s0, 0
	s_branch .LBB30_4039
.LBB30_4036:
	s_mov_b32 s0, -1
                                        ; implicit-def: $vgpr4_vgpr5
	s_branch .LBB30_4045
.LBB30_4037:
	s_mov_b32 s0, -1
                                        ; implicit-def: $vgpr4_vgpr5
	s_branch .LBB30_4042
.LBB30_4038:
	s_mov_b32 s0, -1
                                        ; implicit-def: $vgpr4_vgpr5
.LBB30_4039:
	s_delay_alu instid0(SALU_CYCLE_1)
	s_and_not1_b32 vcc_lo, exec_lo, s0
	s_cbranch_vccnz .LBB30_4041
; %bb.4040:
	s_wait_loadcnt 0x0
	global_load_b32 v4, v[16:17], off
	s_wait_loadcnt 0x0
	v_ashrrev_i32_e32 v5, 31, v4
.LBB30_4041:
	s_mov_b32 s0, 0
.LBB30_4042:
	s_delay_alu instid0(SALU_CYCLE_1)
	s_and_not1_b32 vcc_lo, exec_lo, s0
	s_cbranch_vccnz .LBB30_4044
; %bb.4043:
	s_wait_loadcnt 0x0
	global_load_u16 v4, v[16:17], off
	s_wait_loadcnt 0x0
	v_bfe_i32 v4, v4, 0, 16
	s_delay_alu instid0(VALU_DEP_1)
	v_ashrrev_i32_e32 v5, 31, v4
.LBB30_4044:
	s_mov_b32 s0, 0
.LBB30_4045:
	s_delay_alu instid0(SALU_CYCLE_1)
	s_and_not1_b32 vcc_lo, exec_lo, s0
	s_cbranch_vccnz .LBB30_4051
; %bb.4046:
	s_cmp_gt_i32 s58, 0
	s_mov_b32 s0, 0
	s_cbranch_scc0 .LBB30_4048
; %bb.4047:
	s_wait_loadcnt 0x0
	global_load_i8 v4, v[16:17], off
	s_wait_loadcnt 0x0
	v_bfe_i32 v4, v4, 0, 16
	s_delay_alu instid0(VALU_DEP_1)
	v_ashrrev_i32_e32 v5, 31, v4
	s_branch .LBB30_4049
.LBB30_4048:
	s_mov_b32 s0, -1
                                        ; implicit-def: $vgpr4_vgpr5
.LBB30_4049:
	s_delay_alu instid0(SALU_CYCLE_1)
	s_and_not1_b32 vcc_lo, exec_lo, s0
	s_cbranch_vccnz .LBB30_4051
; %bb.4050:
	s_wait_loadcnt 0x0
	global_load_u8 v4, v[16:17], off
	s_mov_b32 s0, 0
	s_delay_alu instid0(SALU_CYCLE_1)
	v_mov_b32_e32 v5, s0
	s_wait_loadcnt 0x0
	v_and_b32_e32 v4, 0xffff, v4
.LBB30_4051:
	s_mov_b32 s5, -1
.LBB30_4052:
	s_delay_alu instid0(SALU_CYCLE_1)
	s_and_not1_b32 vcc_lo, exec_lo, s5
	s_cbranch_vccnz .LBB30_4318
; %bb.4053:
	s_lshl_b32 s63, s50, 7
	s_and_b32 s59, 0xffff, s51
	s_wait_xcnt 0x0
	v_add_nc_u32_e32 v16, s63, v6
	s_cmp_lt_i32 s59, 11
	s_delay_alu instid0(VALU_DEP_1) | instskip(NEXT) | instid1(VALU_DEP_1)
	v_ashrrev_i32_e32 v17, 31, v16
	v_add_nc_u64_e32 v[18:19], s[12:13], v[16:17]
	s_cbranch_scc1 .LBB30_4060
; %bb.4054:
	s_cmp_gt_i32 s59, 25
	s_mov_b32 s1, 0
	s_cbranch_scc0 .LBB30_4061
; %bb.4055:
	s_cmp_gt_i32 s59, 28
	s_cbranch_scc0 .LBB30_4062
; %bb.4056:
	s_cmp_gt_i32 s59, 43
	;; [unrolled: 3-line block ×3, first 2 shown]
	s_cbranch_scc0 .LBB30_4065
; %bb.4058:
	s_cmp_eq_u32 s59, 46
	s_mov_b32 s20, 0
	s_cbranch_scc0 .LBB30_4068
; %bb.4059:
	global_load_b32 v6, v[18:19], off
	s_mov_b32 s0, 0
	s_mov_b32 s5, -1
	s_wait_loadcnt 0x0
	v_lshlrev_b32_e32 v6, 16, v6
	s_delay_alu instid0(VALU_DEP_1) | instskip(NEXT) | instid1(VALU_DEP_1)
	v_trunc_f32_e32 v6, v6
	v_mul_f32_e64 v7, 0x2f800000, |v6|
	s_delay_alu instid0(VALU_DEP_1) | instskip(NEXT) | instid1(VALU_DEP_1)
	v_floor_f32_e32 v7, v7
	v_fma_f32 v9, 0xcf800000, v7, |v6|
	v_ashrrev_i32_e32 v6, 31, v6
	v_cvt_u32_f32_e32 v11, v7
	s_delay_alu instid0(VALU_DEP_3) | instskip(NEXT) | instid1(VALU_DEP_2)
	v_cvt_u32_f32_e32 v9, v9
	v_dual_mov_b32 v7, v6 :: v_dual_bitop2_b32 v25, v11, v6 bitop3:0x14
	s_delay_alu instid0(VALU_DEP_2) | instskip(NEXT) | instid1(VALU_DEP_1)
	v_xor_b32_e32 v24, v9, v6
	v_sub_nc_u64_e32 v[6:7], v[24:25], v[6:7]
	s_branch .LBB30_4070
.LBB30_4060:
	s_mov_b32 s0, -1
	s_mov_b32 s5, 0
                                        ; implicit-def: $vgpr6_vgpr7
	s_branch .LBB30_4132
.LBB30_4061:
	s_mov_b32 s20, -1
	s_mov_b32 s5, 0
	s_mov_b32 s0, 0
                                        ; implicit-def: $vgpr6_vgpr7
	s_branch .LBB30_4097
.LBB30_4062:
	s_mov_b32 s20, -1
	s_mov_b32 s5, 0
	s_mov_b32 s0, 0
                                        ; implicit-def: $vgpr6_vgpr7
	s_branch .LBB30_4080
.LBB30_4063:
	s_mov_b32 s20, -1
	s_mov_b32 s5, 0
	s_mov_b32 s0, 0
                                        ; implicit-def: $vgpr6_vgpr7
	s_branch .LBB30_4075
.LBB30_4064:
	s_or_b32 s44, s44, exec_lo
	s_trap 2
	s_cbranch_execz .LBB30_4001
	s_branch .LBB30_4002
.LBB30_4065:
	s_mov_b32 s20, -1
	s_mov_b32 s5, 0
	s_mov_b32 s0, 0
	s_branch .LBB30_4069
.LBB30_4066:
	s_or_b32 exec_lo, exec_lo, s74
	s_branch .LBB30_1298
.LBB30_4067:
	s_or_b32 s40, s38, exec_lo
	s_trap 2
                                        ; implicit-def: $vgpr0_vgpr1
                                        ; implicit-def: $vgpr2_vgpr3
                                        ; implicit-def: $vgpr4
                                        ; implicit-def: $vgpr8_vgpr9
                                        ; implicit-def: $vgpr6
                                        ; implicit-def: $vgpr12_vgpr13
                                        ; implicit-def: $vgpr10
                                        ; implicit-def: $vgpr16_vgpr17
                                        ; implicit-def: $vgpr26
	s_branch .LBB30_3431
.LBB30_4068:
	s_mov_b32 s0, -1
	s_mov_b32 s5, 0
.LBB30_4069:
                                        ; implicit-def: $vgpr6_vgpr7
.LBB30_4070:
	s_and_b32 vcc_lo, exec_lo, s20
	s_cbranch_vccz .LBB30_4074
; %bb.4071:
	s_cmp_eq_u32 s59, 44
	s_cbranch_scc0 .LBB30_4073
; %bb.4072:
	global_load_u8 v9, v[18:19], off
	s_mov_b32 s0, 0
	s_mov_b32 s5, -1
	s_wait_loadcnt 0x0
	v_cmp_ne_u32_e32 vcc_lo, 0, v9
	v_lshlrev_b32_e32 v6, 23, v9
	s_delay_alu instid0(VALU_DEP_1) | instskip(NEXT) | instid1(VALU_DEP_1)
	v_trunc_f32_e32 v6, v6
	v_mul_f32_e64 v7, 0x2f800000, |v6|
	s_delay_alu instid0(VALU_DEP_1) | instskip(NEXT) | instid1(VALU_DEP_1)
	v_floor_f32_e32 v7, v7
	v_fma_f32 v11, 0xcf800000, v7, |v6|
	v_ashrrev_i32_e32 v6, 31, v6
	v_cvt_u32_f32_e32 v13, v7
	s_delay_alu instid0(VALU_DEP_3) | instskip(NEXT) | instid1(VALU_DEP_2)
	v_cvt_u32_f32_e32 v11, v11
	v_dual_mov_b32 v7, v6 :: v_dual_bitop2_b32 v25, v13, v6 bitop3:0x14
	s_delay_alu instid0(VALU_DEP_2) | instskip(NEXT) | instid1(VALU_DEP_1)
	v_xor_b32_e32 v24, v11, v6
	v_sub_nc_u64_e32 v[6:7], v[24:25], v[6:7]
	s_delay_alu instid0(VALU_DEP_1)
	v_dual_cndmask_b32 v7, 0, v7 :: v_dual_cndmask_b32 v6, 0, v6
	s_branch .LBB30_4074
.LBB30_4073:
	s_mov_b32 s0, -1
                                        ; implicit-def: $vgpr6_vgpr7
.LBB30_4074:
	s_mov_b32 s20, 0
.LBB30_4075:
	s_delay_alu instid0(SALU_CYCLE_1)
	s_and_b32 vcc_lo, exec_lo, s20
	s_cbranch_vccz .LBB30_4079
; %bb.4076:
	s_cmp_eq_u32 s59, 29
	s_cbranch_scc0 .LBB30_4078
; %bb.4077:
	global_load_b64 v[6:7], v[18:19], off
	s_mov_b32 s0, 0
	s_mov_b32 s5, -1
	s_branch .LBB30_4079
.LBB30_4078:
	s_mov_b32 s0, -1
                                        ; implicit-def: $vgpr6_vgpr7
.LBB30_4079:
	s_mov_b32 s20, 0
.LBB30_4080:
	s_delay_alu instid0(SALU_CYCLE_1)
	s_and_b32 vcc_lo, exec_lo, s20
	s_cbranch_vccz .LBB30_4096
; %bb.4081:
	s_cmp_lt_i32 s59, 27
	s_cbranch_scc1 .LBB30_4084
; %bb.4082:
	s_cmp_gt_i32 s59, 27
	s_cbranch_scc0 .LBB30_4085
; %bb.4083:
	s_wait_loadcnt 0x0
	global_load_b32 v6, v[18:19], off
	v_mov_b32_e32 v7, 0
	s_mov_b32 s5, 0
	s_branch .LBB30_4086
.LBB30_4084:
	s_mov_b32 s5, -1
                                        ; implicit-def: $vgpr6_vgpr7
	s_branch .LBB30_4089
.LBB30_4085:
	s_mov_b32 s5, -1
                                        ; implicit-def: $vgpr6_vgpr7
.LBB30_4086:
	s_delay_alu instid0(SALU_CYCLE_1)
	s_and_not1_b32 vcc_lo, exec_lo, s5
	s_cbranch_vccnz .LBB30_4088
; %bb.4087:
	s_wait_loadcnt 0x0
	global_load_u16 v6, v[18:19], off
	s_mov_b32 s5, 0
	s_delay_alu instid0(SALU_CYCLE_1)
	v_mov_b32_e32 v7, s5
	s_wait_loadcnt 0x0
	v_and_b32_e32 v6, 0xffff, v6
.LBB30_4088:
	s_mov_b32 s5, 0
.LBB30_4089:
	s_delay_alu instid0(SALU_CYCLE_1)
	s_and_not1_b32 vcc_lo, exec_lo, s5
	s_cbranch_vccnz .LBB30_4095
; %bb.4090:
	global_load_u8 v9, v[18:19], off
	s_mov_b32 s20, 0
	s_mov_b32 s5, exec_lo
	s_wait_loadcnt 0x0
	v_cmpx_lt_i16_e32 0x7f, v9
	s_xor_b32 s5, exec_lo, s5
	s_cbranch_execz .LBB30_4107
; %bb.4091:
	v_cmp_ne_u16_e32 vcc_lo, 0x80, v9
	s_and_b32 s20, vcc_lo, exec_lo
	s_and_not1_saveexec_b32 s5, s5
	s_cbranch_execnz .LBB30_4108
.LBB30_4092:
	s_or_b32 exec_lo, exec_lo, s5
	v_mov_b64_e32 v[6:7], 0
	s_and_saveexec_b32 s5, s20
	s_cbranch_execz .LBB30_4094
.LBB30_4093:
	v_and_b32_e32 v6, 0xffff, v9
	s_delay_alu instid0(VALU_DEP_1) | instskip(SKIP_1) | instid1(VALU_DEP_2)
	v_and_b32_e32 v7, 7, v6
	v_bfe_u32 v15, v6, 3, 4
	v_clz_i32_u32_e32 v11, v7
	s_delay_alu instid0(VALU_DEP_2) | instskip(NEXT) | instid1(VALU_DEP_2)
	v_cmp_eq_u32_e32 vcc_lo, 0, v15
	v_min_u32_e32 v11, 32, v11
	s_delay_alu instid0(VALU_DEP_1) | instskip(NEXT) | instid1(VALU_DEP_1)
	v_subrev_nc_u32_e32 v13, 28, v11
	v_dual_lshlrev_b32 v6, v13, v6 :: v_dual_sub_nc_u32 v11, 29, v11
	s_delay_alu instid0(VALU_DEP_1) | instskip(NEXT) | instid1(VALU_DEP_2)
	v_dual_lshlrev_b32 v9, 24, v9 :: v_dual_bitop2_b32 v6, 7, v6 bitop3:0x40
	v_cndmask_b32_e32 v11, v15, v11, vcc_lo
	s_delay_alu instid0(VALU_DEP_2) | instskip(NEXT) | instid1(VALU_DEP_3)
	v_cndmask_b32_e32 v6, v7, v6, vcc_lo
	v_and_b32_e32 v7, 0x80000000, v9
	s_delay_alu instid0(VALU_DEP_3) | instskip(NEXT) | instid1(VALU_DEP_3)
	v_lshl_add_u32 v9, v11, 23, 0x3b800000
	v_lshlrev_b32_e32 v6, 20, v6
	s_delay_alu instid0(VALU_DEP_1) | instskip(NEXT) | instid1(VALU_DEP_1)
	v_or3_b32 v6, v7, v9, v6
	v_trunc_f32_e32 v6, v6
	s_delay_alu instid0(VALU_DEP_1) | instskip(NEXT) | instid1(VALU_DEP_1)
	v_mul_f32_e64 v7, 0x2f800000, |v6|
	v_floor_f32_e32 v7, v7
	s_delay_alu instid0(VALU_DEP_1) | instskip(SKIP_2) | instid1(VALU_DEP_3)
	v_fma_f32 v9, 0xcf800000, v7, |v6|
	v_ashrrev_i32_e32 v6, 31, v6
	v_cvt_u32_f32_e32 v11, v7
	v_cvt_u32_f32_e32 v9, v9
	s_delay_alu instid0(VALU_DEP_2) | instskip(NEXT) | instid1(VALU_DEP_2)
	v_dual_mov_b32 v7, v6 :: v_dual_bitop2_b32 v25, v11, v6 bitop3:0x14
	v_xor_b32_e32 v24, v9, v6
	s_delay_alu instid0(VALU_DEP_1)
	v_sub_nc_u64_e32 v[6:7], v[24:25], v[6:7]
.LBB30_4094:
	s_or_b32 exec_lo, exec_lo, s5
.LBB30_4095:
	s_mov_b32 s5, -1
.LBB30_4096:
	s_mov_b32 s20, 0
.LBB30_4097:
	s_delay_alu instid0(SALU_CYCLE_1)
	s_and_b32 vcc_lo, exec_lo, s20
	s_cbranch_vccz .LBB30_4128
; %bb.4098:
	s_cmp_gt_i32 s59, 22
	s_cbranch_scc0 .LBB30_4106
; %bb.4099:
	s_cmp_lt_i32 s59, 24
	s_cbranch_scc1 .LBB30_4109
; %bb.4100:
	s_cmp_gt_i32 s59, 24
	s_cbranch_scc0 .LBB30_4110
; %bb.4101:
	global_load_u8 v9, v[18:19], off
	s_mov_b32 s5, 0
	s_mov_b32 s1, exec_lo
	s_wait_loadcnt 0x0
	v_cmpx_lt_i16_e32 0x7f, v9
	s_xor_b32 s1, exec_lo, s1
	s_cbranch_execz .LBB30_4122
; %bb.4102:
	v_cmp_ne_u16_e32 vcc_lo, 0x80, v9
	s_and_b32 s5, vcc_lo, exec_lo
	s_and_not1_saveexec_b32 s1, s1
	s_cbranch_execnz .LBB30_4123
.LBB30_4103:
	s_or_b32 exec_lo, exec_lo, s1
	v_mov_b64_e32 v[6:7], 0
	s_and_saveexec_b32 s1, s5
	s_cbranch_execz .LBB30_4105
.LBB30_4104:
	v_and_b32_e32 v6, 0xffff, v9
	s_delay_alu instid0(VALU_DEP_1) | instskip(SKIP_1) | instid1(VALU_DEP_2)
	v_and_b32_e32 v7, 3, v6
	v_bfe_u32 v15, v6, 2, 5
	v_clz_i32_u32_e32 v11, v7
	s_delay_alu instid0(VALU_DEP_2) | instskip(NEXT) | instid1(VALU_DEP_2)
	v_cmp_eq_u32_e32 vcc_lo, 0, v15
	v_min_u32_e32 v11, 32, v11
	s_delay_alu instid0(VALU_DEP_1) | instskip(NEXT) | instid1(VALU_DEP_1)
	v_subrev_nc_u32_e32 v13, 29, v11
	v_dual_lshlrev_b32 v6, v13, v6 :: v_dual_sub_nc_u32 v11, 30, v11
	s_delay_alu instid0(VALU_DEP_1) | instskip(NEXT) | instid1(VALU_DEP_2)
	v_dual_lshlrev_b32 v9, 24, v9 :: v_dual_bitop2_b32 v6, 3, v6 bitop3:0x40
	v_cndmask_b32_e32 v11, v15, v11, vcc_lo
	s_delay_alu instid0(VALU_DEP_2) | instskip(NEXT) | instid1(VALU_DEP_3)
	v_cndmask_b32_e32 v6, v7, v6, vcc_lo
	v_and_b32_e32 v7, 0x80000000, v9
	s_delay_alu instid0(VALU_DEP_3) | instskip(NEXT) | instid1(VALU_DEP_3)
	v_lshl_add_u32 v9, v11, 23, 0x37800000
	v_lshlrev_b32_e32 v6, 21, v6
	s_delay_alu instid0(VALU_DEP_1) | instskip(NEXT) | instid1(VALU_DEP_1)
	v_or3_b32 v6, v7, v9, v6
	v_trunc_f32_e32 v6, v6
	s_delay_alu instid0(VALU_DEP_1) | instskip(NEXT) | instid1(VALU_DEP_1)
	v_mul_f32_e64 v7, 0x2f800000, |v6|
	v_floor_f32_e32 v7, v7
	s_delay_alu instid0(VALU_DEP_1) | instskip(SKIP_2) | instid1(VALU_DEP_3)
	v_fma_f32 v9, 0xcf800000, v7, |v6|
	v_ashrrev_i32_e32 v6, 31, v6
	v_cvt_u32_f32_e32 v11, v7
	v_cvt_u32_f32_e32 v9, v9
	s_delay_alu instid0(VALU_DEP_2) | instskip(NEXT) | instid1(VALU_DEP_2)
	v_dual_mov_b32 v7, v6 :: v_dual_bitop2_b32 v25, v11, v6 bitop3:0x14
	v_xor_b32_e32 v24, v9, v6
	s_delay_alu instid0(VALU_DEP_1)
	v_sub_nc_u64_e32 v[6:7], v[24:25], v[6:7]
.LBB30_4105:
	s_or_b32 exec_lo, exec_lo, s1
	s_mov_b32 s1, 0
	s_branch .LBB30_4111
.LBB30_4106:
	s_mov_b32 s1, -1
                                        ; implicit-def: $vgpr6_vgpr7
	s_branch .LBB30_4117
.LBB30_4107:
	s_and_not1_saveexec_b32 s5, s5
	s_cbranch_execz .LBB30_4092
.LBB30_4108:
	v_cmp_ne_u16_e32 vcc_lo, 0, v9
	s_and_not1_b32 s20, s20, exec_lo
	s_and_b32 s21, vcc_lo, exec_lo
	s_delay_alu instid0(SALU_CYCLE_1)
	s_or_b32 s20, s20, s21
	s_or_b32 exec_lo, exec_lo, s5
	v_mov_b64_e32 v[6:7], 0
	s_and_saveexec_b32 s5, s20
	s_cbranch_execnz .LBB30_4093
	s_branch .LBB30_4094
.LBB30_4109:
	s_mov_b32 s1, -1
                                        ; implicit-def: $vgpr6_vgpr7
	s_branch .LBB30_4114
.LBB30_4110:
	s_mov_b32 s1, -1
                                        ; implicit-def: $vgpr6_vgpr7
.LBB30_4111:
	s_delay_alu instid0(SALU_CYCLE_1)
	s_and_b32 vcc_lo, exec_lo, s1
	s_cbranch_vccz .LBB30_4113
; %bb.4112:
	s_wait_loadcnt 0x0
	global_load_u8 v6, v[18:19], off
	s_wait_loadcnt 0x0
	v_lshlrev_b32_e32 v6, 24, v6
	s_delay_alu instid0(VALU_DEP_1) | instskip(NEXT) | instid1(VALU_DEP_1)
	v_and_b32_e32 v7, 0x7f000000, v6
	v_clz_i32_u32_e32 v9, v7
	v_add_nc_u32_e32 v13, 0x1000000, v7
	v_cmp_ne_u32_e32 vcc_lo, 0, v7
	s_delay_alu instid0(VALU_DEP_3) | instskip(NEXT) | instid1(VALU_DEP_1)
	v_min_u32_e32 v9, 32, v9
	v_sub_nc_u32_e64 v9, v9, 4 clamp
	s_delay_alu instid0(VALU_DEP_1) | instskip(NEXT) | instid1(VALU_DEP_1)
	v_dual_lshlrev_b32 v11, v9, v7 :: v_dual_lshlrev_b32 v9, 23, v9
	v_lshrrev_b32_e32 v11, 4, v11
	s_delay_alu instid0(VALU_DEP_1) | instskip(SKIP_1) | instid1(VALU_DEP_2)
	v_sub_nc_u32_e32 v9, v11, v9
	v_ashrrev_i32_e32 v11, 8, v13
	v_add_nc_u32_e32 v9, 0x3c000000, v9
	s_delay_alu instid0(VALU_DEP_1) | instskip(NEXT) | instid1(VALU_DEP_1)
	v_and_or_b32 v9, 0x7f800000, v11, v9
	v_cndmask_b32_e32 v7, 0, v9, vcc_lo
	s_delay_alu instid0(VALU_DEP_1) | instskip(NEXT) | instid1(VALU_DEP_1)
	v_and_or_b32 v6, 0x80000000, v6, v7
	v_trunc_f32_e32 v6, v6
	s_delay_alu instid0(VALU_DEP_1) | instskip(NEXT) | instid1(VALU_DEP_1)
	v_mul_f32_e64 v7, 0x2f800000, |v6|
	v_floor_f32_e32 v7, v7
	s_delay_alu instid0(VALU_DEP_1) | instskip(SKIP_2) | instid1(VALU_DEP_3)
	v_fma_f32 v9, 0xcf800000, v7, |v6|
	v_ashrrev_i32_e32 v6, 31, v6
	v_cvt_u32_f32_e32 v11, v7
	v_cvt_u32_f32_e32 v9, v9
	s_delay_alu instid0(VALU_DEP_2) | instskip(NEXT) | instid1(VALU_DEP_2)
	v_dual_mov_b32 v7, v6 :: v_dual_bitop2_b32 v25, v11, v6 bitop3:0x14
	v_xor_b32_e32 v24, v9, v6
	s_delay_alu instid0(VALU_DEP_1)
	v_sub_nc_u64_e32 v[6:7], v[24:25], v[6:7]
.LBB30_4113:
	s_mov_b32 s1, 0
.LBB30_4114:
	s_delay_alu instid0(SALU_CYCLE_1)
	s_and_not1_b32 vcc_lo, exec_lo, s1
	s_cbranch_vccnz .LBB30_4116
; %bb.4115:
	s_wait_loadcnt 0x0
	global_load_u8 v6, v[18:19], off
	s_wait_loadcnt 0x0
	v_lshlrev_b32_e32 v7, 25, v6
	v_lshlrev_b16 v6, 8, v6
	s_delay_alu instid0(VALU_DEP_1) | instskip(SKIP_1) | instid1(VALU_DEP_2)
	v_and_or_b32 v11, 0x7f00, v6, 0.5
	v_bfe_i32 v6, v6, 0, 16
	v_add_f32_e32 v11, -0.5, v11
	v_lshrrev_b32_e32 v9, 4, v7
	v_cmp_gt_u32_e32 vcc_lo, 0x8000000, v7
	s_delay_alu instid0(VALU_DEP_2) | instskip(NEXT) | instid1(VALU_DEP_1)
	v_or_b32_e32 v9, 0x70000000, v9
	v_mul_f32_e32 v9, 0x7800000, v9
	s_delay_alu instid0(VALU_DEP_1) | instskip(NEXT) | instid1(VALU_DEP_1)
	v_cndmask_b32_e32 v7, v9, v11, vcc_lo
	v_and_or_b32 v6, 0x80000000, v6, v7
	s_delay_alu instid0(VALU_DEP_1) | instskip(NEXT) | instid1(VALU_DEP_1)
	v_trunc_f32_e32 v6, v6
	v_mul_f32_e64 v7, 0x2f800000, |v6|
	s_delay_alu instid0(VALU_DEP_1) | instskip(NEXT) | instid1(VALU_DEP_1)
	v_floor_f32_e32 v7, v7
	v_fma_f32 v9, 0xcf800000, v7, |v6|
	v_ashrrev_i32_e32 v6, 31, v6
	v_cvt_u32_f32_e32 v11, v7
	s_delay_alu instid0(VALU_DEP_3) | instskip(NEXT) | instid1(VALU_DEP_2)
	v_cvt_u32_f32_e32 v9, v9
	v_dual_mov_b32 v7, v6 :: v_dual_bitop2_b32 v25, v11, v6 bitop3:0x14
	s_delay_alu instid0(VALU_DEP_2) | instskip(NEXT) | instid1(VALU_DEP_1)
	v_xor_b32_e32 v24, v9, v6
	v_sub_nc_u64_e32 v[6:7], v[24:25], v[6:7]
.LBB30_4116:
	s_mov_b32 s1, 0
	s_mov_b32 s5, -1
.LBB30_4117:
	s_and_not1_b32 vcc_lo, exec_lo, s1
	s_mov_b32 s1, 0
	s_cbranch_vccnz .LBB30_4128
; %bb.4118:
	s_cmp_gt_i32 s59, 14
	s_cbranch_scc0 .LBB30_4121
; %bb.4119:
	s_cmp_eq_u32 s59, 15
	s_cbranch_scc0 .LBB30_4124
; %bb.4120:
	s_wait_loadcnt 0x0
	global_load_u16 v6, v[18:19], off
	s_mov_b32 s0, 0
	s_mov_b32 s5, -1
	s_wait_loadcnt 0x0
	v_lshlrev_b32_e32 v6, 16, v6
	s_delay_alu instid0(VALU_DEP_1) | instskip(NEXT) | instid1(VALU_DEP_1)
	v_trunc_f32_e32 v6, v6
	v_mul_f32_e64 v7, 0x2f800000, |v6|
	s_delay_alu instid0(VALU_DEP_1) | instskip(NEXT) | instid1(VALU_DEP_1)
	v_floor_f32_e32 v7, v7
	v_fma_f32 v9, 0xcf800000, v7, |v6|
	v_ashrrev_i32_e32 v6, 31, v6
	v_cvt_u32_f32_e32 v11, v7
	s_delay_alu instid0(VALU_DEP_3) | instskip(NEXT) | instid1(VALU_DEP_2)
	v_cvt_u32_f32_e32 v9, v9
	v_dual_mov_b32 v7, v6 :: v_dual_bitop2_b32 v25, v11, v6 bitop3:0x14
	s_delay_alu instid0(VALU_DEP_2) | instskip(NEXT) | instid1(VALU_DEP_1)
	v_xor_b32_e32 v24, v9, v6
	v_sub_nc_u64_e32 v[6:7], v[24:25], v[6:7]
	s_branch .LBB30_4126
.LBB30_4121:
	s_mov_b32 s1, -1
	s_branch .LBB30_4125
.LBB30_4122:
	s_and_not1_saveexec_b32 s1, s1
	s_cbranch_execz .LBB30_4103
.LBB30_4123:
	v_cmp_ne_u16_e32 vcc_lo, 0, v9
	s_and_not1_b32 s5, s5, exec_lo
	s_and_b32 s20, vcc_lo, exec_lo
	s_delay_alu instid0(SALU_CYCLE_1)
	s_or_b32 s5, s5, s20
	s_or_b32 exec_lo, exec_lo, s1
	v_mov_b64_e32 v[6:7], 0
	s_and_saveexec_b32 s1, s5
	s_cbranch_execnz .LBB30_4104
	s_branch .LBB30_4105
.LBB30_4124:
	s_mov_b32 s0, -1
.LBB30_4125:
                                        ; implicit-def: $vgpr6_vgpr7
.LBB30_4126:
	s_and_b32 vcc_lo, exec_lo, s1
	s_mov_b32 s1, 0
	s_cbranch_vccz .LBB30_4128
; %bb.4127:
	s_cmp_lg_u32 s59, 11
	s_mov_b32 s1, -1
	s_cselect_b32 s0, -1, 0
.LBB30_4128:
	s_delay_alu instid0(SALU_CYCLE_1)
	s_and_b32 vcc_lo, exec_lo, s0
	s_cbranch_vccnz .LBB30_4193
; %bb.4129:
	s_and_not1_b32 vcc_lo, exec_lo, s1
	s_cbranch_vccnz .LBB30_4131
.LBB30_4130:
	s_wait_loadcnt 0x0
	global_load_u8 v6, v[18:19], off
	s_mov_b32 s0, 0
	s_mov_b32 s5, -1
	v_mov_b32_e32 v7, s0
	s_wait_loadcnt 0x0
	v_cmp_ne_u16_e32 vcc_lo, 0, v6
	v_cndmask_b32_e64 v6, 0, 1, vcc_lo
.LBB30_4131:
	s_mov_b32 s0, 0
.LBB30_4132:
	s_delay_alu instid0(SALU_CYCLE_1)
	s_and_b32 vcc_lo, exec_lo, s0
	s_cbranch_vccz .LBB30_4181
; %bb.4133:
	s_cmp_lt_i32 s59, 5
	s_cbranch_scc1 .LBB30_4138
; %bb.4134:
	s_cmp_lt_i32 s59, 8
	s_cbranch_scc1 .LBB30_4139
	;; [unrolled: 3-line block ×3, first 2 shown]
; %bb.4136:
	s_cmp_gt_i32 s59, 9
	s_cbranch_scc0 .LBB30_4141
; %bb.4137:
	s_wait_loadcnt 0x0
	global_load_b64 v[6:7], v[18:19], off
	s_mov_b32 s0, 0
	s_wait_loadcnt 0x0
	v_trunc_f64_e32 v[6:7], v[6:7]
	s_delay_alu instid0(VALU_DEP_1) | instskip(NEXT) | instid1(VALU_DEP_1)
	v_ldexp_f64 v[24:25], v[6:7], 0xffffffe0
	v_floor_f64_e32 v[24:25], v[24:25]
	s_delay_alu instid0(VALU_DEP_1) | instskip(SKIP_1) | instid1(VALU_DEP_2)
	v_fmamk_f64 v[28:29], v[24:25], 0xc1f00000, v[6:7]
	v_cvt_i32_f64_e32 v7, v[24:25]
	v_cvt_u32_f64_e32 v6, v[28:29]
	s_branch .LBB30_4142
.LBB30_4138:
	s_mov_b32 s0, -1
                                        ; implicit-def: $vgpr6_vgpr7
	s_branch .LBB30_4160
.LBB30_4139:
	s_mov_b32 s0, -1
                                        ; implicit-def: $vgpr6_vgpr7
	s_branch .LBB30_4148
.LBB30_4140:
	s_mov_b32 s0, -1
                                        ; implicit-def: $vgpr6_vgpr7
	s_branch .LBB30_4145
.LBB30_4141:
	s_mov_b32 s0, -1
                                        ; implicit-def: $vgpr6_vgpr7
.LBB30_4142:
	s_delay_alu instid0(SALU_CYCLE_1)
	s_and_not1_b32 vcc_lo, exec_lo, s0
	s_cbranch_vccnz .LBB30_4144
; %bb.4143:
	s_wait_loadcnt 0x0
	global_load_b32 v6, v[18:19], off
	s_wait_loadcnt 0x0
	v_trunc_f32_e32 v6, v6
	s_delay_alu instid0(VALU_DEP_1) | instskip(NEXT) | instid1(VALU_DEP_1)
	v_mul_f32_e64 v7, 0x2f800000, |v6|
	v_floor_f32_e32 v7, v7
	s_delay_alu instid0(VALU_DEP_1) | instskip(SKIP_2) | instid1(VALU_DEP_3)
	v_fma_f32 v9, 0xcf800000, v7, |v6|
	v_ashrrev_i32_e32 v6, 31, v6
	v_cvt_u32_f32_e32 v11, v7
	v_cvt_u32_f32_e32 v9, v9
	s_delay_alu instid0(VALU_DEP_2) | instskip(NEXT) | instid1(VALU_DEP_2)
	v_dual_mov_b32 v7, v6 :: v_dual_bitop2_b32 v25, v11, v6 bitop3:0x14
	v_xor_b32_e32 v24, v9, v6
	s_delay_alu instid0(VALU_DEP_1)
	v_sub_nc_u64_e32 v[6:7], v[24:25], v[6:7]
.LBB30_4144:
	s_mov_b32 s0, 0
.LBB30_4145:
	s_delay_alu instid0(SALU_CYCLE_1)
	s_and_not1_b32 vcc_lo, exec_lo, s0
	s_cbranch_vccnz .LBB30_4147
; %bb.4146:
	s_wait_loadcnt 0x0
	global_load_b32 v6, v[18:19], off
	s_wait_loadcnt 0x0
	v_cvt_f32_f16_e32 v6, v6
	s_delay_alu instid0(VALU_DEP_1) | instskip(NEXT) | instid1(VALU_DEP_1)
	v_cvt_i32_f32_e32 v6, v6
	v_ashrrev_i32_e32 v7, 31, v6
.LBB30_4147:
	s_mov_b32 s0, 0
.LBB30_4148:
	s_delay_alu instid0(SALU_CYCLE_1)
	s_and_not1_b32 vcc_lo, exec_lo, s0
	s_cbranch_vccnz .LBB30_4159
; %bb.4149:
	s_cmp_lt_i32 s59, 6
	s_cbranch_scc1 .LBB30_4152
; %bb.4150:
	s_cmp_gt_i32 s59, 6
	s_cbranch_scc0 .LBB30_4153
; %bb.4151:
	s_wait_loadcnt 0x0
	global_load_b64 v[6:7], v[18:19], off
	s_mov_b32 s0, 0
	s_wait_loadcnt 0x0
	v_trunc_f64_e32 v[6:7], v[6:7]
	s_delay_alu instid0(VALU_DEP_1) | instskip(NEXT) | instid1(VALU_DEP_1)
	v_ldexp_f64 v[24:25], v[6:7], 0xffffffe0
	v_floor_f64_e32 v[24:25], v[24:25]
	s_delay_alu instid0(VALU_DEP_1) | instskip(SKIP_1) | instid1(VALU_DEP_2)
	v_fmamk_f64 v[28:29], v[24:25], 0xc1f00000, v[6:7]
	v_cvt_i32_f64_e32 v7, v[24:25]
	v_cvt_u32_f64_e32 v6, v[28:29]
	s_branch .LBB30_4154
.LBB30_4152:
	s_mov_b32 s0, -1
                                        ; implicit-def: $vgpr6_vgpr7
	s_branch .LBB30_4157
.LBB30_4153:
	s_mov_b32 s0, -1
                                        ; implicit-def: $vgpr6_vgpr7
.LBB30_4154:
	s_delay_alu instid0(SALU_CYCLE_1)
	s_and_not1_b32 vcc_lo, exec_lo, s0
	s_cbranch_vccnz .LBB30_4156
; %bb.4155:
	s_wait_loadcnt 0x0
	global_load_b32 v6, v[18:19], off
	s_wait_loadcnt 0x0
	v_trunc_f32_e32 v6, v6
	s_delay_alu instid0(VALU_DEP_1) | instskip(NEXT) | instid1(VALU_DEP_1)
	v_mul_f32_e64 v7, 0x2f800000, |v6|
	v_floor_f32_e32 v7, v7
	s_delay_alu instid0(VALU_DEP_1) | instskip(SKIP_2) | instid1(VALU_DEP_3)
	v_fma_f32 v9, 0xcf800000, v7, |v6|
	v_ashrrev_i32_e32 v6, 31, v6
	v_cvt_u32_f32_e32 v11, v7
	v_cvt_u32_f32_e32 v9, v9
	s_delay_alu instid0(VALU_DEP_2) | instskip(NEXT) | instid1(VALU_DEP_2)
	v_dual_mov_b32 v7, v6 :: v_dual_bitop2_b32 v25, v11, v6 bitop3:0x14
	v_xor_b32_e32 v24, v9, v6
	s_delay_alu instid0(VALU_DEP_1)
	v_sub_nc_u64_e32 v[6:7], v[24:25], v[6:7]
.LBB30_4156:
	s_mov_b32 s0, 0
.LBB30_4157:
	s_delay_alu instid0(SALU_CYCLE_1)
	s_and_not1_b32 vcc_lo, exec_lo, s0
	s_cbranch_vccnz .LBB30_4159
; %bb.4158:
	s_wait_loadcnt 0x0
	global_load_u16 v6, v[18:19], off
	s_wait_loadcnt 0x0
	v_cvt_f32_f16_e32 v6, v6
	s_delay_alu instid0(VALU_DEP_1) | instskip(NEXT) | instid1(VALU_DEP_1)
	v_cvt_i32_f32_e32 v6, v6
	v_ashrrev_i32_e32 v7, 31, v6
.LBB30_4159:
	s_mov_b32 s0, 0
.LBB30_4160:
	s_delay_alu instid0(SALU_CYCLE_1)
	s_and_not1_b32 vcc_lo, exec_lo, s0
	s_cbranch_vccnz .LBB30_4180
; %bb.4161:
	s_cmp_lt_i32 s59, 2
	s_cbranch_scc1 .LBB30_4165
; %bb.4162:
	s_cmp_lt_i32 s59, 3
	s_cbranch_scc1 .LBB30_4166
; %bb.4163:
	s_cmp_gt_i32 s59, 3
	s_cbranch_scc0 .LBB30_4167
; %bb.4164:
	s_wait_loadcnt 0x0
	global_load_b64 v[6:7], v[18:19], off
	s_mov_b32 s0, 0
	s_branch .LBB30_4168
.LBB30_4165:
	s_mov_b32 s0, -1
                                        ; implicit-def: $vgpr6_vgpr7
	s_branch .LBB30_4174
.LBB30_4166:
	s_mov_b32 s0, -1
                                        ; implicit-def: $vgpr6_vgpr7
	s_branch .LBB30_4171
.LBB30_4167:
	s_mov_b32 s0, -1
                                        ; implicit-def: $vgpr6_vgpr7
.LBB30_4168:
	s_delay_alu instid0(SALU_CYCLE_1)
	s_and_not1_b32 vcc_lo, exec_lo, s0
	s_cbranch_vccnz .LBB30_4170
; %bb.4169:
	s_wait_loadcnt 0x0
	global_load_b32 v6, v[18:19], off
	s_wait_loadcnt 0x0
	v_ashrrev_i32_e32 v7, 31, v6
.LBB30_4170:
	s_mov_b32 s0, 0
.LBB30_4171:
	s_delay_alu instid0(SALU_CYCLE_1)
	s_and_not1_b32 vcc_lo, exec_lo, s0
	s_cbranch_vccnz .LBB30_4173
; %bb.4172:
	s_wait_loadcnt 0x0
	global_load_u16 v6, v[18:19], off
	s_wait_loadcnt 0x0
	v_bfe_i32 v6, v6, 0, 16
	s_delay_alu instid0(VALU_DEP_1)
	v_ashrrev_i32_e32 v7, 31, v6
.LBB30_4173:
	s_mov_b32 s0, 0
.LBB30_4174:
	s_delay_alu instid0(SALU_CYCLE_1)
	s_and_not1_b32 vcc_lo, exec_lo, s0
	s_cbranch_vccnz .LBB30_4180
; %bb.4175:
	s_cmp_gt_i32 s59, 0
	s_mov_b32 s0, 0
	s_cbranch_scc0 .LBB30_4177
; %bb.4176:
	s_wait_loadcnt 0x0
	global_load_i8 v6, v[18:19], off
	s_wait_loadcnt 0x0
	v_bfe_i32 v6, v6, 0, 16
	s_delay_alu instid0(VALU_DEP_1)
	v_ashrrev_i32_e32 v7, 31, v6
	s_branch .LBB30_4178
.LBB30_4177:
	s_mov_b32 s0, -1
                                        ; implicit-def: $vgpr6_vgpr7
.LBB30_4178:
	s_delay_alu instid0(SALU_CYCLE_1)
	s_and_not1_b32 vcc_lo, exec_lo, s0
	s_cbranch_vccnz .LBB30_4180
; %bb.4179:
	s_wait_loadcnt 0x0
	global_load_u8 v6, v[18:19], off
	s_mov_b32 s0, 0
	s_delay_alu instid0(SALU_CYCLE_1)
	v_mov_b32_e32 v7, s0
	s_wait_loadcnt 0x0
	v_and_b32_e32 v6, 0xffff, v6
.LBB30_4180:
	s_mov_b32 s5, -1
.LBB30_4181:
	s_delay_alu instid0(SALU_CYCLE_1)
	s_and_not1_b32 vcc_lo, exec_lo, s5
	s_cbranch_vccnz .LBB30_4318
; %bb.4182:
	s_lshl_b32 s64, s52, 7
	s_and_b32 s60, 0xffff, s53
	s_wait_xcnt 0x0
	v_add_nc_u32_e32 v18, s64, v10
	s_cmp_lt_i32 s60, 11
	s_delay_alu instid0(VALU_DEP_1) | instskip(NEXT) | instid1(VALU_DEP_1)
	v_ashrrev_i32_e32 v19, 31, v18
	v_add_nc_u64_e32 v[10:11], s[14:15], v[18:19]
	s_cbranch_scc1 .LBB30_4189
; %bb.4183:
	s_cmp_gt_i32 s60, 25
	s_mov_b32 s1, 0
	s_cbranch_scc0 .LBB30_4190
; %bb.4184:
	s_cmp_gt_i32 s60, 28
	s_cbranch_scc0 .LBB30_4191
; %bb.4185:
	s_cmp_gt_i32 s60, 43
	s_cbranch_scc0 .LBB30_4192
; %bb.4186:
	s_cmp_gt_i32 s60, 45
	s_cbranch_scc0 .LBB30_4194
; %bb.4187:
	s_cmp_eq_u32 s60, 46
	s_mov_b32 s20, 0
	s_cbranch_scc0 .LBB30_4196
; %bb.4188:
	global_load_b32 v9, v[10:11], off
	s_mov_b32 s0, 0
	s_mov_b32 s5, -1
	s_wait_loadcnt 0x0
	v_lshlrev_b32_e32 v9, 16, v9
	s_delay_alu instid0(VALU_DEP_1) | instskip(NEXT) | instid1(VALU_DEP_1)
	v_trunc_f32_e32 v9, v9
	v_mul_f32_e64 v13, 0x2f800000, |v9|
	v_ashrrev_i32_e32 v24, 31, v9
	s_delay_alu instid0(VALU_DEP_2) | instskip(NEXT) | instid1(VALU_DEP_2)
	v_floor_f32_e32 v13, v13
	v_mov_b32_e32 v25, v24
	s_delay_alu instid0(VALU_DEP_2) | instskip(SKIP_1) | instid1(VALU_DEP_2)
	v_fma_f32 v15, 0xcf800000, v13, |v9|
	v_cvt_u32_f32_e32 v9, v13
	v_cvt_u32_f32_e32 v13, v15
	s_delay_alu instid0(VALU_DEP_2) | instskip(NEXT) | instid1(VALU_DEP_2)
	v_xor_b32_e32 v29, v9, v24
	v_xor_b32_e32 v28, v13, v24
	s_delay_alu instid0(VALU_DEP_1)
	v_sub_nc_u64_e32 v[24:25], v[28:29], v[24:25]
	s_branch .LBB30_4198
.LBB30_4189:
	s_mov_b32 s0, -1
	s_mov_b32 s5, 0
                                        ; implicit-def: $vgpr24_vgpr25
	s_branch .LBB30_4260
.LBB30_4190:
	s_mov_b32 s20, -1
	s_mov_b32 s5, 0
	s_mov_b32 s0, 0
                                        ; implicit-def: $vgpr24_vgpr25
	s_branch .LBB30_4225
.LBB30_4191:
	s_mov_b32 s20, -1
	s_mov_b32 s5, 0
	s_mov_b32 s0, 0
                                        ; implicit-def: $vgpr24_vgpr25
	s_branch .LBB30_4208
.LBB30_4192:
	s_mov_b32 s20, -1
	s_mov_b32 s5, 0
	s_mov_b32 s0, 0
                                        ; implicit-def: $vgpr24_vgpr25
	s_branch .LBB30_4203
.LBB30_4193:
	s_or_b32 s44, s44, exec_lo
	s_trap 2
	s_cbranch_execz .LBB30_4130
	s_branch .LBB30_4131
.LBB30_4194:
	s_mov_b32 s20, -1
	s_mov_b32 s5, 0
	s_mov_b32 s0, 0
	s_branch .LBB30_4197
.LBB30_4195:
	s_or_b32 exec_lo, exec_lo, s86
	s_branch .LBB30_2046
.LBB30_4196:
	s_mov_b32 s0, -1
	s_mov_b32 s5, 0
.LBB30_4197:
                                        ; implicit-def: $vgpr24_vgpr25
.LBB30_4198:
	s_and_b32 vcc_lo, exec_lo, s20
	s_cbranch_vccz .LBB30_4202
; %bb.4199:
	s_cmp_eq_u32 s60, 44
	s_cbranch_scc0 .LBB30_4201
; %bb.4200:
	global_load_u8 v9, v[10:11], off
	s_mov_b32 s0, 0
	s_mov_b32 s5, -1
	s_wait_loadcnt 0x0
	v_lshlrev_b32_e32 v13, 23, v9
	v_cmp_ne_u32_e32 vcc_lo, 0, v9
	s_delay_alu instid0(VALU_DEP_2) | instskip(NEXT) | instid1(VALU_DEP_1)
	v_trunc_f32_e32 v13, v13
	v_mul_f32_e64 v15, 0x2f800000, |v13|
	v_ashrrev_i32_e32 v24, 31, v13
	s_delay_alu instid0(VALU_DEP_2) | instskip(NEXT) | instid1(VALU_DEP_2)
	v_floor_f32_e32 v15, v15
	v_mov_b32_e32 v25, v24
	s_delay_alu instid0(VALU_DEP_2) | instskip(SKIP_1) | instid1(VALU_DEP_2)
	v_fma_f32 v17, 0xcf800000, v15, |v13|
	v_cvt_u32_f32_e32 v13, v15
	v_cvt_u32_f32_e32 v15, v17
	s_delay_alu instid0(VALU_DEP_2) | instskip(NEXT) | instid1(VALU_DEP_2)
	v_xor_b32_e32 v29, v13, v24
	v_xor_b32_e32 v28, v15, v24
	s_delay_alu instid0(VALU_DEP_1) | instskip(NEXT) | instid1(VALU_DEP_1)
	v_sub_nc_u64_e32 v[24:25], v[28:29], v[24:25]
	v_dual_cndmask_b32 v25, 0, v25 :: v_dual_cndmask_b32 v24, 0, v24
	s_branch .LBB30_4202
.LBB30_4201:
	s_mov_b32 s0, -1
                                        ; implicit-def: $vgpr24_vgpr25
.LBB30_4202:
	s_mov_b32 s20, 0
.LBB30_4203:
	s_delay_alu instid0(SALU_CYCLE_1)
	s_and_b32 vcc_lo, exec_lo, s20
	s_cbranch_vccz .LBB30_4207
; %bb.4204:
	s_cmp_eq_u32 s60, 29
	s_cbranch_scc0 .LBB30_4206
; %bb.4205:
	global_load_b64 v[24:25], v[10:11], off
	s_mov_b32 s0, 0
	s_mov_b32 s5, -1
	s_branch .LBB30_4207
.LBB30_4206:
	s_mov_b32 s0, -1
                                        ; implicit-def: $vgpr24_vgpr25
.LBB30_4207:
	s_mov_b32 s20, 0
.LBB30_4208:
	s_delay_alu instid0(SALU_CYCLE_1)
	s_and_b32 vcc_lo, exec_lo, s20
	s_cbranch_vccz .LBB30_4224
; %bb.4209:
	s_cmp_lt_i32 s60, 27
	s_cbranch_scc1 .LBB30_4212
; %bb.4210:
	s_cmp_gt_i32 s60, 27
	s_cbranch_scc0 .LBB30_4213
; %bb.4211:
	s_wait_loadcnt 0x0
	global_load_b32 v24, v[10:11], off
	v_mov_b32_e32 v25, 0
	s_mov_b32 s5, 0
	s_branch .LBB30_4214
.LBB30_4212:
	s_mov_b32 s5, -1
                                        ; implicit-def: $vgpr24_vgpr25
	s_branch .LBB30_4217
.LBB30_4213:
	s_mov_b32 s5, -1
                                        ; implicit-def: $vgpr24_vgpr25
.LBB30_4214:
	s_delay_alu instid0(SALU_CYCLE_1)
	s_and_not1_b32 vcc_lo, exec_lo, s5
	s_cbranch_vccnz .LBB30_4216
; %bb.4215:
	global_load_u16 v9, v[10:11], off
	s_mov_b32 s5, 0
	s_wait_loadcnt 0x1
	v_mov_b32_e32 v25, s5
	s_wait_loadcnt 0x0
	v_and_b32_e32 v24, 0xffff, v9
.LBB30_4216:
	s_mov_b32 s5, 0
.LBB30_4217:
	s_delay_alu instid0(SALU_CYCLE_1)
	s_and_not1_b32 vcc_lo, exec_lo, s5
	s_cbranch_vccnz .LBB30_4223
; %bb.4218:
	global_load_u8 v9, v[10:11], off
	s_mov_b32 s20, 0
	s_mov_b32 s5, exec_lo
	s_wait_loadcnt 0x0
	v_cmpx_lt_i16_e32 0x7f, v9
	s_xor_b32 s5, exec_lo, s5
	s_cbranch_execz .LBB30_4235
; %bb.4219:
	v_cmp_ne_u16_e32 vcc_lo, 0x80, v9
	s_and_b32 s20, vcc_lo, exec_lo
	s_and_not1_saveexec_b32 s5, s5
	s_cbranch_execnz .LBB30_4236
.LBB30_4220:
	s_or_b32 exec_lo, exec_lo, s5
	v_mov_b64_e32 v[24:25], 0
	s_and_saveexec_b32 s5, s20
	s_cbranch_execz .LBB30_4222
.LBB30_4221:
	v_and_b32_e32 v13, 0xffff, v9
	v_lshlrev_b32_e32 v9, 24, v9
	s_delay_alu instid0(VALU_DEP_2) | instskip(SKIP_1) | instid1(VALU_DEP_3)
	v_and_b32_e32 v15, 7, v13
	v_bfe_u32 v24, v13, 3, 4
	v_and_b32_e32 v9, 0x80000000, v9
	s_delay_alu instid0(VALU_DEP_3) | instskip(NEXT) | instid1(VALU_DEP_3)
	v_clz_i32_u32_e32 v17, v15
	v_cmp_eq_u32_e32 vcc_lo, 0, v24
	s_delay_alu instid0(VALU_DEP_2) | instskip(NEXT) | instid1(VALU_DEP_1)
	v_min_u32_e32 v17, 32, v17
	v_subrev_nc_u32_e32 v19, 28, v17
	v_sub_nc_u32_e32 v17, 29, v17
	s_delay_alu instid0(VALU_DEP_2) | instskip(NEXT) | instid1(VALU_DEP_2)
	v_lshlrev_b32_e32 v13, v19, v13
	v_cndmask_b32_e32 v17, v24, v17, vcc_lo
	s_delay_alu instid0(VALU_DEP_2) | instskip(NEXT) | instid1(VALU_DEP_1)
	v_and_b32_e32 v13, 7, v13
	v_cndmask_b32_e32 v13, v15, v13, vcc_lo
	s_delay_alu instid0(VALU_DEP_3) | instskip(NEXT) | instid1(VALU_DEP_2)
	v_lshl_add_u32 v15, v17, 23, 0x3b800000
	v_lshlrev_b32_e32 v13, 20, v13
	s_delay_alu instid0(VALU_DEP_1) | instskip(NEXT) | instid1(VALU_DEP_1)
	v_or3_b32 v9, v9, v15, v13
	v_trunc_f32_e32 v9, v9
	s_delay_alu instid0(VALU_DEP_1) | instskip(SKIP_1) | instid1(VALU_DEP_2)
	v_mul_f32_e64 v13, 0x2f800000, |v9|
	v_ashrrev_i32_e32 v24, 31, v9
	v_floor_f32_e32 v13, v13
	s_delay_alu instid0(VALU_DEP_2) | instskip(NEXT) | instid1(VALU_DEP_2)
	v_mov_b32_e32 v25, v24
	v_fma_f32 v15, 0xcf800000, v13, |v9|
	v_cvt_u32_f32_e32 v9, v13
	s_delay_alu instid0(VALU_DEP_2) | instskip(NEXT) | instid1(VALU_DEP_2)
	v_cvt_u32_f32_e32 v13, v15
	v_xor_b32_e32 v29, v9, v24
	s_delay_alu instid0(VALU_DEP_2) | instskip(NEXT) | instid1(VALU_DEP_1)
	v_xor_b32_e32 v28, v13, v24
	v_sub_nc_u64_e32 v[24:25], v[28:29], v[24:25]
.LBB30_4222:
	s_or_b32 exec_lo, exec_lo, s5
.LBB30_4223:
	s_mov_b32 s5, -1
.LBB30_4224:
	s_mov_b32 s20, 0
.LBB30_4225:
	s_delay_alu instid0(SALU_CYCLE_1)
	s_and_b32 vcc_lo, exec_lo, s20
	s_cbranch_vccz .LBB30_4256
; %bb.4226:
	s_cmp_gt_i32 s60, 22
	s_cbranch_scc0 .LBB30_4234
; %bb.4227:
	s_cmp_lt_i32 s60, 24
	s_cbranch_scc1 .LBB30_4237
; %bb.4228:
	s_cmp_gt_i32 s60, 24
	s_cbranch_scc0 .LBB30_4238
; %bb.4229:
	global_load_u8 v9, v[10:11], off
	s_mov_b32 s5, 0
	s_mov_b32 s1, exec_lo
	s_wait_loadcnt 0x0
	v_cmpx_lt_i16_e32 0x7f, v9
	s_xor_b32 s1, exec_lo, s1
	s_cbranch_execz .LBB30_4250
; %bb.4230:
	v_cmp_ne_u16_e32 vcc_lo, 0x80, v9
	s_and_b32 s5, vcc_lo, exec_lo
	s_and_not1_saveexec_b32 s1, s1
	s_cbranch_execnz .LBB30_4251
.LBB30_4231:
	s_or_b32 exec_lo, exec_lo, s1
	v_mov_b64_e32 v[24:25], 0
	s_and_saveexec_b32 s1, s5
	s_cbranch_execz .LBB30_4233
.LBB30_4232:
	v_and_b32_e32 v13, 0xffff, v9
	v_lshlrev_b32_e32 v9, 24, v9
	s_delay_alu instid0(VALU_DEP_2) | instskip(SKIP_1) | instid1(VALU_DEP_3)
	v_and_b32_e32 v15, 3, v13
	v_bfe_u32 v24, v13, 2, 5
	v_and_b32_e32 v9, 0x80000000, v9
	s_delay_alu instid0(VALU_DEP_3) | instskip(NEXT) | instid1(VALU_DEP_3)
	v_clz_i32_u32_e32 v17, v15
	v_cmp_eq_u32_e32 vcc_lo, 0, v24
	s_delay_alu instid0(VALU_DEP_2) | instskip(NEXT) | instid1(VALU_DEP_1)
	v_min_u32_e32 v17, 32, v17
	v_subrev_nc_u32_e32 v19, 29, v17
	v_sub_nc_u32_e32 v17, 30, v17
	s_delay_alu instid0(VALU_DEP_2) | instskip(NEXT) | instid1(VALU_DEP_2)
	v_lshlrev_b32_e32 v13, v19, v13
	v_cndmask_b32_e32 v17, v24, v17, vcc_lo
	s_delay_alu instid0(VALU_DEP_2) | instskip(NEXT) | instid1(VALU_DEP_1)
	v_and_b32_e32 v13, 3, v13
	v_cndmask_b32_e32 v13, v15, v13, vcc_lo
	s_delay_alu instid0(VALU_DEP_3) | instskip(NEXT) | instid1(VALU_DEP_2)
	v_lshl_add_u32 v15, v17, 23, 0x37800000
	v_lshlrev_b32_e32 v13, 21, v13
	s_delay_alu instid0(VALU_DEP_1) | instskip(NEXT) | instid1(VALU_DEP_1)
	v_or3_b32 v9, v9, v15, v13
	v_trunc_f32_e32 v9, v9
	s_delay_alu instid0(VALU_DEP_1) | instskip(SKIP_1) | instid1(VALU_DEP_2)
	v_mul_f32_e64 v13, 0x2f800000, |v9|
	v_ashrrev_i32_e32 v24, 31, v9
	v_floor_f32_e32 v13, v13
	s_delay_alu instid0(VALU_DEP_2) | instskip(NEXT) | instid1(VALU_DEP_2)
	v_mov_b32_e32 v25, v24
	v_fma_f32 v15, 0xcf800000, v13, |v9|
	v_cvt_u32_f32_e32 v9, v13
	s_delay_alu instid0(VALU_DEP_2) | instskip(NEXT) | instid1(VALU_DEP_2)
	v_cvt_u32_f32_e32 v13, v15
	v_xor_b32_e32 v29, v9, v24
	s_delay_alu instid0(VALU_DEP_2) | instskip(NEXT) | instid1(VALU_DEP_1)
	v_xor_b32_e32 v28, v13, v24
	v_sub_nc_u64_e32 v[24:25], v[28:29], v[24:25]
.LBB30_4233:
	s_or_b32 exec_lo, exec_lo, s1
	s_mov_b32 s1, 0
	s_branch .LBB30_4239
.LBB30_4234:
	s_mov_b32 s1, -1
                                        ; implicit-def: $vgpr24_vgpr25
	s_branch .LBB30_4245
.LBB30_4235:
	s_and_not1_saveexec_b32 s5, s5
	s_cbranch_execz .LBB30_4220
.LBB30_4236:
	v_cmp_ne_u16_e32 vcc_lo, 0, v9
	s_and_not1_b32 s20, s20, exec_lo
	s_and_b32 s21, vcc_lo, exec_lo
	s_delay_alu instid0(SALU_CYCLE_1)
	s_or_b32 s20, s20, s21
	s_or_b32 exec_lo, exec_lo, s5
	v_mov_b64_e32 v[24:25], 0
	s_and_saveexec_b32 s5, s20
	s_cbranch_execnz .LBB30_4221
	s_branch .LBB30_4222
.LBB30_4237:
	s_mov_b32 s1, -1
                                        ; implicit-def: $vgpr24_vgpr25
	s_branch .LBB30_4242
.LBB30_4238:
	s_mov_b32 s1, -1
                                        ; implicit-def: $vgpr24_vgpr25
.LBB30_4239:
	s_delay_alu instid0(SALU_CYCLE_1)
	s_and_b32 vcc_lo, exec_lo, s1
	s_cbranch_vccz .LBB30_4241
; %bb.4240:
	global_load_u8 v9, v[10:11], off
	s_wait_loadcnt 0x0
	v_lshlrev_b32_e32 v9, 24, v9
	s_delay_alu instid0(VALU_DEP_1) | instskip(NEXT) | instid1(VALU_DEP_1)
	v_and_b32_e32 v13, 0x7f000000, v9
	v_clz_i32_u32_e32 v15, v13
	v_cmp_ne_u32_e32 vcc_lo, 0, v13
	v_add_nc_u32_e32 v19, 0x1000000, v13
	s_delay_alu instid0(VALU_DEP_3) | instskip(NEXT) | instid1(VALU_DEP_1)
	v_min_u32_e32 v15, 32, v15
	v_sub_nc_u32_e64 v15, v15, 4 clamp
	s_delay_alu instid0(VALU_DEP_1) | instskip(NEXT) | instid1(VALU_DEP_1)
	v_dual_lshlrev_b32 v17, v15, v13 :: v_dual_lshlrev_b32 v15, 23, v15
	v_lshrrev_b32_e32 v17, 4, v17
	s_delay_alu instid0(VALU_DEP_1) | instskip(SKIP_1) | instid1(VALU_DEP_2)
	v_sub_nc_u32_e32 v15, v17, v15
	v_ashrrev_i32_e32 v17, 8, v19
	v_add_nc_u32_e32 v15, 0x3c000000, v15
	s_delay_alu instid0(VALU_DEP_1) | instskip(NEXT) | instid1(VALU_DEP_1)
	v_and_or_b32 v15, 0x7f800000, v17, v15
	v_cndmask_b32_e32 v13, 0, v15, vcc_lo
	s_delay_alu instid0(VALU_DEP_1) | instskip(NEXT) | instid1(VALU_DEP_1)
	v_and_or_b32 v9, 0x80000000, v9, v13
	v_trunc_f32_e32 v9, v9
	s_delay_alu instid0(VALU_DEP_1) | instskip(SKIP_1) | instid1(VALU_DEP_2)
	v_mul_f32_e64 v13, 0x2f800000, |v9|
	v_ashrrev_i32_e32 v24, 31, v9
	v_floor_f32_e32 v13, v13
	s_delay_alu instid0(VALU_DEP_2) | instskip(NEXT) | instid1(VALU_DEP_2)
	v_mov_b32_e32 v25, v24
	v_fma_f32 v15, 0xcf800000, v13, |v9|
	v_cvt_u32_f32_e32 v9, v13
	s_delay_alu instid0(VALU_DEP_2) | instskip(NEXT) | instid1(VALU_DEP_2)
	v_cvt_u32_f32_e32 v13, v15
	v_xor_b32_e32 v29, v9, v24
	s_delay_alu instid0(VALU_DEP_2) | instskip(NEXT) | instid1(VALU_DEP_1)
	v_xor_b32_e32 v28, v13, v24
	v_sub_nc_u64_e32 v[24:25], v[28:29], v[24:25]
.LBB30_4241:
	s_mov_b32 s1, 0
.LBB30_4242:
	s_delay_alu instid0(SALU_CYCLE_1)
	s_and_not1_b32 vcc_lo, exec_lo, s1
	s_cbranch_vccnz .LBB30_4244
; %bb.4243:
	global_load_u8 v9, v[10:11], off
	s_wait_loadcnt 0x0
	v_lshlrev_b32_e32 v13, 25, v9
	v_lshlrev_b16 v9, 8, v9
	s_delay_alu instid0(VALU_DEP_2) | instskip(NEXT) | instid1(VALU_DEP_2)
	v_lshrrev_b32_e32 v15, 4, v13
	v_and_or_b32 v17, 0x7f00, v9, 0.5
	v_cmp_gt_u32_e32 vcc_lo, 0x8000000, v13
	v_bfe_i32 v9, v9, 0, 16
	s_delay_alu instid0(VALU_DEP_4) | instskip(NEXT) | instid1(VALU_DEP_4)
	v_or_b32_e32 v15, 0x70000000, v15
	v_add_f32_e32 v17, -0.5, v17
	s_delay_alu instid0(VALU_DEP_2) | instskip(NEXT) | instid1(VALU_DEP_1)
	v_mul_f32_e32 v15, 0x7800000, v15
	v_cndmask_b32_e32 v13, v15, v17, vcc_lo
	s_delay_alu instid0(VALU_DEP_1) | instskip(NEXT) | instid1(VALU_DEP_1)
	v_and_or_b32 v9, 0x80000000, v9, v13
	v_trunc_f32_e32 v9, v9
	s_delay_alu instid0(VALU_DEP_1) | instskip(SKIP_1) | instid1(VALU_DEP_2)
	v_mul_f32_e64 v13, 0x2f800000, |v9|
	v_ashrrev_i32_e32 v24, 31, v9
	v_floor_f32_e32 v13, v13
	s_delay_alu instid0(VALU_DEP_2) | instskip(NEXT) | instid1(VALU_DEP_2)
	v_mov_b32_e32 v25, v24
	v_fma_f32 v15, 0xcf800000, v13, |v9|
	v_cvt_u32_f32_e32 v9, v13
	s_delay_alu instid0(VALU_DEP_2) | instskip(NEXT) | instid1(VALU_DEP_2)
	v_cvt_u32_f32_e32 v13, v15
	v_xor_b32_e32 v29, v9, v24
	s_delay_alu instid0(VALU_DEP_2) | instskip(NEXT) | instid1(VALU_DEP_1)
	v_xor_b32_e32 v28, v13, v24
	v_sub_nc_u64_e32 v[24:25], v[28:29], v[24:25]
.LBB30_4244:
	s_mov_b32 s1, 0
	s_mov_b32 s5, -1
.LBB30_4245:
	s_and_not1_b32 vcc_lo, exec_lo, s1
	s_mov_b32 s1, 0
	s_cbranch_vccnz .LBB30_4256
; %bb.4246:
	s_cmp_gt_i32 s60, 14
	s_cbranch_scc0 .LBB30_4249
; %bb.4247:
	s_cmp_eq_u32 s60, 15
	s_cbranch_scc0 .LBB30_4252
; %bb.4248:
	global_load_u16 v9, v[10:11], off
	s_mov_b32 s0, 0
	s_mov_b32 s5, -1
	s_wait_loadcnt 0x0
	v_lshlrev_b32_e32 v9, 16, v9
	s_delay_alu instid0(VALU_DEP_1) | instskip(NEXT) | instid1(VALU_DEP_1)
	v_trunc_f32_e32 v9, v9
	v_mul_f32_e64 v13, 0x2f800000, |v9|
	v_ashrrev_i32_e32 v24, 31, v9
	s_delay_alu instid0(VALU_DEP_2) | instskip(NEXT) | instid1(VALU_DEP_2)
	v_floor_f32_e32 v13, v13
	v_mov_b32_e32 v25, v24
	s_delay_alu instid0(VALU_DEP_2) | instskip(SKIP_1) | instid1(VALU_DEP_2)
	v_fma_f32 v15, 0xcf800000, v13, |v9|
	v_cvt_u32_f32_e32 v9, v13
	v_cvt_u32_f32_e32 v13, v15
	s_delay_alu instid0(VALU_DEP_2) | instskip(NEXT) | instid1(VALU_DEP_2)
	v_xor_b32_e32 v29, v9, v24
	v_xor_b32_e32 v28, v13, v24
	s_delay_alu instid0(VALU_DEP_1)
	v_sub_nc_u64_e32 v[24:25], v[28:29], v[24:25]
	s_branch .LBB30_4254
.LBB30_4249:
	s_mov_b32 s1, -1
	s_branch .LBB30_4253
.LBB30_4250:
	s_and_not1_saveexec_b32 s1, s1
	s_cbranch_execz .LBB30_4231
.LBB30_4251:
	v_cmp_ne_u16_e32 vcc_lo, 0, v9
	s_and_not1_b32 s5, s5, exec_lo
	s_and_b32 s20, vcc_lo, exec_lo
	s_delay_alu instid0(SALU_CYCLE_1)
	s_or_b32 s5, s5, s20
	s_or_b32 exec_lo, exec_lo, s1
	v_mov_b64_e32 v[24:25], 0
	s_and_saveexec_b32 s1, s5
	s_cbranch_execnz .LBB30_4232
	s_branch .LBB30_4233
.LBB30_4252:
	s_mov_b32 s0, -1
.LBB30_4253:
                                        ; implicit-def: $vgpr24_vgpr25
.LBB30_4254:
	s_and_b32 vcc_lo, exec_lo, s1
	s_mov_b32 s1, 0
	s_cbranch_vccz .LBB30_4256
; %bb.4255:
	s_cmp_lg_u32 s60, 11
	s_mov_b32 s1, -1
	s_cselect_b32 s0, -1, 0
.LBB30_4256:
	s_delay_alu instid0(SALU_CYCLE_1)
	s_and_b32 vcc_lo, exec_lo, s0
	s_cbranch_vccnz .LBB30_4344
; %bb.4257:
	s_and_not1_b32 vcc_lo, exec_lo, s1
	s_cbranch_vccnz .LBB30_4259
.LBB30_4258:
	global_load_u8 v9, v[10:11], off
	s_mov_b32 s0, 0
	s_mov_b32 s5, -1
	s_wait_loadcnt 0x1
	v_mov_b32_e32 v25, s0
	s_wait_loadcnt 0x0
	v_cmp_ne_u16_e32 vcc_lo, 0, v9
	v_cndmask_b32_e64 v24, 0, 1, vcc_lo
.LBB30_4259:
	s_mov_b32 s0, 0
.LBB30_4260:
	s_delay_alu instid0(SALU_CYCLE_1)
	s_and_b32 vcc_lo, exec_lo, s0
	s_cbranch_vccz .LBB30_4309
; %bb.4261:
	s_cmp_lt_i32 s60, 5
	s_cbranch_scc1 .LBB30_4266
; %bb.4262:
	s_cmp_lt_i32 s60, 8
	s_cbranch_scc1 .LBB30_4267
	;; [unrolled: 3-line block ×3, first 2 shown]
; %bb.4264:
	s_cmp_gt_i32 s60, 9
	s_cbranch_scc0 .LBB30_4269
; %bb.4265:
	s_wait_loadcnt 0x0
	global_load_b64 v[24:25], v[10:11], off
	s_mov_b32 s0, 0
	s_wait_loadcnt 0x0
	v_trunc_f64_e32 v[24:25], v[24:25]
	s_delay_alu instid0(VALU_DEP_1) | instskip(NEXT) | instid1(VALU_DEP_1)
	v_ldexp_f64 v[28:29], v[24:25], 0xffffffe0
	v_floor_f64_e32 v[28:29], v[28:29]
	s_delay_alu instid0(VALU_DEP_1) | instskip(SKIP_1) | instid1(VALU_DEP_2)
	v_fmamk_f64 v[30:31], v[28:29], 0xc1f00000, v[24:25]
	v_cvt_i32_f64_e32 v25, v[28:29]
	v_cvt_u32_f64_e32 v24, v[30:31]
	s_branch .LBB30_4270
.LBB30_4266:
	s_mov_b32 s0, -1
                                        ; implicit-def: $vgpr24_vgpr25
	s_branch .LBB30_4288
.LBB30_4267:
	s_mov_b32 s0, -1
                                        ; implicit-def: $vgpr24_vgpr25
	s_branch .LBB30_4276
.LBB30_4268:
	s_mov_b32 s0, -1
                                        ; implicit-def: $vgpr24_vgpr25
	s_branch .LBB30_4273
.LBB30_4269:
	s_mov_b32 s0, -1
                                        ; implicit-def: $vgpr24_vgpr25
.LBB30_4270:
	s_delay_alu instid0(SALU_CYCLE_1)
	s_and_not1_b32 vcc_lo, exec_lo, s0
	s_cbranch_vccnz .LBB30_4272
; %bb.4271:
	global_load_b32 v9, v[10:11], off
	s_wait_loadcnt 0x0
	v_trunc_f32_e32 v9, v9
	s_delay_alu instid0(VALU_DEP_1) | instskip(SKIP_1) | instid1(VALU_DEP_2)
	v_mul_f32_e64 v13, 0x2f800000, |v9|
	v_ashrrev_i32_e32 v24, 31, v9
	v_floor_f32_e32 v13, v13
	s_delay_alu instid0(VALU_DEP_1) | instskip(SKIP_1) | instid1(VALU_DEP_4)
	v_fma_f32 v15, 0xcf800000, v13, |v9|
	v_cvt_u32_f32_e32 v9, v13
	v_mov_b32_e32 v25, v24
	s_delay_alu instid0(VALU_DEP_3) | instskip(NEXT) | instid1(VALU_DEP_3)
	v_cvt_u32_f32_e32 v13, v15
	v_xor_b32_e32 v29, v9, v24
	s_delay_alu instid0(VALU_DEP_2) | instskip(NEXT) | instid1(VALU_DEP_1)
	v_xor_b32_e32 v28, v13, v24
	v_sub_nc_u64_e32 v[24:25], v[28:29], v[24:25]
.LBB30_4272:
	s_mov_b32 s0, 0
.LBB30_4273:
	s_delay_alu instid0(SALU_CYCLE_1)
	s_and_not1_b32 vcc_lo, exec_lo, s0
	s_cbranch_vccnz .LBB30_4275
; %bb.4274:
	global_load_b32 v9, v[10:11], off
	s_wait_loadcnt 0x0
	v_cvt_f32_f16_e32 v9, v9
	s_delay_alu instid0(VALU_DEP_1) | instskip(NEXT) | instid1(VALU_DEP_1)
	v_cvt_i32_f32_e32 v24, v9
	v_ashrrev_i32_e32 v25, 31, v24
.LBB30_4275:
	s_mov_b32 s0, 0
.LBB30_4276:
	s_delay_alu instid0(SALU_CYCLE_1)
	s_and_not1_b32 vcc_lo, exec_lo, s0
	s_cbranch_vccnz .LBB30_4287
; %bb.4277:
	s_cmp_lt_i32 s60, 6
	s_cbranch_scc1 .LBB30_4280
; %bb.4278:
	s_cmp_gt_i32 s60, 6
	s_cbranch_scc0 .LBB30_4281
; %bb.4279:
	s_wait_loadcnt 0x0
	global_load_b64 v[24:25], v[10:11], off
	s_mov_b32 s0, 0
	s_wait_loadcnt 0x0
	v_trunc_f64_e32 v[24:25], v[24:25]
	s_delay_alu instid0(VALU_DEP_1) | instskip(NEXT) | instid1(VALU_DEP_1)
	v_ldexp_f64 v[28:29], v[24:25], 0xffffffe0
	v_floor_f64_e32 v[28:29], v[28:29]
	s_delay_alu instid0(VALU_DEP_1) | instskip(SKIP_1) | instid1(VALU_DEP_2)
	v_fmamk_f64 v[30:31], v[28:29], 0xc1f00000, v[24:25]
	v_cvt_i32_f64_e32 v25, v[28:29]
	v_cvt_u32_f64_e32 v24, v[30:31]
	s_branch .LBB30_4282
.LBB30_4280:
	s_mov_b32 s0, -1
                                        ; implicit-def: $vgpr24_vgpr25
	s_branch .LBB30_4285
.LBB30_4281:
	s_mov_b32 s0, -1
                                        ; implicit-def: $vgpr24_vgpr25
.LBB30_4282:
	s_delay_alu instid0(SALU_CYCLE_1)
	s_and_not1_b32 vcc_lo, exec_lo, s0
	s_cbranch_vccnz .LBB30_4284
; %bb.4283:
	global_load_b32 v9, v[10:11], off
	s_wait_loadcnt 0x0
	v_trunc_f32_e32 v9, v9
	s_delay_alu instid0(VALU_DEP_1) | instskip(SKIP_1) | instid1(VALU_DEP_2)
	v_mul_f32_e64 v13, 0x2f800000, |v9|
	v_ashrrev_i32_e32 v24, 31, v9
	v_floor_f32_e32 v13, v13
	s_delay_alu instid0(VALU_DEP_1) | instskip(SKIP_1) | instid1(VALU_DEP_4)
	v_fma_f32 v15, 0xcf800000, v13, |v9|
	v_cvt_u32_f32_e32 v9, v13
	v_mov_b32_e32 v25, v24
	s_delay_alu instid0(VALU_DEP_3) | instskip(NEXT) | instid1(VALU_DEP_3)
	v_cvt_u32_f32_e32 v13, v15
	v_xor_b32_e32 v29, v9, v24
	s_delay_alu instid0(VALU_DEP_2) | instskip(NEXT) | instid1(VALU_DEP_1)
	v_xor_b32_e32 v28, v13, v24
	v_sub_nc_u64_e32 v[24:25], v[28:29], v[24:25]
.LBB30_4284:
	s_mov_b32 s0, 0
.LBB30_4285:
	s_delay_alu instid0(SALU_CYCLE_1)
	s_and_not1_b32 vcc_lo, exec_lo, s0
	s_cbranch_vccnz .LBB30_4287
; %bb.4286:
	global_load_u16 v9, v[10:11], off
	s_wait_loadcnt 0x0
	v_cvt_f32_f16_e32 v9, v9
	s_delay_alu instid0(VALU_DEP_1) | instskip(NEXT) | instid1(VALU_DEP_1)
	v_cvt_i32_f32_e32 v24, v9
	v_ashrrev_i32_e32 v25, 31, v24
.LBB30_4287:
	s_mov_b32 s0, 0
.LBB30_4288:
	s_delay_alu instid0(SALU_CYCLE_1)
	s_and_not1_b32 vcc_lo, exec_lo, s0
	s_cbranch_vccnz .LBB30_4308
; %bb.4289:
	s_cmp_lt_i32 s60, 2
	s_cbranch_scc1 .LBB30_4293
; %bb.4290:
	s_cmp_lt_i32 s60, 3
	s_cbranch_scc1 .LBB30_4294
; %bb.4291:
	s_cmp_gt_i32 s60, 3
	s_cbranch_scc0 .LBB30_4295
; %bb.4292:
	s_wait_loadcnt 0x0
	global_load_b64 v[24:25], v[10:11], off
	s_mov_b32 s0, 0
	s_branch .LBB30_4296
.LBB30_4293:
	s_mov_b32 s0, -1
                                        ; implicit-def: $vgpr24_vgpr25
	s_branch .LBB30_4302
.LBB30_4294:
	s_mov_b32 s0, -1
                                        ; implicit-def: $vgpr24_vgpr25
	s_branch .LBB30_4299
.LBB30_4295:
	s_mov_b32 s0, -1
                                        ; implicit-def: $vgpr24_vgpr25
.LBB30_4296:
	s_delay_alu instid0(SALU_CYCLE_1)
	s_and_not1_b32 vcc_lo, exec_lo, s0
	s_cbranch_vccnz .LBB30_4298
; %bb.4297:
	s_wait_loadcnt 0x0
	global_load_b32 v24, v[10:11], off
	s_wait_loadcnt 0x0
	v_ashrrev_i32_e32 v25, 31, v24
.LBB30_4298:
	s_mov_b32 s0, 0
.LBB30_4299:
	s_delay_alu instid0(SALU_CYCLE_1)
	s_and_not1_b32 vcc_lo, exec_lo, s0
	s_cbranch_vccnz .LBB30_4301
; %bb.4300:
	global_load_u16 v9, v[10:11], off
	s_wait_loadcnt 0x0
	v_bfe_i32 v24, v9, 0, 16
	s_delay_alu instid0(VALU_DEP_1)
	v_ashrrev_i32_e32 v25, 31, v24
.LBB30_4301:
	s_mov_b32 s0, 0
.LBB30_4302:
	s_delay_alu instid0(SALU_CYCLE_1)
	s_and_not1_b32 vcc_lo, exec_lo, s0
	s_cbranch_vccnz .LBB30_4308
; %bb.4303:
	s_cmp_gt_i32 s60, 0
	s_mov_b32 s0, 0
	s_cbranch_scc0 .LBB30_4305
; %bb.4304:
	global_load_i8 v9, v[10:11], off
	s_wait_loadcnt 0x0
	v_bfe_i32 v24, v9, 0, 16
	s_delay_alu instid0(VALU_DEP_1)
	v_ashrrev_i32_e32 v25, 31, v24
	s_branch .LBB30_4306
.LBB30_4305:
	s_mov_b32 s0, -1
                                        ; implicit-def: $vgpr24_vgpr25
.LBB30_4306:
	s_delay_alu instid0(SALU_CYCLE_1)
	s_and_not1_b32 vcc_lo, exec_lo, s0
	s_cbranch_vccnz .LBB30_4308
; %bb.4307:
	global_load_u8 v9, v[10:11], off
	s_mov_b32 s0, 0
	s_wait_loadcnt 0x1
	v_mov_b32_e32 v25, s0
	s_wait_loadcnt 0x0
	v_and_b32_e32 v24, 0xffff, v9
.LBB30_4308:
	s_mov_b32 s5, -1
.LBB30_4309:
	s_delay_alu instid0(SALU_CYCLE_1)
	s_and_not1_b32 vcc_lo, exec_lo, s5
	s_cbranch_vccnz .LBB30_4318
; %bb.4310:
	s_mov_b32 s0, exec_lo
	s_wait_xcnt 0x0
	v_cmpx_ne_u64_e64 v[20:21], v[0:1]
	s_xor_b32 s0, exec_lo, s0
	s_cbranch_execnz .LBB30_4478
.LBB30_4311:
	s_or_saveexec_b32 s48, s0
	s_mov_b32 s1, 0
	s_mov_b32 s5, 0
                                        ; implicit-def: $vgpr20_vgpr21
                                        ; implicit-def: $sgpr0
	s_xor_b32 exec_lo, exec_lo, s48
	s_cbranch_execz .LBB30_4989
; %bb.4312:
	s_mov_b32 s49, s44
	s_mov_b32 s0, exec_lo
	v_cmpx_ne_u64_e64 v[22:23], v[2:3]
	s_xor_b32 s0, exec_lo, s0
	s_cbranch_execnz .LBB30_4606
; %bb.4313:
	s_or_saveexec_b32 s50, s0
                                        ; implicit-def: $vgpr20_vgpr21
                                        ; implicit-def: $sgpr0
	s_delay_alu instid0(SALU_CYCLE_1)
	s_xor_b32 exec_lo, exec_lo, s50
	s_cbranch_execz .LBB30_4988
.LBB30_4314:
	s_wait_loadcnt 0x0
	v_sub_nc_u64_e32 v[10:11], v[6:7], v[4:5]
	s_mov_b32 s51, s49
	s_delay_alu instid0(VALU_DEP_1) | instskip(SKIP_2) | instid1(SALU_CYCLE_1)
	v_cmp_gt_i64_e32 vcc_lo, v[0:1], v[10:11]
	v_cmp_lt_i64_e64 s0, s[16:17], v[10:11]
	s_or_b32 s0, vcc_lo, s0
	s_and_saveexec_b32 s1, s0
	s_delay_alu instid0(SALU_CYCLE_1)
	s_xor_b32 s0, exec_lo, s1
	s_cbranch_execnz .LBB30_4734
; %bb.4315:
	s_or_saveexec_b32 s52, s0
	s_mov_b32 s1, 0
                                        ; implicit-def: $vgpr20_vgpr21
                                        ; implicit-def: $sgpr0
	s_xor_b32 exec_lo, exec_lo, s52
	s_cbranch_execz .LBB30_4987
.LBB30_4316:
	v_mov_b64_e32 v[10:11], 0
	s_and_saveexec_b32 s53, s47
	s_cbranch_execz .LBB30_4329
; %bb.4317:
	v_mul_u64_e32 v[22:23], v[24:25], v[2:3]
	s_mov_b32 s5, s1
	v_mov_b64_e32 v[10:11], 0
	s_lshl_b64 s[22:23], s[4:5], 3
	v_mov_b32_e32 v20, 0
	s_add_nc_u64 s[22:23], s[28:29], s[22:23]
	s_mov_b64 s[20:21], 0xffffffff
	s_add_nc_u64 s[22:23], s[22:23], 0x68
	s_mov_b32 s5, s45
	s_branch .LBB30_4325
.LBB30_4318:
	s_mov_b32 s1, 0
	s_mov_b32 s5, 0
                                        ; implicit-def: $vgpr20_vgpr21
                                        ; implicit-def: $sgpr0
.LBB30_4319:
	s_and_not1_b32 s2, s42, exec_lo
	s_and_b32 s3, s44, exec_lo
	s_and_b32 s5, s5, exec_lo
	;; [unrolled: 1-line block ×3, first 2 shown]
	s_or_b32 s42, s2, s3
.LBB30_4320:
	s_wait_xcnt 0x0
	s_or_b32 exec_lo, exec_lo, s43
	s_delay_alu instid0(SALU_CYCLE_1)
	s_and_not1_b32 s2, s40, exec_lo
	s_and_b32 s3, s42, exec_lo
	s_and_b32 s4, s5, exec_lo
	;; [unrolled: 1-line block ×3, first 2 shown]
	s_or_b32 s40, s2, s3
.LBB30_4321:
	s_or_b32 exec_lo, exec_lo, s41
	s_delay_alu instid0(SALU_CYCLE_1)
	s_and_not1_b32 s2, s38, exec_lo
	s_and_b32 s3, s40, exec_lo
	s_and_b32 s4, s4, exec_lo
	;; [unrolled: 1-line block ×3, first 2 shown]
	s_or_b32 s38, s2, s3
.LBB30_4322:
	s_or_b32 exec_lo, exec_lo, s39
	s_delay_alu instid0(SALU_CYCLE_1)
	s_and_not1_b32 s2, s36, exec_lo
	s_and_b32 s3, s38, exec_lo
	s_and_b32 s4, s4, exec_lo
	s_and_b32 s1, s1, exec_lo
	s_or_b32 s36, s2, s3
.LBB30_4323:
	s_or_b32 exec_lo, exec_lo, s37
	s_branch .LBB30_3435
.LBB30_4324:                            ;   in Loop: Header=BB30_4325 Depth=1
	s_or_b32 exec_lo, exec_lo, s0
	s_delay_alu instid0(VALU_DEP_1)
	v_mul_u64_e32 v[28:29], s[24:25], v[24:25]
	s_load_b64 s[24:25], s[22:23], 0x40
	s_add_co_i32 s5, s5, -1
	s_wait_xcnt 0x0
	s_add_nc_u64 s[22:23], s[22:23], -8
	s_cmp_eq_u32 s5, 0
	s_delay_alu instid0(VALU_DEP_1) | instskip(SKIP_1) | instid1(VALU_DEP_1)
	v_sub_nc_u64_e32 v[22:23], v[22:23], v[28:29]
	s_wait_kmcnt 0x0
	v_mad_nc_u64_u32 v[10:11], v22, s24, v[10:11]
	s_delay_alu instid0(VALU_DEP_1) | instskip(NEXT) | instid1(VALU_DEP_1)
	v_mad_u32 v9, v23, s24, v11
	v_mad_u32 v11, v22, s25, v9
	v_mov_b64_e32 v[22:23], v[24:25]
	s_cbranch_scc1 .LBB30_4329
.LBB30_4325:                            ; =>This Inner Loop Header: Depth=1
	s_load_b64 s[24:25], s[22:23], 0x0
                                        ; implicit-def: $vgpr24_vgpr25
	s_mov_b32 s0, exec_lo
	s_wait_kmcnt 0x0
	s_delay_alu instid0(VALU_DEP_1) | instskip(NEXT) | instid1(VALU_DEP_1)
	v_or_b32_e32 v21, s25, v23
	v_cmpx_ne_u64_e32 0, v[20:21]
	s_xor_b32 s54, exec_lo, s0
	s_cbranch_execz .LBB30_4327
; %bb.4326:                             ;   in Loop: Header=BB30_4325 Depth=1
	s_ashr_i32 s26, s25, 31
	v_dual_mov_b32 v31, v20 :: v_dual_ashrrev_i32 v24, 31, v23
	s_mov_b32 s27, s26
	v_mov_b32_e32 v35, v20
	s_add_nc_u64 s[30:31], s[24:25], s[26:27]
	s_delay_alu instid0(VALU_DEP_2)
	v_mov_b32_e32 v25, v24
	s_xor_b64 s[30:31], s[30:31], s[26:27]
	v_mov_b32_e32 v39, v20
	s_cvt_f32_u32 s0, s30
	s_cvt_f32_u32 s27, s31
	s_sub_nc_u64 s[68:69], 0, s[30:31]
	v_add_nc_u64_e32 v[28:29], v[22:23], v[24:25]
	s_delay_alu instid0(SALU_CYCLE_1) | instskip(NEXT) | instid1(SALU_CYCLE_3)
	s_fmamk_f32 s0, s27, 0x4f800000, s0
	v_s_rcp_f32 s0, s0
	s_delay_alu instid0(VALU_DEP_1) | instskip(NEXT) | instid1(VALU_DEP_2)
	v_xor_b32_e32 v34, v29, v24
	v_xor_b32_e32 v30, v28, v24
	s_delay_alu instid0(TRANS32_DEP_1) | instskip(NEXT) | instid1(SALU_CYCLE_3)
	s_mul_f32 s0, s0, 0x5f7ffffc
	s_mul_f32 s27, s0, 0x2f800000
	s_delay_alu instid0(SALU_CYCLE_3) | instskip(NEXT) | instid1(SALU_CYCLE_3)
	s_trunc_f32 s27, s27
	s_fmamk_f32 s0, s27, 0xcf800000, s0
	s_cvt_u32_f32 s67, s27
	s_delay_alu instid0(SALU_CYCLE_2) | instskip(NEXT) | instid1(SALU_CYCLE_3)
	s_cvt_u32_f32 s66, s0
	s_mul_u64 s[70:71], s[68:69], s[66:67]
	s_delay_alu instid0(SALU_CYCLE_1)
	s_mul_hi_u32 s73, s66, s71
	s_mul_i32 s72, s66, s71
	s_mul_hi_u32 s0, s66, s70
	s_mul_i32 s65, s67, s70
	s_add_nc_u64 s[72:73], s[0:1], s[72:73]
	s_mul_hi_u32 s27, s67, s70
	s_mul_hi_u32 s74, s67, s71
	s_add_co_u32 s0, s72, s65
	s_add_co_ci_u32 s0, s73, s27
	s_mul_i32 s70, s67, s71
	s_add_co_ci_u32 s71, s74, 0
	s_delay_alu instid0(SALU_CYCLE_1) | instskip(NEXT) | instid1(SALU_CYCLE_1)
	s_add_nc_u64 s[70:71], s[0:1], s[70:71]
	s_add_co_u32 s66, s66, s70
	s_cselect_b32 s0, -1, 0
	s_delay_alu instid0(SALU_CYCLE_1) | instskip(SKIP_1) | instid1(SALU_CYCLE_1)
	s_cmp_lg_u32 s0, 0
	s_add_co_ci_u32 s67, s67, s71
	s_mul_u64 s[68:69], s[68:69], s[66:67]
	s_delay_alu instid0(SALU_CYCLE_1)
	s_mul_hi_u32 s71, s66, s69
	s_mul_i32 s70, s66, s69
	s_mul_hi_u32 s0, s66, s68
	s_mul_i32 s65, s67, s68
	s_add_nc_u64 s[70:71], s[0:1], s[70:71]
	s_mul_hi_u32 s27, s67, s68
	s_mul_hi_u32 s72, s67, s69
	s_add_co_u32 s0, s70, s65
	s_add_co_ci_u32 s0, s71, s27
	s_mul_i32 s68, s67, s69
	s_add_co_ci_u32 s69, s72, 0
	s_delay_alu instid0(SALU_CYCLE_1) | instskip(NEXT) | instid1(SALU_CYCLE_1)
	s_add_nc_u64 s[68:69], s[0:1], s[68:69]
	s_add_co_u32 s66, s66, s68
	s_cselect_b32 s0, -1, 0
	v_mul_hi_u32 v38, v30, s66
	s_cmp_lg_u32 s0, 0
	s_add_co_ci_u32 s0, s67, s69
	s_and_b64 s[68:69], s[66:67], s[20:21]
	v_mul_u64_e32 v[32:33], s[0:1], v[30:31]
	v_mul_u64_e32 v[28:29], s[68:69], v[34:35]
	v_mul_u64_e32 v[36:37], s[0:1], v[34:35]
	s_delay_alu instid0(VALU_DEP_3) | instskip(NEXT) | instid1(VALU_DEP_1)
	v_add_nc_u64_e32 v[32:33], v[38:39], v[32:33]
	v_add_co_u32 v9, vcc_lo, v32, v28
	s_delay_alu instid0(VALU_DEP_2) | instskip(NEXT) | instid1(VALU_DEP_4)
	v_add_co_ci_u32_e32 v38, vcc_lo, v33, v29, vcc_lo
	v_add_co_ci_u32_e32 v37, vcc_lo, 0, v37, vcc_lo
	s_delay_alu instid0(VALU_DEP_1) | instskip(NEXT) | instid1(VALU_DEP_1)
	v_add_nc_u64_e32 v[28:29], v[38:39], v[36:37]
	v_mul_u64_e32 v[32:33], s[30:31], v[28:29]
	s_delay_alu instid0(VALU_DEP_1) | instskip(NEXT) | instid1(VALU_DEP_2)
	v_sub_nc_u32_e32 v9, v34, v33
	v_sub_co_u32 v13, vcc_lo, v30, v32
	s_delay_alu instid0(VALU_DEP_1) | instskip(NEXT) | instid1(VALU_DEP_3)
	v_sub_co_ci_u32_e64 v17, null, v34, v33, vcc_lo
	v_subrev_co_ci_u32_e64 v9, null, s31, v9, vcc_lo
	s_delay_alu instid0(VALU_DEP_3) | instskip(SKIP_1) | instid1(VALU_DEP_3)
	v_sub_co_u32 v15, s0, v13, s30
	v_add_nc_u64_e32 v[30:31], 2, v[28:29]
	v_subrev_co_ci_u32_e64 v9, null, 0, v9, s0
	s_delay_alu instid0(VALU_DEP_3) | instskip(SKIP_2) | instid1(VALU_DEP_4)
	v_cmp_le_u32_e32 vcc_lo, s30, v15
	v_add_nc_u64_e32 v[32:33], 1, v[28:29]
	v_cndmask_b32_e64 v15, 0, -1, vcc_lo
	v_cmp_le_u32_e32 vcc_lo, s31, v9
	v_cndmask_b32_e64 v19, 0, -1, vcc_lo
	v_cmp_le_u32_e32 vcc_lo, s30, v13
	;; [unrolled: 2-line block ×3, first 2 shown]
	v_cndmask_b32_e64 v21, 0, -1, vcc_lo
	v_cmp_eq_u32_e32 vcc_lo, s31, v9
	v_cndmask_b32_e32 v9, v19, v15, vcc_lo
	v_cmp_eq_u32_e32 vcc_lo, s31, v17
	s_delay_alu instid0(VALU_DEP_4) | instskip(NEXT) | instid1(VALU_DEP_3)
	v_cndmask_b32_e32 v13, v21, v13, vcc_lo
	v_cmp_ne_u32_e32 vcc_lo, 0, v9
	s_delay_alu instid0(VALU_DEP_2) | instskip(SKIP_1) | instid1(VALU_DEP_1)
	v_cmp_ne_u32_e64 s0, 0, v13
	v_dual_cndmask_b32 v9, v33, v31, vcc_lo :: v_dual_cndmask_b32 v13, v32, v30, vcc_lo
	v_dual_cndmask_b32 v9, v29, v9, s0 :: v_dual_bitop2_b32 v24, s26, v24 bitop3:0x14
	s_delay_alu instid0(VALU_DEP_1) | instskip(NEXT) | instid1(VALU_DEP_1)
	v_dual_cndmask_b32 v13, v28, v13, s0 :: v_dual_bitop2_b32 v29, v9, v24 bitop3:0x14
	v_dual_mov_b32 v25, v24 :: v_dual_bitop2_b32 v28, v13, v24 bitop3:0x14
	s_delay_alu instid0(VALU_DEP_1)
	v_sub_nc_u64_e32 v[24:25], v[28:29], v[24:25]
.LBB30_4327:                            ;   in Loop: Header=BB30_4325 Depth=1
	s_and_not1_saveexec_b32 s0, s54
	s_cbranch_execz .LBB30_4324
; %bb.4328:                             ;   in Loop: Header=BB30_4325 Depth=1
	v_cvt_f32_u32_e32 v9, s24
	s_sub_co_i32 s26, 0, s24
	v_mov_b32_e32 v25, v20
	s_delay_alu instid0(VALU_DEP_2) | instskip(SKIP_1) | instid1(TRANS32_DEP_1)
	v_rcp_iflag_f32_e32 v9, v9
	v_nop
	v_mul_f32_e32 v9, 0x4f7ffffe, v9
	s_delay_alu instid0(VALU_DEP_1) | instskip(NEXT) | instid1(VALU_DEP_1)
	v_cvt_u32_f32_e32 v9, v9
	v_mul_lo_u32 v13, s26, v9
	s_delay_alu instid0(VALU_DEP_1) | instskip(NEXT) | instid1(VALU_DEP_1)
	v_mul_hi_u32 v13, v9, v13
	v_add_nc_u32_e32 v9, v9, v13
	s_delay_alu instid0(VALU_DEP_1) | instskip(NEXT) | instid1(VALU_DEP_1)
	v_mul_hi_u32 v9, v22, v9
	v_mul_lo_u32 v13, v9, s24
	v_add_nc_u32_e32 v15, 1, v9
	s_delay_alu instid0(VALU_DEP_2) | instskip(NEXT) | instid1(VALU_DEP_1)
	v_sub_nc_u32_e32 v13, v22, v13
	v_subrev_nc_u32_e32 v17, s24, v13
	v_cmp_le_u32_e32 vcc_lo, s24, v13
	s_delay_alu instid0(VALU_DEP_2) | instskip(SKIP_1) | instid1(VALU_DEP_2)
	v_cndmask_b32_e32 v13, v13, v17, vcc_lo
	v_cndmask_b32_e32 v9, v9, v15, vcc_lo
	v_cmp_le_u32_e32 vcc_lo, s24, v13
	s_delay_alu instid0(VALU_DEP_2) | instskip(NEXT) | instid1(VALU_DEP_1)
	v_add_nc_u32_e32 v15, 1, v9
	v_cndmask_b32_e32 v24, v9, v15, vcc_lo
	s_branch .LBB30_4324
.LBB30_4329:
	s_or_b32 exec_lo, exec_lo, s53
	s_mov_b32 s20, -1
	s_mov_b32 s53, s51
	s_mov_b32 s0, exec_lo
	v_cmpx_gt_i64_e64 v[6:7], v[4:5]
	s_cbranch_execz .LBB30_4336
; %bb.4330:
	s_delay_alu instid0(VALU_DEP_2) | instskip(SKIP_2) | instid1(VALU_DEP_1)
	v_lshlrev_b64_e32 v[10:11], 3, v[10:11]
	s_mov_b32 s5, 0
	s_xor_b32 s20, s46, -1
                                        ; implicit-def: $sgpr1
                                        ; implicit-def: $sgpr22
                                        ; implicit-def: $sgpr21
	v_lshl_add_u64 v[4:5], v[4:5], 3, v[10:11]
	s_wait_kmcnt 0x0
	v_add_nc_u64_e32 v[10:11], s[18:19], v[10:11]
	s_delay_alu instid0(VALU_DEP_2) | instskip(NEXT) | instid1(VALU_DEP_2)
	v_add_nc_u64_e32 v[4:5], s[18:19], v[4:5]
	v_lshl_add_u64 v[6:7], v[6:7], 3, v[10:11]
	s_delay_alu instid0(VALU_DEP_2)
	v_add_nc_u64_e32 v[4:5], 8, v[4:5]
	s_branch .LBB30_4332
.LBB30_4331:                            ;   in Loop: Header=BB30_4332 Depth=1
	s_or_b32 exec_lo, exec_lo, s23
	s_xor_b32 s23, s21, -1
	s_and_b32 s24, exec_lo, s22
	s_delay_alu instid0(SALU_CYCLE_1) | instskip(SKIP_2) | instid1(SALU_CYCLE_1)
	s_or_b32 s5, s24, s5
	s_and_not1_b32 s1, s1, exec_lo
	s_and_b32 s23, s23, exec_lo
	s_or_b32 s1, s1, s23
	s_and_not1_b32 exec_lo, exec_lo, s5
	s_cbranch_execz .LBB30_4334
.LBB30_4332:                            ; =>This Inner Loop Header: Depth=1
	s_or_b32 s21, s21, exec_lo
	s_or_b32 s22, s22, exec_lo
	s_mov_b32 s23, exec_lo
	s_delay_alu instid0(VALU_DEP_1)
	v_cmpx_lt_u64_e64 v[4:5], v[6:7]
	s_cbranch_execz .LBB30_4331
; %bb.4333:                             ;   in Loop: Header=BB30_4332 Depth=1
	global_load_b128 v[20:23], v[4:5], off offset:-8
	s_wait_xcnt 0x0
	v_add_nc_u64_e32 v[4:5], 8, v[4:5]
	s_and_not1_b32 s22, s22, exec_lo
	s_and_not1_b32 s21, s21, exec_lo
	s_wait_loadcnt 0x0
	v_cmp_ge_i64_e32 vcc_lo, v[20:21], v[22:23]
	s_or_b32 s24, s20, vcc_lo
	s_delay_alu instid0(SALU_CYCLE_1) | instskip(NEXT) | instid1(SALU_CYCLE_1)
	s_and_b32 s24, s24, exec_lo
	s_or_b32 s22, s22, s24
	s_branch .LBB30_4331
.LBB30_4334:
	s_or_b32 exec_lo, exec_lo, s5
	s_mov_b32 s5, -1
	s_mov_b32 s20, s51
	s_and_saveexec_b32 s21, s1
	s_delay_alu instid0(SALU_CYCLE_1)
	s_xor_b32 s1, exec_lo, s21
	s_cbranch_execnz .LBB30_4349
.LBB30_4335:
	s_or_b32 exec_lo, exec_lo, s1
	s_delay_alu instid0(SALU_CYCLE_1) | instskip(SKIP_1) | instid1(SALU_CYCLE_1)
	s_and_not1_b32 s1, s51, exec_lo
	s_and_b32 s20, s20, exec_lo
	s_or_b32 s53, s1, s20
	s_or_not1_b32 s20, s5, exec_lo
.LBB30_4336:
	s_or_b32 exec_lo, exec_lo, s0
	s_mov_b32 s1, 0
	s_mov_b32 s5, 0
                                        ; implicit-def: $vgpr20_vgpr21
                                        ; implicit-def: $sgpr0
	s_and_saveexec_b32 s54, s20
	s_cbranch_execz .LBB30_4986
; %bb.4337:
	s_lshl_b32 s69, s55, 7
	s_cmp_lt_i32 s56, 11
	v_add_nc_u32_e32 v4, s69, v8
	s_delay_alu instid0(VALU_DEP_1) | instskip(NEXT) | instid1(VALU_DEP_1)
	v_ashrrev_i32_e32 v5, 31, v4
	v_add_nc_u64_e32 v[6:7], s[6:7], v[4:5]
	s_cbranch_scc1 .LBB30_4345
; %bb.4338:
	s_cmp_gt_i32 s56, 25
	s_cbranch_scc0 .LBB30_4346
; %bb.4339:
	s_cmp_gt_i32 s56, 28
	s_cbranch_scc0 .LBB30_4347
	;; [unrolled: 3-line block ×4, first 2 shown]
; %bb.4342:
	s_cmp_eq_u32 s56, 46
	s_mov_b32 s20, 0
	s_cbranch_scc0 .LBB30_4351
; %bb.4343:
	global_load_b32 v5, v[6:7], off
	s_mov_b32 s0, 0
	s_mov_b32 s5, -1
	s_wait_loadcnt 0x0
	v_lshlrev_b32_e32 v5, 16, v5
	s_delay_alu instid0(VALU_DEP_1) | instskip(NEXT) | instid1(VALU_DEP_1)
	v_trunc_f32_e32 v5, v5
	v_mul_f32_e64 v8, 0x2f800000, |v5|
	s_delay_alu instid0(VALU_DEP_1) | instskip(SKIP_1) | instid1(VALU_DEP_2)
	v_floor_f32_e32 v9, v8
	v_ashrrev_i32_e32 v8, 31, v5
	v_fma_f32 v10, 0xcf800000, v9, |v5|
	v_cvt_u32_f32_e32 v5, v9
	s_delay_alu instid0(VALU_DEP_3) | instskip(NEXT) | instid1(VALU_DEP_3)
	v_mov_b32_e32 v9, v8
	v_cvt_u32_f32_e32 v10, v10
	s_delay_alu instid0(VALU_DEP_3) | instskip(NEXT) | instid1(VALU_DEP_2)
	v_xor_b32_e32 v11, v5, v8
	v_xor_b32_e32 v10, v10, v8
	s_delay_alu instid0(VALU_DEP_1)
	v_sub_nc_u64_e32 v[20:21], v[10:11], v[8:9]
	s_branch .LBB30_4353
.LBB30_4344:
	s_or_b32 s44, s44, exec_lo
	s_trap 2
	s_cbranch_execz .LBB30_4258
	s_branch .LBB30_4259
.LBB30_4345:
	s_mov_b32 s0, -1
	s_mov_b32 s55, s53
                                        ; implicit-def: $vgpr20_vgpr21
	s_branch .LBB30_4415
.LBB30_4346:
	s_mov_b32 s20, -1
	s_mov_b32 s0, 0
                                        ; implicit-def: $vgpr20_vgpr21
	s_branch .LBB30_4380
.LBB30_4347:
	s_mov_b32 s20, -1
	s_mov_b32 s0, 0
                                        ; implicit-def: $vgpr20_vgpr21
	s_branch .LBB30_4363
.LBB30_4348:
	s_mov_b32 s20, -1
	s_mov_b32 s0, 0
                                        ; implicit-def: $vgpr20_vgpr21
	s_branch .LBB30_4358
.LBB30_4349:
	s_or_b32 s20, s51, exec_lo
	s_xor_b32 s5, exec_lo, -1
	s_trap 2
	s_branch .LBB30_4335
.LBB30_4350:
	s_mov_b32 s20, -1
	s_mov_b32 s0, 0
	s_branch .LBB30_4352
.LBB30_4351:
	s_mov_b32 s0, -1
.LBB30_4352:
                                        ; implicit-def: $vgpr20_vgpr21
.LBB30_4353:
	s_and_b32 vcc_lo, exec_lo, s20
	s_cbranch_vccz .LBB30_4357
; %bb.4354:
	s_cmp_eq_u32 s56, 44
	s_cbranch_scc0 .LBB30_4356
; %bb.4355:
	global_load_u8 v5, v[6:7], off
	s_mov_b32 s0, 0
	s_mov_b32 s5, -1
	s_wait_loadcnt 0x0
	v_lshlrev_b32_e32 v8, 23, v5
	v_cmp_ne_u32_e32 vcc_lo, 0, v5
	s_delay_alu instid0(VALU_DEP_2) | instskip(NEXT) | instid1(VALU_DEP_1)
	v_trunc_f32_e32 v8, v8
	v_mul_f32_e64 v9, 0x2f800000, |v8|
	s_delay_alu instid0(VALU_DEP_1) | instskip(NEXT) | instid1(VALU_DEP_1)
	v_floor_f32_e32 v9, v9
	v_fma_f32 v10, 0xcf800000, v9, |v8|
	v_ashrrev_i32_e32 v8, 31, v8
	v_cvt_u32_f32_e32 v11, v9
	s_delay_alu instid0(VALU_DEP_3) | instskip(NEXT) | instid1(VALU_DEP_2)
	v_cvt_u32_f32_e32 v10, v10
	v_dual_mov_b32 v9, v8 :: v_dual_bitop2_b32 v11, v11, v8 bitop3:0x14
	s_delay_alu instid0(VALU_DEP_2) | instskip(NEXT) | instid1(VALU_DEP_1)
	v_xor_b32_e32 v10, v10, v8
	v_sub_nc_u64_e32 v[8:9], v[10:11], v[8:9]
	s_delay_alu instid0(VALU_DEP_1)
	v_dual_cndmask_b32 v21, 0, v9 :: v_dual_cndmask_b32 v20, 0, v8
	s_branch .LBB30_4357
.LBB30_4356:
	s_mov_b32 s0, -1
                                        ; implicit-def: $vgpr20_vgpr21
.LBB30_4357:
	s_mov_b32 s20, 0
.LBB30_4358:
	s_delay_alu instid0(SALU_CYCLE_1)
	s_and_b32 vcc_lo, exec_lo, s20
	s_cbranch_vccz .LBB30_4362
; %bb.4359:
	s_cmp_eq_u32 s56, 29
	s_cbranch_scc0 .LBB30_4361
; %bb.4360:
	global_load_b64 v[20:21], v[6:7], off
	s_mov_b32 s0, 0
	s_mov_b32 s5, -1
	s_branch .LBB30_4362
.LBB30_4361:
	s_mov_b32 s0, -1
                                        ; implicit-def: $vgpr20_vgpr21
.LBB30_4362:
	s_mov_b32 s20, 0
.LBB30_4363:
	s_delay_alu instid0(SALU_CYCLE_1)
	s_and_b32 vcc_lo, exec_lo, s20
	s_cbranch_vccz .LBB30_4379
; %bb.4364:
	s_cmp_lt_i32 s56, 27
	s_cbranch_scc1 .LBB30_4367
; %bb.4365:
	s_cmp_gt_i32 s56, 27
	s_cbranch_scc0 .LBB30_4368
; %bb.4366:
	s_wait_loadcnt 0x0
	global_load_b32 v20, v[6:7], off
	v_mov_b32_e32 v21, 0
	s_mov_b32 s5, 0
	s_branch .LBB30_4369
.LBB30_4367:
	s_mov_b32 s5, -1
                                        ; implicit-def: $vgpr20_vgpr21
	s_branch .LBB30_4372
.LBB30_4368:
	s_mov_b32 s5, -1
                                        ; implicit-def: $vgpr20_vgpr21
.LBB30_4369:
	s_delay_alu instid0(SALU_CYCLE_1)
	s_and_not1_b32 vcc_lo, exec_lo, s5
	s_cbranch_vccnz .LBB30_4371
; %bb.4370:
	global_load_u16 v5, v[6:7], off
	s_mov_b32 s5, 0
	s_wait_loadcnt 0x1
	v_mov_b32_e32 v21, s5
	s_wait_loadcnt 0x0
	v_and_b32_e32 v20, 0xffff, v5
.LBB30_4371:
	s_mov_b32 s5, 0
.LBB30_4372:
	s_delay_alu instid0(SALU_CYCLE_1)
	s_and_not1_b32 vcc_lo, exec_lo, s5
	s_cbranch_vccnz .LBB30_4378
; %bb.4373:
	global_load_u8 v5, v[6:7], off
	s_mov_b32 s20, 0
	s_mov_b32 s5, exec_lo
	s_wait_loadcnt 0x0
	v_cmpx_lt_i16_e32 0x7f, v5
	s_xor_b32 s5, exec_lo, s5
	s_cbranch_execz .LBB30_4390
; %bb.4374:
	v_cmp_ne_u16_e32 vcc_lo, 0x80, v5
	s_and_b32 s20, vcc_lo, exec_lo
	s_and_not1_saveexec_b32 s5, s5
	s_cbranch_execnz .LBB30_4391
.LBB30_4375:
	s_or_b32 exec_lo, exec_lo, s5
	v_mov_b64_e32 v[20:21], 0
	s_and_saveexec_b32 s5, s20
	s_cbranch_execz .LBB30_4377
.LBB30_4376:
	v_and_b32_e32 v8, 0xffff, v5
	s_delay_alu instid0(VALU_DEP_1) | instskip(SKIP_1) | instid1(VALU_DEP_2)
	v_and_b32_e32 v9, 7, v8
	v_bfe_u32 v13, v8, 3, 4
	v_clz_i32_u32_e32 v10, v9
	s_delay_alu instid0(VALU_DEP_2) | instskip(NEXT) | instid1(VALU_DEP_2)
	v_cmp_eq_u32_e32 vcc_lo, 0, v13
	v_min_u32_e32 v10, 32, v10
	s_delay_alu instid0(VALU_DEP_1) | instskip(NEXT) | instid1(VALU_DEP_1)
	v_subrev_nc_u32_e32 v11, 28, v10
	v_dual_lshlrev_b32 v8, v11, v8 :: v_dual_sub_nc_u32 v10, 29, v10
	s_delay_alu instid0(VALU_DEP_1) | instskip(NEXT) | instid1(VALU_DEP_2)
	v_dual_lshlrev_b32 v5, 24, v5 :: v_dual_bitop2_b32 v8, 7, v8 bitop3:0x40
	v_cndmask_b32_e32 v10, v13, v10, vcc_lo
	s_delay_alu instid0(VALU_DEP_2) | instskip(NEXT) | instid1(VALU_DEP_3)
	v_cndmask_b32_e32 v8, v9, v8, vcc_lo
	v_and_b32_e32 v5, 0x80000000, v5
	s_delay_alu instid0(VALU_DEP_3) | instskip(NEXT) | instid1(VALU_DEP_3)
	v_lshl_add_u32 v9, v10, 23, 0x3b800000
	v_lshlrev_b32_e32 v8, 20, v8
	s_delay_alu instid0(VALU_DEP_1) | instskip(NEXT) | instid1(VALU_DEP_1)
	v_or3_b32 v5, v5, v9, v8
	v_trunc_f32_e32 v5, v5
	s_delay_alu instid0(VALU_DEP_1) | instskip(NEXT) | instid1(VALU_DEP_1)
	v_mul_f32_e64 v8, 0x2f800000, |v5|
	v_floor_f32_e32 v9, v8
	v_ashrrev_i32_e32 v8, 31, v5
	s_delay_alu instid0(VALU_DEP_2) | instskip(SKIP_1) | instid1(VALU_DEP_3)
	v_fma_f32 v10, 0xcf800000, v9, |v5|
	v_cvt_u32_f32_e32 v5, v9
	v_mov_b32_e32 v9, v8
	s_delay_alu instid0(VALU_DEP_3) | instskip(NEXT) | instid1(VALU_DEP_3)
	v_cvt_u32_f32_e32 v10, v10
	v_xor_b32_e32 v11, v5, v8
	s_delay_alu instid0(VALU_DEP_2) | instskip(NEXT) | instid1(VALU_DEP_1)
	v_xor_b32_e32 v10, v10, v8
	v_sub_nc_u64_e32 v[20:21], v[10:11], v[8:9]
.LBB30_4377:
	s_or_b32 exec_lo, exec_lo, s5
.LBB30_4378:
	s_mov_b32 s5, -1
.LBB30_4379:
	s_mov_b32 s20, 0
.LBB30_4380:
	s_delay_alu instid0(SALU_CYCLE_1)
	s_and_b32 vcc_lo, exec_lo, s20
	s_cbranch_vccz .LBB30_4411
; %bb.4381:
	s_cmp_gt_i32 s56, 22
	s_cbranch_scc0 .LBB30_4389
; %bb.4382:
	s_cmp_lt_i32 s56, 24
	s_cbranch_scc1 .LBB30_4392
; %bb.4383:
	s_cmp_gt_i32 s56, 24
	s_cbranch_scc0 .LBB30_4393
; %bb.4384:
	global_load_u8 v5, v[6:7], off
	s_mov_b32 s5, 0
	s_mov_b32 s1, exec_lo
	s_wait_loadcnt 0x0
	v_cmpx_lt_i16_e32 0x7f, v5
	s_xor_b32 s1, exec_lo, s1
	s_cbranch_execz .LBB30_4405
; %bb.4385:
	v_cmp_ne_u16_e32 vcc_lo, 0x80, v5
	s_and_b32 s5, vcc_lo, exec_lo
	s_and_not1_saveexec_b32 s1, s1
	s_cbranch_execnz .LBB30_4406
.LBB30_4386:
	s_or_b32 exec_lo, exec_lo, s1
	v_mov_b64_e32 v[20:21], 0
	s_and_saveexec_b32 s1, s5
	s_cbranch_execz .LBB30_4388
.LBB30_4387:
	v_and_b32_e32 v8, 0xffff, v5
	s_delay_alu instid0(VALU_DEP_1) | instskip(SKIP_1) | instid1(VALU_DEP_2)
	v_and_b32_e32 v9, 3, v8
	v_bfe_u32 v13, v8, 2, 5
	v_clz_i32_u32_e32 v10, v9
	s_delay_alu instid0(VALU_DEP_2) | instskip(NEXT) | instid1(VALU_DEP_2)
	v_cmp_eq_u32_e32 vcc_lo, 0, v13
	v_min_u32_e32 v10, 32, v10
	s_delay_alu instid0(VALU_DEP_1) | instskip(NEXT) | instid1(VALU_DEP_1)
	v_subrev_nc_u32_e32 v11, 29, v10
	v_dual_lshlrev_b32 v8, v11, v8 :: v_dual_sub_nc_u32 v10, 30, v10
	s_delay_alu instid0(VALU_DEP_1) | instskip(NEXT) | instid1(VALU_DEP_2)
	v_dual_lshlrev_b32 v5, 24, v5 :: v_dual_bitop2_b32 v8, 3, v8 bitop3:0x40
	v_cndmask_b32_e32 v10, v13, v10, vcc_lo
	s_delay_alu instid0(VALU_DEP_2) | instskip(NEXT) | instid1(VALU_DEP_3)
	v_cndmask_b32_e32 v8, v9, v8, vcc_lo
	v_and_b32_e32 v5, 0x80000000, v5
	s_delay_alu instid0(VALU_DEP_3) | instskip(NEXT) | instid1(VALU_DEP_3)
	v_lshl_add_u32 v9, v10, 23, 0x37800000
	v_lshlrev_b32_e32 v8, 21, v8
	s_delay_alu instid0(VALU_DEP_1) | instskip(NEXT) | instid1(VALU_DEP_1)
	v_or3_b32 v5, v5, v9, v8
	v_trunc_f32_e32 v5, v5
	s_delay_alu instid0(VALU_DEP_1) | instskip(NEXT) | instid1(VALU_DEP_1)
	v_mul_f32_e64 v8, 0x2f800000, |v5|
	v_floor_f32_e32 v9, v8
	v_ashrrev_i32_e32 v8, 31, v5
	s_delay_alu instid0(VALU_DEP_2) | instskip(SKIP_1) | instid1(VALU_DEP_3)
	v_fma_f32 v10, 0xcf800000, v9, |v5|
	v_cvt_u32_f32_e32 v5, v9
	v_mov_b32_e32 v9, v8
	s_delay_alu instid0(VALU_DEP_3) | instskip(NEXT) | instid1(VALU_DEP_3)
	v_cvt_u32_f32_e32 v10, v10
	v_xor_b32_e32 v11, v5, v8
	s_delay_alu instid0(VALU_DEP_2) | instskip(NEXT) | instid1(VALU_DEP_1)
	v_xor_b32_e32 v10, v10, v8
	v_sub_nc_u64_e32 v[20:21], v[10:11], v[8:9]
.LBB30_4388:
	s_or_b32 exec_lo, exec_lo, s1
	s_mov_b32 s1, 0
	s_branch .LBB30_4394
.LBB30_4389:
	s_mov_b32 s1, -1
                                        ; implicit-def: $vgpr20_vgpr21
	s_branch .LBB30_4400
.LBB30_4390:
	s_and_not1_saveexec_b32 s5, s5
	s_cbranch_execz .LBB30_4375
.LBB30_4391:
	v_cmp_ne_u16_e32 vcc_lo, 0, v5
	s_and_not1_b32 s20, s20, exec_lo
	s_and_b32 s21, vcc_lo, exec_lo
	s_delay_alu instid0(SALU_CYCLE_1)
	s_or_b32 s20, s20, s21
	s_or_b32 exec_lo, exec_lo, s5
	v_mov_b64_e32 v[20:21], 0
	s_and_saveexec_b32 s5, s20
	s_cbranch_execnz .LBB30_4376
	s_branch .LBB30_4377
.LBB30_4392:
	s_mov_b32 s1, -1
                                        ; implicit-def: $vgpr20_vgpr21
	s_branch .LBB30_4397
.LBB30_4393:
	s_mov_b32 s1, -1
                                        ; implicit-def: $vgpr20_vgpr21
.LBB30_4394:
	s_delay_alu instid0(SALU_CYCLE_1)
	s_and_b32 vcc_lo, exec_lo, s1
	s_cbranch_vccz .LBB30_4396
; %bb.4395:
	global_load_u8 v5, v[6:7], off
	s_wait_loadcnt 0x0
	v_lshlrev_b32_e32 v5, 24, v5
	s_delay_alu instid0(VALU_DEP_1) | instskip(NEXT) | instid1(VALU_DEP_1)
	v_and_b32_e32 v8, 0x7f000000, v5
	v_clz_i32_u32_e32 v9, v8
	v_cmp_ne_u32_e32 vcc_lo, 0, v8
	v_add_nc_u32_e32 v11, 0x1000000, v8
	s_delay_alu instid0(VALU_DEP_3) | instskip(NEXT) | instid1(VALU_DEP_1)
	v_min_u32_e32 v9, 32, v9
	v_sub_nc_u32_e64 v9, v9, 4 clamp
	s_delay_alu instid0(VALU_DEP_1) | instskip(NEXT) | instid1(VALU_DEP_1)
	v_dual_lshlrev_b32 v10, v9, v8 :: v_dual_lshlrev_b32 v9, 23, v9
	v_lshrrev_b32_e32 v10, 4, v10
	s_delay_alu instid0(VALU_DEP_1) | instskip(NEXT) | instid1(VALU_DEP_1)
	v_dual_sub_nc_u32 v9, v10, v9 :: v_dual_ashrrev_i32 v10, 8, v11
	v_add_nc_u32_e32 v9, 0x3c000000, v9
	s_delay_alu instid0(VALU_DEP_1) | instskip(NEXT) | instid1(VALU_DEP_1)
	v_and_or_b32 v9, 0x7f800000, v10, v9
	v_cndmask_b32_e32 v8, 0, v9, vcc_lo
	s_delay_alu instid0(VALU_DEP_1) | instskip(NEXT) | instid1(VALU_DEP_1)
	v_and_or_b32 v5, 0x80000000, v5, v8
	v_trunc_f32_e32 v5, v5
	s_delay_alu instid0(VALU_DEP_1) | instskip(NEXT) | instid1(VALU_DEP_1)
	v_mul_f32_e64 v8, 0x2f800000, |v5|
	v_floor_f32_e32 v9, v8
	v_ashrrev_i32_e32 v8, 31, v5
	s_delay_alu instid0(VALU_DEP_2) | instskip(SKIP_1) | instid1(VALU_DEP_3)
	v_fma_f32 v10, 0xcf800000, v9, |v5|
	v_cvt_u32_f32_e32 v5, v9
	v_mov_b32_e32 v9, v8
	s_delay_alu instid0(VALU_DEP_3) | instskip(NEXT) | instid1(VALU_DEP_3)
	v_cvt_u32_f32_e32 v10, v10
	v_xor_b32_e32 v11, v5, v8
	s_delay_alu instid0(VALU_DEP_2) | instskip(NEXT) | instid1(VALU_DEP_1)
	v_xor_b32_e32 v10, v10, v8
	v_sub_nc_u64_e32 v[20:21], v[10:11], v[8:9]
.LBB30_4396:
	s_mov_b32 s1, 0
.LBB30_4397:
	s_delay_alu instid0(SALU_CYCLE_1)
	s_and_not1_b32 vcc_lo, exec_lo, s1
	s_cbranch_vccnz .LBB30_4399
; %bb.4398:
	global_load_u8 v5, v[6:7], off
	s_wait_loadcnt 0x0
	v_lshlrev_b32_e32 v8, 25, v5
	v_lshlrev_b16 v5, 8, v5
	s_delay_alu instid0(VALU_DEP_1) | instskip(SKIP_1) | instid1(VALU_DEP_2)
	v_and_or_b32 v10, 0x7f00, v5, 0.5
	v_bfe_i32 v5, v5, 0, 16
	v_dual_add_f32 v10, -0.5, v10 :: v_dual_lshrrev_b32 v9, 4, v8
	v_cmp_gt_u32_e32 vcc_lo, 0x8000000, v8
	s_delay_alu instid0(VALU_DEP_2) | instskip(NEXT) | instid1(VALU_DEP_1)
	v_or_b32_e32 v9, 0x70000000, v9
	v_mul_f32_e32 v9, 0x7800000, v9
	s_delay_alu instid0(VALU_DEP_1) | instskip(NEXT) | instid1(VALU_DEP_1)
	v_cndmask_b32_e32 v8, v9, v10, vcc_lo
	v_and_or_b32 v5, 0x80000000, v5, v8
	s_delay_alu instid0(VALU_DEP_1) | instskip(NEXT) | instid1(VALU_DEP_1)
	v_trunc_f32_e32 v5, v5
	v_mul_f32_e64 v8, 0x2f800000, |v5|
	s_delay_alu instid0(VALU_DEP_1) | instskip(SKIP_1) | instid1(VALU_DEP_2)
	v_floor_f32_e32 v9, v8
	v_ashrrev_i32_e32 v8, 31, v5
	v_fma_f32 v10, 0xcf800000, v9, |v5|
	v_cvt_u32_f32_e32 v5, v9
	s_delay_alu instid0(VALU_DEP_3) | instskip(NEXT) | instid1(VALU_DEP_3)
	v_mov_b32_e32 v9, v8
	v_cvt_u32_f32_e32 v10, v10
	s_delay_alu instid0(VALU_DEP_3) | instskip(NEXT) | instid1(VALU_DEP_2)
	v_xor_b32_e32 v11, v5, v8
	v_xor_b32_e32 v10, v10, v8
	s_delay_alu instid0(VALU_DEP_1)
	v_sub_nc_u64_e32 v[20:21], v[10:11], v[8:9]
.LBB30_4399:
	s_mov_b32 s1, 0
	s_mov_b32 s5, -1
.LBB30_4400:
	s_and_not1_b32 vcc_lo, exec_lo, s1
	s_mov_b32 s1, 0
	s_cbranch_vccnz .LBB30_4411
; %bb.4401:
	s_cmp_gt_i32 s56, 14
	s_cbranch_scc0 .LBB30_4404
; %bb.4402:
	s_cmp_eq_u32 s56, 15
	s_cbranch_scc0 .LBB30_4407
; %bb.4403:
	global_load_u16 v5, v[6:7], off
	s_mov_b32 s0, 0
	s_mov_b32 s5, -1
	s_wait_loadcnt 0x0
	v_lshlrev_b32_e32 v5, 16, v5
	s_delay_alu instid0(VALU_DEP_1) | instskip(NEXT) | instid1(VALU_DEP_1)
	v_trunc_f32_e32 v5, v5
	v_mul_f32_e64 v8, 0x2f800000, |v5|
	s_delay_alu instid0(VALU_DEP_1) | instskip(SKIP_1) | instid1(VALU_DEP_2)
	v_floor_f32_e32 v9, v8
	v_ashrrev_i32_e32 v8, 31, v5
	v_fma_f32 v10, 0xcf800000, v9, |v5|
	v_cvt_u32_f32_e32 v5, v9
	s_delay_alu instid0(VALU_DEP_3) | instskip(NEXT) | instid1(VALU_DEP_3)
	v_mov_b32_e32 v9, v8
	v_cvt_u32_f32_e32 v10, v10
	s_delay_alu instid0(VALU_DEP_3) | instskip(NEXT) | instid1(VALU_DEP_2)
	v_xor_b32_e32 v11, v5, v8
	v_xor_b32_e32 v10, v10, v8
	s_delay_alu instid0(VALU_DEP_1)
	v_sub_nc_u64_e32 v[20:21], v[10:11], v[8:9]
	s_branch .LBB30_4409
.LBB30_4404:
	s_mov_b32 s1, -1
	s_branch .LBB30_4408
.LBB30_4405:
	s_and_not1_saveexec_b32 s1, s1
	s_cbranch_execz .LBB30_4386
.LBB30_4406:
	v_cmp_ne_u16_e32 vcc_lo, 0, v5
	s_and_not1_b32 s5, s5, exec_lo
	s_and_b32 s20, vcc_lo, exec_lo
	s_delay_alu instid0(SALU_CYCLE_1)
	s_or_b32 s5, s5, s20
	s_or_b32 exec_lo, exec_lo, s1
	v_mov_b64_e32 v[20:21], 0
	s_and_saveexec_b32 s1, s5
	s_cbranch_execnz .LBB30_4387
	s_branch .LBB30_4388
.LBB30_4407:
	s_mov_b32 s0, -1
.LBB30_4408:
                                        ; implicit-def: $vgpr20_vgpr21
.LBB30_4409:
	s_and_b32 vcc_lo, exec_lo, s1
	s_mov_b32 s1, 0
	s_cbranch_vccz .LBB30_4411
; %bb.4410:
	s_cmp_lg_u32 s56, 11
	s_mov_b32 s1, -1
	s_cselect_b32 s0, -1, 0
.LBB30_4411:
	s_delay_alu instid0(SALU_CYCLE_1)
	s_and_b32 vcc_lo, exec_lo, s0
	s_mov_b32 s55, s53
	s_cbranch_vccnz .LBB30_4476
; %bb.4412:
	s_and_not1_b32 vcc_lo, exec_lo, s1
	s_cbranch_vccnz .LBB30_4414
.LBB30_4413:
	global_load_u8 v5, v[6:7], off
	s_mov_b32 s0, 0
	s_mov_b32 s5, -1
	s_wait_loadcnt 0x1
	v_mov_b32_e32 v21, s0
	s_wait_loadcnt 0x0
	v_cmp_ne_u16_e32 vcc_lo, 0, v5
	v_cndmask_b32_e64 v20, 0, 1, vcc_lo
.LBB30_4414:
	s_mov_b32 s0, 0
.LBB30_4415:
	s_delay_alu instid0(SALU_CYCLE_1)
	s_and_b32 vcc_lo, exec_lo, s0
	s_cbranch_vccz .LBB30_4464
; %bb.4416:
	s_cmp_lt_i32 s56, 5
	s_cbranch_scc1 .LBB30_4421
; %bb.4417:
	s_cmp_lt_i32 s56, 8
	s_cbranch_scc1 .LBB30_4422
	;; [unrolled: 3-line block ×3, first 2 shown]
; %bb.4419:
	s_cmp_gt_i32 s56, 9
	s_cbranch_scc0 .LBB30_4424
; %bb.4420:
	global_load_b64 v[8:9], v[6:7], off
	s_mov_b32 s0, 0
	s_wait_loadcnt 0x0
	v_trunc_f64_e32 v[8:9], v[8:9]
	s_delay_alu instid0(VALU_DEP_1) | instskip(NEXT) | instid1(VALU_DEP_1)
	v_ldexp_f64 v[10:11], v[8:9], 0xffffffe0
	v_floor_f64_e32 v[10:11], v[10:11]
	s_delay_alu instid0(VALU_DEP_1) | instskip(SKIP_1) | instid1(VALU_DEP_2)
	v_fmamk_f64 v[8:9], v[10:11], 0xc1f00000, v[8:9]
	v_cvt_i32_f64_e32 v21, v[10:11]
	v_cvt_u32_f64_e32 v20, v[8:9]
	s_branch .LBB30_4425
.LBB30_4421:
	s_mov_b32 s0, -1
                                        ; implicit-def: $vgpr20_vgpr21
	s_branch .LBB30_4443
.LBB30_4422:
	s_mov_b32 s0, -1
                                        ; implicit-def: $vgpr20_vgpr21
	s_branch .LBB30_4431
.LBB30_4423:
	s_mov_b32 s0, -1
                                        ; implicit-def: $vgpr20_vgpr21
	s_branch .LBB30_4428
.LBB30_4424:
	s_mov_b32 s0, -1
                                        ; implicit-def: $vgpr20_vgpr21
.LBB30_4425:
	s_delay_alu instid0(SALU_CYCLE_1)
	s_and_not1_b32 vcc_lo, exec_lo, s0
	s_cbranch_vccnz .LBB30_4427
; %bb.4426:
	global_load_b32 v5, v[6:7], off
	s_wait_loadcnt 0x0
	v_trunc_f32_e32 v5, v5
	s_delay_alu instid0(VALU_DEP_1) | instskip(NEXT) | instid1(VALU_DEP_1)
	v_mul_f32_e64 v8, 0x2f800000, |v5|
	v_floor_f32_e32 v9, v8
	v_ashrrev_i32_e32 v8, 31, v5
	s_delay_alu instid0(VALU_DEP_2) | instskip(SKIP_1) | instid1(VALU_DEP_3)
	v_fma_f32 v10, 0xcf800000, v9, |v5|
	v_cvt_u32_f32_e32 v5, v9
	v_mov_b32_e32 v9, v8
	s_delay_alu instid0(VALU_DEP_3) | instskip(NEXT) | instid1(VALU_DEP_3)
	v_cvt_u32_f32_e32 v10, v10
	v_xor_b32_e32 v11, v5, v8
	s_delay_alu instid0(VALU_DEP_2) | instskip(NEXT) | instid1(VALU_DEP_1)
	v_xor_b32_e32 v10, v10, v8
	v_sub_nc_u64_e32 v[20:21], v[10:11], v[8:9]
.LBB30_4427:
	s_mov_b32 s0, 0
.LBB30_4428:
	s_delay_alu instid0(SALU_CYCLE_1)
	s_and_not1_b32 vcc_lo, exec_lo, s0
	s_cbranch_vccnz .LBB30_4430
; %bb.4429:
	global_load_b32 v5, v[6:7], off
	s_wait_loadcnt 0x0
	v_cvt_f32_f16_e32 v5, v5
	s_delay_alu instid0(VALU_DEP_1) | instskip(NEXT) | instid1(VALU_DEP_1)
	v_cvt_i32_f32_e32 v20, v5
	v_ashrrev_i32_e32 v21, 31, v20
.LBB30_4430:
	s_mov_b32 s0, 0
.LBB30_4431:
	s_delay_alu instid0(SALU_CYCLE_1)
	s_and_not1_b32 vcc_lo, exec_lo, s0
	s_cbranch_vccnz .LBB30_4442
; %bb.4432:
	s_cmp_lt_i32 s56, 6
	s_cbranch_scc1 .LBB30_4435
; %bb.4433:
	s_cmp_gt_i32 s56, 6
	s_cbranch_scc0 .LBB30_4436
; %bb.4434:
	global_load_b64 v[8:9], v[6:7], off
	s_mov_b32 s0, 0
	s_wait_loadcnt 0x0
	v_trunc_f64_e32 v[8:9], v[8:9]
	s_delay_alu instid0(VALU_DEP_1) | instskip(NEXT) | instid1(VALU_DEP_1)
	v_ldexp_f64 v[10:11], v[8:9], 0xffffffe0
	v_floor_f64_e32 v[10:11], v[10:11]
	s_delay_alu instid0(VALU_DEP_1) | instskip(SKIP_1) | instid1(VALU_DEP_2)
	v_fmamk_f64 v[8:9], v[10:11], 0xc1f00000, v[8:9]
	v_cvt_i32_f64_e32 v21, v[10:11]
	v_cvt_u32_f64_e32 v20, v[8:9]
	s_branch .LBB30_4437
.LBB30_4435:
	s_mov_b32 s0, -1
                                        ; implicit-def: $vgpr20_vgpr21
	s_branch .LBB30_4440
.LBB30_4436:
	s_mov_b32 s0, -1
                                        ; implicit-def: $vgpr20_vgpr21
.LBB30_4437:
	s_delay_alu instid0(SALU_CYCLE_1)
	s_and_not1_b32 vcc_lo, exec_lo, s0
	s_cbranch_vccnz .LBB30_4439
; %bb.4438:
	global_load_b32 v5, v[6:7], off
	s_wait_loadcnt 0x0
	v_trunc_f32_e32 v5, v5
	s_delay_alu instid0(VALU_DEP_1) | instskip(NEXT) | instid1(VALU_DEP_1)
	v_mul_f32_e64 v8, 0x2f800000, |v5|
	v_floor_f32_e32 v9, v8
	v_ashrrev_i32_e32 v8, 31, v5
	s_delay_alu instid0(VALU_DEP_2) | instskip(SKIP_1) | instid1(VALU_DEP_3)
	v_fma_f32 v10, 0xcf800000, v9, |v5|
	v_cvt_u32_f32_e32 v5, v9
	v_mov_b32_e32 v9, v8
	s_delay_alu instid0(VALU_DEP_3) | instskip(NEXT) | instid1(VALU_DEP_3)
	v_cvt_u32_f32_e32 v10, v10
	v_xor_b32_e32 v11, v5, v8
	s_delay_alu instid0(VALU_DEP_2) | instskip(NEXT) | instid1(VALU_DEP_1)
	v_xor_b32_e32 v10, v10, v8
	v_sub_nc_u64_e32 v[20:21], v[10:11], v[8:9]
.LBB30_4439:
	s_mov_b32 s0, 0
.LBB30_4440:
	s_delay_alu instid0(SALU_CYCLE_1)
	s_and_not1_b32 vcc_lo, exec_lo, s0
	s_cbranch_vccnz .LBB30_4442
; %bb.4441:
	global_load_u16 v5, v[6:7], off
	s_wait_loadcnt 0x0
	v_cvt_f32_f16_e32 v5, v5
	s_delay_alu instid0(VALU_DEP_1) | instskip(NEXT) | instid1(VALU_DEP_1)
	v_cvt_i32_f32_e32 v20, v5
	v_ashrrev_i32_e32 v21, 31, v20
.LBB30_4442:
	s_mov_b32 s0, 0
.LBB30_4443:
	s_delay_alu instid0(SALU_CYCLE_1)
	s_and_not1_b32 vcc_lo, exec_lo, s0
	s_cbranch_vccnz .LBB30_4463
; %bb.4444:
	s_cmp_lt_i32 s56, 2
	s_cbranch_scc1 .LBB30_4448
; %bb.4445:
	s_cmp_lt_i32 s56, 3
	s_cbranch_scc1 .LBB30_4449
; %bb.4446:
	s_cmp_gt_i32 s56, 3
	s_cbranch_scc0 .LBB30_4450
; %bb.4447:
	s_wait_loadcnt 0x0
	global_load_b64 v[20:21], v[6:7], off
	s_mov_b32 s0, 0
	s_branch .LBB30_4451
.LBB30_4448:
	s_mov_b32 s0, -1
                                        ; implicit-def: $vgpr20_vgpr21
	s_branch .LBB30_4457
.LBB30_4449:
	s_mov_b32 s0, -1
                                        ; implicit-def: $vgpr20_vgpr21
	s_branch .LBB30_4454
.LBB30_4450:
	s_mov_b32 s0, -1
                                        ; implicit-def: $vgpr20_vgpr21
.LBB30_4451:
	s_delay_alu instid0(SALU_CYCLE_1)
	s_and_not1_b32 vcc_lo, exec_lo, s0
	s_cbranch_vccnz .LBB30_4453
; %bb.4452:
	s_wait_loadcnt 0x0
	global_load_b32 v20, v[6:7], off
	s_wait_loadcnt 0x0
	v_ashrrev_i32_e32 v21, 31, v20
.LBB30_4453:
	s_mov_b32 s0, 0
.LBB30_4454:
	s_delay_alu instid0(SALU_CYCLE_1)
	s_and_not1_b32 vcc_lo, exec_lo, s0
	s_cbranch_vccnz .LBB30_4456
; %bb.4455:
	global_load_u16 v5, v[6:7], off
	s_wait_loadcnt 0x0
	v_bfe_i32 v20, v5, 0, 16
	s_delay_alu instid0(VALU_DEP_1)
	v_ashrrev_i32_e32 v21, 31, v20
.LBB30_4456:
	s_mov_b32 s0, 0
.LBB30_4457:
	s_delay_alu instid0(SALU_CYCLE_1)
	s_and_not1_b32 vcc_lo, exec_lo, s0
	s_cbranch_vccnz .LBB30_4463
; %bb.4458:
	s_cmp_gt_i32 s56, 0
	s_mov_b32 s0, 0
	s_cbranch_scc0 .LBB30_4460
; %bb.4459:
	global_load_i8 v5, v[6:7], off
	s_wait_loadcnt 0x0
	v_bfe_i32 v20, v5, 0, 16
	s_delay_alu instid0(VALU_DEP_1)
	v_ashrrev_i32_e32 v21, 31, v20
	s_branch .LBB30_4461
.LBB30_4460:
	s_mov_b32 s0, -1
                                        ; implicit-def: $vgpr20_vgpr21
.LBB30_4461:
	s_delay_alu instid0(SALU_CYCLE_1)
	s_and_not1_b32 vcc_lo, exec_lo, s0
	s_cbranch_vccnz .LBB30_4463
; %bb.4462:
	global_load_u8 v5, v[6:7], off
	s_mov_b32 s0, 0
	s_wait_loadcnt 0x1
	v_mov_b32_e32 v21, s0
	s_wait_loadcnt 0x0
	v_and_b32_e32 v20, 0xffff, v5
.LBB30_4463:
	s_mov_b32 s5, -1
.LBB30_4464:
	s_delay_alu instid0(SALU_CYCLE_1)
	s_and_not1_b32 vcc_lo, exec_lo, s5
	s_cbranch_vccnz .LBB30_4984
; %bb.4465:
	s_lshl_b32 s70, s61, 7
	s_cmp_lt_i32 s57, 11
	s_wait_xcnt 0x0
	v_add_nc_u32_e32 v6, s70, v12
	s_delay_alu instid0(VALU_DEP_1) | instskip(NEXT) | instid1(VALU_DEP_1)
	v_ashrrev_i32_e32 v7, 31, v6
	v_add_nc_u64_e32 v[8:9], s[8:9], v[6:7]
	s_cbranch_scc1 .LBB30_4472
; %bb.4466:
	s_cmp_gt_i32 s57, 25
	s_mov_b32 s1, 0
	s_cbranch_scc0 .LBB30_4473
; %bb.4467:
	s_cmp_gt_i32 s57, 28
	s_cbranch_scc0 .LBB30_4474
; %bb.4468:
	s_cmp_gt_i32 s57, 43
	;; [unrolled: 3-line block ×3, first 2 shown]
	s_cbranch_scc0 .LBB30_4477
; %bb.4470:
	s_cmp_eq_u32 s57, 46
	s_mov_b32 s20, 0
	s_cbranch_scc0 .LBB30_4479
; %bb.4471:
	global_load_b32 v5, v[8:9], off
	s_mov_b32 s0, 0
	s_mov_b32 s5, -1
	s_wait_loadcnt 0x0
	v_lshlrev_b32_e32 v5, 16, v5
	s_delay_alu instid0(VALU_DEP_1) | instskip(NEXT) | instid1(VALU_DEP_1)
	v_trunc_f32_e32 v5, v5
	v_mul_f32_e64 v7, 0x2f800000, |v5|
	v_ashrrev_i32_e32 v10, 31, v5
	s_delay_alu instid0(VALU_DEP_2) | instskip(NEXT) | instid1(VALU_DEP_1)
	v_floor_f32_e32 v7, v7
	v_fma_f32 v11, 0xcf800000, v7, |v5|
	v_cvt_u32_f32_e32 v5, v7
	s_delay_alu instid0(VALU_DEP_2) | instskip(NEXT) | instid1(VALU_DEP_2)
	v_cvt_u32_f32_e32 v7, v11
	v_dual_mov_b32 v11, v10 :: v_dual_bitop2_b32 v13, v5, v10 bitop3:0x14
	s_delay_alu instid0(VALU_DEP_2) | instskip(NEXT) | instid1(VALU_DEP_1)
	v_xor_b32_e32 v12, v7, v10
	v_sub_nc_u64_e32 v[22:23], v[12:13], v[10:11]
	s_branch .LBB30_4481
.LBB30_4472:
	s_mov_b32 s0, -1
	s_mov_b32 s5, 0
                                        ; implicit-def: $vgpr22_vgpr23
	s_branch .LBB30_4543
.LBB30_4473:
	s_mov_b32 s20, -1
	s_mov_b32 s5, 0
	s_mov_b32 s0, 0
                                        ; implicit-def: $vgpr22_vgpr23
	s_branch .LBB30_4508
.LBB30_4474:
	s_mov_b32 s20, -1
	s_mov_b32 s5, 0
	s_mov_b32 s0, 0
                                        ; implicit-def: $vgpr22_vgpr23
	s_branch .LBB30_4491
.LBB30_4475:
	s_mov_b32 s20, -1
	s_mov_b32 s5, 0
	s_mov_b32 s0, 0
                                        ; implicit-def: $vgpr22_vgpr23
	s_branch .LBB30_4486
.LBB30_4476:
	s_or_b32 s55, s53, exec_lo
	s_trap 2
	s_cbranch_execz .LBB30_4413
	s_branch .LBB30_4414
.LBB30_4477:
	s_mov_b32 s20, -1
	s_mov_b32 s5, 0
	s_mov_b32 s0, 0
	s_branch .LBB30_4480
.LBB30_4478:
	s_or_b32 s44, s44, exec_lo
	s_trap 2
                                        ; implicit-def: $vgpr8
                                        ; implicit-def: $vgpr12
                                        ; implicit-def: $vgpr22_vgpr23
                                        ; implicit-def: $vgpr14
                                        ; implicit-def: $vgpr4_vgpr5
                                        ; implicit-def: $vgpr16
                                        ; implicit-def: $vgpr6_vgpr7
                                        ; implicit-def: $vgpr18
                                        ; implicit-def: $vgpr24_vgpr25
                                        ; implicit-def: $vgpr0_vgpr1
                                        ; implicit-def: $vgpr2_vgpr3
                                        ; implicit-def: $vgpr26
	s_branch .LBB30_4311
.LBB30_4479:
	s_mov_b32 s0, -1
	s_mov_b32 s5, 0
.LBB30_4480:
                                        ; implicit-def: $vgpr22_vgpr23
.LBB30_4481:
	s_and_b32 vcc_lo, exec_lo, s20
	s_cbranch_vccz .LBB30_4485
; %bb.4482:
	s_cmp_eq_u32 s57, 44
	s_cbranch_scc0 .LBB30_4484
; %bb.4483:
	global_load_u8 v5, v[8:9], off
	s_mov_b32 s0, 0
	s_mov_b32 s5, -1
	s_wait_loadcnt 0x0
	v_lshlrev_b32_e32 v7, 23, v5
	v_cmp_ne_u32_e32 vcc_lo, 0, v5
	s_delay_alu instid0(VALU_DEP_2) | instskip(NEXT) | instid1(VALU_DEP_1)
	v_trunc_f32_e32 v7, v7
	v_mul_f32_e64 v10, 0x2f800000, |v7|
	s_delay_alu instid0(VALU_DEP_1) | instskip(SKIP_1) | instid1(VALU_DEP_2)
	v_floor_f32_e32 v11, v10
	v_ashrrev_i32_e32 v10, 31, v7
	v_fma_f32 v12, 0xcf800000, v11, |v7|
	v_cvt_u32_f32_e32 v7, v11
	s_delay_alu instid0(VALU_DEP_3) | instskip(NEXT) | instid1(VALU_DEP_3)
	v_mov_b32_e32 v11, v10
	v_cvt_u32_f32_e32 v12, v12
	s_delay_alu instid0(VALU_DEP_3) | instskip(NEXT) | instid1(VALU_DEP_2)
	v_xor_b32_e32 v13, v7, v10
	v_xor_b32_e32 v12, v12, v10
	s_delay_alu instid0(VALU_DEP_1) | instskip(NEXT) | instid1(VALU_DEP_1)
	v_sub_nc_u64_e32 v[10:11], v[12:13], v[10:11]
	v_dual_cndmask_b32 v23, 0, v11 :: v_dual_cndmask_b32 v22, 0, v10
	s_branch .LBB30_4485
.LBB30_4484:
	s_mov_b32 s0, -1
                                        ; implicit-def: $vgpr22_vgpr23
.LBB30_4485:
	s_mov_b32 s20, 0
.LBB30_4486:
	s_delay_alu instid0(SALU_CYCLE_1)
	s_and_b32 vcc_lo, exec_lo, s20
	s_cbranch_vccz .LBB30_4490
; %bb.4487:
	s_cmp_eq_u32 s57, 29
	s_cbranch_scc0 .LBB30_4489
; %bb.4488:
	global_load_b64 v[22:23], v[8:9], off
	s_mov_b32 s0, 0
	s_mov_b32 s5, -1
	s_branch .LBB30_4490
.LBB30_4489:
	s_mov_b32 s0, -1
                                        ; implicit-def: $vgpr22_vgpr23
.LBB30_4490:
	s_mov_b32 s20, 0
.LBB30_4491:
	s_delay_alu instid0(SALU_CYCLE_1)
	s_and_b32 vcc_lo, exec_lo, s20
	s_cbranch_vccz .LBB30_4507
; %bb.4492:
	s_cmp_lt_i32 s57, 27
	s_cbranch_scc1 .LBB30_4495
; %bb.4493:
	s_cmp_gt_i32 s57, 27
	s_cbranch_scc0 .LBB30_4496
; %bb.4494:
	s_wait_loadcnt 0x0
	global_load_b32 v22, v[8:9], off
	v_mov_b32_e32 v23, 0
	s_mov_b32 s5, 0
	s_branch .LBB30_4497
.LBB30_4495:
	s_mov_b32 s5, -1
                                        ; implicit-def: $vgpr22_vgpr23
	s_branch .LBB30_4500
.LBB30_4496:
	s_mov_b32 s5, -1
                                        ; implicit-def: $vgpr22_vgpr23
.LBB30_4497:
	s_delay_alu instid0(SALU_CYCLE_1)
	s_and_not1_b32 vcc_lo, exec_lo, s5
	s_cbranch_vccnz .LBB30_4499
; %bb.4498:
	global_load_u16 v5, v[8:9], off
	s_mov_b32 s5, 0
	s_wait_loadcnt 0x1
	v_mov_b32_e32 v23, s5
	s_wait_loadcnt 0x0
	v_and_b32_e32 v22, 0xffff, v5
.LBB30_4499:
	s_mov_b32 s5, 0
.LBB30_4500:
	s_delay_alu instid0(SALU_CYCLE_1)
	s_and_not1_b32 vcc_lo, exec_lo, s5
	s_cbranch_vccnz .LBB30_4506
; %bb.4501:
	global_load_u8 v5, v[8:9], off
	s_mov_b32 s20, 0
	s_mov_b32 s5, exec_lo
	s_wait_loadcnt 0x0
	v_cmpx_lt_i16_e32 0x7f, v5
	s_xor_b32 s5, exec_lo, s5
	s_cbranch_execz .LBB30_4518
; %bb.4502:
	v_cmp_ne_u16_e32 vcc_lo, 0x80, v5
	s_and_b32 s20, vcc_lo, exec_lo
	s_and_not1_saveexec_b32 s5, s5
	s_cbranch_execnz .LBB30_4519
.LBB30_4503:
	s_or_b32 exec_lo, exec_lo, s5
	v_mov_b64_e32 v[22:23], 0
	s_and_saveexec_b32 s5, s20
	s_cbranch_execz .LBB30_4505
.LBB30_4504:
	v_and_b32_e32 v7, 0xffff, v5
	s_delay_alu instid0(VALU_DEP_1) | instskip(SKIP_1) | instid1(VALU_DEP_2)
	v_dual_lshlrev_b32 v5, 24, v5 :: v_dual_bitop2_b32 v10, 7, v7 bitop3:0x40
	v_bfe_u32 v13, v7, 3, 4
	v_and_b32_e32 v5, 0x80000000, v5
	s_delay_alu instid0(VALU_DEP_3) | instskip(NEXT) | instid1(VALU_DEP_3)
	v_clz_i32_u32_e32 v11, v10
	v_cmp_eq_u32_e32 vcc_lo, 0, v13
	s_delay_alu instid0(VALU_DEP_2) | instskip(NEXT) | instid1(VALU_DEP_1)
	v_min_u32_e32 v11, 32, v11
	v_subrev_nc_u32_e32 v12, 28, v11
	v_sub_nc_u32_e32 v11, 29, v11
	s_delay_alu instid0(VALU_DEP_2) | instskip(NEXT) | instid1(VALU_DEP_2)
	v_lshlrev_b32_e32 v7, v12, v7
	v_cndmask_b32_e32 v11, v13, v11, vcc_lo
	s_delay_alu instid0(VALU_DEP_2) | instskip(NEXT) | instid1(VALU_DEP_1)
	v_and_b32_e32 v7, 7, v7
	v_cndmask_b32_e32 v7, v10, v7, vcc_lo
	s_delay_alu instid0(VALU_DEP_3) | instskip(NEXT) | instid1(VALU_DEP_2)
	v_lshl_add_u32 v10, v11, 23, 0x3b800000
	v_lshlrev_b32_e32 v7, 20, v7
	s_delay_alu instid0(VALU_DEP_1) | instskip(NEXT) | instid1(VALU_DEP_1)
	v_or3_b32 v5, v5, v10, v7
	v_trunc_f32_e32 v5, v5
	s_delay_alu instid0(VALU_DEP_1) | instskip(SKIP_1) | instid1(VALU_DEP_2)
	v_mul_f32_e64 v7, 0x2f800000, |v5|
	v_ashrrev_i32_e32 v10, 31, v5
	v_floor_f32_e32 v7, v7
	s_delay_alu instid0(VALU_DEP_1) | instskip(SKIP_1) | instid1(VALU_DEP_2)
	v_fma_f32 v11, 0xcf800000, v7, |v5|
	v_cvt_u32_f32_e32 v5, v7
	v_cvt_u32_f32_e32 v7, v11
	s_delay_alu instid0(VALU_DEP_2) | instskip(NEXT) | instid1(VALU_DEP_2)
	v_dual_mov_b32 v11, v10 :: v_dual_bitop2_b32 v13, v5, v10 bitop3:0x14
	v_xor_b32_e32 v12, v7, v10
	s_delay_alu instid0(VALU_DEP_1)
	v_sub_nc_u64_e32 v[22:23], v[12:13], v[10:11]
.LBB30_4505:
	s_or_b32 exec_lo, exec_lo, s5
.LBB30_4506:
	s_mov_b32 s5, -1
.LBB30_4507:
	s_mov_b32 s20, 0
.LBB30_4508:
	s_delay_alu instid0(SALU_CYCLE_1)
	s_and_b32 vcc_lo, exec_lo, s20
	s_cbranch_vccz .LBB30_4539
; %bb.4509:
	s_cmp_gt_i32 s57, 22
	s_cbranch_scc0 .LBB30_4517
; %bb.4510:
	s_cmp_lt_i32 s57, 24
	s_cbranch_scc1 .LBB30_4520
; %bb.4511:
	s_cmp_gt_i32 s57, 24
	s_cbranch_scc0 .LBB30_4521
; %bb.4512:
	global_load_u8 v5, v[8:9], off
	s_mov_b32 s5, 0
	s_mov_b32 s1, exec_lo
	s_wait_loadcnt 0x0
	v_cmpx_lt_i16_e32 0x7f, v5
	s_xor_b32 s1, exec_lo, s1
	s_cbranch_execz .LBB30_4533
; %bb.4513:
	v_cmp_ne_u16_e32 vcc_lo, 0x80, v5
	s_and_b32 s5, vcc_lo, exec_lo
	s_and_not1_saveexec_b32 s1, s1
	s_cbranch_execnz .LBB30_4534
.LBB30_4514:
	s_or_b32 exec_lo, exec_lo, s1
	v_mov_b64_e32 v[22:23], 0
	s_and_saveexec_b32 s1, s5
	s_cbranch_execz .LBB30_4516
.LBB30_4515:
	v_and_b32_e32 v7, 0xffff, v5
	s_delay_alu instid0(VALU_DEP_1) | instskip(SKIP_1) | instid1(VALU_DEP_2)
	v_dual_lshlrev_b32 v5, 24, v5 :: v_dual_bitop2_b32 v10, 3, v7 bitop3:0x40
	v_bfe_u32 v13, v7, 2, 5
	v_and_b32_e32 v5, 0x80000000, v5
	s_delay_alu instid0(VALU_DEP_3) | instskip(NEXT) | instid1(VALU_DEP_3)
	v_clz_i32_u32_e32 v11, v10
	v_cmp_eq_u32_e32 vcc_lo, 0, v13
	s_delay_alu instid0(VALU_DEP_2) | instskip(NEXT) | instid1(VALU_DEP_1)
	v_min_u32_e32 v11, 32, v11
	v_subrev_nc_u32_e32 v12, 29, v11
	v_sub_nc_u32_e32 v11, 30, v11
	s_delay_alu instid0(VALU_DEP_2) | instskip(NEXT) | instid1(VALU_DEP_2)
	v_lshlrev_b32_e32 v7, v12, v7
	v_cndmask_b32_e32 v11, v13, v11, vcc_lo
	s_delay_alu instid0(VALU_DEP_2) | instskip(NEXT) | instid1(VALU_DEP_1)
	v_and_b32_e32 v7, 3, v7
	v_cndmask_b32_e32 v7, v10, v7, vcc_lo
	s_delay_alu instid0(VALU_DEP_3) | instskip(NEXT) | instid1(VALU_DEP_2)
	v_lshl_add_u32 v10, v11, 23, 0x37800000
	v_lshlrev_b32_e32 v7, 21, v7
	s_delay_alu instid0(VALU_DEP_1) | instskip(NEXT) | instid1(VALU_DEP_1)
	v_or3_b32 v5, v5, v10, v7
	v_trunc_f32_e32 v5, v5
	s_delay_alu instid0(VALU_DEP_1) | instskip(SKIP_1) | instid1(VALU_DEP_2)
	v_mul_f32_e64 v7, 0x2f800000, |v5|
	v_ashrrev_i32_e32 v10, 31, v5
	v_floor_f32_e32 v7, v7
	s_delay_alu instid0(VALU_DEP_1) | instskip(SKIP_1) | instid1(VALU_DEP_2)
	v_fma_f32 v11, 0xcf800000, v7, |v5|
	v_cvt_u32_f32_e32 v5, v7
	v_cvt_u32_f32_e32 v7, v11
	s_delay_alu instid0(VALU_DEP_2) | instskip(NEXT) | instid1(VALU_DEP_2)
	v_dual_mov_b32 v11, v10 :: v_dual_bitop2_b32 v13, v5, v10 bitop3:0x14
	v_xor_b32_e32 v12, v7, v10
	s_delay_alu instid0(VALU_DEP_1)
	v_sub_nc_u64_e32 v[22:23], v[12:13], v[10:11]
.LBB30_4516:
	s_or_b32 exec_lo, exec_lo, s1
	s_mov_b32 s1, 0
	s_branch .LBB30_4522
.LBB30_4517:
	s_mov_b32 s1, -1
                                        ; implicit-def: $vgpr22_vgpr23
	s_branch .LBB30_4528
.LBB30_4518:
	s_and_not1_saveexec_b32 s5, s5
	s_cbranch_execz .LBB30_4503
.LBB30_4519:
	v_cmp_ne_u16_e32 vcc_lo, 0, v5
	s_and_not1_b32 s20, s20, exec_lo
	s_and_b32 s21, vcc_lo, exec_lo
	s_delay_alu instid0(SALU_CYCLE_1)
	s_or_b32 s20, s20, s21
	s_or_b32 exec_lo, exec_lo, s5
	v_mov_b64_e32 v[22:23], 0
	s_and_saveexec_b32 s5, s20
	s_cbranch_execnz .LBB30_4504
	s_branch .LBB30_4505
.LBB30_4520:
	s_mov_b32 s1, -1
                                        ; implicit-def: $vgpr22_vgpr23
	s_branch .LBB30_4525
.LBB30_4521:
	s_mov_b32 s1, -1
                                        ; implicit-def: $vgpr22_vgpr23
.LBB30_4522:
	s_delay_alu instid0(SALU_CYCLE_1)
	s_and_b32 vcc_lo, exec_lo, s1
	s_cbranch_vccz .LBB30_4524
; %bb.4523:
	global_load_u8 v5, v[8:9], off
	s_wait_loadcnt 0x0
	v_lshlrev_b32_e32 v5, 24, v5
	s_delay_alu instid0(VALU_DEP_1) | instskip(NEXT) | instid1(VALU_DEP_1)
	v_and_b32_e32 v7, 0x7f000000, v5
	v_clz_i32_u32_e32 v10, v7
	v_cmp_ne_u32_e32 vcc_lo, 0, v7
	v_add_nc_u32_e32 v12, 0x1000000, v7
	s_delay_alu instid0(VALU_DEP_3) | instskip(NEXT) | instid1(VALU_DEP_1)
	v_min_u32_e32 v10, 32, v10
	v_sub_nc_u32_e64 v10, v10, 4 clamp
	s_delay_alu instid0(VALU_DEP_1) | instskip(NEXT) | instid1(VALU_DEP_1)
	v_dual_lshlrev_b32 v11, v10, v7 :: v_dual_lshlrev_b32 v10, 23, v10
	v_lshrrev_b32_e32 v11, 4, v11
	s_delay_alu instid0(VALU_DEP_1) | instskip(NEXT) | instid1(VALU_DEP_1)
	v_dual_sub_nc_u32 v10, v11, v10 :: v_dual_ashrrev_i32 v11, 8, v12
	v_add_nc_u32_e32 v10, 0x3c000000, v10
	s_delay_alu instid0(VALU_DEP_1) | instskip(NEXT) | instid1(VALU_DEP_1)
	v_and_or_b32 v10, 0x7f800000, v11, v10
	v_cndmask_b32_e32 v7, 0, v10, vcc_lo
	s_delay_alu instid0(VALU_DEP_1) | instskip(NEXT) | instid1(VALU_DEP_1)
	v_and_or_b32 v5, 0x80000000, v5, v7
	v_trunc_f32_e32 v5, v5
	s_delay_alu instid0(VALU_DEP_1) | instskip(SKIP_1) | instid1(VALU_DEP_2)
	v_mul_f32_e64 v7, 0x2f800000, |v5|
	v_ashrrev_i32_e32 v10, 31, v5
	v_floor_f32_e32 v7, v7
	s_delay_alu instid0(VALU_DEP_1) | instskip(SKIP_1) | instid1(VALU_DEP_2)
	v_fma_f32 v11, 0xcf800000, v7, |v5|
	v_cvt_u32_f32_e32 v5, v7
	v_cvt_u32_f32_e32 v7, v11
	s_delay_alu instid0(VALU_DEP_2) | instskip(NEXT) | instid1(VALU_DEP_2)
	v_dual_mov_b32 v11, v10 :: v_dual_bitop2_b32 v13, v5, v10 bitop3:0x14
	v_xor_b32_e32 v12, v7, v10
	s_delay_alu instid0(VALU_DEP_1)
	v_sub_nc_u64_e32 v[22:23], v[12:13], v[10:11]
.LBB30_4524:
	s_mov_b32 s1, 0
.LBB30_4525:
	s_delay_alu instid0(SALU_CYCLE_1)
	s_and_not1_b32 vcc_lo, exec_lo, s1
	s_cbranch_vccnz .LBB30_4527
; %bb.4526:
	global_load_u8 v5, v[8:9], off
	s_wait_loadcnt 0x0
	v_lshlrev_b32_e32 v7, 25, v5
	v_lshlrev_b16 v5, 8, v5
	s_delay_alu instid0(VALU_DEP_1) | instskip(SKIP_1) | instid1(VALU_DEP_2)
	v_and_or_b32 v11, 0x7f00, v5, 0.5
	v_bfe_i32 v5, v5, 0, 16
	v_add_f32_e32 v11, -0.5, v11
	v_lshrrev_b32_e32 v10, 4, v7
	v_cmp_gt_u32_e32 vcc_lo, 0x8000000, v7
	s_delay_alu instid0(VALU_DEP_2) | instskip(NEXT) | instid1(VALU_DEP_1)
	v_or_b32_e32 v10, 0x70000000, v10
	v_mul_f32_e32 v10, 0x7800000, v10
	s_delay_alu instid0(VALU_DEP_1) | instskip(NEXT) | instid1(VALU_DEP_1)
	v_cndmask_b32_e32 v7, v10, v11, vcc_lo
	v_and_or_b32 v5, 0x80000000, v5, v7
	s_delay_alu instid0(VALU_DEP_1) | instskip(NEXT) | instid1(VALU_DEP_1)
	v_trunc_f32_e32 v5, v5
	v_mul_f32_e64 v7, 0x2f800000, |v5|
	v_ashrrev_i32_e32 v10, 31, v5
	s_delay_alu instid0(VALU_DEP_2) | instskip(NEXT) | instid1(VALU_DEP_1)
	v_floor_f32_e32 v7, v7
	v_fma_f32 v11, 0xcf800000, v7, |v5|
	v_cvt_u32_f32_e32 v5, v7
	s_delay_alu instid0(VALU_DEP_2) | instskip(NEXT) | instid1(VALU_DEP_2)
	v_cvt_u32_f32_e32 v7, v11
	v_dual_mov_b32 v11, v10 :: v_dual_bitop2_b32 v13, v5, v10 bitop3:0x14
	s_delay_alu instid0(VALU_DEP_2) | instskip(NEXT) | instid1(VALU_DEP_1)
	v_xor_b32_e32 v12, v7, v10
	v_sub_nc_u64_e32 v[22:23], v[12:13], v[10:11]
.LBB30_4527:
	s_mov_b32 s1, 0
	s_mov_b32 s5, -1
.LBB30_4528:
	s_and_not1_b32 vcc_lo, exec_lo, s1
	s_mov_b32 s1, 0
	s_cbranch_vccnz .LBB30_4539
; %bb.4529:
	s_cmp_gt_i32 s57, 14
	s_cbranch_scc0 .LBB30_4532
; %bb.4530:
	s_cmp_eq_u32 s57, 15
	s_cbranch_scc0 .LBB30_4535
; %bb.4531:
	global_load_u16 v5, v[8:9], off
	s_mov_b32 s0, 0
	s_mov_b32 s5, -1
	s_wait_loadcnt 0x0
	v_lshlrev_b32_e32 v5, 16, v5
	s_delay_alu instid0(VALU_DEP_1) | instskip(NEXT) | instid1(VALU_DEP_1)
	v_trunc_f32_e32 v5, v5
	v_mul_f32_e64 v7, 0x2f800000, |v5|
	v_ashrrev_i32_e32 v10, 31, v5
	s_delay_alu instid0(VALU_DEP_2) | instskip(NEXT) | instid1(VALU_DEP_1)
	v_floor_f32_e32 v7, v7
	v_fma_f32 v11, 0xcf800000, v7, |v5|
	v_cvt_u32_f32_e32 v5, v7
	s_delay_alu instid0(VALU_DEP_2) | instskip(NEXT) | instid1(VALU_DEP_2)
	v_cvt_u32_f32_e32 v7, v11
	v_dual_mov_b32 v11, v10 :: v_dual_bitop2_b32 v13, v5, v10 bitop3:0x14
	s_delay_alu instid0(VALU_DEP_2) | instskip(NEXT) | instid1(VALU_DEP_1)
	v_xor_b32_e32 v12, v7, v10
	v_sub_nc_u64_e32 v[22:23], v[12:13], v[10:11]
	s_branch .LBB30_4537
.LBB30_4532:
	s_mov_b32 s1, -1
	s_branch .LBB30_4536
.LBB30_4533:
	s_and_not1_saveexec_b32 s1, s1
	s_cbranch_execz .LBB30_4514
.LBB30_4534:
	v_cmp_ne_u16_e32 vcc_lo, 0, v5
	s_and_not1_b32 s5, s5, exec_lo
	s_and_b32 s20, vcc_lo, exec_lo
	s_delay_alu instid0(SALU_CYCLE_1)
	s_or_b32 s5, s5, s20
	s_or_b32 exec_lo, exec_lo, s1
	v_mov_b64_e32 v[22:23], 0
	s_and_saveexec_b32 s1, s5
	s_cbranch_execnz .LBB30_4515
	s_branch .LBB30_4516
.LBB30_4535:
	s_mov_b32 s0, -1
.LBB30_4536:
                                        ; implicit-def: $vgpr22_vgpr23
.LBB30_4537:
	s_and_b32 vcc_lo, exec_lo, s1
	s_mov_b32 s1, 0
	s_cbranch_vccz .LBB30_4539
; %bb.4538:
	s_cmp_lg_u32 s57, 11
	s_mov_b32 s1, -1
	s_cselect_b32 s0, -1, 0
.LBB30_4539:
	s_delay_alu instid0(SALU_CYCLE_1)
	s_and_b32 vcc_lo, exec_lo, s0
	s_cbranch_vccnz .LBB30_4604
; %bb.4540:
	s_and_not1_b32 vcc_lo, exec_lo, s1
	s_cbranch_vccnz .LBB30_4542
.LBB30_4541:
	global_load_u8 v5, v[8:9], off
	s_mov_b32 s0, 0
	s_mov_b32 s5, -1
	s_wait_loadcnt 0x1
	v_mov_b32_e32 v23, s0
	s_wait_loadcnt 0x0
	v_cmp_ne_u16_e32 vcc_lo, 0, v5
	v_cndmask_b32_e64 v22, 0, 1, vcc_lo
.LBB30_4542:
	s_mov_b32 s0, 0
.LBB30_4543:
	s_delay_alu instid0(SALU_CYCLE_1)
	s_and_b32 vcc_lo, exec_lo, s0
	s_cbranch_vccz .LBB30_4592
; %bb.4544:
	s_cmp_lt_i32 s57, 5
	s_cbranch_scc1 .LBB30_4549
; %bb.4545:
	s_cmp_lt_i32 s57, 8
	s_cbranch_scc1 .LBB30_4550
	;; [unrolled: 3-line block ×3, first 2 shown]
; %bb.4547:
	s_cmp_gt_i32 s57, 9
	s_cbranch_scc0 .LBB30_4552
; %bb.4548:
	global_load_b64 v[10:11], v[8:9], off
	s_mov_b32 s0, 0
	s_wait_loadcnt 0x0
	v_trunc_f64_e32 v[10:11], v[10:11]
	s_delay_alu instid0(VALU_DEP_1) | instskip(NEXT) | instid1(VALU_DEP_1)
	v_ldexp_f64 v[12:13], v[10:11], 0xffffffe0
	v_floor_f64_e32 v[12:13], v[12:13]
	s_delay_alu instid0(VALU_DEP_1) | instskip(SKIP_1) | instid1(VALU_DEP_2)
	v_fmamk_f64 v[10:11], v[12:13], 0xc1f00000, v[10:11]
	v_cvt_i32_f64_e32 v23, v[12:13]
	v_cvt_u32_f64_e32 v22, v[10:11]
	s_branch .LBB30_4553
.LBB30_4549:
	s_mov_b32 s0, -1
                                        ; implicit-def: $vgpr22_vgpr23
	s_branch .LBB30_4571
.LBB30_4550:
	s_mov_b32 s0, -1
                                        ; implicit-def: $vgpr22_vgpr23
	s_branch .LBB30_4559
.LBB30_4551:
	s_mov_b32 s0, -1
                                        ; implicit-def: $vgpr22_vgpr23
	s_branch .LBB30_4556
.LBB30_4552:
	s_mov_b32 s0, -1
                                        ; implicit-def: $vgpr22_vgpr23
.LBB30_4553:
	s_delay_alu instid0(SALU_CYCLE_1)
	s_and_not1_b32 vcc_lo, exec_lo, s0
	s_cbranch_vccnz .LBB30_4555
; %bb.4554:
	global_load_b32 v5, v[8:9], off
	s_wait_loadcnt 0x0
	v_trunc_f32_e32 v5, v5
	s_delay_alu instid0(VALU_DEP_1) | instskip(SKIP_1) | instid1(VALU_DEP_2)
	v_mul_f32_e64 v7, 0x2f800000, |v5|
	v_ashrrev_i32_e32 v10, 31, v5
	v_floor_f32_e32 v7, v7
	s_delay_alu instid0(VALU_DEP_1) | instskip(SKIP_1) | instid1(VALU_DEP_2)
	v_fma_f32 v11, 0xcf800000, v7, |v5|
	v_cvt_u32_f32_e32 v5, v7
	v_cvt_u32_f32_e32 v7, v11
	s_delay_alu instid0(VALU_DEP_2) | instskip(NEXT) | instid1(VALU_DEP_2)
	v_dual_mov_b32 v11, v10 :: v_dual_bitop2_b32 v13, v5, v10 bitop3:0x14
	v_xor_b32_e32 v12, v7, v10
	s_delay_alu instid0(VALU_DEP_1)
	v_sub_nc_u64_e32 v[22:23], v[12:13], v[10:11]
.LBB30_4555:
	s_mov_b32 s0, 0
.LBB30_4556:
	s_delay_alu instid0(SALU_CYCLE_1)
	s_and_not1_b32 vcc_lo, exec_lo, s0
	s_cbranch_vccnz .LBB30_4558
; %bb.4557:
	global_load_b32 v5, v[8:9], off
	s_wait_loadcnt 0x0
	v_cvt_f32_f16_e32 v5, v5
	s_delay_alu instid0(VALU_DEP_1) | instskip(NEXT) | instid1(VALU_DEP_1)
	v_cvt_i32_f32_e32 v22, v5
	v_ashrrev_i32_e32 v23, 31, v22
.LBB30_4558:
	s_mov_b32 s0, 0
.LBB30_4559:
	s_delay_alu instid0(SALU_CYCLE_1)
	s_and_not1_b32 vcc_lo, exec_lo, s0
	s_cbranch_vccnz .LBB30_4570
; %bb.4560:
	s_cmp_lt_i32 s57, 6
	s_cbranch_scc1 .LBB30_4563
; %bb.4561:
	s_cmp_gt_i32 s57, 6
	s_cbranch_scc0 .LBB30_4564
; %bb.4562:
	global_load_b64 v[10:11], v[8:9], off
	s_mov_b32 s0, 0
	s_wait_loadcnt 0x0
	v_trunc_f64_e32 v[10:11], v[10:11]
	s_delay_alu instid0(VALU_DEP_1) | instskip(NEXT) | instid1(VALU_DEP_1)
	v_ldexp_f64 v[12:13], v[10:11], 0xffffffe0
	v_floor_f64_e32 v[12:13], v[12:13]
	s_delay_alu instid0(VALU_DEP_1) | instskip(SKIP_1) | instid1(VALU_DEP_2)
	v_fmamk_f64 v[10:11], v[12:13], 0xc1f00000, v[10:11]
	v_cvt_i32_f64_e32 v23, v[12:13]
	v_cvt_u32_f64_e32 v22, v[10:11]
	s_branch .LBB30_4565
.LBB30_4563:
	s_mov_b32 s0, -1
                                        ; implicit-def: $vgpr22_vgpr23
	s_branch .LBB30_4568
.LBB30_4564:
	s_mov_b32 s0, -1
                                        ; implicit-def: $vgpr22_vgpr23
.LBB30_4565:
	s_delay_alu instid0(SALU_CYCLE_1)
	s_and_not1_b32 vcc_lo, exec_lo, s0
	s_cbranch_vccnz .LBB30_4567
; %bb.4566:
	global_load_b32 v5, v[8:9], off
	s_wait_loadcnt 0x0
	v_trunc_f32_e32 v5, v5
	s_delay_alu instid0(VALU_DEP_1) | instskip(SKIP_1) | instid1(VALU_DEP_2)
	v_mul_f32_e64 v7, 0x2f800000, |v5|
	v_ashrrev_i32_e32 v10, 31, v5
	v_floor_f32_e32 v7, v7
	s_delay_alu instid0(VALU_DEP_1) | instskip(SKIP_1) | instid1(VALU_DEP_2)
	v_fma_f32 v11, 0xcf800000, v7, |v5|
	v_cvt_u32_f32_e32 v5, v7
	v_cvt_u32_f32_e32 v7, v11
	s_delay_alu instid0(VALU_DEP_2) | instskip(NEXT) | instid1(VALU_DEP_2)
	v_dual_mov_b32 v11, v10 :: v_dual_bitop2_b32 v13, v5, v10 bitop3:0x14
	v_xor_b32_e32 v12, v7, v10
	s_delay_alu instid0(VALU_DEP_1)
	v_sub_nc_u64_e32 v[22:23], v[12:13], v[10:11]
.LBB30_4567:
	s_mov_b32 s0, 0
.LBB30_4568:
	s_delay_alu instid0(SALU_CYCLE_1)
	s_and_not1_b32 vcc_lo, exec_lo, s0
	s_cbranch_vccnz .LBB30_4570
; %bb.4569:
	global_load_u16 v5, v[8:9], off
	s_wait_loadcnt 0x0
	v_cvt_f32_f16_e32 v5, v5
	s_delay_alu instid0(VALU_DEP_1) | instskip(NEXT) | instid1(VALU_DEP_1)
	v_cvt_i32_f32_e32 v22, v5
	v_ashrrev_i32_e32 v23, 31, v22
.LBB30_4570:
	s_mov_b32 s0, 0
.LBB30_4571:
	s_delay_alu instid0(SALU_CYCLE_1)
	s_and_not1_b32 vcc_lo, exec_lo, s0
	s_cbranch_vccnz .LBB30_4591
; %bb.4572:
	s_cmp_lt_i32 s57, 2
	s_cbranch_scc1 .LBB30_4576
; %bb.4573:
	s_cmp_lt_i32 s57, 3
	s_cbranch_scc1 .LBB30_4577
; %bb.4574:
	s_cmp_gt_i32 s57, 3
	s_cbranch_scc0 .LBB30_4578
; %bb.4575:
	s_wait_loadcnt 0x0
	global_load_b64 v[22:23], v[8:9], off
	s_mov_b32 s0, 0
	s_branch .LBB30_4579
.LBB30_4576:
	s_mov_b32 s0, -1
                                        ; implicit-def: $vgpr22_vgpr23
	s_branch .LBB30_4585
.LBB30_4577:
	s_mov_b32 s0, -1
                                        ; implicit-def: $vgpr22_vgpr23
	s_branch .LBB30_4582
.LBB30_4578:
	s_mov_b32 s0, -1
                                        ; implicit-def: $vgpr22_vgpr23
.LBB30_4579:
	s_delay_alu instid0(SALU_CYCLE_1)
	s_and_not1_b32 vcc_lo, exec_lo, s0
	s_cbranch_vccnz .LBB30_4581
; %bb.4580:
	s_wait_loadcnt 0x0
	global_load_b32 v22, v[8:9], off
	s_wait_loadcnt 0x0
	v_ashrrev_i32_e32 v23, 31, v22
.LBB30_4581:
	s_mov_b32 s0, 0
.LBB30_4582:
	s_delay_alu instid0(SALU_CYCLE_1)
	s_and_not1_b32 vcc_lo, exec_lo, s0
	s_cbranch_vccnz .LBB30_4584
; %bb.4583:
	global_load_u16 v5, v[8:9], off
	s_wait_loadcnt 0x0
	v_bfe_i32 v22, v5, 0, 16
	s_delay_alu instid0(VALU_DEP_1)
	v_ashrrev_i32_e32 v23, 31, v22
.LBB30_4584:
	s_mov_b32 s0, 0
.LBB30_4585:
	s_delay_alu instid0(SALU_CYCLE_1)
	s_and_not1_b32 vcc_lo, exec_lo, s0
	s_cbranch_vccnz .LBB30_4591
; %bb.4586:
	s_cmp_gt_i32 s57, 0
	s_mov_b32 s0, 0
	s_cbranch_scc0 .LBB30_4588
; %bb.4587:
	global_load_i8 v5, v[8:9], off
	s_wait_loadcnt 0x0
	v_bfe_i32 v22, v5, 0, 16
	s_delay_alu instid0(VALU_DEP_1)
	v_ashrrev_i32_e32 v23, 31, v22
	s_branch .LBB30_4589
.LBB30_4588:
	s_mov_b32 s0, -1
                                        ; implicit-def: $vgpr22_vgpr23
.LBB30_4589:
	s_delay_alu instid0(SALU_CYCLE_1)
	s_and_not1_b32 vcc_lo, exec_lo, s0
	s_cbranch_vccnz .LBB30_4591
; %bb.4590:
	global_load_u8 v5, v[8:9], off
	s_mov_b32 s0, 0
	s_wait_loadcnt 0x1
	v_mov_b32_e32 v23, s0
	s_wait_loadcnt 0x0
	v_and_b32_e32 v22, 0xffff, v5
.LBB30_4591:
	s_mov_b32 s5, -1
.LBB30_4592:
	s_delay_alu instid0(SALU_CYCLE_1)
	s_and_not1_b32 vcc_lo, exec_lo, s5
	s_cbranch_vccnz .LBB30_4984
; %bb.4593:
	s_wait_xcnt 0x0
	v_add_nc_u32_e32 v8, s62, v14
	s_cmp_lt_i32 s58, 11
	s_delay_alu instid0(VALU_DEP_1) | instskip(NEXT) | instid1(VALU_DEP_1)
	v_ashrrev_i32_e32 v9, 31, v8
	v_add_nc_u64_e32 v[10:11], s[10:11], v[8:9]
	s_cbranch_scc1 .LBB30_4600
; %bb.4594:
	s_cmp_gt_i32 s58, 25
	s_mov_b32 s1, 0
	s_cbranch_scc0 .LBB30_4601
; %bb.4595:
	s_cmp_gt_i32 s58, 28
	s_cbranch_scc0 .LBB30_4602
; %bb.4596:
	s_cmp_gt_i32 s58, 43
	;; [unrolled: 3-line block ×3, first 2 shown]
	s_cbranch_scc0 .LBB30_4605
; %bb.4598:
	s_cmp_eq_u32 s58, 46
	s_mov_b32 s20, 0
	s_cbranch_scc0 .LBB30_4607
; %bb.4599:
	global_load_b32 v5, v[10:11], off
	s_mov_b32 s0, 0
	s_mov_b32 s5, -1
	s_wait_loadcnt 0x0
	v_lshlrev_b32_e32 v5, 16, v5
	s_delay_alu instid0(VALU_DEP_1) | instskip(NEXT) | instid1(VALU_DEP_1)
	v_trunc_f32_e32 v5, v5
	v_mul_f32_e64 v7, 0x2f800000, |v5|
	v_ashrrev_i32_e32 v12, 31, v5
	s_delay_alu instid0(VALU_DEP_2) | instskip(NEXT) | instid1(VALU_DEP_2)
	v_floor_f32_e32 v7, v7
	v_mov_b32_e32 v13, v12
	s_delay_alu instid0(VALU_DEP_2) | instskip(SKIP_1) | instid1(VALU_DEP_2)
	v_fma_f32 v9, 0xcf800000, v7, |v5|
	v_cvt_u32_f32_e32 v5, v7
	v_cvt_u32_f32_e32 v7, v9
	s_delay_alu instid0(VALU_DEP_2) | instskip(NEXT) | instid1(VALU_DEP_2)
	v_xor_b32_e32 v15, v5, v12
	v_xor_b32_e32 v14, v7, v12
	s_delay_alu instid0(VALU_DEP_1)
	v_sub_nc_u64_e32 v[14:15], v[14:15], v[12:13]
	s_branch .LBB30_4609
.LBB30_4600:
	s_mov_b32 s0, -1
	s_mov_b32 s5, 0
                                        ; implicit-def: $vgpr14_vgpr15
	s_branch .LBB30_4671
.LBB30_4601:
	s_mov_b32 s20, -1
	s_mov_b32 s5, 0
	s_mov_b32 s0, 0
                                        ; implicit-def: $vgpr14_vgpr15
	s_branch .LBB30_4636
.LBB30_4602:
	s_mov_b32 s20, -1
	s_mov_b32 s5, 0
	s_mov_b32 s0, 0
                                        ; implicit-def: $vgpr14_vgpr15
	s_branch .LBB30_4619
.LBB30_4603:
	s_mov_b32 s20, -1
	s_mov_b32 s5, 0
	s_mov_b32 s0, 0
                                        ; implicit-def: $vgpr14_vgpr15
	s_branch .LBB30_4614
.LBB30_4604:
	s_or_b32 s55, s55, exec_lo
	s_trap 2
	s_cbranch_execz .LBB30_4541
	s_branch .LBB30_4542
.LBB30_4605:
	s_mov_b32 s20, -1
	s_mov_b32 s5, 0
	s_mov_b32 s0, 0
	s_branch .LBB30_4608
.LBB30_4606:
	s_or_b32 s49, s44, exec_lo
	s_trap 2
                                        ; implicit-def: $vgpr8
                                        ; implicit-def: $vgpr12
                                        ; implicit-def: $vgpr14
                                        ; implicit-def: $vgpr4_vgpr5
                                        ; implicit-def: $vgpr16
                                        ; implicit-def: $vgpr6_vgpr7
                                        ; implicit-def: $vgpr18
                                        ; implicit-def: $vgpr24_vgpr25
                                        ; implicit-def: $vgpr0_vgpr1
                                        ; implicit-def: $vgpr2_vgpr3
                                        ; implicit-def: $vgpr26
	s_or_saveexec_b32 s50, s0
                                        ; implicit-def: $vgpr20_vgpr21
                                        ; implicit-def: $sgpr0
	s_delay_alu instid0(SALU_CYCLE_1)
	s_xor_b32 exec_lo, exec_lo, s50
	s_cbranch_execz .LBB30_4988
	s_branch .LBB30_4314
.LBB30_4607:
	s_mov_b32 s0, -1
	s_mov_b32 s5, 0
.LBB30_4608:
                                        ; implicit-def: $vgpr14_vgpr15
.LBB30_4609:
	s_and_b32 vcc_lo, exec_lo, s20
	s_cbranch_vccz .LBB30_4613
; %bb.4610:
	s_cmp_eq_u32 s58, 44
	s_cbranch_scc0 .LBB30_4612
; %bb.4611:
	global_load_u8 v5, v[10:11], off
	s_mov_b32 s0, 0
	s_mov_b32 s5, -1
	s_wait_loadcnt 0x0
	v_lshlrev_b32_e32 v7, 23, v5
	v_cmp_ne_u32_e32 vcc_lo, 0, v5
	s_delay_alu instid0(VALU_DEP_2) | instskip(NEXT) | instid1(VALU_DEP_1)
	v_trunc_f32_e32 v7, v7
	v_mul_f32_e64 v9, 0x2f800000, |v7|
	v_ashrrev_i32_e32 v12, 31, v7
	s_delay_alu instid0(VALU_DEP_2) | instskip(NEXT) | instid1(VALU_DEP_1)
	v_floor_f32_e32 v9, v9
	v_fma_f32 v13, 0xcf800000, v9, |v7|
	v_cvt_u32_f32_e32 v7, v9
	s_delay_alu instid0(VALU_DEP_2) | instskip(NEXT) | instid1(VALU_DEP_2)
	v_cvt_u32_f32_e32 v9, v13
	v_dual_mov_b32 v13, v12 :: v_dual_bitop2_b32 v15, v7, v12 bitop3:0x14
	s_delay_alu instid0(VALU_DEP_2) | instskip(NEXT) | instid1(VALU_DEP_1)
	v_xor_b32_e32 v14, v9, v12
	v_sub_nc_u64_e32 v[12:13], v[14:15], v[12:13]
	s_delay_alu instid0(VALU_DEP_1)
	v_dual_cndmask_b32 v15, 0, v13 :: v_dual_cndmask_b32 v14, 0, v12
	s_branch .LBB30_4613
.LBB30_4612:
	s_mov_b32 s0, -1
                                        ; implicit-def: $vgpr14_vgpr15
.LBB30_4613:
	s_mov_b32 s20, 0
.LBB30_4614:
	s_delay_alu instid0(SALU_CYCLE_1)
	s_and_b32 vcc_lo, exec_lo, s20
	s_cbranch_vccz .LBB30_4618
; %bb.4615:
	s_cmp_eq_u32 s58, 29
	s_cbranch_scc0 .LBB30_4617
; %bb.4616:
	global_load_b64 v[14:15], v[10:11], off
	s_mov_b32 s0, 0
	s_mov_b32 s5, -1
	s_branch .LBB30_4618
.LBB30_4617:
	s_mov_b32 s0, -1
                                        ; implicit-def: $vgpr14_vgpr15
.LBB30_4618:
	s_mov_b32 s20, 0
.LBB30_4619:
	s_delay_alu instid0(SALU_CYCLE_1)
	s_and_b32 vcc_lo, exec_lo, s20
	s_cbranch_vccz .LBB30_4635
; %bb.4620:
	s_cmp_lt_i32 s58, 27
	s_cbranch_scc1 .LBB30_4623
; %bb.4621:
	s_cmp_gt_i32 s58, 27
	s_cbranch_scc0 .LBB30_4624
; %bb.4622:
	s_wait_loadcnt 0x0
	global_load_b32 v14, v[10:11], off
	v_mov_b32_e32 v15, 0
	s_mov_b32 s5, 0
	s_branch .LBB30_4625
.LBB30_4623:
	s_mov_b32 s5, -1
                                        ; implicit-def: $vgpr14_vgpr15
	s_branch .LBB30_4628
.LBB30_4624:
	s_mov_b32 s5, -1
                                        ; implicit-def: $vgpr14_vgpr15
.LBB30_4625:
	s_delay_alu instid0(SALU_CYCLE_1)
	s_and_not1_b32 vcc_lo, exec_lo, s5
	s_cbranch_vccnz .LBB30_4627
; %bb.4626:
	global_load_u16 v5, v[10:11], off
	s_mov_b32 s5, 0
	s_wait_loadcnt 0x1
	v_mov_b32_e32 v15, s5
	s_wait_loadcnt 0x0
	v_and_b32_e32 v14, 0xffff, v5
.LBB30_4627:
	s_mov_b32 s5, 0
.LBB30_4628:
	s_delay_alu instid0(SALU_CYCLE_1)
	s_and_not1_b32 vcc_lo, exec_lo, s5
	s_cbranch_vccnz .LBB30_4634
; %bb.4629:
	global_load_u8 v5, v[10:11], off
	s_mov_b32 s20, 0
	s_mov_b32 s5, exec_lo
	s_wait_loadcnt 0x0
	v_cmpx_lt_i16_e32 0x7f, v5
	s_xor_b32 s5, exec_lo, s5
	s_cbranch_execz .LBB30_4646
; %bb.4630:
	v_cmp_ne_u16_e32 vcc_lo, 0x80, v5
	s_and_b32 s20, vcc_lo, exec_lo
	s_and_not1_saveexec_b32 s5, s5
	s_cbranch_execnz .LBB30_4647
.LBB30_4631:
	s_or_b32 exec_lo, exec_lo, s5
	v_mov_b64_e32 v[14:15], 0
	s_and_saveexec_b32 s5, s20
	s_cbranch_execz .LBB30_4633
.LBB30_4632:
	v_and_b32_e32 v7, 0xffff, v5
	s_delay_alu instid0(VALU_DEP_1) | instskip(SKIP_1) | instid1(VALU_DEP_2)
	v_and_b32_e32 v9, 7, v7
	v_bfe_u32 v14, v7, 3, 4
	v_clz_i32_u32_e32 v12, v9
	s_delay_alu instid0(VALU_DEP_2) | instskip(NEXT) | instid1(VALU_DEP_2)
	v_cmp_eq_u32_e32 vcc_lo, 0, v14
	v_min_u32_e32 v12, 32, v12
	s_delay_alu instid0(VALU_DEP_1) | instskip(NEXT) | instid1(VALU_DEP_1)
	v_subrev_nc_u32_e32 v13, 28, v12
	v_dual_lshlrev_b32 v7, v13, v7 :: v_dual_sub_nc_u32 v12, 29, v12
	s_delay_alu instid0(VALU_DEP_1) | instskip(NEXT) | instid1(VALU_DEP_1)
	v_dual_lshlrev_b32 v5, 24, v5 :: v_dual_bitop2_b32 v7, 7, v7 bitop3:0x40
	v_dual_cndmask_b32 v12, v14, v12 :: v_dual_cndmask_b32 v7, v9, v7
	s_delay_alu instid0(VALU_DEP_2) | instskip(NEXT) | instid1(VALU_DEP_2)
	v_and_b32_e32 v5, 0x80000000, v5
	v_lshl_add_u32 v9, v12, 23, 0x3b800000
	s_delay_alu instid0(VALU_DEP_3) | instskip(NEXT) | instid1(VALU_DEP_1)
	v_lshlrev_b32_e32 v7, 20, v7
	v_or3_b32 v5, v5, v9, v7
	s_delay_alu instid0(VALU_DEP_1) | instskip(NEXT) | instid1(VALU_DEP_1)
	v_trunc_f32_e32 v5, v5
	v_mul_f32_e64 v7, 0x2f800000, |v5|
	v_ashrrev_i32_e32 v12, 31, v5
	s_delay_alu instid0(VALU_DEP_2) | instskip(NEXT) | instid1(VALU_DEP_2)
	v_floor_f32_e32 v7, v7
	v_mov_b32_e32 v13, v12
	s_delay_alu instid0(VALU_DEP_2) | instskip(SKIP_1) | instid1(VALU_DEP_2)
	v_fma_f32 v9, 0xcf800000, v7, |v5|
	v_cvt_u32_f32_e32 v5, v7
	v_cvt_u32_f32_e32 v7, v9
	s_delay_alu instid0(VALU_DEP_2) | instskip(NEXT) | instid1(VALU_DEP_2)
	v_xor_b32_e32 v15, v5, v12
	v_xor_b32_e32 v14, v7, v12
	s_delay_alu instid0(VALU_DEP_1)
	v_sub_nc_u64_e32 v[14:15], v[14:15], v[12:13]
.LBB30_4633:
	s_or_b32 exec_lo, exec_lo, s5
.LBB30_4634:
	s_mov_b32 s5, -1
.LBB30_4635:
	s_mov_b32 s20, 0
.LBB30_4636:
	s_delay_alu instid0(SALU_CYCLE_1)
	s_and_b32 vcc_lo, exec_lo, s20
	s_cbranch_vccz .LBB30_4667
; %bb.4637:
	s_cmp_gt_i32 s58, 22
	s_cbranch_scc0 .LBB30_4645
; %bb.4638:
	s_cmp_lt_i32 s58, 24
	s_cbranch_scc1 .LBB30_4648
; %bb.4639:
	s_cmp_gt_i32 s58, 24
	s_cbranch_scc0 .LBB30_4649
; %bb.4640:
	global_load_u8 v5, v[10:11], off
	s_mov_b32 s5, 0
	s_mov_b32 s1, exec_lo
	s_wait_loadcnt 0x0
	v_cmpx_lt_i16_e32 0x7f, v5
	s_xor_b32 s1, exec_lo, s1
	s_cbranch_execz .LBB30_4661
; %bb.4641:
	v_cmp_ne_u16_e32 vcc_lo, 0x80, v5
	s_and_b32 s5, vcc_lo, exec_lo
	s_and_not1_saveexec_b32 s1, s1
	s_cbranch_execnz .LBB30_4662
.LBB30_4642:
	s_or_b32 exec_lo, exec_lo, s1
	v_mov_b64_e32 v[14:15], 0
	s_and_saveexec_b32 s1, s5
	s_cbranch_execz .LBB30_4644
.LBB30_4643:
	v_and_b32_e32 v7, 0xffff, v5
	s_delay_alu instid0(VALU_DEP_1) | instskip(SKIP_1) | instid1(VALU_DEP_2)
	v_and_b32_e32 v9, 3, v7
	v_bfe_u32 v14, v7, 2, 5
	v_clz_i32_u32_e32 v12, v9
	s_delay_alu instid0(VALU_DEP_2) | instskip(NEXT) | instid1(VALU_DEP_2)
	v_cmp_eq_u32_e32 vcc_lo, 0, v14
	v_min_u32_e32 v12, 32, v12
	s_delay_alu instid0(VALU_DEP_1) | instskip(NEXT) | instid1(VALU_DEP_1)
	v_subrev_nc_u32_e32 v13, 29, v12
	v_dual_lshlrev_b32 v7, v13, v7 :: v_dual_sub_nc_u32 v12, 30, v12
	s_delay_alu instid0(VALU_DEP_1) | instskip(NEXT) | instid1(VALU_DEP_1)
	v_dual_lshlrev_b32 v5, 24, v5 :: v_dual_bitop2_b32 v7, 3, v7 bitop3:0x40
	v_dual_cndmask_b32 v12, v14, v12 :: v_dual_cndmask_b32 v7, v9, v7
	s_delay_alu instid0(VALU_DEP_2) | instskip(NEXT) | instid1(VALU_DEP_2)
	v_and_b32_e32 v5, 0x80000000, v5
	v_lshl_add_u32 v9, v12, 23, 0x37800000
	s_delay_alu instid0(VALU_DEP_3) | instskip(NEXT) | instid1(VALU_DEP_1)
	v_lshlrev_b32_e32 v7, 21, v7
	v_or3_b32 v5, v5, v9, v7
	s_delay_alu instid0(VALU_DEP_1) | instskip(NEXT) | instid1(VALU_DEP_1)
	v_trunc_f32_e32 v5, v5
	v_mul_f32_e64 v7, 0x2f800000, |v5|
	v_ashrrev_i32_e32 v12, 31, v5
	s_delay_alu instid0(VALU_DEP_2) | instskip(NEXT) | instid1(VALU_DEP_2)
	v_floor_f32_e32 v7, v7
	v_mov_b32_e32 v13, v12
	s_delay_alu instid0(VALU_DEP_2) | instskip(SKIP_1) | instid1(VALU_DEP_2)
	v_fma_f32 v9, 0xcf800000, v7, |v5|
	v_cvt_u32_f32_e32 v5, v7
	v_cvt_u32_f32_e32 v7, v9
	s_delay_alu instid0(VALU_DEP_2) | instskip(NEXT) | instid1(VALU_DEP_2)
	v_xor_b32_e32 v15, v5, v12
	v_xor_b32_e32 v14, v7, v12
	s_delay_alu instid0(VALU_DEP_1)
	v_sub_nc_u64_e32 v[14:15], v[14:15], v[12:13]
.LBB30_4644:
	s_or_b32 exec_lo, exec_lo, s1
	s_mov_b32 s1, 0
	s_branch .LBB30_4650
.LBB30_4645:
	s_mov_b32 s1, -1
                                        ; implicit-def: $vgpr14_vgpr15
	s_branch .LBB30_4656
.LBB30_4646:
	s_and_not1_saveexec_b32 s5, s5
	s_cbranch_execz .LBB30_4631
.LBB30_4647:
	v_cmp_ne_u16_e32 vcc_lo, 0, v5
	s_and_not1_b32 s20, s20, exec_lo
	s_and_b32 s21, vcc_lo, exec_lo
	s_delay_alu instid0(SALU_CYCLE_1)
	s_or_b32 s20, s20, s21
	s_or_b32 exec_lo, exec_lo, s5
	v_mov_b64_e32 v[14:15], 0
	s_and_saveexec_b32 s5, s20
	s_cbranch_execnz .LBB30_4632
	s_branch .LBB30_4633
.LBB30_4648:
	s_mov_b32 s1, -1
                                        ; implicit-def: $vgpr14_vgpr15
	s_branch .LBB30_4653
.LBB30_4649:
	s_mov_b32 s1, -1
                                        ; implicit-def: $vgpr14_vgpr15
.LBB30_4650:
	s_delay_alu instid0(SALU_CYCLE_1)
	s_and_b32 vcc_lo, exec_lo, s1
	s_cbranch_vccz .LBB30_4652
; %bb.4651:
	global_load_u8 v5, v[10:11], off
	s_wait_loadcnt 0x0
	v_lshlrev_b32_e32 v5, 24, v5
	s_delay_alu instid0(VALU_DEP_1) | instskip(NEXT) | instid1(VALU_DEP_1)
	v_and_b32_e32 v7, 0x7f000000, v5
	v_clz_i32_u32_e32 v9, v7
	v_add_nc_u32_e32 v13, 0x1000000, v7
	v_cmp_ne_u32_e32 vcc_lo, 0, v7
	s_delay_alu instid0(VALU_DEP_3) | instskip(NEXT) | instid1(VALU_DEP_1)
	v_min_u32_e32 v9, 32, v9
	v_sub_nc_u32_e64 v9, v9, 4 clamp
	s_delay_alu instid0(VALU_DEP_1) | instskip(NEXT) | instid1(VALU_DEP_1)
	v_dual_lshlrev_b32 v12, v9, v7 :: v_dual_lshlrev_b32 v9, 23, v9
	v_lshrrev_b32_e32 v12, 4, v12
	s_delay_alu instid0(VALU_DEP_1) | instskip(SKIP_1) | instid1(VALU_DEP_2)
	v_sub_nc_u32_e32 v9, v12, v9
	v_ashrrev_i32_e32 v12, 8, v13
	v_add_nc_u32_e32 v9, 0x3c000000, v9
	s_delay_alu instid0(VALU_DEP_1) | instskip(NEXT) | instid1(VALU_DEP_1)
	v_and_or_b32 v9, 0x7f800000, v12, v9
	v_cndmask_b32_e32 v7, 0, v9, vcc_lo
	s_delay_alu instid0(VALU_DEP_1) | instskip(NEXT) | instid1(VALU_DEP_1)
	v_and_or_b32 v5, 0x80000000, v5, v7
	v_trunc_f32_e32 v5, v5
	s_delay_alu instid0(VALU_DEP_1) | instskip(SKIP_1) | instid1(VALU_DEP_2)
	v_mul_f32_e64 v7, 0x2f800000, |v5|
	v_ashrrev_i32_e32 v12, 31, v5
	v_floor_f32_e32 v7, v7
	s_delay_alu instid0(VALU_DEP_2) | instskip(NEXT) | instid1(VALU_DEP_2)
	v_mov_b32_e32 v13, v12
	v_fma_f32 v9, 0xcf800000, v7, |v5|
	v_cvt_u32_f32_e32 v5, v7
	s_delay_alu instid0(VALU_DEP_2) | instskip(NEXT) | instid1(VALU_DEP_2)
	v_cvt_u32_f32_e32 v7, v9
	v_xor_b32_e32 v15, v5, v12
	s_delay_alu instid0(VALU_DEP_2) | instskip(NEXT) | instid1(VALU_DEP_1)
	v_xor_b32_e32 v14, v7, v12
	v_sub_nc_u64_e32 v[14:15], v[14:15], v[12:13]
.LBB30_4652:
	s_mov_b32 s1, 0
.LBB30_4653:
	s_delay_alu instid0(SALU_CYCLE_1)
	s_and_not1_b32 vcc_lo, exec_lo, s1
	s_cbranch_vccnz .LBB30_4655
; %bb.4654:
	global_load_u8 v5, v[10:11], off
	s_wait_loadcnt 0x0
	v_lshlrev_b32_e32 v7, 25, v5
	v_lshlrev_b16 v5, 8, v5
	s_delay_alu instid0(VALU_DEP_1) | instskip(SKIP_1) | instid1(VALU_DEP_2)
	v_and_or_b32 v12, 0x7f00, v5, 0.5
	v_bfe_i32 v5, v5, 0, 16
	v_dual_add_f32 v12, -0.5, v12 :: v_dual_lshrrev_b32 v9, 4, v7
	v_cmp_gt_u32_e32 vcc_lo, 0x8000000, v7
	s_delay_alu instid0(VALU_DEP_2) | instskip(NEXT) | instid1(VALU_DEP_1)
	v_or_b32_e32 v9, 0x70000000, v9
	v_mul_f32_e32 v9, 0x7800000, v9
	s_delay_alu instid0(VALU_DEP_1) | instskip(NEXT) | instid1(VALU_DEP_1)
	v_cndmask_b32_e32 v7, v9, v12, vcc_lo
	v_and_or_b32 v5, 0x80000000, v5, v7
	s_delay_alu instid0(VALU_DEP_1) | instskip(NEXT) | instid1(VALU_DEP_1)
	v_trunc_f32_e32 v5, v5
	v_mul_f32_e64 v7, 0x2f800000, |v5|
	v_ashrrev_i32_e32 v12, 31, v5
	s_delay_alu instid0(VALU_DEP_2) | instskip(NEXT) | instid1(VALU_DEP_2)
	v_floor_f32_e32 v7, v7
	v_mov_b32_e32 v13, v12
	s_delay_alu instid0(VALU_DEP_2) | instskip(SKIP_1) | instid1(VALU_DEP_2)
	v_fma_f32 v9, 0xcf800000, v7, |v5|
	v_cvt_u32_f32_e32 v5, v7
	v_cvt_u32_f32_e32 v7, v9
	s_delay_alu instid0(VALU_DEP_2) | instskip(NEXT) | instid1(VALU_DEP_2)
	v_xor_b32_e32 v15, v5, v12
	v_xor_b32_e32 v14, v7, v12
	s_delay_alu instid0(VALU_DEP_1)
	v_sub_nc_u64_e32 v[14:15], v[14:15], v[12:13]
.LBB30_4655:
	s_mov_b32 s1, 0
	s_mov_b32 s5, -1
.LBB30_4656:
	s_and_not1_b32 vcc_lo, exec_lo, s1
	s_mov_b32 s1, 0
	s_cbranch_vccnz .LBB30_4667
; %bb.4657:
	s_cmp_gt_i32 s58, 14
	s_cbranch_scc0 .LBB30_4660
; %bb.4658:
	s_cmp_eq_u32 s58, 15
	s_cbranch_scc0 .LBB30_4663
; %bb.4659:
	global_load_u16 v5, v[10:11], off
	s_mov_b32 s0, 0
	s_mov_b32 s5, -1
	s_wait_loadcnt 0x0
	v_lshlrev_b32_e32 v5, 16, v5
	s_delay_alu instid0(VALU_DEP_1) | instskip(NEXT) | instid1(VALU_DEP_1)
	v_trunc_f32_e32 v5, v5
	v_mul_f32_e64 v7, 0x2f800000, |v5|
	v_ashrrev_i32_e32 v12, 31, v5
	s_delay_alu instid0(VALU_DEP_2) | instskip(NEXT) | instid1(VALU_DEP_2)
	v_floor_f32_e32 v7, v7
	v_mov_b32_e32 v13, v12
	s_delay_alu instid0(VALU_DEP_2) | instskip(SKIP_1) | instid1(VALU_DEP_2)
	v_fma_f32 v9, 0xcf800000, v7, |v5|
	v_cvt_u32_f32_e32 v5, v7
	v_cvt_u32_f32_e32 v7, v9
	s_delay_alu instid0(VALU_DEP_2) | instskip(NEXT) | instid1(VALU_DEP_2)
	v_xor_b32_e32 v15, v5, v12
	v_xor_b32_e32 v14, v7, v12
	s_delay_alu instid0(VALU_DEP_1)
	v_sub_nc_u64_e32 v[14:15], v[14:15], v[12:13]
	s_branch .LBB30_4665
.LBB30_4660:
	s_mov_b32 s1, -1
	s_branch .LBB30_4664
.LBB30_4661:
	s_and_not1_saveexec_b32 s1, s1
	s_cbranch_execz .LBB30_4642
.LBB30_4662:
	v_cmp_ne_u16_e32 vcc_lo, 0, v5
	s_and_not1_b32 s5, s5, exec_lo
	s_and_b32 s20, vcc_lo, exec_lo
	s_delay_alu instid0(SALU_CYCLE_1)
	s_or_b32 s5, s5, s20
	s_or_b32 exec_lo, exec_lo, s1
	v_mov_b64_e32 v[14:15], 0
	s_and_saveexec_b32 s1, s5
	s_cbranch_execnz .LBB30_4643
	s_branch .LBB30_4644
.LBB30_4663:
	s_mov_b32 s0, -1
.LBB30_4664:
                                        ; implicit-def: $vgpr14_vgpr15
.LBB30_4665:
	s_and_b32 vcc_lo, exec_lo, s1
	s_mov_b32 s1, 0
	s_cbranch_vccz .LBB30_4667
; %bb.4666:
	s_cmp_lg_u32 s58, 11
	s_mov_b32 s1, -1
	s_cselect_b32 s0, -1, 0
.LBB30_4667:
	s_delay_alu instid0(SALU_CYCLE_1)
	s_and_b32 vcc_lo, exec_lo, s0
	s_cbranch_vccnz .LBB30_4732
; %bb.4668:
	s_and_not1_b32 vcc_lo, exec_lo, s1
	s_cbranch_vccnz .LBB30_4670
.LBB30_4669:
	global_load_u8 v5, v[10:11], off
	s_mov_b32 s0, 0
	s_mov_b32 s5, -1
	s_wait_loadcnt 0x1
	v_mov_b32_e32 v15, s0
	s_wait_loadcnt 0x0
	v_cmp_ne_u16_e32 vcc_lo, 0, v5
	v_cndmask_b32_e64 v14, 0, 1, vcc_lo
.LBB30_4670:
	s_mov_b32 s0, 0
.LBB30_4671:
	s_delay_alu instid0(SALU_CYCLE_1)
	s_and_b32 vcc_lo, exec_lo, s0
	s_cbranch_vccz .LBB30_4720
; %bb.4672:
	s_cmp_lt_i32 s58, 5
	s_cbranch_scc1 .LBB30_4677
; %bb.4673:
	s_cmp_lt_i32 s58, 8
	s_cbranch_scc1 .LBB30_4678
	;; [unrolled: 3-line block ×3, first 2 shown]
; %bb.4675:
	s_cmp_gt_i32 s58, 9
	s_cbranch_scc0 .LBB30_4680
; %bb.4676:
	global_load_b64 v[12:13], v[10:11], off
	s_mov_b32 s0, 0
	s_wait_loadcnt 0x0
	v_trunc_f64_e32 v[12:13], v[12:13]
	s_delay_alu instid0(VALU_DEP_1) | instskip(NEXT) | instid1(VALU_DEP_1)
	v_ldexp_f64 v[14:15], v[12:13], 0xffffffe0
	v_floor_f64_e32 v[14:15], v[14:15]
	s_delay_alu instid0(VALU_DEP_1) | instskip(SKIP_1) | instid1(VALU_DEP_2)
	v_fmamk_f64 v[12:13], v[14:15], 0xc1f00000, v[12:13]
	v_cvt_i32_f64_e32 v15, v[14:15]
	v_cvt_u32_f64_e32 v14, v[12:13]
	s_branch .LBB30_4681
.LBB30_4677:
	s_mov_b32 s0, -1
                                        ; implicit-def: $vgpr14_vgpr15
	s_branch .LBB30_4699
.LBB30_4678:
	s_mov_b32 s0, -1
                                        ; implicit-def: $vgpr14_vgpr15
	s_branch .LBB30_4687
.LBB30_4679:
	s_mov_b32 s0, -1
                                        ; implicit-def: $vgpr14_vgpr15
	s_branch .LBB30_4684
.LBB30_4680:
	s_mov_b32 s0, -1
                                        ; implicit-def: $vgpr14_vgpr15
.LBB30_4681:
	s_delay_alu instid0(SALU_CYCLE_1)
	s_and_not1_b32 vcc_lo, exec_lo, s0
	s_cbranch_vccnz .LBB30_4683
; %bb.4682:
	global_load_b32 v5, v[10:11], off
	s_wait_loadcnt 0x0
	v_trunc_f32_e32 v5, v5
	s_delay_alu instid0(VALU_DEP_1) | instskip(SKIP_1) | instid1(VALU_DEP_2)
	v_mul_f32_e64 v7, 0x2f800000, |v5|
	v_ashrrev_i32_e32 v12, 31, v5
	v_floor_f32_e32 v7, v7
	s_delay_alu instid0(VALU_DEP_1) | instskip(SKIP_1) | instid1(VALU_DEP_4)
	v_fma_f32 v9, 0xcf800000, v7, |v5|
	v_cvt_u32_f32_e32 v5, v7
	v_mov_b32_e32 v13, v12
	s_delay_alu instid0(VALU_DEP_3) | instskip(NEXT) | instid1(VALU_DEP_3)
	v_cvt_u32_f32_e32 v7, v9
	v_xor_b32_e32 v15, v5, v12
	s_delay_alu instid0(VALU_DEP_2) | instskip(NEXT) | instid1(VALU_DEP_1)
	v_xor_b32_e32 v14, v7, v12
	v_sub_nc_u64_e32 v[14:15], v[14:15], v[12:13]
.LBB30_4683:
	s_mov_b32 s0, 0
.LBB30_4684:
	s_delay_alu instid0(SALU_CYCLE_1)
	s_and_not1_b32 vcc_lo, exec_lo, s0
	s_cbranch_vccnz .LBB30_4686
; %bb.4685:
	global_load_b32 v5, v[10:11], off
	s_wait_loadcnt 0x0
	v_cvt_f32_f16_e32 v5, v5
	s_delay_alu instid0(VALU_DEP_1) | instskip(NEXT) | instid1(VALU_DEP_1)
	v_cvt_i32_f32_e32 v14, v5
	v_ashrrev_i32_e32 v15, 31, v14
.LBB30_4686:
	s_mov_b32 s0, 0
.LBB30_4687:
	s_delay_alu instid0(SALU_CYCLE_1)
	s_and_not1_b32 vcc_lo, exec_lo, s0
	s_cbranch_vccnz .LBB30_4698
; %bb.4688:
	s_cmp_lt_i32 s58, 6
	s_cbranch_scc1 .LBB30_4691
; %bb.4689:
	s_cmp_gt_i32 s58, 6
	s_cbranch_scc0 .LBB30_4692
; %bb.4690:
	global_load_b64 v[12:13], v[10:11], off
	s_mov_b32 s0, 0
	s_wait_loadcnt 0x0
	v_trunc_f64_e32 v[12:13], v[12:13]
	s_delay_alu instid0(VALU_DEP_1) | instskip(NEXT) | instid1(VALU_DEP_1)
	v_ldexp_f64 v[14:15], v[12:13], 0xffffffe0
	v_floor_f64_e32 v[14:15], v[14:15]
	s_delay_alu instid0(VALU_DEP_1) | instskip(SKIP_1) | instid1(VALU_DEP_2)
	v_fmamk_f64 v[12:13], v[14:15], 0xc1f00000, v[12:13]
	v_cvt_i32_f64_e32 v15, v[14:15]
	v_cvt_u32_f64_e32 v14, v[12:13]
	s_branch .LBB30_4693
.LBB30_4691:
	s_mov_b32 s0, -1
                                        ; implicit-def: $vgpr14_vgpr15
	s_branch .LBB30_4696
.LBB30_4692:
	s_mov_b32 s0, -1
                                        ; implicit-def: $vgpr14_vgpr15
.LBB30_4693:
	s_delay_alu instid0(SALU_CYCLE_1)
	s_and_not1_b32 vcc_lo, exec_lo, s0
	s_cbranch_vccnz .LBB30_4695
; %bb.4694:
	global_load_b32 v5, v[10:11], off
	s_wait_loadcnt 0x0
	v_trunc_f32_e32 v5, v5
	s_delay_alu instid0(VALU_DEP_1) | instskip(SKIP_1) | instid1(VALU_DEP_2)
	v_mul_f32_e64 v7, 0x2f800000, |v5|
	v_ashrrev_i32_e32 v12, 31, v5
	v_floor_f32_e32 v7, v7
	s_delay_alu instid0(VALU_DEP_1) | instskip(SKIP_1) | instid1(VALU_DEP_4)
	v_fma_f32 v9, 0xcf800000, v7, |v5|
	v_cvt_u32_f32_e32 v5, v7
	v_mov_b32_e32 v13, v12
	s_delay_alu instid0(VALU_DEP_3) | instskip(NEXT) | instid1(VALU_DEP_3)
	v_cvt_u32_f32_e32 v7, v9
	v_xor_b32_e32 v15, v5, v12
	s_delay_alu instid0(VALU_DEP_2) | instskip(NEXT) | instid1(VALU_DEP_1)
	v_xor_b32_e32 v14, v7, v12
	v_sub_nc_u64_e32 v[14:15], v[14:15], v[12:13]
.LBB30_4695:
	s_mov_b32 s0, 0
.LBB30_4696:
	s_delay_alu instid0(SALU_CYCLE_1)
	s_and_not1_b32 vcc_lo, exec_lo, s0
	s_cbranch_vccnz .LBB30_4698
; %bb.4697:
	global_load_u16 v5, v[10:11], off
	s_wait_loadcnt 0x0
	v_cvt_f32_f16_e32 v5, v5
	s_delay_alu instid0(VALU_DEP_1) | instskip(NEXT) | instid1(VALU_DEP_1)
	v_cvt_i32_f32_e32 v14, v5
	v_ashrrev_i32_e32 v15, 31, v14
.LBB30_4698:
	s_mov_b32 s0, 0
.LBB30_4699:
	s_delay_alu instid0(SALU_CYCLE_1)
	s_and_not1_b32 vcc_lo, exec_lo, s0
	s_cbranch_vccnz .LBB30_4719
; %bb.4700:
	s_cmp_lt_i32 s58, 2
	s_cbranch_scc1 .LBB30_4704
; %bb.4701:
	s_cmp_lt_i32 s58, 3
	s_cbranch_scc1 .LBB30_4705
; %bb.4702:
	s_cmp_gt_i32 s58, 3
	s_cbranch_scc0 .LBB30_4706
; %bb.4703:
	s_wait_loadcnt 0x0
	global_load_b64 v[14:15], v[10:11], off
	s_mov_b32 s0, 0
	s_branch .LBB30_4707
.LBB30_4704:
	s_mov_b32 s0, -1
                                        ; implicit-def: $vgpr14_vgpr15
	s_branch .LBB30_4713
.LBB30_4705:
	s_mov_b32 s0, -1
                                        ; implicit-def: $vgpr14_vgpr15
	s_branch .LBB30_4710
.LBB30_4706:
	s_mov_b32 s0, -1
                                        ; implicit-def: $vgpr14_vgpr15
.LBB30_4707:
	s_delay_alu instid0(SALU_CYCLE_1)
	s_and_not1_b32 vcc_lo, exec_lo, s0
	s_cbranch_vccnz .LBB30_4709
; %bb.4708:
	s_wait_loadcnt 0x0
	global_load_b32 v14, v[10:11], off
	s_wait_loadcnt 0x0
	v_ashrrev_i32_e32 v15, 31, v14
.LBB30_4709:
	s_mov_b32 s0, 0
.LBB30_4710:
	s_delay_alu instid0(SALU_CYCLE_1)
	s_and_not1_b32 vcc_lo, exec_lo, s0
	s_cbranch_vccnz .LBB30_4712
; %bb.4711:
	global_load_u16 v5, v[10:11], off
	s_wait_loadcnt 0x0
	v_bfe_i32 v14, v5, 0, 16
	s_delay_alu instid0(VALU_DEP_1)
	v_ashrrev_i32_e32 v15, 31, v14
.LBB30_4712:
	s_mov_b32 s0, 0
.LBB30_4713:
	s_delay_alu instid0(SALU_CYCLE_1)
	s_and_not1_b32 vcc_lo, exec_lo, s0
	s_cbranch_vccnz .LBB30_4719
; %bb.4714:
	s_cmp_gt_i32 s58, 0
	s_mov_b32 s0, 0
	s_cbranch_scc0 .LBB30_4716
; %bb.4715:
	global_load_i8 v5, v[10:11], off
	s_wait_loadcnt 0x0
	v_bfe_i32 v14, v5, 0, 16
	s_delay_alu instid0(VALU_DEP_1)
	v_ashrrev_i32_e32 v15, 31, v14
	s_branch .LBB30_4717
.LBB30_4716:
	s_mov_b32 s0, -1
                                        ; implicit-def: $vgpr14_vgpr15
.LBB30_4717:
	s_delay_alu instid0(SALU_CYCLE_1)
	s_and_not1_b32 vcc_lo, exec_lo, s0
	s_cbranch_vccnz .LBB30_4719
; %bb.4718:
	global_load_u8 v5, v[10:11], off
	s_mov_b32 s0, 0
	s_wait_loadcnt 0x1
	v_mov_b32_e32 v15, s0
	s_wait_loadcnt 0x0
	v_and_b32_e32 v14, 0xffff, v5
.LBB30_4719:
	s_mov_b32 s5, -1
.LBB30_4720:
	s_delay_alu instid0(SALU_CYCLE_1)
	s_and_not1_b32 vcc_lo, exec_lo, s5
	s_cbranch_vccnz .LBB30_4984
; %bb.4721:
	s_wait_xcnt 0x0
	v_add_nc_u32_e32 v10, s63, v16
	s_cmp_lt_i32 s59, 11
	s_delay_alu instid0(VALU_DEP_1) | instskip(NEXT) | instid1(VALU_DEP_1)
	v_ashrrev_i32_e32 v11, 31, v10
	v_add_nc_u64_e32 v[12:13], s[12:13], v[10:11]
	s_cbranch_scc1 .LBB30_4728
; %bb.4722:
	s_cmp_gt_i32 s59, 25
	s_mov_b32 s1, 0
	s_cbranch_scc0 .LBB30_4729
; %bb.4723:
	s_cmp_gt_i32 s59, 28
	s_cbranch_scc0 .LBB30_4730
; %bb.4724:
	s_cmp_gt_i32 s59, 43
	;; [unrolled: 3-line block ×3, first 2 shown]
	s_cbranch_scc0 .LBB30_4733
; %bb.4726:
	s_cmp_eq_u32 s59, 46
	s_mov_b32 s20, 0
	s_cbranch_scc0 .LBB30_4735
; %bb.4727:
	global_load_b32 v5, v[12:13], off
	s_mov_b32 s0, 0
	s_mov_b32 s5, -1
	s_wait_loadcnt 0x0
	v_lshlrev_b32_e32 v5, 16, v5
	s_delay_alu instid0(VALU_DEP_1) | instskip(NEXT) | instid1(VALU_DEP_1)
	v_trunc_f32_e32 v5, v5
	v_mul_f32_e64 v7, 0x2f800000, |v5|
	v_ashrrev_i32_e32 v16, 31, v5
	s_delay_alu instid0(VALU_DEP_2) | instskip(NEXT) | instid1(VALU_DEP_2)
	v_floor_f32_e32 v7, v7
	v_mov_b32_e32 v17, v16
	s_delay_alu instid0(VALU_DEP_2) | instskip(SKIP_1) | instid1(VALU_DEP_2)
	v_fma_f32 v9, 0xcf800000, v7, |v5|
	v_cvt_u32_f32_e32 v5, v7
	v_cvt_u32_f32_e32 v7, v9
	s_delay_alu instid0(VALU_DEP_2) | instskip(NEXT) | instid1(VALU_DEP_2)
	v_xor_b32_e32 v25, v5, v16
	v_xor_b32_e32 v24, v7, v16
	s_delay_alu instid0(VALU_DEP_1)
	v_sub_nc_u64_e32 v[16:17], v[24:25], v[16:17]
	s_branch .LBB30_4737
.LBB30_4728:
	s_mov_b32 s0, -1
	s_mov_b32 s5, 0
                                        ; implicit-def: $vgpr16_vgpr17
	s_branch .LBB30_4799
.LBB30_4729:
	s_mov_b32 s20, -1
	s_mov_b32 s5, 0
	s_mov_b32 s0, 0
                                        ; implicit-def: $vgpr16_vgpr17
	s_branch .LBB30_4764
.LBB30_4730:
	s_mov_b32 s20, -1
	s_mov_b32 s5, 0
	s_mov_b32 s0, 0
                                        ; implicit-def: $vgpr16_vgpr17
	s_branch .LBB30_4747
.LBB30_4731:
	s_mov_b32 s20, -1
	s_mov_b32 s5, 0
	s_mov_b32 s0, 0
                                        ; implicit-def: $vgpr16_vgpr17
	s_branch .LBB30_4742
.LBB30_4732:
	s_or_b32 s55, s55, exec_lo
	s_trap 2
	s_cbranch_execz .LBB30_4669
	s_branch .LBB30_4670
.LBB30_4733:
	s_mov_b32 s20, -1
	s_mov_b32 s5, 0
	s_mov_b32 s0, 0
	s_branch .LBB30_4736
.LBB30_4734:
	s_or_b32 s51, s49, exec_lo
	s_trap 2
                                        ; implicit-def: $vgpr8
                                        ; implicit-def: $vgpr12
                                        ; implicit-def: $vgpr14
                                        ; implicit-def: $vgpr4_vgpr5
                                        ; implicit-def: $vgpr16
                                        ; implicit-def: $vgpr6_vgpr7
                                        ; implicit-def: $vgpr18
                                        ; implicit-def: $vgpr24_vgpr25
                                        ; implicit-def: $vgpr0_vgpr1
                                        ; implicit-def: $vgpr2_vgpr3
                                        ; implicit-def: $vgpr26
	s_or_saveexec_b32 s52, s0
	s_mov_b32 s1, 0
                                        ; implicit-def: $vgpr20_vgpr21
                                        ; implicit-def: $sgpr0
	s_xor_b32 exec_lo, exec_lo, s52
	s_cbranch_execz .LBB30_4987
	s_branch .LBB30_4316
.LBB30_4735:
	s_mov_b32 s0, -1
	s_mov_b32 s5, 0
.LBB30_4736:
                                        ; implicit-def: $vgpr16_vgpr17
.LBB30_4737:
	s_and_b32 vcc_lo, exec_lo, s20
	s_cbranch_vccz .LBB30_4741
; %bb.4738:
	s_cmp_eq_u32 s59, 44
	s_cbranch_scc0 .LBB30_4740
; %bb.4739:
	global_load_u8 v5, v[12:13], off
	s_mov_b32 s0, 0
	s_mov_b32 s5, -1
	s_wait_loadcnt 0x0
	v_lshlrev_b32_e32 v7, 23, v5
	v_cmp_ne_u32_e32 vcc_lo, 0, v5
	s_delay_alu instid0(VALU_DEP_2) | instskip(NEXT) | instid1(VALU_DEP_1)
	v_trunc_f32_e32 v7, v7
	v_mul_f32_e64 v9, 0x2f800000, |v7|
	v_ashrrev_i32_e32 v16, 31, v7
	s_delay_alu instid0(VALU_DEP_2) | instskip(NEXT) | instid1(VALU_DEP_2)
	v_floor_f32_e32 v9, v9
	v_mov_b32_e32 v17, v16
	s_delay_alu instid0(VALU_DEP_2) | instskip(SKIP_1) | instid1(VALU_DEP_2)
	v_fma_f32 v11, 0xcf800000, v9, |v7|
	v_cvt_u32_f32_e32 v7, v9
	v_cvt_u32_f32_e32 v9, v11
	s_delay_alu instid0(VALU_DEP_2) | instskip(NEXT) | instid1(VALU_DEP_2)
	v_xor_b32_e32 v25, v7, v16
	v_xor_b32_e32 v24, v9, v16
	s_delay_alu instid0(VALU_DEP_1) | instskip(NEXT) | instid1(VALU_DEP_1)
	v_sub_nc_u64_e32 v[16:17], v[24:25], v[16:17]
	v_dual_cndmask_b32 v17, 0, v17 :: v_dual_cndmask_b32 v16, 0, v16
	s_branch .LBB30_4741
.LBB30_4740:
	s_mov_b32 s0, -1
                                        ; implicit-def: $vgpr16_vgpr17
.LBB30_4741:
	s_mov_b32 s20, 0
.LBB30_4742:
	s_delay_alu instid0(SALU_CYCLE_1)
	s_and_b32 vcc_lo, exec_lo, s20
	s_cbranch_vccz .LBB30_4746
; %bb.4743:
	s_cmp_eq_u32 s59, 29
	s_cbranch_scc0 .LBB30_4745
; %bb.4744:
	global_load_b64 v[16:17], v[12:13], off
	s_mov_b32 s0, 0
	s_mov_b32 s5, -1
	s_branch .LBB30_4746
.LBB30_4745:
	s_mov_b32 s0, -1
                                        ; implicit-def: $vgpr16_vgpr17
.LBB30_4746:
	s_mov_b32 s20, 0
.LBB30_4747:
	s_delay_alu instid0(SALU_CYCLE_1)
	s_and_b32 vcc_lo, exec_lo, s20
	s_cbranch_vccz .LBB30_4763
; %bb.4748:
	s_cmp_lt_i32 s59, 27
	s_cbranch_scc1 .LBB30_4751
; %bb.4749:
	s_cmp_gt_i32 s59, 27
	s_cbranch_scc0 .LBB30_4752
; %bb.4750:
	s_wait_loadcnt 0x0
	global_load_b32 v16, v[12:13], off
	v_mov_b32_e32 v17, 0
	s_mov_b32 s5, 0
	s_branch .LBB30_4753
.LBB30_4751:
	s_mov_b32 s5, -1
                                        ; implicit-def: $vgpr16_vgpr17
	s_branch .LBB30_4756
.LBB30_4752:
	s_mov_b32 s5, -1
                                        ; implicit-def: $vgpr16_vgpr17
.LBB30_4753:
	s_delay_alu instid0(SALU_CYCLE_1)
	s_and_not1_b32 vcc_lo, exec_lo, s5
	s_cbranch_vccnz .LBB30_4755
; %bb.4754:
	global_load_u16 v5, v[12:13], off
	s_mov_b32 s5, 0
	s_wait_loadcnt 0x1
	v_mov_b32_e32 v17, s5
	s_wait_loadcnt 0x0
	v_and_b32_e32 v16, 0xffff, v5
.LBB30_4755:
	s_mov_b32 s5, 0
.LBB30_4756:
	s_delay_alu instid0(SALU_CYCLE_1)
	s_and_not1_b32 vcc_lo, exec_lo, s5
	s_cbranch_vccnz .LBB30_4762
; %bb.4757:
	global_load_u8 v5, v[12:13], off
	s_mov_b32 s20, 0
	s_mov_b32 s5, exec_lo
	s_wait_loadcnt 0x0
	v_cmpx_lt_i16_e32 0x7f, v5
	s_xor_b32 s5, exec_lo, s5
	s_cbranch_execz .LBB30_4774
; %bb.4758:
	v_cmp_ne_u16_e32 vcc_lo, 0x80, v5
	s_and_b32 s20, vcc_lo, exec_lo
	s_and_not1_saveexec_b32 s5, s5
	s_cbranch_execnz .LBB30_4775
.LBB30_4759:
	s_or_b32 exec_lo, exec_lo, s5
	v_mov_b64_e32 v[16:17], 0
	s_and_saveexec_b32 s5, s20
	s_cbranch_execz .LBB30_4761
.LBB30_4760:
	v_and_b32_e32 v7, 0xffff, v5
	s_delay_alu instid0(VALU_DEP_1) | instskip(SKIP_1) | instid1(VALU_DEP_2)
	v_dual_lshlrev_b32 v5, 24, v5 :: v_dual_bitop2_b32 v9, 7, v7 bitop3:0x40
	v_bfe_u32 v17, v7, 3, 4
	v_and_b32_e32 v5, 0x80000000, v5
	s_delay_alu instid0(VALU_DEP_3) | instskip(NEXT) | instid1(VALU_DEP_3)
	v_clz_i32_u32_e32 v11, v9
	v_cmp_eq_u32_e32 vcc_lo, 0, v17
	s_delay_alu instid0(VALU_DEP_2) | instskip(NEXT) | instid1(VALU_DEP_1)
	v_min_u32_e32 v11, 32, v11
	v_subrev_nc_u32_e32 v16, 28, v11
	v_sub_nc_u32_e32 v11, 29, v11
	s_delay_alu instid0(VALU_DEP_2) | instskip(NEXT) | instid1(VALU_DEP_2)
	v_lshlrev_b32_e32 v7, v16, v7
	v_cndmask_b32_e32 v11, v17, v11, vcc_lo
	s_delay_alu instid0(VALU_DEP_2) | instskip(NEXT) | instid1(VALU_DEP_1)
	v_and_b32_e32 v7, 7, v7
	v_cndmask_b32_e32 v7, v9, v7, vcc_lo
	s_delay_alu instid0(VALU_DEP_3) | instskip(NEXT) | instid1(VALU_DEP_2)
	v_lshl_add_u32 v9, v11, 23, 0x3b800000
	v_lshlrev_b32_e32 v7, 20, v7
	s_delay_alu instid0(VALU_DEP_1) | instskip(NEXT) | instid1(VALU_DEP_1)
	v_or3_b32 v5, v5, v9, v7
	v_trunc_f32_e32 v5, v5
	s_delay_alu instid0(VALU_DEP_1) | instskip(SKIP_1) | instid1(VALU_DEP_2)
	v_mul_f32_e64 v7, 0x2f800000, |v5|
	v_ashrrev_i32_e32 v16, 31, v5
	v_floor_f32_e32 v7, v7
	s_delay_alu instid0(VALU_DEP_2) | instskip(NEXT) | instid1(VALU_DEP_2)
	v_mov_b32_e32 v17, v16
	v_fma_f32 v9, 0xcf800000, v7, |v5|
	v_cvt_u32_f32_e32 v5, v7
	s_delay_alu instid0(VALU_DEP_2) | instskip(NEXT) | instid1(VALU_DEP_2)
	v_cvt_u32_f32_e32 v7, v9
	v_xor_b32_e32 v25, v5, v16
	s_delay_alu instid0(VALU_DEP_2) | instskip(NEXT) | instid1(VALU_DEP_1)
	v_xor_b32_e32 v24, v7, v16
	v_sub_nc_u64_e32 v[16:17], v[24:25], v[16:17]
.LBB30_4761:
	s_or_b32 exec_lo, exec_lo, s5
.LBB30_4762:
	s_mov_b32 s5, -1
.LBB30_4763:
	s_mov_b32 s20, 0
.LBB30_4764:
	s_delay_alu instid0(SALU_CYCLE_1)
	s_and_b32 vcc_lo, exec_lo, s20
	s_cbranch_vccz .LBB30_4795
; %bb.4765:
	s_cmp_gt_i32 s59, 22
	s_cbranch_scc0 .LBB30_4773
; %bb.4766:
	s_cmp_lt_i32 s59, 24
	s_cbranch_scc1 .LBB30_4776
; %bb.4767:
	s_cmp_gt_i32 s59, 24
	s_cbranch_scc0 .LBB30_4777
; %bb.4768:
	global_load_u8 v5, v[12:13], off
	s_mov_b32 s5, 0
	s_mov_b32 s1, exec_lo
	s_wait_loadcnt 0x0
	v_cmpx_lt_i16_e32 0x7f, v5
	s_xor_b32 s1, exec_lo, s1
	s_cbranch_execz .LBB30_4789
; %bb.4769:
	v_cmp_ne_u16_e32 vcc_lo, 0x80, v5
	s_and_b32 s5, vcc_lo, exec_lo
	s_and_not1_saveexec_b32 s1, s1
	s_cbranch_execnz .LBB30_4790
.LBB30_4770:
	s_or_b32 exec_lo, exec_lo, s1
	v_mov_b64_e32 v[16:17], 0
	s_and_saveexec_b32 s1, s5
	s_cbranch_execz .LBB30_4772
.LBB30_4771:
	v_and_b32_e32 v7, 0xffff, v5
	s_delay_alu instid0(VALU_DEP_1) | instskip(SKIP_1) | instid1(VALU_DEP_2)
	v_dual_lshlrev_b32 v5, 24, v5 :: v_dual_bitop2_b32 v9, 3, v7 bitop3:0x40
	v_bfe_u32 v17, v7, 2, 5
	v_and_b32_e32 v5, 0x80000000, v5
	s_delay_alu instid0(VALU_DEP_3) | instskip(NEXT) | instid1(VALU_DEP_3)
	v_clz_i32_u32_e32 v11, v9
	v_cmp_eq_u32_e32 vcc_lo, 0, v17
	s_delay_alu instid0(VALU_DEP_2) | instskip(NEXT) | instid1(VALU_DEP_1)
	v_min_u32_e32 v11, 32, v11
	v_subrev_nc_u32_e32 v16, 29, v11
	v_sub_nc_u32_e32 v11, 30, v11
	s_delay_alu instid0(VALU_DEP_2) | instskip(NEXT) | instid1(VALU_DEP_2)
	v_lshlrev_b32_e32 v7, v16, v7
	v_cndmask_b32_e32 v11, v17, v11, vcc_lo
	s_delay_alu instid0(VALU_DEP_2) | instskip(NEXT) | instid1(VALU_DEP_1)
	v_and_b32_e32 v7, 3, v7
	v_cndmask_b32_e32 v7, v9, v7, vcc_lo
	s_delay_alu instid0(VALU_DEP_3) | instskip(NEXT) | instid1(VALU_DEP_2)
	v_lshl_add_u32 v9, v11, 23, 0x37800000
	v_lshlrev_b32_e32 v7, 21, v7
	s_delay_alu instid0(VALU_DEP_1) | instskip(NEXT) | instid1(VALU_DEP_1)
	v_or3_b32 v5, v5, v9, v7
	v_trunc_f32_e32 v5, v5
	s_delay_alu instid0(VALU_DEP_1) | instskip(SKIP_1) | instid1(VALU_DEP_2)
	v_mul_f32_e64 v7, 0x2f800000, |v5|
	v_ashrrev_i32_e32 v16, 31, v5
	v_floor_f32_e32 v7, v7
	s_delay_alu instid0(VALU_DEP_2) | instskip(NEXT) | instid1(VALU_DEP_2)
	v_mov_b32_e32 v17, v16
	v_fma_f32 v9, 0xcf800000, v7, |v5|
	v_cvt_u32_f32_e32 v5, v7
	s_delay_alu instid0(VALU_DEP_2) | instskip(NEXT) | instid1(VALU_DEP_2)
	v_cvt_u32_f32_e32 v7, v9
	v_xor_b32_e32 v25, v5, v16
	s_delay_alu instid0(VALU_DEP_2) | instskip(NEXT) | instid1(VALU_DEP_1)
	v_xor_b32_e32 v24, v7, v16
	v_sub_nc_u64_e32 v[16:17], v[24:25], v[16:17]
.LBB30_4772:
	s_or_b32 exec_lo, exec_lo, s1
	s_mov_b32 s1, 0
	s_branch .LBB30_4778
.LBB30_4773:
	s_mov_b32 s1, -1
                                        ; implicit-def: $vgpr16_vgpr17
	s_branch .LBB30_4784
.LBB30_4774:
	s_and_not1_saveexec_b32 s5, s5
	s_cbranch_execz .LBB30_4759
.LBB30_4775:
	v_cmp_ne_u16_e32 vcc_lo, 0, v5
	s_and_not1_b32 s20, s20, exec_lo
	s_and_b32 s21, vcc_lo, exec_lo
	s_delay_alu instid0(SALU_CYCLE_1)
	s_or_b32 s20, s20, s21
	s_or_b32 exec_lo, exec_lo, s5
	v_mov_b64_e32 v[16:17], 0
	s_and_saveexec_b32 s5, s20
	s_cbranch_execnz .LBB30_4760
	s_branch .LBB30_4761
.LBB30_4776:
	s_mov_b32 s1, -1
                                        ; implicit-def: $vgpr16_vgpr17
	s_branch .LBB30_4781
.LBB30_4777:
	s_mov_b32 s1, -1
                                        ; implicit-def: $vgpr16_vgpr17
.LBB30_4778:
	s_delay_alu instid0(SALU_CYCLE_1)
	s_and_b32 vcc_lo, exec_lo, s1
	s_cbranch_vccz .LBB30_4780
; %bb.4779:
	global_load_u8 v5, v[12:13], off
	s_wait_loadcnt 0x0
	v_lshlrev_b32_e32 v5, 24, v5
	s_delay_alu instid0(VALU_DEP_1) | instskip(NEXT) | instid1(VALU_DEP_1)
	v_and_b32_e32 v7, 0x7f000000, v5
	v_clz_i32_u32_e32 v9, v7
	v_cmp_ne_u32_e32 vcc_lo, 0, v7
	v_add_nc_u32_e32 v16, 0x1000000, v7
	s_delay_alu instid0(VALU_DEP_3) | instskip(NEXT) | instid1(VALU_DEP_1)
	v_min_u32_e32 v9, 32, v9
	v_sub_nc_u32_e64 v9, v9, 4 clamp
	s_delay_alu instid0(VALU_DEP_1) | instskip(NEXT) | instid1(VALU_DEP_1)
	v_dual_lshlrev_b32 v11, v9, v7 :: v_dual_lshlrev_b32 v9, 23, v9
	v_lshrrev_b32_e32 v11, 4, v11
	s_delay_alu instid0(VALU_DEP_1) | instskip(NEXT) | instid1(VALU_DEP_1)
	v_dual_sub_nc_u32 v9, v11, v9 :: v_dual_ashrrev_i32 v11, 8, v16
	v_add_nc_u32_e32 v9, 0x3c000000, v9
	s_delay_alu instid0(VALU_DEP_1) | instskip(NEXT) | instid1(VALU_DEP_1)
	v_and_or_b32 v9, 0x7f800000, v11, v9
	v_cndmask_b32_e32 v7, 0, v9, vcc_lo
	s_delay_alu instid0(VALU_DEP_1) | instskip(NEXT) | instid1(VALU_DEP_1)
	v_and_or_b32 v5, 0x80000000, v5, v7
	v_trunc_f32_e32 v5, v5
	s_delay_alu instid0(VALU_DEP_1) | instskip(SKIP_1) | instid1(VALU_DEP_2)
	v_mul_f32_e64 v7, 0x2f800000, |v5|
	v_ashrrev_i32_e32 v16, 31, v5
	v_floor_f32_e32 v7, v7
	s_delay_alu instid0(VALU_DEP_1) | instskip(SKIP_1) | instid1(VALU_DEP_4)
	v_fma_f32 v9, 0xcf800000, v7, |v5|
	v_cvt_u32_f32_e32 v5, v7
	v_mov_b32_e32 v17, v16
	s_delay_alu instid0(VALU_DEP_3) | instskip(NEXT) | instid1(VALU_DEP_3)
	v_cvt_u32_f32_e32 v7, v9
	v_xor_b32_e32 v25, v5, v16
	s_delay_alu instid0(VALU_DEP_2) | instskip(NEXT) | instid1(VALU_DEP_1)
	v_xor_b32_e32 v24, v7, v16
	v_sub_nc_u64_e32 v[16:17], v[24:25], v[16:17]
.LBB30_4780:
	s_mov_b32 s1, 0
.LBB30_4781:
	s_delay_alu instid0(SALU_CYCLE_1)
	s_and_not1_b32 vcc_lo, exec_lo, s1
	s_cbranch_vccnz .LBB30_4783
; %bb.4782:
	global_load_u8 v5, v[12:13], off
	s_wait_loadcnt 0x0
	v_lshlrev_b32_e32 v7, 25, v5
	v_lshlrev_b16 v5, 8, v5
	s_delay_alu instid0(VALU_DEP_1) | instskip(SKIP_1) | instid1(VALU_DEP_2)
	v_and_or_b32 v11, 0x7f00, v5, 0.5
	v_bfe_i32 v5, v5, 0, 16
	v_add_f32_e32 v11, -0.5, v11
	v_lshrrev_b32_e32 v9, 4, v7
	v_cmp_gt_u32_e32 vcc_lo, 0x8000000, v7
	s_delay_alu instid0(VALU_DEP_2) | instskip(NEXT) | instid1(VALU_DEP_1)
	v_or_b32_e32 v9, 0x70000000, v9
	v_mul_f32_e32 v9, 0x7800000, v9
	s_delay_alu instid0(VALU_DEP_1) | instskip(NEXT) | instid1(VALU_DEP_1)
	v_cndmask_b32_e32 v7, v9, v11, vcc_lo
	v_and_or_b32 v5, 0x80000000, v5, v7
	s_delay_alu instid0(VALU_DEP_1) | instskip(NEXT) | instid1(VALU_DEP_1)
	v_trunc_f32_e32 v5, v5
	v_mul_f32_e64 v7, 0x2f800000, |v5|
	v_ashrrev_i32_e32 v16, 31, v5
	s_delay_alu instid0(VALU_DEP_2) | instskip(NEXT) | instid1(VALU_DEP_2)
	v_floor_f32_e32 v7, v7
	v_mov_b32_e32 v17, v16
	s_delay_alu instid0(VALU_DEP_2) | instskip(SKIP_1) | instid1(VALU_DEP_2)
	v_fma_f32 v9, 0xcf800000, v7, |v5|
	v_cvt_u32_f32_e32 v5, v7
	v_cvt_u32_f32_e32 v7, v9
	s_delay_alu instid0(VALU_DEP_2) | instskip(NEXT) | instid1(VALU_DEP_2)
	v_xor_b32_e32 v25, v5, v16
	v_xor_b32_e32 v24, v7, v16
	s_delay_alu instid0(VALU_DEP_1)
	v_sub_nc_u64_e32 v[16:17], v[24:25], v[16:17]
.LBB30_4783:
	s_mov_b32 s1, 0
	s_mov_b32 s5, -1
.LBB30_4784:
	s_and_not1_b32 vcc_lo, exec_lo, s1
	s_mov_b32 s1, 0
	s_cbranch_vccnz .LBB30_4795
; %bb.4785:
	s_cmp_gt_i32 s59, 14
	s_cbranch_scc0 .LBB30_4788
; %bb.4786:
	s_cmp_eq_u32 s59, 15
	s_cbranch_scc0 .LBB30_4791
; %bb.4787:
	global_load_u16 v5, v[12:13], off
	s_mov_b32 s0, 0
	s_mov_b32 s5, -1
	s_wait_loadcnt 0x0
	v_lshlrev_b32_e32 v5, 16, v5
	s_delay_alu instid0(VALU_DEP_1) | instskip(NEXT) | instid1(VALU_DEP_1)
	v_trunc_f32_e32 v5, v5
	v_mul_f32_e64 v7, 0x2f800000, |v5|
	v_ashrrev_i32_e32 v16, 31, v5
	s_delay_alu instid0(VALU_DEP_2) | instskip(NEXT) | instid1(VALU_DEP_2)
	v_floor_f32_e32 v7, v7
	v_mov_b32_e32 v17, v16
	s_delay_alu instid0(VALU_DEP_2) | instskip(SKIP_1) | instid1(VALU_DEP_2)
	v_fma_f32 v9, 0xcf800000, v7, |v5|
	v_cvt_u32_f32_e32 v5, v7
	v_cvt_u32_f32_e32 v7, v9
	s_delay_alu instid0(VALU_DEP_2) | instskip(NEXT) | instid1(VALU_DEP_2)
	v_xor_b32_e32 v25, v5, v16
	v_xor_b32_e32 v24, v7, v16
	s_delay_alu instid0(VALU_DEP_1)
	v_sub_nc_u64_e32 v[16:17], v[24:25], v[16:17]
	s_branch .LBB30_4793
.LBB30_4788:
	s_mov_b32 s1, -1
	s_branch .LBB30_4792
.LBB30_4789:
	s_and_not1_saveexec_b32 s1, s1
	s_cbranch_execz .LBB30_4770
.LBB30_4790:
	v_cmp_ne_u16_e32 vcc_lo, 0, v5
	s_and_not1_b32 s5, s5, exec_lo
	s_and_b32 s20, vcc_lo, exec_lo
	s_delay_alu instid0(SALU_CYCLE_1)
	s_or_b32 s5, s5, s20
	s_or_b32 exec_lo, exec_lo, s1
	v_mov_b64_e32 v[16:17], 0
	s_and_saveexec_b32 s1, s5
	s_cbranch_execnz .LBB30_4771
	s_branch .LBB30_4772
.LBB30_4791:
	s_mov_b32 s0, -1
.LBB30_4792:
                                        ; implicit-def: $vgpr16_vgpr17
.LBB30_4793:
	s_and_b32 vcc_lo, exec_lo, s1
	s_mov_b32 s1, 0
	s_cbranch_vccz .LBB30_4795
; %bb.4794:
	s_cmp_lg_u32 s59, 11
	s_mov_b32 s1, -1
	s_cselect_b32 s0, -1, 0
.LBB30_4795:
	s_delay_alu instid0(SALU_CYCLE_1)
	s_and_b32 vcc_lo, exec_lo, s0
	s_cbranch_vccnz .LBB30_4860
; %bb.4796:
	s_and_not1_b32 vcc_lo, exec_lo, s1
	s_cbranch_vccnz .LBB30_4798
.LBB30_4797:
	global_load_u8 v5, v[12:13], off
	s_mov_b32 s0, 0
	s_mov_b32 s5, -1
	s_wait_loadcnt 0x1
	v_mov_b32_e32 v17, s0
	s_wait_loadcnt 0x0
	v_cmp_ne_u16_e32 vcc_lo, 0, v5
	v_cndmask_b32_e64 v16, 0, 1, vcc_lo
.LBB30_4798:
	s_mov_b32 s0, 0
.LBB30_4799:
	s_delay_alu instid0(SALU_CYCLE_1)
	s_and_b32 vcc_lo, exec_lo, s0
	s_cbranch_vccz .LBB30_4848
; %bb.4800:
	s_cmp_lt_i32 s59, 5
	s_cbranch_scc1 .LBB30_4805
; %bb.4801:
	s_cmp_lt_i32 s59, 8
	s_cbranch_scc1 .LBB30_4806
	;; [unrolled: 3-line block ×3, first 2 shown]
; %bb.4803:
	s_cmp_gt_i32 s59, 9
	s_cbranch_scc0 .LBB30_4808
; %bb.4804:
	s_wait_loadcnt 0x0
	global_load_b64 v[16:17], v[12:13], off
	s_mov_b32 s0, 0
	s_wait_loadcnt 0x0
	v_trunc_f64_e32 v[16:17], v[16:17]
	s_delay_alu instid0(VALU_DEP_1) | instskip(NEXT) | instid1(VALU_DEP_1)
	v_ldexp_f64 v[24:25], v[16:17], 0xffffffe0
	v_floor_f64_e32 v[24:25], v[24:25]
	s_delay_alu instid0(VALU_DEP_1) | instskip(SKIP_1) | instid1(VALU_DEP_2)
	v_fmamk_f64 v[28:29], v[24:25], 0xc1f00000, v[16:17]
	v_cvt_i32_f64_e32 v17, v[24:25]
	v_cvt_u32_f64_e32 v16, v[28:29]
	s_branch .LBB30_4809
.LBB30_4805:
	s_mov_b32 s0, -1
                                        ; implicit-def: $vgpr16_vgpr17
	s_branch .LBB30_4827
.LBB30_4806:
	s_mov_b32 s0, -1
                                        ; implicit-def: $vgpr16_vgpr17
	s_branch .LBB30_4815
.LBB30_4807:
	s_mov_b32 s0, -1
                                        ; implicit-def: $vgpr16_vgpr17
	s_branch .LBB30_4812
.LBB30_4808:
	s_mov_b32 s0, -1
                                        ; implicit-def: $vgpr16_vgpr17
.LBB30_4809:
	s_delay_alu instid0(SALU_CYCLE_1)
	s_and_not1_b32 vcc_lo, exec_lo, s0
	s_cbranch_vccnz .LBB30_4811
; %bb.4810:
	global_load_b32 v5, v[12:13], off
	s_wait_loadcnt 0x0
	v_trunc_f32_e32 v5, v5
	s_delay_alu instid0(VALU_DEP_1) | instskip(SKIP_1) | instid1(VALU_DEP_2)
	v_mul_f32_e64 v7, 0x2f800000, |v5|
	v_ashrrev_i32_e32 v16, 31, v5
	v_floor_f32_e32 v7, v7
	s_delay_alu instid0(VALU_DEP_1) | instskip(SKIP_1) | instid1(VALU_DEP_4)
	v_fma_f32 v9, 0xcf800000, v7, |v5|
	v_cvt_u32_f32_e32 v5, v7
	v_mov_b32_e32 v17, v16
	s_delay_alu instid0(VALU_DEP_3) | instskip(NEXT) | instid1(VALU_DEP_3)
	v_cvt_u32_f32_e32 v7, v9
	v_xor_b32_e32 v25, v5, v16
	s_delay_alu instid0(VALU_DEP_2) | instskip(NEXT) | instid1(VALU_DEP_1)
	v_xor_b32_e32 v24, v7, v16
	v_sub_nc_u64_e32 v[16:17], v[24:25], v[16:17]
.LBB30_4811:
	s_mov_b32 s0, 0
.LBB30_4812:
	s_delay_alu instid0(SALU_CYCLE_1)
	s_and_not1_b32 vcc_lo, exec_lo, s0
	s_cbranch_vccnz .LBB30_4814
; %bb.4813:
	global_load_b32 v5, v[12:13], off
	s_wait_loadcnt 0x0
	v_cvt_f32_f16_e32 v5, v5
	s_delay_alu instid0(VALU_DEP_1) | instskip(NEXT) | instid1(VALU_DEP_1)
	v_cvt_i32_f32_e32 v16, v5
	v_ashrrev_i32_e32 v17, 31, v16
.LBB30_4814:
	s_mov_b32 s0, 0
.LBB30_4815:
	s_delay_alu instid0(SALU_CYCLE_1)
	s_and_not1_b32 vcc_lo, exec_lo, s0
	s_cbranch_vccnz .LBB30_4826
; %bb.4816:
	s_cmp_lt_i32 s59, 6
	s_cbranch_scc1 .LBB30_4819
; %bb.4817:
	s_cmp_gt_i32 s59, 6
	s_cbranch_scc0 .LBB30_4820
; %bb.4818:
	s_wait_loadcnt 0x0
	global_load_b64 v[16:17], v[12:13], off
	s_mov_b32 s0, 0
	s_wait_loadcnt 0x0
	v_trunc_f64_e32 v[16:17], v[16:17]
	s_delay_alu instid0(VALU_DEP_1) | instskip(NEXT) | instid1(VALU_DEP_1)
	v_ldexp_f64 v[24:25], v[16:17], 0xffffffe0
	v_floor_f64_e32 v[24:25], v[24:25]
	s_delay_alu instid0(VALU_DEP_1) | instskip(SKIP_1) | instid1(VALU_DEP_2)
	v_fmamk_f64 v[28:29], v[24:25], 0xc1f00000, v[16:17]
	v_cvt_i32_f64_e32 v17, v[24:25]
	v_cvt_u32_f64_e32 v16, v[28:29]
	s_branch .LBB30_4821
.LBB30_4819:
	s_mov_b32 s0, -1
                                        ; implicit-def: $vgpr16_vgpr17
	s_branch .LBB30_4824
.LBB30_4820:
	s_mov_b32 s0, -1
                                        ; implicit-def: $vgpr16_vgpr17
.LBB30_4821:
	s_delay_alu instid0(SALU_CYCLE_1)
	s_and_not1_b32 vcc_lo, exec_lo, s0
	s_cbranch_vccnz .LBB30_4823
; %bb.4822:
	global_load_b32 v5, v[12:13], off
	s_wait_loadcnt 0x0
	v_trunc_f32_e32 v5, v5
	s_delay_alu instid0(VALU_DEP_1) | instskip(SKIP_1) | instid1(VALU_DEP_2)
	v_mul_f32_e64 v7, 0x2f800000, |v5|
	v_ashrrev_i32_e32 v16, 31, v5
	v_floor_f32_e32 v7, v7
	s_delay_alu instid0(VALU_DEP_1) | instskip(SKIP_1) | instid1(VALU_DEP_4)
	v_fma_f32 v9, 0xcf800000, v7, |v5|
	v_cvt_u32_f32_e32 v5, v7
	v_mov_b32_e32 v17, v16
	s_delay_alu instid0(VALU_DEP_3) | instskip(NEXT) | instid1(VALU_DEP_3)
	v_cvt_u32_f32_e32 v7, v9
	v_xor_b32_e32 v25, v5, v16
	s_delay_alu instid0(VALU_DEP_2) | instskip(NEXT) | instid1(VALU_DEP_1)
	v_xor_b32_e32 v24, v7, v16
	v_sub_nc_u64_e32 v[16:17], v[24:25], v[16:17]
.LBB30_4823:
	s_mov_b32 s0, 0
.LBB30_4824:
	s_delay_alu instid0(SALU_CYCLE_1)
	s_and_not1_b32 vcc_lo, exec_lo, s0
	s_cbranch_vccnz .LBB30_4826
; %bb.4825:
	global_load_u16 v5, v[12:13], off
	s_wait_loadcnt 0x0
	v_cvt_f32_f16_e32 v5, v5
	s_delay_alu instid0(VALU_DEP_1) | instskip(NEXT) | instid1(VALU_DEP_1)
	v_cvt_i32_f32_e32 v16, v5
	v_ashrrev_i32_e32 v17, 31, v16
.LBB30_4826:
	s_mov_b32 s0, 0
.LBB30_4827:
	s_delay_alu instid0(SALU_CYCLE_1)
	s_and_not1_b32 vcc_lo, exec_lo, s0
	s_cbranch_vccnz .LBB30_4847
; %bb.4828:
	s_cmp_lt_i32 s59, 2
	s_cbranch_scc1 .LBB30_4832
; %bb.4829:
	s_cmp_lt_i32 s59, 3
	s_cbranch_scc1 .LBB30_4833
; %bb.4830:
	s_cmp_gt_i32 s59, 3
	s_cbranch_scc0 .LBB30_4834
; %bb.4831:
	s_wait_loadcnt 0x0
	global_load_b64 v[16:17], v[12:13], off
	s_mov_b32 s0, 0
	s_branch .LBB30_4835
.LBB30_4832:
	s_mov_b32 s0, -1
                                        ; implicit-def: $vgpr16_vgpr17
	s_branch .LBB30_4841
.LBB30_4833:
	s_mov_b32 s0, -1
                                        ; implicit-def: $vgpr16_vgpr17
	s_branch .LBB30_4838
.LBB30_4834:
	s_mov_b32 s0, -1
                                        ; implicit-def: $vgpr16_vgpr17
.LBB30_4835:
	s_delay_alu instid0(SALU_CYCLE_1)
	s_and_not1_b32 vcc_lo, exec_lo, s0
	s_cbranch_vccnz .LBB30_4837
; %bb.4836:
	s_wait_loadcnt 0x0
	global_load_b32 v16, v[12:13], off
	s_wait_loadcnt 0x0
	v_ashrrev_i32_e32 v17, 31, v16
.LBB30_4837:
	s_mov_b32 s0, 0
.LBB30_4838:
	s_delay_alu instid0(SALU_CYCLE_1)
	s_and_not1_b32 vcc_lo, exec_lo, s0
	s_cbranch_vccnz .LBB30_4840
; %bb.4839:
	global_load_u16 v5, v[12:13], off
	s_wait_loadcnt 0x0
	v_bfe_i32 v16, v5, 0, 16
	s_delay_alu instid0(VALU_DEP_1)
	v_ashrrev_i32_e32 v17, 31, v16
.LBB30_4840:
	s_mov_b32 s0, 0
.LBB30_4841:
	s_delay_alu instid0(SALU_CYCLE_1)
	s_and_not1_b32 vcc_lo, exec_lo, s0
	s_cbranch_vccnz .LBB30_4847
; %bb.4842:
	s_cmp_gt_i32 s59, 0
	s_mov_b32 s0, 0
	s_cbranch_scc0 .LBB30_4844
; %bb.4843:
	global_load_i8 v5, v[12:13], off
	s_wait_loadcnt 0x0
	v_bfe_i32 v16, v5, 0, 16
	s_delay_alu instid0(VALU_DEP_1)
	v_ashrrev_i32_e32 v17, 31, v16
	s_branch .LBB30_4845
.LBB30_4844:
	s_mov_b32 s0, -1
                                        ; implicit-def: $vgpr16_vgpr17
.LBB30_4845:
	s_delay_alu instid0(SALU_CYCLE_1)
	s_and_not1_b32 vcc_lo, exec_lo, s0
	s_cbranch_vccnz .LBB30_4847
; %bb.4846:
	global_load_u8 v5, v[12:13], off
	s_mov_b32 s0, 0
	s_wait_loadcnt 0x1
	v_mov_b32_e32 v17, s0
	s_wait_loadcnt 0x0
	v_and_b32_e32 v16, 0xffff, v5
.LBB30_4847:
	s_mov_b32 s5, -1
.LBB30_4848:
	s_delay_alu instid0(SALU_CYCLE_1)
	s_and_not1_b32 vcc_lo, exec_lo, s5
	s_cbranch_vccnz .LBB30_4984
; %bb.4849:
	s_wait_xcnt 0x0
	v_add_nc_u32_e32 v12, s64, v18
	s_cmp_lt_i32 s60, 11
	s_delay_alu instid0(VALU_DEP_1) | instskip(NEXT) | instid1(VALU_DEP_1)
	v_ashrrev_i32_e32 v13, 31, v12
	v_add_nc_u64_e32 v[18:19], s[14:15], v[12:13]
	s_cbranch_scc1 .LBB30_4856
; %bb.4850:
	s_cmp_gt_i32 s60, 25
	s_mov_b32 s1, 0
	s_cbranch_scc0 .LBB30_4857
; %bb.4851:
	s_cmp_gt_i32 s60, 28
	s_cbranch_scc0 .LBB30_4858
; %bb.4852:
	s_cmp_gt_i32 s60, 43
	;; [unrolled: 3-line block ×3, first 2 shown]
	s_cbranch_scc0 .LBB30_4861
; %bb.4854:
	s_cmp_eq_u32 s60, 46
	s_mov_b32 s20, 0
	s_cbranch_scc0 .LBB30_4862
; %bb.4855:
	global_load_b32 v5, v[18:19], off
	s_mov_b32 s0, 0
	s_mov_b32 s5, -1
	s_wait_loadcnt 0x0
	v_lshlrev_b32_e32 v5, 16, v5
	s_delay_alu instid0(VALU_DEP_1) | instskip(NEXT) | instid1(VALU_DEP_1)
	v_trunc_f32_e32 v5, v5
	v_mul_f32_e64 v7, 0x2f800000, |v5|
	v_ashrrev_i32_e32 v24, 31, v5
	s_delay_alu instid0(VALU_DEP_2) | instskip(NEXT) | instid1(VALU_DEP_2)
	v_floor_f32_e32 v7, v7
	v_mov_b32_e32 v25, v24
	s_delay_alu instid0(VALU_DEP_2) | instskip(SKIP_1) | instid1(VALU_DEP_2)
	v_fma_f32 v9, 0xcf800000, v7, |v5|
	v_cvt_u32_f32_e32 v5, v7
	v_cvt_u32_f32_e32 v7, v9
	s_delay_alu instid0(VALU_DEP_2) | instskip(NEXT) | instid1(VALU_DEP_2)
	v_xor_b32_e32 v29, v5, v24
	v_xor_b32_e32 v28, v7, v24
	s_delay_alu instid0(VALU_DEP_1)
	v_sub_nc_u64_e32 v[24:25], v[28:29], v[24:25]
	s_branch .LBB30_4864
.LBB30_4856:
	s_mov_b32 s0, -1
	s_mov_b32 s5, 0
                                        ; implicit-def: $vgpr24_vgpr25
	s_branch .LBB30_4926
.LBB30_4857:
	s_mov_b32 s20, -1
	s_mov_b32 s5, 0
	s_mov_b32 s0, 0
                                        ; implicit-def: $vgpr24_vgpr25
	s_branch .LBB30_4891
.LBB30_4858:
	s_mov_b32 s20, -1
	s_mov_b32 s5, 0
	s_mov_b32 s0, 0
                                        ; implicit-def: $vgpr24_vgpr25
	s_branch .LBB30_4874
.LBB30_4859:
	s_mov_b32 s20, -1
	s_mov_b32 s5, 0
	s_mov_b32 s0, 0
                                        ; implicit-def: $vgpr24_vgpr25
	s_branch .LBB30_4869
.LBB30_4860:
	s_or_b32 s55, s55, exec_lo
	s_trap 2
	s_cbranch_execz .LBB30_4797
	s_branch .LBB30_4798
.LBB30_4861:
	s_mov_b32 s20, -1
	s_mov_b32 s5, 0
	s_mov_b32 s0, 0
	s_branch .LBB30_4863
.LBB30_4862:
	s_mov_b32 s0, -1
	s_mov_b32 s5, 0
.LBB30_4863:
                                        ; implicit-def: $vgpr24_vgpr25
.LBB30_4864:
	s_and_b32 vcc_lo, exec_lo, s20
	s_cbranch_vccz .LBB30_4868
; %bb.4865:
	s_cmp_eq_u32 s60, 44
	s_cbranch_scc0 .LBB30_4867
; %bb.4866:
	global_load_u8 v5, v[18:19], off
	s_mov_b32 s0, 0
	s_mov_b32 s5, -1
	s_wait_loadcnt 0x0
	v_lshlrev_b32_e32 v7, 23, v5
	v_cmp_ne_u32_e32 vcc_lo, 0, v5
	s_delay_alu instid0(VALU_DEP_2) | instskip(NEXT) | instid1(VALU_DEP_1)
	v_trunc_f32_e32 v7, v7
	v_mul_f32_e64 v9, 0x2f800000, |v7|
	v_ashrrev_i32_e32 v24, 31, v7
	s_delay_alu instid0(VALU_DEP_2) | instskip(NEXT) | instid1(VALU_DEP_2)
	v_floor_f32_e32 v9, v9
	v_mov_b32_e32 v25, v24
	s_delay_alu instid0(VALU_DEP_2) | instskip(SKIP_1) | instid1(VALU_DEP_2)
	v_fma_f32 v11, 0xcf800000, v9, |v7|
	v_cvt_u32_f32_e32 v7, v9
	v_cvt_u32_f32_e32 v9, v11
	s_delay_alu instid0(VALU_DEP_2) | instskip(NEXT) | instid1(VALU_DEP_2)
	v_xor_b32_e32 v29, v7, v24
	v_xor_b32_e32 v28, v9, v24
	s_delay_alu instid0(VALU_DEP_1) | instskip(NEXT) | instid1(VALU_DEP_1)
	v_sub_nc_u64_e32 v[24:25], v[28:29], v[24:25]
	v_dual_cndmask_b32 v25, 0, v25 :: v_dual_cndmask_b32 v24, 0, v24
	s_branch .LBB30_4868
.LBB30_4867:
	s_mov_b32 s0, -1
                                        ; implicit-def: $vgpr24_vgpr25
.LBB30_4868:
	s_mov_b32 s20, 0
.LBB30_4869:
	s_delay_alu instid0(SALU_CYCLE_1)
	s_and_b32 vcc_lo, exec_lo, s20
	s_cbranch_vccz .LBB30_4873
; %bb.4870:
	s_cmp_eq_u32 s60, 29
	s_cbranch_scc0 .LBB30_4872
; %bb.4871:
	global_load_b64 v[24:25], v[18:19], off
	s_mov_b32 s0, 0
	s_mov_b32 s5, -1
	s_branch .LBB30_4873
.LBB30_4872:
	s_mov_b32 s0, -1
                                        ; implicit-def: $vgpr24_vgpr25
.LBB30_4873:
	s_mov_b32 s20, 0
.LBB30_4874:
	s_delay_alu instid0(SALU_CYCLE_1)
	s_and_b32 vcc_lo, exec_lo, s20
	s_cbranch_vccz .LBB30_4890
; %bb.4875:
	s_cmp_lt_i32 s60, 27
	s_cbranch_scc1 .LBB30_4878
; %bb.4876:
	s_cmp_gt_i32 s60, 27
	s_cbranch_scc0 .LBB30_4879
; %bb.4877:
	s_wait_loadcnt 0x0
	global_load_b32 v24, v[18:19], off
	v_mov_b32_e32 v25, 0
	s_mov_b32 s5, 0
	s_branch .LBB30_4880
.LBB30_4878:
	s_mov_b32 s5, -1
                                        ; implicit-def: $vgpr24_vgpr25
	s_branch .LBB30_4883
.LBB30_4879:
	s_mov_b32 s5, -1
                                        ; implicit-def: $vgpr24_vgpr25
.LBB30_4880:
	s_delay_alu instid0(SALU_CYCLE_1)
	s_and_not1_b32 vcc_lo, exec_lo, s5
	s_cbranch_vccnz .LBB30_4882
; %bb.4881:
	global_load_u16 v5, v[18:19], off
	s_mov_b32 s5, 0
	s_wait_loadcnt 0x1
	v_mov_b32_e32 v25, s5
	s_wait_loadcnt 0x0
	v_and_b32_e32 v24, 0xffff, v5
.LBB30_4882:
	s_mov_b32 s5, 0
.LBB30_4883:
	s_delay_alu instid0(SALU_CYCLE_1)
	s_and_not1_b32 vcc_lo, exec_lo, s5
	s_cbranch_vccnz .LBB30_4889
; %bb.4884:
	global_load_u8 v5, v[18:19], off
	s_mov_b32 s20, 0
	s_mov_b32 s5, exec_lo
	s_wait_loadcnt 0x0
	v_cmpx_lt_i16_e32 0x7f, v5
	s_xor_b32 s5, exec_lo, s5
	s_cbranch_execz .LBB30_4901
; %bb.4885:
	v_cmp_ne_u16_e32 vcc_lo, 0x80, v5
	s_and_b32 s20, vcc_lo, exec_lo
	s_and_not1_saveexec_b32 s5, s5
	s_cbranch_execnz .LBB30_4902
.LBB30_4886:
	s_or_b32 exec_lo, exec_lo, s5
	v_mov_b64_e32 v[24:25], 0
	s_and_saveexec_b32 s5, s20
	s_cbranch_execz .LBB30_4888
.LBB30_4887:
	v_and_b32_e32 v7, 0xffff, v5
	s_delay_alu instid0(VALU_DEP_1) | instskip(SKIP_1) | instid1(VALU_DEP_2)
	v_dual_lshlrev_b32 v5, 24, v5 :: v_dual_bitop2_b32 v9, 7, v7 bitop3:0x40
	v_bfe_u32 v24, v7, 3, 4
	v_and_b32_e32 v5, 0x80000000, v5
	s_delay_alu instid0(VALU_DEP_3) | instskip(NEXT) | instid1(VALU_DEP_3)
	v_clz_i32_u32_e32 v11, v9
	v_cmp_eq_u32_e32 vcc_lo, 0, v24
	s_delay_alu instid0(VALU_DEP_2) | instskip(NEXT) | instid1(VALU_DEP_1)
	v_min_u32_e32 v11, 32, v11
	v_subrev_nc_u32_e32 v13, 28, v11
	v_sub_nc_u32_e32 v11, 29, v11
	s_delay_alu instid0(VALU_DEP_2) | instskip(NEXT) | instid1(VALU_DEP_2)
	v_lshlrev_b32_e32 v7, v13, v7
	v_cndmask_b32_e32 v11, v24, v11, vcc_lo
	s_delay_alu instid0(VALU_DEP_2) | instskip(NEXT) | instid1(VALU_DEP_1)
	v_and_b32_e32 v7, 7, v7
	v_cndmask_b32_e32 v7, v9, v7, vcc_lo
	s_delay_alu instid0(VALU_DEP_3) | instskip(NEXT) | instid1(VALU_DEP_2)
	v_lshl_add_u32 v9, v11, 23, 0x3b800000
	v_lshlrev_b32_e32 v7, 20, v7
	s_delay_alu instid0(VALU_DEP_1) | instskip(NEXT) | instid1(VALU_DEP_1)
	v_or3_b32 v5, v5, v9, v7
	v_trunc_f32_e32 v5, v5
	s_delay_alu instid0(VALU_DEP_1) | instskip(SKIP_1) | instid1(VALU_DEP_2)
	v_mul_f32_e64 v7, 0x2f800000, |v5|
	v_ashrrev_i32_e32 v24, 31, v5
	v_floor_f32_e32 v7, v7
	s_delay_alu instid0(VALU_DEP_2) | instskip(NEXT) | instid1(VALU_DEP_2)
	v_mov_b32_e32 v25, v24
	v_fma_f32 v9, 0xcf800000, v7, |v5|
	v_cvt_u32_f32_e32 v5, v7
	s_delay_alu instid0(VALU_DEP_2) | instskip(NEXT) | instid1(VALU_DEP_2)
	v_cvt_u32_f32_e32 v7, v9
	v_xor_b32_e32 v29, v5, v24
	s_delay_alu instid0(VALU_DEP_2) | instskip(NEXT) | instid1(VALU_DEP_1)
	v_xor_b32_e32 v28, v7, v24
	v_sub_nc_u64_e32 v[24:25], v[28:29], v[24:25]
.LBB30_4888:
	s_or_b32 exec_lo, exec_lo, s5
.LBB30_4889:
	s_mov_b32 s5, -1
.LBB30_4890:
	s_mov_b32 s20, 0
.LBB30_4891:
	s_delay_alu instid0(SALU_CYCLE_1)
	s_and_b32 vcc_lo, exec_lo, s20
	s_cbranch_vccz .LBB30_4922
; %bb.4892:
	s_cmp_gt_i32 s60, 22
	s_cbranch_scc0 .LBB30_4900
; %bb.4893:
	s_cmp_lt_i32 s60, 24
	s_cbranch_scc1 .LBB30_4903
; %bb.4894:
	s_cmp_gt_i32 s60, 24
	s_cbranch_scc0 .LBB30_4904
; %bb.4895:
	global_load_u8 v5, v[18:19], off
	s_mov_b32 s5, 0
	s_mov_b32 s1, exec_lo
	s_wait_loadcnt 0x0
	v_cmpx_lt_i16_e32 0x7f, v5
	s_xor_b32 s1, exec_lo, s1
	s_cbranch_execz .LBB30_4916
; %bb.4896:
	v_cmp_ne_u16_e32 vcc_lo, 0x80, v5
	s_and_b32 s5, vcc_lo, exec_lo
	s_and_not1_saveexec_b32 s1, s1
	s_cbranch_execnz .LBB30_4917
.LBB30_4897:
	s_or_b32 exec_lo, exec_lo, s1
	v_mov_b64_e32 v[24:25], 0
	s_and_saveexec_b32 s1, s5
	s_cbranch_execz .LBB30_4899
.LBB30_4898:
	v_and_b32_e32 v7, 0xffff, v5
	s_delay_alu instid0(VALU_DEP_1) | instskip(SKIP_1) | instid1(VALU_DEP_2)
	v_dual_lshlrev_b32 v5, 24, v5 :: v_dual_bitop2_b32 v9, 3, v7 bitop3:0x40
	v_bfe_u32 v24, v7, 2, 5
	v_and_b32_e32 v5, 0x80000000, v5
	s_delay_alu instid0(VALU_DEP_3) | instskip(NEXT) | instid1(VALU_DEP_3)
	v_clz_i32_u32_e32 v11, v9
	v_cmp_eq_u32_e32 vcc_lo, 0, v24
	s_delay_alu instid0(VALU_DEP_2) | instskip(NEXT) | instid1(VALU_DEP_1)
	v_min_u32_e32 v11, 32, v11
	v_subrev_nc_u32_e32 v13, 29, v11
	v_sub_nc_u32_e32 v11, 30, v11
	s_delay_alu instid0(VALU_DEP_2) | instskip(NEXT) | instid1(VALU_DEP_2)
	v_lshlrev_b32_e32 v7, v13, v7
	v_cndmask_b32_e32 v11, v24, v11, vcc_lo
	s_delay_alu instid0(VALU_DEP_2) | instskip(NEXT) | instid1(VALU_DEP_1)
	v_and_b32_e32 v7, 3, v7
	v_cndmask_b32_e32 v7, v9, v7, vcc_lo
	s_delay_alu instid0(VALU_DEP_3) | instskip(NEXT) | instid1(VALU_DEP_2)
	v_lshl_add_u32 v9, v11, 23, 0x37800000
	v_lshlrev_b32_e32 v7, 21, v7
	s_delay_alu instid0(VALU_DEP_1) | instskip(NEXT) | instid1(VALU_DEP_1)
	v_or3_b32 v5, v5, v9, v7
	v_trunc_f32_e32 v5, v5
	s_delay_alu instid0(VALU_DEP_1) | instskip(SKIP_1) | instid1(VALU_DEP_2)
	v_mul_f32_e64 v7, 0x2f800000, |v5|
	v_ashrrev_i32_e32 v24, 31, v5
	v_floor_f32_e32 v7, v7
	s_delay_alu instid0(VALU_DEP_2) | instskip(NEXT) | instid1(VALU_DEP_2)
	v_mov_b32_e32 v25, v24
	v_fma_f32 v9, 0xcf800000, v7, |v5|
	v_cvt_u32_f32_e32 v5, v7
	s_delay_alu instid0(VALU_DEP_2) | instskip(NEXT) | instid1(VALU_DEP_2)
	v_cvt_u32_f32_e32 v7, v9
	v_xor_b32_e32 v29, v5, v24
	s_delay_alu instid0(VALU_DEP_2) | instskip(NEXT) | instid1(VALU_DEP_1)
	v_xor_b32_e32 v28, v7, v24
	v_sub_nc_u64_e32 v[24:25], v[28:29], v[24:25]
.LBB30_4899:
	s_or_b32 exec_lo, exec_lo, s1
	s_mov_b32 s1, 0
	s_branch .LBB30_4905
.LBB30_4900:
	s_mov_b32 s1, -1
                                        ; implicit-def: $vgpr24_vgpr25
	s_branch .LBB30_4911
.LBB30_4901:
	s_and_not1_saveexec_b32 s5, s5
	s_cbranch_execz .LBB30_4886
.LBB30_4902:
	v_cmp_ne_u16_e32 vcc_lo, 0, v5
	s_and_not1_b32 s20, s20, exec_lo
	s_and_b32 s21, vcc_lo, exec_lo
	s_delay_alu instid0(SALU_CYCLE_1)
	s_or_b32 s20, s20, s21
	s_or_b32 exec_lo, exec_lo, s5
	v_mov_b64_e32 v[24:25], 0
	s_and_saveexec_b32 s5, s20
	s_cbranch_execnz .LBB30_4887
	s_branch .LBB30_4888
.LBB30_4903:
	s_mov_b32 s1, -1
                                        ; implicit-def: $vgpr24_vgpr25
	s_branch .LBB30_4908
.LBB30_4904:
	s_mov_b32 s1, -1
                                        ; implicit-def: $vgpr24_vgpr25
.LBB30_4905:
	s_delay_alu instid0(SALU_CYCLE_1)
	s_and_b32 vcc_lo, exec_lo, s1
	s_cbranch_vccz .LBB30_4907
; %bb.4906:
	global_load_u8 v5, v[18:19], off
	s_wait_loadcnt 0x0
	v_lshlrev_b32_e32 v5, 24, v5
	s_delay_alu instid0(VALU_DEP_1) | instskip(NEXT) | instid1(VALU_DEP_1)
	v_and_b32_e32 v7, 0x7f000000, v5
	v_clz_i32_u32_e32 v9, v7
	v_add_nc_u32_e32 v13, 0x1000000, v7
	v_cmp_ne_u32_e32 vcc_lo, 0, v7
	s_delay_alu instid0(VALU_DEP_3) | instskip(NEXT) | instid1(VALU_DEP_1)
	v_min_u32_e32 v9, 32, v9
	v_sub_nc_u32_e64 v9, v9, 4 clamp
	s_delay_alu instid0(VALU_DEP_1) | instskip(NEXT) | instid1(VALU_DEP_1)
	v_dual_lshlrev_b32 v11, v9, v7 :: v_dual_lshlrev_b32 v9, 23, v9
	v_lshrrev_b32_e32 v11, 4, v11
	s_delay_alu instid0(VALU_DEP_1) | instskip(SKIP_1) | instid1(VALU_DEP_2)
	v_sub_nc_u32_e32 v9, v11, v9
	v_ashrrev_i32_e32 v11, 8, v13
	v_add_nc_u32_e32 v9, 0x3c000000, v9
	s_delay_alu instid0(VALU_DEP_1) | instskip(NEXT) | instid1(VALU_DEP_1)
	v_and_or_b32 v9, 0x7f800000, v11, v9
	v_cndmask_b32_e32 v7, 0, v9, vcc_lo
	s_delay_alu instid0(VALU_DEP_1) | instskip(NEXT) | instid1(VALU_DEP_1)
	v_and_or_b32 v5, 0x80000000, v5, v7
	v_trunc_f32_e32 v5, v5
	s_delay_alu instid0(VALU_DEP_1) | instskip(SKIP_1) | instid1(VALU_DEP_2)
	v_mul_f32_e64 v7, 0x2f800000, |v5|
	v_ashrrev_i32_e32 v24, 31, v5
	v_floor_f32_e32 v7, v7
	s_delay_alu instid0(VALU_DEP_2) | instskip(NEXT) | instid1(VALU_DEP_2)
	v_mov_b32_e32 v25, v24
	v_fma_f32 v9, 0xcf800000, v7, |v5|
	v_cvt_u32_f32_e32 v5, v7
	s_delay_alu instid0(VALU_DEP_2) | instskip(NEXT) | instid1(VALU_DEP_2)
	v_cvt_u32_f32_e32 v7, v9
	v_xor_b32_e32 v29, v5, v24
	s_delay_alu instid0(VALU_DEP_2) | instskip(NEXT) | instid1(VALU_DEP_1)
	v_xor_b32_e32 v28, v7, v24
	v_sub_nc_u64_e32 v[24:25], v[28:29], v[24:25]
.LBB30_4907:
	s_mov_b32 s1, 0
.LBB30_4908:
	s_delay_alu instid0(SALU_CYCLE_1)
	s_and_not1_b32 vcc_lo, exec_lo, s1
	s_cbranch_vccnz .LBB30_4910
; %bb.4909:
	global_load_u8 v5, v[18:19], off
	s_wait_loadcnt 0x0
	v_lshlrev_b32_e32 v7, 25, v5
	v_lshlrev_b16 v5, 8, v5
	s_delay_alu instid0(VALU_DEP_1) | instskip(SKIP_1) | instid1(VALU_DEP_2)
	v_and_or_b32 v11, 0x7f00, v5, 0.5
	v_bfe_i32 v5, v5, 0, 16
	v_add_f32_e32 v11, -0.5, v11
	v_lshrrev_b32_e32 v9, 4, v7
	v_cmp_gt_u32_e32 vcc_lo, 0x8000000, v7
	s_delay_alu instid0(VALU_DEP_2) | instskip(NEXT) | instid1(VALU_DEP_1)
	v_or_b32_e32 v9, 0x70000000, v9
	v_mul_f32_e32 v9, 0x7800000, v9
	s_delay_alu instid0(VALU_DEP_1) | instskip(NEXT) | instid1(VALU_DEP_1)
	v_cndmask_b32_e32 v7, v9, v11, vcc_lo
	v_and_or_b32 v5, 0x80000000, v5, v7
	s_delay_alu instid0(VALU_DEP_1) | instskip(NEXT) | instid1(VALU_DEP_1)
	v_trunc_f32_e32 v5, v5
	v_mul_f32_e64 v7, 0x2f800000, |v5|
	v_ashrrev_i32_e32 v24, 31, v5
	s_delay_alu instid0(VALU_DEP_2) | instskip(NEXT) | instid1(VALU_DEP_2)
	v_floor_f32_e32 v7, v7
	v_mov_b32_e32 v25, v24
	s_delay_alu instid0(VALU_DEP_2) | instskip(SKIP_1) | instid1(VALU_DEP_2)
	v_fma_f32 v9, 0xcf800000, v7, |v5|
	v_cvt_u32_f32_e32 v5, v7
	v_cvt_u32_f32_e32 v7, v9
	s_delay_alu instid0(VALU_DEP_2) | instskip(NEXT) | instid1(VALU_DEP_2)
	v_xor_b32_e32 v29, v5, v24
	v_xor_b32_e32 v28, v7, v24
	s_delay_alu instid0(VALU_DEP_1)
	v_sub_nc_u64_e32 v[24:25], v[28:29], v[24:25]
.LBB30_4910:
	s_mov_b32 s1, 0
	s_mov_b32 s5, -1
.LBB30_4911:
	s_and_not1_b32 vcc_lo, exec_lo, s1
	s_mov_b32 s1, 0
	s_cbranch_vccnz .LBB30_4922
; %bb.4912:
	s_cmp_gt_i32 s60, 14
	s_cbranch_scc0 .LBB30_4915
; %bb.4913:
	s_cmp_eq_u32 s60, 15
	s_cbranch_scc0 .LBB30_4918
; %bb.4914:
	global_load_u16 v5, v[18:19], off
	s_mov_b32 s0, 0
	s_mov_b32 s5, -1
	s_wait_loadcnt 0x0
	v_lshlrev_b32_e32 v5, 16, v5
	s_delay_alu instid0(VALU_DEP_1) | instskip(NEXT) | instid1(VALU_DEP_1)
	v_trunc_f32_e32 v5, v5
	v_mul_f32_e64 v7, 0x2f800000, |v5|
	v_ashrrev_i32_e32 v24, 31, v5
	s_delay_alu instid0(VALU_DEP_2) | instskip(NEXT) | instid1(VALU_DEP_2)
	v_floor_f32_e32 v7, v7
	v_mov_b32_e32 v25, v24
	s_delay_alu instid0(VALU_DEP_2) | instskip(SKIP_1) | instid1(VALU_DEP_2)
	v_fma_f32 v9, 0xcf800000, v7, |v5|
	v_cvt_u32_f32_e32 v5, v7
	v_cvt_u32_f32_e32 v7, v9
	s_delay_alu instid0(VALU_DEP_2) | instskip(NEXT) | instid1(VALU_DEP_2)
	v_xor_b32_e32 v29, v5, v24
	v_xor_b32_e32 v28, v7, v24
	s_delay_alu instid0(VALU_DEP_1)
	v_sub_nc_u64_e32 v[24:25], v[28:29], v[24:25]
	s_branch .LBB30_4920
.LBB30_4915:
	s_mov_b32 s1, -1
	s_branch .LBB30_4919
.LBB30_4916:
	s_and_not1_saveexec_b32 s1, s1
	s_cbranch_execz .LBB30_4897
.LBB30_4917:
	v_cmp_ne_u16_e32 vcc_lo, 0, v5
	s_and_not1_b32 s5, s5, exec_lo
	s_and_b32 s20, vcc_lo, exec_lo
	s_delay_alu instid0(SALU_CYCLE_1)
	s_or_b32 s5, s5, s20
	s_or_b32 exec_lo, exec_lo, s1
	v_mov_b64_e32 v[24:25], 0
	s_and_saveexec_b32 s1, s5
	s_cbranch_execnz .LBB30_4898
	s_branch .LBB30_4899
.LBB30_4918:
	s_mov_b32 s0, -1
.LBB30_4919:
                                        ; implicit-def: $vgpr24_vgpr25
.LBB30_4920:
	s_and_b32 vcc_lo, exec_lo, s1
	s_mov_b32 s1, 0
	s_cbranch_vccz .LBB30_4922
; %bb.4921:
	s_cmp_lg_u32 s60, 11
	s_mov_b32 s1, -1
	s_cselect_b32 s0, -1, 0
.LBB30_4922:
	s_delay_alu instid0(SALU_CYCLE_1)
	s_and_b32 vcc_lo, exec_lo, s0
	s_cbranch_vccnz .LBB30_5010
; %bb.4923:
	s_and_not1_b32 vcc_lo, exec_lo, s1
	s_cbranch_vccnz .LBB30_4925
.LBB30_4924:
	global_load_u8 v5, v[18:19], off
	s_mov_b32 s0, 0
	s_mov_b32 s5, -1
	s_wait_loadcnt 0x1
	v_mov_b32_e32 v25, s0
	s_wait_loadcnt 0x0
	v_cmp_ne_u16_e32 vcc_lo, 0, v5
	v_cndmask_b32_e64 v24, 0, 1, vcc_lo
.LBB30_4925:
	s_mov_b32 s0, 0
.LBB30_4926:
	s_delay_alu instid0(SALU_CYCLE_1)
	s_and_b32 vcc_lo, exec_lo, s0
	s_cbranch_vccz .LBB30_4975
; %bb.4927:
	s_cmp_lt_i32 s60, 5
	s_cbranch_scc1 .LBB30_4932
; %bb.4928:
	s_cmp_lt_i32 s60, 8
	s_cbranch_scc1 .LBB30_4933
	;; [unrolled: 3-line block ×3, first 2 shown]
; %bb.4930:
	s_cmp_gt_i32 s60, 9
	s_cbranch_scc0 .LBB30_4935
; %bb.4931:
	s_wait_loadcnt 0x0
	global_load_b64 v[24:25], v[18:19], off
	s_mov_b32 s0, 0
	s_wait_loadcnt 0x0
	v_trunc_f64_e32 v[24:25], v[24:25]
	s_delay_alu instid0(VALU_DEP_1) | instskip(NEXT) | instid1(VALU_DEP_1)
	v_ldexp_f64 v[28:29], v[24:25], 0xffffffe0
	v_floor_f64_e32 v[28:29], v[28:29]
	s_delay_alu instid0(VALU_DEP_1) | instskip(SKIP_1) | instid1(VALU_DEP_2)
	v_fmamk_f64 v[30:31], v[28:29], 0xc1f00000, v[24:25]
	v_cvt_i32_f64_e32 v25, v[28:29]
	v_cvt_u32_f64_e32 v24, v[30:31]
	s_branch .LBB30_4936
.LBB30_4932:
	s_mov_b32 s0, -1
                                        ; implicit-def: $vgpr24_vgpr25
	s_branch .LBB30_4954
.LBB30_4933:
	s_mov_b32 s0, -1
                                        ; implicit-def: $vgpr24_vgpr25
	s_branch .LBB30_4942
.LBB30_4934:
	s_mov_b32 s0, -1
                                        ; implicit-def: $vgpr24_vgpr25
	s_branch .LBB30_4939
.LBB30_4935:
	s_mov_b32 s0, -1
                                        ; implicit-def: $vgpr24_vgpr25
.LBB30_4936:
	s_delay_alu instid0(SALU_CYCLE_1)
	s_and_not1_b32 vcc_lo, exec_lo, s0
	s_cbranch_vccnz .LBB30_4938
; %bb.4937:
	global_load_b32 v5, v[18:19], off
	s_wait_loadcnt 0x0
	v_trunc_f32_e32 v5, v5
	s_delay_alu instid0(VALU_DEP_1) | instskip(SKIP_1) | instid1(VALU_DEP_2)
	v_mul_f32_e64 v7, 0x2f800000, |v5|
	v_ashrrev_i32_e32 v24, 31, v5
	v_floor_f32_e32 v7, v7
	s_delay_alu instid0(VALU_DEP_1) | instskip(SKIP_1) | instid1(VALU_DEP_4)
	v_fma_f32 v9, 0xcf800000, v7, |v5|
	v_cvt_u32_f32_e32 v5, v7
	v_mov_b32_e32 v25, v24
	s_delay_alu instid0(VALU_DEP_3) | instskip(NEXT) | instid1(VALU_DEP_3)
	v_cvt_u32_f32_e32 v7, v9
	v_xor_b32_e32 v29, v5, v24
	s_delay_alu instid0(VALU_DEP_2) | instskip(NEXT) | instid1(VALU_DEP_1)
	v_xor_b32_e32 v28, v7, v24
	v_sub_nc_u64_e32 v[24:25], v[28:29], v[24:25]
.LBB30_4938:
	s_mov_b32 s0, 0
.LBB30_4939:
	s_delay_alu instid0(SALU_CYCLE_1)
	s_and_not1_b32 vcc_lo, exec_lo, s0
	s_cbranch_vccnz .LBB30_4941
; %bb.4940:
	global_load_b32 v5, v[18:19], off
	s_wait_loadcnt 0x0
	v_cvt_f32_f16_e32 v5, v5
	s_delay_alu instid0(VALU_DEP_1) | instskip(NEXT) | instid1(VALU_DEP_1)
	v_cvt_i32_f32_e32 v24, v5
	v_ashrrev_i32_e32 v25, 31, v24
.LBB30_4941:
	s_mov_b32 s0, 0
.LBB30_4942:
	s_delay_alu instid0(SALU_CYCLE_1)
	s_and_not1_b32 vcc_lo, exec_lo, s0
	s_cbranch_vccnz .LBB30_4953
; %bb.4943:
	s_cmp_lt_i32 s60, 6
	s_cbranch_scc1 .LBB30_4946
; %bb.4944:
	s_cmp_gt_i32 s60, 6
	s_cbranch_scc0 .LBB30_4947
; %bb.4945:
	s_wait_loadcnt 0x0
	global_load_b64 v[24:25], v[18:19], off
	s_mov_b32 s0, 0
	s_wait_loadcnt 0x0
	v_trunc_f64_e32 v[24:25], v[24:25]
	s_delay_alu instid0(VALU_DEP_1) | instskip(NEXT) | instid1(VALU_DEP_1)
	v_ldexp_f64 v[28:29], v[24:25], 0xffffffe0
	v_floor_f64_e32 v[28:29], v[28:29]
	s_delay_alu instid0(VALU_DEP_1) | instskip(SKIP_1) | instid1(VALU_DEP_2)
	v_fmamk_f64 v[30:31], v[28:29], 0xc1f00000, v[24:25]
	v_cvt_i32_f64_e32 v25, v[28:29]
	v_cvt_u32_f64_e32 v24, v[30:31]
	s_branch .LBB30_4948
.LBB30_4946:
	s_mov_b32 s0, -1
                                        ; implicit-def: $vgpr24_vgpr25
	s_branch .LBB30_4951
.LBB30_4947:
	s_mov_b32 s0, -1
                                        ; implicit-def: $vgpr24_vgpr25
.LBB30_4948:
	s_delay_alu instid0(SALU_CYCLE_1)
	s_and_not1_b32 vcc_lo, exec_lo, s0
	s_cbranch_vccnz .LBB30_4950
; %bb.4949:
	global_load_b32 v5, v[18:19], off
	s_wait_loadcnt 0x0
	v_trunc_f32_e32 v5, v5
	s_delay_alu instid0(VALU_DEP_1) | instskip(SKIP_1) | instid1(VALU_DEP_2)
	v_mul_f32_e64 v7, 0x2f800000, |v5|
	v_ashrrev_i32_e32 v24, 31, v5
	v_floor_f32_e32 v7, v7
	s_delay_alu instid0(VALU_DEP_1) | instskip(SKIP_1) | instid1(VALU_DEP_4)
	v_fma_f32 v9, 0xcf800000, v7, |v5|
	v_cvt_u32_f32_e32 v5, v7
	v_mov_b32_e32 v25, v24
	s_delay_alu instid0(VALU_DEP_3) | instskip(NEXT) | instid1(VALU_DEP_3)
	v_cvt_u32_f32_e32 v7, v9
	v_xor_b32_e32 v29, v5, v24
	s_delay_alu instid0(VALU_DEP_2) | instskip(NEXT) | instid1(VALU_DEP_1)
	v_xor_b32_e32 v28, v7, v24
	v_sub_nc_u64_e32 v[24:25], v[28:29], v[24:25]
.LBB30_4950:
	s_mov_b32 s0, 0
.LBB30_4951:
	s_delay_alu instid0(SALU_CYCLE_1)
	s_and_not1_b32 vcc_lo, exec_lo, s0
	s_cbranch_vccnz .LBB30_4953
; %bb.4952:
	global_load_u16 v5, v[18:19], off
	s_wait_loadcnt 0x0
	v_cvt_f32_f16_e32 v5, v5
	s_delay_alu instid0(VALU_DEP_1) | instskip(NEXT) | instid1(VALU_DEP_1)
	v_cvt_i32_f32_e32 v24, v5
	v_ashrrev_i32_e32 v25, 31, v24
.LBB30_4953:
	s_mov_b32 s0, 0
.LBB30_4954:
	s_delay_alu instid0(SALU_CYCLE_1)
	s_and_not1_b32 vcc_lo, exec_lo, s0
	s_cbranch_vccnz .LBB30_4974
; %bb.4955:
	s_cmp_lt_i32 s60, 2
	s_cbranch_scc1 .LBB30_4959
; %bb.4956:
	s_cmp_lt_i32 s60, 3
	s_cbranch_scc1 .LBB30_4960
; %bb.4957:
	s_cmp_gt_i32 s60, 3
	s_cbranch_scc0 .LBB30_4961
; %bb.4958:
	s_wait_loadcnt 0x0
	global_load_b64 v[24:25], v[18:19], off
	s_mov_b32 s0, 0
	s_branch .LBB30_4962
.LBB30_4959:
	s_mov_b32 s0, -1
                                        ; implicit-def: $vgpr24_vgpr25
	s_branch .LBB30_4968
.LBB30_4960:
	s_mov_b32 s0, -1
                                        ; implicit-def: $vgpr24_vgpr25
	s_branch .LBB30_4965
.LBB30_4961:
	s_mov_b32 s0, -1
                                        ; implicit-def: $vgpr24_vgpr25
.LBB30_4962:
	s_delay_alu instid0(SALU_CYCLE_1)
	s_and_not1_b32 vcc_lo, exec_lo, s0
	s_cbranch_vccnz .LBB30_4964
; %bb.4963:
	s_wait_loadcnt 0x0
	global_load_b32 v24, v[18:19], off
	s_wait_loadcnt 0x0
	v_ashrrev_i32_e32 v25, 31, v24
.LBB30_4964:
	s_mov_b32 s0, 0
.LBB30_4965:
	s_delay_alu instid0(SALU_CYCLE_1)
	s_and_not1_b32 vcc_lo, exec_lo, s0
	s_cbranch_vccnz .LBB30_4967
; %bb.4966:
	global_load_u16 v5, v[18:19], off
	s_wait_loadcnt 0x0
	v_bfe_i32 v24, v5, 0, 16
	s_delay_alu instid0(VALU_DEP_1)
	v_ashrrev_i32_e32 v25, 31, v24
.LBB30_4967:
	s_mov_b32 s0, 0
.LBB30_4968:
	s_delay_alu instid0(SALU_CYCLE_1)
	s_and_not1_b32 vcc_lo, exec_lo, s0
	s_cbranch_vccnz .LBB30_4974
; %bb.4969:
	s_cmp_gt_i32 s60, 0
	s_mov_b32 s0, 0
	s_cbranch_scc0 .LBB30_4971
; %bb.4970:
	global_load_i8 v5, v[18:19], off
	s_wait_loadcnt 0x0
	v_bfe_i32 v24, v5, 0, 16
	s_delay_alu instid0(VALU_DEP_1)
	v_ashrrev_i32_e32 v25, 31, v24
	s_branch .LBB30_4972
.LBB30_4971:
	s_mov_b32 s0, -1
                                        ; implicit-def: $vgpr24_vgpr25
.LBB30_4972:
	s_delay_alu instid0(SALU_CYCLE_1)
	s_and_not1_b32 vcc_lo, exec_lo, s0
	s_cbranch_vccnz .LBB30_4974
; %bb.4973:
	global_load_u8 v5, v[18:19], off
	s_mov_b32 s0, 0
	s_wait_loadcnt 0x1
	v_mov_b32_e32 v25, s0
	s_wait_loadcnt 0x0
	v_and_b32_e32 v24, 0xffff, v5
.LBB30_4974:
	s_mov_b32 s5, -1
.LBB30_4975:
	s_delay_alu instid0(SALU_CYCLE_1)
	s_and_not1_b32 vcc_lo, exec_lo, s5
	s_cbranch_vccnz .LBB30_4984
; %bb.4976:
	s_mov_b32 s0, exec_lo
	s_wait_loadcnt 0x0
	v_cmpx_ne_u64_e64 v[20:21], v[0:1]
	s_xor_b32 s0, exec_lo, s0
	s_cbranch_execnz .LBB30_5144
.LBB30_4977:
	s_or_saveexec_b32 s61, s0
	s_mov_b32 s1, 0
	s_mov_b32 s5, 0
                                        ; implicit-def: $vgpr20_vgpr21
                                        ; implicit-def: $sgpr0
	s_xor_b32 exec_lo, exec_lo, s61
	s_cbranch_execz .LBB30_5655
; %bb.4978:
	s_mov_b32 s65, s55
	s_mov_b32 s0, exec_lo
	v_cmpx_ne_u64_e64 v[22:23], v[2:3]
	s_xor_b32 s0, exec_lo, s0
	s_cbranch_execnz .LBB30_5272
; %bb.4979:
	s_or_saveexec_b32 s66, s0
                                        ; implicit-def: $vgpr20_vgpr21
                                        ; implicit-def: $sgpr0
	s_delay_alu instid0(SALU_CYCLE_1)
	s_xor_b32 exec_lo, exec_lo, s66
	s_cbranch_execz .LBB30_5654
.LBB30_4980:
	v_sub_nc_u64_e32 v[18:19], v[16:17], v[14:15]
	s_mov_b32 s67, s65
	s_delay_alu instid0(VALU_DEP_1) | instskip(SKIP_2) | instid1(SALU_CYCLE_1)
	v_cmp_gt_i64_e32 vcc_lo, v[0:1], v[18:19]
	v_cmp_lt_i64_e64 s0, s[16:17], v[18:19]
	s_or_b32 s0, vcc_lo, s0
	s_and_saveexec_b32 s1, s0
	s_delay_alu instid0(SALU_CYCLE_1)
	s_xor_b32 s0, exec_lo, s1
	s_cbranch_execnz .LBB30_5400
.LBB30_4981:
	s_or_saveexec_b32 s68, s0
	s_mov_b32 s1, 0
	s_mov_b32 s20, 0
                                        ; implicit-def: $vgpr20_vgpr21
                                        ; implicit-def: $sgpr0
	s_xor_b32 exec_lo, exec_lo, s68
	s_cbranch_execz .LBB30_5653
; %bb.4982:
	v_mov_b64_e32 v[18:19], 0
	s_and_saveexec_b32 s71, s47
	s_cbranch_execz .LBB30_4995
; %bb.4983:
	v_mul_u64_e32 v[22:23], v[24:25], v[2:3]
	s_mov_b32 s5, s1
	v_mov_b64_e32 v[18:19], 0
	s_lshl_b64 s[22:23], s[4:5], 3
	v_mov_b32_e32 v20, 0
	s_add_nc_u64 s[22:23], s[28:29], s[22:23]
	s_mov_b64 s[20:21], 0xffffffff
	s_add_nc_u64 s[22:23], s[22:23], 0x68
	s_mov_b32 s5, s45
	s_branch .LBB30_4991
.LBB30_4984:
	s_mov_b32 s1, 0
	s_mov_b32 s5, 0
                                        ; implicit-def: $vgpr20_vgpr21
                                        ; implicit-def: $sgpr0
.LBB30_4985:
	s_and_not1_b32 s2, s53, exec_lo
	s_and_b32 s3, s55, exec_lo
	s_and_b32 s5, s5, exec_lo
	;; [unrolled: 1-line block ×3, first 2 shown]
	s_or_b32 s53, s2, s3
.LBB30_4986:
	s_wait_xcnt 0x0
	s_or_b32 exec_lo, exec_lo, s54
	s_delay_alu instid0(SALU_CYCLE_1)
	s_and_not1_b32 s2, s51, exec_lo
	s_and_b32 s3, s53, exec_lo
	s_and_b32 s5, s5, exec_lo
	;; [unrolled: 1-line block ×3, first 2 shown]
	s_or_b32 s51, s2, s3
.LBB30_4987:
	s_or_b32 exec_lo, exec_lo, s52
	s_delay_alu instid0(SALU_CYCLE_1)
	s_and_not1_b32 s2, s49, exec_lo
	s_and_b32 s3, s51, exec_lo
	s_and_b32 s5, s5, exec_lo
	;; [unrolled: 1-line block ×3, first 2 shown]
	s_or_b32 s49, s2, s3
.LBB30_4988:
	s_or_b32 exec_lo, exec_lo, s50
	s_delay_alu instid0(SALU_CYCLE_1)
	s_and_not1_b32 s2, s44, exec_lo
	s_and_b32 s3, s49, exec_lo
	s_and_b32 s5, s5, exec_lo
	;; [unrolled: 1-line block ×3, first 2 shown]
	s_or_b32 s44, s2, s3
.LBB30_4989:
	s_or_b32 exec_lo, exec_lo, s48
	s_branch .LBB30_4319
.LBB30_4990:                            ;   in Loop: Header=BB30_4991 Depth=1
	s_or_b32 exec_lo, exec_lo, s0
	s_delay_alu instid0(VALU_DEP_1)
	v_mul_u64_e32 v[28:29], s[24:25], v[24:25]
	s_load_b64 s[24:25], s[22:23], 0x40
	s_add_co_i32 s5, s5, -1
	s_wait_xcnt 0x0
	s_add_nc_u64 s[22:23], s[22:23], -8
	s_cmp_eq_u32 s5, 0
	s_delay_alu instid0(VALU_DEP_1) | instskip(SKIP_1) | instid1(VALU_DEP_1)
	v_sub_nc_u64_e32 v[22:23], v[22:23], v[28:29]
	s_wait_kmcnt 0x0
	v_mad_nc_u64_u32 v[18:19], v22, s24, v[18:19]
	s_delay_alu instid0(VALU_DEP_1) | instskip(NEXT) | instid1(VALU_DEP_1)
	v_mad_u32 v5, v23, s24, v19
	v_mad_u32 v19, v22, s25, v5
	v_mov_b64_e32 v[22:23], v[24:25]
	s_cbranch_scc1 .LBB30_4995
.LBB30_4991:                            ; =>This Inner Loop Header: Depth=1
	s_load_b64 s[24:25], s[22:23], 0x0
                                        ; implicit-def: $vgpr24_vgpr25
	s_mov_b32 s0, exec_lo
	s_wait_kmcnt 0x0
	s_delay_alu instid0(VALU_DEP_1) | instskip(NEXT) | instid1(VALU_DEP_1)
	v_or_b32_e32 v21, s25, v23
	v_cmpx_ne_u64_e32 0, v[20:21]
	s_xor_b32 s72, exec_lo, s0
	s_cbranch_execz .LBB30_4993
; %bb.4992:                             ;   in Loop: Header=BB30_4991 Depth=1
	s_ashr_i32 s26, s25, 31
	v_dual_mov_b32 v31, v20 :: v_dual_ashrrev_i32 v24, 31, v23
	s_mov_b32 s27, s26
	v_mov_b32_e32 v35, v20
	s_add_nc_u64 s[30:31], s[24:25], s[26:27]
	s_delay_alu instid0(VALU_DEP_2)
	v_mov_b32_e32 v25, v24
	s_xor_b64 s[30:31], s[30:31], s[26:27]
	v_mov_b32_e32 v39, v20
	s_cvt_f32_u32 s0, s30
	s_cvt_f32_u32 s27, s31
	s_sub_nc_u64 s[76:77], 0, s[30:31]
	v_add_nc_u64_e32 v[28:29], v[22:23], v[24:25]
	s_delay_alu instid0(SALU_CYCLE_1) | instskip(NEXT) | instid1(SALU_CYCLE_3)
	s_fmamk_f32 s0, s27, 0x4f800000, s0
	v_s_rcp_f32 s0, s0
	s_delay_alu instid0(VALU_DEP_1) | instskip(NEXT) | instid1(VALU_DEP_2)
	v_xor_b32_e32 v34, v29, v24
	v_xor_b32_e32 v30, v28, v24
	;; [unrolled: 1-line block ×3, first 2 shown]
	s_delay_alu instid0(TRANS32_DEP_1) | instskip(NEXT) | instid1(VALU_DEP_1)
	s_mul_f32 s0, s0, 0x5f7ffffc
	v_mov_b32_e32 v25, v24
	s_delay_alu instid0(SALU_CYCLE_2) | instskip(NEXT) | instid1(SALU_CYCLE_3)
	s_mul_f32 s27, s0, 0x2f800000
	s_trunc_f32 s27, s27
	s_delay_alu instid0(SALU_CYCLE_3) | instskip(SKIP_1) | instid1(SALU_CYCLE_2)
	s_fmamk_f32 s0, s27, 0xcf800000, s0
	s_cvt_u32_f32 s75, s27
	s_cvt_u32_f32 s74, s0
	s_delay_alu instid0(SALU_CYCLE_3) | instskip(NEXT) | instid1(SALU_CYCLE_1)
	s_mul_u64 s[78:79], s[76:77], s[74:75]
	s_mul_hi_u32 s81, s74, s79
	s_mul_i32 s80, s74, s79
	s_mul_hi_u32 s0, s74, s78
	s_mul_i32 s73, s75, s78
	s_add_nc_u64 s[80:81], s[0:1], s[80:81]
	s_mul_hi_u32 s27, s75, s78
	s_mul_hi_u32 s82, s75, s79
	s_add_co_u32 s0, s80, s73
	s_add_co_ci_u32 s0, s81, s27
	s_mul_i32 s78, s75, s79
	s_add_co_ci_u32 s79, s82, 0
	s_delay_alu instid0(SALU_CYCLE_1) | instskip(NEXT) | instid1(SALU_CYCLE_1)
	s_add_nc_u64 s[78:79], s[0:1], s[78:79]
	s_add_co_u32 s74, s74, s78
	s_cselect_b32 s0, -1, 0
	s_delay_alu instid0(SALU_CYCLE_1) | instskip(SKIP_1) | instid1(SALU_CYCLE_1)
	s_cmp_lg_u32 s0, 0
	s_add_co_ci_u32 s75, s75, s79
	s_mul_u64 s[76:77], s[76:77], s[74:75]
	s_delay_alu instid0(SALU_CYCLE_1)
	s_mul_hi_u32 s79, s74, s77
	s_mul_i32 s78, s74, s77
	s_mul_hi_u32 s0, s74, s76
	s_mul_i32 s73, s75, s76
	s_add_nc_u64 s[78:79], s[0:1], s[78:79]
	s_mul_hi_u32 s27, s75, s76
	s_mul_hi_u32 s80, s75, s77
	s_add_co_u32 s0, s78, s73
	s_add_co_ci_u32 s0, s79, s27
	s_mul_i32 s76, s75, s77
	s_add_co_ci_u32 s77, s80, 0
	s_delay_alu instid0(SALU_CYCLE_1) | instskip(NEXT) | instid1(SALU_CYCLE_1)
	s_add_nc_u64 s[76:77], s[0:1], s[76:77]
	s_add_co_u32 s74, s74, s76
	s_cselect_b32 s0, -1, 0
	v_mul_hi_u32 v38, v30, s74
	s_cmp_lg_u32 s0, 0
	s_add_co_ci_u32 s0, s75, s77
	s_and_b64 s[76:77], s[74:75], s[20:21]
	v_mul_u64_e32 v[32:33], s[0:1], v[30:31]
	v_mul_u64_e32 v[28:29], s[76:77], v[34:35]
	;; [unrolled: 1-line block ×3, first 2 shown]
	s_delay_alu instid0(VALU_DEP_3) | instskip(NEXT) | instid1(VALU_DEP_1)
	v_add_nc_u64_e32 v[32:33], v[38:39], v[32:33]
	v_add_co_u32 v5, vcc_lo, v32, v28
	s_delay_alu instid0(VALU_DEP_2) | instskip(NEXT) | instid1(VALU_DEP_4)
	v_add_co_ci_u32_e32 v38, vcc_lo, v33, v29, vcc_lo
	v_add_co_ci_u32_e32 v37, vcc_lo, 0, v37, vcc_lo
	s_delay_alu instid0(VALU_DEP_1) | instskip(NEXT) | instid1(VALU_DEP_1)
	v_add_nc_u64_e32 v[28:29], v[38:39], v[36:37]
	v_mul_u64_e32 v[32:33], s[30:31], v[28:29]
	s_delay_alu instid0(VALU_DEP_1) | instskip(NEXT) | instid1(VALU_DEP_2)
	v_sub_nc_u32_e32 v5, v34, v33
	v_sub_co_u32 v7, vcc_lo, v30, v32
	s_delay_alu instid0(VALU_DEP_1) | instskip(NEXT) | instid1(VALU_DEP_3)
	v_sub_co_ci_u32_e64 v11, null, v34, v33, vcc_lo
	v_subrev_co_ci_u32_e64 v5, null, s31, v5, vcc_lo
	s_delay_alu instid0(VALU_DEP_3) | instskip(SKIP_1) | instid1(VALU_DEP_3)
	v_sub_co_u32 v9, s0, v7, s30
	v_add_nc_u64_e32 v[30:31], 2, v[28:29]
	v_subrev_co_ci_u32_e64 v5, null, 0, v5, s0
	s_delay_alu instid0(VALU_DEP_3) | instskip(SKIP_2) | instid1(VALU_DEP_4)
	v_cmp_le_u32_e32 vcc_lo, s30, v9
	v_add_nc_u64_e32 v[32:33], 1, v[28:29]
	v_cndmask_b32_e64 v9, 0, -1, vcc_lo
	v_cmp_le_u32_e32 vcc_lo, s31, v5
	v_cndmask_b32_e64 v13, 0, -1, vcc_lo
	v_cmp_le_u32_e32 vcc_lo, s30, v7
	;; [unrolled: 2-line block ×3, first 2 shown]
	v_cndmask_b32_e64 v21, 0, -1, vcc_lo
	v_cmp_eq_u32_e32 vcc_lo, s31, v5
	v_cndmask_b32_e32 v5, v13, v9, vcc_lo
	v_cmp_eq_u32_e32 vcc_lo, s31, v11
	s_delay_alu instid0(VALU_DEP_4) | instskip(NEXT) | instid1(VALU_DEP_3)
	v_cndmask_b32_e32 v7, v21, v7, vcc_lo
	v_cmp_ne_u32_e32 vcc_lo, 0, v5
	s_delay_alu instid0(VALU_DEP_2) | instskip(SKIP_1) | instid1(VALU_DEP_1)
	v_cmp_ne_u32_e64 s0, 0, v7
	v_dual_cndmask_b32 v5, v33, v31, vcc_lo :: v_dual_cndmask_b32 v7, v32, v30, vcc_lo
	v_dual_cndmask_b32 v5, v29, v5, s0 :: v_dual_cndmask_b32 v7, v28, v7, s0
	s_delay_alu instid0(VALU_DEP_1) | instskip(NEXT) | instid1(VALU_DEP_2)
	v_xor_b32_e32 v29, v5, v24
	v_xor_b32_e32 v28, v7, v24
	s_delay_alu instid0(VALU_DEP_1)
	v_sub_nc_u64_e32 v[24:25], v[28:29], v[24:25]
.LBB30_4993:                            ;   in Loop: Header=BB30_4991 Depth=1
	s_and_not1_saveexec_b32 s0, s72
	s_cbranch_execz .LBB30_4990
; %bb.4994:                             ;   in Loop: Header=BB30_4991 Depth=1
	v_cvt_f32_u32_e32 v5, s24
	s_sub_co_i32 s26, 0, s24
	v_mov_b32_e32 v25, v20
	s_delay_alu instid0(VALU_DEP_2) | instskip(SKIP_1) | instid1(TRANS32_DEP_1)
	v_rcp_iflag_f32_e32 v5, v5
	v_nop
	v_mul_f32_e32 v5, 0x4f7ffffe, v5
	s_delay_alu instid0(VALU_DEP_1) | instskip(NEXT) | instid1(VALU_DEP_1)
	v_cvt_u32_f32_e32 v5, v5
	v_mul_lo_u32 v7, s26, v5
	s_delay_alu instid0(VALU_DEP_1) | instskip(NEXT) | instid1(VALU_DEP_1)
	v_mul_hi_u32 v7, v5, v7
	v_add_nc_u32_e32 v5, v5, v7
	s_delay_alu instid0(VALU_DEP_1) | instskip(NEXT) | instid1(VALU_DEP_1)
	v_mul_hi_u32 v5, v22, v5
	v_mul_lo_u32 v7, v5, s24
	s_delay_alu instid0(VALU_DEP_1) | instskip(NEXT) | instid1(VALU_DEP_1)
	v_sub_nc_u32_e32 v7, v22, v7
	v_subrev_nc_u32_e32 v11, s24, v7
	v_cmp_le_u32_e32 vcc_lo, s24, v7
	s_delay_alu instid0(VALU_DEP_2) | instskip(NEXT) | instid1(VALU_DEP_1)
	v_dual_add_nc_u32 v9, 1, v5 :: v_dual_cndmask_b32 v7, v7, v11, vcc_lo
	v_cndmask_b32_e32 v5, v5, v9, vcc_lo
	s_delay_alu instid0(VALU_DEP_2) | instskip(NEXT) | instid1(VALU_DEP_2)
	v_cmp_le_u32_e32 vcc_lo, s24, v7
	v_add_nc_u32_e32 v9, 1, v5
	s_delay_alu instid0(VALU_DEP_1)
	v_cndmask_b32_e32 v24, v5, v9, vcc_lo
	s_branch .LBB30_4990
.LBB30_4995:
	s_or_b32 exec_lo, exec_lo, s71
	s_mov_b32 s21, -1
	s_mov_b32 s1, s67
	s_mov_b32 s0, exec_lo
	v_cmpx_gt_i64_e64 v[16:17], v[14:15]
	s_cbranch_execz .LBB30_5002
; %bb.4996:
	s_delay_alu instid0(VALU_DEP_2) | instskip(SKIP_2) | instid1(VALU_DEP_1)
	v_lshlrev_b64_e32 v[18:19], 3, v[18:19]
	s_mov_b32 s5, 0
	s_xor_b32 s20, s46, -1
                                        ; implicit-def: $sgpr1
                                        ; implicit-def: $sgpr22
                                        ; implicit-def: $sgpr21
	v_lshl_add_u64 v[14:15], v[14:15], 3, v[18:19]
	s_wait_kmcnt 0x0
	v_add_nc_u64_e32 v[18:19], s[18:19], v[18:19]
	s_delay_alu instid0(VALU_DEP_2) | instskip(NEXT) | instid1(VALU_DEP_2)
	v_add_nc_u64_e32 v[14:15], s[18:19], v[14:15]
	v_lshl_add_u64 v[16:17], v[16:17], 3, v[18:19]
	s_delay_alu instid0(VALU_DEP_2)
	v_add_nc_u64_e32 v[14:15], 8, v[14:15]
	s_branch .LBB30_4998
.LBB30_4997:                            ;   in Loop: Header=BB30_4998 Depth=1
	s_or_b32 exec_lo, exec_lo, s23
	s_xor_b32 s23, s21, -1
	s_and_b32 s24, exec_lo, s22
	s_delay_alu instid0(SALU_CYCLE_1) | instskip(SKIP_2) | instid1(SALU_CYCLE_1)
	s_or_b32 s5, s24, s5
	s_and_not1_b32 s1, s1, exec_lo
	s_and_b32 s23, s23, exec_lo
	s_or_b32 s1, s1, s23
	s_and_not1_b32 exec_lo, exec_lo, s5
	s_cbranch_execz .LBB30_5000
.LBB30_4998:                            ; =>This Inner Loop Header: Depth=1
	s_or_b32 s21, s21, exec_lo
	s_or_b32 s22, s22, exec_lo
	s_mov_b32 s23, exec_lo
	s_delay_alu instid0(VALU_DEP_1)
	v_cmpx_lt_u64_e64 v[14:15], v[16:17]
	s_cbranch_execz .LBB30_4997
; %bb.4999:                             ;   in Loop: Header=BB30_4998 Depth=1
	global_load_b128 v[18:21], v[14:15], off offset:-8
	s_wait_xcnt 0x0
	v_add_nc_u64_e32 v[14:15], 8, v[14:15]
	s_and_not1_b32 s22, s22, exec_lo
	s_and_not1_b32 s21, s21, exec_lo
	s_wait_loadcnt 0x0
	v_cmp_ge_i64_e32 vcc_lo, v[18:19], v[20:21]
	s_or_b32 s24, s20, vcc_lo
	s_delay_alu instid0(SALU_CYCLE_1) | instskip(NEXT) | instid1(SALU_CYCLE_1)
	s_and_b32 s24, s24, exec_lo
	s_or_b32 s22, s22, s24
	s_branch .LBB30_4997
.LBB30_5000:
	s_or_b32 exec_lo, exec_lo, s5
	s_mov_b32 s5, -1
	s_mov_b32 s20, s67
	s_and_saveexec_b32 s21, s1
	s_delay_alu instid0(SALU_CYCLE_1)
	s_xor_b32 s1, exec_lo, s21
	s_cbranch_execnz .LBB30_5015
.LBB30_5001:
	s_or_b32 exec_lo, exec_lo, s1
	s_delay_alu instid0(SALU_CYCLE_1)
	s_and_not1_b32 s1, s67, exec_lo
	s_and_b32 s20, s20, exec_lo
	s_or_not1_b32 s21, s5, exec_lo
	s_or_b32 s1, s1, s20
.LBB30_5002:
	s_or_b32 exec_lo, exec_lo, s0
	s_mov_b32 s5, 0
	s_mov_b32 s22, 0
                                        ; implicit-def: $vgpr20_vgpr21
                                        ; implicit-def: $sgpr0
	s_and_saveexec_b32 s20, s21
	s_cbranch_execz .LBB30_5652
; %bb.5003:
	v_add_nc_u32_e32 v4, s69, v4
	s_cmp_lt_i32 s56, 11
	s_delay_alu instid0(VALU_DEP_1) | instskip(NEXT) | instid1(VALU_DEP_1)
	v_ashrrev_i32_e32 v5, 31, v4
	v_add_nc_u64_e32 v[14:15], s[6:7], v[4:5]
	s_cbranch_scc1 .LBB30_5011
; %bb.5004:
	s_cmp_gt_i32 s56, 25
	s_cbranch_scc0 .LBB30_5012
; %bb.5005:
	s_cmp_gt_i32 s56, 28
	s_cbranch_scc0 .LBB30_5013
	;; [unrolled: 3-line block ×4, first 2 shown]
; %bb.5008:
	s_cmp_eq_u32 s56, 46
	s_mov_b32 s7, 0
	s_cbranch_scc0 .LBB30_5017
; %bb.5009:
	global_load_b32 v4, v[14:15], off
	s_mov_b32 s0, 0
	s_mov_b32 s6, -1
	s_wait_loadcnt 0x0
	v_lshlrev_b32_e32 v4, 16, v4
	s_delay_alu instid0(VALU_DEP_1) | instskip(NEXT) | instid1(VALU_DEP_1)
	v_trunc_f32_e32 v4, v4
	v_mul_f32_e64 v5, 0x2f800000, |v4|
	s_delay_alu instid0(VALU_DEP_1) | instskip(NEXT) | instid1(VALU_DEP_1)
	v_floor_f32_e32 v5, v5
	v_fma_f32 v7, 0xcf800000, v5, |v4|
	v_ashrrev_i32_e32 v4, 31, v4
	v_cvt_u32_f32_e32 v9, v5
	s_delay_alu instid0(VALU_DEP_3) | instskip(NEXT) | instid1(VALU_DEP_2)
	v_cvt_u32_f32_e32 v7, v7
	v_dual_mov_b32 v5, v4 :: v_dual_bitop2_b32 v17, v9, v4 bitop3:0x14
	s_delay_alu instid0(VALU_DEP_2) | instskip(NEXT) | instid1(VALU_DEP_1)
	v_xor_b32_e32 v16, v7, v4
	v_sub_nc_u64_e32 v[4:5], v[16:17], v[4:5]
	s_branch .LBB30_5019
.LBB30_5010:
	s_or_b32 s55, s55, exec_lo
	s_trap 2
	s_cbranch_execz .LBB30_4924
	s_branch .LBB30_4925
.LBB30_5011:
	s_mov_b32 s0, -1
	s_mov_b32 s6, 0
	s_mov_b32 s21, s1
                                        ; implicit-def: $vgpr4_vgpr5
	s_branch .LBB30_5081
.LBB30_5012:
	s_mov_b32 s7, -1
	s_mov_b32 s6, 0
	s_mov_b32 s0, 0
                                        ; implicit-def: $vgpr4_vgpr5
	s_branch .LBB30_5046
.LBB30_5013:
	s_mov_b32 s7, -1
	s_mov_b32 s6, 0
	s_mov_b32 s0, 0
                                        ; implicit-def: $vgpr4_vgpr5
	s_branch .LBB30_5029
.LBB30_5014:
	s_mov_b32 s7, -1
	s_mov_b32 s6, 0
	s_mov_b32 s0, 0
                                        ; implicit-def: $vgpr4_vgpr5
	s_branch .LBB30_5024
.LBB30_5015:
	s_or_b32 s20, s67, exec_lo
	s_xor_b32 s5, exec_lo, -1
	s_trap 2
	s_branch .LBB30_5001
.LBB30_5016:
	s_mov_b32 s7, -1
	s_mov_b32 s6, 0
	s_mov_b32 s0, 0
	s_branch .LBB30_5018
.LBB30_5017:
	s_mov_b32 s0, -1
	s_mov_b32 s6, 0
.LBB30_5018:
                                        ; implicit-def: $vgpr4_vgpr5
.LBB30_5019:
	s_and_b32 vcc_lo, exec_lo, s7
	s_cbranch_vccz .LBB30_5023
; %bb.5020:
	s_cmp_eq_u32 s56, 44
	s_cbranch_scc0 .LBB30_5022
; %bb.5021:
	global_load_u8 v7, v[14:15], off
	s_mov_b32 s0, 0
	s_mov_b32 s6, -1
	s_wait_loadcnt 0x0
	v_cmp_ne_u32_e32 vcc_lo, 0, v7
	v_lshlrev_b32_e32 v4, 23, v7
	s_delay_alu instid0(VALU_DEP_1) | instskip(NEXT) | instid1(VALU_DEP_1)
	v_trunc_f32_e32 v4, v4
	v_mul_f32_e64 v5, 0x2f800000, |v4|
	s_delay_alu instid0(VALU_DEP_1) | instskip(NEXT) | instid1(VALU_DEP_1)
	v_floor_f32_e32 v5, v5
	v_fma_f32 v9, 0xcf800000, v5, |v4|
	v_ashrrev_i32_e32 v4, 31, v4
	v_cvt_u32_f32_e32 v11, v5
	s_delay_alu instid0(VALU_DEP_3) | instskip(NEXT) | instid1(VALU_DEP_2)
	v_cvt_u32_f32_e32 v9, v9
	v_dual_mov_b32 v5, v4 :: v_dual_bitop2_b32 v17, v11, v4 bitop3:0x14
	s_delay_alu instid0(VALU_DEP_2) | instskip(NEXT) | instid1(VALU_DEP_1)
	v_xor_b32_e32 v16, v9, v4
	v_sub_nc_u64_e32 v[4:5], v[16:17], v[4:5]
	s_delay_alu instid0(VALU_DEP_1)
	v_dual_cndmask_b32 v5, 0, v5 :: v_dual_cndmask_b32 v4, 0, v4
	s_branch .LBB30_5023
.LBB30_5022:
	s_mov_b32 s0, -1
                                        ; implicit-def: $vgpr4_vgpr5
.LBB30_5023:
	s_mov_b32 s7, 0
.LBB30_5024:
	s_delay_alu instid0(SALU_CYCLE_1)
	s_and_b32 vcc_lo, exec_lo, s7
	s_cbranch_vccz .LBB30_5028
; %bb.5025:
	s_cmp_eq_u32 s56, 29
	s_cbranch_scc0 .LBB30_5027
; %bb.5026:
	global_load_b64 v[4:5], v[14:15], off
	s_mov_b32 s0, 0
	s_mov_b32 s6, -1
	s_branch .LBB30_5028
.LBB30_5027:
	s_mov_b32 s0, -1
                                        ; implicit-def: $vgpr4_vgpr5
.LBB30_5028:
	s_mov_b32 s7, 0
.LBB30_5029:
	s_delay_alu instid0(SALU_CYCLE_1)
	s_and_b32 vcc_lo, exec_lo, s7
	s_cbranch_vccz .LBB30_5045
; %bb.5030:
	s_cmp_lt_i32 s56, 27
	s_cbranch_scc1 .LBB30_5033
; %bb.5031:
	s_cmp_gt_i32 s56, 27
	s_cbranch_scc0 .LBB30_5034
; %bb.5032:
	s_wait_loadcnt 0x0
	global_load_b32 v4, v[14:15], off
	v_mov_b32_e32 v5, 0
	s_mov_b32 s6, 0
	s_branch .LBB30_5035
.LBB30_5033:
	s_mov_b32 s6, -1
                                        ; implicit-def: $vgpr4_vgpr5
	s_branch .LBB30_5038
.LBB30_5034:
	s_mov_b32 s6, -1
                                        ; implicit-def: $vgpr4_vgpr5
.LBB30_5035:
	s_delay_alu instid0(SALU_CYCLE_1)
	s_and_not1_b32 vcc_lo, exec_lo, s6
	s_cbranch_vccnz .LBB30_5037
; %bb.5036:
	s_wait_loadcnt 0x0
	global_load_u16 v4, v[14:15], off
	s_mov_b32 s6, 0
	s_delay_alu instid0(SALU_CYCLE_1)
	v_mov_b32_e32 v5, s6
	s_wait_loadcnt 0x0
	v_and_b32_e32 v4, 0xffff, v4
.LBB30_5037:
	s_mov_b32 s6, 0
.LBB30_5038:
	s_delay_alu instid0(SALU_CYCLE_1)
	s_and_not1_b32 vcc_lo, exec_lo, s6
	s_cbranch_vccnz .LBB30_5044
; %bb.5039:
	global_load_u8 v7, v[14:15], off
	s_mov_b32 s7, 0
	s_mov_b32 s6, exec_lo
	s_wait_loadcnt 0x0
	v_cmpx_lt_i16_e32 0x7f, v7
	s_xor_b32 s6, exec_lo, s6
	s_cbranch_execz .LBB30_5056
; %bb.5040:
	v_cmp_ne_u16_e32 vcc_lo, 0x80, v7
	s_and_b32 s7, vcc_lo, exec_lo
	s_and_not1_saveexec_b32 s6, s6
	s_cbranch_execnz .LBB30_5057
.LBB30_5041:
	s_or_b32 exec_lo, exec_lo, s6
	v_mov_b64_e32 v[4:5], 0
	s_and_saveexec_b32 s6, s7
	s_cbranch_execz .LBB30_5043
.LBB30_5042:
	v_and_b32_e32 v4, 0xffff, v7
	s_delay_alu instid0(VALU_DEP_1) | instskip(SKIP_1) | instid1(VALU_DEP_2)
	v_and_b32_e32 v5, 7, v4
	v_bfe_u32 v13, v4, 3, 4
	v_clz_i32_u32_e32 v9, v5
	s_delay_alu instid0(VALU_DEP_2) | instskip(NEXT) | instid1(VALU_DEP_2)
	v_cmp_eq_u32_e32 vcc_lo, 0, v13
	v_min_u32_e32 v9, 32, v9
	s_delay_alu instid0(VALU_DEP_1) | instskip(NEXT) | instid1(VALU_DEP_1)
	v_subrev_nc_u32_e32 v11, 28, v9
	v_dual_lshlrev_b32 v4, v11, v4 :: v_dual_sub_nc_u32 v9, 29, v9
	s_delay_alu instid0(VALU_DEP_1) | instskip(NEXT) | instid1(VALU_DEP_2)
	v_dual_lshlrev_b32 v7, 24, v7 :: v_dual_bitop2_b32 v4, 7, v4 bitop3:0x40
	v_cndmask_b32_e32 v9, v13, v9, vcc_lo
	s_delay_alu instid0(VALU_DEP_2) | instskip(NEXT) | instid1(VALU_DEP_3)
	v_cndmask_b32_e32 v4, v5, v4, vcc_lo
	v_and_b32_e32 v5, 0x80000000, v7
	s_delay_alu instid0(VALU_DEP_3) | instskip(NEXT) | instid1(VALU_DEP_3)
	v_lshl_add_u32 v7, v9, 23, 0x3b800000
	v_lshlrev_b32_e32 v4, 20, v4
	s_delay_alu instid0(VALU_DEP_1) | instskip(NEXT) | instid1(VALU_DEP_1)
	v_or3_b32 v4, v5, v7, v4
	v_trunc_f32_e32 v4, v4
	s_delay_alu instid0(VALU_DEP_1) | instskip(NEXT) | instid1(VALU_DEP_1)
	v_mul_f32_e64 v5, 0x2f800000, |v4|
	v_floor_f32_e32 v5, v5
	s_delay_alu instid0(VALU_DEP_1) | instskip(SKIP_2) | instid1(VALU_DEP_3)
	v_fma_f32 v7, 0xcf800000, v5, |v4|
	v_ashrrev_i32_e32 v4, 31, v4
	v_cvt_u32_f32_e32 v9, v5
	v_cvt_u32_f32_e32 v7, v7
	s_delay_alu instid0(VALU_DEP_2) | instskip(NEXT) | instid1(VALU_DEP_2)
	v_dual_mov_b32 v5, v4 :: v_dual_bitop2_b32 v17, v9, v4 bitop3:0x14
	v_xor_b32_e32 v16, v7, v4
	s_delay_alu instid0(VALU_DEP_1)
	v_sub_nc_u64_e32 v[4:5], v[16:17], v[4:5]
.LBB30_5043:
	s_or_b32 exec_lo, exec_lo, s6
.LBB30_5044:
	s_mov_b32 s6, -1
.LBB30_5045:
	s_mov_b32 s7, 0
.LBB30_5046:
	s_delay_alu instid0(SALU_CYCLE_1)
	s_and_b32 vcc_lo, exec_lo, s7
	s_cbranch_vccz .LBB30_5077
; %bb.5047:
	s_cmp_gt_i32 s56, 22
	s_cbranch_scc0 .LBB30_5055
; %bb.5048:
	s_cmp_lt_i32 s56, 24
	s_cbranch_scc1 .LBB30_5058
; %bb.5049:
	s_cmp_gt_i32 s56, 24
	s_cbranch_scc0 .LBB30_5059
; %bb.5050:
	global_load_u8 v7, v[14:15], off
	s_mov_b32 s6, 0
	s_mov_b32 s5, exec_lo
	s_wait_loadcnt 0x0
	v_cmpx_lt_i16_e32 0x7f, v7
	s_xor_b32 s5, exec_lo, s5
	s_cbranch_execz .LBB30_5071
; %bb.5051:
	v_cmp_ne_u16_e32 vcc_lo, 0x80, v7
	s_and_b32 s6, vcc_lo, exec_lo
	s_and_not1_saveexec_b32 s5, s5
	s_cbranch_execnz .LBB30_5072
.LBB30_5052:
	s_or_b32 exec_lo, exec_lo, s5
	v_mov_b64_e32 v[4:5], 0
	s_and_saveexec_b32 s5, s6
	s_cbranch_execz .LBB30_5054
.LBB30_5053:
	v_and_b32_e32 v4, 0xffff, v7
	s_delay_alu instid0(VALU_DEP_1) | instskip(SKIP_1) | instid1(VALU_DEP_2)
	v_and_b32_e32 v5, 3, v4
	v_bfe_u32 v13, v4, 2, 5
	v_clz_i32_u32_e32 v9, v5
	s_delay_alu instid0(VALU_DEP_2) | instskip(NEXT) | instid1(VALU_DEP_2)
	v_cmp_eq_u32_e32 vcc_lo, 0, v13
	v_min_u32_e32 v9, 32, v9
	s_delay_alu instid0(VALU_DEP_1) | instskip(NEXT) | instid1(VALU_DEP_1)
	v_subrev_nc_u32_e32 v11, 29, v9
	v_dual_lshlrev_b32 v4, v11, v4 :: v_dual_sub_nc_u32 v9, 30, v9
	s_delay_alu instid0(VALU_DEP_1) | instskip(NEXT) | instid1(VALU_DEP_2)
	v_dual_lshlrev_b32 v7, 24, v7 :: v_dual_bitop2_b32 v4, 3, v4 bitop3:0x40
	v_cndmask_b32_e32 v9, v13, v9, vcc_lo
	s_delay_alu instid0(VALU_DEP_2) | instskip(NEXT) | instid1(VALU_DEP_3)
	v_cndmask_b32_e32 v4, v5, v4, vcc_lo
	v_and_b32_e32 v5, 0x80000000, v7
	s_delay_alu instid0(VALU_DEP_3) | instskip(NEXT) | instid1(VALU_DEP_3)
	v_lshl_add_u32 v7, v9, 23, 0x37800000
	v_lshlrev_b32_e32 v4, 21, v4
	s_delay_alu instid0(VALU_DEP_1) | instskip(NEXT) | instid1(VALU_DEP_1)
	v_or3_b32 v4, v5, v7, v4
	v_trunc_f32_e32 v4, v4
	s_delay_alu instid0(VALU_DEP_1) | instskip(NEXT) | instid1(VALU_DEP_1)
	v_mul_f32_e64 v5, 0x2f800000, |v4|
	v_floor_f32_e32 v5, v5
	s_delay_alu instid0(VALU_DEP_1) | instskip(SKIP_2) | instid1(VALU_DEP_3)
	v_fma_f32 v7, 0xcf800000, v5, |v4|
	v_ashrrev_i32_e32 v4, 31, v4
	v_cvt_u32_f32_e32 v9, v5
	v_cvt_u32_f32_e32 v7, v7
	s_delay_alu instid0(VALU_DEP_2) | instskip(NEXT) | instid1(VALU_DEP_2)
	v_dual_mov_b32 v5, v4 :: v_dual_bitop2_b32 v17, v9, v4 bitop3:0x14
	v_xor_b32_e32 v16, v7, v4
	s_delay_alu instid0(VALU_DEP_1)
	v_sub_nc_u64_e32 v[4:5], v[16:17], v[4:5]
.LBB30_5054:
	s_or_b32 exec_lo, exec_lo, s5
	s_mov_b32 s5, 0
	s_branch .LBB30_5060
.LBB30_5055:
	s_mov_b32 s5, -1
                                        ; implicit-def: $vgpr4_vgpr5
	s_branch .LBB30_5066
.LBB30_5056:
	s_and_not1_saveexec_b32 s6, s6
	s_cbranch_execz .LBB30_5041
.LBB30_5057:
	v_cmp_ne_u16_e32 vcc_lo, 0, v7
	s_and_not1_b32 s7, s7, exec_lo
	s_and_b32 s21, vcc_lo, exec_lo
	s_delay_alu instid0(SALU_CYCLE_1)
	s_or_b32 s7, s7, s21
	s_or_b32 exec_lo, exec_lo, s6
	v_mov_b64_e32 v[4:5], 0
	s_and_saveexec_b32 s6, s7
	s_cbranch_execnz .LBB30_5042
	s_branch .LBB30_5043
.LBB30_5058:
	s_mov_b32 s5, -1
                                        ; implicit-def: $vgpr4_vgpr5
	s_branch .LBB30_5063
.LBB30_5059:
	s_mov_b32 s5, -1
                                        ; implicit-def: $vgpr4_vgpr5
.LBB30_5060:
	s_delay_alu instid0(SALU_CYCLE_1)
	s_and_b32 vcc_lo, exec_lo, s5
	s_cbranch_vccz .LBB30_5062
; %bb.5061:
	s_wait_loadcnt 0x0
	global_load_u8 v4, v[14:15], off
	s_wait_loadcnt 0x0
	v_lshlrev_b32_e32 v4, 24, v4
	s_delay_alu instid0(VALU_DEP_1) | instskip(NEXT) | instid1(VALU_DEP_1)
	v_and_b32_e32 v5, 0x7f000000, v4
	v_clz_i32_u32_e32 v7, v5
	v_add_nc_u32_e32 v11, 0x1000000, v5
	v_cmp_ne_u32_e32 vcc_lo, 0, v5
	s_delay_alu instid0(VALU_DEP_3) | instskip(NEXT) | instid1(VALU_DEP_1)
	v_min_u32_e32 v7, 32, v7
	v_sub_nc_u32_e64 v7, v7, 4 clamp
	s_delay_alu instid0(VALU_DEP_1) | instskip(NEXT) | instid1(VALU_DEP_1)
	v_dual_lshlrev_b32 v9, v7, v5 :: v_dual_lshlrev_b32 v7, 23, v7
	v_lshrrev_b32_e32 v9, 4, v9
	s_delay_alu instid0(VALU_DEP_1) | instskip(SKIP_1) | instid1(VALU_DEP_2)
	v_sub_nc_u32_e32 v7, v9, v7
	v_ashrrev_i32_e32 v9, 8, v11
	v_add_nc_u32_e32 v7, 0x3c000000, v7
	s_delay_alu instid0(VALU_DEP_1) | instskip(NEXT) | instid1(VALU_DEP_1)
	v_and_or_b32 v7, 0x7f800000, v9, v7
	v_cndmask_b32_e32 v5, 0, v7, vcc_lo
	s_delay_alu instid0(VALU_DEP_1) | instskip(NEXT) | instid1(VALU_DEP_1)
	v_and_or_b32 v4, 0x80000000, v4, v5
	v_trunc_f32_e32 v4, v4
	s_delay_alu instid0(VALU_DEP_1) | instskip(NEXT) | instid1(VALU_DEP_1)
	v_mul_f32_e64 v5, 0x2f800000, |v4|
	v_floor_f32_e32 v5, v5
	s_delay_alu instid0(VALU_DEP_1) | instskip(SKIP_2) | instid1(VALU_DEP_3)
	v_fma_f32 v7, 0xcf800000, v5, |v4|
	v_ashrrev_i32_e32 v4, 31, v4
	v_cvt_u32_f32_e32 v9, v5
	v_cvt_u32_f32_e32 v7, v7
	s_delay_alu instid0(VALU_DEP_2) | instskip(NEXT) | instid1(VALU_DEP_2)
	v_dual_mov_b32 v5, v4 :: v_dual_bitop2_b32 v17, v9, v4 bitop3:0x14
	v_xor_b32_e32 v16, v7, v4
	s_delay_alu instid0(VALU_DEP_1)
	v_sub_nc_u64_e32 v[4:5], v[16:17], v[4:5]
.LBB30_5062:
	s_mov_b32 s5, 0
.LBB30_5063:
	s_delay_alu instid0(SALU_CYCLE_1)
	s_and_not1_b32 vcc_lo, exec_lo, s5
	s_cbranch_vccnz .LBB30_5065
; %bb.5064:
	s_wait_loadcnt 0x0
	global_load_u8 v4, v[14:15], off
	s_wait_loadcnt 0x0
	v_lshlrev_b32_e32 v5, 25, v4
	v_lshlrev_b16 v4, 8, v4
	s_delay_alu instid0(VALU_DEP_1) | instskip(SKIP_1) | instid1(VALU_DEP_2)
	v_and_or_b32 v9, 0x7f00, v4, 0.5
	v_bfe_i32 v4, v4, 0, 16
	v_add_f32_e32 v9, -0.5, v9
	v_lshrrev_b32_e32 v7, 4, v5
	v_cmp_gt_u32_e32 vcc_lo, 0x8000000, v5
	s_delay_alu instid0(VALU_DEP_2) | instskip(NEXT) | instid1(VALU_DEP_1)
	v_or_b32_e32 v7, 0x70000000, v7
	v_mul_f32_e32 v7, 0x7800000, v7
	s_delay_alu instid0(VALU_DEP_1) | instskip(NEXT) | instid1(VALU_DEP_1)
	v_cndmask_b32_e32 v5, v7, v9, vcc_lo
	v_and_or_b32 v4, 0x80000000, v4, v5
	s_delay_alu instid0(VALU_DEP_1) | instskip(NEXT) | instid1(VALU_DEP_1)
	v_trunc_f32_e32 v4, v4
	v_mul_f32_e64 v5, 0x2f800000, |v4|
	s_delay_alu instid0(VALU_DEP_1) | instskip(NEXT) | instid1(VALU_DEP_1)
	v_floor_f32_e32 v5, v5
	v_fma_f32 v7, 0xcf800000, v5, |v4|
	v_ashrrev_i32_e32 v4, 31, v4
	v_cvt_u32_f32_e32 v9, v5
	s_delay_alu instid0(VALU_DEP_3) | instskip(NEXT) | instid1(VALU_DEP_2)
	v_cvt_u32_f32_e32 v7, v7
	v_dual_mov_b32 v5, v4 :: v_dual_bitop2_b32 v17, v9, v4 bitop3:0x14
	s_delay_alu instid0(VALU_DEP_2) | instskip(NEXT) | instid1(VALU_DEP_1)
	v_xor_b32_e32 v16, v7, v4
	v_sub_nc_u64_e32 v[4:5], v[16:17], v[4:5]
.LBB30_5065:
	s_mov_b32 s5, 0
	s_mov_b32 s6, -1
.LBB30_5066:
	s_and_not1_b32 vcc_lo, exec_lo, s5
	s_mov_b32 s5, 0
	s_cbranch_vccnz .LBB30_5077
; %bb.5067:
	s_cmp_gt_i32 s56, 14
	s_cbranch_scc0 .LBB30_5070
; %bb.5068:
	s_cmp_eq_u32 s56, 15
	s_cbranch_scc0 .LBB30_5073
; %bb.5069:
	s_wait_loadcnt 0x0
	global_load_u16 v4, v[14:15], off
	s_mov_b32 s0, 0
	s_mov_b32 s6, -1
	s_wait_loadcnt 0x0
	v_lshlrev_b32_e32 v4, 16, v4
	s_delay_alu instid0(VALU_DEP_1) | instskip(NEXT) | instid1(VALU_DEP_1)
	v_trunc_f32_e32 v4, v4
	v_mul_f32_e64 v5, 0x2f800000, |v4|
	s_delay_alu instid0(VALU_DEP_1) | instskip(NEXT) | instid1(VALU_DEP_1)
	v_floor_f32_e32 v5, v5
	v_fma_f32 v7, 0xcf800000, v5, |v4|
	v_ashrrev_i32_e32 v4, 31, v4
	v_cvt_u32_f32_e32 v9, v5
	s_delay_alu instid0(VALU_DEP_3) | instskip(NEXT) | instid1(VALU_DEP_2)
	v_cvt_u32_f32_e32 v7, v7
	v_dual_mov_b32 v5, v4 :: v_dual_bitop2_b32 v17, v9, v4 bitop3:0x14
	s_delay_alu instid0(VALU_DEP_2) | instskip(NEXT) | instid1(VALU_DEP_1)
	v_xor_b32_e32 v16, v7, v4
	v_sub_nc_u64_e32 v[4:5], v[16:17], v[4:5]
	s_branch .LBB30_5075
.LBB30_5070:
	s_mov_b32 s5, -1
	s_branch .LBB30_5074
.LBB30_5071:
	s_and_not1_saveexec_b32 s5, s5
	s_cbranch_execz .LBB30_5052
.LBB30_5072:
	v_cmp_ne_u16_e32 vcc_lo, 0, v7
	s_and_not1_b32 s6, s6, exec_lo
	s_and_b32 s7, vcc_lo, exec_lo
	s_delay_alu instid0(SALU_CYCLE_1)
	s_or_b32 s6, s6, s7
	s_or_b32 exec_lo, exec_lo, s5
	v_mov_b64_e32 v[4:5], 0
	s_and_saveexec_b32 s5, s6
	s_cbranch_execnz .LBB30_5053
	s_branch .LBB30_5054
.LBB30_5073:
	s_mov_b32 s0, -1
.LBB30_5074:
                                        ; implicit-def: $vgpr4_vgpr5
.LBB30_5075:
	s_and_b32 vcc_lo, exec_lo, s5
	s_mov_b32 s5, 0
	s_cbranch_vccz .LBB30_5077
; %bb.5076:
	s_cmp_lg_u32 s56, 11
	s_mov_b32 s5, -1
	s_cselect_b32 s0, -1, 0
.LBB30_5077:
	s_delay_alu instid0(SALU_CYCLE_1)
	s_and_b32 vcc_lo, exec_lo, s0
	s_mov_b32 s21, s1
	s_cbranch_vccnz .LBB30_5142
; %bb.5078:
	s_and_not1_b32 vcc_lo, exec_lo, s5
	s_cbranch_vccnz .LBB30_5080
.LBB30_5079:
	s_wait_loadcnt 0x0
	global_load_u8 v4, v[14:15], off
	s_mov_b32 s0, 0
	s_mov_b32 s6, -1
	v_mov_b32_e32 v5, s0
	s_wait_loadcnt 0x0
	v_cmp_ne_u16_e32 vcc_lo, 0, v4
	v_cndmask_b32_e64 v4, 0, 1, vcc_lo
.LBB30_5080:
	s_mov_b32 s0, 0
.LBB30_5081:
	s_delay_alu instid0(SALU_CYCLE_1)
	s_and_b32 vcc_lo, exec_lo, s0
	s_cbranch_vccz .LBB30_5130
; %bb.5082:
	s_cmp_lt_i32 s56, 5
	s_cbranch_scc1 .LBB30_5087
; %bb.5083:
	s_cmp_lt_i32 s56, 8
	s_cbranch_scc1 .LBB30_5088
	;; [unrolled: 3-line block ×3, first 2 shown]
; %bb.5085:
	s_cmp_gt_i32 s56, 9
	s_cbranch_scc0 .LBB30_5090
; %bb.5086:
	s_wait_loadcnt 0x0
	global_load_b64 v[4:5], v[14:15], off
	s_mov_b32 s0, 0
	s_wait_loadcnt 0x0
	v_trunc_f64_e32 v[4:5], v[4:5]
	s_delay_alu instid0(VALU_DEP_1) | instskip(NEXT) | instid1(VALU_DEP_1)
	v_ldexp_f64 v[16:17], v[4:5], 0xffffffe0
	v_floor_f64_e32 v[16:17], v[16:17]
	s_delay_alu instid0(VALU_DEP_1) | instskip(SKIP_1) | instid1(VALU_DEP_2)
	v_fmamk_f64 v[18:19], v[16:17], 0xc1f00000, v[4:5]
	v_cvt_i32_f64_e32 v5, v[16:17]
	v_cvt_u32_f64_e32 v4, v[18:19]
	s_branch .LBB30_5091
.LBB30_5087:
	s_mov_b32 s0, -1
                                        ; implicit-def: $vgpr4_vgpr5
	s_branch .LBB30_5109
.LBB30_5088:
	s_mov_b32 s0, -1
                                        ; implicit-def: $vgpr4_vgpr5
	s_branch .LBB30_5097
.LBB30_5089:
	s_mov_b32 s0, -1
                                        ; implicit-def: $vgpr4_vgpr5
	s_branch .LBB30_5094
.LBB30_5090:
	s_mov_b32 s0, -1
                                        ; implicit-def: $vgpr4_vgpr5
.LBB30_5091:
	s_delay_alu instid0(SALU_CYCLE_1)
	s_and_not1_b32 vcc_lo, exec_lo, s0
	s_cbranch_vccnz .LBB30_5093
; %bb.5092:
	s_wait_loadcnt 0x0
	global_load_b32 v4, v[14:15], off
	s_wait_loadcnt 0x0
	v_trunc_f32_e32 v4, v4
	s_delay_alu instid0(VALU_DEP_1) | instskip(NEXT) | instid1(VALU_DEP_1)
	v_mul_f32_e64 v5, 0x2f800000, |v4|
	v_floor_f32_e32 v5, v5
	s_delay_alu instid0(VALU_DEP_1) | instskip(SKIP_2) | instid1(VALU_DEP_3)
	v_fma_f32 v7, 0xcf800000, v5, |v4|
	v_ashrrev_i32_e32 v4, 31, v4
	v_cvt_u32_f32_e32 v9, v5
	v_cvt_u32_f32_e32 v7, v7
	s_delay_alu instid0(VALU_DEP_2) | instskip(NEXT) | instid1(VALU_DEP_2)
	v_dual_mov_b32 v5, v4 :: v_dual_bitop2_b32 v17, v9, v4 bitop3:0x14
	v_xor_b32_e32 v16, v7, v4
	s_delay_alu instid0(VALU_DEP_1)
	v_sub_nc_u64_e32 v[4:5], v[16:17], v[4:5]
.LBB30_5093:
	s_mov_b32 s0, 0
.LBB30_5094:
	s_delay_alu instid0(SALU_CYCLE_1)
	s_and_not1_b32 vcc_lo, exec_lo, s0
	s_cbranch_vccnz .LBB30_5096
; %bb.5095:
	s_wait_loadcnt 0x0
	global_load_b32 v4, v[14:15], off
	s_wait_loadcnt 0x0
	v_cvt_f32_f16_e32 v4, v4
	s_delay_alu instid0(VALU_DEP_1) | instskip(NEXT) | instid1(VALU_DEP_1)
	v_cvt_i32_f32_e32 v4, v4
	v_ashrrev_i32_e32 v5, 31, v4
.LBB30_5096:
	s_mov_b32 s0, 0
.LBB30_5097:
	s_delay_alu instid0(SALU_CYCLE_1)
	s_and_not1_b32 vcc_lo, exec_lo, s0
	s_cbranch_vccnz .LBB30_5108
; %bb.5098:
	s_cmp_lt_i32 s56, 6
	s_cbranch_scc1 .LBB30_5101
; %bb.5099:
	s_cmp_gt_i32 s56, 6
	s_cbranch_scc0 .LBB30_5102
; %bb.5100:
	s_wait_loadcnt 0x0
	global_load_b64 v[4:5], v[14:15], off
	s_mov_b32 s0, 0
	s_wait_loadcnt 0x0
	v_trunc_f64_e32 v[4:5], v[4:5]
	s_delay_alu instid0(VALU_DEP_1) | instskip(NEXT) | instid1(VALU_DEP_1)
	v_ldexp_f64 v[16:17], v[4:5], 0xffffffe0
	v_floor_f64_e32 v[16:17], v[16:17]
	s_delay_alu instid0(VALU_DEP_1) | instskip(SKIP_1) | instid1(VALU_DEP_2)
	v_fmamk_f64 v[18:19], v[16:17], 0xc1f00000, v[4:5]
	v_cvt_i32_f64_e32 v5, v[16:17]
	v_cvt_u32_f64_e32 v4, v[18:19]
	s_branch .LBB30_5103
.LBB30_5101:
	s_mov_b32 s0, -1
                                        ; implicit-def: $vgpr4_vgpr5
	s_branch .LBB30_5106
.LBB30_5102:
	s_mov_b32 s0, -1
                                        ; implicit-def: $vgpr4_vgpr5
.LBB30_5103:
	s_delay_alu instid0(SALU_CYCLE_1)
	s_and_not1_b32 vcc_lo, exec_lo, s0
	s_cbranch_vccnz .LBB30_5105
; %bb.5104:
	s_wait_loadcnt 0x0
	global_load_b32 v4, v[14:15], off
	s_wait_loadcnt 0x0
	v_trunc_f32_e32 v4, v4
	s_delay_alu instid0(VALU_DEP_1) | instskip(NEXT) | instid1(VALU_DEP_1)
	v_mul_f32_e64 v5, 0x2f800000, |v4|
	v_floor_f32_e32 v5, v5
	s_delay_alu instid0(VALU_DEP_1) | instskip(SKIP_2) | instid1(VALU_DEP_3)
	v_fma_f32 v7, 0xcf800000, v5, |v4|
	v_ashrrev_i32_e32 v4, 31, v4
	v_cvt_u32_f32_e32 v9, v5
	v_cvt_u32_f32_e32 v7, v7
	s_delay_alu instid0(VALU_DEP_2) | instskip(NEXT) | instid1(VALU_DEP_2)
	v_dual_mov_b32 v5, v4 :: v_dual_bitop2_b32 v17, v9, v4 bitop3:0x14
	v_xor_b32_e32 v16, v7, v4
	s_delay_alu instid0(VALU_DEP_1)
	v_sub_nc_u64_e32 v[4:5], v[16:17], v[4:5]
.LBB30_5105:
	s_mov_b32 s0, 0
.LBB30_5106:
	s_delay_alu instid0(SALU_CYCLE_1)
	s_and_not1_b32 vcc_lo, exec_lo, s0
	s_cbranch_vccnz .LBB30_5108
; %bb.5107:
	s_wait_loadcnt 0x0
	global_load_u16 v4, v[14:15], off
	s_wait_loadcnt 0x0
	v_cvt_f32_f16_e32 v4, v4
	s_delay_alu instid0(VALU_DEP_1) | instskip(NEXT) | instid1(VALU_DEP_1)
	v_cvt_i32_f32_e32 v4, v4
	v_ashrrev_i32_e32 v5, 31, v4
.LBB30_5108:
	s_mov_b32 s0, 0
.LBB30_5109:
	s_delay_alu instid0(SALU_CYCLE_1)
	s_and_not1_b32 vcc_lo, exec_lo, s0
	s_cbranch_vccnz .LBB30_5129
; %bb.5110:
	s_cmp_lt_i32 s56, 2
	s_cbranch_scc1 .LBB30_5114
; %bb.5111:
	s_cmp_lt_i32 s56, 3
	s_cbranch_scc1 .LBB30_5115
; %bb.5112:
	s_cmp_gt_i32 s56, 3
	s_cbranch_scc0 .LBB30_5116
; %bb.5113:
	s_wait_loadcnt 0x0
	global_load_b64 v[4:5], v[14:15], off
	s_mov_b32 s0, 0
	s_branch .LBB30_5117
.LBB30_5114:
	s_mov_b32 s0, -1
                                        ; implicit-def: $vgpr4_vgpr5
	s_branch .LBB30_5123
.LBB30_5115:
	s_mov_b32 s0, -1
                                        ; implicit-def: $vgpr4_vgpr5
	s_branch .LBB30_5120
.LBB30_5116:
	s_mov_b32 s0, -1
                                        ; implicit-def: $vgpr4_vgpr5
.LBB30_5117:
	s_delay_alu instid0(SALU_CYCLE_1)
	s_and_not1_b32 vcc_lo, exec_lo, s0
	s_cbranch_vccnz .LBB30_5119
; %bb.5118:
	s_wait_loadcnt 0x0
	global_load_b32 v4, v[14:15], off
	s_wait_loadcnt 0x0
	v_ashrrev_i32_e32 v5, 31, v4
.LBB30_5119:
	s_mov_b32 s0, 0
.LBB30_5120:
	s_delay_alu instid0(SALU_CYCLE_1)
	s_and_not1_b32 vcc_lo, exec_lo, s0
	s_cbranch_vccnz .LBB30_5122
; %bb.5121:
	s_wait_loadcnt 0x0
	global_load_u16 v4, v[14:15], off
	s_wait_loadcnt 0x0
	v_bfe_i32 v4, v4, 0, 16
	s_delay_alu instid0(VALU_DEP_1)
	v_ashrrev_i32_e32 v5, 31, v4
.LBB30_5122:
	s_mov_b32 s0, 0
.LBB30_5123:
	s_delay_alu instid0(SALU_CYCLE_1)
	s_and_not1_b32 vcc_lo, exec_lo, s0
	s_cbranch_vccnz .LBB30_5129
; %bb.5124:
	s_cmp_gt_i32 s56, 0
	s_mov_b32 s0, 0
	s_cbranch_scc0 .LBB30_5126
; %bb.5125:
	s_wait_loadcnt 0x0
	global_load_i8 v4, v[14:15], off
	s_wait_loadcnt 0x0
	v_bfe_i32 v4, v4, 0, 16
	s_delay_alu instid0(VALU_DEP_1)
	v_ashrrev_i32_e32 v5, 31, v4
	s_branch .LBB30_5127
.LBB30_5126:
	s_mov_b32 s0, -1
                                        ; implicit-def: $vgpr4_vgpr5
.LBB30_5127:
	s_delay_alu instid0(SALU_CYCLE_1)
	s_and_not1_b32 vcc_lo, exec_lo, s0
	s_cbranch_vccnz .LBB30_5129
; %bb.5128:
	s_wait_loadcnt 0x0
	global_load_u8 v4, v[14:15], off
	s_mov_b32 s0, 0
	s_delay_alu instid0(SALU_CYCLE_1)
	v_mov_b32_e32 v5, s0
	s_wait_loadcnt 0x0
	v_and_b32_e32 v4, 0xffff, v4
.LBB30_5129:
	s_mov_b32 s6, -1
.LBB30_5130:
	s_delay_alu instid0(SALU_CYCLE_1)
	s_and_not1_b32 vcc_lo, exec_lo, s6
	s_cbranch_vccnz .LBB30_5650
; %bb.5131:
	v_add_nc_u32_e32 v6, s70, v6
	s_cmp_lt_i32 s57, 11
	s_delay_alu instid0(VALU_DEP_1) | instskip(SKIP_1) | instid1(VALU_DEP_1)
	v_ashrrev_i32_e32 v7, 31, v6
	s_wait_xcnt 0x0
	v_add_nc_u64_e32 v[14:15], s[8:9], v[6:7]
	s_cbranch_scc1 .LBB30_5138
; %bb.5132:
	s_cmp_gt_i32 s57, 25
	s_mov_b32 s5, 0
	s_cbranch_scc0 .LBB30_5139
; %bb.5133:
	s_cmp_gt_i32 s57, 28
	s_cbranch_scc0 .LBB30_5140
; %bb.5134:
	s_cmp_gt_i32 s57, 43
	;; [unrolled: 3-line block ×3, first 2 shown]
	s_cbranch_scc0 .LBB30_5143
; %bb.5136:
	s_cmp_eq_u32 s57, 46
	s_mov_b32 s7, 0
	s_cbranch_scc0 .LBB30_5145
; %bb.5137:
	global_load_b32 v6, v[14:15], off
	s_mov_b32 s0, 0
	s_mov_b32 s6, -1
	s_wait_loadcnt 0x0
	v_lshlrev_b32_e32 v6, 16, v6
	s_delay_alu instid0(VALU_DEP_1) | instskip(NEXT) | instid1(VALU_DEP_1)
	v_trunc_f32_e32 v6, v6
	v_mul_f32_e64 v7, 0x2f800000, |v6|
	s_delay_alu instid0(VALU_DEP_1) | instskip(NEXT) | instid1(VALU_DEP_1)
	v_floor_f32_e32 v7, v7
	v_fma_f32 v9, 0xcf800000, v7, |v6|
	v_ashrrev_i32_e32 v6, 31, v6
	v_cvt_u32_f32_e32 v11, v7
	s_delay_alu instid0(VALU_DEP_3) | instskip(NEXT) | instid1(VALU_DEP_2)
	v_cvt_u32_f32_e32 v9, v9
	v_dual_mov_b32 v7, v6 :: v_dual_bitop2_b32 v17, v11, v6 bitop3:0x14
	s_delay_alu instid0(VALU_DEP_2) | instskip(NEXT) | instid1(VALU_DEP_1)
	v_xor_b32_e32 v16, v9, v6
	v_sub_nc_u64_e32 v[6:7], v[16:17], v[6:7]
	s_branch .LBB30_5147
.LBB30_5138:
	s_mov_b32 s0, -1
	s_mov_b32 s6, 0
                                        ; implicit-def: $vgpr6_vgpr7
	s_branch .LBB30_5209
.LBB30_5139:
	s_mov_b32 s7, -1
	s_mov_b32 s6, 0
	s_mov_b32 s0, 0
                                        ; implicit-def: $vgpr6_vgpr7
	s_branch .LBB30_5174
.LBB30_5140:
	s_mov_b32 s7, -1
	s_mov_b32 s6, 0
	s_mov_b32 s0, 0
                                        ; implicit-def: $vgpr6_vgpr7
	s_branch .LBB30_5157
.LBB30_5141:
	s_mov_b32 s7, -1
	s_mov_b32 s6, 0
	s_mov_b32 s0, 0
                                        ; implicit-def: $vgpr6_vgpr7
	s_branch .LBB30_5152
.LBB30_5142:
	s_or_b32 s21, s1, exec_lo
	s_trap 2
	s_cbranch_execz .LBB30_5079
	s_branch .LBB30_5080
.LBB30_5143:
	s_mov_b32 s7, -1
	s_mov_b32 s6, 0
	s_mov_b32 s0, 0
	s_branch .LBB30_5146
.LBB30_5144:
	s_or_b32 s55, s55, exec_lo
	s_trap 2
                                        ; implicit-def: $vgpr4
                                        ; implicit-def: $vgpr6
                                        ; implicit-def: $vgpr22_vgpr23
                                        ; implicit-def: $vgpr8
                                        ; implicit-def: $vgpr14_vgpr15
                                        ; implicit-def: $vgpr10
                                        ; implicit-def: $vgpr16_vgpr17
                                        ; implicit-def: $vgpr12
                                        ; implicit-def: $vgpr24_vgpr25
                                        ; implicit-def: $vgpr0_vgpr1
                                        ; implicit-def: $vgpr2_vgpr3
                                        ; implicit-def: $vgpr26
	s_branch .LBB30_4977
.LBB30_5145:
	s_mov_b32 s0, -1
	s_mov_b32 s6, 0
.LBB30_5146:
                                        ; implicit-def: $vgpr6_vgpr7
.LBB30_5147:
	s_and_b32 vcc_lo, exec_lo, s7
	s_cbranch_vccz .LBB30_5151
; %bb.5148:
	s_cmp_eq_u32 s57, 44
	s_cbranch_scc0 .LBB30_5150
; %bb.5149:
	global_load_u8 v9, v[14:15], off
	s_mov_b32 s0, 0
	s_mov_b32 s6, -1
	s_wait_loadcnt 0x0
	v_cmp_ne_u32_e32 vcc_lo, 0, v9
	v_lshlrev_b32_e32 v6, 23, v9
	s_delay_alu instid0(VALU_DEP_1) | instskip(NEXT) | instid1(VALU_DEP_1)
	v_trunc_f32_e32 v6, v6
	v_mul_f32_e64 v7, 0x2f800000, |v6|
	s_delay_alu instid0(VALU_DEP_1) | instskip(NEXT) | instid1(VALU_DEP_1)
	v_floor_f32_e32 v7, v7
	v_fma_f32 v11, 0xcf800000, v7, |v6|
	v_ashrrev_i32_e32 v6, 31, v6
	v_cvt_u32_f32_e32 v13, v7
	s_delay_alu instid0(VALU_DEP_3) | instskip(NEXT) | instid1(VALU_DEP_2)
	v_cvt_u32_f32_e32 v11, v11
	v_dual_mov_b32 v7, v6 :: v_dual_bitop2_b32 v17, v13, v6 bitop3:0x14
	s_delay_alu instid0(VALU_DEP_2) | instskip(NEXT) | instid1(VALU_DEP_1)
	v_xor_b32_e32 v16, v11, v6
	v_sub_nc_u64_e32 v[6:7], v[16:17], v[6:7]
	s_delay_alu instid0(VALU_DEP_1)
	v_dual_cndmask_b32 v7, 0, v7 :: v_dual_cndmask_b32 v6, 0, v6
	s_branch .LBB30_5151
.LBB30_5150:
	s_mov_b32 s0, -1
                                        ; implicit-def: $vgpr6_vgpr7
.LBB30_5151:
	s_mov_b32 s7, 0
.LBB30_5152:
	s_delay_alu instid0(SALU_CYCLE_1)
	s_and_b32 vcc_lo, exec_lo, s7
	s_cbranch_vccz .LBB30_5156
; %bb.5153:
	s_cmp_eq_u32 s57, 29
	s_cbranch_scc0 .LBB30_5155
; %bb.5154:
	global_load_b64 v[6:7], v[14:15], off
	s_mov_b32 s0, 0
	s_mov_b32 s6, -1
	s_branch .LBB30_5156
.LBB30_5155:
	s_mov_b32 s0, -1
                                        ; implicit-def: $vgpr6_vgpr7
.LBB30_5156:
	s_mov_b32 s7, 0
.LBB30_5157:
	s_delay_alu instid0(SALU_CYCLE_1)
	s_and_b32 vcc_lo, exec_lo, s7
	s_cbranch_vccz .LBB30_5173
; %bb.5158:
	s_cmp_lt_i32 s57, 27
	s_cbranch_scc1 .LBB30_5161
; %bb.5159:
	s_cmp_gt_i32 s57, 27
	s_cbranch_scc0 .LBB30_5162
; %bb.5160:
	s_wait_loadcnt 0x0
	global_load_b32 v6, v[14:15], off
	v_mov_b32_e32 v7, 0
	s_mov_b32 s6, 0
	s_branch .LBB30_5163
.LBB30_5161:
	s_mov_b32 s6, -1
                                        ; implicit-def: $vgpr6_vgpr7
	s_branch .LBB30_5166
.LBB30_5162:
	s_mov_b32 s6, -1
                                        ; implicit-def: $vgpr6_vgpr7
.LBB30_5163:
	s_delay_alu instid0(SALU_CYCLE_1)
	s_and_not1_b32 vcc_lo, exec_lo, s6
	s_cbranch_vccnz .LBB30_5165
; %bb.5164:
	s_wait_loadcnt 0x0
	global_load_u16 v6, v[14:15], off
	s_mov_b32 s6, 0
	s_delay_alu instid0(SALU_CYCLE_1)
	v_mov_b32_e32 v7, s6
	s_wait_loadcnt 0x0
	v_and_b32_e32 v6, 0xffff, v6
.LBB30_5165:
	s_mov_b32 s6, 0
.LBB30_5166:
	s_delay_alu instid0(SALU_CYCLE_1)
	s_and_not1_b32 vcc_lo, exec_lo, s6
	s_cbranch_vccnz .LBB30_5172
; %bb.5167:
	global_load_u8 v9, v[14:15], off
	s_mov_b32 s7, 0
	s_mov_b32 s6, exec_lo
	s_wait_loadcnt 0x0
	v_cmpx_lt_i16_e32 0x7f, v9
	s_xor_b32 s6, exec_lo, s6
	s_cbranch_execz .LBB30_5184
; %bb.5168:
	v_cmp_ne_u16_e32 vcc_lo, 0x80, v9
	s_and_b32 s7, vcc_lo, exec_lo
	s_and_not1_saveexec_b32 s6, s6
	s_cbranch_execnz .LBB30_5185
.LBB30_5169:
	s_or_b32 exec_lo, exec_lo, s6
	v_mov_b64_e32 v[6:7], 0
	s_and_saveexec_b32 s6, s7
	s_cbranch_execz .LBB30_5171
.LBB30_5170:
	v_and_b32_e32 v6, 0xffff, v9
	s_delay_alu instid0(VALU_DEP_1) | instskip(SKIP_1) | instid1(VALU_DEP_2)
	v_and_b32_e32 v7, 7, v6
	v_bfe_u32 v16, v6, 3, 4
	v_clz_i32_u32_e32 v11, v7
	s_delay_alu instid0(VALU_DEP_2) | instskip(NEXT) | instid1(VALU_DEP_2)
	v_cmp_eq_u32_e32 vcc_lo, 0, v16
	v_min_u32_e32 v11, 32, v11
	s_delay_alu instid0(VALU_DEP_1) | instskip(NEXT) | instid1(VALU_DEP_1)
	v_subrev_nc_u32_e32 v13, 28, v11
	v_dual_lshlrev_b32 v6, v13, v6 :: v_dual_sub_nc_u32 v11, 29, v11
	s_delay_alu instid0(VALU_DEP_1) | instskip(NEXT) | instid1(VALU_DEP_1)
	v_dual_lshlrev_b32 v9, 24, v9 :: v_dual_bitop2_b32 v6, 7, v6 bitop3:0x40
	v_dual_cndmask_b32 v11, v16, v11 :: v_dual_cndmask_b32 v6, v7, v6
	s_delay_alu instid0(VALU_DEP_2) | instskip(NEXT) | instid1(VALU_DEP_2)
	v_and_b32_e32 v7, 0x80000000, v9
	v_lshl_add_u32 v9, v11, 23, 0x3b800000
	s_delay_alu instid0(VALU_DEP_3) | instskip(NEXT) | instid1(VALU_DEP_1)
	v_lshlrev_b32_e32 v6, 20, v6
	v_or3_b32 v6, v7, v9, v6
	s_delay_alu instid0(VALU_DEP_1) | instskip(NEXT) | instid1(VALU_DEP_1)
	v_trunc_f32_e32 v6, v6
	v_mul_f32_e64 v7, 0x2f800000, |v6|
	s_delay_alu instid0(VALU_DEP_1) | instskip(NEXT) | instid1(VALU_DEP_1)
	v_floor_f32_e32 v7, v7
	v_fma_f32 v9, 0xcf800000, v7, |v6|
	v_ashrrev_i32_e32 v6, 31, v6
	v_cvt_u32_f32_e32 v11, v7
	s_delay_alu instid0(VALU_DEP_3) | instskip(NEXT) | instid1(VALU_DEP_2)
	v_cvt_u32_f32_e32 v9, v9
	v_dual_mov_b32 v7, v6 :: v_dual_bitop2_b32 v17, v11, v6 bitop3:0x14
	s_delay_alu instid0(VALU_DEP_2) | instskip(NEXT) | instid1(VALU_DEP_1)
	v_xor_b32_e32 v16, v9, v6
	v_sub_nc_u64_e32 v[6:7], v[16:17], v[6:7]
.LBB30_5171:
	s_or_b32 exec_lo, exec_lo, s6
.LBB30_5172:
	s_mov_b32 s6, -1
.LBB30_5173:
	s_mov_b32 s7, 0
.LBB30_5174:
	s_delay_alu instid0(SALU_CYCLE_1)
	s_and_b32 vcc_lo, exec_lo, s7
	s_cbranch_vccz .LBB30_5205
; %bb.5175:
	s_cmp_gt_i32 s57, 22
	s_cbranch_scc0 .LBB30_5183
; %bb.5176:
	s_cmp_lt_i32 s57, 24
	s_cbranch_scc1 .LBB30_5186
; %bb.5177:
	s_cmp_gt_i32 s57, 24
	s_cbranch_scc0 .LBB30_5187
; %bb.5178:
	global_load_u8 v9, v[14:15], off
	s_mov_b32 s6, 0
	s_mov_b32 s5, exec_lo
	s_wait_loadcnt 0x0
	v_cmpx_lt_i16_e32 0x7f, v9
	s_xor_b32 s5, exec_lo, s5
	s_cbranch_execz .LBB30_5199
; %bb.5179:
	v_cmp_ne_u16_e32 vcc_lo, 0x80, v9
	s_and_b32 s6, vcc_lo, exec_lo
	s_and_not1_saveexec_b32 s5, s5
	s_cbranch_execnz .LBB30_5200
.LBB30_5180:
	s_or_b32 exec_lo, exec_lo, s5
	v_mov_b64_e32 v[6:7], 0
	s_and_saveexec_b32 s5, s6
	s_cbranch_execz .LBB30_5182
.LBB30_5181:
	v_and_b32_e32 v6, 0xffff, v9
	s_delay_alu instid0(VALU_DEP_1) | instskip(SKIP_1) | instid1(VALU_DEP_2)
	v_and_b32_e32 v7, 3, v6
	v_bfe_u32 v16, v6, 2, 5
	v_clz_i32_u32_e32 v11, v7
	s_delay_alu instid0(VALU_DEP_2) | instskip(NEXT) | instid1(VALU_DEP_2)
	v_cmp_eq_u32_e32 vcc_lo, 0, v16
	v_min_u32_e32 v11, 32, v11
	s_delay_alu instid0(VALU_DEP_1) | instskip(NEXT) | instid1(VALU_DEP_1)
	v_subrev_nc_u32_e32 v13, 29, v11
	v_dual_lshlrev_b32 v6, v13, v6 :: v_dual_sub_nc_u32 v11, 30, v11
	s_delay_alu instid0(VALU_DEP_1) | instskip(NEXT) | instid1(VALU_DEP_1)
	v_dual_lshlrev_b32 v9, 24, v9 :: v_dual_bitop2_b32 v6, 3, v6 bitop3:0x40
	v_dual_cndmask_b32 v11, v16, v11 :: v_dual_cndmask_b32 v6, v7, v6
	s_delay_alu instid0(VALU_DEP_2) | instskip(NEXT) | instid1(VALU_DEP_2)
	v_and_b32_e32 v7, 0x80000000, v9
	v_lshl_add_u32 v9, v11, 23, 0x37800000
	s_delay_alu instid0(VALU_DEP_3) | instskip(NEXT) | instid1(VALU_DEP_1)
	v_lshlrev_b32_e32 v6, 21, v6
	v_or3_b32 v6, v7, v9, v6
	s_delay_alu instid0(VALU_DEP_1) | instskip(NEXT) | instid1(VALU_DEP_1)
	v_trunc_f32_e32 v6, v6
	v_mul_f32_e64 v7, 0x2f800000, |v6|
	s_delay_alu instid0(VALU_DEP_1) | instskip(NEXT) | instid1(VALU_DEP_1)
	v_floor_f32_e32 v7, v7
	v_fma_f32 v9, 0xcf800000, v7, |v6|
	v_ashrrev_i32_e32 v6, 31, v6
	v_cvt_u32_f32_e32 v11, v7
	s_delay_alu instid0(VALU_DEP_3) | instskip(NEXT) | instid1(VALU_DEP_2)
	v_cvt_u32_f32_e32 v9, v9
	v_dual_mov_b32 v7, v6 :: v_dual_bitop2_b32 v17, v11, v6 bitop3:0x14
	s_delay_alu instid0(VALU_DEP_2) | instskip(NEXT) | instid1(VALU_DEP_1)
	v_xor_b32_e32 v16, v9, v6
	v_sub_nc_u64_e32 v[6:7], v[16:17], v[6:7]
.LBB30_5182:
	s_or_b32 exec_lo, exec_lo, s5
	s_mov_b32 s5, 0
	s_branch .LBB30_5188
.LBB30_5183:
	s_mov_b32 s5, -1
                                        ; implicit-def: $vgpr6_vgpr7
	s_branch .LBB30_5194
.LBB30_5184:
	s_and_not1_saveexec_b32 s6, s6
	s_cbranch_execz .LBB30_5169
.LBB30_5185:
	v_cmp_ne_u16_e32 vcc_lo, 0, v9
	s_and_not1_b32 s7, s7, exec_lo
	s_and_b32 s8, vcc_lo, exec_lo
	s_delay_alu instid0(SALU_CYCLE_1)
	s_or_b32 s7, s7, s8
	s_or_b32 exec_lo, exec_lo, s6
	v_mov_b64_e32 v[6:7], 0
	s_and_saveexec_b32 s6, s7
	s_cbranch_execnz .LBB30_5170
	s_branch .LBB30_5171
.LBB30_5186:
	s_mov_b32 s5, -1
                                        ; implicit-def: $vgpr6_vgpr7
	s_branch .LBB30_5191
.LBB30_5187:
	s_mov_b32 s5, -1
                                        ; implicit-def: $vgpr6_vgpr7
.LBB30_5188:
	s_delay_alu instid0(SALU_CYCLE_1)
	s_and_b32 vcc_lo, exec_lo, s5
	s_cbranch_vccz .LBB30_5190
; %bb.5189:
	s_wait_loadcnt 0x0
	global_load_u8 v6, v[14:15], off
	s_wait_loadcnt 0x0
	v_lshlrev_b32_e32 v6, 24, v6
	s_delay_alu instid0(VALU_DEP_1) | instskip(NEXT) | instid1(VALU_DEP_1)
	v_and_b32_e32 v7, 0x7f000000, v6
	v_clz_i32_u32_e32 v9, v7
	v_add_nc_u32_e32 v13, 0x1000000, v7
	v_cmp_ne_u32_e32 vcc_lo, 0, v7
	s_delay_alu instid0(VALU_DEP_3) | instskip(NEXT) | instid1(VALU_DEP_1)
	v_min_u32_e32 v9, 32, v9
	v_sub_nc_u32_e64 v9, v9, 4 clamp
	s_delay_alu instid0(VALU_DEP_1) | instskip(NEXT) | instid1(VALU_DEP_1)
	v_dual_lshlrev_b32 v11, v9, v7 :: v_dual_lshlrev_b32 v9, 23, v9
	v_lshrrev_b32_e32 v11, 4, v11
	s_delay_alu instid0(VALU_DEP_1) | instskip(SKIP_1) | instid1(VALU_DEP_2)
	v_sub_nc_u32_e32 v9, v11, v9
	v_ashrrev_i32_e32 v11, 8, v13
	v_add_nc_u32_e32 v9, 0x3c000000, v9
	s_delay_alu instid0(VALU_DEP_1) | instskip(NEXT) | instid1(VALU_DEP_1)
	v_and_or_b32 v9, 0x7f800000, v11, v9
	v_cndmask_b32_e32 v7, 0, v9, vcc_lo
	s_delay_alu instid0(VALU_DEP_1) | instskip(NEXT) | instid1(VALU_DEP_1)
	v_and_or_b32 v6, 0x80000000, v6, v7
	v_trunc_f32_e32 v6, v6
	s_delay_alu instid0(VALU_DEP_1) | instskip(NEXT) | instid1(VALU_DEP_1)
	v_mul_f32_e64 v7, 0x2f800000, |v6|
	v_floor_f32_e32 v7, v7
	s_delay_alu instid0(VALU_DEP_1) | instskip(SKIP_2) | instid1(VALU_DEP_3)
	v_fma_f32 v9, 0xcf800000, v7, |v6|
	v_ashrrev_i32_e32 v6, 31, v6
	v_cvt_u32_f32_e32 v11, v7
	v_cvt_u32_f32_e32 v9, v9
	s_delay_alu instid0(VALU_DEP_2) | instskip(NEXT) | instid1(VALU_DEP_2)
	v_dual_mov_b32 v7, v6 :: v_dual_bitop2_b32 v17, v11, v6 bitop3:0x14
	v_xor_b32_e32 v16, v9, v6
	s_delay_alu instid0(VALU_DEP_1)
	v_sub_nc_u64_e32 v[6:7], v[16:17], v[6:7]
.LBB30_5190:
	s_mov_b32 s5, 0
.LBB30_5191:
	s_delay_alu instid0(SALU_CYCLE_1)
	s_and_not1_b32 vcc_lo, exec_lo, s5
	s_cbranch_vccnz .LBB30_5193
; %bb.5192:
	s_wait_loadcnt 0x0
	global_load_u8 v6, v[14:15], off
	s_wait_loadcnt 0x0
	v_lshlrev_b32_e32 v7, 25, v6
	v_lshlrev_b16 v6, 8, v6
	s_delay_alu instid0(VALU_DEP_1) | instskip(SKIP_1) | instid1(VALU_DEP_2)
	v_and_or_b32 v11, 0x7f00, v6, 0.5
	v_bfe_i32 v6, v6, 0, 16
	v_add_f32_e32 v11, -0.5, v11
	v_lshrrev_b32_e32 v9, 4, v7
	v_cmp_gt_u32_e32 vcc_lo, 0x8000000, v7
	s_delay_alu instid0(VALU_DEP_2) | instskip(NEXT) | instid1(VALU_DEP_1)
	v_or_b32_e32 v9, 0x70000000, v9
	v_mul_f32_e32 v9, 0x7800000, v9
	s_delay_alu instid0(VALU_DEP_1) | instskip(NEXT) | instid1(VALU_DEP_1)
	v_cndmask_b32_e32 v7, v9, v11, vcc_lo
	v_and_or_b32 v6, 0x80000000, v6, v7
	s_delay_alu instid0(VALU_DEP_1) | instskip(NEXT) | instid1(VALU_DEP_1)
	v_trunc_f32_e32 v6, v6
	v_mul_f32_e64 v7, 0x2f800000, |v6|
	s_delay_alu instid0(VALU_DEP_1) | instskip(NEXT) | instid1(VALU_DEP_1)
	v_floor_f32_e32 v7, v7
	v_fma_f32 v9, 0xcf800000, v7, |v6|
	v_ashrrev_i32_e32 v6, 31, v6
	v_cvt_u32_f32_e32 v11, v7
	s_delay_alu instid0(VALU_DEP_3) | instskip(NEXT) | instid1(VALU_DEP_2)
	v_cvt_u32_f32_e32 v9, v9
	v_dual_mov_b32 v7, v6 :: v_dual_bitop2_b32 v17, v11, v6 bitop3:0x14
	s_delay_alu instid0(VALU_DEP_2) | instskip(NEXT) | instid1(VALU_DEP_1)
	v_xor_b32_e32 v16, v9, v6
	v_sub_nc_u64_e32 v[6:7], v[16:17], v[6:7]
.LBB30_5193:
	s_mov_b32 s5, 0
	s_mov_b32 s6, -1
.LBB30_5194:
	s_and_not1_b32 vcc_lo, exec_lo, s5
	s_mov_b32 s5, 0
	s_cbranch_vccnz .LBB30_5205
; %bb.5195:
	s_cmp_gt_i32 s57, 14
	s_cbranch_scc0 .LBB30_5198
; %bb.5196:
	s_cmp_eq_u32 s57, 15
	s_cbranch_scc0 .LBB30_5201
; %bb.5197:
	s_wait_loadcnt 0x0
	global_load_u16 v6, v[14:15], off
	s_mov_b32 s0, 0
	s_mov_b32 s6, -1
	s_wait_loadcnt 0x0
	v_lshlrev_b32_e32 v6, 16, v6
	s_delay_alu instid0(VALU_DEP_1) | instskip(NEXT) | instid1(VALU_DEP_1)
	v_trunc_f32_e32 v6, v6
	v_mul_f32_e64 v7, 0x2f800000, |v6|
	s_delay_alu instid0(VALU_DEP_1) | instskip(NEXT) | instid1(VALU_DEP_1)
	v_floor_f32_e32 v7, v7
	v_fma_f32 v9, 0xcf800000, v7, |v6|
	v_ashrrev_i32_e32 v6, 31, v6
	v_cvt_u32_f32_e32 v11, v7
	s_delay_alu instid0(VALU_DEP_3) | instskip(NEXT) | instid1(VALU_DEP_2)
	v_cvt_u32_f32_e32 v9, v9
	v_dual_mov_b32 v7, v6 :: v_dual_bitop2_b32 v17, v11, v6 bitop3:0x14
	s_delay_alu instid0(VALU_DEP_2) | instskip(NEXT) | instid1(VALU_DEP_1)
	v_xor_b32_e32 v16, v9, v6
	v_sub_nc_u64_e32 v[6:7], v[16:17], v[6:7]
	s_branch .LBB30_5203
.LBB30_5198:
	s_mov_b32 s5, -1
	s_branch .LBB30_5202
.LBB30_5199:
	s_and_not1_saveexec_b32 s5, s5
	s_cbranch_execz .LBB30_5180
.LBB30_5200:
	v_cmp_ne_u16_e32 vcc_lo, 0, v9
	s_and_not1_b32 s6, s6, exec_lo
	s_and_b32 s7, vcc_lo, exec_lo
	s_delay_alu instid0(SALU_CYCLE_1)
	s_or_b32 s6, s6, s7
	s_or_b32 exec_lo, exec_lo, s5
	v_mov_b64_e32 v[6:7], 0
	s_and_saveexec_b32 s5, s6
	s_cbranch_execnz .LBB30_5181
	s_branch .LBB30_5182
.LBB30_5201:
	s_mov_b32 s0, -1
.LBB30_5202:
                                        ; implicit-def: $vgpr6_vgpr7
.LBB30_5203:
	s_and_b32 vcc_lo, exec_lo, s5
	s_mov_b32 s5, 0
	s_cbranch_vccz .LBB30_5205
; %bb.5204:
	s_cmp_lg_u32 s57, 11
	s_mov_b32 s5, -1
	s_cselect_b32 s0, -1, 0
.LBB30_5205:
	s_delay_alu instid0(SALU_CYCLE_1)
	s_and_b32 vcc_lo, exec_lo, s0
	s_cbranch_vccnz .LBB30_5270
; %bb.5206:
	s_and_not1_b32 vcc_lo, exec_lo, s5
	s_cbranch_vccnz .LBB30_5208
.LBB30_5207:
	s_wait_loadcnt 0x0
	global_load_u8 v6, v[14:15], off
	s_mov_b32 s0, 0
	s_mov_b32 s6, -1
	v_mov_b32_e32 v7, s0
	s_wait_loadcnt 0x0
	v_cmp_ne_u16_e32 vcc_lo, 0, v6
	v_cndmask_b32_e64 v6, 0, 1, vcc_lo
.LBB30_5208:
	s_mov_b32 s0, 0
.LBB30_5209:
	s_delay_alu instid0(SALU_CYCLE_1)
	s_and_b32 vcc_lo, exec_lo, s0
	s_cbranch_vccz .LBB30_5258
; %bb.5210:
	s_cmp_lt_i32 s57, 5
	s_cbranch_scc1 .LBB30_5215
; %bb.5211:
	s_cmp_lt_i32 s57, 8
	s_cbranch_scc1 .LBB30_5216
	;; [unrolled: 3-line block ×3, first 2 shown]
; %bb.5213:
	s_cmp_gt_i32 s57, 9
	s_cbranch_scc0 .LBB30_5218
; %bb.5214:
	s_wait_loadcnt 0x0
	global_load_b64 v[6:7], v[14:15], off
	s_mov_b32 s0, 0
	s_wait_loadcnt 0x0
	v_trunc_f64_e32 v[6:7], v[6:7]
	s_delay_alu instid0(VALU_DEP_1) | instskip(NEXT) | instid1(VALU_DEP_1)
	v_ldexp_f64 v[16:17], v[6:7], 0xffffffe0
	v_floor_f64_e32 v[16:17], v[16:17]
	s_delay_alu instid0(VALU_DEP_1) | instskip(SKIP_1) | instid1(VALU_DEP_2)
	v_fmamk_f64 v[18:19], v[16:17], 0xc1f00000, v[6:7]
	v_cvt_i32_f64_e32 v7, v[16:17]
	v_cvt_u32_f64_e32 v6, v[18:19]
	s_branch .LBB30_5219
.LBB30_5215:
	s_mov_b32 s0, -1
                                        ; implicit-def: $vgpr6_vgpr7
	s_branch .LBB30_5237
.LBB30_5216:
	s_mov_b32 s0, -1
                                        ; implicit-def: $vgpr6_vgpr7
	s_branch .LBB30_5225
.LBB30_5217:
	s_mov_b32 s0, -1
                                        ; implicit-def: $vgpr6_vgpr7
	s_branch .LBB30_5222
.LBB30_5218:
	s_mov_b32 s0, -1
                                        ; implicit-def: $vgpr6_vgpr7
.LBB30_5219:
	s_delay_alu instid0(SALU_CYCLE_1)
	s_and_not1_b32 vcc_lo, exec_lo, s0
	s_cbranch_vccnz .LBB30_5221
; %bb.5220:
	s_wait_loadcnt 0x0
	global_load_b32 v6, v[14:15], off
	s_wait_loadcnt 0x0
	v_trunc_f32_e32 v6, v6
	s_delay_alu instid0(VALU_DEP_1) | instskip(NEXT) | instid1(VALU_DEP_1)
	v_mul_f32_e64 v7, 0x2f800000, |v6|
	v_floor_f32_e32 v7, v7
	s_delay_alu instid0(VALU_DEP_1) | instskip(SKIP_2) | instid1(VALU_DEP_3)
	v_fma_f32 v9, 0xcf800000, v7, |v6|
	v_ashrrev_i32_e32 v6, 31, v6
	v_cvt_u32_f32_e32 v11, v7
	v_cvt_u32_f32_e32 v9, v9
	s_delay_alu instid0(VALU_DEP_2) | instskip(NEXT) | instid1(VALU_DEP_2)
	v_dual_mov_b32 v7, v6 :: v_dual_bitop2_b32 v17, v11, v6 bitop3:0x14
	v_xor_b32_e32 v16, v9, v6
	s_delay_alu instid0(VALU_DEP_1)
	v_sub_nc_u64_e32 v[6:7], v[16:17], v[6:7]
.LBB30_5221:
	s_mov_b32 s0, 0
.LBB30_5222:
	s_delay_alu instid0(SALU_CYCLE_1)
	s_and_not1_b32 vcc_lo, exec_lo, s0
	s_cbranch_vccnz .LBB30_5224
; %bb.5223:
	s_wait_loadcnt 0x0
	global_load_b32 v6, v[14:15], off
	s_wait_loadcnt 0x0
	v_cvt_f32_f16_e32 v6, v6
	s_delay_alu instid0(VALU_DEP_1) | instskip(NEXT) | instid1(VALU_DEP_1)
	v_cvt_i32_f32_e32 v6, v6
	v_ashrrev_i32_e32 v7, 31, v6
.LBB30_5224:
	s_mov_b32 s0, 0
.LBB30_5225:
	s_delay_alu instid0(SALU_CYCLE_1)
	s_and_not1_b32 vcc_lo, exec_lo, s0
	s_cbranch_vccnz .LBB30_5236
; %bb.5226:
	s_cmp_lt_i32 s57, 6
	s_cbranch_scc1 .LBB30_5229
; %bb.5227:
	s_cmp_gt_i32 s57, 6
	s_cbranch_scc0 .LBB30_5230
; %bb.5228:
	s_wait_loadcnt 0x0
	global_load_b64 v[6:7], v[14:15], off
	s_mov_b32 s0, 0
	s_wait_loadcnt 0x0
	v_trunc_f64_e32 v[6:7], v[6:7]
	s_delay_alu instid0(VALU_DEP_1) | instskip(NEXT) | instid1(VALU_DEP_1)
	v_ldexp_f64 v[16:17], v[6:7], 0xffffffe0
	v_floor_f64_e32 v[16:17], v[16:17]
	s_delay_alu instid0(VALU_DEP_1) | instskip(SKIP_1) | instid1(VALU_DEP_2)
	v_fmamk_f64 v[18:19], v[16:17], 0xc1f00000, v[6:7]
	v_cvt_i32_f64_e32 v7, v[16:17]
	v_cvt_u32_f64_e32 v6, v[18:19]
	s_branch .LBB30_5231
.LBB30_5229:
	s_mov_b32 s0, -1
                                        ; implicit-def: $vgpr6_vgpr7
	s_branch .LBB30_5234
.LBB30_5230:
	s_mov_b32 s0, -1
                                        ; implicit-def: $vgpr6_vgpr7
.LBB30_5231:
	s_delay_alu instid0(SALU_CYCLE_1)
	s_and_not1_b32 vcc_lo, exec_lo, s0
	s_cbranch_vccnz .LBB30_5233
; %bb.5232:
	s_wait_loadcnt 0x0
	global_load_b32 v6, v[14:15], off
	s_wait_loadcnt 0x0
	v_trunc_f32_e32 v6, v6
	s_delay_alu instid0(VALU_DEP_1) | instskip(NEXT) | instid1(VALU_DEP_1)
	v_mul_f32_e64 v7, 0x2f800000, |v6|
	v_floor_f32_e32 v7, v7
	s_delay_alu instid0(VALU_DEP_1) | instskip(SKIP_2) | instid1(VALU_DEP_3)
	v_fma_f32 v9, 0xcf800000, v7, |v6|
	v_ashrrev_i32_e32 v6, 31, v6
	v_cvt_u32_f32_e32 v11, v7
	v_cvt_u32_f32_e32 v9, v9
	s_delay_alu instid0(VALU_DEP_2) | instskip(NEXT) | instid1(VALU_DEP_2)
	v_dual_mov_b32 v7, v6 :: v_dual_bitop2_b32 v17, v11, v6 bitop3:0x14
	v_xor_b32_e32 v16, v9, v6
	s_delay_alu instid0(VALU_DEP_1)
	v_sub_nc_u64_e32 v[6:7], v[16:17], v[6:7]
.LBB30_5233:
	s_mov_b32 s0, 0
.LBB30_5234:
	s_delay_alu instid0(SALU_CYCLE_1)
	s_and_not1_b32 vcc_lo, exec_lo, s0
	s_cbranch_vccnz .LBB30_5236
; %bb.5235:
	s_wait_loadcnt 0x0
	global_load_u16 v6, v[14:15], off
	s_wait_loadcnt 0x0
	v_cvt_f32_f16_e32 v6, v6
	s_delay_alu instid0(VALU_DEP_1) | instskip(NEXT) | instid1(VALU_DEP_1)
	v_cvt_i32_f32_e32 v6, v6
	v_ashrrev_i32_e32 v7, 31, v6
.LBB30_5236:
	s_mov_b32 s0, 0
.LBB30_5237:
	s_delay_alu instid0(SALU_CYCLE_1)
	s_and_not1_b32 vcc_lo, exec_lo, s0
	s_cbranch_vccnz .LBB30_5257
; %bb.5238:
	s_cmp_lt_i32 s57, 2
	s_cbranch_scc1 .LBB30_5242
; %bb.5239:
	s_cmp_lt_i32 s57, 3
	s_cbranch_scc1 .LBB30_5243
; %bb.5240:
	s_cmp_gt_i32 s57, 3
	s_cbranch_scc0 .LBB30_5244
; %bb.5241:
	s_wait_loadcnt 0x0
	global_load_b64 v[6:7], v[14:15], off
	s_mov_b32 s0, 0
	s_branch .LBB30_5245
.LBB30_5242:
	s_mov_b32 s0, -1
                                        ; implicit-def: $vgpr6_vgpr7
	s_branch .LBB30_5251
.LBB30_5243:
	s_mov_b32 s0, -1
                                        ; implicit-def: $vgpr6_vgpr7
	s_branch .LBB30_5248
.LBB30_5244:
	s_mov_b32 s0, -1
                                        ; implicit-def: $vgpr6_vgpr7
.LBB30_5245:
	s_delay_alu instid0(SALU_CYCLE_1)
	s_and_not1_b32 vcc_lo, exec_lo, s0
	s_cbranch_vccnz .LBB30_5247
; %bb.5246:
	s_wait_loadcnt 0x0
	global_load_b32 v6, v[14:15], off
	s_wait_loadcnt 0x0
	v_ashrrev_i32_e32 v7, 31, v6
.LBB30_5247:
	s_mov_b32 s0, 0
.LBB30_5248:
	s_delay_alu instid0(SALU_CYCLE_1)
	s_and_not1_b32 vcc_lo, exec_lo, s0
	s_cbranch_vccnz .LBB30_5250
; %bb.5249:
	s_wait_loadcnt 0x0
	global_load_u16 v6, v[14:15], off
	s_wait_loadcnt 0x0
	v_bfe_i32 v6, v6, 0, 16
	s_delay_alu instid0(VALU_DEP_1)
	v_ashrrev_i32_e32 v7, 31, v6
.LBB30_5250:
	s_mov_b32 s0, 0
.LBB30_5251:
	s_delay_alu instid0(SALU_CYCLE_1)
	s_and_not1_b32 vcc_lo, exec_lo, s0
	s_cbranch_vccnz .LBB30_5257
; %bb.5252:
	s_cmp_gt_i32 s57, 0
	s_mov_b32 s0, 0
	s_cbranch_scc0 .LBB30_5254
; %bb.5253:
	s_wait_loadcnt 0x0
	global_load_i8 v6, v[14:15], off
	s_wait_loadcnt 0x0
	v_bfe_i32 v6, v6, 0, 16
	s_delay_alu instid0(VALU_DEP_1)
	v_ashrrev_i32_e32 v7, 31, v6
	s_branch .LBB30_5255
.LBB30_5254:
	s_mov_b32 s0, -1
                                        ; implicit-def: $vgpr6_vgpr7
.LBB30_5255:
	s_delay_alu instid0(SALU_CYCLE_1)
	s_and_not1_b32 vcc_lo, exec_lo, s0
	s_cbranch_vccnz .LBB30_5257
; %bb.5256:
	s_wait_loadcnt 0x0
	global_load_u8 v6, v[14:15], off
	s_mov_b32 s0, 0
	s_delay_alu instid0(SALU_CYCLE_1)
	v_mov_b32_e32 v7, s0
	s_wait_loadcnt 0x0
	v_and_b32_e32 v6, 0xffff, v6
.LBB30_5257:
	s_mov_b32 s6, -1
.LBB30_5258:
	s_delay_alu instid0(SALU_CYCLE_1)
	s_and_not1_b32 vcc_lo, exec_lo, s6
	s_cbranch_vccnz .LBB30_5650
; %bb.5259:
	v_add_nc_u32_e32 v8, s62, v8
	s_cmp_lt_i32 s58, 11
	s_delay_alu instid0(VALU_DEP_1) | instskip(SKIP_1) | instid1(VALU_DEP_1)
	v_ashrrev_i32_e32 v9, 31, v8
	s_wait_xcnt 0x0
	v_add_nc_u64_e32 v[14:15], s[10:11], v[8:9]
	s_cbranch_scc1 .LBB30_5266
; %bb.5260:
	s_cmp_gt_i32 s58, 25
	s_mov_b32 s5, 0
	s_cbranch_scc0 .LBB30_5267
; %bb.5261:
	s_cmp_gt_i32 s58, 28
	s_cbranch_scc0 .LBB30_5268
; %bb.5262:
	s_cmp_gt_i32 s58, 43
	;; [unrolled: 3-line block ×3, first 2 shown]
	s_cbranch_scc0 .LBB30_5271
; %bb.5264:
	s_cmp_eq_u32 s58, 46
	s_mov_b32 s7, 0
	s_cbranch_scc0 .LBB30_5273
; %bb.5265:
	global_load_b32 v8, v[14:15], off
	s_mov_b32 s0, 0
	s_mov_b32 s6, -1
	s_wait_loadcnt 0x0
	v_lshlrev_b32_e32 v8, 16, v8
	s_delay_alu instid0(VALU_DEP_1) | instskip(NEXT) | instid1(VALU_DEP_1)
	v_trunc_f32_e32 v8, v8
	v_mul_f32_e64 v9, 0x2f800000, |v8|
	s_delay_alu instid0(VALU_DEP_1) | instskip(NEXT) | instid1(VALU_DEP_1)
	v_floor_f32_e32 v9, v9
	v_fma_f32 v11, 0xcf800000, v9, |v8|
	v_ashrrev_i32_e32 v8, 31, v8
	v_cvt_u32_f32_e32 v13, v9
	s_delay_alu instid0(VALU_DEP_3) | instskip(NEXT) | instid1(VALU_DEP_2)
	v_cvt_u32_f32_e32 v11, v11
	v_dual_mov_b32 v9, v8 :: v_dual_bitop2_b32 v17, v13, v8 bitop3:0x14
	s_delay_alu instid0(VALU_DEP_2) | instskip(NEXT) | instid1(VALU_DEP_1)
	v_xor_b32_e32 v16, v11, v8
	v_sub_nc_u64_e32 v[8:9], v[16:17], v[8:9]
	s_branch .LBB30_5275
.LBB30_5266:
	s_mov_b32 s0, -1
	s_mov_b32 s6, 0
                                        ; implicit-def: $vgpr8_vgpr9
	s_branch .LBB30_5337
.LBB30_5267:
	s_mov_b32 s7, -1
	s_mov_b32 s6, 0
	s_mov_b32 s0, 0
                                        ; implicit-def: $vgpr8_vgpr9
	s_branch .LBB30_5302
.LBB30_5268:
	s_mov_b32 s7, -1
	s_mov_b32 s6, 0
	s_mov_b32 s0, 0
                                        ; implicit-def: $vgpr8_vgpr9
	s_branch .LBB30_5285
.LBB30_5269:
	s_mov_b32 s7, -1
	s_mov_b32 s6, 0
	s_mov_b32 s0, 0
                                        ; implicit-def: $vgpr8_vgpr9
	s_branch .LBB30_5280
.LBB30_5270:
	s_or_b32 s21, s21, exec_lo
	s_trap 2
	s_cbranch_execz .LBB30_5207
	s_branch .LBB30_5208
.LBB30_5271:
	s_mov_b32 s7, -1
	s_mov_b32 s6, 0
	s_mov_b32 s0, 0
	s_branch .LBB30_5274
.LBB30_5272:
	s_or_b32 s65, s55, exec_lo
	s_trap 2
                                        ; implicit-def: $vgpr4
                                        ; implicit-def: $vgpr6
                                        ; implicit-def: $vgpr8
                                        ; implicit-def: $vgpr14_vgpr15
                                        ; implicit-def: $vgpr10
                                        ; implicit-def: $vgpr16_vgpr17
                                        ; implicit-def: $vgpr12
                                        ; implicit-def: $vgpr24_vgpr25
                                        ; implicit-def: $vgpr0_vgpr1
                                        ; implicit-def: $vgpr2_vgpr3
                                        ; implicit-def: $vgpr26
	s_or_saveexec_b32 s66, s0
                                        ; implicit-def: $vgpr20_vgpr21
                                        ; implicit-def: $sgpr0
	s_delay_alu instid0(SALU_CYCLE_1)
	s_xor_b32 exec_lo, exec_lo, s66
	s_cbranch_execz .LBB30_5654
	s_branch .LBB30_4980
.LBB30_5273:
	s_mov_b32 s0, -1
	s_mov_b32 s6, 0
.LBB30_5274:
                                        ; implicit-def: $vgpr8_vgpr9
.LBB30_5275:
	s_and_b32 vcc_lo, exec_lo, s7
	s_cbranch_vccz .LBB30_5279
; %bb.5276:
	s_cmp_eq_u32 s58, 44
	s_cbranch_scc0 .LBB30_5278
; %bb.5277:
	global_load_u8 v11, v[14:15], off
	s_mov_b32 s0, 0
	s_mov_b32 s6, -1
	s_wait_loadcnt 0x0
	v_cmp_ne_u32_e32 vcc_lo, 0, v11
	v_lshlrev_b32_e32 v8, 23, v11
	s_delay_alu instid0(VALU_DEP_1) | instskip(NEXT) | instid1(VALU_DEP_1)
	v_trunc_f32_e32 v8, v8
	v_mul_f32_e64 v9, 0x2f800000, |v8|
	s_delay_alu instid0(VALU_DEP_1) | instskip(NEXT) | instid1(VALU_DEP_1)
	v_floor_f32_e32 v9, v9
	v_fma_f32 v13, 0xcf800000, v9, |v8|
	v_ashrrev_i32_e32 v8, 31, v8
	v_cvt_u32_f32_e32 v16, v9
	s_delay_alu instid0(VALU_DEP_3) | instskip(NEXT) | instid1(VALU_DEP_3)
	v_cvt_u32_f32_e32 v13, v13
	v_mov_b32_e32 v9, v8
	s_delay_alu instid0(VALU_DEP_3) | instskip(NEXT) | instid1(VALU_DEP_3)
	v_xor_b32_e32 v17, v16, v8
	v_xor_b32_e32 v16, v13, v8
	s_delay_alu instid0(VALU_DEP_1) | instskip(NEXT) | instid1(VALU_DEP_1)
	v_sub_nc_u64_e32 v[8:9], v[16:17], v[8:9]
	v_dual_cndmask_b32 v9, 0, v9 :: v_dual_cndmask_b32 v8, 0, v8
	s_branch .LBB30_5279
.LBB30_5278:
	s_mov_b32 s0, -1
                                        ; implicit-def: $vgpr8_vgpr9
.LBB30_5279:
	s_mov_b32 s7, 0
.LBB30_5280:
	s_delay_alu instid0(SALU_CYCLE_1)
	s_and_b32 vcc_lo, exec_lo, s7
	s_cbranch_vccz .LBB30_5284
; %bb.5281:
	s_cmp_eq_u32 s58, 29
	s_cbranch_scc0 .LBB30_5283
; %bb.5282:
	global_load_b64 v[8:9], v[14:15], off
	s_mov_b32 s0, 0
	s_mov_b32 s6, -1
	s_branch .LBB30_5284
.LBB30_5283:
	s_mov_b32 s0, -1
                                        ; implicit-def: $vgpr8_vgpr9
.LBB30_5284:
	s_mov_b32 s7, 0
.LBB30_5285:
	s_delay_alu instid0(SALU_CYCLE_1)
	s_and_b32 vcc_lo, exec_lo, s7
	s_cbranch_vccz .LBB30_5301
; %bb.5286:
	s_cmp_lt_i32 s58, 27
	s_cbranch_scc1 .LBB30_5289
; %bb.5287:
	s_cmp_gt_i32 s58, 27
	s_cbranch_scc0 .LBB30_5290
; %bb.5288:
	s_wait_loadcnt 0x0
	global_load_b32 v8, v[14:15], off
	v_mov_b32_e32 v9, 0
	s_mov_b32 s6, 0
	s_branch .LBB30_5291
.LBB30_5289:
	s_mov_b32 s6, -1
                                        ; implicit-def: $vgpr8_vgpr9
	s_branch .LBB30_5294
.LBB30_5290:
	s_mov_b32 s6, -1
                                        ; implicit-def: $vgpr8_vgpr9
.LBB30_5291:
	s_delay_alu instid0(SALU_CYCLE_1)
	s_and_not1_b32 vcc_lo, exec_lo, s6
	s_cbranch_vccnz .LBB30_5293
; %bb.5292:
	s_wait_loadcnt 0x0
	global_load_u16 v8, v[14:15], off
	s_mov_b32 s6, 0
	s_delay_alu instid0(SALU_CYCLE_1)
	v_mov_b32_e32 v9, s6
	s_wait_loadcnt 0x0
	v_and_b32_e32 v8, 0xffff, v8
.LBB30_5293:
	s_mov_b32 s6, 0
.LBB30_5294:
	s_delay_alu instid0(SALU_CYCLE_1)
	s_and_not1_b32 vcc_lo, exec_lo, s6
	s_cbranch_vccnz .LBB30_5300
; %bb.5295:
	global_load_u8 v11, v[14:15], off
	s_mov_b32 s7, 0
	s_mov_b32 s6, exec_lo
	s_wait_loadcnt 0x0
	v_cmpx_lt_i16_e32 0x7f, v11
	s_xor_b32 s6, exec_lo, s6
	s_cbranch_execz .LBB30_5312
; %bb.5296:
	v_cmp_ne_u16_e32 vcc_lo, 0x80, v11
	s_and_b32 s7, vcc_lo, exec_lo
	s_and_not1_saveexec_b32 s6, s6
	s_cbranch_execnz .LBB30_5313
.LBB30_5297:
	s_or_b32 exec_lo, exec_lo, s6
	v_mov_b64_e32 v[8:9], 0
	s_and_saveexec_b32 s6, s7
	s_cbranch_execz .LBB30_5299
.LBB30_5298:
	v_and_b32_e32 v8, 0xffff, v11
	s_delay_alu instid0(VALU_DEP_1) | instskip(SKIP_1) | instid1(VALU_DEP_2)
	v_and_b32_e32 v9, 7, v8
	v_bfe_u32 v17, v8, 3, 4
	v_clz_i32_u32_e32 v13, v9
	s_delay_alu instid0(VALU_DEP_2) | instskip(NEXT) | instid1(VALU_DEP_2)
	v_cmp_eq_u32_e32 vcc_lo, 0, v17
	v_min_u32_e32 v13, 32, v13
	s_delay_alu instid0(VALU_DEP_1) | instskip(NEXT) | instid1(VALU_DEP_1)
	v_subrev_nc_u32_e32 v16, 28, v13
	v_dual_lshlrev_b32 v8, v16, v8 :: v_dual_sub_nc_u32 v13, 29, v13
	s_delay_alu instid0(VALU_DEP_1) | instskip(NEXT) | instid1(VALU_DEP_2)
	v_dual_lshlrev_b32 v11, 24, v11 :: v_dual_bitop2_b32 v8, 7, v8 bitop3:0x40
	v_cndmask_b32_e32 v13, v17, v13, vcc_lo
	s_delay_alu instid0(VALU_DEP_2) | instskip(NEXT) | instid1(VALU_DEP_3)
	v_cndmask_b32_e32 v8, v9, v8, vcc_lo
	v_and_b32_e32 v9, 0x80000000, v11
	s_delay_alu instid0(VALU_DEP_3) | instskip(NEXT) | instid1(VALU_DEP_3)
	v_lshl_add_u32 v11, v13, 23, 0x3b800000
	v_lshlrev_b32_e32 v8, 20, v8
	s_delay_alu instid0(VALU_DEP_1) | instskip(NEXT) | instid1(VALU_DEP_1)
	v_or3_b32 v8, v9, v11, v8
	v_trunc_f32_e32 v8, v8
	s_delay_alu instid0(VALU_DEP_1) | instskip(NEXT) | instid1(VALU_DEP_1)
	v_mul_f32_e64 v9, 0x2f800000, |v8|
	v_floor_f32_e32 v9, v9
	s_delay_alu instid0(VALU_DEP_1) | instskip(SKIP_2) | instid1(VALU_DEP_3)
	v_fma_f32 v11, 0xcf800000, v9, |v8|
	v_ashrrev_i32_e32 v8, 31, v8
	v_cvt_u32_f32_e32 v13, v9
	v_cvt_u32_f32_e32 v11, v11
	s_delay_alu instid0(VALU_DEP_2) | instskip(NEXT) | instid1(VALU_DEP_2)
	v_dual_mov_b32 v9, v8 :: v_dual_bitop2_b32 v17, v13, v8 bitop3:0x14
	v_xor_b32_e32 v16, v11, v8
	s_delay_alu instid0(VALU_DEP_1)
	v_sub_nc_u64_e32 v[8:9], v[16:17], v[8:9]
.LBB30_5299:
	s_or_b32 exec_lo, exec_lo, s6
.LBB30_5300:
	s_mov_b32 s6, -1
.LBB30_5301:
	s_mov_b32 s7, 0
.LBB30_5302:
	s_delay_alu instid0(SALU_CYCLE_1)
	s_and_b32 vcc_lo, exec_lo, s7
	s_cbranch_vccz .LBB30_5333
; %bb.5303:
	s_cmp_gt_i32 s58, 22
	s_cbranch_scc0 .LBB30_5311
; %bb.5304:
	s_cmp_lt_i32 s58, 24
	s_cbranch_scc1 .LBB30_5314
; %bb.5305:
	s_cmp_gt_i32 s58, 24
	s_cbranch_scc0 .LBB30_5315
; %bb.5306:
	global_load_u8 v11, v[14:15], off
	s_mov_b32 s6, 0
	s_mov_b32 s5, exec_lo
	s_wait_loadcnt 0x0
	v_cmpx_lt_i16_e32 0x7f, v11
	s_xor_b32 s5, exec_lo, s5
	s_cbranch_execz .LBB30_5327
; %bb.5307:
	v_cmp_ne_u16_e32 vcc_lo, 0x80, v11
	s_and_b32 s6, vcc_lo, exec_lo
	s_and_not1_saveexec_b32 s5, s5
	s_cbranch_execnz .LBB30_5328
.LBB30_5308:
	s_or_b32 exec_lo, exec_lo, s5
	v_mov_b64_e32 v[8:9], 0
	s_and_saveexec_b32 s5, s6
	s_cbranch_execz .LBB30_5310
.LBB30_5309:
	v_and_b32_e32 v8, 0xffff, v11
	s_delay_alu instid0(VALU_DEP_1) | instskip(SKIP_1) | instid1(VALU_DEP_2)
	v_and_b32_e32 v9, 3, v8
	v_bfe_u32 v17, v8, 2, 5
	v_clz_i32_u32_e32 v13, v9
	s_delay_alu instid0(VALU_DEP_2) | instskip(NEXT) | instid1(VALU_DEP_2)
	v_cmp_eq_u32_e32 vcc_lo, 0, v17
	v_min_u32_e32 v13, 32, v13
	s_delay_alu instid0(VALU_DEP_1) | instskip(NEXT) | instid1(VALU_DEP_1)
	v_subrev_nc_u32_e32 v16, 29, v13
	v_dual_lshlrev_b32 v8, v16, v8 :: v_dual_sub_nc_u32 v13, 30, v13
	s_delay_alu instid0(VALU_DEP_1) | instskip(NEXT) | instid1(VALU_DEP_2)
	v_dual_lshlrev_b32 v11, 24, v11 :: v_dual_bitop2_b32 v8, 3, v8 bitop3:0x40
	v_cndmask_b32_e32 v13, v17, v13, vcc_lo
	s_delay_alu instid0(VALU_DEP_2) | instskip(NEXT) | instid1(VALU_DEP_3)
	v_cndmask_b32_e32 v8, v9, v8, vcc_lo
	v_and_b32_e32 v9, 0x80000000, v11
	s_delay_alu instid0(VALU_DEP_3) | instskip(NEXT) | instid1(VALU_DEP_3)
	v_lshl_add_u32 v11, v13, 23, 0x37800000
	v_lshlrev_b32_e32 v8, 21, v8
	s_delay_alu instid0(VALU_DEP_1) | instskip(NEXT) | instid1(VALU_DEP_1)
	v_or3_b32 v8, v9, v11, v8
	v_trunc_f32_e32 v8, v8
	s_delay_alu instid0(VALU_DEP_1) | instskip(NEXT) | instid1(VALU_DEP_1)
	v_mul_f32_e64 v9, 0x2f800000, |v8|
	v_floor_f32_e32 v9, v9
	s_delay_alu instid0(VALU_DEP_1) | instskip(SKIP_2) | instid1(VALU_DEP_3)
	v_fma_f32 v11, 0xcf800000, v9, |v8|
	v_ashrrev_i32_e32 v8, 31, v8
	v_cvt_u32_f32_e32 v13, v9
	v_cvt_u32_f32_e32 v11, v11
	s_delay_alu instid0(VALU_DEP_2) | instskip(NEXT) | instid1(VALU_DEP_2)
	v_dual_mov_b32 v9, v8 :: v_dual_bitop2_b32 v17, v13, v8 bitop3:0x14
	v_xor_b32_e32 v16, v11, v8
	s_delay_alu instid0(VALU_DEP_1)
	v_sub_nc_u64_e32 v[8:9], v[16:17], v[8:9]
.LBB30_5310:
	s_or_b32 exec_lo, exec_lo, s5
	s_mov_b32 s5, 0
	s_branch .LBB30_5316
.LBB30_5311:
	s_mov_b32 s5, -1
                                        ; implicit-def: $vgpr8_vgpr9
	s_branch .LBB30_5322
.LBB30_5312:
	s_and_not1_saveexec_b32 s6, s6
	s_cbranch_execz .LBB30_5297
.LBB30_5313:
	v_cmp_ne_u16_e32 vcc_lo, 0, v11
	s_and_not1_b32 s7, s7, exec_lo
	s_and_b32 s8, vcc_lo, exec_lo
	s_delay_alu instid0(SALU_CYCLE_1)
	s_or_b32 s7, s7, s8
	s_or_b32 exec_lo, exec_lo, s6
	v_mov_b64_e32 v[8:9], 0
	s_and_saveexec_b32 s6, s7
	s_cbranch_execnz .LBB30_5298
	s_branch .LBB30_5299
.LBB30_5314:
	s_mov_b32 s5, -1
                                        ; implicit-def: $vgpr8_vgpr9
	s_branch .LBB30_5319
.LBB30_5315:
	s_mov_b32 s5, -1
                                        ; implicit-def: $vgpr8_vgpr9
.LBB30_5316:
	s_delay_alu instid0(SALU_CYCLE_1)
	s_and_b32 vcc_lo, exec_lo, s5
	s_cbranch_vccz .LBB30_5318
; %bb.5317:
	s_wait_loadcnt 0x0
	global_load_u8 v8, v[14:15], off
	s_wait_loadcnt 0x0
	v_lshlrev_b32_e32 v8, 24, v8
	s_delay_alu instid0(VALU_DEP_1) | instskip(NEXT) | instid1(VALU_DEP_1)
	v_and_b32_e32 v9, 0x7f000000, v8
	v_clz_i32_u32_e32 v11, v9
	v_cmp_ne_u32_e32 vcc_lo, 0, v9
	v_add_nc_u32_e32 v16, 0x1000000, v9
	s_delay_alu instid0(VALU_DEP_3) | instskip(NEXT) | instid1(VALU_DEP_1)
	v_min_u32_e32 v11, 32, v11
	v_sub_nc_u32_e64 v11, v11, 4 clamp
	s_delay_alu instid0(VALU_DEP_1) | instskip(NEXT) | instid1(VALU_DEP_1)
	v_dual_lshlrev_b32 v13, v11, v9 :: v_dual_lshlrev_b32 v11, 23, v11
	v_lshrrev_b32_e32 v13, 4, v13
	s_delay_alu instid0(VALU_DEP_1) | instskip(NEXT) | instid1(VALU_DEP_1)
	v_dual_sub_nc_u32 v11, v13, v11 :: v_dual_ashrrev_i32 v13, 8, v16
	v_add_nc_u32_e32 v11, 0x3c000000, v11
	s_delay_alu instid0(VALU_DEP_1) | instskip(NEXT) | instid1(VALU_DEP_1)
	v_and_or_b32 v11, 0x7f800000, v13, v11
	v_cndmask_b32_e32 v9, 0, v11, vcc_lo
	s_delay_alu instid0(VALU_DEP_1) | instskip(NEXT) | instid1(VALU_DEP_1)
	v_and_or_b32 v8, 0x80000000, v8, v9
	v_trunc_f32_e32 v8, v8
	s_delay_alu instid0(VALU_DEP_1) | instskip(NEXT) | instid1(VALU_DEP_1)
	v_mul_f32_e64 v9, 0x2f800000, |v8|
	v_floor_f32_e32 v9, v9
	s_delay_alu instid0(VALU_DEP_1) | instskip(SKIP_2) | instid1(VALU_DEP_3)
	v_fma_f32 v11, 0xcf800000, v9, |v8|
	v_ashrrev_i32_e32 v8, 31, v8
	v_cvt_u32_f32_e32 v13, v9
	v_cvt_u32_f32_e32 v11, v11
	s_delay_alu instid0(VALU_DEP_2) | instskip(NEXT) | instid1(VALU_DEP_2)
	v_dual_mov_b32 v9, v8 :: v_dual_bitop2_b32 v17, v13, v8 bitop3:0x14
	v_xor_b32_e32 v16, v11, v8
	s_delay_alu instid0(VALU_DEP_1)
	v_sub_nc_u64_e32 v[8:9], v[16:17], v[8:9]
.LBB30_5318:
	s_mov_b32 s5, 0
.LBB30_5319:
	s_delay_alu instid0(SALU_CYCLE_1)
	s_and_not1_b32 vcc_lo, exec_lo, s5
	s_cbranch_vccnz .LBB30_5321
; %bb.5320:
	s_wait_loadcnt 0x0
	global_load_u8 v8, v[14:15], off
	s_wait_loadcnt 0x0
	v_lshlrev_b32_e32 v9, 25, v8
	v_lshlrev_b16 v8, 8, v8
	s_delay_alu instid0(VALU_DEP_1) | instskip(SKIP_1) | instid1(VALU_DEP_2)
	v_and_or_b32 v13, 0x7f00, v8, 0.5
	v_bfe_i32 v8, v8, 0, 16
	v_add_f32_e32 v13, -0.5, v13
	v_lshrrev_b32_e32 v11, 4, v9
	v_cmp_gt_u32_e32 vcc_lo, 0x8000000, v9
	s_delay_alu instid0(VALU_DEP_2) | instskip(NEXT) | instid1(VALU_DEP_1)
	v_or_b32_e32 v11, 0x70000000, v11
	v_mul_f32_e32 v11, 0x7800000, v11
	s_delay_alu instid0(VALU_DEP_1) | instskip(NEXT) | instid1(VALU_DEP_1)
	v_cndmask_b32_e32 v9, v11, v13, vcc_lo
	v_and_or_b32 v8, 0x80000000, v8, v9
	s_delay_alu instid0(VALU_DEP_1) | instskip(NEXT) | instid1(VALU_DEP_1)
	v_trunc_f32_e32 v8, v8
	v_mul_f32_e64 v9, 0x2f800000, |v8|
	s_delay_alu instid0(VALU_DEP_1) | instskip(NEXT) | instid1(VALU_DEP_1)
	v_floor_f32_e32 v9, v9
	v_fma_f32 v11, 0xcf800000, v9, |v8|
	v_ashrrev_i32_e32 v8, 31, v8
	v_cvt_u32_f32_e32 v13, v9
	s_delay_alu instid0(VALU_DEP_3) | instskip(NEXT) | instid1(VALU_DEP_2)
	v_cvt_u32_f32_e32 v11, v11
	v_dual_mov_b32 v9, v8 :: v_dual_bitop2_b32 v17, v13, v8 bitop3:0x14
	s_delay_alu instid0(VALU_DEP_2) | instskip(NEXT) | instid1(VALU_DEP_1)
	v_xor_b32_e32 v16, v11, v8
	v_sub_nc_u64_e32 v[8:9], v[16:17], v[8:9]
.LBB30_5321:
	s_mov_b32 s5, 0
	s_mov_b32 s6, -1
.LBB30_5322:
	s_and_not1_b32 vcc_lo, exec_lo, s5
	s_mov_b32 s5, 0
	s_cbranch_vccnz .LBB30_5333
; %bb.5323:
	s_cmp_gt_i32 s58, 14
	s_cbranch_scc0 .LBB30_5326
; %bb.5324:
	s_cmp_eq_u32 s58, 15
	s_cbranch_scc0 .LBB30_5329
; %bb.5325:
	s_wait_loadcnt 0x0
	global_load_u16 v8, v[14:15], off
	s_mov_b32 s0, 0
	s_mov_b32 s6, -1
	s_wait_loadcnt 0x0
	v_lshlrev_b32_e32 v8, 16, v8
	s_delay_alu instid0(VALU_DEP_1) | instskip(NEXT) | instid1(VALU_DEP_1)
	v_trunc_f32_e32 v8, v8
	v_mul_f32_e64 v9, 0x2f800000, |v8|
	s_delay_alu instid0(VALU_DEP_1) | instskip(NEXT) | instid1(VALU_DEP_1)
	v_floor_f32_e32 v9, v9
	v_fma_f32 v11, 0xcf800000, v9, |v8|
	v_ashrrev_i32_e32 v8, 31, v8
	v_cvt_u32_f32_e32 v13, v9
	s_delay_alu instid0(VALU_DEP_3) | instskip(NEXT) | instid1(VALU_DEP_2)
	v_cvt_u32_f32_e32 v11, v11
	v_dual_mov_b32 v9, v8 :: v_dual_bitop2_b32 v17, v13, v8 bitop3:0x14
	s_delay_alu instid0(VALU_DEP_2) | instskip(NEXT) | instid1(VALU_DEP_1)
	v_xor_b32_e32 v16, v11, v8
	v_sub_nc_u64_e32 v[8:9], v[16:17], v[8:9]
	s_branch .LBB30_5331
.LBB30_5326:
	s_mov_b32 s5, -1
	s_branch .LBB30_5330
.LBB30_5327:
	s_and_not1_saveexec_b32 s5, s5
	s_cbranch_execz .LBB30_5308
.LBB30_5328:
	v_cmp_ne_u16_e32 vcc_lo, 0, v11
	s_and_not1_b32 s6, s6, exec_lo
	s_and_b32 s7, vcc_lo, exec_lo
	s_delay_alu instid0(SALU_CYCLE_1)
	s_or_b32 s6, s6, s7
	s_or_b32 exec_lo, exec_lo, s5
	v_mov_b64_e32 v[8:9], 0
	s_and_saveexec_b32 s5, s6
	s_cbranch_execnz .LBB30_5309
	s_branch .LBB30_5310
.LBB30_5329:
	s_mov_b32 s0, -1
.LBB30_5330:
                                        ; implicit-def: $vgpr8_vgpr9
.LBB30_5331:
	s_and_b32 vcc_lo, exec_lo, s5
	s_mov_b32 s5, 0
	s_cbranch_vccz .LBB30_5333
; %bb.5332:
	s_cmp_lg_u32 s58, 11
	s_mov_b32 s5, -1
	s_cselect_b32 s0, -1, 0
.LBB30_5333:
	s_delay_alu instid0(SALU_CYCLE_1)
	s_and_b32 vcc_lo, exec_lo, s0
	s_cbranch_vccnz .LBB30_5398
; %bb.5334:
	s_and_not1_b32 vcc_lo, exec_lo, s5
	s_cbranch_vccnz .LBB30_5336
.LBB30_5335:
	s_wait_loadcnt 0x0
	global_load_u8 v8, v[14:15], off
	s_mov_b32 s0, 0
	s_mov_b32 s6, -1
	v_mov_b32_e32 v9, s0
	s_wait_loadcnt 0x0
	v_cmp_ne_u16_e32 vcc_lo, 0, v8
	v_cndmask_b32_e64 v8, 0, 1, vcc_lo
.LBB30_5336:
	s_mov_b32 s0, 0
.LBB30_5337:
	s_delay_alu instid0(SALU_CYCLE_1)
	s_and_b32 vcc_lo, exec_lo, s0
	s_cbranch_vccz .LBB30_5386
; %bb.5338:
	s_cmp_lt_i32 s58, 5
	s_cbranch_scc1 .LBB30_5343
; %bb.5339:
	s_cmp_lt_i32 s58, 8
	s_cbranch_scc1 .LBB30_5344
; %bb.5340:
	s_cmp_lt_i32 s58, 9
	s_cbranch_scc1 .LBB30_5345
; %bb.5341:
	s_cmp_gt_i32 s58, 9
	s_cbranch_scc0 .LBB30_5346
; %bb.5342:
	s_wait_loadcnt 0x0
	global_load_b64 v[8:9], v[14:15], off
	s_mov_b32 s0, 0
	s_wait_loadcnt 0x0
	v_trunc_f64_e32 v[8:9], v[8:9]
	s_delay_alu instid0(VALU_DEP_1) | instskip(NEXT) | instid1(VALU_DEP_1)
	v_ldexp_f64 v[16:17], v[8:9], 0xffffffe0
	v_floor_f64_e32 v[16:17], v[16:17]
	s_delay_alu instid0(VALU_DEP_1) | instskip(SKIP_1) | instid1(VALU_DEP_2)
	v_fmamk_f64 v[18:19], v[16:17], 0xc1f00000, v[8:9]
	v_cvt_i32_f64_e32 v9, v[16:17]
	v_cvt_u32_f64_e32 v8, v[18:19]
	s_branch .LBB30_5347
.LBB30_5343:
	s_mov_b32 s0, -1
                                        ; implicit-def: $vgpr8_vgpr9
	s_branch .LBB30_5365
.LBB30_5344:
	s_mov_b32 s0, -1
                                        ; implicit-def: $vgpr8_vgpr9
	s_branch .LBB30_5353
.LBB30_5345:
	s_mov_b32 s0, -1
                                        ; implicit-def: $vgpr8_vgpr9
	s_branch .LBB30_5350
.LBB30_5346:
	s_mov_b32 s0, -1
                                        ; implicit-def: $vgpr8_vgpr9
.LBB30_5347:
	s_delay_alu instid0(SALU_CYCLE_1)
	s_and_not1_b32 vcc_lo, exec_lo, s0
	s_cbranch_vccnz .LBB30_5349
; %bb.5348:
	s_wait_loadcnt 0x0
	global_load_b32 v8, v[14:15], off
	s_wait_loadcnt 0x0
	v_trunc_f32_e32 v8, v8
	s_delay_alu instid0(VALU_DEP_1) | instskip(NEXT) | instid1(VALU_DEP_1)
	v_mul_f32_e64 v9, 0x2f800000, |v8|
	v_floor_f32_e32 v9, v9
	s_delay_alu instid0(VALU_DEP_1) | instskip(SKIP_2) | instid1(VALU_DEP_3)
	v_fma_f32 v11, 0xcf800000, v9, |v8|
	v_ashrrev_i32_e32 v8, 31, v8
	v_cvt_u32_f32_e32 v13, v9
	v_cvt_u32_f32_e32 v11, v11
	s_delay_alu instid0(VALU_DEP_2) | instskip(NEXT) | instid1(VALU_DEP_2)
	v_dual_mov_b32 v9, v8 :: v_dual_bitop2_b32 v17, v13, v8 bitop3:0x14
	v_xor_b32_e32 v16, v11, v8
	s_delay_alu instid0(VALU_DEP_1)
	v_sub_nc_u64_e32 v[8:9], v[16:17], v[8:9]
.LBB30_5349:
	s_mov_b32 s0, 0
.LBB30_5350:
	s_delay_alu instid0(SALU_CYCLE_1)
	s_and_not1_b32 vcc_lo, exec_lo, s0
	s_cbranch_vccnz .LBB30_5352
; %bb.5351:
	s_wait_loadcnt 0x0
	global_load_b32 v8, v[14:15], off
	s_wait_loadcnt 0x0
	v_cvt_f32_f16_e32 v8, v8
	s_delay_alu instid0(VALU_DEP_1) | instskip(NEXT) | instid1(VALU_DEP_1)
	v_cvt_i32_f32_e32 v8, v8
	v_ashrrev_i32_e32 v9, 31, v8
.LBB30_5352:
	s_mov_b32 s0, 0
.LBB30_5353:
	s_delay_alu instid0(SALU_CYCLE_1)
	s_and_not1_b32 vcc_lo, exec_lo, s0
	s_cbranch_vccnz .LBB30_5364
; %bb.5354:
	s_cmp_lt_i32 s58, 6
	s_cbranch_scc1 .LBB30_5357
; %bb.5355:
	s_cmp_gt_i32 s58, 6
	s_cbranch_scc0 .LBB30_5358
; %bb.5356:
	s_wait_loadcnt 0x0
	global_load_b64 v[8:9], v[14:15], off
	s_mov_b32 s0, 0
	s_wait_loadcnt 0x0
	v_trunc_f64_e32 v[8:9], v[8:9]
	s_delay_alu instid0(VALU_DEP_1) | instskip(NEXT) | instid1(VALU_DEP_1)
	v_ldexp_f64 v[16:17], v[8:9], 0xffffffe0
	v_floor_f64_e32 v[16:17], v[16:17]
	s_delay_alu instid0(VALU_DEP_1) | instskip(SKIP_1) | instid1(VALU_DEP_2)
	v_fmamk_f64 v[18:19], v[16:17], 0xc1f00000, v[8:9]
	v_cvt_i32_f64_e32 v9, v[16:17]
	v_cvt_u32_f64_e32 v8, v[18:19]
	s_branch .LBB30_5359
.LBB30_5357:
	s_mov_b32 s0, -1
                                        ; implicit-def: $vgpr8_vgpr9
	s_branch .LBB30_5362
.LBB30_5358:
	s_mov_b32 s0, -1
                                        ; implicit-def: $vgpr8_vgpr9
.LBB30_5359:
	s_delay_alu instid0(SALU_CYCLE_1)
	s_and_not1_b32 vcc_lo, exec_lo, s0
	s_cbranch_vccnz .LBB30_5361
; %bb.5360:
	s_wait_loadcnt 0x0
	global_load_b32 v8, v[14:15], off
	s_wait_loadcnt 0x0
	v_trunc_f32_e32 v8, v8
	s_delay_alu instid0(VALU_DEP_1) | instskip(NEXT) | instid1(VALU_DEP_1)
	v_mul_f32_e64 v9, 0x2f800000, |v8|
	v_floor_f32_e32 v9, v9
	s_delay_alu instid0(VALU_DEP_1) | instskip(SKIP_2) | instid1(VALU_DEP_3)
	v_fma_f32 v11, 0xcf800000, v9, |v8|
	v_ashrrev_i32_e32 v8, 31, v8
	v_cvt_u32_f32_e32 v13, v9
	v_cvt_u32_f32_e32 v11, v11
	s_delay_alu instid0(VALU_DEP_2) | instskip(NEXT) | instid1(VALU_DEP_2)
	v_dual_mov_b32 v9, v8 :: v_dual_bitop2_b32 v17, v13, v8 bitop3:0x14
	v_xor_b32_e32 v16, v11, v8
	s_delay_alu instid0(VALU_DEP_1)
	v_sub_nc_u64_e32 v[8:9], v[16:17], v[8:9]
.LBB30_5361:
	s_mov_b32 s0, 0
.LBB30_5362:
	s_delay_alu instid0(SALU_CYCLE_1)
	s_and_not1_b32 vcc_lo, exec_lo, s0
	s_cbranch_vccnz .LBB30_5364
; %bb.5363:
	s_wait_loadcnt 0x0
	global_load_u16 v8, v[14:15], off
	s_wait_loadcnt 0x0
	v_cvt_f32_f16_e32 v8, v8
	s_delay_alu instid0(VALU_DEP_1) | instskip(NEXT) | instid1(VALU_DEP_1)
	v_cvt_i32_f32_e32 v8, v8
	v_ashrrev_i32_e32 v9, 31, v8
.LBB30_5364:
	s_mov_b32 s0, 0
.LBB30_5365:
	s_delay_alu instid0(SALU_CYCLE_1)
	s_and_not1_b32 vcc_lo, exec_lo, s0
	s_cbranch_vccnz .LBB30_5385
; %bb.5366:
	s_cmp_lt_i32 s58, 2
	s_cbranch_scc1 .LBB30_5370
; %bb.5367:
	s_cmp_lt_i32 s58, 3
	s_cbranch_scc1 .LBB30_5371
; %bb.5368:
	s_cmp_gt_i32 s58, 3
	s_cbranch_scc0 .LBB30_5372
; %bb.5369:
	s_wait_loadcnt 0x0
	global_load_b64 v[8:9], v[14:15], off
	s_mov_b32 s0, 0
	s_branch .LBB30_5373
.LBB30_5370:
	s_mov_b32 s0, -1
                                        ; implicit-def: $vgpr8_vgpr9
	s_branch .LBB30_5379
.LBB30_5371:
	s_mov_b32 s0, -1
                                        ; implicit-def: $vgpr8_vgpr9
	s_branch .LBB30_5376
.LBB30_5372:
	s_mov_b32 s0, -1
                                        ; implicit-def: $vgpr8_vgpr9
.LBB30_5373:
	s_delay_alu instid0(SALU_CYCLE_1)
	s_and_not1_b32 vcc_lo, exec_lo, s0
	s_cbranch_vccnz .LBB30_5375
; %bb.5374:
	s_wait_loadcnt 0x0
	global_load_b32 v8, v[14:15], off
	s_wait_loadcnt 0x0
	v_ashrrev_i32_e32 v9, 31, v8
.LBB30_5375:
	s_mov_b32 s0, 0
.LBB30_5376:
	s_delay_alu instid0(SALU_CYCLE_1)
	s_and_not1_b32 vcc_lo, exec_lo, s0
	s_cbranch_vccnz .LBB30_5378
; %bb.5377:
	s_wait_loadcnt 0x0
	global_load_u16 v8, v[14:15], off
	s_wait_loadcnt 0x0
	v_bfe_i32 v8, v8, 0, 16
	s_delay_alu instid0(VALU_DEP_1)
	v_ashrrev_i32_e32 v9, 31, v8
.LBB30_5378:
	s_mov_b32 s0, 0
.LBB30_5379:
	s_delay_alu instid0(SALU_CYCLE_1)
	s_and_not1_b32 vcc_lo, exec_lo, s0
	s_cbranch_vccnz .LBB30_5385
; %bb.5380:
	s_cmp_gt_i32 s58, 0
	s_mov_b32 s0, 0
	s_cbranch_scc0 .LBB30_5382
; %bb.5381:
	s_wait_loadcnt 0x0
	global_load_i8 v8, v[14:15], off
	s_wait_loadcnt 0x0
	v_bfe_i32 v8, v8, 0, 16
	s_delay_alu instid0(VALU_DEP_1)
	v_ashrrev_i32_e32 v9, 31, v8
	s_branch .LBB30_5383
.LBB30_5382:
	s_mov_b32 s0, -1
                                        ; implicit-def: $vgpr8_vgpr9
.LBB30_5383:
	s_delay_alu instid0(SALU_CYCLE_1)
	s_and_not1_b32 vcc_lo, exec_lo, s0
	s_cbranch_vccnz .LBB30_5385
; %bb.5384:
	s_wait_loadcnt 0x0
	global_load_u8 v8, v[14:15], off
	s_mov_b32 s0, 0
	s_delay_alu instid0(SALU_CYCLE_1)
	v_mov_b32_e32 v9, s0
	s_wait_loadcnt 0x0
	v_and_b32_e32 v8, 0xffff, v8
.LBB30_5385:
	s_mov_b32 s6, -1
.LBB30_5386:
	s_delay_alu instid0(SALU_CYCLE_1)
	s_and_not1_b32 vcc_lo, exec_lo, s6
	s_cbranch_vccnz .LBB30_5650
; %bb.5387:
	v_add_nc_u32_e32 v10, s63, v10
	s_cmp_lt_i32 s59, 11
	s_delay_alu instid0(VALU_DEP_1) | instskip(SKIP_1) | instid1(VALU_DEP_1)
	v_ashrrev_i32_e32 v11, 31, v10
	s_wait_xcnt 0x0
	v_add_nc_u64_e32 v[14:15], s[12:13], v[10:11]
	s_cbranch_scc1 .LBB30_5394
; %bb.5388:
	s_cmp_gt_i32 s59, 25
	s_mov_b32 s5, 0
	s_cbranch_scc0 .LBB30_5395
; %bb.5389:
	s_cmp_gt_i32 s59, 28
	s_cbranch_scc0 .LBB30_5396
; %bb.5390:
	s_cmp_gt_i32 s59, 43
	;; [unrolled: 3-line block ×3, first 2 shown]
	s_cbranch_scc0 .LBB30_5399
; %bb.5392:
	s_cmp_eq_u32 s59, 46
	s_mov_b32 s7, 0
	s_cbranch_scc0 .LBB30_5401
; %bb.5393:
	global_load_b32 v10, v[14:15], off
	s_mov_b32 s0, 0
	s_mov_b32 s6, -1
	s_wait_loadcnt 0x0
	v_lshlrev_b32_e32 v10, 16, v10
	s_delay_alu instid0(VALU_DEP_1) | instskip(NEXT) | instid1(VALU_DEP_1)
	v_trunc_f32_e32 v10, v10
	v_mul_f32_e64 v11, 0x2f800000, |v10|
	s_delay_alu instid0(VALU_DEP_1) | instskip(NEXT) | instid1(VALU_DEP_1)
	v_floor_f32_e32 v11, v11
	v_fma_f32 v13, 0xcf800000, v11, |v10|
	v_ashrrev_i32_e32 v10, 31, v10
	v_cvt_u32_f32_e32 v16, v11
	s_delay_alu instid0(VALU_DEP_3) | instskip(NEXT) | instid1(VALU_DEP_2)
	v_cvt_u32_f32_e32 v13, v13
	v_dual_mov_b32 v11, v10 :: v_dual_bitop2_b32 v17, v16, v10 bitop3:0x14
	s_delay_alu instid0(VALU_DEP_2) | instskip(NEXT) | instid1(VALU_DEP_1)
	v_xor_b32_e32 v16, v13, v10
	v_sub_nc_u64_e32 v[10:11], v[16:17], v[10:11]
	s_branch .LBB30_5403
.LBB30_5394:
	s_mov_b32 s0, -1
	s_mov_b32 s6, 0
                                        ; implicit-def: $vgpr10_vgpr11
	s_branch .LBB30_5465
.LBB30_5395:
	s_mov_b32 s7, -1
	s_mov_b32 s6, 0
	s_mov_b32 s0, 0
                                        ; implicit-def: $vgpr10_vgpr11
	s_branch .LBB30_5430
.LBB30_5396:
	s_mov_b32 s7, -1
	s_mov_b32 s6, 0
	s_mov_b32 s0, 0
                                        ; implicit-def: $vgpr10_vgpr11
	s_branch .LBB30_5413
.LBB30_5397:
	s_mov_b32 s7, -1
	s_mov_b32 s6, 0
	s_mov_b32 s0, 0
                                        ; implicit-def: $vgpr10_vgpr11
	s_branch .LBB30_5408
.LBB30_5398:
	s_or_b32 s21, s21, exec_lo
	s_trap 2
	s_cbranch_execz .LBB30_5335
	s_branch .LBB30_5336
.LBB30_5399:
	s_mov_b32 s7, -1
	s_mov_b32 s6, 0
	s_mov_b32 s0, 0
	s_branch .LBB30_5402
.LBB30_5400:
	s_or_b32 s67, s65, exec_lo
	s_trap 2
                                        ; implicit-def: $vgpr4
                                        ; implicit-def: $vgpr6
                                        ; implicit-def: $vgpr8
                                        ; implicit-def: $vgpr14_vgpr15
                                        ; implicit-def: $vgpr10
                                        ; implicit-def: $vgpr16_vgpr17
                                        ; implicit-def: $vgpr12
                                        ; implicit-def: $vgpr24_vgpr25
                                        ; implicit-def: $vgpr0_vgpr1
                                        ; implicit-def: $vgpr2_vgpr3
                                        ; implicit-def: $vgpr26
	s_branch .LBB30_4981
.LBB30_5401:
	s_mov_b32 s0, -1
	s_mov_b32 s6, 0
.LBB30_5402:
                                        ; implicit-def: $vgpr10_vgpr11
.LBB30_5403:
	s_and_b32 vcc_lo, exec_lo, s7
	s_cbranch_vccz .LBB30_5407
; %bb.5404:
	s_cmp_eq_u32 s59, 44
	s_cbranch_scc0 .LBB30_5406
; %bb.5405:
	global_load_u8 v13, v[14:15], off
	s_mov_b32 s0, 0
	s_mov_b32 s6, -1
	s_wait_loadcnt 0x0
	v_cmp_ne_u32_e32 vcc_lo, 0, v13
	v_lshlrev_b32_e32 v10, 23, v13
	s_delay_alu instid0(VALU_DEP_1) | instskip(NEXT) | instid1(VALU_DEP_1)
	v_trunc_f32_e32 v10, v10
	v_mul_f32_e64 v11, 0x2f800000, |v10|
	s_delay_alu instid0(VALU_DEP_1) | instskip(NEXT) | instid1(VALU_DEP_1)
	v_floor_f32_e32 v11, v11
	v_fma_f32 v16, 0xcf800000, v11, |v10|
	v_ashrrev_i32_e32 v10, 31, v10
	v_cvt_u32_f32_e32 v17, v11
	s_delay_alu instid0(VALU_DEP_3) | instskip(NEXT) | instid1(VALU_DEP_2)
	v_cvt_u32_f32_e32 v16, v16
	v_dual_mov_b32 v11, v10 :: v_dual_bitop2_b32 v17, v17, v10 bitop3:0x14
	s_delay_alu instid0(VALU_DEP_2) | instskip(NEXT) | instid1(VALU_DEP_1)
	v_xor_b32_e32 v16, v16, v10
	v_sub_nc_u64_e32 v[10:11], v[16:17], v[10:11]
	s_delay_alu instid0(VALU_DEP_1)
	v_dual_cndmask_b32 v11, 0, v11 :: v_dual_cndmask_b32 v10, 0, v10
	s_branch .LBB30_5407
.LBB30_5406:
	s_mov_b32 s0, -1
                                        ; implicit-def: $vgpr10_vgpr11
.LBB30_5407:
	s_mov_b32 s7, 0
.LBB30_5408:
	s_delay_alu instid0(SALU_CYCLE_1)
	s_and_b32 vcc_lo, exec_lo, s7
	s_cbranch_vccz .LBB30_5412
; %bb.5409:
	s_cmp_eq_u32 s59, 29
	s_cbranch_scc0 .LBB30_5411
; %bb.5410:
	global_load_b64 v[10:11], v[14:15], off
	s_mov_b32 s0, 0
	s_mov_b32 s6, -1
	s_branch .LBB30_5412
.LBB30_5411:
	s_mov_b32 s0, -1
                                        ; implicit-def: $vgpr10_vgpr11
.LBB30_5412:
	s_mov_b32 s7, 0
.LBB30_5413:
	s_delay_alu instid0(SALU_CYCLE_1)
	s_and_b32 vcc_lo, exec_lo, s7
	s_cbranch_vccz .LBB30_5429
; %bb.5414:
	s_cmp_lt_i32 s59, 27
	s_cbranch_scc1 .LBB30_5417
; %bb.5415:
	s_cmp_gt_i32 s59, 27
	s_cbranch_scc0 .LBB30_5418
; %bb.5416:
	s_wait_loadcnt 0x0
	global_load_b32 v10, v[14:15], off
	v_mov_b32_e32 v11, 0
	s_mov_b32 s6, 0
	s_branch .LBB30_5419
.LBB30_5417:
	s_mov_b32 s6, -1
                                        ; implicit-def: $vgpr10_vgpr11
	s_branch .LBB30_5422
.LBB30_5418:
	s_mov_b32 s6, -1
                                        ; implicit-def: $vgpr10_vgpr11
.LBB30_5419:
	s_delay_alu instid0(SALU_CYCLE_1)
	s_and_not1_b32 vcc_lo, exec_lo, s6
	s_cbranch_vccnz .LBB30_5421
; %bb.5420:
	s_wait_loadcnt 0x0
	global_load_u16 v10, v[14:15], off
	s_mov_b32 s6, 0
	s_delay_alu instid0(SALU_CYCLE_1)
	v_mov_b32_e32 v11, s6
	s_wait_loadcnt 0x0
	v_and_b32_e32 v10, 0xffff, v10
.LBB30_5421:
	s_mov_b32 s6, 0
.LBB30_5422:
	s_delay_alu instid0(SALU_CYCLE_1)
	s_and_not1_b32 vcc_lo, exec_lo, s6
	s_cbranch_vccnz .LBB30_5428
; %bb.5423:
	global_load_u8 v13, v[14:15], off
	s_mov_b32 s7, 0
	s_mov_b32 s6, exec_lo
	s_wait_loadcnt 0x0
	v_cmpx_lt_i16_e32 0x7f, v13
	s_xor_b32 s6, exec_lo, s6
	s_cbranch_execz .LBB30_5440
; %bb.5424:
	v_cmp_ne_u16_e32 vcc_lo, 0x80, v13
	s_and_b32 s7, vcc_lo, exec_lo
	s_and_not1_saveexec_b32 s6, s6
	s_cbranch_execnz .LBB30_5441
.LBB30_5425:
	s_or_b32 exec_lo, exec_lo, s6
	v_mov_b64_e32 v[10:11], 0
	s_and_saveexec_b32 s6, s7
	s_cbranch_execz .LBB30_5427
.LBB30_5426:
	v_and_b32_e32 v10, 0xffff, v13
	s_delay_alu instid0(VALU_DEP_1) | instskip(SKIP_1) | instid1(VALU_DEP_2)
	v_and_b32_e32 v11, 7, v10
	v_bfe_u32 v18, v10, 3, 4
	v_clz_i32_u32_e32 v16, v11
	s_delay_alu instid0(VALU_DEP_2) | instskip(NEXT) | instid1(VALU_DEP_2)
	v_cmp_eq_u32_e32 vcc_lo, 0, v18
	v_min_u32_e32 v16, 32, v16
	s_delay_alu instid0(VALU_DEP_1) | instskip(NEXT) | instid1(VALU_DEP_1)
	v_subrev_nc_u32_e32 v17, 28, v16
	v_dual_lshlrev_b32 v10, v17, v10 :: v_dual_sub_nc_u32 v16, 29, v16
	s_delay_alu instid0(VALU_DEP_1) | instskip(NEXT) | instid1(VALU_DEP_1)
	v_dual_lshlrev_b32 v13, 24, v13 :: v_dual_bitop2_b32 v10, 7, v10 bitop3:0x40
	v_dual_cndmask_b32 v16, v18, v16, vcc_lo :: v_dual_cndmask_b32 v10, v11, v10, vcc_lo
	s_delay_alu instid0(VALU_DEP_2) | instskip(NEXT) | instid1(VALU_DEP_2)
	v_and_b32_e32 v11, 0x80000000, v13
	v_lshl_add_u32 v13, v16, 23, 0x3b800000
	s_delay_alu instid0(VALU_DEP_3) | instskip(NEXT) | instid1(VALU_DEP_1)
	v_lshlrev_b32_e32 v10, 20, v10
	v_or3_b32 v10, v11, v13, v10
	s_delay_alu instid0(VALU_DEP_1) | instskip(NEXT) | instid1(VALU_DEP_1)
	v_trunc_f32_e32 v10, v10
	v_mul_f32_e64 v11, 0x2f800000, |v10|
	s_delay_alu instid0(VALU_DEP_1) | instskip(NEXT) | instid1(VALU_DEP_1)
	v_floor_f32_e32 v11, v11
	v_fma_f32 v13, 0xcf800000, v11, |v10|
	v_ashrrev_i32_e32 v10, 31, v10
	v_cvt_u32_f32_e32 v16, v11
	s_delay_alu instid0(VALU_DEP_3) | instskip(NEXT) | instid1(VALU_DEP_2)
	v_cvt_u32_f32_e32 v13, v13
	v_dual_mov_b32 v11, v10 :: v_dual_bitop2_b32 v17, v16, v10 bitop3:0x14
	s_delay_alu instid0(VALU_DEP_2) | instskip(NEXT) | instid1(VALU_DEP_1)
	v_xor_b32_e32 v16, v13, v10
	v_sub_nc_u64_e32 v[10:11], v[16:17], v[10:11]
.LBB30_5427:
	s_or_b32 exec_lo, exec_lo, s6
.LBB30_5428:
	s_mov_b32 s6, -1
.LBB30_5429:
	s_mov_b32 s7, 0
.LBB30_5430:
	s_delay_alu instid0(SALU_CYCLE_1)
	s_and_b32 vcc_lo, exec_lo, s7
	s_cbranch_vccz .LBB30_5461
; %bb.5431:
	s_cmp_gt_i32 s59, 22
	s_cbranch_scc0 .LBB30_5439
; %bb.5432:
	s_cmp_lt_i32 s59, 24
	s_cbranch_scc1 .LBB30_5442
; %bb.5433:
	s_cmp_gt_i32 s59, 24
	s_cbranch_scc0 .LBB30_5443
; %bb.5434:
	global_load_u8 v13, v[14:15], off
	s_mov_b32 s6, 0
	s_mov_b32 s5, exec_lo
	s_wait_loadcnt 0x0
	v_cmpx_lt_i16_e32 0x7f, v13
	s_xor_b32 s5, exec_lo, s5
	s_cbranch_execz .LBB30_5455
; %bb.5435:
	v_cmp_ne_u16_e32 vcc_lo, 0x80, v13
	s_and_b32 s6, vcc_lo, exec_lo
	s_and_not1_saveexec_b32 s5, s5
	s_cbranch_execnz .LBB30_5456
.LBB30_5436:
	s_or_b32 exec_lo, exec_lo, s5
	v_mov_b64_e32 v[10:11], 0
	s_and_saveexec_b32 s5, s6
	s_cbranch_execz .LBB30_5438
.LBB30_5437:
	v_and_b32_e32 v10, 0xffff, v13
	s_delay_alu instid0(VALU_DEP_1) | instskip(SKIP_1) | instid1(VALU_DEP_2)
	v_and_b32_e32 v11, 3, v10
	v_bfe_u32 v18, v10, 2, 5
	v_clz_i32_u32_e32 v16, v11
	s_delay_alu instid0(VALU_DEP_2) | instskip(NEXT) | instid1(VALU_DEP_2)
	v_cmp_eq_u32_e32 vcc_lo, 0, v18
	v_min_u32_e32 v16, 32, v16
	s_delay_alu instid0(VALU_DEP_1) | instskip(NEXT) | instid1(VALU_DEP_1)
	v_subrev_nc_u32_e32 v17, 29, v16
	v_dual_lshlrev_b32 v10, v17, v10 :: v_dual_sub_nc_u32 v16, 30, v16
	s_delay_alu instid0(VALU_DEP_1) | instskip(NEXT) | instid1(VALU_DEP_1)
	v_dual_lshlrev_b32 v13, 24, v13 :: v_dual_bitop2_b32 v10, 3, v10 bitop3:0x40
	v_dual_cndmask_b32 v16, v18, v16, vcc_lo :: v_dual_cndmask_b32 v10, v11, v10, vcc_lo
	s_delay_alu instid0(VALU_DEP_2) | instskip(NEXT) | instid1(VALU_DEP_2)
	v_and_b32_e32 v11, 0x80000000, v13
	v_lshl_add_u32 v13, v16, 23, 0x37800000
	s_delay_alu instid0(VALU_DEP_3) | instskip(NEXT) | instid1(VALU_DEP_1)
	v_lshlrev_b32_e32 v10, 21, v10
	v_or3_b32 v10, v11, v13, v10
	s_delay_alu instid0(VALU_DEP_1) | instskip(NEXT) | instid1(VALU_DEP_1)
	v_trunc_f32_e32 v10, v10
	v_mul_f32_e64 v11, 0x2f800000, |v10|
	s_delay_alu instid0(VALU_DEP_1) | instskip(NEXT) | instid1(VALU_DEP_1)
	v_floor_f32_e32 v11, v11
	v_fma_f32 v13, 0xcf800000, v11, |v10|
	v_ashrrev_i32_e32 v10, 31, v10
	v_cvt_u32_f32_e32 v16, v11
	s_delay_alu instid0(VALU_DEP_3) | instskip(NEXT) | instid1(VALU_DEP_2)
	v_cvt_u32_f32_e32 v13, v13
	v_dual_mov_b32 v11, v10 :: v_dual_bitop2_b32 v17, v16, v10 bitop3:0x14
	s_delay_alu instid0(VALU_DEP_2) | instskip(NEXT) | instid1(VALU_DEP_1)
	v_xor_b32_e32 v16, v13, v10
	v_sub_nc_u64_e32 v[10:11], v[16:17], v[10:11]
.LBB30_5438:
	s_or_b32 exec_lo, exec_lo, s5
	s_mov_b32 s5, 0
	s_branch .LBB30_5444
.LBB30_5439:
	s_mov_b32 s5, -1
                                        ; implicit-def: $vgpr10_vgpr11
	s_branch .LBB30_5450
.LBB30_5440:
	s_and_not1_saveexec_b32 s6, s6
	s_cbranch_execz .LBB30_5425
.LBB30_5441:
	v_cmp_ne_u16_e32 vcc_lo, 0, v13
	s_and_not1_b32 s7, s7, exec_lo
	s_and_b32 s8, vcc_lo, exec_lo
	s_delay_alu instid0(SALU_CYCLE_1)
	s_or_b32 s7, s7, s8
	s_or_b32 exec_lo, exec_lo, s6
	v_mov_b64_e32 v[10:11], 0
	s_and_saveexec_b32 s6, s7
	s_cbranch_execnz .LBB30_5426
	s_branch .LBB30_5427
.LBB30_5442:
	s_mov_b32 s5, -1
                                        ; implicit-def: $vgpr10_vgpr11
	s_branch .LBB30_5447
.LBB30_5443:
	s_mov_b32 s5, -1
                                        ; implicit-def: $vgpr10_vgpr11
.LBB30_5444:
	s_delay_alu instid0(SALU_CYCLE_1)
	s_and_b32 vcc_lo, exec_lo, s5
	s_cbranch_vccz .LBB30_5446
; %bb.5445:
	s_wait_loadcnt 0x0
	global_load_u8 v10, v[14:15], off
	s_wait_loadcnt 0x0
	v_lshlrev_b32_e32 v10, 24, v10
	s_delay_alu instid0(VALU_DEP_1) | instskip(NEXT) | instid1(VALU_DEP_1)
	v_and_b32_e32 v11, 0x7f000000, v10
	v_clz_i32_u32_e32 v13, v11
	v_add_nc_u32_e32 v17, 0x1000000, v11
	v_cmp_ne_u32_e32 vcc_lo, 0, v11
	s_delay_alu instid0(VALU_DEP_3) | instskip(NEXT) | instid1(VALU_DEP_1)
	v_min_u32_e32 v13, 32, v13
	v_sub_nc_u32_e64 v13, v13, 4 clamp
	s_delay_alu instid0(VALU_DEP_1) | instskip(NEXT) | instid1(VALU_DEP_1)
	v_dual_lshlrev_b32 v16, v13, v11 :: v_dual_lshlrev_b32 v13, 23, v13
	v_lshrrev_b32_e32 v16, 4, v16
	s_delay_alu instid0(VALU_DEP_1) | instskip(SKIP_1) | instid1(VALU_DEP_2)
	v_sub_nc_u32_e32 v13, v16, v13
	v_ashrrev_i32_e32 v16, 8, v17
	v_add_nc_u32_e32 v13, 0x3c000000, v13
	s_delay_alu instid0(VALU_DEP_1) | instskip(NEXT) | instid1(VALU_DEP_1)
	v_and_or_b32 v13, 0x7f800000, v16, v13
	v_cndmask_b32_e32 v11, 0, v13, vcc_lo
	s_delay_alu instid0(VALU_DEP_1) | instskip(NEXT) | instid1(VALU_DEP_1)
	v_and_or_b32 v10, 0x80000000, v10, v11
	v_trunc_f32_e32 v10, v10
	s_delay_alu instid0(VALU_DEP_1) | instskip(NEXT) | instid1(VALU_DEP_1)
	v_mul_f32_e64 v11, 0x2f800000, |v10|
	v_floor_f32_e32 v11, v11
	s_delay_alu instid0(VALU_DEP_1) | instskip(SKIP_2) | instid1(VALU_DEP_3)
	v_fma_f32 v13, 0xcf800000, v11, |v10|
	v_ashrrev_i32_e32 v10, 31, v10
	v_cvt_u32_f32_e32 v16, v11
	v_cvt_u32_f32_e32 v13, v13
	s_delay_alu instid0(VALU_DEP_2) | instskip(NEXT) | instid1(VALU_DEP_2)
	v_dual_mov_b32 v11, v10 :: v_dual_bitop2_b32 v17, v16, v10 bitop3:0x14
	v_xor_b32_e32 v16, v13, v10
	s_delay_alu instid0(VALU_DEP_1)
	v_sub_nc_u64_e32 v[10:11], v[16:17], v[10:11]
.LBB30_5446:
	s_mov_b32 s5, 0
.LBB30_5447:
	s_delay_alu instid0(SALU_CYCLE_1)
	s_and_not1_b32 vcc_lo, exec_lo, s5
	s_cbranch_vccnz .LBB30_5449
; %bb.5448:
	s_wait_loadcnt 0x0
	global_load_u8 v10, v[14:15], off
	s_wait_loadcnt 0x0
	v_lshlrev_b32_e32 v11, 25, v10
	v_lshlrev_b16 v10, 8, v10
	s_delay_alu instid0(VALU_DEP_1) | instskip(SKIP_1) | instid1(VALU_DEP_2)
	v_and_or_b32 v16, 0x7f00, v10, 0.5
	v_bfe_i32 v10, v10, 0, 16
	v_dual_add_f32 v16, -0.5, v16 :: v_dual_lshrrev_b32 v13, 4, v11
	v_cmp_gt_u32_e32 vcc_lo, 0x8000000, v11
	s_delay_alu instid0(VALU_DEP_2) | instskip(NEXT) | instid1(VALU_DEP_1)
	v_or_b32_e32 v13, 0x70000000, v13
	v_mul_f32_e32 v13, 0x7800000, v13
	s_delay_alu instid0(VALU_DEP_1) | instskip(NEXT) | instid1(VALU_DEP_1)
	v_cndmask_b32_e32 v11, v13, v16, vcc_lo
	v_and_or_b32 v10, 0x80000000, v10, v11
	s_delay_alu instid0(VALU_DEP_1) | instskip(NEXT) | instid1(VALU_DEP_1)
	v_trunc_f32_e32 v10, v10
	v_mul_f32_e64 v11, 0x2f800000, |v10|
	s_delay_alu instid0(VALU_DEP_1) | instskip(NEXT) | instid1(VALU_DEP_1)
	v_floor_f32_e32 v11, v11
	v_fma_f32 v13, 0xcf800000, v11, |v10|
	v_ashrrev_i32_e32 v10, 31, v10
	v_cvt_u32_f32_e32 v16, v11
	s_delay_alu instid0(VALU_DEP_3) | instskip(NEXT) | instid1(VALU_DEP_2)
	v_cvt_u32_f32_e32 v13, v13
	v_dual_mov_b32 v11, v10 :: v_dual_bitop2_b32 v17, v16, v10 bitop3:0x14
	s_delay_alu instid0(VALU_DEP_2) | instskip(NEXT) | instid1(VALU_DEP_1)
	v_xor_b32_e32 v16, v13, v10
	v_sub_nc_u64_e32 v[10:11], v[16:17], v[10:11]
.LBB30_5449:
	s_mov_b32 s5, 0
	s_mov_b32 s6, -1
.LBB30_5450:
	s_and_not1_b32 vcc_lo, exec_lo, s5
	s_mov_b32 s5, 0
	s_cbranch_vccnz .LBB30_5461
; %bb.5451:
	s_cmp_gt_i32 s59, 14
	s_cbranch_scc0 .LBB30_5454
; %bb.5452:
	s_cmp_eq_u32 s59, 15
	s_cbranch_scc0 .LBB30_5457
; %bb.5453:
	s_wait_loadcnt 0x0
	global_load_u16 v10, v[14:15], off
	s_mov_b32 s0, 0
	s_mov_b32 s6, -1
	s_wait_loadcnt 0x0
	v_lshlrev_b32_e32 v10, 16, v10
	s_delay_alu instid0(VALU_DEP_1) | instskip(NEXT) | instid1(VALU_DEP_1)
	v_trunc_f32_e32 v10, v10
	v_mul_f32_e64 v11, 0x2f800000, |v10|
	s_delay_alu instid0(VALU_DEP_1) | instskip(NEXT) | instid1(VALU_DEP_1)
	v_floor_f32_e32 v11, v11
	v_fma_f32 v13, 0xcf800000, v11, |v10|
	v_ashrrev_i32_e32 v10, 31, v10
	v_cvt_u32_f32_e32 v16, v11
	s_delay_alu instid0(VALU_DEP_3) | instskip(NEXT) | instid1(VALU_DEP_2)
	v_cvt_u32_f32_e32 v13, v13
	v_dual_mov_b32 v11, v10 :: v_dual_bitop2_b32 v17, v16, v10 bitop3:0x14
	s_delay_alu instid0(VALU_DEP_2) | instskip(NEXT) | instid1(VALU_DEP_1)
	v_xor_b32_e32 v16, v13, v10
	v_sub_nc_u64_e32 v[10:11], v[16:17], v[10:11]
	s_branch .LBB30_5459
.LBB30_5454:
	s_mov_b32 s5, -1
	s_branch .LBB30_5458
.LBB30_5455:
	s_and_not1_saveexec_b32 s5, s5
	s_cbranch_execz .LBB30_5436
.LBB30_5456:
	v_cmp_ne_u16_e32 vcc_lo, 0, v13
	s_and_not1_b32 s6, s6, exec_lo
	s_and_b32 s7, vcc_lo, exec_lo
	s_delay_alu instid0(SALU_CYCLE_1)
	s_or_b32 s6, s6, s7
	s_or_b32 exec_lo, exec_lo, s5
	v_mov_b64_e32 v[10:11], 0
	s_and_saveexec_b32 s5, s6
	s_cbranch_execnz .LBB30_5437
	s_branch .LBB30_5438
.LBB30_5457:
	s_mov_b32 s0, -1
.LBB30_5458:
                                        ; implicit-def: $vgpr10_vgpr11
.LBB30_5459:
	s_and_b32 vcc_lo, exec_lo, s5
	s_mov_b32 s5, 0
	s_cbranch_vccz .LBB30_5461
; %bb.5460:
	s_cmp_lg_u32 s59, 11
	s_mov_b32 s5, -1
	s_cselect_b32 s0, -1, 0
.LBB30_5461:
	s_delay_alu instid0(SALU_CYCLE_1)
	s_and_b32 vcc_lo, exec_lo, s0
	s_cbranch_vccnz .LBB30_5526
; %bb.5462:
	s_and_not1_b32 vcc_lo, exec_lo, s5
	s_cbranch_vccnz .LBB30_5464
.LBB30_5463:
	s_wait_loadcnt 0x0
	global_load_u8 v10, v[14:15], off
	s_mov_b32 s0, 0
	s_mov_b32 s6, -1
	v_mov_b32_e32 v11, s0
	s_wait_loadcnt 0x0
	v_cmp_ne_u16_e32 vcc_lo, 0, v10
	v_cndmask_b32_e64 v10, 0, 1, vcc_lo
.LBB30_5464:
	s_mov_b32 s0, 0
.LBB30_5465:
	s_delay_alu instid0(SALU_CYCLE_1)
	s_and_b32 vcc_lo, exec_lo, s0
	s_cbranch_vccz .LBB30_5514
; %bb.5466:
	s_cmp_lt_i32 s59, 5
	s_cbranch_scc1 .LBB30_5471
; %bb.5467:
	s_cmp_lt_i32 s59, 8
	s_cbranch_scc1 .LBB30_5472
	;; [unrolled: 3-line block ×3, first 2 shown]
; %bb.5469:
	s_cmp_gt_i32 s59, 9
	s_cbranch_scc0 .LBB30_5474
; %bb.5470:
	s_wait_loadcnt 0x0
	global_load_b64 v[10:11], v[14:15], off
	s_mov_b32 s0, 0
	s_wait_loadcnt 0x0
	v_trunc_f64_e32 v[10:11], v[10:11]
	s_delay_alu instid0(VALU_DEP_1) | instskip(NEXT) | instid1(VALU_DEP_1)
	v_ldexp_f64 v[16:17], v[10:11], 0xffffffe0
	v_floor_f64_e32 v[16:17], v[16:17]
	s_delay_alu instid0(VALU_DEP_1) | instskip(SKIP_1) | instid1(VALU_DEP_2)
	v_fmamk_f64 v[18:19], v[16:17], 0xc1f00000, v[10:11]
	v_cvt_i32_f64_e32 v11, v[16:17]
	v_cvt_u32_f64_e32 v10, v[18:19]
	s_branch .LBB30_5475
.LBB30_5471:
	s_mov_b32 s0, -1
                                        ; implicit-def: $vgpr10_vgpr11
	s_branch .LBB30_5493
.LBB30_5472:
	s_mov_b32 s0, -1
                                        ; implicit-def: $vgpr10_vgpr11
	s_branch .LBB30_5481
.LBB30_5473:
	s_mov_b32 s0, -1
                                        ; implicit-def: $vgpr10_vgpr11
	s_branch .LBB30_5478
.LBB30_5474:
	s_mov_b32 s0, -1
                                        ; implicit-def: $vgpr10_vgpr11
.LBB30_5475:
	s_delay_alu instid0(SALU_CYCLE_1)
	s_and_not1_b32 vcc_lo, exec_lo, s0
	s_cbranch_vccnz .LBB30_5477
; %bb.5476:
	s_wait_loadcnt 0x0
	global_load_b32 v10, v[14:15], off
	s_wait_loadcnt 0x0
	v_trunc_f32_e32 v10, v10
	s_delay_alu instid0(VALU_DEP_1) | instskip(NEXT) | instid1(VALU_DEP_1)
	v_mul_f32_e64 v11, 0x2f800000, |v10|
	v_floor_f32_e32 v11, v11
	s_delay_alu instid0(VALU_DEP_1) | instskip(SKIP_2) | instid1(VALU_DEP_3)
	v_fma_f32 v13, 0xcf800000, v11, |v10|
	v_ashrrev_i32_e32 v10, 31, v10
	v_cvt_u32_f32_e32 v16, v11
	v_cvt_u32_f32_e32 v13, v13
	s_delay_alu instid0(VALU_DEP_2) | instskip(NEXT) | instid1(VALU_DEP_2)
	v_dual_mov_b32 v11, v10 :: v_dual_bitop2_b32 v17, v16, v10 bitop3:0x14
	v_xor_b32_e32 v16, v13, v10
	s_delay_alu instid0(VALU_DEP_1)
	v_sub_nc_u64_e32 v[10:11], v[16:17], v[10:11]
.LBB30_5477:
	s_mov_b32 s0, 0
.LBB30_5478:
	s_delay_alu instid0(SALU_CYCLE_1)
	s_and_not1_b32 vcc_lo, exec_lo, s0
	s_cbranch_vccnz .LBB30_5480
; %bb.5479:
	s_wait_loadcnt 0x0
	global_load_b32 v10, v[14:15], off
	s_wait_loadcnt 0x0
	v_cvt_f32_f16_e32 v10, v10
	s_delay_alu instid0(VALU_DEP_1) | instskip(NEXT) | instid1(VALU_DEP_1)
	v_cvt_i32_f32_e32 v10, v10
	v_ashrrev_i32_e32 v11, 31, v10
.LBB30_5480:
	s_mov_b32 s0, 0
.LBB30_5481:
	s_delay_alu instid0(SALU_CYCLE_1)
	s_and_not1_b32 vcc_lo, exec_lo, s0
	s_cbranch_vccnz .LBB30_5492
; %bb.5482:
	s_cmp_lt_i32 s59, 6
	s_cbranch_scc1 .LBB30_5485
; %bb.5483:
	s_cmp_gt_i32 s59, 6
	s_cbranch_scc0 .LBB30_5486
; %bb.5484:
	s_wait_loadcnt 0x0
	global_load_b64 v[10:11], v[14:15], off
	s_mov_b32 s0, 0
	s_wait_loadcnt 0x0
	v_trunc_f64_e32 v[10:11], v[10:11]
	s_delay_alu instid0(VALU_DEP_1) | instskip(NEXT) | instid1(VALU_DEP_1)
	v_ldexp_f64 v[16:17], v[10:11], 0xffffffe0
	v_floor_f64_e32 v[16:17], v[16:17]
	s_delay_alu instid0(VALU_DEP_1) | instskip(SKIP_1) | instid1(VALU_DEP_2)
	v_fmamk_f64 v[18:19], v[16:17], 0xc1f00000, v[10:11]
	v_cvt_i32_f64_e32 v11, v[16:17]
	v_cvt_u32_f64_e32 v10, v[18:19]
	s_branch .LBB30_5487
.LBB30_5485:
	s_mov_b32 s0, -1
                                        ; implicit-def: $vgpr10_vgpr11
	s_branch .LBB30_5490
.LBB30_5486:
	s_mov_b32 s0, -1
                                        ; implicit-def: $vgpr10_vgpr11
.LBB30_5487:
	s_delay_alu instid0(SALU_CYCLE_1)
	s_and_not1_b32 vcc_lo, exec_lo, s0
	s_cbranch_vccnz .LBB30_5489
; %bb.5488:
	s_wait_loadcnt 0x0
	global_load_b32 v10, v[14:15], off
	s_wait_loadcnt 0x0
	v_trunc_f32_e32 v10, v10
	s_delay_alu instid0(VALU_DEP_1) | instskip(NEXT) | instid1(VALU_DEP_1)
	v_mul_f32_e64 v11, 0x2f800000, |v10|
	v_floor_f32_e32 v11, v11
	s_delay_alu instid0(VALU_DEP_1) | instskip(SKIP_2) | instid1(VALU_DEP_3)
	v_fma_f32 v13, 0xcf800000, v11, |v10|
	v_ashrrev_i32_e32 v10, 31, v10
	v_cvt_u32_f32_e32 v16, v11
	v_cvt_u32_f32_e32 v13, v13
	s_delay_alu instid0(VALU_DEP_2) | instskip(NEXT) | instid1(VALU_DEP_2)
	v_dual_mov_b32 v11, v10 :: v_dual_bitop2_b32 v17, v16, v10 bitop3:0x14
	v_xor_b32_e32 v16, v13, v10
	s_delay_alu instid0(VALU_DEP_1)
	v_sub_nc_u64_e32 v[10:11], v[16:17], v[10:11]
.LBB30_5489:
	s_mov_b32 s0, 0
.LBB30_5490:
	s_delay_alu instid0(SALU_CYCLE_1)
	s_and_not1_b32 vcc_lo, exec_lo, s0
	s_cbranch_vccnz .LBB30_5492
; %bb.5491:
	s_wait_loadcnt 0x0
	global_load_u16 v10, v[14:15], off
	s_wait_loadcnt 0x0
	v_cvt_f32_f16_e32 v10, v10
	s_delay_alu instid0(VALU_DEP_1) | instskip(NEXT) | instid1(VALU_DEP_1)
	v_cvt_i32_f32_e32 v10, v10
	v_ashrrev_i32_e32 v11, 31, v10
.LBB30_5492:
	s_mov_b32 s0, 0
.LBB30_5493:
	s_delay_alu instid0(SALU_CYCLE_1)
	s_and_not1_b32 vcc_lo, exec_lo, s0
	s_cbranch_vccnz .LBB30_5513
; %bb.5494:
	s_cmp_lt_i32 s59, 2
	s_cbranch_scc1 .LBB30_5498
; %bb.5495:
	s_cmp_lt_i32 s59, 3
	s_cbranch_scc1 .LBB30_5499
; %bb.5496:
	s_cmp_gt_i32 s59, 3
	s_cbranch_scc0 .LBB30_5500
; %bb.5497:
	s_wait_loadcnt 0x0
	global_load_b64 v[10:11], v[14:15], off
	s_mov_b32 s0, 0
	s_branch .LBB30_5501
.LBB30_5498:
	s_mov_b32 s0, -1
                                        ; implicit-def: $vgpr10_vgpr11
	s_branch .LBB30_5507
.LBB30_5499:
	s_mov_b32 s0, -1
                                        ; implicit-def: $vgpr10_vgpr11
	s_branch .LBB30_5504
.LBB30_5500:
	s_mov_b32 s0, -1
                                        ; implicit-def: $vgpr10_vgpr11
.LBB30_5501:
	s_delay_alu instid0(SALU_CYCLE_1)
	s_and_not1_b32 vcc_lo, exec_lo, s0
	s_cbranch_vccnz .LBB30_5503
; %bb.5502:
	s_wait_loadcnt 0x0
	global_load_b32 v10, v[14:15], off
	s_wait_loadcnt 0x0
	v_ashrrev_i32_e32 v11, 31, v10
.LBB30_5503:
	s_mov_b32 s0, 0
.LBB30_5504:
	s_delay_alu instid0(SALU_CYCLE_1)
	s_and_not1_b32 vcc_lo, exec_lo, s0
	s_cbranch_vccnz .LBB30_5506
; %bb.5505:
	s_wait_loadcnt 0x0
	global_load_u16 v10, v[14:15], off
	s_wait_loadcnt 0x0
	v_bfe_i32 v10, v10, 0, 16
	s_delay_alu instid0(VALU_DEP_1)
	v_ashrrev_i32_e32 v11, 31, v10
.LBB30_5506:
	s_mov_b32 s0, 0
.LBB30_5507:
	s_delay_alu instid0(SALU_CYCLE_1)
	s_and_not1_b32 vcc_lo, exec_lo, s0
	s_cbranch_vccnz .LBB30_5513
; %bb.5508:
	s_cmp_gt_i32 s59, 0
	s_mov_b32 s0, 0
	s_cbranch_scc0 .LBB30_5510
; %bb.5509:
	s_wait_loadcnt 0x0
	global_load_i8 v10, v[14:15], off
	s_wait_loadcnt 0x0
	v_bfe_i32 v10, v10, 0, 16
	s_delay_alu instid0(VALU_DEP_1)
	v_ashrrev_i32_e32 v11, 31, v10
	s_branch .LBB30_5511
.LBB30_5510:
	s_mov_b32 s0, -1
                                        ; implicit-def: $vgpr10_vgpr11
.LBB30_5511:
	s_delay_alu instid0(SALU_CYCLE_1)
	s_and_not1_b32 vcc_lo, exec_lo, s0
	s_cbranch_vccnz .LBB30_5513
; %bb.5512:
	s_wait_loadcnt 0x0
	global_load_u8 v10, v[14:15], off
	s_mov_b32 s0, 0
	s_delay_alu instid0(SALU_CYCLE_1)
	v_mov_b32_e32 v11, s0
	s_wait_loadcnt 0x0
	v_and_b32_e32 v10, 0xffff, v10
.LBB30_5513:
	s_mov_b32 s6, -1
.LBB30_5514:
	s_delay_alu instid0(SALU_CYCLE_1)
	s_and_not1_b32 vcc_lo, exec_lo, s6
	s_cbranch_vccnz .LBB30_5650
; %bb.5515:
	v_add_nc_u32_e32 v12, s64, v12
	s_cmp_lt_i32 s60, 11
	s_delay_alu instid0(VALU_DEP_1) | instskip(NEXT) | instid1(VALU_DEP_1)
	v_ashrrev_i32_e32 v13, 31, v12
	v_add_nc_u64_e32 v[12:13], s[14:15], v[12:13]
	s_cbranch_scc1 .LBB30_5522
; %bb.5516:
	s_cmp_gt_i32 s60, 25
	s_mov_b32 s5, 0
	s_cbranch_scc0 .LBB30_5523
; %bb.5517:
	s_cmp_gt_i32 s60, 28
	s_cbranch_scc0 .LBB30_5524
; %bb.5518:
	s_cmp_gt_i32 s60, 43
	;; [unrolled: 3-line block ×3, first 2 shown]
	s_cbranch_scc0 .LBB30_5527
; %bb.5520:
	s_cmp_eq_u32 s60, 46
	s_mov_b32 s7, 0
	s_cbranch_scc0 .LBB30_5528
; %bb.5521:
	global_load_b32 v14, v[12:13], off
	s_mov_b32 s0, 0
	s_mov_b32 s6, -1
	s_wait_loadcnt 0x0
	v_lshlrev_b32_e32 v14, 16, v14
	s_delay_alu instid0(VALU_DEP_1) | instskip(NEXT) | instid1(VALU_DEP_1)
	v_trunc_f32_e32 v14, v14
	v_mul_f32_e64 v15, 0x2f800000, |v14|
	s_delay_alu instid0(VALU_DEP_1) | instskip(NEXT) | instid1(VALU_DEP_1)
	v_floor_f32_e32 v15, v15
	v_fma_f32 v16, 0xcf800000, v15, |v14|
	v_ashrrev_i32_e32 v14, 31, v14
	v_cvt_u32_f32_e32 v17, v15
	s_delay_alu instid0(VALU_DEP_3) | instskip(NEXT) | instid1(VALU_DEP_2)
	v_cvt_u32_f32_e32 v16, v16
	v_dual_mov_b32 v15, v14 :: v_dual_bitop2_b32 v17, v17, v14 bitop3:0x14
	s_delay_alu instid0(VALU_DEP_2) | instskip(NEXT) | instid1(VALU_DEP_1)
	v_xor_b32_e32 v16, v16, v14
	v_sub_nc_u64_e32 v[14:15], v[16:17], v[14:15]
	s_branch .LBB30_5530
.LBB30_5522:
	s_mov_b32 s0, -1
	s_mov_b32 s6, 0
                                        ; implicit-def: $vgpr14_vgpr15
	s_branch .LBB30_5592
.LBB30_5523:
	s_mov_b32 s7, -1
	s_mov_b32 s6, 0
	s_mov_b32 s0, 0
                                        ; implicit-def: $vgpr14_vgpr15
	s_branch .LBB30_5557
.LBB30_5524:
	s_mov_b32 s7, -1
	s_mov_b32 s6, 0
	s_mov_b32 s0, 0
                                        ; implicit-def: $vgpr14_vgpr15
	s_branch .LBB30_5540
.LBB30_5525:
	s_mov_b32 s7, -1
	s_mov_b32 s6, 0
	s_mov_b32 s0, 0
                                        ; implicit-def: $vgpr14_vgpr15
	s_branch .LBB30_5535
.LBB30_5526:
	s_or_b32 s21, s21, exec_lo
	s_trap 2
	s_cbranch_execz .LBB30_5463
	s_branch .LBB30_5464
.LBB30_5527:
	s_mov_b32 s7, -1
	s_mov_b32 s6, 0
	s_mov_b32 s0, 0
	s_branch .LBB30_5529
.LBB30_5528:
	s_mov_b32 s0, -1
	s_mov_b32 s6, 0
.LBB30_5529:
                                        ; implicit-def: $vgpr14_vgpr15
.LBB30_5530:
	s_and_b32 vcc_lo, exec_lo, s7
	s_cbranch_vccz .LBB30_5534
; %bb.5531:
	s_cmp_eq_u32 s60, 44
	s_cbranch_scc0 .LBB30_5533
; %bb.5532:
	global_load_u8 v18, v[12:13], off
	s_mov_b32 s0, 0
	s_mov_b32 s6, -1
	s_wait_loadcnt 0x0
	v_cmp_ne_u32_e32 vcc_lo, 0, v18
	s_wait_xcnt 0x1
	v_lshlrev_b32_e32 v14, 23, v18
	s_delay_alu instid0(VALU_DEP_1) | instskip(NEXT) | instid1(VALU_DEP_1)
	v_trunc_f32_e32 v14, v14
	v_mul_f32_e64 v15, 0x2f800000, |v14|
	s_delay_alu instid0(VALU_DEP_1) | instskip(NEXT) | instid1(VALU_DEP_1)
	v_floor_f32_e32 v15, v15
	v_fma_f32 v16, 0xcf800000, v15, |v14|
	v_ashrrev_i32_e32 v14, 31, v14
	v_cvt_u32_f32_e32 v17, v15
	s_delay_alu instid0(VALU_DEP_3) | instskip(NEXT) | instid1(VALU_DEP_2)
	v_cvt_u32_f32_e32 v16, v16
	v_dual_mov_b32 v15, v14 :: v_dual_bitop2_b32 v17, v17, v14 bitop3:0x14
	s_delay_alu instid0(VALU_DEP_2) | instskip(NEXT) | instid1(VALU_DEP_1)
	v_xor_b32_e32 v16, v16, v14
	v_sub_nc_u64_e32 v[14:15], v[16:17], v[14:15]
	s_delay_alu instid0(VALU_DEP_1)
	v_dual_cndmask_b32 v15, 0, v15 :: v_dual_cndmask_b32 v14, 0, v14
	s_branch .LBB30_5534
.LBB30_5533:
	s_mov_b32 s0, -1
                                        ; implicit-def: $vgpr14_vgpr15
.LBB30_5534:
	s_mov_b32 s7, 0
.LBB30_5535:
	s_delay_alu instid0(SALU_CYCLE_1)
	s_and_b32 vcc_lo, exec_lo, s7
	s_cbranch_vccz .LBB30_5539
; %bb.5536:
	s_cmp_eq_u32 s60, 29
	s_cbranch_scc0 .LBB30_5538
; %bb.5537:
	global_load_b64 v[14:15], v[12:13], off
	s_mov_b32 s0, 0
	s_mov_b32 s6, -1
	s_branch .LBB30_5539
.LBB30_5538:
	s_mov_b32 s0, -1
                                        ; implicit-def: $vgpr14_vgpr15
.LBB30_5539:
	s_mov_b32 s7, 0
.LBB30_5540:
	s_delay_alu instid0(SALU_CYCLE_1)
	s_and_b32 vcc_lo, exec_lo, s7
	s_cbranch_vccz .LBB30_5556
; %bb.5541:
	s_cmp_lt_i32 s60, 27
	s_cbranch_scc1 .LBB30_5544
; %bb.5542:
	s_cmp_gt_i32 s60, 27
	s_cbranch_scc0 .LBB30_5545
; %bb.5543:
	s_wait_loadcnt 0x0
	global_load_b32 v14, v[12:13], off
	v_mov_b32_e32 v15, 0
	s_mov_b32 s6, 0
	s_branch .LBB30_5546
.LBB30_5544:
	s_mov_b32 s6, -1
                                        ; implicit-def: $vgpr14_vgpr15
	s_branch .LBB30_5549
.LBB30_5545:
	s_mov_b32 s6, -1
                                        ; implicit-def: $vgpr14_vgpr15
.LBB30_5546:
	s_delay_alu instid0(SALU_CYCLE_1)
	s_and_not1_b32 vcc_lo, exec_lo, s6
	s_cbranch_vccnz .LBB30_5548
; %bb.5547:
	s_wait_loadcnt 0x0
	global_load_u16 v14, v[12:13], off
	s_mov_b32 s6, 0
	s_delay_alu instid0(SALU_CYCLE_1)
	v_mov_b32_e32 v15, s6
	s_wait_loadcnt 0x0
	v_and_b32_e32 v14, 0xffff, v14
.LBB30_5548:
	s_mov_b32 s6, 0
.LBB30_5549:
	s_delay_alu instid0(SALU_CYCLE_1)
	s_and_not1_b32 vcc_lo, exec_lo, s6
	s_cbranch_vccnz .LBB30_5555
; %bb.5550:
	global_load_u8 v16, v[12:13], off
	s_mov_b32 s7, 0
	s_mov_b32 s6, exec_lo
	s_wait_loadcnt 0x0
	v_cmpx_lt_i16_e32 0x7f, v16
	s_xor_b32 s6, exec_lo, s6
	s_cbranch_execz .LBB30_5567
; %bb.5551:
	v_cmp_ne_u16_e32 vcc_lo, 0x80, v16
	s_and_b32 s7, vcc_lo, exec_lo
	s_and_not1_saveexec_b32 s6, s6
	s_cbranch_execnz .LBB30_5568
.LBB30_5552:
	s_or_b32 exec_lo, exec_lo, s6
	v_mov_b64_e32 v[14:15], 0
	s_and_saveexec_b32 s6, s7
	s_cbranch_execz .LBB30_5554
.LBB30_5553:
	v_and_b32_e32 v14, 0xffff, v16
	s_delay_alu instid0(VALU_DEP_1) | instskip(SKIP_1) | instid1(VALU_DEP_2)
	v_and_b32_e32 v15, 7, v14
	v_bfe_u32 v19, v14, 3, 4
	v_clz_i32_u32_e32 v17, v15
	s_delay_alu instid0(VALU_DEP_2) | instskip(NEXT) | instid1(VALU_DEP_2)
	v_cmp_eq_u32_e32 vcc_lo, 0, v19
	v_min_u32_e32 v17, 32, v17
	s_delay_alu instid0(VALU_DEP_1) | instskip(NEXT) | instid1(VALU_DEP_1)
	v_subrev_nc_u32_e32 v18, 28, v17
	v_dual_lshlrev_b32 v14, v18, v14 :: v_dual_sub_nc_u32 v17, 29, v17
	s_delay_alu instid0(VALU_DEP_1) | instskip(NEXT) | instid1(VALU_DEP_2)
	v_dual_lshlrev_b32 v16, 24, v16 :: v_dual_bitop2_b32 v14, 7, v14 bitop3:0x40
	v_cndmask_b32_e32 v17, v19, v17, vcc_lo
	s_delay_alu instid0(VALU_DEP_2) | instskip(NEXT) | instid1(VALU_DEP_3)
	v_cndmask_b32_e32 v14, v15, v14, vcc_lo
	v_and_b32_e32 v15, 0x80000000, v16
	s_delay_alu instid0(VALU_DEP_3) | instskip(NEXT) | instid1(VALU_DEP_3)
	v_lshl_add_u32 v16, v17, 23, 0x3b800000
	v_lshlrev_b32_e32 v14, 20, v14
	s_delay_alu instid0(VALU_DEP_1) | instskip(NEXT) | instid1(VALU_DEP_1)
	v_or3_b32 v14, v15, v16, v14
	v_trunc_f32_e32 v14, v14
	s_delay_alu instid0(VALU_DEP_1) | instskip(NEXT) | instid1(VALU_DEP_1)
	v_mul_f32_e64 v15, 0x2f800000, |v14|
	v_floor_f32_e32 v15, v15
	s_delay_alu instid0(VALU_DEP_1) | instskip(SKIP_2) | instid1(VALU_DEP_3)
	v_fma_f32 v16, 0xcf800000, v15, |v14|
	v_ashrrev_i32_e32 v14, 31, v14
	v_cvt_u32_f32_e32 v17, v15
	v_cvt_u32_f32_e32 v16, v16
	s_delay_alu instid0(VALU_DEP_2) | instskip(NEXT) | instid1(VALU_DEP_2)
	v_dual_mov_b32 v15, v14 :: v_dual_bitop2_b32 v17, v17, v14 bitop3:0x14
	v_xor_b32_e32 v16, v16, v14
	s_delay_alu instid0(VALU_DEP_1)
	v_sub_nc_u64_e32 v[14:15], v[16:17], v[14:15]
.LBB30_5554:
	s_or_b32 exec_lo, exec_lo, s6
.LBB30_5555:
	s_mov_b32 s6, -1
.LBB30_5556:
	s_mov_b32 s7, 0
.LBB30_5557:
	s_delay_alu instid0(SALU_CYCLE_1)
	s_and_b32 vcc_lo, exec_lo, s7
	s_cbranch_vccz .LBB30_5588
; %bb.5558:
	s_cmp_gt_i32 s60, 22
	s_cbranch_scc0 .LBB30_5566
; %bb.5559:
	s_cmp_lt_i32 s60, 24
	s_cbranch_scc1 .LBB30_5569
; %bb.5560:
	s_cmp_gt_i32 s60, 24
	s_cbranch_scc0 .LBB30_5570
; %bb.5561:
	global_load_u8 v16, v[12:13], off
	s_mov_b32 s6, 0
	s_mov_b32 s5, exec_lo
	s_wait_loadcnt 0x0
	v_cmpx_lt_i16_e32 0x7f, v16
	s_xor_b32 s5, exec_lo, s5
	s_cbranch_execz .LBB30_5582
; %bb.5562:
	v_cmp_ne_u16_e32 vcc_lo, 0x80, v16
	s_and_b32 s6, vcc_lo, exec_lo
	s_and_not1_saveexec_b32 s5, s5
	s_cbranch_execnz .LBB30_5583
.LBB30_5563:
	s_or_b32 exec_lo, exec_lo, s5
	v_mov_b64_e32 v[14:15], 0
	s_and_saveexec_b32 s5, s6
	s_cbranch_execz .LBB30_5565
.LBB30_5564:
	v_and_b32_e32 v14, 0xffff, v16
	s_delay_alu instid0(VALU_DEP_1) | instskip(SKIP_1) | instid1(VALU_DEP_2)
	v_and_b32_e32 v15, 3, v14
	v_bfe_u32 v19, v14, 2, 5
	v_clz_i32_u32_e32 v17, v15
	s_delay_alu instid0(VALU_DEP_2) | instskip(NEXT) | instid1(VALU_DEP_2)
	v_cmp_eq_u32_e32 vcc_lo, 0, v19
	v_min_u32_e32 v17, 32, v17
	s_delay_alu instid0(VALU_DEP_1) | instskip(NEXT) | instid1(VALU_DEP_1)
	v_subrev_nc_u32_e32 v18, 29, v17
	v_dual_lshlrev_b32 v14, v18, v14 :: v_dual_sub_nc_u32 v17, 30, v17
	s_delay_alu instid0(VALU_DEP_1) | instskip(NEXT) | instid1(VALU_DEP_2)
	v_dual_lshlrev_b32 v16, 24, v16 :: v_dual_bitop2_b32 v14, 3, v14 bitop3:0x40
	v_cndmask_b32_e32 v17, v19, v17, vcc_lo
	s_delay_alu instid0(VALU_DEP_2) | instskip(NEXT) | instid1(VALU_DEP_3)
	v_cndmask_b32_e32 v14, v15, v14, vcc_lo
	v_and_b32_e32 v15, 0x80000000, v16
	s_delay_alu instid0(VALU_DEP_3) | instskip(NEXT) | instid1(VALU_DEP_3)
	v_lshl_add_u32 v16, v17, 23, 0x37800000
	v_lshlrev_b32_e32 v14, 21, v14
	s_delay_alu instid0(VALU_DEP_1) | instskip(NEXT) | instid1(VALU_DEP_1)
	v_or3_b32 v14, v15, v16, v14
	v_trunc_f32_e32 v14, v14
	s_delay_alu instid0(VALU_DEP_1) | instskip(NEXT) | instid1(VALU_DEP_1)
	v_mul_f32_e64 v15, 0x2f800000, |v14|
	v_floor_f32_e32 v15, v15
	s_delay_alu instid0(VALU_DEP_1) | instskip(SKIP_2) | instid1(VALU_DEP_3)
	v_fma_f32 v16, 0xcf800000, v15, |v14|
	v_ashrrev_i32_e32 v14, 31, v14
	v_cvt_u32_f32_e32 v17, v15
	v_cvt_u32_f32_e32 v16, v16
	s_delay_alu instid0(VALU_DEP_2) | instskip(NEXT) | instid1(VALU_DEP_2)
	v_dual_mov_b32 v15, v14 :: v_dual_bitop2_b32 v17, v17, v14 bitop3:0x14
	v_xor_b32_e32 v16, v16, v14
	s_delay_alu instid0(VALU_DEP_1)
	v_sub_nc_u64_e32 v[14:15], v[16:17], v[14:15]
.LBB30_5565:
	s_or_b32 exec_lo, exec_lo, s5
	s_mov_b32 s5, 0
	s_branch .LBB30_5571
.LBB30_5566:
	s_mov_b32 s5, -1
                                        ; implicit-def: $vgpr14_vgpr15
	s_branch .LBB30_5577
.LBB30_5567:
	s_and_not1_saveexec_b32 s6, s6
	s_cbranch_execz .LBB30_5552
.LBB30_5568:
	v_cmp_ne_u16_e32 vcc_lo, 0, v16
	s_and_not1_b32 s7, s7, exec_lo
	s_and_b32 s8, vcc_lo, exec_lo
	s_delay_alu instid0(SALU_CYCLE_1)
	s_or_b32 s7, s7, s8
	s_or_b32 exec_lo, exec_lo, s6
	v_mov_b64_e32 v[14:15], 0
	s_and_saveexec_b32 s6, s7
	s_cbranch_execnz .LBB30_5553
	s_branch .LBB30_5554
.LBB30_5569:
	s_mov_b32 s5, -1
                                        ; implicit-def: $vgpr14_vgpr15
	s_branch .LBB30_5574
.LBB30_5570:
	s_mov_b32 s5, -1
                                        ; implicit-def: $vgpr14_vgpr15
.LBB30_5571:
	s_delay_alu instid0(SALU_CYCLE_1)
	s_and_b32 vcc_lo, exec_lo, s5
	s_cbranch_vccz .LBB30_5573
; %bb.5572:
	s_wait_loadcnt 0x0
	global_load_u8 v14, v[12:13], off
	s_wait_loadcnt 0x0
	v_lshlrev_b32_e32 v14, 24, v14
	s_delay_alu instid0(VALU_DEP_1) | instskip(NEXT) | instid1(VALU_DEP_1)
	v_and_b32_e32 v15, 0x7f000000, v14
	v_clz_i32_u32_e32 v16, v15
	v_cmp_ne_u32_e32 vcc_lo, 0, v15
	v_add_nc_u32_e32 v18, 0x1000000, v15
	s_delay_alu instid0(VALU_DEP_3) | instskip(NEXT) | instid1(VALU_DEP_1)
	v_min_u32_e32 v16, 32, v16
	v_sub_nc_u32_e64 v16, v16, 4 clamp
	s_delay_alu instid0(VALU_DEP_1) | instskip(NEXT) | instid1(VALU_DEP_1)
	v_dual_lshlrev_b32 v17, v16, v15 :: v_dual_lshlrev_b32 v16, 23, v16
	v_lshrrev_b32_e32 v17, 4, v17
	s_delay_alu instid0(VALU_DEP_1) | instskip(NEXT) | instid1(VALU_DEP_1)
	v_dual_sub_nc_u32 v16, v17, v16 :: v_dual_ashrrev_i32 v17, 8, v18
	v_add_nc_u32_e32 v16, 0x3c000000, v16
	s_delay_alu instid0(VALU_DEP_1) | instskip(NEXT) | instid1(VALU_DEP_1)
	v_and_or_b32 v16, 0x7f800000, v17, v16
	v_cndmask_b32_e32 v15, 0, v16, vcc_lo
	s_delay_alu instid0(VALU_DEP_1) | instskip(NEXT) | instid1(VALU_DEP_1)
	v_and_or_b32 v14, 0x80000000, v14, v15
	v_trunc_f32_e32 v14, v14
	s_delay_alu instid0(VALU_DEP_1) | instskip(NEXT) | instid1(VALU_DEP_1)
	v_mul_f32_e64 v15, 0x2f800000, |v14|
	v_floor_f32_e32 v15, v15
	s_delay_alu instid0(VALU_DEP_1) | instskip(SKIP_2) | instid1(VALU_DEP_3)
	v_fma_f32 v16, 0xcf800000, v15, |v14|
	v_ashrrev_i32_e32 v14, 31, v14
	v_cvt_u32_f32_e32 v17, v15
	v_cvt_u32_f32_e32 v16, v16
	s_delay_alu instid0(VALU_DEP_2) | instskip(NEXT) | instid1(VALU_DEP_2)
	v_dual_mov_b32 v15, v14 :: v_dual_bitop2_b32 v17, v17, v14 bitop3:0x14
	v_xor_b32_e32 v16, v16, v14
	s_delay_alu instid0(VALU_DEP_1)
	v_sub_nc_u64_e32 v[14:15], v[16:17], v[14:15]
.LBB30_5573:
	s_mov_b32 s5, 0
.LBB30_5574:
	s_delay_alu instid0(SALU_CYCLE_1)
	s_and_not1_b32 vcc_lo, exec_lo, s5
	s_cbranch_vccnz .LBB30_5576
; %bb.5575:
	s_wait_loadcnt 0x0
	global_load_u8 v14, v[12:13], off
	s_wait_loadcnt 0x0
	v_lshlrev_b32_e32 v15, 25, v14
	v_lshlrev_b16 v14, 8, v14
	s_delay_alu instid0(VALU_DEP_1) | instskip(SKIP_1) | instid1(VALU_DEP_2)
	v_and_or_b32 v17, 0x7f00, v14, 0.5
	v_bfe_i32 v14, v14, 0, 16
	v_dual_add_f32 v17, -0.5, v17 :: v_dual_lshrrev_b32 v16, 4, v15
	v_cmp_gt_u32_e32 vcc_lo, 0x8000000, v15
	s_delay_alu instid0(VALU_DEP_2) | instskip(NEXT) | instid1(VALU_DEP_1)
	v_or_b32_e32 v16, 0x70000000, v16
	v_mul_f32_e32 v16, 0x7800000, v16
	s_delay_alu instid0(VALU_DEP_1) | instskip(NEXT) | instid1(VALU_DEP_1)
	v_cndmask_b32_e32 v15, v16, v17, vcc_lo
	v_and_or_b32 v14, 0x80000000, v14, v15
	s_delay_alu instid0(VALU_DEP_1) | instskip(NEXT) | instid1(VALU_DEP_1)
	v_trunc_f32_e32 v14, v14
	v_mul_f32_e64 v15, 0x2f800000, |v14|
	s_delay_alu instid0(VALU_DEP_1) | instskip(NEXT) | instid1(VALU_DEP_1)
	v_floor_f32_e32 v15, v15
	v_fma_f32 v16, 0xcf800000, v15, |v14|
	v_ashrrev_i32_e32 v14, 31, v14
	v_cvt_u32_f32_e32 v17, v15
	s_delay_alu instid0(VALU_DEP_3) | instskip(NEXT) | instid1(VALU_DEP_2)
	v_cvt_u32_f32_e32 v16, v16
	v_dual_mov_b32 v15, v14 :: v_dual_bitop2_b32 v17, v17, v14 bitop3:0x14
	s_delay_alu instid0(VALU_DEP_2) | instskip(NEXT) | instid1(VALU_DEP_1)
	v_xor_b32_e32 v16, v16, v14
	v_sub_nc_u64_e32 v[14:15], v[16:17], v[14:15]
.LBB30_5576:
	s_mov_b32 s5, 0
	s_mov_b32 s6, -1
.LBB30_5577:
	s_and_not1_b32 vcc_lo, exec_lo, s5
	s_mov_b32 s5, 0
	s_cbranch_vccnz .LBB30_5588
; %bb.5578:
	s_cmp_gt_i32 s60, 14
	s_cbranch_scc0 .LBB30_5581
; %bb.5579:
	s_cmp_eq_u32 s60, 15
	s_cbranch_scc0 .LBB30_5584
; %bb.5580:
	s_wait_loadcnt 0x0
	global_load_u16 v14, v[12:13], off
	s_mov_b32 s0, 0
	s_mov_b32 s6, -1
	s_wait_loadcnt 0x0
	v_lshlrev_b32_e32 v14, 16, v14
	s_delay_alu instid0(VALU_DEP_1) | instskip(NEXT) | instid1(VALU_DEP_1)
	v_trunc_f32_e32 v14, v14
	v_mul_f32_e64 v15, 0x2f800000, |v14|
	s_delay_alu instid0(VALU_DEP_1) | instskip(NEXT) | instid1(VALU_DEP_1)
	v_floor_f32_e32 v15, v15
	v_fma_f32 v16, 0xcf800000, v15, |v14|
	v_ashrrev_i32_e32 v14, 31, v14
	v_cvt_u32_f32_e32 v17, v15
	s_delay_alu instid0(VALU_DEP_3) | instskip(NEXT) | instid1(VALU_DEP_2)
	v_cvt_u32_f32_e32 v16, v16
	v_dual_mov_b32 v15, v14 :: v_dual_bitop2_b32 v17, v17, v14 bitop3:0x14
	s_delay_alu instid0(VALU_DEP_2) | instskip(NEXT) | instid1(VALU_DEP_1)
	v_xor_b32_e32 v16, v16, v14
	v_sub_nc_u64_e32 v[14:15], v[16:17], v[14:15]
	s_branch .LBB30_5586
.LBB30_5581:
	s_mov_b32 s5, -1
	s_branch .LBB30_5585
.LBB30_5582:
	s_and_not1_saveexec_b32 s5, s5
	s_cbranch_execz .LBB30_5563
.LBB30_5583:
	v_cmp_ne_u16_e32 vcc_lo, 0, v16
	s_and_not1_b32 s6, s6, exec_lo
	s_and_b32 s7, vcc_lo, exec_lo
	s_delay_alu instid0(SALU_CYCLE_1)
	s_or_b32 s6, s6, s7
	s_or_b32 exec_lo, exec_lo, s5
	v_mov_b64_e32 v[14:15], 0
	s_and_saveexec_b32 s5, s6
	s_cbranch_execnz .LBB30_5564
	s_branch .LBB30_5565
.LBB30_5584:
	s_mov_b32 s0, -1
.LBB30_5585:
                                        ; implicit-def: $vgpr14_vgpr15
.LBB30_5586:
	s_and_b32 vcc_lo, exec_lo, s5
	s_mov_b32 s5, 0
	s_cbranch_vccz .LBB30_5588
; %bb.5587:
	s_cmp_lg_u32 s60, 11
	s_mov_b32 s5, -1
	s_cselect_b32 s0, -1, 0
.LBB30_5588:
	s_delay_alu instid0(SALU_CYCLE_1)
	s_and_b32 vcc_lo, exec_lo, s0
	s_cbranch_vccnz .LBB30_5717
; %bb.5589:
	s_and_not1_b32 vcc_lo, exec_lo, s5
	s_cbranch_vccnz .LBB30_5591
.LBB30_5590:
	s_wait_loadcnt 0x0
	global_load_u8 v14, v[12:13], off
	s_mov_b32 s0, 0
	s_mov_b32 s6, -1
	v_mov_b32_e32 v15, s0
	s_wait_loadcnt 0x0
	v_cmp_ne_u16_e32 vcc_lo, 0, v14
	v_cndmask_b32_e64 v14, 0, 1, vcc_lo
.LBB30_5591:
	s_mov_b32 s0, 0
.LBB30_5592:
	s_delay_alu instid0(SALU_CYCLE_1)
	s_and_b32 vcc_lo, exec_lo, s0
	s_cbranch_vccz .LBB30_5641
; %bb.5593:
	s_cmp_lt_i32 s60, 5
	s_cbranch_scc1 .LBB30_5598
; %bb.5594:
	s_cmp_lt_i32 s60, 8
	s_cbranch_scc1 .LBB30_5599
	;; [unrolled: 3-line block ×3, first 2 shown]
; %bb.5596:
	s_cmp_gt_i32 s60, 9
	s_cbranch_scc0 .LBB30_5601
; %bb.5597:
	s_wait_loadcnt 0x0
	global_load_b64 v[14:15], v[12:13], off
	s_mov_b32 s0, 0
	s_wait_loadcnt 0x0
	v_trunc_f64_e32 v[14:15], v[14:15]
	s_delay_alu instid0(VALU_DEP_1) | instskip(NEXT) | instid1(VALU_DEP_1)
	v_ldexp_f64 v[16:17], v[14:15], 0xffffffe0
	v_floor_f64_e32 v[16:17], v[16:17]
	s_delay_alu instid0(VALU_DEP_1) | instskip(SKIP_1) | instid1(VALU_DEP_2)
	v_fmamk_f64 v[18:19], v[16:17], 0xc1f00000, v[14:15]
	v_cvt_i32_f64_e32 v15, v[16:17]
	v_cvt_u32_f64_e32 v14, v[18:19]
	s_branch .LBB30_5602
.LBB30_5598:
	s_mov_b32 s0, -1
                                        ; implicit-def: $vgpr14_vgpr15
	s_branch .LBB30_5620
.LBB30_5599:
	s_mov_b32 s0, -1
                                        ; implicit-def: $vgpr14_vgpr15
	s_branch .LBB30_5608
.LBB30_5600:
	s_mov_b32 s0, -1
                                        ; implicit-def: $vgpr14_vgpr15
	s_branch .LBB30_5605
.LBB30_5601:
	s_mov_b32 s0, -1
                                        ; implicit-def: $vgpr14_vgpr15
.LBB30_5602:
	s_delay_alu instid0(SALU_CYCLE_1)
	s_and_not1_b32 vcc_lo, exec_lo, s0
	s_cbranch_vccnz .LBB30_5604
; %bb.5603:
	s_wait_loadcnt 0x0
	global_load_b32 v14, v[12:13], off
	s_wait_loadcnt 0x0
	v_trunc_f32_e32 v14, v14
	s_delay_alu instid0(VALU_DEP_1) | instskip(NEXT) | instid1(VALU_DEP_1)
	v_mul_f32_e64 v15, 0x2f800000, |v14|
	v_floor_f32_e32 v15, v15
	s_delay_alu instid0(VALU_DEP_1) | instskip(SKIP_2) | instid1(VALU_DEP_3)
	v_fma_f32 v16, 0xcf800000, v15, |v14|
	v_ashrrev_i32_e32 v14, 31, v14
	v_cvt_u32_f32_e32 v17, v15
	v_cvt_u32_f32_e32 v16, v16
	s_delay_alu instid0(VALU_DEP_2) | instskip(NEXT) | instid1(VALU_DEP_2)
	v_dual_mov_b32 v15, v14 :: v_dual_bitop2_b32 v17, v17, v14 bitop3:0x14
	v_xor_b32_e32 v16, v16, v14
	s_delay_alu instid0(VALU_DEP_1)
	v_sub_nc_u64_e32 v[14:15], v[16:17], v[14:15]
.LBB30_5604:
	s_mov_b32 s0, 0
.LBB30_5605:
	s_delay_alu instid0(SALU_CYCLE_1)
	s_and_not1_b32 vcc_lo, exec_lo, s0
	s_cbranch_vccnz .LBB30_5607
; %bb.5606:
	s_wait_loadcnt 0x0
	global_load_b32 v14, v[12:13], off
	s_wait_loadcnt 0x0
	v_cvt_f32_f16_e32 v14, v14
	s_delay_alu instid0(VALU_DEP_1) | instskip(NEXT) | instid1(VALU_DEP_1)
	v_cvt_i32_f32_e32 v14, v14
	v_ashrrev_i32_e32 v15, 31, v14
.LBB30_5607:
	s_mov_b32 s0, 0
.LBB30_5608:
	s_delay_alu instid0(SALU_CYCLE_1)
	s_and_not1_b32 vcc_lo, exec_lo, s0
	s_cbranch_vccnz .LBB30_5619
; %bb.5609:
	s_cmp_lt_i32 s60, 6
	s_cbranch_scc1 .LBB30_5612
; %bb.5610:
	s_cmp_gt_i32 s60, 6
	s_cbranch_scc0 .LBB30_5613
; %bb.5611:
	s_wait_loadcnt 0x0
	global_load_b64 v[14:15], v[12:13], off
	s_mov_b32 s0, 0
	s_wait_loadcnt 0x0
	v_trunc_f64_e32 v[14:15], v[14:15]
	s_delay_alu instid0(VALU_DEP_1) | instskip(NEXT) | instid1(VALU_DEP_1)
	v_ldexp_f64 v[16:17], v[14:15], 0xffffffe0
	v_floor_f64_e32 v[16:17], v[16:17]
	s_delay_alu instid0(VALU_DEP_1) | instskip(SKIP_1) | instid1(VALU_DEP_2)
	v_fmamk_f64 v[18:19], v[16:17], 0xc1f00000, v[14:15]
	v_cvt_i32_f64_e32 v15, v[16:17]
	v_cvt_u32_f64_e32 v14, v[18:19]
	s_branch .LBB30_5614
.LBB30_5612:
	s_mov_b32 s0, -1
                                        ; implicit-def: $vgpr14_vgpr15
	s_branch .LBB30_5617
.LBB30_5613:
	s_mov_b32 s0, -1
                                        ; implicit-def: $vgpr14_vgpr15
.LBB30_5614:
	s_delay_alu instid0(SALU_CYCLE_1)
	s_and_not1_b32 vcc_lo, exec_lo, s0
	s_cbranch_vccnz .LBB30_5616
; %bb.5615:
	s_wait_loadcnt 0x0
	global_load_b32 v14, v[12:13], off
	s_wait_loadcnt 0x0
	v_trunc_f32_e32 v14, v14
	s_delay_alu instid0(VALU_DEP_1) | instskip(NEXT) | instid1(VALU_DEP_1)
	v_mul_f32_e64 v15, 0x2f800000, |v14|
	v_floor_f32_e32 v15, v15
	s_delay_alu instid0(VALU_DEP_1) | instskip(SKIP_2) | instid1(VALU_DEP_3)
	v_fma_f32 v16, 0xcf800000, v15, |v14|
	v_ashrrev_i32_e32 v14, 31, v14
	v_cvt_u32_f32_e32 v17, v15
	v_cvt_u32_f32_e32 v16, v16
	s_delay_alu instid0(VALU_DEP_2) | instskip(NEXT) | instid1(VALU_DEP_2)
	v_dual_mov_b32 v15, v14 :: v_dual_bitop2_b32 v17, v17, v14 bitop3:0x14
	v_xor_b32_e32 v16, v16, v14
	s_delay_alu instid0(VALU_DEP_1)
	v_sub_nc_u64_e32 v[14:15], v[16:17], v[14:15]
.LBB30_5616:
	s_mov_b32 s0, 0
.LBB30_5617:
	s_delay_alu instid0(SALU_CYCLE_1)
	s_and_not1_b32 vcc_lo, exec_lo, s0
	s_cbranch_vccnz .LBB30_5619
; %bb.5618:
	s_wait_loadcnt 0x0
	global_load_u16 v14, v[12:13], off
	s_wait_loadcnt 0x0
	v_cvt_f32_f16_e32 v14, v14
	s_delay_alu instid0(VALU_DEP_1) | instskip(NEXT) | instid1(VALU_DEP_1)
	v_cvt_i32_f32_e32 v14, v14
	v_ashrrev_i32_e32 v15, 31, v14
.LBB30_5619:
	s_mov_b32 s0, 0
.LBB30_5620:
	s_delay_alu instid0(SALU_CYCLE_1)
	s_and_not1_b32 vcc_lo, exec_lo, s0
	s_cbranch_vccnz .LBB30_5640
; %bb.5621:
	s_cmp_lt_i32 s60, 2
	s_cbranch_scc1 .LBB30_5625
; %bb.5622:
	s_cmp_lt_i32 s60, 3
	s_cbranch_scc1 .LBB30_5626
; %bb.5623:
	s_cmp_gt_i32 s60, 3
	s_cbranch_scc0 .LBB30_5627
; %bb.5624:
	s_wait_loadcnt 0x0
	global_load_b64 v[14:15], v[12:13], off
	s_mov_b32 s0, 0
	s_branch .LBB30_5628
.LBB30_5625:
	s_mov_b32 s0, -1
                                        ; implicit-def: $vgpr14_vgpr15
	s_branch .LBB30_5634
.LBB30_5626:
	s_mov_b32 s0, -1
                                        ; implicit-def: $vgpr14_vgpr15
	s_branch .LBB30_5631
.LBB30_5627:
	s_mov_b32 s0, -1
                                        ; implicit-def: $vgpr14_vgpr15
.LBB30_5628:
	s_delay_alu instid0(SALU_CYCLE_1)
	s_and_not1_b32 vcc_lo, exec_lo, s0
	s_cbranch_vccnz .LBB30_5630
; %bb.5629:
	s_wait_loadcnt 0x0
	global_load_b32 v14, v[12:13], off
	s_wait_loadcnt 0x0
	v_ashrrev_i32_e32 v15, 31, v14
.LBB30_5630:
	s_mov_b32 s0, 0
.LBB30_5631:
	s_delay_alu instid0(SALU_CYCLE_1)
	s_and_not1_b32 vcc_lo, exec_lo, s0
	s_cbranch_vccnz .LBB30_5633
; %bb.5632:
	s_wait_loadcnt 0x0
	global_load_u16 v14, v[12:13], off
	s_wait_loadcnt 0x0
	v_bfe_i32 v14, v14, 0, 16
	s_delay_alu instid0(VALU_DEP_1)
	v_ashrrev_i32_e32 v15, 31, v14
.LBB30_5633:
	s_mov_b32 s0, 0
.LBB30_5634:
	s_delay_alu instid0(SALU_CYCLE_1)
	s_and_not1_b32 vcc_lo, exec_lo, s0
	s_cbranch_vccnz .LBB30_5640
; %bb.5635:
	s_cmp_gt_i32 s60, 0
	s_mov_b32 s0, 0
	s_cbranch_scc0 .LBB30_5637
; %bb.5636:
	s_wait_loadcnt 0x0
	global_load_i8 v14, v[12:13], off
	s_wait_loadcnt 0x0
	v_bfe_i32 v14, v14, 0, 16
	s_delay_alu instid0(VALU_DEP_1)
	v_ashrrev_i32_e32 v15, 31, v14
	s_branch .LBB30_5638
.LBB30_5637:
	s_mov_b32 s0, -1
                                        ; implicit-def: $vgpr14_vgpr15
.LBB30_5638:
	s_delay_alu instid0(SALU_CYCLE_1)
	s_and_not1_b32 vcc_lo, exec_lo, s0
	s_cbranch_vccnz .LBB30_5640
; %bb.5639:
	global_load_u8 v12, v[12:13], off
	s_mov_b32 s0, 0
	s_wait_loadcnt 0x1
	v_mov_b32_e32 v15, s0
	s_wait_loadcnt 0x0
	v_and_b32_e32 v14, 0xffff, v12
.LBB30_5640:
	s_mov_b32 s6, -1
.LBB30_5641:
	s_delay_alu instid0(SALU_CYCLE_1)
	s_and_not1_b32 vcc_lo, exec_lo, s6
	s_cbranch_vccnz .LBB30_5650
; %bb.5642:
	s_mov_b32 s0, exec_lo
	s_wait_loadcnt 0x0
	v_cmpx_ne_u64_e64 v[4:5], v[0:1]
	s_xor_b32 s0, exec_lo, s0
	s_cbranch_execnz .LBB30_5993
.LBB30_5643:
	s_or_saveexec_b32 s22, s0
	s_mov_b32 s5, 0
	s_mov_b32 s6, 0
                                        ; implicit-def: $vgpr20_vgpr21
                                        ; implicit-def: $sgpr0
	s_xor_b32 exec_lo, exec_lo, s22
	s_cbranch_execz .LBB30_5988
; %bb.5644:
	s_mov_b32 s23, s21
	s_mov_b32 s0, exec_lo
	v_cmpx_ne_u64_e64 v[6:7], v[2:3]
	s_xor_b32 s0, exec_lo, s0
	s_cbranch_execnz .LBB30_5995
; %bb.5645:
	s_or_saveexec_b32 s24, s0
                                        ; implicit-def: $vgpr20_vgpr21
                                        ; implicit-def: $sgpr0
	s_delay_alu instid0(SALU_CYCLE_1)
	s_xor_b32 exec_lo, exec_lo, s24
	s_cbranch_execz .LBB30_5987
.LBB30_5646:
	v_sub_nc_u64_e32 v[4:5], v[10:11], v[8:9]
	s_delay_alu instid0(VALU_DEP_1) | instskip(SKIP_3) | instid1(SALU_CYCLE_1)
	v_cmp_gt_i64_e32 vcc_lo, v[0:1], v[4:5]
	v_cmp_lt_i64_e64 s0, s[16:17], v[4:5]
	s_mov_b32 s16, s23
	s_or_b32 s0, vcc_lo, s0
	s_and_saveexec_b32 s5, s0
	s_delay_alu instid0(SALU_CYCLE_1)
	s_xor_b32 s0, exec_lo, s5
	s_cbranch_execnz .LBB30_5997
.LBB30_5647:
	s_or_saveexec_b32 s17, s0
	s_mov_b32 s5, 0
	s_mov_b32 s7, 0
                                        ; implicit-def: $vgpr20_vgpr21
                                        ; implicit-def: $sgpr0
	s_xor_b32 exec_lo, exec_lo, s17
	s_cbranch_execz .LBB30_5986
; %bb.5648:
	v_mov_b64_e32 v[0:1], 0
	s_and_saveexec_b32 s25, s47
	s_cbranch_execz .LBB30_5661
; %bb.5649:
	v_mul_u64_e32 v[4:5], v[14:15], v[2:3]
	v_mov_b64_e32 v[0:1], 0
	s_lshl_b64 s[8:9], s[4:5], 3
	v_mov_b32_e32 v2, 0
	s_add_nc_u64 s[8:9], s[28:29], s[8:9]
	s_mov_b64 s[6:7], 0xffffffff
	s_add_nc_u64 s[8:9], s[8:9], 0x68
	s_branch .LBB30_5657
.LBB30_5650:
	s_mov_b32 s5, 0
	s_mov_b32 s6, 0
                                        ; implicit-def: $vgpr20_vgpr21
                                        ; implicit-def: $sgpr0
.LBB30_5651:
	s_and_not1_b32 s1, s1, exec_lo
	s_and_b32 s2, s21, exec_lo
	s_and_b32 s22, s6, exec_lo
	;; [unrolled: 1-line block ×3, first 2 shown]
	s_or_b32 s1, s1, s2
.LBB30_5652:
	s_wait_xcnt 0x0
	s_or_b32 exec_lo, exec_lo, s20
	s_delay_alu instid0(SALU_CYCLE_1)
	s_and_not1_b32 s2, s67, exec_lo
	s_and_b32 s3, s1, exec_lo
	s_and_b32 s20, s22, exec_lo
	;; [unrolled: 1-line block ×3, first 2 shown]
	s_or_b32 s67, s2, s3
.LBB30_5653:
	s_or_b32 exec_lo, exec_lo, s68
	s_delay_alu instid0(SALU_CYCLE_1)
	s_and_not1_b32 s2, s65, exec_lo
	s_and_b32 s3, s67, exec_lo
	s_and_b32 s5, s20, exec_lo
	;; [unrolled: 1-line block ×3, first 2 shown]
	s_or_b32 s65, s2, s3
.LBB30_5654:
	s_or_b32 exec_lo, exec_lo, s66
	s_delay_alu instid0(SALU_CYCLE_1)
	s_and_not1_b32 s2, s55, exec_lo
	s_and_b32 s3, s65, exec_lo
	s_and_b32 s5, s5, exec_lo
	;; [unrolled: 1-line block ×3, first 2 shown]
	s_or_b32 s55, s2, s3
.LBB30_5655:
	s_or_b32 exec_lo, exec_lo, s61
	s_branch .LBB30_4985
.LBB30_5656:                            ;   in Loop: Header=BB30_5657 Depth=1
	s_or_b32 exec_lo, exec_lo, s0
	s_delay_alu instid0(VALU_DEP_1)
	v_mul_u64_e32 v[12:13], s[10:11], v[6:7]
	s_load_b64 s[10:11], s[8:9], 0x40
	s_add_co_i32 s45, s45, -1
	s_wait_xcnt 0x0
	s_add_nc_u64 s[8:9], s[8:9], -8
	s_cmp_eq_u32 s45, 0
	s_delay_alu instid0(VALU_DEP_1) | instskip(SKIP_1) | instid1(VALU_DEP_1)
	v_sub_nc_u64_e32 v[4:5], v[4:5], v[12:13]
	s_wait_kmcnt 0x0
	v_mad_nc_u64_u32 v[0:1], v4, s10, v[0:1]
	s_delay_alu instid0(VALU_DEP_1) | instskip(NEXT) | instid1(VALU_DEP_1)
	v_mad_u32 v1, v5, s10, v1
	v_mad_u32 v1, v4, s11, v1
	v_mov_b64_e32 v[4:5], v[6:7]
	s_cbranch_scc1 .LBB30_5661
.LBB30_5657:                            ; =>This Inner Loop Header: Depth=1
	s_load_b64 s[10:11], s[8:9], 0x0
                                        ; implicit-def: $vgpr6_vgpr7
	s_mov_b32 s0, exec_lo
	s_wait_kmcnt 0x0
	s_delay_alu instid0(VALU_DEP_1) | instskip(NEXT) | instid1(VALU_DEP_1)
	v_or_b32_e32 v3, s11, v5
	v_cmpx_ne_u64_e32 0, v[2:3]
	s_xor_b32 s26, exec_lo, s0
	s_cbranch_execz .LBB30_5659
; %bb.5658:                             ;   in Loop: Header=BB30_5657 Depth=1
	s_ashr_i32 s12, s11, 31
	v_dual_mov_b32 v15, v2 :: v_dual_ashrrev_i32 v6, 31, v5
	s_mov_b32 s13, s12
	v_mov_b32_e32 v23, v2
	s_add_nc_u64 s[14:15], s[10:11], s[12:13]
	s_delay_alu instid0(VALU_DEP_2) | instskip(SKIP_1) | instid1(SALU_CYCLE_1)
	v_mov_b32_e32 v7, v6
	s_xor_b64 s[14:15], s[14:15], s[12:13]
	s_cvt_f32_u32 s0, s14
	s_cvt_f32_u32 s4, s15
	s_sub_nc_u64 s[56:57], 0, s[14:15]
	v_add_nc_u64_e32 v[12:13], v[4:5], v[6:7]
	v_mov_b32_e32 v19, v2
	s_fmamk_f32 s0, s4, 0x4f800000, s0
	s_delay_alu instid0(SALU_CYCLE_3) | instskip(NEXT) | instid1(VALU_DEP_2)
	v_s_rcp_f32 s0, s0
	v_xor_b32_e32 v14, v12, v6
	s_delay_alu instid0(VALU_DEP_3) | instskip(NEXT) | instid1(TRANS32_DEP_1)
	v_xor_b32_e32 v18, v13, v6
	s_mul_f32 s0, s0, 0x5f7ffffc
	s_delay_alu instid0(SALU_CYCLE_3) | instskip(NEXT) | instid1(SALU_CYCLE_3)
	s_mul_f32 s4, s0, 0x2f800000
	s_trunc_f32 s4, s4
	s_delay_alu instid0(SALU_CYCLE_3) | instskip(SKIP_1) | instid1(SALU_CYCLE_2)
	s_fmamk_f32 s0, s4, 0xcf800000, s0
	s_cvt_u32_f32 s31, s4
	s_cvt_u32_f32 s30, s0
	s_delay_alu instid0(SALU_CYCLE_3) | instskip(NEXT) | instid1(SALU_CYCLE_1)
	s_mul_u64 s[58:59], s[56:57], s[30:31]
	s_mul_hi_u32 s63, s30, s59
	s_mul_i32 s62, s30, s59
	s_mul_hi_u32 s4, s30, s58
	s_mul_i32 s13, s31, s58
	s_add_nc_u64 s[62:63], s[4:5], s[62:63]
	s_mul_hi_u32 s0, s31, s58
	s_mul_hi_u32 s27, s31, s59
	s_add_co_u32 s4, s62, s13
	s_add_co_ci_u32 s4, s63, s0
	s_mul_i32 s58, s31, s59
	s_add_co_ci_u32 s59, s27, 0
	s_delay_alu instid0(SALU_CYCLE_1) | instskip(NEXT) | instid1(SALU_CYCLE_1)
	s_add_nc_u64 s[58:59], s[4:5], s[58:59]
	s_add_co_u32 s30, s30, s58
	s_cselect_b32 s0, -1, 0
	s_delay_alu instid0(SALU_CYCLE_1) | instskip(SKIP_1) | instid1(SALU_CYCLE_1)
	s_cmp_lg_u32 s0, 0
	s_add_co_ci_u32 s31, s31, s59
	s_mul_u64 s[56:57], s[56:57], s[30:31]
	s_delay_alu instid0(SALU_CYCLE_1)
	s_mul_hi_u32 s59, s30, s57
	s_mul_i32 s58, s30, s57
	s_mul_hi_u32 s4, s30, s56
	s_mul_i32 s13, s31, s56
	s_add_nc_u64 s[58:59], s[4:5], s[58:59]
	s_mul_hi_u32 s0, s31, s56
	s_mul_hi_u32 s27, s31, s57
	s_add_co_u32 s4, s58, s13
	s_add_co_ci_u32 s4, s59, s0
	s_mul_i32 s56, s31, s57
	s_add_co_ci_u32 s57, s27, 0
	s_delay_alu instid0(SALU_CYCLE_1) | instskip(NEXT) | instid1(SALU_CYCLE_1)
	s_add_nc_u64 s[56:57], s[4:5], s[56:57]
	s_add_co_u32 s0, s30, s56
	s_cselect_b32 s4, -1, 0
	v_mul_hi_u32 v22, v14, s0
	s_cmp_lg_u32 s4, 0
	s_add_co_ci_u32 s4, s31, s57
	s_and_b64 s[30:31], s[0:1], s[6:7]
	v_mul_u64_e32 v[16:17], s[4:5], v[14:15]
	v_mul_u64_e32 v[12:13], s[30:31], v[18:19]
	;; [unrolled: 1-line block ×3, first 2 shown]
	s_delay_alu instid0(VALU_DEP_3) | instskip(NEXT) | instid1(VALU_DEP_1)
	v_add_nc_u64_e32 v[16:17], v[22:23], v[16:17]
	v_add_co_u32 v3, vcc_lo, v16, v12
	s_delay_alu instid0(VALU_DEP_2) | instskip(NEXT) | instid1(VALU_DEP_4)
	v_add_co_ci_u32_e32 v22, vcc_lo, v17, v13, vcc_lo
	v_add_co_ci_u32_e32 v21, vcc_lo, 0, v21, vcc_lo
	s_delay_alu instid0(VALU_DEP_1) | instskip(NEXT) | instid1(VALU_DEP_1)
	v_add_nc_u64_e32 v[12:13], v[22:23], v[20:21]
	v_mul_u64_e32 v[16:17], s[14:15], v[12:13]
	s_delay_alu instid0(VALU_DEP_1) | instskip(NEXT) | instid1(VALU_DEP_2)
	v_sub_nc_u32_e32 v3, v18, v17
	v_sub_co_u32 v7, vcc_lo, v14, v16
	s_delay_alu instid0(VALU_DEP_1) | instskip(NEXT) | instid1(VALU_DEP_3)
	v_sub_co_ci_u32_e64 v18, null, v18, v17, vcc_lo
	v_subrev_co_ci_u32_e64 v3, null, s15, v3, vcc_lo
	s_delay_alu instid0(VALU_DEP_3) | instskip(SKIP_1) | instid1(VALU_DEP_3)
	v_sub_co_u32 v14, s0, v7, s14
	v_add_nc_u64_e32 v[16:17], 1, v[12:13]
	v_subrev_co_ci_u32_e64 v3, null, 0, v3, s0
	s_delay_alu instid0(VALU_DEP_3) | instskip(SKIP_1) | instid1(VALU_DEP_3)
	v_cmp_le_u32_e32 vcc_lo, s14, v14
	v_cndmask_b32_e64 v14, 0, -1, vcc_lo
	v_cmp_le_u32_e32 vcc_lo, s15, v3
	v_cndmask_b32_e64 v15, 0, -1, vcc_lo
	;; [unrolled: 2-line block ×4, first 2 shown]
	v_cmp_eq_u32_e32 vcc_lo, s15, v3
	v_cndmask_b32_e32 v3, v15, v14, vcc_lo
	v_cmp_eq_u32_e32 vcc_lo, s15, v18
	v_add_nc_u64_e32 v[14:15], 2, v[12:13]
	v_cndmask_b32_e32 v7, v19, v7, vcc_lo
	s_delay_alu instid0(VALU_DEP_4) | instskip(NEXT) | instid1(VALU_DEP_2)
	v_cmp_ne_u32_e32 vcc_lo, 0, v3
	v_cmp_ne_u32_e64 s0, 0, v7
	s_delay_alu instid0(VALU_DEP_4) | instskip(NEXT) | instid1(VALU_DEP_1)
	v_dual_cndmask_b32 v3, v17, v15, vcc_lo :: v_dual_cndmask_b32 v7, v16, v14, vcc_lo
	v_dual_cndmask_b32 v3, v13, v3, s0 :: v_dual_bitop2_b32 v6, s12, v6 bitop3:0x14
	s_delay_alu instid0(VALU_DEP_1) | instskip(NEXT) | instid1(VALU_DEP_2)
	v_dual_cndmask_b32 v12, v12, v7, s0 :: v_dual_mov_b32 v7, v6
	v_xor_b32_e32 v13, v3, v6
	s_delay_alu instid0(VALU_DEP_2) | instskip(NEXT) | instid1(VALU_DEP_1)
	v_xor_b32_e32 v12, v12, v6
	v_sub_nc_u64_e32 v[6:7], v[12:13], v[6:7]
.LBB30_5659:                            ;   in Loop: Header=BB30_5657 Depth=1
	s_and_not1_saveexec_b32 s0, s26
	s_cbranch_execz .LBB30_5656
; %bb.5660:                             ;   in Loop: Header=BB30_5657 Depth=1
	v_cvt_f32_u32_e32 v3, s10
	s_sub_co_i32 s4, 0, s10
	s_delay_alu instid0(VALU_DEP_1) | instskip(SKIP_1) | instid1(TRANS32_DEP_1)
	v_rcp_iflag_f32_e32 v3, v3
	v_nop
	v_mul_f32_e32 v3, 0x4f7ffffe, v3
	s_delay_alu instid0(VALU_DEP_1) | instskip(NEXT) | instid1(VALU_DEP_1)
	v_cvt_u32_f32_e32 v3, v3
	v_mul_lo_u32 v6, s4, v3
	s_delay_alu instid0(VALU_DEP_1) | instskip(NEXT) | instid1(VALU_DEP_1)
	v_mul_hi_u32 v6, v3, v6
	v_add_nc_u32_e32 v3, v3, v6
	s_delay_alu instid0(VALU_DEP_1) | instskip(NEXT) | instid1(VALU_DEP_1)
	v_mul_hi_u32 v3, v4, v3
	v_mul_lo_u32 v6, v3, s10
	s_delay_alu instid0(VALU_DEP_1) | instskip(NEXT) | instid1(VALU_DEP_1)
	v_dual_add_nc_u32 v7, 1, v3 :: v_dual_sub_nc_u32 v6, v4, v6
	v_subrev_nc_u32_e32 v12, s10, v6
	v_cmp_le_u32_e32 vcc_lo, s10, v6
	s_delay_alu instid0(VALU_DEP_2) | instskip(NEXT) | instid1(VALU_DEP_1)
	v_dual_cndmask_b32 v6, v6, v12 :: v_dual_cndmask_b32 v3, v3, v7
	v_cmp_le_u32_e32 vcc_lo, s10, v6
	s_delay_alu instid0(VALU_DEP_2) | instskip(NEXT) | instid1(VALU_DEP_1)
	v_add_nc_u32_e32 v7, 1, v3
	v_dual_cndmask_b32 v6, v3, v7 :: v_dual_mov_b32 v7, v2
	s_branch .LBB30_5656
.LBB30_5661:
	s_or_b32 exec_lo, exec_lo, s25
	s_mov_b32 s8, -1
	s_mov_b32 s4, s16
	s_mov_b32 s0, exec_lo
	v_cmpx_gt_i64_e64 v[10:11], v[8:9]
	s_cbranch_execz .LBB30_5668
; %bb.5662:
	s_delay_alu instid0(VALU_DEP_2) | instskip(SKIP_2) | instid1(VALU_DEP_1)
	v_lshlrev_b64_e32 v[0:1], 3, v[0:1]
	s_mov_b32 s5, 0
	s_xor_b32 s6, s46, -1
                                        ; implicit-def: $sgpr4
                                        ; implicit-def: $sgpr8
                                        ; implicit-def: $sgpr7
	v_lshl_add_u64 v[2:3], v[8:9], 3, v[0:1]
	s_wait_kmcnt 0x0
	v_add_nc_u64_e32 v[4:5], s[18:19], v[0:1]
	s_delay_alu instid0(VALU_DEP_2) | instskip(NEXT) | instid1(VALU_DEP_1)
	v_add_nc_u64_e32 v[2:3], s[18:19], v[2:3]
	v_add_nc_u64_e32 v[0:1], 8, v[2:3]
	s_delay_alu instid0(VALU_DEP_3)
	v_lshl_add_u64 v[2:3], v[10:11], 3, v[4:5]
	s_branch .LBB30_5664
.LBB30_5663:                            ;   in Loop: Header=BB30_5664 Depth=1
	s_or_b32 exec_lo, exec_lo, s9
	s_xor_b32 s9, s7, -1
	s_and_b32 s10, exec_lo, s8
	s_delay_alu instid0(SALU_CYCLE_1) | instskip(SKIP_2) | instid1(SALU_CYCLE_1)
	s_or_b32 s5, s10, s5
	s_and_not1_b32 s4, s4, exec_lo
	s_and_b32 s9, s9, exec_lo
	s_or_b32 s4, s4, s9
	s_and_not1_b32 exec_lo, exec_lo, s5
	s_cbranch_execz .LBB30_5666
.LBB30_5664:                            ; =>This Inner Loop Header: Depth=1
	s_or_b32 s7, s7, exec_lo
	s_or_b32 s8, s8, exec_lo
	s_mov_b32 s9, exec_lo
	s_delay_alu instid0(VALU_DEP_2)
	v_cmpx_lt_u64_e64 v[0:1], v[2:3]
	s_cbranch_execz .LBB30_5663
; %bb.5665:                             ;   in Loop: Header=BB30_5664 Depth=1
	global_load_b128 v[4:7], v[0:1], off offset:-8
	s_wait_xcnt 0x0
	v_add_nc_u64_e32 v[0:1], 8, v[0:1]
	s_and_not1_b32 s8, s8, exec_lo
	s_and_not1_b32 s7, s7, exec_lo
	s_wait_loadcnt 0x0
	v_cmp_ge_i64_e32 vcc_lo, v[4:5], v[6:7]
	s_or_b32 s10, s6, vcc_lo
	s_delay_alu instid0(SALU_CYCLE_1) | instskip(NEXT) | instid1(SALU_CYCLE_1)
	s_and_b32 s10, s10, exec_lo
	s_or_b32 s8, s8, s10
	s_branch .LBB30_5663
.LBB30_5666:
	s_or_b32 exec_lo, exec_lo, s5
	s_mov_b32 s5, -1
	s_mov_b32 s6, s16
	s_and_saveexec_b32 s7, s4
	s_delay_alu instid0(SALU_CYCLE_1)
	s_xor_b32 s4, exec_lo, s7
	s_cbranch_execnz .LBB30_5990
.LBB30_5667:
	s_or_b32 exec_lo, exec_lo, s4
	s_delay_alu instid0(SALU_CYCLE_1)
	s_and_not1_b32 s4, s16, exec_lo
	s_and_b32 s6, s6, exec_lo
	s_or_not1_b32 s8, s5, exec_lo
	s_or_b32 s4, s4, s6
.LBB30_5668:
	s_or_b32 exec_lo, exec_lo, s0
	s_mov_b32 s6, 0
	s_mov_b32 s7, 0
                                        ; implicit-def: $vgpr20_vgpr21
                                        ; implicit-def: $sgpr0
	s_and_saveexec_b32 s5, s8
	s_cbranch_execz .LBB30_5985
; %bb.5669:
	s_load_b32 s0, s[28:29], 0xf0
	v_mul_lo_u32 v0, s33, v26
	s_delay_alu instid0(VALU_DEP_1) | instskip(NEXT) | instid1(VALU_DEP_1)
	v_ashrrev_i32_e32 v1, 31, v0
	v_add_nc_u64_e32 v[2:3], s[2:3], v[0:1]
	s_wait_kmcnt 0x0
	s_and_b32 s0, s0, 0xff
	s_delay_alu instid0(SALU_CYCLE_1)
	s_cmp_lt_i32 s0, 11
	s_cbranch_scc1 .LBB30_5718
; %bb.5670:
	s_and_b32 s6, 0xffff, s0
	s_mov_b32 s10, -1
	s_mov_b32 s9, 0
	s_cmp_gt_i32 s6, 25
	s_mov_b32 s8, 0
	s_cbranch_scc0 .LBB30_5695
; %bb.5671:
	s_cmp_gt_i32 s6, 28
	s_cbranch_scc0 .LBB30_5684
; %bb.5672:
	s_cmp_gt_i32 s6, 43
	;; [unrolled: 3-line block ×3, first 2 shown]
	s_cbranch_scc0 .LBB30_5676
; %bb.5674:
	s_mov_b32 s7, -1
	s_mov_b32 s10, 0
	s_cmp_eq_u32 s6, 46
	s_cbranch_scc0 .LBB30_5676
; %bb.5675:
	v_mov_b32_e32 v1, 0
	s_mov_b32 s7, 0
	s_mov_b32 s8, -1
	global_store_b32 v[2:3], v1, off
.LBB30_5676:
	s_and_b32 vcc_lo, exec_lo, s10
	s_cbranch_vccz .LBB30_5679
; %bb.5677:
	s_cmp_eq_u32 s6, 44
	s_mov_b32 s7, -1
	s_cbranch_scc0 .LBB30_5679
; %bb.5678:
	s_wait_xcnt 0x0
	v_mov_b32_e32 v1, 0
	s_mov_b32 s7, 0
	s_mov_b32 s8, -1
	global_store_b8 v[2:3], v1, off
.LBB30_5679:
	s_mov_b32 s10, 0
.LBB30_5680:
	s_delay_alu instid0(SALU_CYCLE_1)
	s_and_b32 vcc_lo, exec_lo, s10
	s_cbranch_vccz .LBB30_5683
; %bb.5681:
	s_cmp_eq_u32 s6, 29
	s_mov_b32 s7, -1
	s_cbranch_scc0 .LBB30_5683
; %bb.5682:
	v_mov_b64_e32 v[4:5], 0
	s_mov_b32 s7, 0
	s_mov_b32 s8, -1
	global_store_b64 v[2:3], v[4:5], off
.LBB30_5683:
	s_mov_b32 s10, 0
.LBB30_5684:
	s_delay_alu instid0(SALU_CYCLE_1)
	s_and_b32 vcc_lo, exec_lo, s10
	s_cbranch_vccz .LBB30_5694
; %bb.5685:
	s_cmp_lt_i32 s6, 27
	s_mov_b32 s8, -1
	s_cbranch_scc1 .LBB30_5691
; %bb.5686:
	s_cmp_gt_i32 s6, 27
	s_cbranch_scc0 .LBB30_5688
; %bb.5687:
	s_wait_xcnt 0x0
	v_mov_b32_e32 v1, 0
	s_mov_b32 s8, 0
	global_store_b32 v[2:3], v1, off
.LBB30_5688:
	s_and_not1_b32 vcc_lo, exec_lo, s8
	s_cbranch_vccnz .LBB30_5690
; %bb.5689:
	s_wait_xcnt 0x0
	v_mov_b32_e32 v1, 0
	global_store_b16 v[2:3], v1, off
.LBB30_5690:
	s_mov_b32 s8, 0
.LBB30_5691:
	s_delay_alu instid0(SALU_CYCLE_1)
	s_and_not1_b32 vcc_lo, exec_lo, s8
	s_cbranch_vccnz .LBB30_5693
; %bb.5692:
	s_wait_xcnt 0x0
	v_mov_b32_e32 v1, 0
	global_store_b8 v[2:3], v1, off
.LBB30_5693:
	s_mov_b32 s8, -1
.LBB30_5694:
	s_mov_b32 s10, 0
.LBB30_5695:
	s_delay_alu instid0(SALU_CYCLE_1)
	s_and_b32 vcc_lo, exec_lo, s10
	s_cbranch_vccz .LBB30_5713
; %bb.5696:
	s_cmp_gt_i32 s6, 22
	s_mov_b32 s9, -1
	s_cbranch_scc0 .LBB30_5706
; %bb.5697:
	s_cmp_lt_i32 s6, 24
	s_mov_b32 s8, -1
	s_cbranch_scc1 .LBB30_5703
; %bb.5698:
	s_cmp_gt_i32 s6, 24
	s_cbranch_scc0 .LBB30_5700
; %bb.5699:
	s_wait_xcnt 0x0
	v_mov_b32_e32 v1, 0
	s_mov_b32 s8, 0
	global_store_b8 v[2:3], v1, off
.LBB30_5700:
	s_and_not1_b32 vcc_lo, exec_lo, s8
	s_cbranch_vccnz .LBB30_5702
; %bb.5701:
	s_wait_xcnt 0x0
	v_mov_b32_e32 v1, 0
	global_store_b8 v[2:3], v1, off
.LBB30_5702:
	s_mov_b32 s8, 0
.LBB30_5703:
	s_delay_alu instid0(SALU_CYCLE_1)
	s_and_not1_b32 vcc_lo, exec_lo, s8
	s_cbranch_vccnz .LBB30_5705
; %bb.5704:
	s_wait_xcnt 0x0
	v_mov_b32_e32 v1, 0
	global_store_b8 v[2:3], v1, off
.LBB30_5705:
	s_mov_b32 s9, 0
	s_mov_b32 s8, -1
.LBB30_5706:
	s_and_not1_b32 vcc_lo, exec_lo, s9
	s_mov_b32 s9, 0
	s_cbranch_vccnz .LBB30_5713
; %bb.5707:
	s_cmp_gt_i32 s6, 14
	s_mov_b32 s9, -1
	s_cbranch_scc0 .LBB30_5711
; %bb.5708:
	s_cmp_eq_u32 s6, 15
	s_mov_b32 s7, -1
	s_cbranch_scc0 .LBB30_5710
; %bb.5709:
	s_wait_xcnt 0x0
	v_mov_b32_e32 v1, 0
	s_mov_b32 s7, 0
	s_mov_b32 s8, -1
	global_store_b16 v[2:3], v1, off
.LBB30_5710:
	s_mov_b32 s9, 0
.LBB30_5711:
	s_delay_alu instid0(SALU_CYCLE_1)
	s_and_b32 vcc_lo, exec_lo, s9
	s_mov_b32 s9, 0
	s_cbranch_vccz .LBB30_5713
; %bb.5712:
	s_cmp_lg_u32 s6, 11
	s_mov_b32 s9, -1
	s_cselect_b32 s7, -1, 0
.LBB30_5713:
	s_delay_alu instid0(SALU_CYCLE_1)
	s_and_b32 vcc_lo, exec_lo, s7
	s_mov_b32 s6, s4
	s_cbranch_vccnz .LBB30_5991
; %bb.5714:
	s_and_not1_b32 vcc_lo, exec_lo, s9
	s_cbranch_vccnz .LBB30_5716
.LBB30_5715:
	s_wait_xcnt 0x0
	v_mov_b32_e32 v1, 0
	s_mov_b32 s8, -1
	global_store_b8 v[2:3], v1, off
.LBB30_5716:
	s_mov_b32 s7, 0
	s_branch .LBB30_5719
.LBB30_5717:
	s_or_b32 s21, s21, exec_lo
	s_trap 2
	s_cbranch_execz .LBB30_5590
	s_branch .LBB30_5591
.LBB30_5718:
	s_mov_b32 s7, -1
	s_mov_b32 s8, 0
	s_mov_b32 s6, s4
.LBB30_5719:
	s_and_b32 vcc_lo, exec_lo, s7
	s_cbranch_vccz .LBB30_5758
; %bb.5720:
	s_and_b32 s7, 0xffff, s0
	s_mov_b32 s8, -1
	s_cmp_lt_i32 s7, 5
	s_cbranch_scc1 .LBB30_5741
; %bb.5721:
	s_cmp_lt_i32 s7, 8
	s_cbranch_scc1 .LBB30_5731
; %bb.5722:
	;; [unrolled: 3-line block ×3, first 2 shown]
	s_cmp_gt_i32 s7, 9
	s_cbranch_scc0 .LBB30_5725
; %bb.5724:
	s_wait_xcnt 0x0
	v_mov_b32_e32 v4, 0
	s_mov_b32 s8, 0
	s_delay_alu instid0(VALU_DEP_1)
	v_dual_mov_b32 v5, v4 :: v_dual_mov_b32 v6, v4
	v_mov_b32_e32 v7, v4
	global_store_b128 v[2:3], v[4:7], off
.LBB30_5725:
	s_and_not1_b32 vcc_lo, exec_lo, s8
	s_cbranch_vccnz .LBB30_5727
; %bb.5726:
	s_wait_xcnt 0x0
	v_mov_b64_e32 v[4:5], 0
	global_store_b64 v[2:3], v[4:5], off
.LBB30_5727:
	s_mov_b32 s8, 0
.LBB30_5728:
	s_delay_alu instid0(SALU_CYCLE_1)
	s_and_not1_b32 vcc_lo, exec_lo, s8
	s_cbranch_vccnz .LBB30_5730
; %bb.5729:
	s_wait_xcnt 0x0
	v_mov_b32_e32 v1, 0
	global_store_b32 v[2:3], v1, off
.LBB30_5730:
	s_mov_b32 s8, 0
.LBB30_5731:
	s_delay_alu instid0(SALU_CYCLE_1)
	s_and_not1_b32 vcc_lo, exec_lo, s8
	s_cbranch_vccnz .LBB30_5740
; %bb.5732:
	s_cmp_lt_i32 s7, 6
	s_mov_b32 s8, -1
	s_cbranch_scc1 .LBB30_5738
; %bb.5733:
	s_cmp_gt_i32 s7, 6
	s_cbranch_scc0 .LBB30_5735
; %bb.5734:
	s_wait_xcnt 0x0
	v_mov_b64_e32 v[4:5], 0
	s_mov_b32 s8, 0
	global_store_b64 v[2:3], v[4:5], off
.LBB30_5735:
	s_and_not1_b32 vcc_lo, exec_lo, s8
	s_cbranch_vccnz .LBB30_5737
; %bb.5736:
	s_wait_xcnt 0x0
	v_mov_b32_e32 v1, 0
	global_store_b32 v[2:3], v1, off
.LBB30_5737:
	s_mov_b32 s8, 0
.LBB30_5738:
	s_delay_alu instid0(SALU_CYCLE_1)
	s_and_not1_b32 vcc_lo, exec_lo, s8
	s_cbranch_vccnz .LBB30_5740
; %bb.5739:
	s_wait_xcnt 0x0
	v_mov_b32_e32 v1, 0
	global_store_b16 v[2:3], v1, off
.LBB30_5740:
	s_mov_b32 s8, 0
.LBB30_5741:
	s_delay_alu instid0(SALU_CYCLE_1)
	s_and_not1_b32 vcc_lo, exec_lo, s8
	s_cbranch_vccnz .LBB30_5757
; %bb.5742:
	s_cmp_lt_i32 s7, 2
	s_mov_b32 s8, -1
	s_cbranch_scc1 .LBB30_5752
; %bb.5743:
	s_cmp_lt_i32 s7, 3
	s_cbranch_scc1 .LBB30_5749
; %bb.5744:
	s_cmp_gt_i32 s7, 3
	s_cbranch_scc0 .LBB30_5746
; %bb.5745:
	s_wait_xcnt 0x0
	v_mov_b64_e32 v[4:5], 0
	s_mov_b32 s8, 0
	global_store_b64 v[2:3], v[4:5], off
.LBB30_5746:
	s_and_not1_b32 vcc_lo, exec_lo, s8
	s_cbranch_vccnz .LBB30_5748
; %bb.5747:
	s_wait_xcnt 0x0
	v_mov_b32_e32 v1, 0
	global_store_b32 v[2:3], v1, off
.LBB30_5748:
	s_mov_b32 s8, 0
.LBB30_5749:
	s_delay_alu instid0(SALU_CYCLE_1)
	s_and_not1_b32 vcc_lo, exec_lo, s8
	s_cbranch_vccnz .LBB30_5751
; %bb.5750:
	s_wait_xcnt 0x0
	v_mov_b32_e32 v1, 0
	global_store_b16 v[2:3], v1, off
.LBB30_5751:
	s_mov_b32 s8, 0
.LBB30_5752:
	s_delay_alu instid0(SALU_CYCLE_1)
	s_and_not1_b32 vcc_lo, exec_lo, s8
	s_cbranch_vccnz .LBB30_5757
; %bb.5753:
	s_cmp_gt_i32 s7, 0
	s_mov_b32 s7, -1
	s_cbranch_scc0 .LBB30_5755
; %bb.5754:
	s_wait_xcnt 0x0
	v_mov_b32_e32 v1, 0
	s_mov_b32 s7, 0
	global_store_b8 v[2:3], v1, off
.LBB30_5755:
	s_and_not1_b32 vcc_lo, exec_lo, s7
	s_cbranch_vccnz .LBB30_5757
; %bb.5756:
	s_wait_xcnt 0x0
	v_mov_b32_e32 v1, 0
	global_store_b8 v[2:3], v1, off
.LBB30_5757:
	s_mov_b32 s8, -1
.LBB30_5758:
	s_delay_alu instid0(SALU_CYCLE_1)
	s_and_not1_b32 vcc_lo, exec_lo, s8
	s_cbranch_vccnz .LBB30_5983
; %bb.5759:
	s_lshl_b32 s8, s33, 7
	s_and_b32 s7, 0xffff, s0
	v_add_nc_u32_e32 v0, s8, v0
	s_cmp_lt_i32 s7, 11
	s_wait_xcnt 0x0
	s_delay_alu instid0(VALU_DEP_1) | instskip(NEXT) | instid1(VALU_DEP_1)
	v_ashrrev_i32_e32 v1, 31, v0
	v_add_nc_u64_e32 v[2:3], s[2:3], v[0:1]
	s_cbranch_scc1 .LBB30_5807
; %bb.5760:
	s_mov_b32 s12, -1
	s_mov_b32 s11, 0
	s_cmp_gt_i32 s7, 25
	s_mov_b32 s10, 0
	s_mov_b32 s9, 0
	s_cbranch_scc0 .LBB30_5785
; %bb.5761:
	s_cmp_gt_i32 s7, 28
	s_cbranch_scc0 .LBB30_5774
; %bb.5762:
	s_cmp_gt_i32 s7, 43
	;; [unrolled: 3-line block ×3, first 2 shown]
	s_cbranch_scc0 .LBB30_5766
; %bb.5764:
	s_mov_b32 s9, -1
	s_mov_b32 s12, 0
	s_cmp_eq_u32 s7, 46
	s_cbranch_scc0 .LBB30_5766
; %bb.5765:
	v_mov_b32_e32 v1, 0
	s_mov_b32 s9, 0
	s_mov_b32 s10, -1
	global_store_b32 v[2:3], v1, off
.LBB30_5766:
	s_and_b32 vcc_lo, exec_lo, s12
	s_cbranch_vccz .LBB30_5769
; %bb.5767:
	s_cmp_eq_u32 s7, 44
	s_mov_b32 s9, -1
	s_cbranch_scc0 .LBB30_5769
; %bb.5768:
	s_wait_xcnt 0x0
	v_mov_b32_e32 v1, 0
	s_mov_b32 s9, 0
	s_mov_b32 s10, -1
	global_store_b8 v[2:3], v1, off
.LBB30_5769:
	s_mov_b32 s12, 0
.LBB30_5770:
	s_delay_alu instid0(SALU_CYCLE_1)
	s_and_b32 vcc_lo, exec_lo, s12
	s_cbranch_vccz .LBB30_5773
; %bb.5771:
	s_cmp_eq_u32 s7, 29
	s_mov_b32 s9, -1
	s_cbranch_scc0 .LBB30_5773
; %bb.5772:
	v_mov_b64_e32 v[4:5], 0
	s_mov_b32 s9, 0
	s_mov_b32 s10, -1
	global_store_b64 v[2:3], v[4:5], off
.LBB30_5773:
	s_mov_b32 s12, 0
.LBB30_5774:
	s_delay_alu instid0(SALU_CYCLE_1)
	s_and_b32 vcc_lo, exec_lo, s12
	s_cbranch_vccz .LBB30_5784
; %bb.5775:
	s_cmp_lt_i32 s7, 27
	s_mov_b32 s10, -1
	s_cbranch_scc1 .LBB30_5781
; %bb.5776:
	s_cmp_gt_i32 s7, 27
	s_cbranch_scc0 .LBB30_5778
; %bb.5777:
	s_wait_xcnt 0x0
	v_mov_b32_e32 v1, 0
	s_mov_b32 s10, 0
	global_store_b32 v[2:3], v1, off
.LBB30_5778:
	s_and_not1_b32 vcc_lo, exec_lo, s10
	s_cbranch_vccnz .LBB30_5780
; %bb.5779:
	s_wait_xcnt 0x0
	v_mov_b32_e32 v1, 0
	global_store_b16 v[2:3], v1, off
.LBB30_5780:
	s_mov_b32 s10, 0
.LBB30_5781:
	s_delay_alu instid0(SALU_CYCLE_1)
	s_and_not1_b32 vcc_lo, exec_lo, s10
	s_cbranch_vccnz .LBB30_5783
; %bb.5782:
	s_wait_xcnt 0x0
	v_mov_b32_e32 v1, 0
	global_store_b8 v[2:3], v1, off
.LBB30_5783:
	s_mov_b32 s10, -1
.LBB30_5784:
	s_mov_b32 s12, 0
.LBB30_5785:
	s_delay_alu instid0(SALU_CYCLE_1)
	s_and_b32 vcc_lo, exec_lo, s12
	s_cbranch_vccz .LBB30_5803
; %bb.5786:
	s_cmp_gt_i32 s7, 22
	s_mov_b32 s11, -1
	s_cbranch_scc0 .LBB30_5796
; %bb.5787:
	s_cmp_lt_i32 s7, 24
	s_mov_b32 s10, -1
	s_cbranch_scc1 .LBB30_5793
; %bb.5788:
	s_cmp_gt_i32 s7, 24
	s_cbranch_scc0 .LBB30_5790
; %bb.5789:
	s_wait_xcnt 0x0
	v_mov_b32_e32 v1, 0
	s_mov_b32 s10, 0
	global_store_b8 v[2:3], v1, off
.LBB30_5790:
	s_and_not1_b32 vcc_lo, exec_lo, s10
	s_cbranch_vccnz .LBB30_5792
; %bb.5791:
	s_wait_xcnt 0x0
	v_mov_b32_e32 v1, 0
	global_store_b8 v[2:3], v1, off
.LBB30_5792:
	s_mov_b32 s10, 0
.LBB30_5793:
	s_delay_alu instid0(SALU_CYCLE_1)
	s_and_not1_b32 vcc_lo, exec_lo, s10
	s_cbranch_vccnz .LBB30_5795
; %bb.5794:
	s_wait_xcnt 0x0
	v_mov_b32_e32 v1, 0
	global_store_b8 v[2:3], v1, off
.LBB30_5795:
	s_mov_b32 s11, 0
	s_mov_b32 s10, -1
.LBB30_5796:
	s_and_not1_b32 vcc_lo, exec_lo, s11
	s_mov_b32 s11, 0
	s_cbranch_vccnz .LBB30_5803
; %bb.5797:
	s_cmp_gt_i32 s7, 14
	s_mov_b32 s11, -1
	s_cbranch_scc0 .LBB30_5801
; %bb.5798:
	s_cmp_eq_u32 s7, 15
	s_mov_b32 s9, -1
	s_cbranch_scc0 .LBB30_5800
; %bb.5799:
	s_wait_xcnt 0x0
	v_mov_b32_e32 v1, 0
	s_mov_b32 s9, 0
	s_mov_b32 s10, -1
	global_store_b16 v[2:3], v1, off
.LBB30_5800:
	s_mov_b32 s11, 0
.LBB30_5801:
	s_delay_alu instid0(SALU_CYCLE_1)
	s_and_b32 vcc_lo, exec_lo, s11
	s_mov_b32 s11, 0
	s_cbranch_vccz .LBB30_5803
; %bb.5802:
	s_cmp_lg_u32 s7, 11
	s_mov_b32 s11, -1
	s_cselect_b32 s9, -1, 0
.LBB30_5803:
	s_delay_alu instid0(SALU_CYCLE_1)
	s_and_b32 vcc_lo, exec_lo, s9
	s_cbranch_vccnz .LBB30_5992
; %bb.5804:
	s_and_not1_b32 vcc_lo, exec_lo, s11
	s_cbranch_vccnz .LBB30_5806
.LBB30_5805:
	s_wait_xcnt 0x0
	v_mov_b32_e32 v1, 0
	s_mov_b32 s10, -1
	global_store_b8 v[2:3], v1, off
.LBB30_5806:
	s_mov_b32 s9, 0
	s_branch .LBB30_5808
.LBB30_5807:
	s_mov_b32 s9, -1
	s_mov_b32 s10, 0
.LBB30_5808:
	s_and_b32 vcc_lo, exec_lo, s9
	s_cbranch_vccz .LBB30_5847
; %bb.5809:
	s_cmp_lt_i32 s7, 5
	s_mov_b32 s9, -1
	s_cbranch_scc1 .LBB30_5830
; %bb.5810:
	s_cmp_lt_i32 s7, 8
	s_cbranch_scc1 .LBB30_5820
; %bb.5811:
	s_cmp_lt_i32 s7, 9
	s_cbranch_scc1 .LBB30_5817
; %bb.5812:
	s_cmp_gt_i32 s7, 9
	s_cbranch_scc0 .LBB30_5814
; %bb.5813:
	s_wait_xcnt 0x0
	v_mov_b32_e32 v4, 0
	s_mov_b32 s9, 0
	s_delay_alu instid0(VALU_DEP_1)
	v_dual_mov_b32 v5, v4 :: v_dual_mov_b32 v6, v4
	v_mov_b32_e32 v7, v4
	global_store_b128 v[2:3], v[4:7], off
.LBB30_5814:
	s_and_not1_b32 vcc_lo, exec_lo, s9
	s_cbranch_vccnz .LBB30_5816
; %bb.5815:
	s_wait_xcnt 0x0
	v_mov_b64_e32 v[4:5], 0
	global_store_b64 v[2:3], v[4:5], off
.LBB30_5816:
	s_mov_b32 s9, 0
.LBB30_5817:
	s_delay_alu instid0(SALU_CYCLE_1)
	s_and_not1_b32 vcc_lo, exec_lo, s9
	s_cbranch_vccnz .LBB30_5819
; %bb.5818:
	s_wait_xcnt 0x0
	v_mov_b32_e32 v1, 0
	global_store_b32 v[2:3], v1, off
.LBB30_5819:
	s_mov_b32 s9, 0
.LBB30_5820:
	s_delay_alu instid0(SALU_CYCLE_1)
	s_and_not1_b32 vcc_lo, exec_lo, s9
	s_cbranch_vccnz .LBB30_5829
; %bb.5821:
	s_cmp_lt_i32 s7, 6
	s_mov_b32 s9, -1
	s_cbranch_scc1 .LBB30_5827
; %bb.5822:
	s_cmp_gt_i32 s7, 6
	s_cbranch_scc0 .LBB30_5824
; %bb.5823:
	s_wait_xcnt 0x0
	v_mov_b64_e32 v[4:5], 0
	s_mov_b32 s9, 0
	global_store_b64 v[2:3], v[4:5], off
.LBB30_5824:
	s_and_not1_b32 vcc_lo, exec_lo, s9
	s_cbranch_vccnz .LBB30_5826
; %bb.5825:
	s_wait_xcnt 0x0
	v_mov_b32_e32 v1, 0
	global_store_b32 v[2:3], v1, off
.LBB30_5826:
	s_mov_b32 s9, 0
.LBB30_5827:
	s_delay_alu instid0(SALU_CYCLE_1)
	s_and_not1_b32 vcc_lo, exec_lo, s9
	s_cbranch_vccnz .LBB30_5829
; %bb.5828:
	s_wait_xcnt 0x0
	v_mov_b32_e32 v1, 0
	global_store_b16 v[2:3], v1, off
.LBB30_5829:
	s_mov_b32 s9, 0
.LBB30_5830:
	s_delay_alu instid0(SALU_CYCLE_1)
	s_and_not1_b32 vcc_lo, exec_lo, s9
	s_cbranch_vccnz .LBB30_5846
; %bb.5831:
	s_cmp_lt_i32 s7, 2
	s_mov_b32 s9, -1
	s_cbranch_scc1 .LBB30_5841
; %bb.5832:
	s_cmp_lt_i32 s7, 3
	s_cbranch_scc1 .LBB30_5838
; %bb.5833:
	s_cmp_gt_i32 s7, 3
	s_cbranch_scc0 .LBB30_5835
; %bb.5834:
	s_wait_xcnt 0x0
	v_mov_b64_e32 v[4:5], 0
	s_mov_b32 s9, 0
	global_store_b64 v[2:3], v[4:5], off
.LBB30_5835:
	s_and_not1_b32 vcc_lo, exec_lo, s9
	s_cbranch_vccnz .LBB30_5837
; %bb.5836:
	s_wait_xcnt 0x0
	v_mov_b32_e32 v1, 0
	global_store_b32 v[2:3], v1, off
.LBB30_5837:
	s_mov_b32 s9, 0
.LBB30_5838:
	s_delay_alu instid0(SALU_CYCLE_1)
	s_and_not1_b32 vcc_lo, exec_lo, s9
	s_cbranch_vccnz .LBB30_5840
; %bb.5839:
	s_wait_xcnt 0x0
	v_mov_b32_e32 v1, 0
	global_store_b16 v[2:3], v1, off
.LBB30_5840:
	s_mov_b32 s9, 0
.LBB30_5841:
	s_delay_alu instid0(SALU_CYCLE_1)
	s_and_not1_b32 vcc_lo, exec_lo, s9
	s_cbranch_vccnz .LBB30_5846
; %bb.5842:
	s_cmp_gt_i32 s7, 0
	s_mov_b32 s9, -1
	s_cbranch_scc0 .LBB30_5844
; %bb.5843:
	s_wait_xcnt 0x0
	v_mov_b32_e32 v1, 0
	s_mov_b32 s9, 0
	global_store_b8 v[2:3], v1, off
.LBB30_5844:
	s_and_not1_b32 vcc_lo, exec_lo, s9
	s_cbranch_vccnz .LBB30_5846
; %bb.5845:
	s_wait_xcnt 0x0
	v_mov_b32_e32 v1, 0
	global_store_b8 v[2:3], v1, off
.LBB30_5846:
	s_mov_b32 s10, -1
.LBB30_5847:
	s_delay_alu instid0(SALU_CYCLE_1)
	s_and_not1_b32 vcc_lo, exec_lo, s10
	s_cbranch_vccnz .LBB30_5983
; %bb.5848:
	v_add_nc_u32_e32 v0, s8, v0
	s_cmp_lt_i32 s7, 11
	s_wait_xcnt 0x0
	s_delay_alu instid0(VALU_DEP_1) | instskip(NEXT) | instid1(VALU_DEP_1)
	v_ashrrev_i32_e32 v1, 31, v0
	v_add_nc_u64_e32 v[2:3], s[2:3], v[0:1]
	s_cbranch_scc1 .LBB30_5896
; %bb.5849:
	s_mov_b32 s12, -1
	s_mov_b32 s11, 0
	s_cmp_gt_i32 s7, 25
	s_mov_b32 s10, 0
	s_mov_b32 s9, 0
	s_cbranch_scc0 .LBB30_5874
; %bb.5850:
	s_cmp_gt_i32 s7, 28
	s_cbranch_scc0 .LBB30_5863
; %bb.5851:
	s_cmp_gt_i32 s7, 43
	;; [unrolled: 3-line block ×3, first 2 shown]
	s_cbranch_scc0 .LBB30_5855
; %bb.5853:
	s_mov_b32 s9, -1
	s_mov_b32 s12, 0
	s_cmp_eq_u32 s7, 46
	s_cbranch_scc0 .LBB30_5855
; %bb.5854:
	v_mov_b32_e32 v1, 0
	s_mov_b32 s9, 0
	s_mov_b32 s10, -1
	global_store_b32 v[2:3], v1, off
.LBB30_5855:
	s_and_b32 vcc_lo, exec_lo, s12
	s_cbranch_vccz .LBB30_5858
; %bb.5856:
	s_cmp_eq_u32 s7, 44
	s_mov_b32 s9, -1
	s_cbranch_scc0 .LBB30_5858
; %bb.5857:
	s_wait_xcnt 0x0
	v_mov_b32_e32 v1, 0
	s_mov_b32 s9, 0
	s_mov_b32 s10, -1
	global_store_b8 v[2:3], v1, off
.LBB30_5858:
	s_mov_b32 s12, 0
.LBB30_5859:
	s_delay_alu instid0(SALU_CYCLE_1)
	s_and_b32 vcc_lo, exec_lo, s12
	s_cbranch_vccz .LBB30_5862
; %bb.5860:
	s_cmp_eq_u32 s7, 29
	s_mov_b32 s9, -1
	s_cbranch_scc0 .LBB30_5862
; %bb.5861:
	v_mov_b64_e32 v[4:5], 0
	s_mov_b32 s9, 0
	s_mov_b32 s10, -1
	global_store_b64 v[2:3], v[4:5], off
.LBB30_5862:
	s_mov_b32 s12, 0
.LBB30_5863:
	s_delay_alu instid0(SALU_CYCLE_1)
	s_and_b32 vcc_lo, exec_lo, s12
	s_cbranch_vccz .LBB30_5873
; %bb.5864:
	s_cmp_lt_i32 s7, 27
	s_mov_b32 s10, -1
	s_cbranch_scc1 .LBB30_5870
; %bb.5865:
	s_cmp_gt_i32 s7, 27
	s_cbranch_scc0 .LBB30_5867
; %bb.5866:
	s_wait_xcnt 0x0
	v_mov_b32_e32 v1, 0
	s_mov_b32 s10, 0
	global_store_b32 v[2:3], v1, off
.LBB30_5867:
	s_and_not1_b32 vcc_lo, exec_lo, s10
	s_cbranch_vccnz .LBB30_5869
; %bb.5868:
	s_wait_xcnt 0x0
	v_mov_b32_e32 v1, 0
	global_store_b16 v[2:3], v1, off
.LBB30_5869:
	s_mov_b32 s10, 0
.LBB30_5870:
	s_delay_alu instid0(SALU_CYCLE_1)
	s_and_not1_b32 vcc_lo, exec_lo, s10
	s_cbranch_vccnz .LBB30_5872
; %bb.5871:
	s_wait_xcnt 0x0
	v_mov_b32_e32 v1, 0
	global_store_b8 v[2:3], v1, off
.LBB30_5872:
	s_mov_b32 s10, -1
.LBB30_5873:
	s_mov_b32 s12, 0
.LBB30_5874:
	s_delay_alu instid0(SALU_CYCLE_1)
	s_and_b32 vcc_lo, exec_lo, s12
	s_cbranch_vccz .LBB30_5892
; %bb.5875:
	s_cmp_gt_i32 s7, 22
	s_mov_b32 s11, -1
	s_cbranch_scc0 .LBB30_5885
; %bb.5876:
	s_cmp_lt_i32 s7, 24
	s_mov_b32 s10, -1
	s_cbranch_scc1 .LBB30_5882
; %bb.5877:
	s_cmp_gt_i32 s7, 24
	s_cbranch_scc0 .LBB30_5879
; %bb.5878:
	s_wait_xcnt 0x0
	v_mov_b32_e32 v1, 0
	s_mov_b32 s10, 0
	global_store_b8 v[2:3], v1, off
.LBB30_5879:
	s_and_not1_b32 vcc_lo, exec_lo, s10
	s_cbranch_vccnz .LBB30_5881
; %bb.5880:
	s_wait_xcnt 0x0
	v_mov_b32_e32 v1, 0
	global_store_b8 v[2:3], v1, off
.LBB30_5881:
	s_mov_b32 s10, 0
.LBB30_5882:
	s_delay_alu instid0(SALU_CYCLE_1)
	s_and_not1_b32 vcc_lo, exec_lo, s10
	s_cbranch_vccnz .LBB30_5884
; %bb.5883:
	s_wait_xcnt 0x0
	v_mov_b32_e32 v1, 0
	global_store_b8 v[2:3], v1, off
.LBB30_5884:
	s_mov_b32 s11, 0
	s_mov_b32 s10, -1
.LBB30_5885:
	s_and_not1_b32 vcc_lo, exec_lo, s11
	s_mov_b32 s11, 0
	s_cbranch_vccnz .LBB30_5892
; %bb.5886:
	s_cmp_gt_i32 s7, 14
	s_mov_b32 s11, -1
	s_cbranch_scc0 .LBB30_5890
; %bb.5887:
	s_cmp_eq_u32 s7, 15
	s_mov_b32 s9, -1
	s_cbranch_scc0 .LBB30_5889
; %bb.5888:
	s_wait_xcnt 0x0
	v_mov_b32_e32 v1, 0
	s_mov_b32 s9, 0
	s_mov_b32 s10, -1
	global_store_b16 v[2:3], v1, off
.LBB30_5889:
	s_mov_b32 s11, 0
.LBB30_5890:
	s_delay_alu instid0(SALU_CYCLE_1)
	s_and_b32 vcc_lo, exec_lo, s11
	s_mov_b32 s11, 0
	s_cbranch_vccz .LBB30_5892
; %bb.5891:
	s_cmp_lg_u32 s7, 11
	s_mov_b32 s11, -1
	s_cselect_b32 s9, -1, 0
.LBB30_5892:
	s_delay_alu instid0(SALU_CYCLE_1)
	s_and_b32 vcc_lo, exec_lo, s9
	s_cbranch_vccnz .LBB30_5994
; %bb.5893:
	s_and_not1_b32 vcc_lo, exec_lo, s11
	s_cbranch_vccnz .LBB30_5895
.LBB30_5894:
	s_wait_xcnt 0x0
	v_mov_b32_e32 v1, 0
	s_mov_b32 s10, -1
	global_store_b8 v[2:3], v1, off
.LBB30_5895:
	s_mov_b32 s9, 0
	s_branch .LBB30_5897
.LBB30_5896:
	s_mov_b32 s9, -1
	s_mov_b32 s10, 0
.LBB30_5897:
	s_and_b32 vcc_lo, exec_lo, s9
	s_cbranch_vccz .LBB30_5936
; %bb.5898:
	s_cmp_lt_i32 s7, 5
	s_mov_b32 s9, -1
	s_cbranch_scc1 .LBB30_5919
; %bb.5899:
	s_cmp_lt_i32 s7, 8
	s_cbranch_scc1 .LBB30_5909
; %bb.5900:
	s_cmp_lt_i32 s7, 9
	s_cbranch_scc1 .LBB30_5906
; %bb.5901:
	s_cmp_gt_i32 s7, 9
	s_cbranch_scc0 .LBB30_5903
; %bb.5902:
	s_wait_xcnt 0x0
	v_mov_b32_e32 v4, 0
	s_mov_b32 s9, 0
	s_delay_alu instid0(VALU_DEP_1)
	v_dual_mov_b32 v5, v4 :: v_dual_mov_b32 v6, v4
	v_mov_b32_e32 v7, v4
	global_store_b128 v[2:3], v[4:7], off
.LBB30_5903:
	s_and_not1_b32 vcc_lo, exec_lo, s9
	s_cbranch_vccnz .LBB30_5905
; %bb.5904:
	s_wait_xcnt 0x0
	v_mov_b64_e32 v[4:5], 0
	global_store_b64 v[2:3], v[4:5], off
.LBB30_5905:
	s_mov_b32 s9, 0
.LBB30_5906:
	s_delay_alu instid0(SALU_CYCLE_1)
	s_and_not1_b32 vcc_lo, exec_lo, s9
	s_cbranch_vccnz .LBB30_5908
; %bb.5907:
	s_wait_xcnt 0x0
	v_mov_b32_e32 v1, 0
	global_store_b32 v[2:3], v1, off
.LBB30_5908:
	s_mov_b32 s9, 0
.LBB30_5909:
	s_delay_alu instid0(SALU_CYCLE_1)
	s_and_not1_b32 vcc_lo, exec_lo, s9
	s_cbranch_vccnz .LBB30_5918
; %bb.5910:
	s_cmp_lt_i32 s7, 6
	s_mov_b32 s9, -1
	s_cbranch_scc1 .LBB30_5916
; %bb.5911:
	s_cmp_gt_i32 s7, 6
	s_cbranch_scc0 .LBB30_5913
; %bb.5912:
	s_wait_xcnt 0x0
	v_mov_b64_e32 v[4:5], 0
	s_mov_b32 s9, 0
	global_store_b64 v[2:3], v[4:5], off
.LBB30_5913:
	s_and_not1_b32 vcc_lo, exec_lo, s9
	s_cbranch_vccnz .LBB30_5915
; %bb.5914:
	s_wait_xcnt 0x0
	v_mov_b32_e32 v1, 0
	global_store_b32 v[2:3], v1, off
.LBB30_5915:
	s_mov_b32 s9, 0
.LBB30_5916:
	s_delay_alu instid0(SALU_CYCLE_1)
	s_and_not1_b32 vcc_lo, exec_lo, s9
	s_cbranch_vccnz .LBB30_5918
; %bb.5917:
	s_wait_xcnt 0x0
	v_mov_b32_e32 v1, 0
	global_store_b16 v[2:3], v1, off
.LBB30_5918:
	s_mov_b32 s9, 0
.LBB30_5919:
	s_delay_alu instid0(SALU_CYCLE_1)
	s_and_not1_b32 vcc_lo, exec_lo, s9
	s_cbranch_vccnz .LBB30_5935
; %bb.5920:
	s_cmp_lt_i32 s7, 2
	s_mov_b32 s9, -1
	s_cbranch_scc1 .LBB30_5930
; %bb.5921:
	s_cmp_lt_i32 s7, 3
	s_cbranch_scc1 .LBB30_5927
; %bb.5922:
	s_cmp_gt_i32 s7, 3
	s_cbranch_scc0 .LBB30_5924
; %bb.5923:
	s_wait_xcnt 0x0
	v_mov_b64_e32 v[4:5], 0
	s_mov_b32 s9, 0
	global_store_b64 v[2:3], v[4:5], off
.LBB30_5924:
	s_and_not1_b32 vcc_lo, exec_lo, s9
	s_cbranch_vccnz .LBB30_5926
; %bb.5925:
	s_wait_xcnt 0x0
	v_mov_b32_e32 v1, 0
	global_store_b32 v[2:3], v1, off
.LBB30_5926:
	s_mov_b32 s9, 0
.LBB30_5927:
	s_delay_alu instid0(SALU_CYCLE_1)
	s_and_not1_b32 vcc_lo, exec_lo, s9
	s_cbranch_vccnz .LBB30_5929
; %bb.5928:
	s_wait_xcnt 0x0
	v_mov_b32_e32 v1, 0
	global_store_b16 v[2:3], v1, off
.LBB30_5929:
	s_mov_b32 s9, 0
.LBB30_5930:
	s_delay_alu instid0(SALU_CYCLE_1)
	s_and_not1_b32 vcc_lo, exec_lo, s9
	s_cbranch_vccnz .LBB30_5935
; %bb.5931:
	s_cmp_gt_i32 s7, 0
	s_mov_b32 s9, -1
	s_cbranch_scc0 .LBB30_5933
; %bb.5932:
	s_wait_xcnt 0x0
	v_mov_b32_e32 v1, 0
	s_mov_b32 s9, 0
	global_store_b8 v[2:3], v1, off
.LBB30_5933:
	s_and_not1_b32 vcc_lo, exec_lo, s9
	s_cbranch_vccnz .LBB30_5935
; %bb.5934:
	s_wait_xcnt 0x0
	v_mov_b32_e32 v1, 0
	global_store_b8 v[2:3], v1, off
.LBB30_5935:
	s_mov_b32 s10, -1
.LBB30_5936:
	s_delay_alu instid0(SALU_CYCLE_1)
	s_and_not1_b32 vcc_lo, exec_lo, s10
	s_cbranch_vccnz .LBB30_5983
; %bb.5937:
	v_add_nc_u32_e32 v0, s8, v0
	s_cmp_lt_i32 s7, 11
	s_wait_xcnt 0x0
	s_delay_alu instid0(VALU_DEP_1) | instskip(NEXT) | instid1(VALU_DEP_1)
	v_ashrrev_i32_e32 v1, 31, v0
	v_add_nc_u64_e32 v[20:21], s[2:3], v[0:1]
	s_cbranch_scc1 .LBB30_5989
; %bb.5938:
	s_mov_b32 s8, -1
	s_mov_b32 s2, 0
	s_cmp_gt_i32 s7, 25
	s_mov_b32 s3, 0
	s_cbranch_scc0 .LBB30_5963
; %bb.5939:
	s_cmp_gt_i32 s7, 28
	s_cbranch_scc0 .LBB30_5953
; %bb.5940:
	s_cmp_gt_i32 s7, 43
	;; [unrolled: 3-line block ×3, first 2 shown]
	s_cbranch_scc0 .LBB30_5945
; %bb.5942:
	s_cmp_eq_u32 s7, 46
	s_mov_b32 s3, -1
	s_cbranch_scc0 .LBB30_5944
; %bb.5943:
	v_mov_b32_e32 v0, 0
	s_mov_b32 s3, 0
	global_store_b32 v[20:21], v0, off
.LBB30_5944:
	s_mov_b32 s8, 0
.LBB30_5945:
	s_delay_alu instid0(SALU_CYCLE_1)
	s_and_b32 vcc_lo, exec_lo, s8
	s_cbranch_vccz .LBB30_5948
; %bb.5946:
	s_cmp_eq_u32 s7, 44
	s_mov_b32 s3, -1
	s_cbranch_scc0 .LBB30_5948
; %bb.5947:
	s_wait_xcnt 0x0
	v_mov_b32_e32 v0, 0
	s_mov_b32 s3, 0
	global_store_b8 v[20:21], v0, off
.LBB30_5948:
	s_mov_b32 s8, 0
.LBB30_5949:
	s_delay_alu instid0(SALU_CYCLE_1)
	s_and_b32 vcc_lo, exec_lo, s8
	s_cbranch_vccz .LBB30_5952
; %bb.5950:
	s_cmp_eq_u32 s7, 29
	s_mov_b32 s3, -1
	s_cbranch_scc0 .LBB30_5952
; %bb.5951:
	s_wait_xcnt 0x0
	v_mov_b64_e32 v[0:1], 0
	s_mov_b32 s3, 0
	global_store_b64 v[20:21], v[0:1], off
.LBB30_5952:
	s_mov_b32 s8, 0
.LBB30_5953:
	s_delay_alu instid0(SALU_CYCLE_1)
	s_and_b32 vcc_lo, exec_lo, s8
	s_cbranch_vccz .LBB30_5962
; %bb.5954:
	s_cmp_lt_i32 s7, 27
	s_mov_b32 s8, -1
	s_cbranch_scc1 .LBB30_5960
; %bb.5955:
	s_cmp_gt_i32 s7, 27
	s_cbranch_scc0 .LBB30_5957
; %bb.5956:
	s_wait_xcnt 0x0
	v_mov_b32_e32 v0, 0
	s_mov_b32 s8, 0
	global_store_b32 v[20:21], v0, off
.LBB30_5957:
	s_and_not1_b32 vcc_lo, exec_lo, s8
	s_cbranch_vccnz .LBB30_5959
; %bb.5958:
	s_wait_xcnt 0x0
	v_mov_b32_e32 v0, 0
	global_store_b16 v[20:21], v0, off
.LBB30_5959:
	s_mov_b32 s8, 0
.LBB30_5960:
	s_delay_alu instid0(SALU_CYCLE_1)
	s_and_not1_b32 vcc_lo, exec_lo, s8
	s_cbranch_vccnz .LBB30_5962
; %bb.5961:
	s_wait_xcnt 0x0
	v_mov_b32_e32 v0, 0
	global_store_b8 v[20:21], v0, off
.LBB30_5962:
	s_mov_b32 s8, 0
.LBB30_5963:
	s_delay_alu instid0(SALU_CYCLE_1)
	s_and_b32 vcc_lo, exec_lo, s8
	s_cbranch_vccz .LBB30_5981
; %bb.5964:
	s_cmp_gt_i32 s7, 22
	s_mov_b32 s2, -1
	s_cbranch_scc0 .LBB30_5974
; %bb.5965:
	s_cmp_lt_i32 s7, 24
	s_cbranch_scc1 .LBB30_5971
; %bb.5966:
	s_cmp_gt_i32 s7, 24
	s_cbranch_scc0 .LBB30_5968
; %bb.5967:
	s_wait_xcnt 0x0
	v_mov_b32_e32 v0, 0
	s_mov_b32 s2, 0
	global_store_b8 v[20:21], v0, off
.LBB30_5968:
	s_and_not1_b32 vcc_lo, exec_lo, s2
	s_cbranch_vccnz .LBB30_5970
; %bb.5969:
	s_wait_xcnt 0x0
	v_mov_b32_e32 v0, 0
	global_store_b8 v[20:21], v0, off
.LBB30_5970:
	s_mov_b32 s2, 0
.LBB30_5971:
	s_delay_alu instid0(SALU_CYCLE_1)
	s_and_not1_b32 vcc_lo, exec_lo, s2
	s_cbranch_vccnz .LBB30_5973
; %bb.5972:
	s_wait_xcnt 0x0
	v_mov_b32_e32 v0, 0
	global_store_b8 v[20:21], v0, off
.LBB30_5973:
	s_mov_b32 s2, 0
.LBB30_5974:
	s_delay_alu instid0(SALU_CYCLE_1)
	s_and_not1_b32 vcc_lo, exec_lo, s2
	s_mov_b32 s2, 0
	s_cbranch_vccnz .LBB30_5981
; %bb.5975:
	s_cmp_gt_i32 s7, 14
	s_mov_b32 s2, -1
	s_cbranch_scc0 .LBB30_5979
; %bb.5976:
	s_cmp_eq_u32 s7, 15
	s_mov_b32 s3, -1
	s_cbranch_scc0 .LBB30_5978
; %bb.5977:
	s_wait_xcnt 0x0
	v_mov_b32_e32 v0, 0
	s_mov_b32 s3, 0
	global_store_b16 v[20:21], v0, off
.LBB30_5978:
	s_mov_b32 s2, 0
.LBB30_5979:
	s_delay_alu instid0(SALU_CYCLE_1)
	s_and_b32 vcc_lo, exec_lo, s2
	s_mov_b32 s2, 0
	s_cbranch_vccz .LBB30_5981
; %bb.5980:
	s_cmp_lg_u32 s7, 11
	s_mov_b32 s2, -1
	s_cselect_b32 s3, -1, 0
.LBB30_5981:
	s_delay_alu instid0(SALU_CYCLE_1)
	s_and_b32 vcc_lo, exec_lo, s3
	s_cbranch_vccnz .LBB30_5996
.LBB30_5982:
	s_mov_b32 s3, 0
	s_branch .LBB30_5984
.LBB30_5983:
	s_mov_b32 s3, 0
	s_mov_b32 s2, 0
                                        ; implicit-def: $vgpr20_vgpr21
                                        ; implicit-def: $sgpr0
.LBB30_5984:
	s_and_b32 s7, s3, exec_lo
	s_and_not1_b32 s3, s4, exec_lo
	s_and_b32 s4, s6, exec_lo
	s_and_b32 s6, s2, exec_lo
	s_or_b32 s4, s3, s4
.LBB30_5985:
	s_wait_xcnt 0x0
	s_or_b32 exec_lo, exec_lo, s5
	s_delay_alu instid0(SALU_CYCLE_1)
	s_and_not1_b32 s2, s16, exec_lo
	s_and_b32 s3, s4, exec_lo
	s_and_b32 s7, s7, exec_lo
	;; [unrolled: 1-line block ×3, first 2 shown]
	s_or_b32 s16, s2, s3
.LBB30_5986:
	s_or_b32 exec_lo, exec_lo, s17
	s_delay_alu instid0(SALU_CYCLE_1)
	s_and_not1_b32 s2, s23, exec_lo
	s_and_b32 s3, s16, exec_lo
	s_and_b32 s6, s7, exec_lo
	;; [unrolled: 1-line block ×3, first 2 shown]
	s_or_b32 s23, s2, s3
.LBB30_5987:
	s_or_b32 exec_lo, exec_lo, s24
	s_delay_alu instid0(SALU_CYCLE_1)
	s_and_not1_b32 s2, s21, exec_lo
	s_and_b32 s3, s23, exec_lo
	s_and_b32 s6, s6, exec_lo
	s_and_b32 s5, s5, exec_lo
	s_or_b32 s21, s2, s3
.LBB30_5988:
	s_or_b32 exec_lo, exec_lo, s22
	s_branch .LBB30_5651
.LBB30_5989:
	s_mov_b32 s2, 0
	s_mov_b32 s3, -1
	s_branch .LBB30_5984
.LBB30_5990:
	s_or_b32 s6, s16, exec_lo
	s_xor_b32 s5, exec_lo, -1
	s_trap 2
	s_branch .LBB30_5667
.LBB30_5991:
	s_or_b32 s6, s4, exec_lo
	s_trap 2
	s_cbranch_execz .LBB30_5715
	s_branch .LBB30_5716
.LBB30_5992:
	s_or_b32 s6, s6, exec_lo
	s_trap 2
	s_cbranch_execz .LBB30_5805
	s_branch .LBB30_5806
.LBB30_5993:
	s_or_b32 s21, s21, exec_lo
	s_trap 2
                                        ; implicit-def: $vgpr6_vgpr7
                                        ; implicit-def: $vgpr2_vgpr3
                                        ; implicit-def: $vgpr10_vgpr11
                                        ; implicit-def: $vgpr8_vgpr9
                                        ; implicit-def: $vgpr0_vgpr1
                                        ; implicit-def: $vgpr26
                                        ; implicit-def: $vgpr14_vgpr15
	s_branch .LBB30_5643
.LBB30_5994:
	s_or_b32 s6, s6, exec_lo
	s_trap 2
	s_cbranch_execz .LBB30_5894
	s_branch .LBB30_5895
.LBB30_5995:
	s_or_b32 s23, s21, exec_lo
	s_trap 2
                                        ; implicit-def: $vgpr10_vgpr11
                                        ; implicit-def: $vgpr8_vgpr9
                                        ; implicit-def: $vgpr0_vgpr1
                                        ; implicit-def: $vgpr26
                                        ; implicit-def: $vgpr14_vgpr15
                                        ; implicit-def: $vgpr2_vgpr3
	s_or_saveexec_b32 s24, s0
                                        ; implicit-def: $vgpr20_vgpr21
                                        ; implicit-def: $sgpr0
	s_delay_alu instid0(SALU_CYCLE_1)
	s_xor_b32 exec_lo, exec_lo, s24
	s_cbranch_execz .LBB30_5987
	s_branch .LBB30_5646
.LBB30_5996:
	s_mov_b32 s2, 0
	s_or_b32 s6, s6, exec_lo
	s_trap 2
	s_branch .LBB30_5982
.LBB30_5997:
	s_or_b32 s16, s23, exec_lo
	s_trap 2
                                        ; implicit-def: $vgpr10_vgpr11
                                        ; implicit-def: $vgpr8_vgpr9
                                        ; implicit-def: $vgpr26
                                        ; implicit-def: $vgpr14_vgpr15
                                        ; implicit-def: $vgpr2_vgpr3
	s_branch .LBB30_5647
	.section	.rodata,"a",@progbits
	.p2align	6, 0x0
	.amdhsa_kernel _ZN2at6native32elementwise_kernel_manual_unrollILi128ELi4EZNS0_15gpu_kernel_implIZZZNS0_12_GLOBAL__N_142_validate_compressed_sparse_indices_kernelILNS3_8CDimNameE0ENS3_18CUDAKernelLauncherENS3_14EmptyVecKernelENS3_8DummyVecELm8EEEvRKNS_6TensorESB_lllENKUlvE1_clEvENKUlvE0_clEvEUllllllE_EEvRNS_18TensorIteratorBaseERKT_EUlibE_EEviT1_
		.amdhsa_group_segment_fixed_size 0
		.amdhsa_private_segment_fixed_size 0
		.amdhsa_kernarg_size 256
		.amdhsa_user_sgpr_count 2
		.amdhsa_user_sgpr_dispatch_ptr 0
		.amdhsa_user_sgpr_queue_ptr 0
		.amdhsa_user_sgpr_kernarg_segment_ptr 1
		.amdhsa_user_sgpr_dispatch_id 0
		.amdhsa_user_sgpr_kernarg_preload_length 0
		.amdhsa_user_sgpr_kernarg_preload_offset 0
		.amdhsa_user_sgpr_private_segment_size 0
		.amdhsa_wavefront_size32 1
		.amdhsa_uses_dynamic_stack 0
		.amdhsa_enable_private_segment 0
		.amdhsa_system_sgpr_workgroup_id_x 1
		.amdhsa_system_sgpr_workgroup_id_y 0
		.amdhsa_system_sgpr_workgroup_id_z 0
		.amdhsa_system_sgpr_workgroup_info 0
		.amdhsa_system_vgpr_workitem_id 0
		.amdhsa_next_free_vgpr 40
		.amdhsa_next_free_sgpr 100
		.amdhsa_named_barrier_count 0
		.amdhsa_reserve_vcc 1
		.amdhsa_float_round_mode_32 0
		.amdhsa_float_round_mode_16_64 0
		.amdhsa_float_denorm_mode_32 3
		.amdhsa_float_denorm_mode_16_64 3
		.amdhsa_fp16_overflow 0
		.amdhsa_memory_ordered 1
		.amdhsa_forward_progress 1
		.amdhsa_inst_pref_size 255
		.amdhsa_round_robin_scheduling 0
		.amdhsa_exception_fp_ieee_invalid_op 0
		.amdhsa_exception_fp_denorm_src 0
		.amdhsa_exception_fp_ieee_div_zero 0
		.amdhsa_exception_fp_ieee_overflow 0
		.amdhsa_exception_fp_ieee_underflow 0
		.amdhsa_exception_fp_ieee_inexact 0
		.amdhsa_exception_int_div_zero 0
	.end_amdhsa_kernel
	.section	.text._ZN2at6native32elementwise_kernel_manual_unrollILi128ELi4EZNS0_15gpu_kernel_implIZZZNS0_12_GLOBAL__N_142_validate_compressed_sparse_indices_kernelILNS3_8CDimNameE0ENS3_18CUDAKernelLauncherENS3_14EmptyVecKernelENS3_8DummyVecELm8EEEvRKNS_6TensorESB_lllENKUlvE1_clEvENKUlvE0_clEvEUllllllE_EEvRNS_18TensorIteratorBaseERKT_EUlibE_EEviT1_,"axG",@progbits,_ZN2at6native32elementwise_kernel_manual_unrollILi128ELi4EZNS0_15gpu_kernel_implIZZZNS0_12_GLOBAL__N_142_validate_compressed_sparse_indices_kernelILNS3_8CDimNameE0ENS3_18CUDAKernelLauncherENS3_14EmptyVecKernelENS3_8DummyVecELm8EEEvRKNS_6TensorESB_lllENKUlvE1_clEvENKUlvE0_clEvEUllllllE_EEvRNS_18TensorIteratorBaseERKT_EUlibE_EEviT1_,comdat
.Lfunc_end30:
	.size	_ZN2at6native32elementwise_kernel_manual_unrollILi128ELi4EZNS0_15gpu_kernel_implIZZZNS0_12_GLOBAL__N_142_validate_compressed_sparse_indices_kernelILNS3_8CDimNameE0ENS3_18CUDAKernelLauncherENS3_14EmptyVecKernelENS3_8DummyVecELm8EEEvRKNS_6TensorESB_lllENKUlvE1_clEvENKUlvE0_clEvEUllllllE_EEvRNS_18TensorIteratorBaseERKT_EUlibE_EEviT1_, .Lfunc_end30-_ZN2at6native32elementwise_kernel_manual_unrollILi128ELi4EZNS0_15gpu_kernel_implIZZZNS0_12_GLOBAL__N_142_validate_compressed_sparse_indices_kernelILNS3_8CDimNameE0ENS3_18CUDAKernelLauncherENS3_14EmptyVecKernelENS3_8DummyVecELm8EEEvRKNS_6TensorESB_lllENKUlvE1_clEvENKUlvE0_clEvEUllllllE_EEvRNS_18TensorIteratorBaseERKT_EUlibE_EEviT1_
                                        ; -- End function
	.set _ZN2at6native32elementwise_kernel_manual_unrollILi128ELi4EZNS0_15gpu_kernel_implIZZZNS0_12_GLOBAL__N_142_validate_compressed_sparse_indices_kernelILNS3_8CDimNameE0ENS3_18CUDAKernelLauncherENS3_14EmptyVecKernelENS3_8DummyVecELm8EEEvRKNS_6TensorESB_lllENKUlvE1_clEvENKUlvE0_clEvEUllllllE_EEvRNS_18TensorIteratorBaseERKT_EUlibE_EEviT1_.num_vgpr, 40
	.set _ZN2at6native32elementwise_kernel_manual_unrollILi128ELi4EZNS0_15gpu_kernel_implIZZZNS0_12_GLOBAL__N_142_validate_compressed_sparse_indices_kernelILNS3_8CDimNameE0ENS3_18CUDAKernelLauncherENS3_14EmptyVecKernelENS3_8DummyVecELm8EEEvRKNS_6TensorESB_lllENKUlvE1_clEvENKUlvE0_clEvEUllllllE_EEvRNS_18TensorIteratorBaseERKT_EUlibE_EEviT1_.num_agpr, 0
	.set _ZN2at6native32elementwise_kernel_manual_unrollILi128ELi4EZNS0_15gpu_kernel_implIZZZNS0_12_GLOBAL__N_142_validate_compressed_sparse_indices_kernelILNS3_8CDimNameE0ENS3_18CUDAKernelLauncherENS3_14EmptyVecKernelENS3_8DummyVecELm8EEEvRKNS_6TensorESB_lllENKUlvE1_clEvENKUlvE0_clEvEUllllllE_EEvRNS_18TensorIteratorBaseERKT_EUlibE_EEviT1_.numbered_sgpr, 100
	.set _ZN2at6native32elementwise_kernel_manual_unrollILi128ELi4EZNS0_15gpu_kernel_implIZZZNS0_12_GLOBAL__N_142_validate_compressed_sparse_indices_kernelILNS3_8CDimNameE0ENS3_18CUDAKernelLauncherENS3_14EmptyVecKernelENS3_8DummyVecELm8EEEvRKNS_6TensorESB_lllENKUlvE1_clEvENKUlvE0_clEvEUllllllE_EEvRNS_18TensorIteratorBaseERKT_EUlibE_EEviT1_.num_named_barrier, 0
	.set _ZN2at6native32elementwise_kernel_manual_unrollILi128ELi4EZNS0_15gpu_kernel_implIZZZNS0_12_GLOBAL__N_142_validate_compressed_sparse_indices_kernelILNS3_8CDimNameE0ENS3_18CUDAKernelLauncherENS3_14EmptyVecKernelENS3_8DummyVecELm8EEEvRKNS_6TensorESB_lllENKUlvE1_clEvENKUlvE0_clEvEUllllllE_EEvRNS_18TensorIteratorBaseERKT_EUlibE_EEviT1_.private_seg_size, 0
	.set _ZN2at6native32elementwise_kernel_manual_unrollILi128ELi4EZNS0_15gpu_kernel_implIZZZNS0_12_GLOBAL__N_142_validate_compressed_sparse_indices_kernelILNS3_8CDimNameE0ENS3_18CUDAKernelLauncherENS3_14EmptyVecKernelENS3_8DummyVecELm8EEEvRKNS_6TensorESB_lllENKUlvE1_clEvENKUlvE0_clEvEUllllllE_EEvRNS_18TensorIteratorBaseERKT_EUlibE_EEviT1_.uses_vcc, 1
	.set _ZN2at6native32elementwise_kernel_manual_unrollILi128ELi4EZNS0_15gpu_kernel_implIZZZNS0_12_GLOBAL__N_142_validate_compressed_sparse_indices_kernelILNS3_8CDimNameE0ENS3_18CUDAKernelLauncherENS3_14EmptyVecKernelENS3_8DummyVecELm8EEEvRKNS_6TensorESB_lllENKUlvE1_clEvENKUlvE0_clEvEUllllllE_EEvRNS_18TensorIteratorBaseERKT_EUlibE_EEviT1_.uses_flat_scratch, 0
	.set _ZN2at6native32elementwise_kernel_manual_unrollILi128ELi4EZNS0_15gpu_kernel_implIZZZNS0_12_GLOBAL__N_142_validate_compressed_sparse_indices_kernelILNS3_8CDimNameE0ENS3_18CUDAKernelLauncherENS3_14EmptyVecKernelENS3_8DummyVecELm8EEEvRKNS_6TensorESB_lllENKUlvE1_clEvENKUlvE0_clEvEUllllllE_EEvRNS_18TensorIteratorBaseERKT_EUlibE_EEviT1_.has_dyn_sized_stack, 0
	.set _ZN2at6native32elementwise_kernel_manual_unrollILi128ELi4EZNS0_15gpu_kernel_implIZZZNS0_12_GLOBAL__N_142_validate_compressed_sparse_indices_kernelILNS3_8CDimNameE0ENS3_18CUDAKernelLauncherENS3_14EmptyVecKernelENS3_8DummyVecELm8EEEvRKNS_6TensorESB_lllENKUlvE1_clEvENKUlvE0_clEvEUllllllE_EEvRNS_18TensorIteratorBaseERKT_EUlibE_EEviT1_.has_recursion, 0
	.set _ZN2at6native32elementwise_kernel_manual_unrollILi128ELi4EZNS0_15gpu_kernel_implIZZZNS0_12_GLOBAL__N_142_validate_compressed_sparse_indices_kernelILNS3_8CDimNameE0ENS3_18CUDAKernelLauncherENS3_14EmptyVecKernelENS3_8DummyVecELm8EEEvRKNS_6TensorESB_lllENKUlvE1_clEvENKUlvE0_clEvEUllllllE_EEvRNS_18TensorIteratorBaseERKT_EUlibE_EEviT1_.has_indirect_call, 0
	.section	.AMDGPU.csdata,"",@progbits
; Kernel info:
; codeLenInByte = 142604
; TotalNumSgprs: 102
; NumVgprs: 40
; ScratchSize: 0
; MemoryBound: 1
; FloatMode: 240
; IeeeMode: 1
; LDSByteSize: 0 bytes/workgroup (compile time only)
; SGPRBlocks: 0
; VGPRBlocks: 2
; NumSGPRsForWavesPerEU: 102
; NumVGPRsForWavesPerEU: 40
; NamedBarCnt: 0
; Occupancy: 16
; WaveLimiterHint : 1
; COMPUTE_PGM_RSRC2:SCRATCH_EN: 0
; COMPUTE_PGM_RSRC2:USER_SGPR: 2
; COMPUTE_PGM_RSRC2:TRAP_HANDLER: 0
; COMPUTE_PGM_RSRC2:TGID_X_EN: 1
; COMPUTE_PGM_RSRC2:TGID_Y_EN: 0
; COMPUTE_PGM_RSRC2:TGID_Z_EN: 0
; COMPUTE_PGM_RSRC2:TIDIG_COMP_CNT: 0
	.section	.text._ZN2at6native32elementwise_kernel_manual_unrollILi128ELi4EZNS0_15gpu_kernel_implIZZZNS0_12_GLOBAL__N_142_validate_compressed_sparse_indices_kernelILNS3_8CDimNameE0ENS3_18CUDAKernelLauncherENS3_14EmptyVecKernelENS3_8DummyVecELm8EEEvRKNS_6TensorESB_lllENKUlvE1_clEvENKUlvE0_clEvEUllllllE_EEvRNS_18TensorIteratorBaseERKT_EUlibE0_EEviT1_,"axG",@progbits,_ZN2at6native32elementwise_kernel_manual_unrollILi128ELi4EZNS0_15gpu_kernel_implIZZZNS0_12_GLOBAL__N_142_validate_compressed_sparse_indices_kernelILNS3_8CDimNameE0ENS3_18CUDAKernelLauncherENS3_14EmptyVecKernelENS3_8DummyVecELm8EEEvRKNS_6TensorESB_lllENKUlvE1_clEvENKUlvE0_clEvEUllllllE_EEvRNS_18TensorIteratorBaseERKT_EUlibE0_EEviT1_,comdat
	.globl	_ZN2at6native32elementwise_kernel_manual_unrollILi128ELi4EZNS0_15gpu_kernel_implIZZZNS0_12_GLOBAL__N_142_validate_compressed_sparse_indices_kernelILNS3_8CDimNameE0ENS3_18CUDAKernelLauncherENS3_14EmptyVecKernelENS3_8DummyVecELm8EEEvRKNS_6TensorESB_lllENKUlvE1_clEvENKUlvE0_clEvEUllllllE_EEvRNS_18TensorIteratorBaseERKT_EUlibE0_EEviT1_ ; -- Begin function _ZN2at6native32elementwise_kernel_manual_unrollILi128ELi4EZNS0_15gpu_kernel_implIZZZNS0_12_GLOBAL__N_142_validate_compressed_sparse_indices_kernelILNS3_8CDimNameE0ENS3_18CUDAKernelLauncherENS3_14EmptyVecKernelENS3_8DummyVecELm8EEEvRKNS_6TensorESB_lllENKUlvE1_clEvENKUlvE0_clEvEUllllllE_EEvRNS_18TensorIteratorBaseERKT_EUlibE0_EEviT1_
	.p2align	8
	.type	_ZN2at6native32elementwise_kernel_manual_unrollILi128ELi4EZNS0_15gpu_kernel_implIZZZNS0_12_GLOBAL__N_142_validate_compressed_sparse_indices_kernelILNS3_8CDimNameE0ENS3_18CUDAKernelLauncherENS3_14EmptyVecKernelENS3_8DummyVecELm8EEEvRKNS_6TensorESB_lllENKUlvE1_clEvENKUlvE0_clEvEUllllllE_EEvRNS_18TensorIteratorBaseERKT_EUlibE0_EEviT1_,@function
_ZN2at6native32elementwise_kernel_manual_unrollILi128ELi4EZNS0_15gpu_kernel_implIZZZNS0_12_GLOBAL__N_142_validate_compressed_sparse_indices_kernelILNS3_8CDimNameE0ENS3_18CUDAKernelLauncherENS3_14EmptyVecKernelENS3_8DummyVecELm8EEEvRKNS_6TensorESB_lllENKUlvE1_clEvENKUlvE0_clEvEUllllllE_EEvRNS_18TensorIteratorBaseERKT_EUlibE0_EEviT1_: ; @_ZN2at6native32elementwise_kernel_manual_unrollILi128ELi4EZNS0_15gpu_kernel_implIZZZNS0_12_GLOBAL__N_142_validate_compressed_sparse_indices_kernelILNS3_8CDimNameE0ENS3_18CUDAKernelLauncherENS3_14EmptyVecKernelENS3_8DummyVecELm8EEEvRKNS_6TensorESB_lllENKUlvE1_clEvENKUlvE0_clEvEUllllllE_EEvRNS_18TensorIteratorBaseERKT_EUlibE0_EEviT1_
; %bb.0:
	s_clause 0x1
	s_load_b32 s33, s[0:1], 0x8
	s_load_b32 s77, s[0:1], 0x0
	s_bfe_u32 s2, ttmp6, 0x4000c
	s_and_b32 s3, ttmp6, 15
	s_add_co_i32 s2, s2, 1
	s_getreg_b32 s4, hwreg(HW_REG_IB_STS2, 6, 4)
	s_mul_i32 s2, ttmp9, s2
	s_mov_b32 s67, 0
	s_add_co_i32 s3, s3, s2
	s_cmp_eq_u32 s4, 0
	s_mov_b32 s40, -1
	s_cselect_b32 s2, ttmp9, s3
	s_mov_b32 s34, 0
	v_lshl_or_b32 v0, s2, 9, v0
	s_add_nc_u64 s[2:3], s[0:1], 8
	s_wait_xcnt 0x0
	s_mov_b32 s0, exec_lo
	s_delay_alu instid0(VALU_DEP_1) | instskip(SKIP_2) | instid1(SALU_CYCLE_1)
	v_or_b32_e32 v1, 0x180, v0
	s_wait_kmcnt 0x0
	s_add_co_i32 s66, s33, -1
	s_cmp_gt_u32 s66, 1
	s_cselect_b32 s68, -1, 0
	v_cmpx_le_i32_e64 s77, v1
	s_xor_b32 s69, exec_lo, s0
	s_cbranch_execz .LBB31_2857
; %bb.1:
	s_clause 0x5
	s_load_b128 s[72:75], s[2:3], 0x318
	s_load_b128 s[96:99], s[2:3], 0x4
	s_load_b64 s[30:31], s[2:3], 0x14
	s_load_b128 s[44:47], s[2:3], 0xe4
	s_load_b256 s[8:15], s[2:3], 0xc4
	s_load_b128 s[36:39], s[2:3], 0x288
	s_cmp_lg_u32 s33, 0
	s_get_pc_i64 s[4:5]
	s_add_nc_u64 s[4:5], s[4:5], .str.1@rel64+4
	s_cselect_b32 s25, -1, 0
	s_min_u32 s76, s66, 15
	s_cmp_gt_u32 s33, 1
	s_get_pc_i64 s[6:7]
	s_add_nc_u64 s[6:7], s[6:7], .str.2@rel64+4
	s_cselect_b32 s48, -1, 0
	s_get_pc_i64 s[20:21]
	s_add_nc_u64 s[20:21], s[20:21], .str.3@rel64+4
	s_mov_b32 s51, 0
	s_mov_b32 s87, exec_lo
	s_mov_b32 s53, s51
	s_mov_b32 s86, s51
	;; [unrolled: 1-line block ×5, first 2 shown]
	s_wait_kmcnt 0x0
	s_mov_b32 s50, s97
	s_mov_b32 s52, s30
	;; [unrolled: 1-line block ×3, first 2 shown]
	s_lshr_b32 s1, s74, 8
	s_lshr_b32 s70, s74, 16
	s_lshr_b64 s[28:29], s[74:75], 24
	s_lshr_b32 s78, s75, 8
	s_cmp_lg_u64 s[4:5], 0
	s_mov_b32 s81, s51
	s_cselect_b32 s101, -1, 0
	s_cmp_lg_u64 s[6:7], 0
	s_mov_b32 s80, s51
	s_cselect_b32 vcc_hi, -1, 0
	s_cmp_lg_u64 s[20:21], 0
	s_get_pc_i64 s[20:21]
	s_add_nc_u64 s[20:21], s[20:21], .str.4@rel64+4
	s_cselect_b32 s104, -1, 0
	s_add_co_i32 s34, s38, -1
	s_mov_b32 s39, s51
	s_cmp_gt_i32 s34, -1
	s_mov_b32 s65, s51
	s_cselect_b32 s49, -1, 0
	s_cmp_lg_u64 s[20:21], 0
	s_mov_b32 s64, s51
	s_cselect_b32 s71, -1, 0
	v_cmpx_gt_i32_e64 s77, v0
	s_cbranch_execz .LBB31_651
; %bb.2:
	s_and_not1_b32 vcc_lo, exec_lo, s68
	s_cbranch_vccnz .LBB31_9
; %bb.3:
	s_and_not1_b32 vcc_lo, exec_lo, s25
	s_cbranch_vccnz .LBB31_10
; %bb.4:
	v_dual_mov_b32 v10, 0 :: v_dual_mov_b32 v1, v0
	v_dual_mov_b32 v6, 0 :: v_dual_mov_b32 v8, 0
	;; [unrolled: 1-line block ×3, first 2 shown]
	v_mov_b32_e32 v4, 0
	s_add_co_i32 s0, s76, 1
	s_mov_b64 s[20:21], 0xffffffffffffffd0
	s_mov_b32 s4, s25
	s_and_b32 s0, s0, 30
	s_add_nc_u64 s[54:55], s[2:3], s[20:21]
	s_mov_b64 s[56:57], s[2:3]
.LBB31_5:                               ; =>This Inner Loop Header: Depth=1
	s_clause 0x1
	s_load_b128 s[20:23], s[56:57], 0x4
	s_load_b64 s[40:41], s[56:57], 0x14
	s_clause 0x1
	s_load_b256 s[88:95], s[54:55], 0xf4
	s_load_b128 s[24:27], s[54:55], 0x114
	s_add_co_i32 s0, s0, -2
	s_wait_xcnt 0x0
	s_add_nc_u64 s[56:57], s[56:57], 24
	s_cmp_lg_u32 s0, 0
	s_add_nc_u64 s[54:55], s[54:55], 48
	s_wait_kmcnt 0x0
	v_mul_hi_u32 v3, s21, v1
	s_delay_alu instid0(VALU_DEP_1) | instskip(NEXT) | instid1(VALU_DEP_1)
	v_add_nc_u32_e32 v3, v1, v3
	v_lshrrev_b32_e32 v3, s22, v3
	s_delay_alu instid0(VALU_DEP_1) | instskip(SKIP_1) | instid1(VALU_DEP_1)
	v_mul_hi_u32 v5, s40, v3
	v_mul_lo_u32 v7, v3, s20
	v_dual_add_nc_u32 v5, v3, v5 :: v_dual_sub_nc_u32 v7, v1, v7
	s_delay_alu instid0(VALU_DEP_1) | instskip(NEXT) | instid1(VALU_DEP_2)
	v_lshrrev_b32_e32 v1, s41, v5
	v_mad_u32 v4, v7, s89, v4
	v_mad_u32 v2, v7, s88, v2
	;; [unrolled: 1-line block ×4, first 2 shown]
	v_mul_lo_u32 v5, v1, s23
	v_mad_u32 v6, s93, v7, v6
	v_mad_u32 v7, s92, v7, v10
	s_delay_alu instid0(VALU_DEP_3) | instskip(NEXT) | instid1(VALU_DEP_1)
	v_sub_nc_u32_e32 v3, v3, v5
	v_mad_u32 v4, v3, s95, v4
	v_mad_u32 v2, v3, s94, v2
	;; [unrolled: 1-line block ×6, first 2 shown]
	s_cbranch_scc1 .LBB31_5
; %bb.6:
	s_bitcmp1_b32 s76, 0
	s_cselect_b32 s0, -1, 0
	s_delay_alu instid0(SALU_CYCLE_1)
	s_and_b32 vcc_lo, exec_lo, s0
	s_cbranch_vccnz .LBB31_8
; %bb.7:
	s_load_b96 s[24:26], s[56:57], 0x4
	s_wait_kmcnt 0x0
	v_mul_hi_u32 v3, s25, v1
	s_delay_alu instid0(VALU_DEP_1) | instskip(NEXT) | instid1(VALU_DEP_1)
	v_add_nc_u32_e32 v3, v1, v3
	v_lshrrev_b32_e32 v3, s26, v3
	s_clause 0x1
	s_load_b128 s[20:23], s[54:55], 0xf4
	s_load_b64 s[26:27], s[54:55], 0x104
	s_delay_alu instid0(VALU_DEP_1) | instskip(NEXT) | instid1(VALU_DEP_1)
	v_mul_lo_u32 v3, v3, s24
	v_sub_nc_u32_e32 v1, v1, v3
	s_wait_kmcnt 0x0
	s_delay_alu instid0(VALU_DEP_1)
	v_mad_u32 v2, v1, s20, v2
	v_mad_u32 v4, v1, s21, v4
	;; [unrolled: 1-line block ×6, first 2 shown]
.LBB31_8:
	s_mov_b32 s25, s4
	s_cbranch_execz .LBB31_11
	s_branch .LBB31_13
.LBB31_9:
                                        ; implicit-def: $vgpr4
                                        ; implicit-def: $vgpr2
                                        ; implicit-def: $vgpr12
                                        ; implicit-def: $vgpr8
                                        ; implicit-def: $vgpr6
                                        ; implicit-def: $vgpr10
	s_branch .LBB31_11
.LBB31_10:
	v_dual_mov_b32 v4, 0 :: v_dual_mov_b32 v2, 0
	v_dual_mov_b32 v12, 0 :: v_dual_mov_b32 v8, 0
	;; [unrolled: 1-line block ×3, first 2 shown]
	s_cbranch_execnz .LBB31_13
.LBB31_11:
	v_mov_b32_e32 v1, 0
	s_and_not1_b32 vcc_lo, exec_lo, s48
	s_delay_alu instid0(VALU_DEP_1) | instskip(NEXT) | instid1(VALU_DEP_1)
	v_mul_u64_e32 v[2:3], s[50:51], v[0:1]
	v_add_nc_u32_e32 v2, v0, v3
	s_delay_alu instid0(VALU_DEP_1) | instskip(NEXT) | instid1(VALU_DEP_1)
	v_lshrrev_b32_e32 v14, s98, v2
	v_mul_lo_u32 v2, v14, s96
	s_delay_alu instid0(VALU_DEP_1) | instskip(NEXT) | instid1(VALU_DEP_1)
	v_sub_nc_u32_e32 v3, v0, v2
	v_mul_lo_u32 v4, v3, s9
	v_mul_lo_u32 v2, v3, s8
	;; [unrolled: 1-line block ×6, first 2 shown]
	s_cbranch_vccnz .LBB31_13
; %bb.12:
	v_mov_b32_e32 v15, v1
	s_delay_alu instid0(VALU_DEP_1) | instskip(NEXT) | instid1(VALU_DEP_1)
	v_mul_u64_e32 v[16:17], s[52:53], v[14:15]
	v_add_nc_u32_e32 v1, v14, v17
	s_delay_alu instid0(VALU_DEP_1) | instskip(NEXT) | instid1(VALU_DEP_1)
	v_lshrrev_b32_e32 v1, s31, v1
	v_mul_lo_u32 v1, v1, s99
	s_delay_alu instid0(VALU_DEP_1) | instskip(NEXT) | instid1(VALU_DEP_1)
	v_sub_nc_u32_e32 v1, v14, v1
	v_mad_u32 v2, v1, s14, v2
	v_mad_u32 v4, v1, s15, v4
	;; [unrolled: 1-line block ×6, first 2 shown]
.LBB31_13:
	s_load_b512 s[4:19], s[2:3], 0x248
	v_mov_b32_e32 v5, 0
	s_and_b32 s0, s1, 0xff
	s_delay_alu instid0(SALU_CYCLE_1) | instskip(SKIP_1) | instid1(VALU_DEP_1)
	s_cmp_lt_i32 s0, 11
	s_wait_kmcnt 0x0
	v_add_nc_u64_e32 v[14:15], s[6:7], v[4:5]
	s_cbranch_scc1 .LBB31_20
; %bb.14:
	s_and_b32 s35, 0xffff, s0
	s_delay_alu instid0(SALU_CYCLE_1)
	s_cmp_gt_i32 s35, 25
	s_cbranch_scc0 .LBB31_29
; %bb.15:
	s_cmp_gt_i32 s35, 28
	s_cbranch_scc0 .LBB31_39
; %bb.16:
	;; [unrolled: 3-line block ×4, first 2 shown]
	s_cmp_eq_u32 s35, 46
	s_mov_b32 s40, 0
	s_cbranch_scc0 .LBB31_48
; %bb.19:
	global_load_b32 v1, v[14:15], off
	s_mov_b32 s39, -1
	s_mov_b32 s86, 0
	s_wait_loadcnt 0x0
	v_lshlrev_b32_e32 v1, 16, v1
	s_delay_alu instid0(VALU_DEP_1) | instskip(NEXT) | instid1(VALU_DEP_1)
	v_trunc_f32_e32 v1, v1
	v_mul_f32_e64 v3, 0x2f800000, |v1|
	v_ashrrev_i32_e32 v4, 31, v1
	s_delay_alu instid0(VALU_DEP_2) | instskip(NEXT) | instid1(VALU_DEP_1)
	v_floor_f32_e32 v3, v3
	v_fma_f32 v5, 0xcf800000, v3, |v1|
	v_cvt_u32_f32_e32 v1, v3
	s_delay_alu instid0(VALU_DEP_2) | instskip(NEXT) | instid1(VALU_DEP_2)
	v_cvt_u32_f32_e32 v3, v5
	v_dual_mov_b32 v5, v4 :: v_dual_bitop2_b32 v17, v1, v4 bitop3:0x14
	s_delay_alu instid0(VALU_DEP_2) | instskip(NEXT) | instid1(VALU_DEP_1)
	v_xor_b32_e32 v16, v3, v4
	v_sub_nc_u64_e32 v[4:5], v[16:17], v[4:5]
	s_branch .LBB31_50
.LBB31_20:
	s_mov_b32 s86, 0
	s_mov_b32 s39, 0
                                        ; implicit-def: $vgpr4_vgpr5
	s_cbranch_execnz .LBB31_112
.LBB31_21:
	s_and_not1_b32 vcc_lo, exec_lo, s39
	s_cbranch_vccnz .LBB31_159
.LBB31_22:
	s_load_b512 s[4:19], s[2:3], 0x248
	v_mov_b32_e32 v9, 0
	s_and_b32 s0, s70, 0xff
	s_delay_alu instid0(SALU_CYCLE_1) | instskip(SKIP_1) | instid1(VALU_DEP_1)
	s_cmp_lt_i32 s0, 11
	s_wait_kmcnt 0x0
	v_add_nc_u64_e32 v[14:15], s[8:9], v[8:9]
	s_cbranch_scc1 .LBB31_30
; %bb.23:
	s_and_b32 s35, 0xffff, s0
	s_delay_alu instid0(SALU_CYCLE_1)
	s_cmp_gt_i32 s35, 25
	s_cbranch_scc0 .LBB31_40
; %bb.24:
	s_cmp_gt_i32 s35, 28
	s_cbranch_scc0 .LBB31_43
; %bb.25:
	;; [unrolled: 3-line block ×4, first 2 shown]
	s_cmp_eq_u32 s35, 46
	s_mov_b32 s40, 0
	s_cbranch_scc0 .LBB31_160
; %bb.28:
	global_load_b32 v1, v[14:15], off
	s_mov_b32 s39, -1
	s_mov_b32 s85, 0
	s_wait_loadcnt 0x0
	v_lshlrev_b32_e32 v1, 16, v1
	s_delay_alu instid0(VALU_DEP_1) | instskip(NEXT) | instid1(VALU_DEP_1)
	v_trunc_f32_e32 v1, v1
	v_mul_f32_e64 v3, 0x2f800000, |v1|
	v_ashrrev_i32_e32 v8, 31, v1
	s_delay_alu instid0(VALU_DEP_2) | instskip(NEXT) | instid1(VALU_DEP_2)
	v_floor_f32_e32 v3, v3
	v_mov_b32_e32 v9, v8
	s_delay_alu instid0(VALU_DEP_2) | instskip(SKIP_1) | instid1(VALU_DEP_2)
	v_fma_f32 v7, 0xcf800000, v3, |v1|
	v_cvt_u32_f32_e32 v1, v3
	v_cvt_u32_f32_e32 v3, v7
	s_delay_alu instid0(VALU_DEP_2) | instskip(NEXT) | instid1(VALU_DEP_2)
	v_xor_b32_e32 v17, v1, v8
	v_xor_b32_e32 v16, v3, v8
	s_delay_alu instid0(VALU_DEP_1)
	v_sub_nc_u64_e32 v[8:9], v[16:17], v[8:9]
	s_branch .LBB31_162
.LBB31_29:
	s_mov_b32 s86, 0
	s_mov_b32 s39, 0
                                        ; implicit-def: $vgpr4_vgpr5
	s_cbranch_execnz .LBB31_79
	s_branch .LBB31_111
.LBB31_30:
	s_mov_b32 s85, 0
	s_mov_b32 s39, 0
                                        ; implicit-def: $vgpr8_vgpr9
	s_cbranch_execnz .LBB31_224
.LBB31_31:
	s_and_not1_b32 vcc_lo, exec_lo, s39
	s_cbranch_vccnz .LBB31_272
.LBB31_32:
	s_load_b512 s[4:19], s[2:3], 0x248
	v_mov_b32_e32 v13, 0
	s_and_b32 s0, s28, 0xff
	s_delay_alu instid0(SALU_CYCLE_1) | instskip(SKIP_1) | instid1(VALU_DEP_1)
	s_cmp_lt_i32 s0, 11
	s_wait_kmcnt 0x0
	v_add_nc_u64_e32 v[14:15], s[10:11], v[12:13]
	s_cbranch_scc1 .LBB31_41
; %bb.33:
	s_and_b32 s35, 0xffff, s0
	s_delay_alu instid0(SALU_CYCLE_1)
	s_cmp_gt_i32 s35, 25
	s_cbranch_scc0 .LBB31_44
; %bb.34:
	s_cmp_gt_i32 s35, 28
	s_cbranch_scc0 .LBB31_47
; %bb.35:
	;; [unrolled: 3-line block ×4, first 2 shown]
	s_cmp_eq_u32 s35, 46
	s_mov_b32 s40, 0
	s_cbranch_scc0 .LBB31_273
; %bb.38:
	global_load_b32 v1, v[14:15], off
	s_mov_b32 s39, -1
	s_mov_b32 s84, 0
	s_wait_loadcnt 0x0
	v_lshlrev_b32_e32 v1, 16, v1
	s_delay_alu instid0(VALU_DEP_1) | instskip(NEXT) | instid1(VALU_DEP_1)
	v_trunc_f32_e32 v1, v1
	v_mul_f32_e64 v3, 0x2f800000, |v1|
	v_ashrrev_i32_e32 v12, 31, v1
	s_delay_alu instid0(VALU_DEP_2) | instskip(NEXT) | instid1(VALU_DEP_2)
	v_floor_f32_e32 v3, v3
	v_mov_b32_e32 v13, v12
	s_delay_alu instid0(VALU_DEP_2) | instskip(SKIP_1) | instid1(VALU_DEP_2)
	v_fma_f32 v7, 0xcf800000, v3, |v1|
	v_cvt_u32_f32_e32 v1, v3
	v_cvt_u32_f32_e32 v3, v7
	s_delay_alu instid0(VALU_DEP_2) | instskip(NEXT) | instid1(VALU_DEP_2)
	v_xor_b32_e32 v17, v1, v12
	v_xor_b32_e32 v16, v3, v12
	s_delay_alu instid0(VALU_DEP_1)
	v_sub_nc_u64_e32 v[12:13], v[16:17], v[12:13]
	s_branch .LBB31_275
.LBB31_39:
	s_mov_b32 s40, -1
	s_mov_b32 s86, 0
	s_mov_b32 s39, 0
                                        ; implicit-def: $vgpr4_vgpr5
	s_branch .LBB31_62
.LBB31_40:
	s_mov_b32 s40, -1
	s_mov_b32 s85, 0
	s_mov_b32 s39, 0
                                        ; implicit-def: $vgpr8_vgpr9
	s_branch .LBB31_190
.LBB31_41:
	s_mov_b32 s35, -1
	s_mov_b32 s84, 0
	s_mov_b32 s39, 0
                                        ; implicit-def: $vgpr12_vgpr13
	s_branch .LBB31_336
.LBB31_42:
	s_mov_b32 s40, -1
	s_mov_b32 s86, 0
	s_mov_b32 s39, 0
                                        ; implicit-def: $vgpr4_vgpr5
	s_branch .LBB31_57
.LBB31_43:
	s_mov_b32 s40, -1
	s_mov_b32 s85, 0
	s_mov_b32 s39, 0
                                        ; implicit-def: $vgpr8_vgpr9
	s_branch .LBB31_173
.LBB31_44:
	s_mov_b32 s40, -1
	s_mov_b32 s84, 0
	s_mov_b32 s39, 0
                                        ; implicit-def: $vgpr12_vgpr13
	s_branch .LBB31_302
.LBB31_45:
	s_mov_b32 s40, -1
	s_mov_b32 s86, 0
	s_branch .LBB31_49
.LBB31_46:
	s_mov_b32 s40, -1
	s_mov_b32 s85, 0
	s_mov_b32 s39, 0
                                        ; implicit-def: $vgpr8_vgpr9
	s_branch .LBB31_168
.LBB31_47:
	s_mov_b32 s40, -1
	s_mov_b32 s84, 0
	s_mov_b32 s39, 0
                                        ; implicit-def: $vgpr12_vgpr13
	s_branch .LBB31_285
.LBB31_48:
	s_mov_b32 s86, -1
.LBB31_49:
	s_mov_b32 s39, 0
                                        ; implicit-def: $vgpr4_vgpr5
.LBB31_50:
	s_and_b32 vcc_lo, exec_lo, s40
	s_cbranch_vccz .LBB31_56
; %bb.51:
	s_cmp_eq_u32 s35, 44
	s_cbranch_scc0 .LBB31_55
; %bb.52:
	global_load_u8 v1, v[14:15], off
	s_mov_b32 s86, 0
	s_mov_b32 s39, -1
	s_wait_loadcnt 0x0
	v_lshlrev_b32_e32 v3, 23, v1
	v_cmp_ne_u32_e32 vcc_lo, 0, v1
	s_delay_alu instid0(VALU_DEP_2) | instskip(NEXT) | instid1(VALU_DEP_1)
	v_trunc_f32_e32 v3, v3
	v_mul_f32_e64 v4, 0x2f800000, |v3|
	s_delay_alu instid0(VALU_DEP_1) | instskip(SKIP_1) | instid1(VALU_DEP_2)
	v_floor_f32_e32 v5, v4
	v_ashrrev_i32_e32 v4, 31, v3
	v_fma_f32 v7, 0xcf800000, v5, |v3|
	v_cvt_u32_f32_e32 v3, v5
	s_delay_alu instid0(VALU_DEP_3) | instskip(NEXT) | instid1(VALU_DEP_3)
	v_mov_b32_e32 v5, v4
	v_cvt_u32_f32_e32 v7, v7
	s_delay_alu instid0(VALU_DEP_3) | instskip(NEXT) | instid1(VALU_DEP_2)
	v_xor_b32_e32 v17, v3, v4
	v_xor_b32_e32 v16, v7, v4
	s_delay_alu instid0(VALU_DEP_1) | instskip(NEXT) | instid1(VALU_DEP_1)
	v_sub_nc_u64_e32 v[4:5], v[16:17], v[4:5]
	v_dual_cndmask_b32 v5, 0, v5 :: v_dual_cndmask_b32 v4, 0, v4
	s_branch .LBB31_56
.LBB31_53:
	s_mov_b32 s40, -1
	s_mov_b32 s85, 0
	s_branch .LBB31_161
.LBB31_54:
	s_mov_b32 s40, -1
	s_mov_b32 s84, 0
	s_mov_b32 s39, 0
                                        ; implicit-def: $vgpr12_vgpr13
	s_branch .LBB31_280
.LBB31_55:
	s_mov_b32 s86, -1
                                        ; implicit-def: $vgpr4_vgpr5
.LBB31_56:
	s_mov_b32 s40, 0
.LBB31_57:
	s_delay_alu instid0(SALU_CYCLE_1)
	s_and_b32 vcc_lo, exec_lo, s40
	s_cbranch_vccz .LBB31_61
; %bb.58:
	s_cmp_eq_u32 s35, 29
	s_cbranch_scc0 .LBB31_60
; %bb.59:
	global_load_b64 v[4:5], v[14:15], off
	s_mov_b32 s39, -1
	s_mov_b32 s86, 0
	s_branch .LBB31_61
.LBB31_60:
	s_mov_b32 s86, -1
                                        ; implicit-def: $vgpr4_vgpr5
.LBB31_61:
	s_mov_b32 s40, 0
.LBB31_62:
	s_delay_alu instid0(SALU_CYCLE_1)
	s_and_b32 vcc_lo, exec_lo, s40
	s_cbranch_vccz .LBB31_78
; %bb.63:
	s_cmp_lt_i32 s35, 27
	s_cbranch_scc1 .LBB31_66
; %bb.64:
	s_cmp_gt_i32 s35, 27
	s_cbranch_scc0 .LBB31_67
; %bb.65:
	s_wait_loadcnt 0x0
	global_load_b32 v4, v[14:15], off
	v_mov_b32_e32 v5, 0
	s_mov_b32 s39, 0
	s_branch .LBB31_68
.LBB31_66:
	s_mov_b32 s39, -1
                                        ; implicit-def: $vgpr4_vgpr5
	s_branch .LBB31_71
.LBB31_67:
	s_mov_b32 s39, -1
                                        ; implicit-def: $vgpr4_vgpr5
.LBB31_68:
	s_delay_alu instid0(SALU_CYCLE_1)
	s_and_not1_b32 vcc_lo, exec_lo, s39
	s_cbranch_vccnz .LBB31_70
; %bb.69:
	global_load_u16 v1, v[14:15], off
	s_mov_b32 s20, 0
	s_wait_loadcnt 0x1
	v_mov_b32_e32 v5, s20
	s_wait_loadcnt 0x0
	v_and_b32_e32 v4, 0xffff, v1
.LBB31_70:
	s_mov_b32 s39, 0
.LBB31_71:
	s_delay_alu instid0(SALU_CYCLE_1)
	s_and_not1_b32 vcc_lo, exec_lo, s39
	s_cbranch_vccnz .LBB31_77
; %bb.72:
	global_load_u8 v1, v[14:15], off
	s_mov_b32 s40, 0
	s_mov_b32 s20, exec_lo
	s_wait_loadcnt 0x0
	v_cmpx_lt_i16_e32 0x7f, v1
	s_xor_b32 s39, exec_lo, s20
	s_cbranch_execz .LBB31_88
; %bb.73:
	v_cmp_ne_u16_e32 vcc_lo, 0x80, v1
	s_and_b32 s40, vcc_lo, exec_lo
	s_and_not1_saveexec_b32 s39, s39
	s_cbranch_execnz .LBB31_89
.LBB31_74:
	s_or_b32 exec_lo, exec_lo, s39
	v_mov_b64_e32 v[4:5], 0
	s_and_saveexec_b32 s39, s40
	s_cbranch_execz .LBB31_76
.LBB31_75:
	v_and_b32_e32 v3, 0xffff, v1
	s_delay_alu instid0(VALU_DEP_1) | instskip(SKIP_1) | instid1(VALU_DEP_2)
	v_and_b32_e32 v4, 7, v3
	v_bfe_u32 v9, v3, 3, 4
	v_clz_i32_u32_e32 v5, v4
	s_delay_alu instid0(VALU_DEP_2) | instskip(NEXT) | instid1(VALU_DEP_2)
	v_cmp_eq_u32_e32 vcc_lo, 0, v9
	v_min_u32_e32 v5, 32, v5
	s_delay_alu instid0(VALU_DEP_1) | instskip(NEXT) | instid1(VALU_DEP_1)
	v_subrev_nc_u32_e32 v7, 28, v5
	v_dual_lshlrev_b32 v3, v7, v3 :: v_dual_sub_nc_u32 v5, 29, v5
	s_delay_alu instid0(VALU_DEP_1) | instskip(NEXT) | instid1(VALU_DEP_1)
	v_dual_lshlrev_b32 v1, 24, v1 :: v_dual_bitop2_b32 v3, 7, v3 bitop3:0x40
	v_dual_cndmask_b32 v3, v4, v3, vcc_lo :: v_dual_cndmask_b32 v5, v9, v5, vcc_lo
	s_delay_alu instid0(VALU_DEP_2) | instskip(NEXT) | instid1(VALU_DEP_2)
	v_and_b32_e32 v1, 0x80000000, v1
	v_lshlrev_b32_e32 v3, 20, v3
	s_delay_alu instid0(VALU_DEP_3) | instskip(NEXT) | instid1(VALU_DEP_1)
	v_lshl_add_u32 v4, v5, 23, 0x3b800000
	v_or3_b32 v1, v1, v4, v3
	s_delay_alu instid0(VALU_DEP_1) | instskip(NEXT) | instid1(VALU_DEP_1)
	v_trunc_f32_e32 v1, v1
	v_mul_f32_e64 v3, 0x2f800000, |v1|
	v_ashrrev_i32_e32 v4, 31, v1
	s_delay_alu instid0(VALU_DEP_2) | instskip(NEXT) | instid1(VALU_DEP_1)
	v_floor_f32_e32 v3, v3
	v_fma_f32 v5, 0xcf800000, v3, |v1|
	v_cvt_u32_f32_e32 v1, v3
	s_delay_alu instid0(VALU_DEP_2) | instskip(NEXT) | instid1(VALU_DEP_2)
	v_cvt_u32_f32_e32 v3, v5
	v_dual_mov_b32 v5, v4 :: v_dual_bitop2_b32 v17, v1, v4 bitop3:0x14
	s_delay_alu instid0(VALU_DEP_2) | instskip(NEXT) | instid1(VALU_DEP_1)
	v_xor_b32_e32 v16, v3, v4
	v_sub_nc_u64_e32 v[4:5], v[16:17], v[4:5]
.LBB31_76:
	s_or_b32 exec_lo, exec_lo, s39
.LBB31_77:
	s_mov_b32 s39, -1
.LBB31_78:
	s_branch .LBB31_111
.LBB31_79:
	s_cmp_gt_i32 s35, 22
	s_cbranch_scc0 .LBB31_87
; %bb.80:
	s_cmp_lt_i32 s35, 24
	s_cbranch_scc1 .LBB31_90
; %bb.81:
	s_cmp_gt_i32 s35, 24
	s_cbranch_scc0 .LBB31_91
; %bb.82:
	global_load_u8 v1, v[14:15], off
	s_mov_b32 s40, 0
	s_mov_b32 s20, exec_lo
	s_wait_loadcnt 0x0
	v_cmpx_lt_i16_e32 0x7f, v1
	s_xor_b32 s39, exec_lo, s20
	s_cbranch_execz .LBB31_103
; %bb.83:
	v_cmp_ne_u16_e32 vcc_lo, 0x80, v1
	s_and_b32 s40, vcc_lo, exec_lo
	s_and_not1_saveexec_b32 s39, s39
	s_cbranch_execnz .LBB31_104
.LBB31_84:
	s_or_b32 exec_lo, exec_lo, s39
	v_mov_b64_e32 v[4:5], 0
	s_and_saveexec_b32 s39, s40
	s_cbranch_execz .LBB31_86
.LBB31_85:
	v_and_b32_e32 v3, 0xffff, v1
	s_delay_alu instid0(VALU_DEP_1) | instskip(SKIP_1) | instid1(VALU_DEP_2)
	v_and_b32_e32 v4, 3, v3
	v_bfe_u32 v9, v3, 2, 5
	v_clz_i32_u32_e32 v5, v4
	s_delay_alu instid0(VALU_DEP_2) | instskip(NEXT) | instid1(VALU_DEP_2)
	v_cmp_eq_u32_e32 vcc_lo, 0, v9
	v_min_u32_e32 v5, 32, v5
	s_delay_alu instid0(VALU_DEP_1) | instskip(NEXT) | instid1(VALU_DEP_1)
	v_subrev_nc_u32_e32 v7, 29, v5
	v_dual_lshlrev_b32 v3, v7, v3 :: v_dual_sub_nc_u32 v5, 30, v5
	s_delay_alu instid0(VALU_DEP_1) | instskip(NEXT) | instid1(VALU_DEP_1)
	v_dual_lshlrev_b32 v1, 24, v1 :: v_dual_bitop2_b32 v3, 3, v3 bitop3:0x40
	v_dual_cndmask_b32 v3, v4, v3, vcc_lo :: v_dual_cndmask_b32 v5, v9, v5, vcc_lo
	s_delay_alu instid0(VALU_DEP_2) | instskip(NEXT) | instid1(VALU_DEP_2)
	v_and_b32_e32 v1, 0x80000000, v1
	v_lshlrev_b32_e32 v3, 21, v3
	s_delay_alu instid0(VALU_DEP_3) | instskip(NEXT) | instid1(VALU_DEP_1)
	v_lshl_add_u32 v4, v5, 23, 0x37800000
	v_or3_b32 v1, v1, v4, v3
	s_delay_alu instid0(VALU_DEP_1) | instskip(NEXT) | instid1(VALU_DEP_1)
	v_trunc_f32_e32 v1, v1
	v_mul_f32_e64 v3, 0x2f800000, |v1|
	v_ashrrev_i32_e32 v4, 31, v1
	s_delay_alu instid0(VALU_DEP_2) | instskip(NEXT) | instid1(VALU_DEP_1)
	v_floor_f32_e32 v3, v3
	v_fma_f32 v5, 0xcf800000, v3, |v1|
	v_cvt_u32_f32_e32 v1, v3
	s_delay_alu instid0(VALU_DEP_2) | instskip(NEXT) | instid1(VALU_DEP_2)
	v_cvt_u32_f32_e32 v3, v5
	v_dual_mov_b32 v5, v4 :: v_dual_bitop2_b32 v17, v1, v4 bitop3:0x14
	s_delay_alu instid0(VALU_DEP_2) | instskip(NEXT) | instid1(VALU_DEP_1)
	v_xor_b32_e32 v16, v3, v4
	v_sub_nc_u64_e32 v[4:5], v[16:17], v[4:5]
.LBB31_86:
	s_or_b32 exec_lo, exec_lo, s39
	s_mov_b32 s39, 0
	s_branch .LBB31_92
.LBB31_87:
	s_mov_b32 s40, -1
                                        ; implicit-def: $vgpr4_vgpr5
	s_branch .LBB31_98
.LBB31_88:
	s_and_not1_saveexec_b32 s39, s39
	s_cbranch_execz .LBB31_74
.LBB31_89:
	v_cmp_ne_u16_e32 vcc_lo, 0, v1
	s_and_not1_b32 s20, s40, exec_lo
	s_and_b32 s21, vcc_lo, exec_lo
	s_delay_alu instid0(SALU_CYCLE_1)
	s_or_b32 s40, s20, s21
	s_or_b32 exec_lo, exec_lo, s39
	v_mov_b64_e32 v[4:5], 0
	s_and_saveexec_b32 s39, s40
	s_cbranch_execnz .LBB31_75
	s_branch .LBB31_76
.LBB31_90:
	s_mov_b32 s39, -1
                                        ; implicit-def: $vgpr4_vgpr5
	s_branch .LBB31_95
.LBB31_91:
	s_mov_b32 s39, -1
                                        ; implicit-def: $vgpr4_vgpr5
.LBB31_92:
	s_delay_alu instid0(SALU_CYCLE_1)
	s_and_b32 vcc_lo, exec_lo, s39
	s_cbranch_vccz .LBB31_94
; %bb.93:
	global_load_u8 v1, v[14:15], off
	s_wait_loadcnt 0x0
	v_lshlrev_b32_e32 v1, 24, v1
	s_delay_alu instid0(VALU_DEP_1) | instskip(NEXT) | instid1(VALU_DEP_1)
	v_and_b32_e32 v3, 0x7f000000, v1
	v_clz_i32_u32_e32 v4, v3
	v_add_nc_u32_e32 v7, 0x1000000, v3
	v_cmp_ne_u32_e32 vcc_lo, 0, v3
	s_delay_alu instid0(VALU_DEP_3) | instskip(NEXT) | instid1(VALU_DEP_1)
	v_min_u32_e32 v4, 32, v4
	v_sub_nc_u32_e64 v4, v4, 4 clamp
	s_delay_alu instid0(VALU_DEP_1) | instskip(NEXT) | instid1(VALU_DEP_1)
	v_dual_lshlrev_b32 v5, v4, v3 :: v_dual_lshlrev_b32 v4, 23, v4
	v_lshrrev_b32_e32 v5, 4, v5
	s_delay_alu instid0(VALU_DEP_1) | instskip(NEXT) | instid1(VALU_DEP_1)
	v_dual_sub_nc_u32 v4, v5, v4 :: v_dual_ashrrev_i32 v5, 8, v7
	v_add_nc_u32_e32 v4, 0x3c000000, v4
	s_delay_alu instid0(VALU_DEP_1) | instskip(NEXT) | instid1(VALU_DEP_1)
	v_and_or_b32 v4, 0x7f800000, v5, v4
	v_cndmask_b32_e32 v3, 0, v4, vcc_lo
	s_delay_alu instid0(VALU_DEP_1) | instskip(NEXT) | instid1(VALU_DEP_1)
	v_and_or_b32 v1, 0x80000000, v1, v3
	v_trunc_f32_e32 v1, v1
	s_delay_alu instid0(VALU_DEP_1) | instskip(SKIP_1) | instid1(VALU_DEP_2)
	v_mul_f32_e64 v3, 0x2f800000, |v1|
	v_ashrrev_i32_e32 v4, 31, v1
	v_floor_f32_e32 v3, v3
	s_delay_alu instid0(VALU_DEP_1) | instskip(SKIP_1) | instid1(VALU_DEP_2)
	v_fma_f32 v5, 0xcf800000, v3, |v1|
	v_cvt_u32_f32_e32 v1, v3
	v_cvt_u32_f32_e32 v3, v5
	s_delay_alu instid0(VALU_DEP_2) | instskip(NEXT) | instid1(VALU_DEP_2)
	v_dual_mov_b32 v5, v4 :: v_dual_bitop2_b32 v17, v1, v4 bitop3:0x14
	v_xor_b32_e32 v16, v3, v4
	s_delay_alu instid0(VALU_DEP_1)
	v_sub_nc_u64_e32 v[4:5], v[16:17], v[4:5]
.LBB31_94:
	s_mov_b32 s39, 0
.LBB31_95:
	s_delay_alu instid0(SALU_CYCLE_1)
	s_and_not1_b32 vcc_lo, exec_lo, s39
	s_cbranch_vccnz .LBB31_97
; %bb.96:
	global_load_u8 v1, v[14:15], off
	s_wait_loadcnt 0x0
	v_lshlrev_b32_e32 v3, 25, v1
	v_lshlrev_b16 v1, 8, v1
	s_delay_alu instid0(VALU_DEP_1) | instskip(NEXT) | instid1(VALU_DEP_3)
	v_and_or_b32 v5, 0x7f00, v1, 0.5
	v_lshrrev_b32_e32 v4, 4, v3
	v_bfe_i32 v1, v1, 0, 16
	s_delay_alu instid0(VALU_DEP_3) | instskip(NEXT) | instid1(VALU_DEP_3)
	v_add_f32_e32 v5, -0.5, v5
	v_or_b32_e32 v4, 0x70000000, v4
	s_delay_alu instid0(VALU_DEP_1) | instskip(SKIP_1) | instid1(VALU_DEP_2)
	v_mul_f32_e32 v4, 0x7800000, v4
	v_cmp_gt_u32_e32 vcc_lo, 0x8000000, v3
	v_cndmask_b32_e32 v3, v4, v5, vcc_lo
	s_delay_alu instid0(VALU_DEP_1) | instskip(NEXT) | instid1(VALU_DEP_1)
	v_and_or_b32 v1, 0x80000000, v1, v3
	v_trunc_f32_e32 v1, v1
	s_delay_alu instid0(VALU_DEP_1) | instskip(SKIP_1) | instid1(VALU_DEP_2)
	v_mul_f32_e64 v3, 0x2f800000, |v1|
	v_ashrrev_i32_e32 v4, 31, v1
	v_floor_f32_e32 v3, v3
	s_delay_alu instid0(VALU_DEP_1) | instskip(SKIP_1) | instid1(VALU_DEP_2)
	v_fma_f32 v5, 0xcf800000, v3, |v1|
	v_cvt_u32_f32_e32 v1, v3
	v_cvt_u32_f32_e32 v3, v5
	s_delay_alu instid0(VALU_DEP_2) | instskip(NEXT) | instid1(VALU_DEP_2)
	v_dual_mov_b32 v5, v4 :: v_dual_bitop2_b32 v17, v1, v4 bitop3:0x14
	v_xor_b32_e32 v16, v3, v4
	s_delay_alu instid0(VALU_DEP_1)
	v_sub_nc_u64_e32 v[4:5], v[16:17], v[4:5]
.LBB31_97:
	s_mov_b32 s40, 0
	s_mov_b32 s39, -1
.LBB31_98:
	s_and_not1_b32 vcc_lo, exec_lo, s40
	s_cbranch_vccnz .LBB31_111
; %bb.99:
	s_cmp_gt_i32 s35, 14
	s_cbranch_scc0 .LBB31_102
; %bb.100:
	s_cmp_eq_u32 s35, 15
	s_cbranch_scc0 .LBB31_105
; %bb.101:
	global_load_u16 v1, v[14:15], off
	s_mov_b32 s39, -1
	s_mov_b32 s86, 0
	s_wait_loadcnt 0x0
	v_lshlrev_b32_e32 v1, 16, v1
	s_delay_alu instid0(VALU_DEP_1) | instskip(NEXT) | instid1(VALU_DEP_1)
	v_trunc_f32_e32 v1, v1
	v_mul_f32_e64 v3, 0x2f800000, |v1|
	v_ashrrev_i32_e32 v4, 31, v1
	s_delay_alu instid0(VALU_DEP_2) | instskip(NEXT) | instid1(VALU_DEP_1)
	v_floor_f32_e32 v3, v3
	v_fma_f32 v5, 0xcf800000, v3, |v1|
	v_cvt_u32_f32_e32 v1, v3
	s_delay_alu instid0(VALU_DEP_2) | instskip(NEXT) | instid1(VALU_DEP_2)
	v_cvt_u32_f32_e32 v3, v5
	v_dual_mov_b32 v5, v4 :: v_dual_bitop2_b32 v17, v1, v4 bitop3:0x14
	s_delay_alu instid0(VALU_DEP_2) | instskip(NEXT) | instid1(VALU_DEP_1)
	v_xor_b32_e32 v16, v3, v4
	v_sub_nc_u64_e32 v[4:5], v[16:17], v[4:5]
	s_branch .LBB31_106
.LBB31_102:
	s_mov_b32 s40, -1
                                        ; implicit-def: $vgpr4_vgpr5
	s_branch .LBB31_107
.LBB31_103:
	s_and_not1_saveexec_b32 s39, s39
	s_cbranch_execz .LBB31_84
.LBB31_104:
	v_cmp_ne_u16_e32 vcc_lo, 0, v1
	s_and_not1_b32 s20, s40, exec_lo
	s_and_b32 s21, vcc_lo, exec_lo
	s_delay_alu instid0(SALU_CYCLE_1)
	s_or_b32 s40, s20, s21
	s_or_b32 exec_lo, exec_lo, s39
	v_mov_b64_e32 v[4:5], 0
	s_and_saveexec_b32 s39, s40
	s_cbranch_execnz .LBB31_85
	s_branch .LBB31_86
.LBB31_105:
	s_mov_b32 s86, -1
                                        ; implicit-def: $vgpr4_vgpr5
.LBB31_106:
	s_mov_b32 s40, 0
.LBB31_107:
	s_delay_alu instid0(SALU_CYCLE_1)
	s_and_b32 vcc_lo, exec_lo, s40
	s_cbranch_vccz .LBB31_111
; %bb.108:
	s_cmp_eq_u32 s35, 11
	s_cbranch_scc0 .LBB31_110
; %bb.109:
	global_load_u8 v1, v[14:15], off
	s_mov_b32 s86, 0
	s_mov_b32 s39, -1
	s_wait_loadcnt 0x1
	v_mov_b32_e32 v5, s86
	s_wait_loadcnt 0x0
	v_cmp_ne_u16_e32 vcc_lo, 0, v1
	v_cndmask_b32_e64 v4, 0, 1, vcc_lo
	s_branch .LBB31_111
.LBB31_110:
	s_mov_b32 s86, -1
                                        ; implicit-def: $vgpr4_vgpr5
.LBB31_111:
	s_branch .LBB31_21
.LBB31_112:
	s_and_b32 s0, 0xffff, s0
	s_delay_alu instid0(SALU_CYCLE_1)
	s_cmp_lt_i32 s0, 5
	s_cbranch_scc1 .LBB31_117
; %bb.113:
	s_cmp_lt_i32 s0, 8
	s_cbranch_scc1 .LBB31_118
; %bb.114:
	;; [unrolled: 3-line block ×3, first 2 shown]
	s_cmp_gt_i32 s0, 9
	s_cbranch_scc0 .LBB31_120
; %bb.116:
	s_wait_loadcnt 0x0
	global_load_b64 v[4:5], v[14:15], off
	s_mov_b32 s35, 0
	s_wait_loadcnt 0x0
	v_trunc_f64_e32 v[4:5], v[4:5]
	s_delay_alu instid0(VALU_DEP_1) | instskip(NEXT) | instid1(VALU_DEP_1)
	v_ldexp_f64 v[16:17], v[4:5], 0xffffffe0
	v_floor_f64_e32 v[16:17], v[16:17]
	s_delay_alu instid0(VALU_DEP_1) | instskip(SKIP_1) | instid1(VALU_DEP_2)
	v_fmamk_f64 v[18:19], v[16:17], 0xc1f00000, v[4:5]
	v_cvt_i32_f64_e32 v5, v[16:17]
	v_cvt_u32_f64_e32 v4, v[18:19]
	s_branch .LBB31_121
.LBB31_117:
                                        ; implicit-def: $vgpr4_vgpr5
	s_branch .LBB31_139
.LBB31_118:
	s_mov_b32 s35, -1
                                        ; implicit-def: $vgpr4_vgpr5
	s_branch .LBB31_127
.LBB31_119:
	s_mov_b32 s35, -1
                                        ; implicit-def: $vgpr4_vgpr5
	s_branch .LBB31_124
.LBB31_120:
	s_mov_b32 s35, -1
                                        ; implicit-def: $vgpr4_vgpr5
.LBB31_121:
	s_delay_alu instid0(SALU_CYCLE_1)
	s_and_not1_b32 vcc_lo, exec_lo, s35
	s_cbranch_vccnz .LBB31_123
; %bb.122:
	global_load_b32 v1, v[14:15], off
	s_wait_loadcnt 0x0
	v_trunc_f32_e32 v1, v1
	s_delay_alu instid0(VALU_DEP_1) | instskip(SKIP_1) | instid1(VALU_DEP_2)
	v_mul_f32_e64 v3, 0x2f800000, |v1|
	v_ashrrev_i32_e32 v4, 31, v1
	v_floor_f32_e32 v3, v3
	s_delay_alu instid0(VALU_DEP_1) | instskip(SKIP_1) | instid1(VALU_DEP_2)
	v_fma_f32 v5, 0xcf800000, v3, |v1|
	v_cvt_u32_f32_e32 v1, v3
	v_cvt_u32_f32_e32 v3, v5
	s_delay_alu instid0(VALU_DEP_2) | instskip(NEXT) | instid1(VALU_DEP_2)
	v_dual_mov_b32 v5, v4 :: v_dual_bitop2_b32 v17, v1, v4 bitop3:0x14
	v_xor_b32_e32 v16, v3, v4
	s_delay_alu instid0(VALU_DEP_1)
	v_sub_nc_u64_e32 v[4:5], v[16:17], v[4:5]
.LBB31_123:
	s_mov_b32 s35, 0
.LBB31_124:
	s_delay_alu instid0(SALU_CYCLE_1)
	s_and_not1_b32 vcc_lo, exec_lo, s35
	s_cbranch_vccnz .LBB31_126
; %bb.125:
	global_load_b32 v1, v[14:15], off
	s_wait_loadcnt 0x0
	v_cvt_f32_f16_e32 v1, v1
	s_delay_alu instid0(VALU_DEP_1) | instskip(NEXT) | instid1(VALU_DEP_1)
	v_cvt_i32_f32_e32 v4, v1
	v_ashrrev_i32_e32 v5, 31, v4
.LBB31_126:
	s_mov_b32 s35, 0
.LBB31_127:
	s_delay_alu instid0(SALU_CYCLE_1)
	s_and_not1_b32 vcc_lo, exec_lo, s35
	s_cbranch_vccnz .LBB31_138
; %bb.128:
	s_cmp_lt_i32 s0, 6
	s_cbranch_scc1 .LBB31_131
; %bb.129:
	s_cmp_gt_i32 s0, 6
	s_cbranch_scc0 .LBB31_132
; %bb.130:
	s_wait_loadcnt 0x0
	global_load_b64 v[4:5], v[14:15], off
	s_mov_b32 s35, 0
	s_wait_loadcnt 0x0
	v_trunc_f64_e32 v[4:5], v[4:5]
	s_delay_alu instid0(VALU_DEP_1) | instskip(NEXT) | instid1(VALU_DEP_1)
	v_ldexp_f64 v[16:17], v[4:5], 0xffffffe0
	v_floor_f64_e32 v[16:17], v[16:17]
	s_delay_alu instid0(VALU_DEP_1) | instskip(SKIP_1) | instid1(VALU_DEP_2)
	v_fmamk_f64 v[18:19], v[16:17], 0xc1f00000, v[4:5]
	v_cvt_i32_f64_e32 v5, v[16:17]
	v_cvt_u32_f64_e32 v4, v[18:19]
	s_branch .LBB31_133
.LBB31_131:
	s_mov_b32 s35, -1
                                        ; implicit-def: $vgpr4_vgpr5
	s_branch .LBB31_136
.LBB31_132:
	s_mov_b32 s35, -1
                                        ; implicit-def: $vgpr4_vgpr5
.LBB31_133:
	s_delay_alu instid0(SALU_CYCLE_1)
	s_and_not1_b32 vcc_lo, exec_lo, s35
	s_cbranch_vccnz .LBB31_135
; %bb.134:
	global_load_b32 v1, v[14:15], off
	s_wait_loadcnt 0x0
	v_trunc_f32_e32 v1, v1
	s_delay_alu instid0(VALU_DEP_1) | instskip(SKIP_1) | instid1(VALU_DEP_2)
	v_mul_f32_e64 v3, 0x2f800000, |v1|
	v_ashrrev_i32_e32 v4, 31, v1
	v_floor_f32_e32 v3, v3
	s_delay_alu instid0(VALU_DEP_1) | instskip(SKIP_1) | instid1(VALU_DEP_2)
	v_fma_f32 v5, 0xcf800000, v3, |v1|
	v_cvt_u32_f32_e32 v1, v3
	v_cvt_u32_f32_e32 v3, v5
	s_delay_alu instid0(VALU_DEP_2) | instskip(NEXT) | instid1(VALU_DEP_2)
	v_dual_mov_b32 v5, v4 :: v_dual_bitop2_b32 v17, v1, v4 bitop3:0x14
	v_xor_b32_e32 v16, v3, v4
	s_delay_alu instid0(VALU_DEP_1)
	v_sub_nc_u64_e32 v[4:5], v[16:17], v[4:5]
.LBB31_135:
	s_mov_b32 s35, 0
.LBB31_136:
	s_delay_alu instid0(SALU_CYCLE_1)
	s_and_not1_b32 vcc_lo, exec_lo, s35
	s_cbranch_vccnz .LBB31_138
; %bb.137:
	global_load_u16 v1, v[14:15], off
	s_wait_loadcnt 0x0
	v_cvt_f32_f16_e32 v1, v1
	s_delay_alu instid0(VALU_DEP_1) | instskip(NEXT) | instid1(VALU_DEP_1)
	v_cvt_i32_f32_e32 v4, v1
	v_ashrrev_i32_e32 v5, 31, v4
.LBB31_138:
	s_cbranch_execnz .LBB31_158
.LBB31_139:
	s_cmp_lt_i32 s0, 2
	s_cbranch_scc1 .LBB31_143
; %bb.140:
	s_cmp_lt_i32 s0, 3
	s_cbranch_scc1 .LBB31_144
; %bb.141:
	s_cmp_gt_i32 s0, 3
	s_cbranch_scc0 .LBB31_145
; %bb.142:
	s_wait_loadcnt 0x0
	global_load_b64 v[4:5], v[14:15], off
	s_mov_b32 s35, 0
	s_branch .LBB31_146
.LBB31_143:
	s_mov_b32 s35, -1
                                        ; implicit-def: $vgpr4_vgpr5
	s_branch .LBB31_152
.LBB31_144:
	s_mov_b32 s35, -1
                                        ; implicit-def: $vgpr4_vgpr5
	s_branch .LBB31_149
.LBB31_145:
	s_mov_b32 s35, -1
                                        ; implicit-def: $vgpr4_vgpr5
.LBB31_146:
	s_delay_alu instid0(SALU_CYCLE_1)
	s_and_not1_b32 vcc_lo, exec_lo, s35
	s_cbranch_vccnz .LBB31_148
; %bb.147:
	s_wait_loadcnt 0x0
	global_load_b32 v4, v[14:15], off
	s_wait_loadcnt 0x0
	v_ashrrev_i32_e32 v5, 31, v4
.LBB31_148:
	s_mov_b32 s35, 0
.LBB31_149:
	s_delay_alu instid0(SALU_CYCLE_1)
	s_and_not1_b32 vcc_lo, exec_lo, s35
	s_cbranch_vccnz .LBB31_151
; %bb.150:
	global_load_u16 v1, v[14:15], off
	s_wait_loadcnt 0x0
	v_bfe_i32 v4, v1, 0, 16
	s_delay_alu instid0(VALU_DEP_1)
	v_ashrrev_i32_e32 v5, 31, v4
.LBB31_151:
	s_mov_b32 s35, 0
.LBB31_152:
	s_delay_alu instid0(SALU_CYCLE_1)
	s_and_not1_b32 vcc_lo, exec_lo, s35
	s_cbranch_vccnz .LBB31_158
; %bb.153:
	s_cmp_gt_i32 s0, 0
	s_mov_b32 s0, 0
	s_cbranch_scc0 .LBB31_155
; %bb.154:
	global_load_i8 v1, v[14:15], off
	s_wait_loadcnt 0x0
	v_bfe_i32 v4, v1, 0, 16
	s_delay_alu instid0(VALU_DEP_1)
	v_ashrrev_i32_e32 v5, 31, v4
	s_branch .LBB31_156
.LBB31_155:
	s_mov_b32 s0, -1
                                        ; implicit-def: $vgpr4_vgpr5
.LBB31_156:
	s_delay_alu instid0(SALU_CYCLE_1)
	s_and_not1_b32 vcc_lo, exec_lo, s0
	s_cbranch_vccnz .LBB31_158
; %bb.157:
	global_load_u8 v1, v[14:15], off
	s_mov_b32 s0, 0
	s_wait_loadcnt 0x1
	v_mov_b32_e32 v5, s0
	s_wait_loadcnt 0x0
	v_and_b32_e32 v4, 0xffff, v1
.LBB31_158:
	s_branch .LBB31_22
.LBB31_159:
	s_mov_b32 s0, 0
	s_mov_b32 s35, 0
	s_mov_b32 s40, 0
	s_mov_b32 s41, 0
	s_mov_b32 s42, 0
	s_mov_b32 s43, 0
	s_mov_b32 s82, 0
	s_mov_b32 s83, 0
	s_mov_b32 s84, 0
	s_mov_b32 s85, 0
	s_branch .LBB31_649
.LBB31_160:
	s_mov_b32 s85, -1
.LBB31_161:
	s_mov_b32 s39, 0
                                        ; implicit-def: $vgpr8_vgpr9
.LBB31_162:
	s_and_b32 vcc_lo, exec_lo, s40
	s_cbranch_vccz .LBB31_167
; %bb.163:
	s_cmp_eq_u32 s35, 44
	s_cbranch_scc0 .LBB31_166
; %bb.164:
	global_load_u8 v1, v[14:15], off
	s_mov_b32 s85, 0
	s_mov_b32 s39, -1
	s_wait_loadcnt 0x0
	v_lshlrev_b32_e32 v3, 23, v1
	v_cmp_ne_u32_e32 vcc_lo, 0, v1
	s_delay_alu instid0(VALU_DEP_2) | instskip(NEXT) | instid1(VALU_DEP_1)
	v_trunc_f32_e32 v3, v3
	v_mul_f32_e64 v7, 0x2f800000, |v3|
	v_ashrrev_i32_e32 v8, 31, v3
	s_delay_alu instid0(VALU_DEP_2) | instskip(NEXT) | instid1(VALU_DEP_1)
	v_floor_f32_e32 v7, v7
	v_fma_f32 v9, 0xcf800000, v7, |v3|
	v_cvt_u32_f32_e32 v3, v7
	s_delay_alu instid0(VALU_DEP_2) | instskip(NEXT) | instid1(VALU_DEP_2)
	v_cvt_u32_f32_e32 v7, v9
	v_dual_mov_b32 v9, v8 :: v_dual_bitop2_b32 v17, v3, v8 bitop3:0x14
	s_delay_alu instid0(VALU_DEP_2) | instskip(NEXT) | instid1(VALU_DEP_1)
	v_xor_b32_e32 v16, v7, v8
	v_sub_nc_u64_e32 v[8:9], v[16:17], v[8:9]
	s_delay_alu instid0(VALU_DEP_1)
	v_dual_cndmask_b32 v9, 0, v9 :: v_dual_cndmask_b32 v8, 0, v8
	s_branch .LBB31_167
.LBB31_165:
	s_mov_b32 s40, -1
	s_mov_b32 s84, 0
	s_branch .LBB31_274
.LBB31_166:
	s_mov_b32 s85, -1
                                        ; implicit-def: $vgpr8_vgpr9
.LBB31_167:
	s_mov_b32 s40, 0
.LBB31_168:
	s_delay_alu instid0(SALU_CYCLE_1)
	s_and_b32 vcc_lo, exec_lo, s40
	s_cbranch_vccz .LBB31_172
; %bb.169:
	s_cmp_eq_u32 s35, 29
	s_cbranch_scc0 .LBB31_171
; %bb.170:
	global_load_b64 v[8:9], v[14:15], off
	s_mov_b32 s39, -1
	s_mov_b32 s85, 0
	s_branch .LBB31_172
.LBB31_171:
	s_mov_b32 s85, -1
                                        ; implicit-def: $vgpr8_vgpr9
.LBB31_172:
	s_mov_b32 s40, 0
.LBB31_173:
	s_delay_alu instid0(SALU_CYCLE_1)
	s_and_b32 vcc_lo, exec_lo, s40
	s_cbranch_vccz .LBB31_189
; %bb.174:
	s_cmp_lt_i32 s35, 27
	s_cbranch_scc1 .LBB31_177
; %bb.175:
	s_cmp_gt_i32 s35, 27
	s_cbranch_scc0 .LBB31_178
; %bb.176:
	s_wait_loadcnt 0x0
	global_load_b32 v8, v[14:15], off
	v_mov_b32_e32 v9, 0
	s_mov_b32 s39, 0
	s_branch .LBB31_179
.LBB31_177:
	s_mov_b32 s39, -1
                                        ; implicit-def: $vgpr8_vgpr9
	s_branch .LBB31_182
.LBB31_178:
	s_mov_b32 s39, -1
                                        ; implicit-def: $vgpr8_vgpr9
.LBB31_179:
	s_delay_alu instid0(SALU_CYCLE_1)
	s_and_not1_b32 vcc_lo, exec_lo, s39
	s_cbranch_vccnz .LBB31_181
; %bb.180:
	global_load_u16 v1, v[14:15], off
	s_mov_b32 s20, 0
	s_wait_loadcnt 0x1
	v_mov_b32_e32 v9, s20
	s_wait_loadcnt 0x0
	v_and_b32_e32 v8, 0xffff, v1
.LBB31_181:
	s_mov_b32 s39, 0
.LBB31_182:
	s_delay_alu instid0(SALU_CYCLE_1)
	s_and_not1_b32 vcc_lo, exec_lo, s39
	s_cbranch_vccnz .LBB31_188
; %bb.183:
	global_load_u8 v1, v[14:15], off
	s_mov_b32 s40, 0
	s_mov_b32 s20, exec_lo
	s_wait_loadcnt 0x0
	v_cmpx_lt_i16_e32 0x7f, v1
	s_xor_b32 s39, exec_lo, s20
	s_cbranch_execz .LBB31_200
; %bb.184:
	v_cmp_ne_u16_e32 vcc_lo, 0x80, v1
	s_and_b32 s40, vcc_lo, exec_lo
	s_and_not1_saveexec_b32 s39, s39
	s_cbranch_execnz .LBB31_201
.LBB31_185:
	s_or_b32 exec_lo, exec_lo, s39
	v_mov_b64_e32 v[8:9], 0
	s_and_saveexec_b32 s39, s40
	s_cbranch_execz .LBB31_187
.LBB31_186:
	v_and_b32_e32 v3, 0xffff, v1
	s_delay_alu instid0(VALU_DEP_1) | instskip(SKIP_1) | instid1(VALU_DEP_2)
	v_and_b32_e32 v7, 7, v3
	v_bfe_u32 v11, v3, 3, 4
	v_clz_i32_u32_e32 v8, v7
	s_delay_alu instid0(VALU_DEP_2) | instskip(NEXT) | instid1(VALU_DEP_2)
	v_cmp_eq_u32_e32 vcc_lo, 0, v11
	v_min_u32_e32 v8, 32, v8
	s_delay_alu instid0(VALU_DEP_1) | instskip(NEXT) | instid1(VALU_DEP_1)
	v_subrev_nc_u32_e32 v9, 28, v8
	v_dual_lshlrev_b32 v3, v9, v3 :: v_dual_sub_nc_u32 v8, 29, v8
	s_delay_alu instid0(VALU_DEP_1) | instskip(NEXT) | instid1(VALU_DEP_2)
	v_dual_lshlrev_b32 v1, 24, v1 :: v_dual_bitop2_b32 v3, 7, v3 bitop3:0x40
	v_cndmask_b32_e32 v8, v11, v8, vcc_lo
	s_delay_alu instid0(VALU_DEP_2) | instskip(NEXT) | instid1(VALU_DEP_3)
	v_cndmask_b32_e32 v3, v7, v3, vcc_lo
	v_and_b32_e32 v1, 0x80000000, v1
	s_delay_alu instid0(VALU_DEP_3) | instskip(NEXT) | instid1(VALU_DEP_3)
	v_lshl_add_u32 v7, v8, 23, 0x3b800000
	v_lshlrev_b32_e32 v3, 20, v3
	s_delay_alu instid0(VALU_DEP_1) | instskip(NEXT) | instid1(VALU_DEP_1)
	v_or3_b32 v1, v1, v7, v3
	v_trunc_f32_e32 v1, v1
	s_delay_alu instid0(VALU_DEP_1) | instskip(SKIP_1) | instid1(VALU_DEP_2)
	v_mul_f32_e64 v3, 0x2f800000, |v1|
	v_ashrrev_i32_e32 v8, 31, v1
	v_floor_f32_e32 v3, v3
	s_delay_alu instid0(VALU_DEP_2) | instskip(NEXT) | instid1(VALU_DEP_2)
	v_mov_b32_e32 v9, v8
	v_fma_f32 v7, 0xcf800000, v3, |v1|
	v_cvt_u32_f32_e32 v1, v3
	s_delay_alu instid0(VALU_DEP_2) | instskip(NEXT) | instid1(VALU_DEP_2)
	v_cvt_u32_f32_e32 v3, v7
	v_xor_b32_e32 v17, v1, v8
	s_delay_alu instid0(VALU_DEP_2) | instskip(NEXT) | instid1(VALU_DEP_1)
	v_xor_b32_e32 v16, v3, v8
	v_sub_nc_u64_e32 v[8:9], v[16:17], v[8:9]
.LBB31_187:
	s_or_b32 exec_lo, exec_lo, s39
.LBB31_188:
	s_mov_b32 s39, -1
.LBB31_189:
	s_mov_b32 s40, 0
.LBB31_190:
	s_delay_alu instid0(SALU_CYCLE_1)
	s_and_b32 vcc_lo, exec_lo, s40
	s_cbranch_vccz .LBB31_223
; %bb.191:
	s_cmp_gt_i32 s35, 22
	s_cbranch_scc0 .LBB31_199
; %bb.192:
	s_cmp_lt_i32 s35, 24
	s_cbranch_scc1 .LBB31_202
; %bb.193:
	s_cmp_gt_i32 s35, 24
	s_cbranch_scc0 .LBB31_203
; %bb.194:
	global_load_u8 v1, v[14:15], off
	s_mov_b32 s40, 0
	s_mov_b32 s20, exec_lo
	s_wait_loadcnt 0x0
	v_cmpx_lt_i16_e32 0x7f, v1
	s_xor_b32 s39, exec_lo, s20
	s_cbranch_execz .LBB31_215
; %bb.195:
	v_cmp_ne_u16_e32 vcc_lo, 0x80, v1
	s_and_b32 s40, vcc_lo, exec_lo
	s_and_not1_saveexec_b32 s39, s39
	s_cbranch_execnz .LBB31_216
.LBB31_196:
	s_or_b32 exec_lo, exec_lo, s39
	v_mov_b64_e32 v[8:9], 0
	s_and_saveexec_b32 s39, s40
	s_cbranch_execz .LBB31_198
.LBB31_197:
	v_and_b32_e32 v3, 0xffff, v1
	s_delay_alu instid0(VALU_DEP_1) | instskip(SKIP_1) | instid1(VALU_DEP_2)
	v_and_b32_e32 v7, 3, v3
	v_bfe_u32 v11, v3, 2, 5
	v_clz_i32_u32_e32 v8, v7
	s_delay_alu instid0(VALU_DEP_2) | instskip(NEXT) | instid1(VALU_DEP_2)
	v_cmp_eq_u32_e32 vcc_lo, 0, v11
	v_min_u32_e32 v8, 32, v8
	s_delay_alu instid0(VALU_DEP_1) | instskip(NEXT) | instid1(VALU_DEP_1)
	v_subrev_nc_u32_e32 v9, 29, v8
	v_dual_lshlrev_b32 v3, v9, v3 :: v_dual_sub_nc_u32 v8, 30, v8
	s_delay_alu instid0(VALU_DEP_1) | instskip(NEXT) | instid1(VALU_DEP_2)
	v_dual_lshlrev_b32 v1, 24, v1 :: v_dual_bitop2_b32 v3, 3, v3 bitop3:0x40
	v_cndmask_b32_e32 v8, v11, v8, vcc_lo
	s_delay_alu instid0(VALU_DEP_2) | instskip(NEXT) | instid1(VALU_DEP_3)
	v_cndmask_b32_e32 v3, v7, v3, vcc_lo
	v_and_b32_e32 v1, 0x80000000, v1
	s_delay_alu instid0(VALU_DEP_3) | instskip(NEXT) | instid1(VALU_DEP_3)
	v_lshl_add_u32 v7, v8, 23, 0x37800000
	v_lshlrev_b32_e32 v3, 21, v3
	s_delay_alu instid0(VALU_DEP_1) | instskip(NEXT) | instid1(VALU_DEP_1)
	v_or3_b32 v1, v1, v7, v3
	v_trunc_f32_e32 v1, v1
	s_delay_alu instid0(VALU_DEP_1) | instskip(SKIP_1) | instid1(VALU_DEP_2)
	v_mul_f32_e64 v3, 0x2f800000, |v1|
	v_ashrrev_i32_e32 v8, 31, v1
	v_floor_f32_e32 v3, v3
	s_delay_alu instid0(VALU_DEP_2) | instskip(NEXT) | instid1(VALU_DEP_2)
	v_mov_b32_e32 v9, v8
	v_fma_f32 v7, 0xcf800000, v3, |v1|
	v_cvt_u32_f32_e32 v1, v3
	s_delay_alu instid0(VALU_DEP_2) | instskip(NEXT) | instid1(VALU_DEP_2)
	v_cvt_u32_f32_e32 v3, v7
	v_xor_b32_e32 v17, v1, v8
	s_delay_alu instid0(VALU_DEP_2) | instskip(NEXT) | instid1(VALU_DEP_1)
	v_xor_b32_e32 v16, v3, v8
	v_sub_nc_u64_e32 v[8:9], v[16:17], v[8:9]
.LBB31_198:
	s_or_b32 exec_lo, exec_lo, s39
	s_mov_b32 s39, 0
	s_branch .LBB31_204
.LBB31_199:
	s_mov_b32 s40, -1
                                        ; implicit-def: $vgpr8_vgpr9
	s_branch .LBB31_210
.LBB31_200:
	s_and_not1_saveexec_b32 s39, s39
	s_cbranch_execz .LBB31_185
.LBB31_201:
	v_cmp_ne_u16_e32 vcc_lo, 0, v1
	s_and_not1_b32 s20, s40, exec_lo
	s_and_b32 s21, vcc_lo, exec_lo
	s_delay_alu instid0(SALU_CYCLE_1)
	s_or_b32 s40, s20, s21
	s_or_b32 exec_lo, exec_lo, s39
	v_mov_b64_e32 v[8:9], 0
	s_and_saveexec_b32 s39, s40
	s_cbranch_execnz .LBB31_186
	s_branch .LBB31_187
.LBB31_202:
	s_mov_b32 s39, -1
                                        ; implicit-def: $vgpr8_vgpr9
	s_branch .LBB31_207
.LBB31_203:
	s_mov_b32 s39, -1
                                        ; implicit-def: $vgpr8_vgpr9
.LBB31_204:
	s_delay_alu instid0(SALU_CYCLE_1)
	s_and_b32 vcc_lo, exec_lo, s39
	s_cbranch_vccz .LBB31_206
; %bb.205:
	global_load_u8 v1, v[14:15], off
	s_wait_loadcnt 0x0
	v_lshlrev_b32_e32 v1, 24, v1
	s_delay_alu instid0(VALU_DEP_1) | instskip(NEXT) | instid1(VALU_DEP_1)
	v_and_b32_e32 v3, 0x7f000000, v1
	v_clz_i32_u32_e32 v7, v3
	v_add_nc_u32_e32 v9, 0x1000000, v3
	v_cmp_ne_u32_e32 vcc_lo, 0, v3
	s_delay_alu instid0(VALU_DEP_3) | instskip(NEXT) | instid1(VALU_DEP_1)
	v_min_u32_e32 v7, 32, v7
	v_sub_nc_u32_e64 v7, v7, 4 clamp
	s_delay_alu instid0(VALU_DEP_1) | instskip(NEXT) | instid1(VALU_DEP_1)
	v_lshlrev_b32_e32 v8, v7, v3
	v_dual_lshlrev_b32 v7, 23, v7 :: v_dual_lshrrev_b32 v8, 4, v8
	s_delay_alu instid0(VALU_DEP_1) | instskip(NEXT) | instid1(VALU_DEP_1)
	v_dual_sub_nc_u32 v7, v8, v7 :: v_dual_ashrrev_i32 v8, 8, v9
	v_add_nc_u32_e32 v7, 0x3c000000, v7
	s_delay_alu instid0(VALU_DEP_1) | instskip(NEXT) | instid1(VALU_DEP_1)
	v_and_or_b32 v7, 0x7f800000, v8, v7
	v_cndmask_b32_e32 v3, 0, v7, vcc_lo
	s_delay_alu instid0(VALU_DEP_1) | instskip(NEXT) | instid1(VALU_DEP_1)
	v_and_or_b32 v1, 0x80000000, v1, v3
	v_trunc_f32_e32 v1, v1
	s_delay_alu instid0(VALU_DEP_1) | instskip(SKIP_1) | instid1(VALU_DEP_2)
	v_mul_f32_e64 v3, 0x2f800000, |v1|
	v_ashrrev_i32_e32 v8, 31, v1
	v_floor_f32_e32 v3, v3
	s_delay_alu instid0(VALU_DEP_1) | instskip(SKIP_1) | instid1(VALU_DEP_4)
	v_fma_f32 v7, 0xcf800000, v3, |v1|
	v_cvt_u32_f32_e32 v1, v3
	v_mov_b32_e32 v9, v8
	s_delay_alu instid0(VALU_DEP_3) | instskip(NEXT) | instid1(VALU_DEP_3)
	v_cvt_u32_f32_e32 v3, v7
	v_xor_b32_e32 v17, v1, v8
	s_delay_alu instid0(VALU_DEP_2) | instskip(NEXT) | instid1(VALU_DEP_1)
	v_xor_b32_e32 v16, v3, v8
	v_sub_nc_u64_e32 v[8:9], v[16:17], v[8:9]
.LBB31_206:
	s_mov_b32 s39, 0
.LBB31_207:
	s_delay_alu instid0(SALU_CYCLE_1)
	s_and_not1_b32 vcc_lo, exec_lo, s39
	s_cbranch_vccnz .LBB31_209
; %bb.208:
	global_load_u8 v1, v[14:15], off
	s_wait_loadcnt 0x0
	v_lshlrev_b32_e32 v3, 25, v1
	v_lshlrev_b16 v1, 8, v1
	s_delay_alu instid0(VALU_DEP_1) | instskip(SKIP_1) | instid1(VALU_DEP_2)
	v_and_or_b32 v8, 0x7f00, v1, 0.5
	v_bfe_i32 v1, v1, 0, 16
	v_dual_add_f32 v8, -0.5, v8 :: v_dual_lshrrev_b32 v7, 4, v3
	v_cmp_gt_u32_e32 vcc_lo, 0x8000000, v3
	s_delay_alu instid0(VALU_DEP_2) | instskip(NEXT) | instid1(VALU_DEP_1)
	v_or_b32_e32 v7, 0x70000000, v7
	v_mul_f32_e32 v7, 0x7800000, v7
	s_delay_alu instid0(VALU_DEP_1) | instskip(NEXT) | instid1(VALU_DEP_1)
	v_cndmask_b32_e32 v3, v7, v8, vcc_lo
	v_and_or_b32 v1, 0x80000000, v1, v3
	s_delay_alu instid0(VALU_DEP_1) | instskip(NEXT) | instid1(VALU_DEP_1)
	v_trunc_f32_e32 v1, v1
	v_mul_f32_e64 v3, 0x2f800000, |v1|
	v_ashrrev_i32_e32 v8, 31, v1
	s_delay_alu instid0(VALU_DEP_2) | instskip(NEXT) | instid1(VALU_DEP_2)
	v_floor_f32_e32 v3, v3
	v_mov_b32_e32 v9, v8
	s_delay_alu instid0(VALU_DEP_2) | instskip(SKIP_1) | instid1(VALU_DEP_2)
	v_fma_f32 v7, 0xcf800000, v3, |v1|
	v_cvt_u32_f32_e32 v1, v3
	v_cvt_u32_f32_e32 v3, v7
	s_delay_alu instid0(VALU_DEP_2) | instskip(NEXT) | instid1(VALU_DEP_2)
	v_xor_b32_e32 v17, v1, v8
	v_xor_b32_e32 v16, v3, v8
	s_delay_alu instid0(VALU_DEP_1)
	v_sub_nc_u64_e32 v[8:9], v[16:17], v[8:9]
.LBB31_209:
	s_mov_b32 s40, 0
	s_mov_b32 s39, -1
.LBB31_210:
	s_and_not1_b32 vcc_lo, exec_lo, s40
	s_cbranch_vccnz .LBB31_223
; %bb.211:
	s_cmp_gt_i32 s35, 14
	s_cbranch_scc0 .LBB31_214
; %bb.212:
	s_cmp_eq_u32 s35, 15
	s_cbranch_scc0 .LBB31_217
; %bb.213:
	global_load_u16 v1, v[14:15], off
	s_mov_b32 s39, -1
	s_mov_b32 s85, 0
	s_wait_loadcnt 0x0
	v_lshlrev_b32_e32 v1, 16, v1
	s_delay_alu instid0(VALU_DEP_1) | instskip(NEXT) | instid1(VALU_DEP_1)
	v_trunc_f32_e32 v1, v1
	v_mul_f32_e64 v3, 0x2f800000, |v1|
	v_ashrrev_i32_e32 v8, 31, v1
	s_delay_alu instid0(VALU_DEP_2) | instskip(NEXT) | instid1(VALU_DEP_2)
	v_floor_f32_e32 v3, v3
	v_mov_b32_e32 v9, v8
	s_delay_alu instid0(VALU_DEP_2) | instskip(SKIP_1) | instid1(VALU_DEP_2)
	v_fma_f32 v7, 0xcf800000, v3, |v1|
	v_cvt_u32_f32_e32 v1, v3
	v_cvt_u32_f32_e32 v3, v7
	s_delay_alu instid0(VALU_DEP_2) | instskip(NEXT) | instid1(VALU_DEP_2)
	v_xor_b32_e32 v17, v1, v8
	v_xor_b32_e32 v16, v3, v8
	s_delay_alu instid0(VALU_DEP_1)
	v_sub_nc_u64_e32 v[8:9], v[16:17], v[8:9]
	s_branch .LBB31_218
.LBB31_214:
	s_mov_b32 s40, -1
                                        ; implicit-def: $vgpr8_vgpr9
	s_branch .LBB31_219
.LBB31_215:
	s_and_not1_saveexec_b32 s39, s39
	s_cbranch_execz .LBB31_196
.LBB31_216:
	v_cmp_ne_u16_e32 vcc_lo, 0, v1
	s_and_not1_b32 s20, s40, exec_lo
	s_and_b32 s21, vcc_lo, exec_lo
	s_delay_alu instid0(SALU_CYCLE_1)
	s_or_b32 s40, s20, s21
	s_or_b32 exec_lo, exec_lo, s39
	v_mov_b64_e32 v[8:9], 0
	s_and_saveexec_b32 s39, s40
	s_cbranch_execnz .LBB31_197
	s_branch .LBB31_198
.LBB31_217:
	s_mov_b32 s85, -1
                                        ; implicit-def: $vgpr8_vgpr9
.LBB31_218:
	s_mov_b32 s40, 0
.LBB31_219:
	s_delay_alu instid0(SALU_CYCLE_1)
	s_and_b32 vcc_lo, exec_lo, s40
	s_cbranch_vccz .LBB31_223
; %bb.220:
	s_cmp_eq_u32 s35, 11
	s_cbranch_scc0 .LBB31_222
; %bb.221:
	global_load_u8 v1, v[14:15], off
	s_mov_b32 s85, 0
	s_mov_b32 s39, -1
	s_wait_loadcnt 0x1
	v_mov_b32_e32 v9, s85
	s_wait_loadcnt 0x0
	v_cmp_ne_u16_e32 vcc_lo, 0, v1
	v_cndmask_b32_e64 v8, 0, 1, vcc_lo
	s_branch .LBB31_223
.LBB31_222:
	s_mov_b32 s85, -1
                                        ; implicit-def: $vgpr8_vgpr9
.LBB31_223:
	s_branch .LBB31_31
.LBB31_224:
	s_and_b32 s0, 0xffff, s0
	s_delay_alu instid0(SALU_CYCLE_1)
	s_cmp_lt_i32 s0, 5
	s_cbranch_scc1 .LBB31_229
; %bb.225:
	s_cmp_lt_i32 s0, 8
	s_cbranch_scc1 .LBB31_230
; %bb.226:
	;; [unrolled: 3-line block ×3, first 2 shown]
	s_cmp_gt_i32 s0, 9
	s_cbranch_scc0 .LBB31_232
; %bb.228:
	s_wait_loadcnt 0x0
	global_load_b64 v[8:9], v[14:15], off
	s_mov_b32 s35, 0
	s_wait_loadcnt 0x0
	v_trunc_f64_e32 v[8:9], v[8:9]
	s_delay_alu instid0(VALU_DEP_1) | instskip(NEXT) | instid1(VALU_DEP_1)
	v_ldexp_f64 v[16:17], v[8:9], 0xffffffe0
	v_floor_f64_e32 v[16:17], v[16:17]
	s_delay_alu instid0(VALU_DEP_1) | instskip(SKIP_1) | instid1(VALU_DEP_2)
	v_fmamk_f64 v[18:19], v[16:17], 0xc1f00000, v[8:9]
	v_cvt_i32_f64_e32 v9, v[16:17]
	v_cvt_u32_f64_e32 v8, v[18:19]
	s_branch .LBB31_233
.LBB31_229:
	s_mov_b32 s35, -1
                                        ; implicit-def: $vgpr8_vgpr9
	s_branch .LBB31_251
.LBB31_230:
	s_mov_b32 s35, -1
                                        ; implicit-def: $vgpr8_vgpr9
	s_branch .LBB31_239
.LBB31_231:
	s_mov_b32 s35, -1
                                        ; implicit-def: $vgpr8_vgpr9
	s_branch .LBB31_236
.LBB31_232:
	s_mov_b32 s35, -1
                                        ; implicit-def: $vgpr8_vgpr9
.LBB31_233:
	s_delay_alu instid0(SALU_CYCLE_1)
	s_and_not1_b32 vcc_lo, exec_lo, s35
	s_cbranch_vccnz .LBB31_235
; %bb.234:
	global_load_b32 v1, v[14:15], off
	s_wait_loadcnt 0x0
	v_trunc_f32_e32 v1, v1
	s_delay_alu instid0(VALU_DEP_1) | instskip(SKIP_1) | instid1(VALU_DEP_2)
	v_mul_f32_e64 v3, 0x2f800000, |v1|
	v_ashrrev_i32_e32 v8, 31, v1
	v_floor_f32_e32 v3, v3
	s_delay_alu instid0(VALU_DEP_1) | instskip(SKIP_1) | instid1(VALU_DEP_4)
	v_fma_f32 v7, 0xcf800000, v3, |v1|
	v_cvt_u32_f32_e32 v1, v3
	v_mov_b32_e32 v9, v8
	s_delay_alu instid0(VALU_DEP_3) | instskip(NEXT) | instid1(VALU_DEP_3)
	v_cvt_u32_f32_e32 v3, v7
	v_xor_b32_e32 v17, v1, v8
	s_delay_alu instid0(VALU_DEP_2) | instskip(NEXT) | instid1(VALU_DEP_1)
	v_xor_b32_e32 v16, v3, v8
	v_sub_nc_u64_e32 v[8:9], v[16:17], v[8:9]
.LBB31_235:
	s_mov_b32 s35, 0
.LBB31_236:
	s_delay_alu instid0(SALU_CYCLE_1)
	s_and_not1_b32 vcc_lo, exec_lo, s35
	s_cbranch_vccnz .LBB31_238
; %bb.237:
	global_load_b32 v1, v[14:15], off
	s_wait_loadcnt 0x0
	v_cvt_f32_f16_e32 v1, v1
	s_delay_alu instid0(VALU_DEP_1) | instskip(NEXT) | instid1(VALU_DEP_1)
	v_cvt_i32_f32_e32 v8, v1
	v_ashrrev_i32_e32 v9, 31, v8
.LBB31_238:
	s_mov_b32 s35, 0
.LBB31_239:
	s_delay_alu instid0(SALU_CYCLE_1)
	s_and_not1_b32 vcc_lo, exec_lo, s35
	s_cbranch_vccnz .LBB31_250
; %bb.240:
	s_cmp_lt_i32 s0, 6
	s_cbranch_scc1 .LBB31_243
; %bb.241:
	s_cmp_gt_i32 s0, 6
	s_cbranch_scc0 .LBB31_244
; %bb.242:
	s_wait_loadcnt 0x0
	global_load_b64 v[8:9], v[14:15], off
	s_mov_b32 s35, 0
	s_wait_loadcnt 0x0
	v_trunc_f64_e32 v[8:9], v[8:9]
	s_delay_alu instid0(VALU_DEP_1) | instskip(NEXT) | instid1(VALU_DEP_1)
	v_ldexp_f64 v[16:17], v[8:9], 0xffffffe0
	v_floor_f64_e32 v[16:17], v[16:17]
	s_delay_alu instid0(VALU_DEP_1) | instskip(SKIP_1) | instid1(VALU_DEP_2)
	v_fmamk_f64 v[18:19], v[16:17], 0xc1f00000, v[8:9]
	v_cvt_i32_f64_e32 v9, v[16:17]
	v_cvt_u32_f64_e32 v8, v[18:19]
	s_branch .LBB31_245
.LBB31_243:
	s_mov_b32 s35, -1
                                        ; implicit-def: $vgpr8_vgpr9
	s_branch .LBB31_248
.LBB31_244:
	s_mov_b32 s35, -1
                                        ; implicit-def: $vgpr8_vgpr9
.LBB31_245:
	s_delay_alu instid0(SALU_CYCLE_1)
	s_and_not1_b32 vcc_lo, exec_lo, s35
	s_cbranch_vccnz .LBB31_247
; %bb.246:
	global_load_b32 v1, v[14:15], off
	s_wait_loadcnt 0x0
	v_trunc_f32_e32 v1, v1
	s_delay_alu instid0(VALU_DEP_1) | instskip(SKIP_1) | instid1(VALU_DEP_2)
	v_mul_f32_e64 v3, 0x2f800000, |v1|
	v_ashrrev_i32_e32 v8, 31, v1
	v_floor_f32_e32 v3, v3
	s_delay_alu instid0(VALU_DEP_1) | instskip(SKIP_1) | instid1(VALU_DEP_4)
	v_fma_f32 v7, 0xcf800000, v3, |v1|
	v_cvt_u32_f32_e32 v1, v3
	v_mov_b32_e32 v9, v8
	s_delay_alu instid0(VALU_DEP_3) | instskip(NEXT) | instid1(VALU_DEP_3)
	v_cvt_u32_f32_e32 v3, v7
	v_xor_b32_e32 v17, v1, v8
	s_delay_alu instid0(VALU_DEP_2) | instskip(NEXT) | instid1(VALU_DEP_1)
	v_xor_b32_e32 v16, v3, v8
	v_sub_nc_u64_e32 v[8:9], v[16:17], v[8:9]
.LBB31_247:
	s_mov_b32 s35, 0
.LBB31_248:
	s_delay_alu instid0(SALU_CYCLE_1)
	s_and_not1_b32 vcc_lo, exec_lo, s35
	s_cbranch_vccnz .LBB31_250
; %bb.249:
	global_load_u16 v1, v[14:15], off
	s_wait_loadcnt 0x0
	v_cvt_f32_f16_e32 v1, v1
	s_delay_alu instid0(VALU_DEP_1) | instskip(NEXT) | instid1(VALU_DEP_1)
	v_cvt_i32_f32_e32 v8, v1
	v_ashrrev_i32_e32 v9, 31, v8
.LBB31_250:
	s_mov_b32 s35, 0
.LBB31_251:
	s_delay_alu instid0(SALU_CYCLE_1)
	s_and_not1_b32 vcc_lo, exec_lo, s35
	s_cbranch_vccnz .LBB31_271
; %bb.252:
	s_cmp_lt_i32 s0, 2
	s_cbranch_scc1 .LBB31_256
; %bb.253:
	s_cmp_lt_i32 s0, 3
	s_cbranch_scc1 .LBB31_257
; %bb.254:
	s_cmp_gt_i32 s0, 3
	s_cbranch_scc0 .LBB31_258
; %bb.255:
	s_wait_loadcnt 0x0
	global_load_b64 v[8:9], v[14:15], off
	s_mov_b32 s35, 0
	s_branch .LBB31_259
.LBB31_256:
	s_mov_b32 s35, -1
                                        ; implicit-def: $vgpr8_vgpr9
	s_branch .LBB31_265
.LBB31_257:
	s_mov_b32 s35, -1
                                        ; implicit-def: $vgpr8_vgpr9
	s_branch .LBB31_262
.LBB31_258:
	s_mov_b32 s35, -1
                                        ; implicit-def: $vgpr8_vgpr9
.LBB31_259:
	s_delay_alu instid0(SALU_CYCLE_1)
	s_and_not1_b32 vcc_lo, exec_lo, s35
	s_cbranch_vccnz .LBB31_261
; %bb.260:
	s_wait_loadcnt 0x0
	global_load_b32 v8, v[14:15], off
	s_wait_loadcnt 0x0
	v_ashrrev_i32_e32 v9, 31, v8
.LBB31_261:
	s_mov_b32 s35, 0
.LBB31_262:
	s_delay_alu instid0(SALU_CYCLE_1)
	s_and_not1_b32 vcc_lo, exec_lo, s35
	s_cbranch_vccnz .LBB31_264
; %bb.263:
	global_load_u16 v1, v[14:15], off
	s_wait_loadcnt 0x0
	v_bfe_i32 v8, v1, 0, 16
	s_delay_alu instid0(VALU_DEP_1)
	v_ashrrev_i32_e32 v9, 31, v8
.LBB31_264:
	s_mov_b32 s35, 0
.LBB31_265:
	s_delay_alu instid0(SALU_CYCLE_1)
	s_and_not1_b32 vcc_lo, exec_lo, s35
	s_cbranch_vccnz .LBB31_271
; %bb.266:
	s_cmp_gt_i32 s0, 0
	s_mov_b32 s0, 0
	s_cbranch_scc0 .LBB31_268
; %bb.267:
	global_load_i8 v1, v[14:15], off
	s_wait_loadcnt 0x0
	v_bfe_i32 v8, v1, 0, 16
	s_delay_alu instid0(VALU_DEP_1)
	v_ashrrev_i32_e32 v9, 31, v8
	s_branch .LBB31_269
.LBB31_268:
	s_mov_b32 s0, -1
                                        ; implicit-def: $vgpr8_vgpr9
.LBB31_269:
	s_delay_alu instid0(SALU_CYCLE_1)
	s_and_not1_b32 vcc_lo, exec_lo, s0
	s_cbranch_vccnz .LBB31_271
; %bb.270:
	global_load_u8 v1, v[14:15], off
	s_mov_b32 s0, 0
	s_wait_loadcnt 0x1
	v_mov_b32_e32 v9, s0
	s_wait_loadcnt 0x0
	v_and_b32_e32 v8, 0xffff, v1
.LBB31_271:
	s_branch .LBB31_32
.LBB31_272:
	s_mov_b32 s0, 0
	s_mov_b32 s35, 0
	;; [unrolled: 1-line block ×9, first 2 shown]
	s_branch .LBB31_649
.LBB31_273:
	s_mov_b32 s84, -1
.LBB31_274:
	s_mov_b32 s39, 0
                                        ; implicit-def: $vgpr12_vgpr13
.LBB31_275:
	s_and_b32 vcc_lo, exec_lo, s40
	s_cbranch_vccz .LBB31_279
; %bb.276:
	s_cmp_eq_u32 s35, 44
	s_cbranch_scc0 .LBB31_278
; %bb.277:
	global_load_u8 v1, v[14:15], off
	s_mov_b32 s84, 0
	s_mov_b32 s39, -1
	s_wait_loadcnt 0x0
	v_lshlrev_b32_e32 v3, 23, v1
	v_cmp_ne_u32_e32 vcc_lo, 0, v1
	s_delay_alu instid0(VALU_DEP_2) | instskip(NEXT) | instid1(VALU_DEP_1)
	v_trunc_f32_e32 v3, v3
	v_mul_f32_e64 v7, 0x2f800000, |v3|
	v_ashrrev_i32_e32 v12, 31, v3
	s_delay_alu instid0(VALU_DEP_2) | instskip(NEXT) | instid1(VALU_DEP_2)
	v_floor_f32_e32 v7, v7
	v_mov_b32_e32 v13, v12
	s_delay_alu instid0(VALU_DEP_2) | instskip(SKIP_1) | instid1(VALU_DEP_2)
	v_fma_f32 v11, 0xcf800000, v7, |v3|
	v_cvt_u32_f32_e32 v3, v7
	v_cvt_u32_f32_e32 v7, v11
	s_delay_alu instid0(VALU_DEP_2) | instskip(NEXT) | instid1(VALU_DEP_2)
	v_xor_b32_e32 v17, v3, v12
	v_xor_b32_e32 v16, v7, v12
	s_delay_alu instid0(VALU_DEP_1) | instskip(NEXT) | instid1(VALU_DEP_1)
	v_sub_nc_u64_e32 v[12:13], v[16:17], v[12:13]
	v_dual_cndmask_b32 v13, 0, v13 :: v_dual_cndmask_b32 v12, 0, v12
	s_branch .LBB31_279
.LBB31_278:
	s_mov_b32 s84, -1
                                        ; implicit-def: $vgpr12_vgpr13
.LBB31_279:
	s_mov_b32 s40, 0
.LBB31_280:
	s_delay_alu instid0(SALU_CYCLE_1)
	s_and_b32 vcc_lo, exec_lo, s40
	s_cbranch_vccz .LBB31_284
; %bb.281:
	s_cmp_eq_u32 s35, 29
	s_cbranch_scc0 .LBB31_283
; %bb.282:
	global_load_b64 v[12:13], v[14:15], off
	s_mov_b32 s39, -1
	s_mov_b32 s84, 0
	s_branch .LBB31_284
.LBB31_283:
	s_mov_b32 s84, -1
                                        ; implicit-def: $vgpr12_vgpr13
.LBB31_284:
	s_mov_b32 s40, 0
.LBB31_285:
	s_delay_alu instid0(SALU_CYCLE_1)
	s_and_b32 vcc_lo, exec_lo, s40
	s_cbranch_vccz .LBB31_301
; %bb.286:
	s_cmp_lt_i32 s35, 27
	s_cbranch_scc1 .LBB31_289
; %bb.287:
	s_cmp_gt_i32 s35, 27
	s_cbranch_scc0 .LBB31_290
; %bb.288:
	s_wait_loadcnt 0x0
	global_load_b32 v12, v[14:15], off
	v_mov_b32_e32 v13, 0
	s_mov_b32 s39, 0
	s_branch .LBB31_291
.LBB31_289:
	s_mov_b32 s39, -1
                                        ; implicit-def: $vgpr12_vgpr13
	s_branch .LBB31_294
.LBB31_290:
	s_mov_b32 s39, -1
                                        ; implicit-def: $vgpr12_vgpr13
.LBB31_291:
	s_delay_alu instid0(SALU_CYCLE_1)
	s_and_not1_b32 vcc_lo, exec_lo, s39
	s_cbranch_vccnz .LBB31_293
; %bb.292:
	global_load_u16 v1, v[14:15], off
	s_mov_b32 s20, 0
	s_wait_loadcnt 0x1
	v_mov_b32_e32 v13, s20
	s_wait_loadcnt 0x0
	v_and_b32_e32 v12, 0xffff, v1
.LBB31_293:
	s_mov_b32 s39, 0
.LBB31_294:
	s_delay_alu instid0(SALU_CYCLE_1)
	s_and_not1_b32 vcc_lo, exec_lo, s39
	s_cbranch_vccnz .LBB31_300
; %bb.295:
	global_load_u8 v1, v[14:15], off
	s_mov_b32 s40, 0
	s_mov_b32 s20, exec_lo
	s_wait_loadcnt 0x0
	v_cmpx_lt_i16_e32 0x7f, v1
	s_xor_b32 s39, exec_lo, s20
	s_cbranch_execz .LBB31_312
; %bb.296:
	v_cmp_ne_u16_e32 vcc_lo, 0x80, v1
	s_and_b32 s40, vcc_lo, exec_lo
	s_and_not1_saveexec_b32 s39, s39
	s_cbranch_execnz .LBB31_313
.LBB31_297:
	s_or_b32 exec_lo, exec_lo, s39
	v_mov_b64_e32 v[12:13], 0
	s_and_saveexec_b32 s39, s40
	s_cbranch_execz .LBB31_299
.LBB31_298:
	v_and_b32_e32 v3, 0xffff, v1
	s_delay_alu instid0(VALU_DEP_1) | instskip(SKIP_1) | instid1(VALU_DEP_2)
	v_dual_lshlrev_b32 v1, 24, v1 :: v_dual_bitop2_b32 v7, 7, v3 bitop3:0x40
	v_bfe_u32 v13, v3, 3, 4
	v_and_b32_e32 v1, 0x80000000, v1
	s_delay_alu instid0(VALU_DEP_3) | instskip(NEXT) | instid1(VALU_DEP_3)
	v_clz_i32_u32_e32 v11, v7
	v_cmp_eq_u32_e32 vcc_lo, 0, v13
	s_delay_alu instid0(VALU_DEP_2) | instskip(NEXT) | instid1(VALU_DEP_1)
	v_min_u32_e32 v11, 32, v11
	v_subrev_nc_u32_e32 v12, 28, v11
	v_sub_nc_u32_e32 v11, 29, v11
	s_delay_alu instid0(VALU_DEP_2) | instskip(NEXT) | instid1(VALU_DEP_2)
	v_lshlrev_b32_e32 v3, v12, v3
	v_cndmask_b32_e32 v11, v13, v11, vcc_lo
	s_delay_alu instid0(VALU_DEP_2) | instskip(NEXT) | instid1(VALU_DEP_1)
	v_and_b32_e32 v3, 7, v3
	v_cndmask_b32_e32 v3, v7, v3, vcc_lo
	s_delay_alu instid0(VALU_DEP_3) | instskip(NEXT) | instid1(VALU_DEP_2)
	v_lshl_add_u32 v7, v11, 23, 0x3b800000
	v_lshlrev_b32_e32 v3, 20, v3
	s_delay_alu instid0(VALU_DEP_1) | instskip(NEXT) | instid1(VALU_DEP_1)
	v_or3_b32 v1, v1, v7, v3
	v_trunc_f32_e32 v1, v1
	s_delay_alu instid0(VALU_DEP_1) | instskip(SKIP_1) | instid1(VALU_DEP_2)
	v_mul_f32_e64 v3, 0x2f800000, |v1|
	v_ashrrev_i32_e32 v12, 31, v1
	v_floor_f32_e32 v3, v3
	s_delay_alu instid0(VALU_DEP_2) | instskip(NEXT) | instid1(VALU_DEP_2)
	v_mov_b32_e32 v13, v12
	v_fma_f32 v7, 0xcf800000, v3, |v1|
	v_cvt_u32_f32_e32 v1, v3
	s_delay_alu instid0(VALU_DEP_2) | instskip(NEXT) | instid1(VALU_DEP_2)
	v_cvt_u32_f32_e32 v3, v7
	v_xor_b32_e32 v17, v1, v12
	s_delay_alu instid0(VALU_DEP_2) | instskip(NEXT) | instid1(VALU_DEP_1)
	v_xor_b32_e32 v16, v3, v12
	v_sub_nc_u64_e32 v[12:13], v[16:17], v[12:13]
.LBB31_299:
	s_or_b32 exec_lo, exec_lo, s39
.LBB31_300:
	s_mov_b32 s39, -1
.LBB31_301:
	s_mov_b32 s40, 0
.LBB31_302:
	s_delay_alu instid0(SALU_CYCLE_1)
	s_and_b32 vcc_lo, exec_lo, s40
	s_cbranch_vccz .LBB31_335
; %bb.303:
	s_cmp_gt_i32 s35, 22
	s_cbranch_scc0 .LBB31_311
; %bb.304:
	s_cmp_lt_i32 s35, 24
	s_cbranch_scc1 .LBB31_314
; %bb.305:
	s_cmp_gt_i32 s35, 24
	s_cbranch_scc0 .LBB31_315
; %bb.306:
	global_load_u8 v1, v[14:15], off
	s_mov_b32 s40, 0
	s_mov_b32 s20, exec_lo
	s_wait_loadcnt 0x0
	v_cmpx_lt_i16_e32 0x7f, v1
	s_xor_b32 s39, exec_lo, s20
	s_cbranch_execz .LBB31_327
; %bb.307:
	v_cmp_ne_u16_e32 vcc_lo, 0x80, v1
	s_and_b32 s40, vcc_lo, exec_lo
	s_and_not1_saveexec_b32 s39, s39
	s_cbranch_execnz .LBB31_328
.LBB31_308:
	s_or_b32 exec_lo, exec_lo, s39
	v_mov_b64_e32 v[12:13], 0
	s_and_saveexec_b32 s39, s40
	s_cbranch_execz .LBB31_310
.LBB31_309:
	v_and_b32_e32 v3, 0xffff, v1
	s_delay_alu instid0(VALU_DEP_1) | instskip(SKIP_1) | instid1(VALU_DEP_2)
	v_dual_lshlrev_b32 v1, 24, v1 :: v_dual_bitop2_b32 v7, 3, v3 bitop3:0x40
	v_bfe_u32 v13, v3, 2, 5
	v_and_b32_e32 v1, 0x80000000, v1
	s_delay_alu instid0(VALU_DEP_3) | instskip(NEXT) | instid1(VALU_DEP_3)
	v_clz_i32_u32_e32 v11, v7
	v_cmp_eq_u32_e32 vcc_lo, 0, v13
	s_delay_alu instid0(VALU_DEP_2) | instskip(NEXT) | instid1(VALU_DEP_1)
	v_min_u32_e32 v11, 32, v11
	v_subrev_nc_u32_e32 v12, 29, v11
	v_sub_nc_u32_e32 v11, 30, v11
	s_delay_alu instid0(VALU_DEP_2) | instskip(NEXT) | instid1(VALU_DEP_2)
	v_lshlrev_b32_e32 v3, v12, v3
	v_cndmask_b32_e32 v11, v13, v11, vcc_lo
	s_delay_alu instid0(VALU_DEP_2) | instskip(NEXT) | instid1(VALU_DEP_1)
	v_and_b32_e32 v3, 3, v3
	v_cndmask_b32_e32 v3, v7, v3, vcc_lo
	s_delay_alu instid0(VALU_DEP_3) | instskip(NEXT) | instid1(VALU_DEP_2)
	v_lshl_add_u32 v7, v11, 23, 0x37800000
	v_lshlrev_b32_e32 v3, 21, v3
	s_delay_alu instid0(VALU_DEP_1) | instskip(NEXT) | instid1(VALU_DEP_1)
	v_or3_b32 v1, v1, v7, v3
	v_trunc_f32_e32 v1, v1
	s_delay_alu instid0(VALU_DEP_1) | instskip(SKIP_1) | instid1(VALU_DEP_2)
	v_mul_f32_e64 v3, 0x2f800000, |v1|
	v_ashrrev_i32_e32 v12, 31, v1
	v_floor_f32_e32 v3, v3
	s_delay_alu instid0(VALU_DEP_2) | instskip(NEXT) | instid1(VALU_DEP_2)
	v_mov_b32_e32 v13, v12
	v_fma_f32 v7, 0xcf800000, v3, |v1|
	v_cvt_u32_f32_e32 v1, v3
	s_delay_alu instid0(VALU_DEP_2) | instskip(NEXT) | instid1(VALU_DEP_2)
	v_cvt_u32_f32_e32 v3, v7
	v_xor_b32_e32 v17, v1, v12
	s_delay_alu instid0(VALU_DEP_2) | instskip(NEXT) | instid1(VALU_DEP_1)
	v_xor_b32_e32 v16, v3, v12
	v_sub_nc_u64_e32 v[12:13], v[16:17], v[12:13]
.LBB31_310:
	s_or_b32 exec_lo, exec_lo, s39
	s_mov_b32 s39, 0
	s_branch .LBB31_316
.LBB31_311:
	s_mov_b32 s40, -1
                                        ; implicit-def: $vgpr12_vgpr13
	s_branch .LBB31_322
.LBB31_312:
	s_and_not1_saveexec_b32 s39, s39
	s_cbranch_execz .LBB31_297
.LBB31_313:
	v_cmp_ne_u16_e32 vcc_lo, 0, v1
	s_and_not1_b32 s20, s40, exec_lo
	s_and_b32 s21, vcc_lo, exec_lo
	s_delay_alu instid0(SALU_CYCLE_1)
	s_or_b32 s40, s20, s21
	s_or_b32 exec_lo, exec_lo, s39
	v_mov_b64_e32 v[12:13], 0
	s_and_saveexec_b32 s39, s40
	s_cbranch_execnz .LBB31_298
	s_branch .LBB31_299
.LBB31_314:
	s_mov_b32 s39, -1
                                        ; implicit-def: $vgpr12_vgpr13
	s_branch .LBB31_319
.LBB31_315:
	s_mov_b32 s39, -1
                                        ; implicit-def: $vgpr12_vgpr13
.LBB31_316:
	s_delay_alu instid0(SALU_CYCLE_1)
	s_and_b32 vcc_lo, exec_lo, s39
	s_cbranch_vccz .LBB31_318
; %bb.317:
	global_load_u8 v1, v[14:15], off
	s_wait_loadcnt 0x0
	v_lshlrev_b32_e32 v1, 24, v1
	s_delay_alu instid0(VALU_DEP_1) | instskip(NEXT) | instid1(VALU_DEP_1)
	v_and_b32_e32 v3, 0x7f000000, v1
	v_clz_i32_u32_e32 v7, v3
	v_add_nc_u32_e32 v12, 0x1000000, v3
	v_cmp_ne_u32_e32 vcc_lo, 0, v3
	s_delay_alu instid0(VALU_DEP_3) | instskip(NEXT) | instid1(VALU_DEP_1)
	v_min_u32_e32 v7, 32, v7
	v_sub_nc_u32_e64 v7, v7, 4 clamp
	s_delay_alu instid0(VALU_DEP_1) | instskip(SKIP_1) | instid1(VALU_DEP_2)
	v_lshlrev_b32_e32 v11, v7, v3
	v_lshlrev_b32_e32 v7, 23, v7
	v_lshrrev_b32_e32 v11, 4, v11
	s_delay_alu instid0(VALU_DEP_1) | instskip(NEXT) | instid1(VALU_DEP_1)
	v_dual_sub_nc_u32 v7, v11, v7 :: v_dual_ashrrev_i32 v11, 8, v12
	v_add_nc_u32_e32 v7, 0x3c000000, v7
	s_delay_alu instid0(VALU_DEP_1) | instskip(NEXT) | instid1(VALU_DEP_1)
	v_and_or_b32 v7, 0x7f800000, v11, v7
	v_cndmask_b32_e32 v3, 0, v7, vcc_lo
	s_delay_alu instid0(VALU_DEP_1) | instskip(NEXT) | instid1(VALU_DEP_1)
	v_and_or_b32 v1, 0x80000000, v1, v3
	v_trunc_f32_e32 v1, v1
	s_delay_alu instid0(VALU_DEP_1) | instskip(SKIP_1) | instid1(VALU_DEP_2)
	v_mul_f32_e64 v3, 0x2f800000, |v1|
	v_ashrrev_i32_e32 v12, 31, v1
	v_floor_f32_e32 v3, v3
	s_delay_alu instid0(VALU_DEP_2) | instskip(NEXT) | instid1(VALU_DEP_2)
	v_mov_b32_e32 v13, v12
	v_fma_f32 v7, 0xcf800000, v3, |v1|
	v_cvt_u32_f32_e32 v1, v3
	s_delay_alu instid0(VALU_DEP_2) | instskip(NEXT) | instid1(VALU_DEP_2)
	v_cvt_u32_f32_e32 v3, v7
	v_xor_b32_e32 v17, v1, v12
	s_delay_alu instid0(VALU_DEP_2) | instskip(NEXT) | instid1(VALU_DEP_1)
	v_xor_b32_e32 v16, v3, v12
	v_sub_nc_u64_e32 v[12:13], v[16:17], v[12:13]
.LBB31_318:
	s_mov_b32 s39, 0
.LBB31_319:
	s_delay_alu instid0(SALU_CYCLE_1)
	s_and_not1_b32 vcc_lo, exec_lo, s39
	s_cbranch_vccnz .LBB31_321
; %bb.320:
	global_load_u8 v1, v[14:15], off
	s_wait_loadcnt 0x0
	v_lshlrev_b32_e32 v3, 25, v1
	v_lshlrev_b16 v1, 8, v1
	s_delay_alu instid0(VALU_DEP_1) | instskip(SKIP_1) | instid1(VALU_DEP_2)
	v_and_or_b32 v11, 0x7f00, v1, 0.5
	v_bfe_i32 v1, v1, 0, 16
	v_add_f32_e32 v11, -0.5, v11
	v_lshrrev_b32_e32 v7, 4, v3
	v_cmp_gt_u32_e32 vcc_lo, 0x8000000, v3
	s_delay_alu instid0(VALU_DEP_2) | instskip(NEXT) | instid1(VALU_DEP_1)
	v_or_b32_e32 v7, 0x70000000, v7
	v_mul_f32_e32 v7, 0x7800000, v7
	s_delay_alu instid0(VALU_DEP_1) | instskip(NEXT) | instid1(VALU_DEP_1)
	v_cndmask_b32_e32 v3, v7, v11, vcc_lo
	v_and_or_b32 v1, 0x80000000, v1, v3
	s_delay_alu instid0(VALU_DEP_1) | instskip(NEXT) | instid1(VALU_DEP_1)
	v_trunc_f32_e32 v1, v1
	v_mul_f32_e64 v3, 0x2f800000, |v1|
	v_ashrrev_i32_e32 v12, 31, v1
	s_delay_alu instid0(VALU_DEP_2) | instskip(NEXT) | instid1(VALU_DEP_2)
	v_floor_f32_e32 v3, v3
	v_mov_b32_e32 v13, v12
	s_delay_alu instid0(VALU_DEP_2) | instskip(SKIP_1) | instid1(VALU_DEP_2)
	v_fma_f32 v7, 0xcf800000, v3, |v1|
	v_cvt_u32_f32_e32 v1, v3
	v_cvt_u32_f32_e32 v3, v7
	s_delay_alu instid0(VALU_DEP_2) | instskip(NEXT) | instid1(VALU_DEP_2)
	v_xor_b32_e32 v17, v1, v12
	v_xor_b32_e32 v16, v3, v12
	s_delay_alu instid0(VALU_DEP_1)
	v_sub_nc_u64_e32 v[12:13], v[16:17], v[12:13]
.LBB31_321:
	s_mov_b32 s40, 0
	s_mov_b32 s39, -1
.LBB31_322:
	s_and_not1_b32 vcc_lo, exec_lo, s40
	s_cbranch_vccnz .LBB31_335
; %bb.323:
	s_cmp_gt_i32 s35, 14
	s_cbranch_scc0 .LBB31_326
; %bb.324:
	s_cmp_eq_u32 s35, 15
	s_cbranch_scc0 .LBB31_329
; %bb.325:
	global_load_u16 v1, v[14:15], off
	s_mov_b32 s39, -1
	s_mov_b32 s84, 0
	s_wait_loadcnt 0x0
	v_lshlrev_b32_e32 v1, 16, v1
	s_delay_alu instid0(VALU_DEP_1) | instskip(NEXT) | instid1(VALU_DEP_1)
	v_trunc_f32_e32 v1, v1
	v_mul_f32_e64 v3, 0x2f800000, |v1|
	v_ashrrev_i32_e32 v12, 31, v1
	s_delay_alu instid0(VALU_DEP_2) | instskip(NEXT) | instid1(VALU_DEP_2)
	v_floor_f32_e32 v3, v3
	v_mov_b32_e32 v13, v12
	s_delay_alu instid0(VALU_DEP_2) | instskip(SKIP_1) | instid1(VALU_DEP_2)
	v_fma_f32 v7, 0xcf800000, v3, |v1|
	v_cvt_u32_f32_e32 v1, v3
	v_cvt_u32_f32_e32 v3, v7
	s_delay_alu instid0(VALU_DEP_2) | instskip(NEXT) | instid1(VALU_DEP_2)
	v_xor_b32_e32 v17, v1, v12
	v_xor_b32_e32 v16, v3, v12
	s_delay_alu instid0(VALU_DEP_1)
	v_sub_nc_u64_e32 v[12:13], v[16:17], v[12:13]
	s_branch .LBB31_330
.LBB31_326:
	s_mov_b32 s40, -1
                                        ; implicit-def: $vgpr12_vgpr13
	s_branch .LBB31_331
.LBB31_327:
	s_and_not1_saveexec_b32 s39, s39
	s_cbranch_execz .LBB31_308
.LBB31_328:
	v_cmp_ne_u16_e32 vcc_lo, 0, v1
	s_and_not1_b32 s20, s40, exec_lo
	s_and_b32 s21, vcc_lo, exec_lo
	s_delay_alu instid0(SALU_CYCLE_1)
	s_or_b32 s40, s20, s21
	s_or_b32 exec_lo, exec_lo, s39
	v_mov_b64_e32 v[12:13], 0
	s_and_saveexec_b32 s39, s40
	s_cbranch_execnz .LBB31_309
	s_branch .LBB31_310
.LBB31_329:
	s_mov_b32 s84, -1
                                        ; implicit-def: $vgpr12_vgpr13
.LBB31_330:
	s_mov_b32 s40, 0
.LBB31_331:
	s_delay_alu instid0(SALU_CYCLE_1)
	s_and_b32 vcc_lo, exec_lo, s40
	s_cbranch_vccz .LBB31_335
; %bb.332:
	s_cmp_eq_u32 s35, 11
	s_cbranch_scc0 .LBB31_334
; %bb.333:
	global_load_u8 v1, v[14:15], off
	s_mov_b32 s84, 0
	s_mov_b32 s39, -1
	s_wait_loadcnt 0x1
	v_mov_b32_e32 v13, s84
	s_wait_loadcnt 0x0
	v_cmp_ne_u16_e32 vcc_lo, 0, v1
	v_cndmask_b32_e64 v12, 0, 1, vcc_lo
	s_branch .LBB31_335
.LBB31_334:
	s_mov_b32 s84, -1
                                        ; implicit-def: $vgpr12_vgpr13
.LBB31_335:
	s_mov_b32 s35, 0
.LBB31_336:
	s_delay_alu instid0(SALU_CYCLE_1)
	s_and_b32 vcc_lo, exec_lo, s35
	s_cbranch_vccz .LBB31_385
; %bb.337:
	s_and_b32 s0, 0xffff, s0
	s_delay_alu instid0(SALU_CYCLE_1)
	s_cmp_lt_i32 s0, 5
	s_cbranch_scc1 .LBB31_342
; %bb.338:
	s_cmp_lt_i32 s0, 8
	s_cbranch_scc1 .LBB31_343
; %bb.339:
	;; [unrolled: 3-line block ×3, first 2 shown]
	s_cmp_gt_i32 s0, 9
	s_cbranch_scc0 .LBB31_345
; %bb.341:
	s_wait_loadcnt 0x0
	global_load_b64 v[12:13], v[14:15], off
	s_mov_b32 s35, 0
	s_wait_loadcnt 0x0
	v_trunc_f64_e32 v[12:13], v[12:13]
	s_delay_alu instid0(VALU_DEP_1) | instskip(NEXT) | instid1(VALU_DEP_1)
	v_ldexp_f64 v[16:17], v[12:13], 0xffffffe0
	v_floor_f64_e32 v[16:17], v[16:17]
	s_delay_alu instid0(VALU_DEP_1) | instskip(SKIP_1) | instid1(VALU_DEP_2)
	v_fmamk_f64 v[18:19], v[16:17], 0xc1f00000, v[12:13]
	v_cvt_i32_f64_e32 v13, v[16:17]
	v_cvt_u32_f64_e32 v12, v[18:19]
	s_branch .LBB31_346
.LBB31_342:
	s_mov_b32 s35, -1
                                        ; implicit-def: $vgpr12_vgpr13
	s_branch .LBB31_364
.LBB31_343:
	s_mov_b32 s35, -1
                                        ; implicit-def: $vgpr12_vgpr13
	s_branch .LBB31_352
.LBB31_344:
	s_mov_b32 s35, -1
                                        ; implicit-def: $vgpr12_vgpr13
	s_branch .LBB31_349
.LBB31_345:
	s_mov_b32 s35, -1
                                        ; implicit-def: $vgpr12_vgpr13
.LBB31_346:
	s_delay_alu instid0(SALU_CYCLE_1)
	s_and_not1_b32 vcc_lo, exec_lo, s35
	s_cbranch_vccnz .LBB31_348
; %bb.347:
	global_load_b32 v1, v[14:15], off
	s_wait_loadcnt 0x0
	v_trunc_f32_e32 v1, v1
	s_delay_alu instid0(VALU_DEP_1) | instskip(SKIP_1) | instid1(VALU_DEP_2)
	v_mul_f32_e64 v3, 0x2f800000, |v1|
	v_ashrrev_i32_e32 v12, 31, v1
	v_floor_f32_e32 v3, v3
	s_delay_alu instid0(VALU_DEP_1) | instskip(SKIP_1) | instid1(VALU_DEP_4)
	v_fma_f32 v7, 0xcf800000, v3, |v1|
	v_cvt_u32_f32_e32 v1, v3
	v_mov_b32_e32 v13, v12
	s_delay_alu instid0(VALU_DEP_3) | instskip(NEXT) | instid1(VALU_DEP_3)
	v_cvt_u32_f32_e32 v3, v7
	v_xor_b32_e32 v17, v1, v12
	s_delay_alu instid0(VALU_DEP_2) | instskip(NEXT) | instid1(VALU_DEP_1)
	v_xor_b32_e32 v16, v3, v12
	v_sub_nc_u64_e32 v[12:13], v[16:17], v[12:13]
.LBB31_348:
	s_mov_b32 s35, 0
.LBB31_349:
	s_delay_alu instid0(SALU_CYCLE_1)
	s_and_not1_b32 vcc_lo, exec_lo, s35
	s_cbranch_vccnz .LBB31_351
; %bb.350:
	global_load_b32 v1, v[14:15], off
	s_wait_loadcnt 0x0
	v_cvt_f32_f16_e32 v1, v1
	s_delay_alu instid0(VALU_DEP_1) | instskip(NEXT) | instid1(VALU_DEP_1)
	v_cvt_i32_f32_e32 v12, v1
	v_ashrrev_i32_e32 v13, 31, v12
.LBB31_351:
	s_mov_b32 s35, 0
.LBB31_352:
	s_delay_alu instid0(SALU_CYCLE_1)
	s_and_not1_b32 vcc_lo, exec_lo, s35
	s_cbranch_vccnz .LBB31_363
; %bb.353:
	s_cmp_lt_i32 s0, 6
	s_cbranch_scc1 .LBB31_356
; %bb.354:
	s_cmp_gt_i32 s0, 6
	s_cbranch_scc0 .LBB31_357
; %bb.355:
	s_wait_loadcnt 0x0
	global_load_b64 v[12:13], v[14:15], off
	s_mov_b32 s35, 0
	s_wait_loadcnt 0x0
	v_trunc_f64_e32 v[12:13], v[12:13]
	s_delay_alu instid0(VALU_DEP_1) | instskip(NEXT) | instid1(VALU_DEP_1)
	v_ldexp_f64 v[16:17], v[12:13], 0xffffffe0
	v_floor_f64_e32 v[16:17], v[16:17]
	s_delay_alu instid0(VALU_DEP_1) | instskip(SKIP_1) | instid1(VALU_DEP_2)
	v_fmamk_f64 v[18:19], v[16:17], 0xc1f00000, v[12:13]
	v_cvt_i32_f64_e32 v13, v[16:17]
	v_cvt_u32_f64_e32 v12, v[18:19]
	s_branch .LBB31_358
.LBB31_356:
	s_mov_b32 s35, -1
                                        ; implicit-def: $vgpr12_vgpr13
	s_branch .LBB31_361
.LBB31_357:
	s_mov_b32 s35, -1
                                        ; implicit-def: $vgpr12_vgpr13
.LBB31_358:
	s_delay_alu instid0(SALU_CYCLE_1)
	s_and_not1_b32 vcc_lo, exec_lo, s35
	s_cbranch_vccnz .LBB31_360
; %bb.359:
	global_load_b32 v1, v[14:15], off
	s_wait_loadcnt 0x0
	v_trunc_f32_e32 v1, v1
	s_delay_alu instid0(VALU_DEP_1) | instskip(SKIP_1) | instid1(VALU_DEP_2)
	v_mul_f32_e64 v3, 0x2f800000, |v1|
	v_ashrrev_i32_e32 v12, 31, v1
	v_floor_f32_e32 v3, v3
	s_delay_alu instid0(VALU_DEP_1) | instskip(SKIP_1) | instid1(VALU_DEP_4)
	v_fma_f32 v7, 0xcf800000, v3, |v1|
	v_cvt_u32_f32_e32 v1, v3
	v_mov_b32_e32 v13, v12
	s_delay_alu instid0(VALU_DEP_3) | instskip(NEXT) | instid1(VALU_DEP_3)
	v_cvt_u32_f32_e32 v3, v7
	v_xor_b32_e32 v17, v1, v12
	s_delay_alu instid0(VALU_DEP_2) | instskip(NEXT) | instid1(VALU_DEP_1)
	v_xor_b32_e32 v16, v3, v12
	v_sub_nc_u64_e32 v[12:13], v[16:17], v[12:13]
.LBB31_360:
	s_mov_b32 s35, 0
.LBB31_361:
	s_delay_alu instid0(SALU_CYCLE_1)
	s_and_not1_b32 vcc_lo, exec_lo, s35
	s_cbranch_vccnz .LBB31_363
; %bb.362:
	global_load_u16 v1, v[14:15], off
	s_wait_loadcnt 0x0
	v_cvt_f32_f16_e32 v1, v1
	s_delay_alu instid0(VALU_DEP_1) | instskip(NEXT) | instid1(VALU_DEP_1)
	v_cvt_i32_f32_e32 v12, v1
	v_ashrrev_i32_e32 v13, 31, v12
.LBB31_363:
	s_mov_b32 s35, 0
.LBB31_364:
	s_delay_alu instid0(SALU_CYCLE_1)
	s_and_not1_b32 vcc_lo, exec_lo, s35
	s_cbranch_vccnz .LBB31_384
; %bb.365:
	s_cmp_lt_i32 s0, 2
	s_cbranch_scc1 .LBB31_369
; %bb.366:
	s_cmp_lt_i32 s0, 3
	s_cbranch_scc1 .LBB31_370
; %bb.367:
	s_cmp_gt_i32 s0, 3
	s_cbranch_scc0 .LBB31_371
; %bb.368:
	s_wait_loadcnt 0x0
	global_load_b64 v[12:13], v[14:15], off
	s_mov_b32 s35, 0
	s_branch .LBB31_372
.LBB31_369:
	s_mov_b32 s35, -1
                                        ; implicit-def: $vgpr12_vgpr13
	s_branch .LBB31_378
.LBB31_370:
	s_mov_b32 s35, -1
                                        ; implicit-def: $vgpr12_vgpr13
	s_branch .LBB31_375
.LBB31_371:
	s_mov_b32 s35, -1
                                        ; implicit-def: $vgpr12_vgpr13
.LBB31_372:
	s_delay_alu instid0(SALU_CYCLE_1)
	s_and_not1_b32 vcc_lo, exec_lo, s35
	s_cbranch_vccnz .LBB31_374
; %bb.373:
	s_wait_loadcnt 0x0
	global_load_b32 v12, v[14:15], off
	s_wait_loadcnt 0x0
	v_ashrrev_i32_e32 v13, 31, v12
.LBB31_374:
	s_mov_b32 s35, 0
.LBB31_375:
	s_delay_alu instid0(SALU_CYCLE_1)
	s_and_not1_b32 vcc_lo, exec_lo, s35
	s_cbranch_vccnz .LBB31_377
; %bb.376:
	global_load_u16 v1, v[14:15], off
	s_wait_loadcnt 0x0
	v_bfe_i32 v12, v1, 0, 16
	s_delay_alu instid0(VALU_DEP_1)
	v_ashrrev_i32_e32 v13, 31, v12
.LBB31_377:
	s_mov_b32 s35, 0
.LBB31_378:
	s_delay_alu instid0(SALU_CYCLE_1)
	s_and_not1_b32 vcc_lo, exec_lo, s35
	s_cbranch_vccnz .LBB31_384
; %bb.379:
	s_cmp_gt_i32 s0, 0
	s_mov_b32 s0, 0
	s_cbranch_scc0 .LBB31_381
; %bb.380:
	global_load_i8 v1, v[14:15], off
	s_wait_loadcnt 0x0
	v_bfe_i32 v12, v1, 0, 16
	s_delay_alu instid0(VALU_DEP_1)
	v_ashrrev_i32_e32 v13, 31, v12
	s_branch .LBB31_382
.LBB31_381:
	s_mov_b32 s0, -1
                                        ; implicit-def: $vgpr12_vgpr13
.LBB31_382:
	s_delay_alu instid0(SALU_CYCLE_1)
	s_and_not1_b32 vcc_lo, exec_lo, s0
	s_cbranch_vccnz .LBB31_384
; %bb.383:
	global_load_u8 v1, v[14:15], off
	s_mov_b32 s0, 0
	s_wait_loadcnt 0x1
	v_mov_b32_e32 v13, s0
	s_wait_loadcnt 0x0
	v_and_b32_e32 v12, 0xffff, v1
.LBB31_384:
	s_mov_b32 s39, -1
.LBB31_385:
	s_delay_alu instid0(SALU_CYCLE_1)
	s_and_not1_b32 vcc_lo, exec_lo, s39
	s_cbranch_vccnz .LBB31_393
; %bb.386:
	s_load_b512 s[4:19], s[2:3], 0x248
	v_mov_b32_e32 v11, 0
	s_and_b32 s0, s75, 0xff
	s_delay_alu instid0(SALU_CYCLE_1) | instskip(SKIP_1) | instid1(VALU_DEP_1)
	s_cmp_lt_i32 s0, 11
	s_wait_kmcnt 0x0
	v_add_nc_u64_e32 v[14:15], s[12:13], v[10:11]
	s_cbranch_scc1 .LBB31_394
; %bb.387:
	s_and_b32 s35, 0xffff, s0
	s_delay_alu instid0(SALU_CYCLE_1)
	s_cmp_gt_i32 s35, 25
	s_cbranch_scc0 .LBB31_395
; %bb.388:
	s_cmp_gt_i32 s35, 28
	s_cbranch_scc0 .LBB31_396
; %bb.389:
	;; [unrolled: 3-line block ×4, first 2 shown]
	s_cmp_eq_u32 s35, 46
	s_mov_b32 s40, 0
	s_cbranch_scc0 .LBB31_399
; %bb.392:
	global_load_b32 v1, v[14:15], off
	s_mov_b32 s39, -1
	s_mov_b32 s83, 0
	s_wait_loadcnt 0x0
	v_lshlrev_b32_e32 v1, 16, v1
	s_delay_alu instid0(VALU_DEP_1) | instskip(NEXT) | instid1(VALU_DEP_1)
	v_trunc_f32_e32 v1, v1
	v_mul_f32_e64 v3, 0x2f800000, |v1|
	v_ashrrev_i32_e32 v10, 31, v1
	s_delay_alu instid0(VALU_DEP_2) | instskip(NEXT) | instid1(VALU_DEP_2)
	v_floor_f32_e32 v3, v3
	v_mov_b32_e32 v11, v10
	s_delay_alu instid0(VALU_DEP_2) | instskip(SKIP_1) | instid1(VALU_DEP_2)
	v_fma_f32 v7, 0xcf800000, v3, |v1|
	v_cvt_u32_f32_e32 v1, v3
	v_cvt_u32_f32_e32 v3, v7
	s_delay_alu instid0(VALU_DEP_2) | instskip(NEXT) | instid1(VALU_DEP_2)
	v_xor_b32_e32 v17, v1, v10
	v_xor_b32_e32 v16, v3, v10
	s_delay_alu instid0(VALU_DEP_1)
	v_sub_nc_u64_e32 v[10:11], v[16:17], v[10:11]
	s_branch .LBB31_401
.LBB31_393:
	s_mov_b32 s0, 0
	s_mov_b32 s35, 0
	s_mov_b32 s40, 0
	s_mov_b32 s41, 0
	s_mov_b32 s42, 0
	s_mov_b32 s43, 0
	s_mov_b32 s82, 0
	s_mov_b32 s83, 0
	s_branch .LBB31_649
.LBB31_394:
	s_mov_b32 s35, -1
	s_mov_b32 s83, 0
	s_mov_b32 s39, 0
                                        ; implicit-def: $vgpr10_vgpr11
	s_branch .LBB31_462
.LBB31_395:
	s_mov_b32 s40, -1
	s_mov_b32 s83, 0
	s_mov_b32 s39, 0
                                        ; implicit-def: $vgpr10_vgpr11
	s_branch .LBB31_428
.LBB31_396:
	s_mov_b32 s40, -1
	s_mov_b32 s83, 0
	s_mov_b32 s39, 0
                                        ; implicit-def: $vgpr10_vgpr11
	s_branch .LBB31_411
.LBB31_397:
	s_mov_b32 s40, -1
	s_mov_b32 s83, 0
	s_mov_b32 s39, 0
                                        ; implicit-def: $vgpr10_vgpr11
	s_branch .LBB31_406
.LBB31_398:
	s_mov_b32 s40, -1
	s_mov_b32 s83, 0
	s_branch .LBB31_400
.LBB31_399:
	s_mov_b32 s83, -1
.LBB31_400:
	s_mov_b32 s39, 0
                                        ; implicit-def: $vgpr10_vgpr11
.LBB31_401:
	s_and_b32 vcc_lo, exec_lo, s40
	s_cbranch_vccz .LBB31_405
; %bb.402:
	s_cmp_eq_u32 s35, 44
	s_cbranch_scc0 .LBB31_404
; %bb.403:
	global_load_u8 v1, v[14:15], off
	s_mov_b32 s83, 0
	s_mov_b32 s39, -1
	s_wait_loadcnt 0x0
	v_lshlrev_b32_e32 v3, 23, v1
	v_cmp_ne_u32_e32 vcc_lo, 0, v1
	s_delay_alu instid0(VALU_DEP_2) | instskip(NEXT) | instid1(VALU_DEP_1)
	v_trunc_f32_e32 v3, v3
	v_mul_f32_e64 v7, 0x2f800000, |v3|
	v_ashrrev_i32_e32 v10, 31, v3
	s_delay_alu instid0(VALU_DEP_2) | instskip(NEXT) | instid1(VALU_DEP_1)
	v_floor_f32_e32 v7, v7
	v_fma_f32 v11, 0xcf800000, v7, |v3|
	v_cvt_u32_f32_e32 v3, v7
	s_delay_alu instid0(VALU_DEP_2) | instskip(NEXT) | instid1(VALU_DEP_2)
	v_cvt_u32_f32_e32 v7, v11
	v_dual_mov_b32 v11, v10 :: v_dual_bitop2_b32 v17, v3, v10 bitop3:0x14
	s_delay_alu instid0(VALU_DEP_2) | instskip(NEXT) | instid1(VALU_DEP_1)
	v_xor_b32_e32 v16, v7, v10
	v_sub_nc_u64_e32 v[10:11], v[16:17], v[10:11]
	s_delay_alu instid0(VALU_DEP_1)
	v_dual_cndmask_b32 v11, 0, v11 :: v_dual_cndmask_b32 v10, 0, v10
	s_branch .LBB31_405
.LBB31_404:
	s_mov_b32 s83, -1
                                        ; implicit-def: $vgpr10_vgpr11
.LBB31_405:
	s_mov_b32 s40, 0
.LBB31_406:
	s_delay_alu instid0(SALU_CYCLE_1)
	s_and_b32 vcc_lo, exec_lo, s40
	s_cbranch_vccz .LBB31_410
; %bb.407:
	s_cmp_eq_u32 s35, 29
	s_cbranch_scc0 .LBB31_409
; %bb.408:
	global_load_b64 v[10:11], v[14:15], off
	s_mov_b32 s39, -1
	s_mov_b32 s83, 0
	s_branch .LBB31_410
.LBB31_409:
	s_mov_b32 s83, -1
                                        ; implicit-def: $vgpr10_vgpr11
.LBB31_410:
	s_mov_b32 s40, 0
.LBB31_411:
	s_delay_alu instid0(SALU_CYCLE_1)
	s_and_b32 vcc_lo, exec_lo, s40
	s_cbranch_vccz .LBB31_427
; %bb.412:
	s_cmp_lt_i32 s35, 27
	s_cbranch_scc1 .LBB31_415
; %bb.413:
	s_cmp_gt_i32 s35, 27
	s_cbranch_scc0 .LBB31_416
; %bb.414:
	s_wait_loadcnt 0x0
	global_load_b32 v10, v[14:15], off
	v_mov_b32_e32 v11, 0
	s_mov_b32 s39, 0
	s_branch .LBB31_417
.LBB31_415:
	s_mov_b32 s39, -1
                                        ; implicit-def: $vgpr10_vgpr11
	s_branch .LBB31_420
.LBB31_416:
	s_mov_b32 s39, -1
                                        ; implicit-def: $vgpr10_vgpr11
.LBB31_417:
	s_delay_alu instid0(SALU_CYCLE_1)
	s_and_not1_b32 vcc_lo, exec_lo, s39
	s_cbranch_vccnz .LBB31_419
; %bb.418:
	global_load_u16 v1, v[14:15], off
	s_mov_b32 s20, 0
	s_wait_loadcnt 0x1
	v_mov_b32_e32 v11, s20
	s_wait_loadcnt 0x0
	v_and_b32_e32 v10, 0xffff, v1
.LBB31_419:
	s_mov_b32 s39, 0
.LBB31_420:
	s_delay_alu instid0(SALU_CYCLE_1)
	s_and_not1_b32 vcc_lo, exec_lo, s39
	s_cbranch_vccnz .LBB31_426
; %bb.421:
	global_load_u8 v1, v[14:15], off
	s_mov_b32 s40, 0
	s_mov_b32 s20, exec_lo
	s_wait_loadcnt 0x0
	v_cmpx_lt_i16_e32 0x7f, v1
	s_xor_b32 s39, exec_lo, s20
	s_cbranch_execz .LBB31_438
; %bb.422:
	v_cmp_ne_u16_e32 vcc_lo, 0x80, v1
	s_and_b32 s40, vcc_lo, exec_lo
	s_and_not1_saveexec_b32 s39, s39
	s_cbranch_execnz .LBB31_439
.LBB31_423:
	s_or_b32 exec_lo, exec_lo, s39
	v_mov_b64_e32 v[10:11], 0
	s_and_saveexec_b32 s39, s40
	s_cbranch_execz .LBB31_425
.LBB31_424:
	v_and_b32_e32 v3, 0xffff, v1
	s_delay_alu instid0(VALU_DEP_1) | instskip(SKIP_1) | instid1(VALU_DEP_2)
	v_and_b32_e32 v7, 7, v3
	v_bfe_u32 v16, v3, 3, 4
	v_clz_i32_u32_e32 v10, v7
	s_delay_alu instid0(VALU_DEP_2) | instskip(NEXT) | instid1(VALU_DEP_2)
	v_cmp_eq_u32_e32 vcc_lo, 0, v16
	v_min_u32_e32 v10, 32, v10
	s_delay_alu instid0(VALU_DEP_1) | instskip(NEXT) | instid1(VALU_DEP_1)
	v_subrev_nc_u32_e32 v11, 28, v10
	v_dual_lshlrev_b32 v3, v11, v3 :: v_dual_sub_nc_u32 v10, 29, v10
	s_delay_alu instid0(VALU_DEP_1) | instskip(NEXT) | instid1(VALU_DEP_1)
	v_dual_lshlrev_b32 v1, 24, v1 :: v_dual_bitop2_b32 v3, 7, v3 bitop3:0x40
	v_dual_cndmask_b32 v10, v16, v10 :: v_dual_cndmask_b32 v3, v7, v3
	s_delay_alu instid0(VALU_DEP_2) | instskip(NEXT) | instid1(VALU_DEP_2)
	v_and_b32_e32 v1, 0x80000000, v1
	v_lshl_add_u32 v7, v10, 23, 0x3b800000
	s_delay_alu instid0(VALU_DEP_3) | instskip(NEXT) | instid1(VALU_DEP_1)
	v_lshlrev_b32_e32 v3, 20, v3
	v_or3_b32 v1, v1, v7, v3
	s_delay_alu instid0(VALU_DEP_1) | instskip(NEXT) | instid1(VALU_DEP_1)
	v_trunc_f32_e32 v1, v1
	v_mul_f32_e64 v3, 0x2f800000, |v1|
	v_ashrrev_i32_e32 v10, 31, v1
	s_delay_alu instid0(VALU_DEP_2) | instskip(NEXT) | instid1(VALU_DEP_2)
	v_floor_f32_e32 v3, v3
	v_mov_b32_e32 v11, v10
	s_delay_alu instid0(VALU_DEP_2) | instskip(SKIP_1) | instid1(VALU_DEP_2)
	v_fma_f32 v7, 0xcf800000, v3, |v1|
	v_cvt_u32_f32_e32 v1, v3
	v_cvt_u32_f32_e32 v3, v7
	s_delay_alu instid0(VALU_DEP_2) | instskip(NEXT) | instid1(VALU_DEP_2)
	v_xor_b32_e32 v17, v1, v10
	v_xor_b32_e32 v16, v3, v10
	s_delay_alu instid0(VALU_DEP_1)
	v_sub_nc_u64_e32 v[10:11], v[16:17], v[10:11]
.LBB31_425:
	s_or_b32 exec_lo, exec_lo, s39
.LBB31_426:
	s_mov_b32 s39, -1
.LBB31_427:
	s_mov_b32 s40, 0
.LBB31_428:
	s_delay_alu instid0(SALU_CYCLE_1)
	s_and_b32 vcc_lo, exec_lo, s40
	s_cbranch_vccz .LBB31_461
; %bb.429:
	s_cmp_gt_i32 s35, 22
	s_cbranch_scc0 .LBB31_437
; %bb.430:
	s_cmp_lt_i32 s35, 24
	s_cbranch_scc1 .LBB31_440
; %bb.431:
	s_cmp_gt_i32 s35, 24
	s_cbranch_scc0 .LBB31_441
; %bb.432:
	global_load_u8 v1, v[14:15], off
	s_mov_b32 s40, 0
	s_mov_b32 s20, exec_lo
	s_wait_loadcnt 0x0
	v_cmpx_lt_i16_e32 0x7f, v1
	s_xor_b32 s39, exec_lo, s20
	s_cbranch_execz .LBB31_453
; %bb.433:
	v_cmp_ne_u16_e32 vcc_lo, 0x80, v1
	s_and_b32 s40, vcc_lo, exec_lo
	s_and_not1_saveexec_b32 s39, s39
	s_cbranch_execnz .LBB31_454
.LBB31_434:
	s_or_b32 exec_lo, exec_lo, s39
	v_mov_b64_e32 v[10:11], 0
	s_and_saveexec_b32 s39, s40
	s_cbranch_execz .LBB31_436
.LBB31_435:
	v_and_b32_e32 v3, 0xffff, v1
	s_delay_alu instid0(VALU_DEP_1) | instskip(SKIP_1) | instid1(VALU_DEP_2)
	v_and_b32_e32 v7, 3, v3
	v_bfe_u32 v16, v3, 2, 5
	v_clz_i32_u32_e32 v10, v7
	s_delay_alu instid0(VALU_DEP_2) | instskip(NEXT) | instid1(VALU_DEP_2)
	v_cmp_eq_u32_e32 vcc_lo, 0, v16
	v_min_u32_e32 v10, 32, v10
	s_delay_alu instid0(VALU_DEP_1) | instskip(NEXT) | instid1(VALU_DEP_1)
	v_subrev_nc_u32_e32 v11, 29, v10
	v_dual_lshlrev_b32 v3, v11, v3 :: v_dual_sub_nc_u32 v10, 30, v10
	s_delay_alu instid0(VALU_DEP_1) | instskip(NEXT) | instid1(VALU_DEP_1)
	v_dual_lshlrev_b32 v1, 24, v1 :: v_dual_bitop2_b32 v3, 3, v3 bitop3:0x40
	v_dual_cndmask_b32 v10, v16, v10 :: v_dual_cndmask_b32 v3, v7, v3
	s_delay_alu instid0(VALU_DEP_2) | instskip(NEXT) | instid1(VALU_DEP_2)
	v_and_b32_e32 v1, 0x80000000, v1
	v_lshl_add_u32 v7, v10, 23, 0x37800000
	s_delay_alu instid0(VALU_DEP_3) | instskip(NEXT) | instid1(VALU_DEP_1)
	v_lshlrev_b32_e32 v3, 21, v3
	v_or3_b32 v1, v1, v7, v3
	s_delay_alu instid0(VALU_DEP_1) | instskip(NEXT) | instid1(VALU_DEP_1)
	v_trunc_f32_e32 v1, v1
	v_mul_f32_e64 v3, 0x2f800000, |v1|
	v_ashrrev_i32_e32 v10, 31, v1
	s_delay_alu instid0(VALU_DEP_2) | instskip(NEXT) | instid1(VALU_DEP_2)
	v_floor_f32_e32 v3, v3
	v_mov_b32_e32 v11, v10
	s_delay_alu instid0(VALU_DEP_2) | instskip(SKIP_1) | instid1(VALU_DEP_2)
	v_fma_f32 v7, 0xcf800000, v3, |v1|
	v_cvt_u32_f32_e32 v1, v3
	v_cvt_u32_f32_e32 v3, v7
	s_delay_alu instid0(VALU_DEP_2) | instskip(NEXT) | instid1(VALU_DEP_2)
	v_xor_b32_e32 v17, v1, v10
	v_xor_b32_e32 v16, v3, v10
	s_delay_alu instid0(VALU_DEP_1)
	v_sub_nc_u64_e32 v[10:11], v[16:17], v[10:11]
.LBB31_436:
	s_or_b32 exec_lo, exec_lo, s39
	s_mov_b32 s39, 0
	s_branch .LBB31_442
.LBB31_437:
	s_mov_b32 s40, -1
                                        ; implicit-def: $vgpr10_vgpr11
	s_branch .LBB31_448
.LBB31_438:
	s_and_not1_saveexec_b32 s39, s39
	s_cbranch_execz .LBB31_423
.LBB31_439:
	v_cmp_ne_u16_e32 vcc_lo, 0, v1
	s_and_not1_b32 s20, s40, exec_lo
	s_and_b32 s21, vcc_lo, exec_lo
	s_delay_alu instid0(SALU_CYCLE_1)
	s_or_b32 s40, s20, s21
	s_or_b32 exec_lo, exec_lo, s39
	v_mov_b64_e32 v[10:11], 0
	s_and_saveexec_b32 s39, s40
	s_cbranch_execnz .LBB31_424
	s_branch .LBB31_425
.LBB31_440:
	s_mov_b32 s39, -1
                                        ; implicit-def: $vgpr10_vgpr11
	s_branch .LBB31_445
.LBB31_441:
	s_mov_b32 s39, -1
                                        ; implicit-def: $vgpr10_vgpr11
.LBB31_442:
	s_delay_alu instid0(SALU_CYCLE_1)
	s_and_b32 vcc_lo, exec_lo, s39
	s_cbranch_vccz .LBB31_444
; %bb.443:
	global_load_u8 v1, v[14:15], off
	s_wait_loadcnt 0x0
	v_lshlrev_b32_e32 v1, 24, v1
	s_delay_alu instid0(VALU_DEP_1) | instskip(NEXT) | instid1(VALU_DEP_1)
	v_and_b32_e32 v3, 0x7f000000, v1
	v_clz_i32_u32_e32 v7, v3
	v_add_nc_u32_e32 v11, 0x1000000, v3
	v_cmp_ne_u32_e32 vcc_lo, 0, v3
	s_delay_alu instid0(VALU_DEP_3) | instskip(NEXT) | instid1(VALU_DEP_1)
	v_min_u32_e32 v7, 32, v7
	v_sub_nc_u32_e64 v7, v7, 4 clamp
	s_delay_alu instid0(VALU_DEP_1) | instskip(NEXT) | instid1(VALU_DEP_1)
	v_lshlrev_b32_e32 v10, v7, v3
	v_dual_lshlrev_b32 v7, 23, v7 :: v_dual_lshrrev_b32 v10, 4, v10
	s_delay_alu instid0(VALU_DEP_1) | instskip(SKIP_1) | instid1(VALU_DEP_2)
	v_sub_nc_u32_e32 v7, v10, v7
	v_ashrrev_i32_e32 v10, 8, v11
	v_add_nc_u32_e32 v7, 0x3c000000, v7
	s_delay_alu instid0(VALU_DEP_1) | instskip(NEXT) | instid1(VALU_DEP_1)
	v_and_or_b32 v7, 0x7f800000, v10, v7
	v_cndmask_b32_e32 v3, 0, v7, vcc_lo
	s_delay_alu instid0(VALU_DEP_1) | instskip(NEXT) | instid1(VALU_DEP_1)
	v_and_or_b32 v1, 0x80000000, v1, v3
	v_trunc_f32_e32 v1, v1
	s_delay_alu instid0(VALU_DEP_1) | instskip(SKIP_1) | instid1(VALU_DEP_2)
	v_mul_f32_e64 v3, 0x2f800000, |v1|
	v_ashrrev_i32_e32 v10, 31, v1
	v_floor_f32_e32 v3, v3
	s_delay_alu instid0(VALU_DEP_2) | instskip(NEXT) | instid1(VALU_DEP_2)
	v_mov_b32_e32 v11, v10
	v_fma_f32 v7, 0xcf800000, v3, |v1|
	v_cvt_u32_f32_e32 v1, v3
	s_delay_alu instid0(VALU_DEP_2) | instskip(NEXT) | instid1(VALU_DEP_2)
	v_cvt_u32_f32_e32 v3, v7
	v_xor_b32_e32 v17, v1, v10
	s_delay_alu instid0(VALU_DEP_2) | instskip(NEXT) | instid1(VALU_DEP_1)
	v_xor_b32_e32 v16, v3, v10
	v_sub_nc_u64_e32 v[10:11], v[16:17], v[10:11]
.LBB31_444:
	s_mov_b32 s39, 0
.LBB31_445:
	s_delay_alu instid0(SALU_CYCLE_1)
	s_and_not1_b32 vcc_lo, exec_lo, s39
	s_cbranch_vccnz .LBB31_447
; %bb.446:
	global_load_u8 v1, v[14:15], off
	s_wait_loadcnt 0x0
	v_lshlrev_b32_e32 v3, 25, v1
	v_lshlrev_b16 v1, 8, v1
	s_delay_alu instid0(VALU_DEP_1) | instskip(SKIP_1) | instid1(VALU_DEP_2)
	v_and_or_b32 v10, 0x7f00, v1, 0.5
	v_bfe_i32 v1, v1, 0, 16
	v_dual_add_f32 v10, -0.5, v10 :: v_dual_lshrrev_b32 v7, 4, v3
	v_cmp_gt_u32_e32 vcc_lo, 0x8000000, v3
	s_delay_alu instid0(VALU_DEP_2) | instskip(NEXT) | instid1(VALU_DEP_1)
	v_or_b32_e32 v7, 0x70000000, v7
	v_mul_f32_e32 v7, 0x7800000, v7
	s_delay_alu instid0(VALU_DEP_1) | instskip(NEXT) | instid1(VALU_DEP_1)
	v_cndmask_b32_e32 v3, v7, v10, vcc_lo
	v_and_or_b32 v1, 0x80000000, v1, v3
	s_delay_alu instid0(VALU_DEP_1) | instskip(NEXT) | instid1(VALU_DEP_1)
	v_trunc_f32_e32 v1, v1
	v_mul_f32_e64 v3, 0x2f800000, |v1|
	v_ashrrev_i32_e32 v10, 31, v1
	s_delay_alu instid0(VALU_DEP_2) | instskip(NEXT) | instid1(VALU_DEP_2)
	v_floor_f32_e32 v3, v3
	v_mov_b32_e32 v11, v10
	s_delay_alu instid0(VALU_DEP_2) | instskip(SKIP_1) | instid1(VALU_DEP_2)
	v_fma_f32 v7, 0xcf800000, v3, |v1|
	v_cvt_u32_f32_e32 v1, v3
	v_cvt_u32_f32_e32 v3, v7
	s_delay_alu instid0(VALU_DEP_2) | instskip(NEXT) | instid1(VALU_DEP_2)
	v_xor_b32_e32 v17, v1, v10
	v_xor_b32_e32 v16, v3, v10
	s_delay_alu instid0(VALU_DEP_1)
	v_sub_nc_u64_e32 v[10:11], v[16:17], v[10:11]
.LBB31_447:
	s_mov_b32 s40, 0
	s_mov_b32 s39, -1
.LBB31_448:
	s_and_not1_b32 vcc_lo, exec_lo, s40
	s_cbranch_vccnz .LBB31_461
; %bb.449:
	s_cmp_gt_i32 s35, 14
	s_cbranch_scc0 .LBB31_452
; %bb.450:
	s_cmp_eq_u32 s35, 15
	s_cbranch_scc0 .LBB31_455
; %bb.451:
	global_load_u16 v1, v[14:15], off
	s_mov_b32 s39, -1
	s_mov_b32 s83, 0
	s_wait_loadcnt 0x0
	v_lshlrev_b32_e32 v1, 16, v1
	s_delay_alu instid0(VALU_DEP_1) | instskip(NEXT) | instid1(VALU_DEP_1)
	v_trunc_f32_e32 v1, v1
	v_mul_f32_e64 v3, 0x2f800000, |v1|
	v_ashrrev_i32_e32 v10, 31, v1
	s_delay_alu instid0(VALU_DEP_2) | instskip(NEXT) | instid1(VALU_DEP_2)
	v_floor_f32_e32 v3, v3
	v_mov_b32_e32 v11, v10
	s_delay_alu instid0(VALU_DEP_2) | instskip(SKIP_1) | instid1(VALU_DEP_2)
	v_fma_f32 v7, 0xcf800000, v3, |v1|
	v_cvt_u32_f32_e32 v1, v3
	v_cvt_u32_f32_e32 v3, v7
	s_delay_alu instid0(VALU_DEP_2) | instskip(NEXT) | instid1(VALU_DEP_2)
	v_xor_b32_e32 v17, v1, v10
	v_xor_b32_e32 v16, v3, v10
	s_delay_alu instid0(VALU_DEP_1)
	v_sub_nc_u64_e32 v[10:11], v[16:17], v[10:11]
	s_branch .LBB31_456
.LBB31_452:
	s_mov_b32 s40, -1
                                        ; implicit-def: $vgpr10_vgpr11
	s_branch .LBB31_457
.LBB31_453:
	s_and_not1_saveexec_b32 s39, s39
	s_cbranch_execz .LBB31_434
.LBB31_454:
	v_cmp_ne_u16_e32 vcc_lo, 0, v1
	s_and_not1_b32 s20, s40, exec_lo
	s_and_b32 s21, vcc_lo, exec_lo
	s_delay_alu instid0(SALU_CYCLE_1)
	s_or_b32 s40, s20, s21
	s_or_b32 exec_lo, exec_lo, s39
	v_mov_b64_e32 v[10:11], 0
	s_and_saveexec_b32 s39, s40
	s_cbranch_execnz .LBB31_435
	s_branch .LBB31_436
.LBB31_455:
	s_mov_b32 s83, -1
                                        ; implicit-def: $vgpr10_vgpr11
.LBB31_456:
	s_mov_b32 s40, 0
.LBB31_457:
	s_delay_alu instid0(SALU_CYCLE_1)
	s_and_b32 vcc_lo, exec_lo, s40
	s_cbranch_vccz .LBB31_461
; %bb.458:
	s_cmp_eq_u32 s35, 11
	s_cbranch_scc0 .LBB31_460
; %bb.459:
	global_load_u8 v1, v[14:15], off
	s_mov_b32 s83, 0
	s_mov_b32 s39, -1
	s_wait_loadcnt 0x1
	v_mov_b32_e32 v11, s83
	s_wait_loadcnt 0x0
	v_cmp_ne_u16_e32 vcc_lo, 0, v1
	v_cndmask_b32_e64 v10, 0, 1, vcc_lo
	s_branch .LBB31_461
.LBB31_460:
	s_mov_b32 s83, -1
                                        ; implicit-def: $vgpr10_vgpr11
.LBB31_461:
	s_mov_b32 s35, 0
.LBB31_462:
	s_delay_alu instid0(SALU_CYCLE_1)
	s_and_b32 vcc_lo, exec_lo, s35
	s_cbranch_vccz .LBB31_511
; %bb.463:
	s_and_b32 s0, 0xffff, s0
	s_delay_alu instid0(SALU_CYCLE_1)
	s_cmp_lt_i32 s0, 5
	s_cbranch_scc1 .LBB31_468
; %bb.464:
	s_cmp_lt_i32 s0, 8
	s_cbranch_scc1 .LBB31_469
; %bb.465:
	s_cmp_lt_i32 s0, 9
	s_cbranch_scc1 .LBB31_470
; %bb.466:
	s_cmp_gt_i32 s0, 9
	s_cbranch_scc0 .LBB31_471
; %bb.467:
	s_wait_loadcnt 0x0
	global_load_b64 v[10:11], v[14:15], off
	s_mov_b32 s35, 0
	s_wait_loadcnt 0x0
	v_trunc_f64_e32 v[10:11], v[10:11]
	s_delay_alu instid0(VALU_DEP_1) | instskip(NEXT) | instid1(VALU_DEP_1)
	v_ldexp_f64 v[16:17], v[10:11], 0xffffffe0
	v_floor_f64_e32 v[16:17], v[16:17]
	s_delay_alu instid0(VALU_DEP_1) | instskip(SKIP_1) | instid1(VALU_DEP_2)
	v_fmamk_f64 v[18:19], v[16:17], 0xc1f00000, v[10:11]
	v_cvt_i32_f64_e32 v11, v[16:17]
	v_cvt_u32_f64_e32 v10, v[18:19]
	s_branch .LBB31_472
.LBB31_468:
	s_mov_b32 s35, -1
                                        ; implicit-def: $vgpr10_vgpr11
	s_branch .LBB31_490
.LBB31_469:
	s_mov_b32 s35, -1
                                        ; implicit-def: $vgpr10_vgpr11
	s_branch .LBB31_478
.LBB31_470:
	s_mov_b32 s35, -1
                                        ; implicit-def: $vgpr10_vgpr11
	s_branch .LBB31_475
.LBB31_471:
	s_mov_b32 s35, -1
                                        ; implicit-def: $vgpr10_vgpr11
.LBB31_472:
	s_delay_alu instid0(SALU_CYCLE_1)
	s_and_not1_b32 vcc_lo, exec_lo, s35
	s_cbranch_vccnz .LBB31_474
; %bb.473:
	global_load_b32 v1, v[14:15], off
	s_wait_loadcnt 0x0
	v_trunc_f32_e32 v1, v1
	s_delay_alu instid0(VALU_DEP_1) | instskip(SKIP_1) | instid1(VALU_DEP_2)
	v_mul_f32_e64 v3, 0x2f800000, |v1|
	v_ashrrev_i32_e32 v10, 31, v1
	v_floor_f32_e32 v3, v3
	s_delay_alu instid0(VALU_DEP_1) | instskip(SKIP_1) | instid1(VALU_DEP_4)
	v_fma_f32 v7, 0xcf800000, v3, |v1|
	v_cvt_u32_f32_e32 v1, v3
	v_mov_b32_e32 v11, v10
	s_delay_alu instid0(VALU_DEP_3) | instskip(NEXT) | instid1(VALU_DEP_3)
	v_cvt_u32_f32_e32 v3, v7
	v_xor_b32_e32 v17, v1, v10
	s_delay_alu instid0(VALU_DEP_2) | instskip(NEXT) | instid1(VALU_DEP_1)
	v_xor_b32_e32 v16, v3, v10
	v_sub_nc_u64_e32 v[10:11], v[16:17], v[10:11]
.LBB31_474:
	s_mov_b32 s35, 0
.LBB31_475:
	s_delay_alu instid0(SALU_CYCLE_1)
	s_and_not1_b32 vcc_lo, exec_lo, s35
	s_cbranch_vccnz .LBB31_477
; %bb.476:
	global_load_b32 v1, v[14:15], off
	s_wait_loadcnt 0x0
	v_cvt_f32_f16_e32 v1, v1
	s_delay_alu instid0(VALU_DEP_1) | instskip(NEXT) | instid1(VALU_DEP_1)
	v_cvt_i32_f32_e32 v10, v1
	v_ashrrev_i32_e32 v11, 31, v10
.LBB31_477:
	s_mov_b32 s35, 0
.LBB31_478:
	s_delay_alu instid0(SALU_CYCLE_1)
	s_and_not1_b32 vcc_lo, exec_lo, s35
	s_cbranch_vccnz .LBB31_489
; %bb.479:
	s_cmp_lt_i32 s0, 6
	s_cbranch_scc1 .LBB31_482
; %bb.480:
	s_cmp_gt_i32 s0, 6
	s_cbranch_scc0 .LBB31_483
; %bb.481:
	s_wait_loadcnt 0x0
	global_load_b64 v[10:11], v[14:15], off
	s_mov_b32 s35, 0
	s_wait_loadcnt 0x0
	v_trunc_f64_e32 v[10:11], v[10:11]
	s_delay_alu instid0(VALU_DEP_1) | instskip(NEXT) | instid1(VALU_DEP_1)
	v_ldexp_f64 v[16:17], v[10:11], 0xffffffe0
	v_floor_f64_e32 v[16:17], v[16:17]
	s_delay_alu instid0(VALU_DEP_1) | instskip(SKIP_1) | instid1(VALU_DEP_2)
	v_fmamk_f64 v[18:19], v[16:17], 0xc1f00000, v[10:11]
	v_cvt_i32_f64_e32 v11, v[16:17]
	v_cvt_u32_f64_e32 v10, v[18:19]
	s_branch .LBB31_484
.LBB31_482:
	s_mov_b32 s35, -1
                                        ; implicit-def: $vgpr10_vgpr11
	s_branch .LBB31_487
.LBB31_483:
	s_mov_b32 s35, -1
                                        ; implicit-def: $vgpr10_vgpr11
.LBB31_484:
	s_delay_alu instid0(SALU_CYCLE_1)
	s_and_not1_b32 vcc_lo, exec_lo, s35
	s_cbranch_vccnz .LBB31_486
; %bb.485:
	global_load_b32 v1, v[14:15], off
	s_wait_loadcnt 0x0
	v_trunc_f32_e32 v1, v1
	s_delay_alu instid0(VALU_DEP_1) | instskip(SKIP_1) | instid1(VALU_DEP_2)
	v_mul_f32_e64 v3, 0x2f800000, |v1|
	v_ashrrev_i32_e32 v10, 31, v1
	v_floor_f32_e32 v3, v3
	s_delay_alu instid0(VALU_DEP_1) | instskip(SKIP_1) | instid1(VALU_DEP_4)
	v_fma_f32 v7, 0xcf800000, v3, |v1|
	v_cvt_u32_f32_e32 v1, v3
	v_mov_b32_e32 v11, v10
	s_delay_alu instid0(VALU_DEP_3) | instskip(NEXT) | instid1(VALU_DEP_3)
	v_cvt_u32_f32_e32 v3, v7
	v_xor_b32_e32 v17, v1, v10
	s_delay_alu instid0(VALU_DEP_2) | instskip(NEXT) | instid1(VALU_DEP_1)
	v_xor_b32_e32 v16, v3, v10
	v_sub_nc_u64_e32 v[10:11], v[16:17], v[10:11]
.LBB31_486:
	s_mov_b32 s35, 0
.LBB31_487:
	s_delay_alu instid0(SALU_CYCLE_1)
	s_and_not1_b32 vcc_lo, exec_lo, s35
	s_cbranch_vccnz .LBB31_489
; %bb.488:
	global_load_u16 v1, v[14:15], off
	s_wait_loadcnt 0x0
	v_cvt_f32_f16_e32 v1, v1
	s_delay_alu instid0(VALU_DEP_1) | instskip(NEXT) | instid1(VALU_DEP_1)
	v_cvt_i32_f32_e32 v10, v1
	v_ashrrev_i32_e32 v11, 31, v10
.LBB31_489:
	s_mov_b32 s35, 0
.LBB31_490:
	s_delay_alu instid0(SALU_CYCLE_1)
	s_and_not1_b32 vcc_lo, exec_lo, s35
	s_cbranch_vccnz .LBB31_510
; %bb.491:
	s_cmp_lt_i32 s0, 2
	s_cbranch_scc1 .LBB31_495
; %bb.492:
	s_cmp_lt_i32 s0, 3
	s_cbranch_scc1 .LBB31_496
; %bb.493:
	s_cmp_gt_i32 s0, 3
	s_cbranch_scc0 .LBB31_497
; %bb.494:
	s_wait_loadcnt 0x0
	global_load_b64 v[10:11], v[14:15], off
	s_mov_b32 s35, 0
	s_branch .LBB31_498
.LBB31_495:
	s_mov_b32 s35, -1
                                        ; implicit-def: $vgpr10_vgpr11
	s_branch .LBB31_504
.LBB31_496:
	s_mov_b32 s35, -1
                                        ; implicit-def: $vgpr10_vgpr11
	s_branch .LBB31_501
.LBB31_497:
	s_mov_b32 s35, -1
                                        ; implicit-def: $vgpr10_vgpr11
.LBB31_498:
	s_delay_alu instid0(SALU_CYCLE_1)
	s_and_not1_b32 vcc_lo, exec_lo, s35
	s_cbranch_vccnz .LBB31_500
; %bb.499:
	s_wait_loadcnt 0x0
	global_load_b32 v10, v[14:15], off
	s_wait_loadcnt 0x0
	v_ashrrev_i32_e32 v11, 31, v10
.LBB31_500:
	s_mov_b32 s35, 0
.LBB31_501:
	s_delay_alu instid0(SALU_CYCLE_1)
	s_and_not1_b32 vcc_lo, exec_lo, s35
	s_cbranch_vccnz .LBB31_503
; %bb.502:
	global_load_u16 v1, v[14:15], off
	s_wait_loadcnt 0x0
	v_bfe_i32 v10, v1, 0, 16
	s_delay_alu instid0(VALU_DEP_1)
	v_ashrrev_i32_e32 v11, 31, v10
.LBB31_503:
	s_mov_b32 s35, 0
.LBB31_504:
	s_delay_alu instid0(SALU_CYCLE_1)
	s_and_not1_b32 vcc_lo, exec_lo, s35
	s_cbranch_vccnz .LBB31_510
; %bb.505:
	s_cmp_gt_i32 s0, 0
	s_mov_b32 s0, 0
	s_cbranch_scc0 .LBB31_507
; %bb.506:
	global_load_i8 v1, v[14:15], off
	s_wait_loadcnt 0x0
	v_bfe_i32 v10, v1, 0, 16
	s_delay_alu instid0(VALU_DEP_1)
	v_ashrrev_i32_e32 v11, 31, v10
	s_branch .LBB31_508
.LBB31_507:
	s_mov_b32 s0, -1
                                        ; implicit-def: $vgpr10_vgpr11
.LBB31_508:
	s_delay_alu instid0(SALU_CYCLE_1)
	s_and_not1_b32 vcc_lo, exec_lo, s0
	s_cbranch_vccnz .LBB31_510
; %bb.509:
	global_load_u8 v1, v[14:15], off
	s_mov_b32 s0, 0
	s_wait_loadcnt 0x1
	v_mov_b32_e32 v11, s0
	s_wait_loadcnt 0x0
	v_and_b32_e32 v10, 0xffff, v1
.LBB31_510:
	s_mov_b32 s39, -1
.LBB31_511:
	s_delay_alu instid0(SALU_CYCLE_1)
	s_and_not1_b32 vcc_lo, exec_lo, s39
	s_cbranch_vccnz .LBB31_519
; %bb.512:
	s_load_b512 s[4:19], s[2:3], 0x248
	v_mov_b32_e32 v7, 0
	s_and_b32 s0, s78, 0xff
	s_delay_alu instid0(SALU_CYCLE_1) | instskip(SKIP_1) | instid1(VALU_DEP_1)
	s_cmp_lt_i32 s0, 11
	s_wait_kmcnt 0x0
	v_add_nc_u64_e32 v[6:7], s[14:15], v[6:7]
	s_cbranch_scc1 .LBB31_520
; %bb.513:
	s_and_b32 s35, 0xffff, s0
	s_delay_alu instid0(SALU_CYCLE_1)
	s_cmp_gt_i32 s35, 25
	s_cbranch_scc0 .LBB31_521
; %bb.514:
	s_cmp_gt_i32 s35, 28
	s_cbranch_scc0 .LBB31_522
; %bb.515:
	;; [unrolled: 3-line block ×4, first 2 shown]
	s_cmp_eq_u32 s35, 46
	s_mov_b32 s40, 0
	s_cbranch_scc0 .LBB31_525
; %bb.518:
	global_load_b32 v1, v[6:7], off
	s_mov_b32 s39, -1
	s_mov_b32 s82, 0
	s_wait_loadcnt 0x0
	v_lshlrev_b32_e32 v1, 16, v1
	s_delay_alu instid0(VALU_DEP_1) | instskip(NEXT) | instid1(VALU_DEP_1)
	v_trunc_f32_e32 v1, v1
	v_mul_f32_e64 v3, 0x2f800000, |v1|
	v_ashrrev_i32_e32 v14, 31, v1
	s_delay_alu instid0(VALU_DEP_2) | instskip(NEXT) | instid1(VALU_DEP_1)
	v_floor_f32_e32 v3, v3
	v_fma_f32 v15, 0xcf800000, v3, |v1|
	v_cvt_u32_f32_e32 v1, v3
	s_delay_alu instid0(VALU_DEP_2) | instskip(NEXT) | instid1(VALU_DEP_2)
	v_cvt_u32_f32_e32 v3, v15
	v_dual_mov_b32 v15, v14 :: v_dual_bitop2_b32 v17, v1, v14 bitop3:0x14
	s_delay_alu instid0(VALU_DEP_2) | instskip(NEXT) | instid1(VALU_DEP_1)
	v_xor_b32_e32 v16, v3, v14
	v_sub_nc_u64_e32 v[14:15], v[16:17], v[14:15]
	s_branch .LBB31_527
.LBB31_519:
	s_mov_b32 s0, 0
	s_mov_b32 s35, 0
	;; [unrolled: 1-line block ×7, first 2 shown]
	s_branch .LBB31_649
.LBB31_520:
	s_mov_b32 s35, -1
	s_mov_b32 s82, 0
	s_mov_b32 s39, 0
                                        ; implicit-def: $vgpr14_vgpr15
	s_branch .LBB31_588
.LBB31_521:
	s_mov_b32 s40, -1
	s_mov_b32 s82, 0
	s_mov_b32 s39, 0
                                        ; implicit-def: $vgpr14_vgpr15
	s_branch .LBB31_554
.LBB31_522:
	s_mov_b32 s40, -1
	s_mov_b32 s82, 0
	s_mov_b32 s39, 0
                                        ; implicit-def: $vgpr14_vgpr15
	s_branch .LBB31_537
.LBB31_523:
	s_mov_b32 s40, -1
	s_mov_b32 s82, 0
	s_mov_b32 s39, 0
                                        ; implicit-def: $vgpr14_vgpr15
	s_branch .LBB31_532
.LBB31_524:
	s_mov_b32 s40, -1
	s_mov_b32 s82, 0
	s_branch .LBB31_526
.LBB31_525:
	s_mov_b32 s82, -1
.LBB31_526:
	s_mov_b32 s39, 0
                                        ; implicit-def: $vgpr14_vgpr15
.LBB31_527:
	s_and_b32 vcc_lo, exec_lo, s40
	s_cbranch_vccz .LBB31_531
; %bb.528:
	s_cmp_eq_u32 s35, 44
	s_cbranch_scc0 .LBB31_530
; %bb.529:
	global_load_u8 v1, v[6:7], off
	s_mov_b32 s82, 0
	s_mov_b32 s39, -1
	s_wait_loadcnt 0x0
	v_lshlrev_b32_e32 v3, 23, v1
	v_cmp_ne_u32_e32 vcc_lo, 0, v1
	s_delay_alu instid0(VALU_DEP_2) | instskip(NEXT) | instid1(VALU_DEP_1)
	v_trunc_f32_e32 v3, v3
	v_mul_f32_e64 v14, 0x2f800000, |v3|
	s_delay_alu instid0(VALU_DEP_1) | instskip(SKIP_1) | instid1(VALU_DEP_2)
	v_floor_f32_e32 v15, v14
	v_ashrrev_i32_e32 v14, 31, v3
	v_fma_f32 v16, 0xcf800000, v15, |v3|
	v_cvt_u32_f32_e32 v3, v15
	s_delay_alu instid0(VALU_DEP_3) | instskip(NEXT) | instid1(VALU_DEP_3)
	v_mov_b32_e32 v15, v14
	v_cvt_u32_f32_e32 v16, v16
	s_delay_alu instid0(VALU_DEP_3) | instskip(NEXT) | instid1(VALU_DEP_2)
	v_xor_b32_e32 v17, v3, v14
	v_xor_b32_e32 v16, v16, v14
	s_delay_alu instid0(VALU_DEP_1) | instskip(NEXT) | instid1(VALU_DEP_1)
	v_sub_nc_u64_e32 v[14:15], v[16:17], v[14:15]
	v_dual_cndmask_b32 v15, 0, v15 :: v_dual_cndmask_b32 v14, 0, v14
	s_branch .LBB31_531
.LBB31_530:
	s_mov_b32 s82, -1
                                        ; implicit-def: $vgpr14_vgpr15
.LBB31_531:
	s_mov_b32 s40, 0
.LBB31_532:
	s_delay_alu instid0(SALU_CYCLE_1)
	s_and_b32 vcc_lo, exec_lo, s40
	s_cbranch_vccz .LBB31_536
; %bb.533:
	s_cmp_eq_u32 s35, 29
	s_cbranch_scc0 .LBB31_535
; %bb.534:
	global_load_b64 v[14:15], v[6:7], off
	s_mov_b32 s39, -1
	s_mov_b32 s82, 0
	s_branch .LBB31_536
.LBB31_535:
	s_mov_b32 s82, -1
                                        ; implicit-def: $vgpr14_vgpr15
.LBB31_536:
	s_mov_b32 s40, 0
.LBB31_537:
	s_delay_alu instid0(SALU_CYCLE_1)
	s_and_b32 vcc_lo, exec_lo, s40
	s_cbranch_vccz .LBB31_553
; %bb.538:
	s_cmp_lt_i32 s35, 27
	s_cbranch_scc1 .LBB31_541
; %bb.539:
	s_cmp_gt_i32 s35, 27
	s_cbranch_scc0 .LBB31_542
; %bb.540:
	s_wait_loadcnt 0x0
	global_load_b32 v14, v[6:7], off
	v_mov_b32_e32 v15, 0
	s_mov_b32 s39, 0
	s_branch .LBB31_543
.LBB31_541:
	s_mov_b32 s39, -1
                                        ; implicit-def: $vgpr14_vgpr15
	s_branch .LBB31_546
.LBB31_542:
	s_mov_b32 s39, -1
                                        ; implicit-def: $vgpr14_vgpr15
.LBB31_543:
	s_delay_alu instid0(SALU_CYCLE_1)
	s_and_not1_b32 vcc_lo, exec_lo, s39
	s_cbranch_vccnz .LBB31_545
; %bb.544:
	global_load_u16 v1, v[6:7], off
	s_mov_b32 s20, 0
	s_wait_loadcnt 0x1
	v_mov_b32_e32 v15, s20
	s_wait_loadcnt 0x0
	v_and_b32_e32 v14, 0xffff, v1
.LBB31_545:
	s_mov_b32 s39, 0
.LBB31_546:
	s_delay_alu instid0(SALU_CYCLE_1)
	s_and_not1_b32 vcc_lo, exec_lo, s39
	s_cbranch_vccnz .LBB31_552
; %bb.547:
	global_load_u8 v1, v[6:7], off
	s_mov_b32 s40, 0
	s_mov_b32 s20, exec_lo
	s_wait_loadcnt 0x0
	v_cmpx_lt_i16_e32 0x7f, v1
	s_xor_b32 s39, exec_lo, s20
	s_cbranch_execz .LBB31_564
; %bb.548:
	v_cmp_ne_u16_e32 vcc_lo, 0x80, v1
	s_and_b32 s40, vcc_lo, exec_lo
	s_and_not1_saveexec_b32 s39, s39
	s_cbranch_execnz .LBB31_565
.LBB31_549:
	s_or_b32 exec_lo, exec_lo, s39
	v_mov_b64_e32 v[14:15], 0
	s_and_saveexec_b32 s39, s40
	s_cbranch_execz .LBB31_551
.LBB31_550:
	v_and_b32_e32 v3, 0xffff, v1
	s_delay_alu instid0(VALU_DEP_1) | instskip(SKIP_1) | instid1(VALU_DEP_2)
	v_dual_lshlrev_b32 v1, 24, v1 :: v_dual_bitop2_b32 v14, 7, v3 bitop3:0x40
	v_bfe_u32 v17, v3, 3, 4
	v_and_b32_e32 v1, 0x80000000, v1
	s_delay_alu instid0(VALU_DEP_3) | instskip(NEXT) | instid1(VALU_DEP_3)
	v_clz_i32_u32_e32 v15, v14
	v_cmp_eq_u32_e32 vcc_lo, 0, v17
	s_delay_alu instid0(VALU_DEP_2) | instskip(NEXT) | instid1(VALU_DEP_1)
	v_min_u32_e32 v15, 32, v15
	v_subrev_nc_u32_e32 v16, 28, v15
	v_sub_nc_u32_e32 v15, 29, v15
	s_delay_alu instid0(VALU_DEP_2) | instskip(NEXT) | instid1(VALU_DEP_2)
	v_lshlrev_b32_e32 v3, v16, v3
	v_cndmask_b32_e32 v15, v17, v15, vcc_lo
	s_delay_alu instid0(VALU_DEP_2) | instskip(NEXT) | instid1(VALU_DEP_1)
	v_and_b32_e32 v3, 7, v3
	v_cndmask_b32_e32 v3, v14, v3, vcc_lo
	s_delay_alu instid0(VALU_DEP_3) | instskip(NEXT) | instid1(VALU_DEP_2)
	v_lshl_add_u32 v14, v15, 23, 0x3b800000
	v_lshlrev_b32_e32 v3, 20, v3
	s_delay_alu instid0(VALU_DEP_1) | instskip(NEXT) | instid1(VALU_DEP_1)
	v_or3_b32 v1, v1, v14, v3
	v_trunc_f32_e32 v1, v1
	s_delay_alu instid0(VALU_DEP_1) | instskip(SKIP_1) | instid1(VALU_DEP_2)
	v_mul_f32_e64 v3, 0x2f800000, |v1|
	v_ashrrev_i32_e32 v14, 31, v1
	v_floor_f32_e32 v3, v3
	s_delay_alu instid0(VALU_DEP_1) | instskip(SKIP_1) | instid1(VALU_DEP_2)
	v_fma_f32 v15, 0xcf800000, v3, |v1|
	v_cvt_u32_f32_e32 v1, v3
	v_cvt_u32_f32_e32 v3, v15
	s_delay_alu instid0(VALU_DEP_2) | instskip(NEXT) | instid1(VALU_DEP_2)
	v_dual_mov_b32 v15, v14 :: v_dual_bitop2_b32 v17, v1, v14 bitop3:0x14
	v_xor_b32_e32 v16, v3, v14
	s_delay_alu instid0(VALU_DEP_1)
	v_sub_nc_u64_e32 v[14:15], v[16:17], v[14:15]
.LBB31_551:
	s_or_b32 exec_lo, exec_lo, s39
.LBB31_552:
	s_mov_b32 s39, -1
.LBB31_553:
	s_mov_b32 s40, 0
.LBB31_554:
	s_delay_alu instid0(SALU_CYCLE_1)
	s_and_b32 vcc_lo, exec_lo, s40
	s_cbranch_vccz .LBB31_587
; %bb.555:
	s_cmp_gt_i32 s35, 22
	s_cbranch_scc0 .LBB31_563
; %bb.556:
	s_cmp_lt_i32 s35, 24
	s_cbranch_scc1 .LBB31_566
; %bb.557:
	s_cmp_gt_i32 s35, 24
	s_cbranch_scc0 .LBB31_567
; %bb.558:
	global_load_u8 v1, v[6:7], off
	s_mov_b32 s40, 0
	s_mov_b32 s20, exec_lo
	s_wait_loadcnt 0x0
	v_cmpx_lt_i16_e32 0x7f, v1
	s_xor_b32 s39, exec_lo, s20
	s_cbranch_execz .LBB31_579
; %bb.559:
	v_cmp_ne_u16_e32 vcc_lo, 0x80, v1
	s_and_b32 s40, vcc_lo, exec_lo
	s_and_not1_saveexec_b32 s39, s39
	s_cbranch_execnz .LBB31_580
.LBB31_560:
	s_or_b32 exec_lo, exec_lo, s39
	v_mov_b64_e32 v[14:15], 0
	s_and_saveexec_b32 s39, s40
	s_cbranch_execz .LBB31_562
.LBB31_561:
	v_and_b32_e32 v3, 0xffff, v1
	s_delay_alu instid0(VALU_DEP_1) | instskip(SKIP_1) | instid1(VALU_DEP_2)
	v_dual_lshlrev_b32 v1, 24, v1 :: v_dual_bitop2_b32 v14, 3, v3 bitop3:0x40
	v_bfe_u32 v17, v3, 2, 5
	v_and_b32_e32 v1, 0x80000000, v1
	s_delay_alu instid0(VALU_DEP_3) | instskip(NEXT) | instid1(VALU_DEP_3)
	v_clz_i32_u32_e32 v15, v14
	v_cmp_eq_u32_e32 vcc_lo, 0, v17
	s_delay_alu instid0(VALU_DEP_2) | instskip(NEXT) | instid1(VALU_DEP_1)
	v_min_u32_e32 v15, 32, v15
	v_subrev_nc_u32_e32 v16, 29, v15
	v_sub_nc_u32_e32 v15, 30, v15
	s_delay_alu instid0(VALU_DEP_2) | instskip(NEXT) | instid1(VALU_DEP_2)
	v_lshlrev_b32_e32 v3, v16, v3
	v_cndmask_b32_e32 v15, v17, v15, vcc_lo
	s_delay_alu instid0(VALU_DEP_2) | instskip(NEXT) | instid1(VALU_DEP_1)
	v_and_b32_e32 v3, 3, v3
	v_cndmask_b32_e32 v3, v14, v3, vcc_lo
	s_delay_alu instid0(VALU_DEP_3) | instskip(NEXT) | instid1(VALU_DEP_2)
	v_lshl_add_u32 v14, v15, 23, 0x37800000
	v_lshlrev_b32_e32 v3, 21, v3
	s_delay_alu instid0(VALU_DEP_1) | instskip(NEXT) | instid1(VALU_DEP_1)
	v_or3_b32 v1, v1, v14, v3
	v_trunc_f32_e32 v1, v1
	s_delay_alu instid0(VALU_DEP_1) | instskip(SKIP_1) | instid1(VALU_DEP_2)
	v_mul_f32_e64 v3, 0x2f800000, |v1|
	v_ashrrev_i32_e32 v14, 31, v1
	v_floor_f32_e32 v3, v3
	s_delay_alu instid0(VALU_DEP_1) | instskip(SKIP_1) | instid1(VALU_DEP_2)
	v_fma_f32 v15, 0xcf800000, v3, |v1|
	v_cvt_u32_f32_e32 v1, v3
	v_cvt_u32_f32_e32 v3, v15
	s_delay_alu instid0(VALU_DEP_2) | instskip(NEXT) | instid1(VALU_DEP_2)
	v_dual_mov_b32 v15, v14 :: v_dual_bitop2_b32 v17, v1, v14 bitop3:0x14
	v_xor_b32_e32 v16, v3, v14
	s_delay_alu instid0(VALU_DEP_1)
	v_sub_nc_u64_e32 v[14:15], v[16:17], v[14:15]
.LBB31_562:
	s_or_b32 exec_lo, exec_lo, s39
	s_mov_b32 s39, 0
	s_branch .LBB31_568
.LBB31_563:
	s_mov_b32 s40, -1
                                        ; implicit-def: $vgpr14_vgpr15
	s_branch .LBB31_574
.LBB31_564:
	s_and_not1_saveexec_b32 s39, s39
	s_cbranch_execz .LBB31_549
.LBB31_565:
	v_cmp_ne_u16_e32 vcc_lo, 0, v1
	s_and_not1_b32 s20, s40, exec_lo
	s_and_b32 s21, vcc_lo, exec_lo
	s_delay_alu instid0(SALU_CYCLE_1)
	s_or_b32 s40, s20, s21
	s_or_b32 exec_lo, exec_lo, s39
	v_mov_b64_e32 v[14:15], 0
	s_and_saveexec_b32 s39, s40
	s_cbranch_execnz .LBB31_550
	s_branch .LBB31_551
.LBB31_566:
	s_mov_b32 s39, -1
                                        ; implicit-def: $vgpr14_vgpr15
	s_branch .LBB31_571
.LBB31_567:
	s_mov_b32 s39, -1
                                        ; implicit-def: $vgpr14_vgpr15
.LBB31_568:
	s_delay_alu instid0(SALU_CYCLE_1)
	s_and_b32 vcc_lo, exec_lo, s39
	s_cbranch_vccz .LBB31_570
; %bb.569:
	global_load_u8 v1, v[6:7], off
	s_wait_loadcnt 0x0
	v_lshlrev_b32_e32 v1, 24, v1
	s_delay_alu instid0(VALU_DEP_1) | instskip(NEXT) | instid1(VALU_DEP_1)
	v_and_b32_e32 v3, 0x7f000000, v1
	v_clz_i32_u32_e32 v14, v3
	v_cmp_ne_u32_e32 vcc_lo, 0, v3
	v_add_nc_u32_e32 v16, 0x1000000, v3
	s_delay_alu instid0(VALU_DEP_3) | instskip(NEXT) | instid1(VALU_DEP_1)
	v_min_u32_e32 v14, 32, v14
	v_sub_nc_u32_e64 v14, v14, 4 clamp
	s_delay_alu instid0(VALU_DEP_1) | instskip(NEXT) | instid1(VALU_DEP_1)
	v_dual_lshlrev_b32 v15, v14, v3 :: v_dual_lshlrev_b32 v14, 23, v14
	v_lshrrev_b32_e32 v15, 4, v15
	s_delay_alu instid0(VALU_DEP_1) | instskip(NEXT) | instid1(VALU_DEP_1)
	v_dual_sub_nc_u32 v14, v15, v14 :: v_dual_ashrrev_i32 v15, 8, v16
	v_add_nc_u32_e32 v14, 0x3c000000, v14
	s_delay_alu instid0(VALU_DEP_1) | instskip(NEXT) | instid1(VALU_DEP_1)
	v_and_or_b32 v14, 0x7f800000, v15, v14
	v_cndmask_b32_e32 v3, 0, v14, vcc_lo
	s_delay_alu instid0(VALU_DEP_1) | instskip(NEXT) | instid1(VALU_DEP_1)
	v_and_or_b32 v1, 0x80000000, v1, v3
	v_trunc_f32_e32 v1, v1
	s_delay_alu instid0(VALU_DEP_1) | instskip(SKIP_1) | instid1(VALU_DEP_2)
	v_mul_f32_e64 v3, 0x2f800000, |v1|
	v_ashrrev_i32_e32 v14, 31, v1
	v_floor_f32_e32 v3, v3
	s_delay_alu instid0(VALU_DEP_1) | instskip(SKIP_1) | instid1(VALU_DEP_2)
	v_fma_f32 v15, 0xcf800000, v3, |v1|
	v_cvt_u32_f32_e32 v1, v3
	v_cvt_u32_f32_e32 v3, v15
	s_delay_alu instid0(VALU_DEP_2) | instskip(NEXT) | instid1(VALU_DEP_2)
	v_dual_mov_b32 v15, v14 :: v_dual_bitop2_b32 v17, v1, v14 bitop3:0x14
	v_xor_b32_e32 v16, v3, v14
	s_delay_alu instid0(VALU_DEP_1)
	v_sub_nc_u64_e32 v[14:15], v[16:17], v[14:15]
.LBB31_570:
	s_mov_b32 s39, 0
.LBB31_571:
	s_delay_alu instid0(SALU_CYCLE_1)
	s_and_not1_b32 vcc_lo, exec_lo, s39
	s_cbranch_vccnz .LBB31_573
; %bb.572:
	global_load_u8 v1, v[6:7], off
	s_wait_loadcnt 0x0
	v_lshlrev_b32_e32 v3, 25, v1
	v_lshlrev_b16 v1, 8, v1
	s_delay_alu instid0(VALU_DEP_1) | instskip(SKIP_1) | instid1(VALU_DEP_2)
	v_and_or_b32 v15, 0x7f00, v1, 0.5
	v_bfe_i32 v1, v1, 0, 16
	v_add_f32_e32 v15, -0.5, v15
	v_lshrrev_b32_e32 v14, 4, v3
	v_cmp_gt_u32_e32 vcc_lo, 0x8000000, v3
	s_delay_alu instid0(VALU_DEP_2) | instskip(NEXT) | instid1(VALU_DEP_1)
	v_or_b32_e32 v14, 0x70000000, v14
	v_mul_f32_e32 v14, 0x7800000, v14
	s_delay_alu instid0(VALU_DEP_1) | instskip(NEXT) | instid1(VALU_DEP_1)
	v_cndmask_b32_e32 v3, v14, v15, vcc_lo
	v_and_or_b32 v1, 0x80000000, v1, v3
	s_delay_alu instid0(VALU_DEP_1) | instskip(NEXT) | instid1(VALU_DEP_1)
	v_trunc_f32_e32 v1, v1
	v_mul_f32_e64 v3, 0x2f800000, |v1|
	v_ashrrev_i32_e32 v14, 31, v1
	s_delay_alu instid0(VALU_DEP_2) | instskip(NEXT) | instid1(VALU_DEP_1)
	v_floor_f32_e32 v3, v3
	v_fma_f32 v15, 0xcf800000, v3, |v1|
	v_cvt_u32_f32_e32 v1, v3
	s_delay_alu instid0(VALU_DEP_2) | instskip(NEXT) | instid1(VALU_DEP_2)
	v_cvt_u32_f32_e32 v3, v15
	v_dual_mov_b32 v15, v14 :: v_dual_bitop2_b32 v17, v1, v14 bitop3:0x14
	s_delay_alu instid0(VALU_DEP_2) | instskip(NEXT) | instid1(VALU_DEP_1)
	v_xor_b32_e32 v16, v3, v14
	v_sub_nc_u64_e32 v[14:15], v[16:17], v[14:15]
.LBB31_573:
	s_mov_b32 s40, 0
	s_mov_b32 s39, -1
.LBB31_574:
	s_and_not1_b32 vcc_lo, exec_lo, s40
	s_cbranch_vccnz .LBB31_587
; %bb.575:
	s_cmp_gt_i32 s35, 14
	s_cbranch_scc0 .LBB31_578
; %bb.576:
	s_cmp_eq_u32 s35, 15
	s_cbranch_scc0 .LBB31_581
; %bb.577:
	global_load_u16 v1, v[6:7], off
	s_mov_b32 s39, -1
	s_mov_b32 s82, 0
	s_wait_loadcnt 0x0
	v_lshlrev_b32_e32 v1, 16, v1
	s_delay_alu instid0(VALU_DEP_1) | instskip(NEXT) | instid1(VALU_DEP_1)
	v_trunc_f32_e32 v1, v1
	v_mul_f32_e64 v3, 0x2f800000, |v1|
	v_ashrrev_i32_e32 v14, 31, v1
	s_delay_alu instid0(VALU_DEP_2) | instskip(NEXT) | instid1(VALU_DEP_1)
	v_floor_f32_e32 v3, v3
	v_fma_f32 v15, 0xcf800000, v3, |v1|
	v_cvt_u32_f32_e32 v1, v3
	s_delay_alu instid0(VALU_DEP_2) | instskip(NEXT) | instid1(VALU_DEP_2)
	v_cvt_u32_f32_e32 v3, v15
	v_dual_mov_b32 v15, v14 :: v_dual_bitop2_b32 v17, v1, v14 bitop3:0x14
	s_delay_alu instid0(VALU_DEP_2) | instskip(NEXT) | instid1(VALU_DEP_1)
	v_xor_b32_e32 v16, v3, v14
	v_sub_nc_u64_e32 v[14:15], v[16:17], v[14:15]
	s_branch .LBB31_582
.LBB31_578:
	s_mov_b32 s40, -1
                                        ; implicit-def: $vgpr14_vgpr15
	s_branch .LBB31_583
.LBB31_579:
	s_and_not1_saveexec_b32 s39, s39
	s_cbranch_execz .LBB31_560
.LBB31_580:
	v_cmp_ne_u16_e32 vcc_lo, 0, v1
	s_and_not1_b32 s20, s40, exec_lo
	s_and_b32 s21, vcc_lo, exec_lo
	s_delay_alu instid0(SALU_CYCLE_1)
	s_or_b32 s40, s20, s21
	s_or_b32 exec_lo, exec_lo, s39
	v_mov_b64_e32 v[14:15], 0
	s_and_saveexec_b32 s39, s40
	s_cbranch_execnz .LBB31_561
	s_branch .LBB31_562
.LBB31_581:
	s_mov_b32 s82, -1
                                        ; implicit-def: $vgpr14_vgpr15
.LBB31_582:
	s_mov_b32 s40, 0
.LBB31_583:
	s_delay_alu instid0(SALU_CYCLE_1)
	s_and_b32 vcc_lo, exec_lo, s40
	s_cbranch_vccz .LBB31_587
; %bb.584:
	s_cmp_eq_u32 s35, 11
	s_cbranch_scc0 .LBB31_586
; %bb.585:
	global_load_u8 v1, v[6:7], off
	s_mov_b32 s82, 0
	s_mov_b32 s39, -1
	s_wait_loadcnt 0x1
	v_mov_b32_e32 v15, s82
	s_wait_loadcnt 0x0
	v_cmp_ne_u16_e32 vcc_lo, 0, v1
	v_cndmask_b32_e64 v14, 0, 1, vcc_lo
	s_branch .LBB31_587
.LBB31_586:
	s_mov_b32 s82, -1
                                        ; implicit-def: $vgpr14_vgpr15
.LBB31_587:
	s_mov_b32 s35, 0
.LBB31_588:
	s_delay_alu instid0(SALU_CYCLE_1)
	s_and_b32 vcc_lo, exec_lo, s35
	s_cbranch_vccz .LBB31_637
; %bb.589:
	s_and_b32 s0, 0xffff, s0
	s_delay_alu instid0(SALU_CYCLE_1)
	s_cmp_lt_i32 s0, 5
	s_cbranch_scc1 .LBB31_594
; %bb.590:
	s_cmp_lt_i32 s0, 8
	s_cbranch_scc1 .LBB31_595
; %bb.591:
	;; [unrolled: 3-line block ×3, first 2 shown]
	s_cmp_gt_i32 s0, 9
	s_cbranch_scc0 .LBB31_597
; %bb.593:
	s_wait_loadcnt 0x0
	global_load_b64 v[14:15], v[6:7], off
	s_mov_b32 s35, 0
	s_wait_loadcnt 0x0
	v_trunc_f64_e32 v[14:15], v[14:15]
	s_delay_alu instid0(VALU_DEP_1) | instskip(NEXT) | instid1(VALU_DEP_1)
	v_ldexp_f64 v[16:17], v[14:15], 0xffffffe0
	v_floor_f64_e32 v[16:17], v[16:17]
	s_delay_alu instid0(VALU_DEP_1) | instskip(SKIP_1) | instid1(VALU_DEP_2)
	v_fmamk_f64 v[18:19], v[16:17], 0xc1f00000, v[14:15]
	v_cvt_i32_f64_e32 v15, v[16:17]
	v_cvt_u32_f64_e32 v14, v[18:19]
	s_branch .LBB31_598
.LBB31_594:
	s_mov_b32 s35, -1
                                        ; implicit-def: $vgpr14_vgpr15
	s_branch .LBB31_616
.LBB31_595:
	s_mov_b32 s35, -1
                                        ; implicit-def: $vgpr14_vgpr15
	s_branch .LBB31_604
.LBB31_596:
	s_mov_b32 s35, -1
                                        ; implicit-def: $vgpr14_vgpr15
	s_branch .LBB31_601
.LBB31_597:
	s_mov_b32 s35, -1
                                        ; implicit-def: $vgpr14_vgpr15
.LBB31_598:
	s_delay_alu instid0(SALU_CYCLE_1)
	s_and_not1_b32 vcc_lo, exec_lo, s35
	s_cbranch_vccnz .LBB31_600
; %bb.599:
	global_load_b32 v1, v[6:7], off
	s_wait_loadcnt 0x0
	v_trunc_f32_e32 v1, v1
	s_delay_alu instid0(VALU_DEP_1) | instskip(SKIP_1) | instid1(VALU_DEP_2)
	v_mul_f32_e64 v3, 0x2f800000, |v1|
	v_ashrrev_i32_e32 v14, 31, v1
	v_floor_f32_e32 v3, v3
	s_delay_alu instid0(VALU_DEP_1) | instskip(SKIP_1) | instid1(VALU_DEP_2)
	v_fma_f32 v15, 0xcf800000, v3, |v1|
	v_cvt_u32_f32_e32 v1, v3
	v_cvt_u32_f32_e32 v3, v15
	s_delay_alu instid0(VALU_DEP_2) | instskip(NEXT) | instid1(VALU_DEP_2)
	v_dual_mov_b32 v15, v14 :: v_dual_bitop2_b32 v17, v1, v14 bitop3:0x14
	v_xor_b32_e32 v16, v3, v14
	s_delay_alu instid0(VALU_DEP_1)
	v_sub_nc_u64_e32 v[14:15], v[16:17], v[14:15]
.LBB31_600:
	s_mov_b32 s35, 0
.LBB31_601:
	s_delay_alu instid0(SALU_CYCLE_1)
	s_and_not1_b32 vcc_lo, exec_lo, s35
	s_cbranch_vccnz .LBB31_603
; %bb.602:
	global_load_b32 v1, v[6:7], off
	s_wait_loadcnt 0x0
	v_cvt_f32_f16_e32 v1, v1
	s_delay_alu instid0(VALU_DEP_1) | instskip(NEXT) | instid1(VALU_DEP_1)
	v_cvt_i32_f32_e32 v14, v1
	v_ashrrev_i32_e32 v15, 31, v14
.LBB31_603:
	s_mov_b32 s35, 0
.LBB31_604:
	s_delay_alu instid0(SALU_CYCLE_1)
	s_and_not1_b32 vcc_lo, exec_lo, s35
	s_cbranch_vccnz .LBB31_615
; %bb.605:
	s_cmp_lt_i32 s0, 6
	s_cbranch_scc1 .LBB31_608
; %bb.606:
	s_cmp_gt_i32 s0, 6
	s_cbranch_scc0 .LBB31_609
; %bb.607:
	s_wait_loadcnt 0x0
	global_load_b64 v[14:15], v[6:7], off
	s_mov_b32 s35, 0
	s_wait_loadcnt 0x0
	v_trunc_f64_e32 v[14:15], v[14:15]
	s_delay_alu instid0(VALU_DEP_1) | instskip(NEXT) | instid1(VALU_DEP_1)
	v_ldexp_f64 v[16:17], v[14:15], 0xffffffe0
	v_floor_f64_e32 v[16:17], v[16:17]
	s_delay_alu instid0(VALU_DEP_1) | instskip(SKIP_1) | instid1(VALU_DEP_2)
	v_fmamk_f64 v[18:19], v[16:17], 0xc1f00000, v[14:15]
	v_cvt_i32_f64_e32 v15, v[16:17]
	v_cvt_u32_f64_e32 v14, v[18:19]
	s_branch .LBB31_610
.LBB31_608:
	s_mov_b32 s35, -1
                                        ; implicit-def: $vgpr14_vgpr15
	s_branch .LBB31_613
.LBB31_609:
	s_mov_b32 s35, -1
                                        ; implicit-def: $vgpr14_vgpr15
.LBB31_610:
	s_delay_alu instid0(SALU_CYCLE_1)
	s_and_not1_b32 vcc_lo, exec_lo, s35
	s_cbranch_vccnz .LBB31_612
; %bb.611:
	global_load_b32 v1, v[6:7], off
	s_wait_loadcnt 0x0
	v_trunc_f32_e32 v1, v1
	s_delay_alu instid0(VALU_DEP_1) | instskip(SKIP_1) | instid1(VALU_DEP_2)
	v_mul_f32_e64 v3, 0x2f800000, |v1|
	v_ashrrev_i32_e32 v14, 31, v1
	v_floor_f32_e32 v3, v3
	s_delay_alu instid0(VALU_DEP_1) | instskip(SKIP_1) | instid1(VALU_DEP_2)
	v_fma_f32 v15, 0xcf800000, v3, |v1|
	v_cvt_u32_f32_e32 v1, v3
	v_cvt_u32_f32_e32 v3, v15
	s_delay_alu instid0(VALU_DEP_2) | instskip(NEXT) | instid1(VALU_DEP_2)
	v_dual_mov_b32 v15, v14 :: v_dual_bitop2_b32 v17, v1, v14 bitop3:0x14
	v_xor_b32_e32 v16, v3, v14
	s_delay_alu instid0(VALU_DEP_1)
	v_sub_nc_u64_e32 v[14:15], v[16:17], v[14:15]
.LBB31_612:
	s_mov_b32 s35, 0
.LBB31_613:
	s_delay_alu instid0(SALU_CYCLE_1)
	s_and_not1_b32 vcc_lo, exec_lo, s35
	s_cbranch_vccnz .LBB31_615
; %bb.614:
	global_load_u16 v1, v[6:7], off
	s_wait_loadcnt 0x0
	v_cvt_f32_f16_e32 v1, v1
	s_delay_alu instid0(VALU_DEP_1) | instskip(NEXT) | instid1(VALU_DEP_1)
	v_cvt_i32_f32_e32 v14, v1
	v_ashrrev_i32_e32 v15, 31, v14
.LBB31_615:
	s_mov_b32 s35, 0
.LBB31_616:
	s_delay_alu instid0(SALU_CYCLE_1)
	s_and_not1_b32 vcc_lo, exec_lo, s35
	s_cbranch_vccnz .LBB31_636
; %bb.617:
	s_cmp_lt_i32 s0, 2
	s_cbranch_scc1 .LBB31_621
; %bb.618:
	s_cmp_lt_i32 s0, 3
	s_cbranch_scc1 .LBB31_622
; %bb.619:
	s_cmp_gt_i32 s0, 3
	s_cbranch_scc0 .LBB31_623
; %bb.620:
	s_wait_loadcnt 0x0
	global_load_b64 v[14:15], v[6:7], off
	s_mov_b32 s35, 0
	s_branch .LBB31_624
.LBB31_621:
	s_mov_b32 s35, -1
                                        ; implicit-def: $vgpr14_vgpr15
	s_branch .LBB31_630
.LBB31_622:
	s_mov_b32 s35, -1
                                        ; implicit-def: $vgpr14_vgpr15
	s_branch .LBB31_627
.LBB31_623:
	s_mov_b32 s35, -1
                                        ; implicit-def: $vgpr14_vgpr15
.LBB31_624:
	s_delay_alu instid0(SALU_CYCLE_1)
	s_and_not1_b32 vcc_lo, exec_lo, s35
	s_cbranch_vccnz .LBB31_626
; %bb.625:
	s_wait_loadcnt 0x0
	global_load_b32 v14, v[6:7], off
	s_wait_loadcnt 0x0
	v_ashrrev_i32_e32 v15, 31, v14
.LBB31_626:
	s_mov_b32 s35, 0
.LBB31_627:
	s_delay_alu instid0(SALU_CYCLE_1)
	s_and_not1_b32 vcc_lo, exec_lo, s35
	s_cbranch_vccnz .LBB31_629
; %bb.628:
	global_load_u16 v1, v[6:7], off
	s_wait_loadcnt 0x0
	v_bfe_i32 v14, v1, 0, 16
	s_delay_alu instid0(VALU_DEP_1)
	v_ashrrev_i32_e32 v15, 31, v14
.LBB31_629:
	s_mov_b32 s35, 0
.LBB31_630:
	s_delay_alu instid0(SALU_CYCLE_1)
	s_and_not1_b32 vcc_lo, exec_lo, s35
	s_cbranch_vccnz .LBB31_636
; %bb.631:
	s_cmp_gt_i32 s0, 0
	s_mov_b32 s0, 0
	s_cbranch_scc0 .LBB31_633
; %bb.632:
	global_load_i8 v1, v[6:7], off
	s_wait_loadcnt 0x0
	v_bfe_i32 v14, v1, 0, 16
	s_delay_alu instid0(VALU_DEP_1)
	v_ashrrev_i32_e32 v15, 31, v14
	s_branch .LBB31_634
.LBB31_633:
	s_mov_b32 s0, -1
                                        ; implicit-def: $vgpr14_vgpr15
.LBB31_634:
	s_delay_alu instid0(SALU_CYCLE_1)
	s_and_not1_b32 vcc_lo, exec_lo, s0
	s_cbranch_vccnz .LBB31_636
; %bb.635:
	global_load_u8 v1, v[6:7], off
	s_mov_b32 s0, 0
	s_wait_loadcnt 0x1
	v_mov_b32_e32 v15, s0
	s_wait_loadcnt 0x0
	v_and_b32_e32 v14, 0xffff, v1
.LBB31_636:
	s_mov_b32 s39, -1
.LBB31_637:
	s_delay_alu instid0(SALU_CYCLE_1)
	s_and_not1_b32 vcc_lo, exec_lo, s39
	s_cbranch_vccnz .LBB31_648
; %bb.638:
	s_load_b512 s[4:19], s[2:3], 0x248
	s_mov_b32 s35, -1
	s_mov_b32 s0, 0
	s_mov_b32 s40, 0
	;; [unrolled: 1-line block ×5, first 2 shown]
	s_wait_loadcnt 0x0
	s_wait_kmcnt 0x0
	v_cmp_eq_u64_e32 vcc_lo, s[16:17], v[4:5]
	s_and_b32 s20, s101, vcc_lo
	s_delay_alu instid0(SALU_CYCLE_1)
	s_and_saveexec_b32 s39, s20
	s_cbranch_execz .LBB31_4036
; %bb.639:
	v_cmp_eq_u64_e32 vcc_lo, s[36:37], v[8:9]
	s_mov_b32 s54, 0
	s_and_b32 s20, vcc_hi, vcc_lo
	s_delay_alu instid0(SALU_CYCLE_1)
	s_and_saveexec_b32 s40, s20
	s_cbranch_execz .LBB31_1959
; %bb.640:
	s_load_b512 s[4:19], s[2:3], 0x248
	v_sub_nc_u64_e32 v[4:5], v[10:11], v[12:13]
	s_wait_kmcnt 0x0
	s_delay_alu instid0(VALU_DEP_1) | instskip(SKIP_4) | instid1(SALU_CYCLE_1)
	v_cmp_le_i64_e32 vcc_lo, s[16:17], v[4:5]
	v_cmp_ge_i64_e64 s0, s[18:19], v[4:5]
	s_and_b32 s20, vcc_lo, s0
	s_mov_b32 s0, 0
	s_and_b32 s20, s104, s20
	s_and_saveexec_b32 s41, s20
	s_cbranch_execz .LBB31_1958
; %bb.641:
	v_cmp_lt_i64_e64 s0, s[36:37], 1
	v_mov_b64_e32 v[4:5], 0
	s_xor_b32 s20, s49, -1
	s_delay_alu instid0(SALU_CYCLE_1) | instskip(NEXT) | instid1(SALU_CYCLE_1)
	s_or_b32 s0, s0, s20
	s_and_b32 vcc_lo, exec_lo, s0
	s_cbranch_vccnz .LBB31_689
; %bb.642:
	v_mul_u64_e32 v[8:9], s[36:37], v[14:15]
	s_mov_b32 s55, 0
	v_mov_b64_e32 v[4:5], 0
	s_mov_b32 s35, s55
	v_mov_b32_e32 v6, 0
	s_lshl_b64 s[20:21], s[34:35], 3
	s_mov_b64 s[56:57], 0xffffffff
	s_add_nc_u64 s[20:21], s[2:3], s[20:21]
	s_mov_b32 s35, s38
	s_add_nc_u64 s[58:59], s[20:21], 0x298
	s_branch .LBB31_644
.LBB31_643:                             ;   in Loop: Header=BB31_644 Depth=1
	s_or_b32 exec_lo, exec_lo, s0
	s_delay_alu instid0(VALU_DEP_1)
	v_mul_u64_e32 v[16:17], s[60:61], v[14:15]
	s_load_b64 s[20:21], s[58:59], 0x40
	s_add_co_i32 s35, s35, -1
	s_wait_xcnt 0x0
	s_add_nc_u64 s[58:59], s[58:59], -8
	s_cmp_eq_u32 s35, 0
	s_delay_alu instid0(VALU_DEP_1) | instskip(SKIP_1) | instid1(VALU_DEP_1)
	v_sub_nc_u64_e32 v[8:9], v[8:9], v[16:17]
	s_wait_kmcnt 0x0
	v_mad_nc_u64_u32 v[4:5], v8, s20, v[4:5]
	s_delay_alu instid0(VALU_DEP_1) | instskip(NEXT) | instid1(VALU_DEP_1)
	v_mad_u32 v1, v9, s20, v5
	v_mad_u32 v5, v8, s21, v1
	v_mov_b64_e32 v[8:9], v[14:15]
	s_cbranch_scc1 .LBB31_689
.LBB31_644:                             ; =>This Inner Loop Header: Depth=1
	s_load_b64 s[60:61], s[58:59], 0x0
                                        ; implicit-def: $vgpr14_vgpr15
	s_mov_b32 s0, exec_lo
	s_wait_kmcnt 0x0
	s_delay_alu instid0(VALU_DEP_1) | instskip(NEXT) | instid1(VALU_DEP_1)
	v_or_b32_e32 v7, s61, v9
	v_cmpx_ne_u64_e32 0, v[6:7]
	s_xor_b32 s42, exec_lo, s0
	s_cbranch_execz .LBB31_646
; %bb.645:                              ;   in Loop: Header=BB31_644 Depth=1
	s_ashr_i32 s62, s61, 31
	s_mov_b32 s6, s25
	s_mov_b32 s63, s62
	;; [unrolled: 1-line block ×3, first 2 shown]
	s_add_nc_u64 s[20:21], s[60:61], s[62:63]
	s_mov_b32 s5, s31
	s_xor_b64 s[64:65], s[20:21], s[62:63]
	s_mov_b64 s[28:29], s[44:45]
	s_cvt_f32_u32 s0, s64
	s_cvt_f32_u32 s20, s65
	s_sub_nc_u64 s[22:23], 0, s[64:65]
	s_mov_b64 s[30:31], s[46:47]
	v_dual_mov_b32 v19, v6 :: v_dual_ashrrev_i32 v14, 31, v9
	s_fmamk_f32 s0, s20, 0x4f800000, s0
	s_delay_alu instid0(VALU_DEP_1) | instskip(NEXT) | instid1(SALU_CYCLE_2)
	v_dual_mov_b32 v27, v6 :: v_dual_mov_b32 v15, v14
	v_s_rcp_f32 s0, s0
	s_delay_alu instid0(VALU_DEP_1) | instskip(SKIP_1) | instid1(TRANS32_DEP_1)
	v_add_nc_u64_e32 v[16:17], v[8:9], v[14:15]
	v_mov_b32_e32 v23, v6
	s_mul_f32 s0, s0, 0x5f7ffffc
	s_delay_alu instid0(VALU_DEP_2) | instskip(NEXT) | instid1(SALU_CYCLE_2)
	v_xor_b32_e32 v18, v16, v14
	s_mul_f32 s20, s0, 0x2f800000
	s_delay_alu instid0(VALU_DEP_3) | instskip(NEXT) | instid1(SALU_CYCLE_2)
	v_xor_b32_e32 v22, v17, v14
	s_trunc_f32 s20, s20
	s_delay_alu instid0(SALU_CYCLE_3) | instskip(SKIP_1) | instid1(SALU_CYCLE_2)
	s_fmamk_f32 s0, s20, 0xcf800000, s0
	s_cvt_u32_f32 s21, s20
	s_cvt_u32_f32 s20, s0
	s_delay_alu instid0(SALU_CYCLE_3) | instskip(NEXT) | instid1(SALU_CYCLE_1)
	s_mul_u64 s[24:25], s[22:23], s[20:21]
	s_mul_hi_u32 s27, s20, s25
	s_mul_i32 s26, s20, s25
	s_mul_hi_u32 s54, s20, s24
	s_mul_i32 s43, s21, s24
	s_add_nc_u64 s[26:27], s[54:55], s[26:27]
	s_mul_hi_u32 s0, s21, s24
	s_mul_hi_u32 s44, s21, s25
	s_mul_i32 s24, s21, s25
	s_add_co_u32 s25, s26, s43
	s_add_co_ci_u32 s54, s27, s0
	s_add_co_ci_u32 s25, s44, 0
	s_mov_b64 s[46:47], s[30:31]
	s_add_nc_u64 s[24:25], s[54:55], s[24:25]
	s_mov_b64 s[44:45], s[28:29]
	s_add_co_u32 s20, s20, s24
	s_cselect_b32 s0, -1, 0
	s_mov_b32 s31, s5
	s_cmp_lg_u32 s0, 0
	s_mov_b32 s28, s4
	s_add_co_ci_u32 s21, s21, s25
	s_delay_alu instid0(SALU_CYCLE_1) | instskip(NEXT) | instid1(SALU_CYCLE_1)
	s_mul_u64 s[22:23], s[22:23], s[20:21]
	s_mul_hi_u32 s25, s20, s23
	s_mul_i32 s24, s20, s23
	s_mul_hi_u32 s54, s20, s22
	s_mul_i32 s26, s21, s22
	s_add_nc_u64 s[24:25], s[54:55], s[24:25]
	s_mul_hi_u32 s0, s21, s22
	s_mul_hi_u32 s27, s21, s23
	s_mul_i32 s22, s21, s23
	s_add_co_u32 s23, s24, s26
	s_add_co_ci_u32 s54, s25, s0
	s_add_co_ci_u32 s23, s27, 0
	s_mov_b32 s25, s6
	s_add_nc_u64 s[22:23], s[54:55], s[22:23]
	s_delay_alu instid0(SALU_CYCLE_1)
	s_add_co_u32 s0, s20, s22
	s_cselect_b32 s20, -1, 0
	v_mul_hi_u32 v26, v18, s0
	s_cmp_lg_u32 s20, 0
	s_add_co_ci_u32 s54, s21, s23
	s_and_b64 s[20:21], s[0:1], s[56:57]
	v_mul_u64_e32 v[20:21], s[54:55], v[18:19]
	v_mul_u64_e32 v[16:17], s[20:21], v[22:23]
	;; [unrolled: 1-line block ×3, first 2 shown]
	s_delay_alu instid0(VALU_DEP_3) | instskip(NEXT) | instid1(VALU_DEP_1)
	v_add_nc_u64_e32 v[20:21], v[26:27], v[20:21]
	v_add_co_u32 v1, vcc_lo, v20, v16
	s_delay_alu instid0(VALU_DEP_2) | instskip(NEXT) | instid1(VALU_DEP_4)
	v_add_co_ci_u32_e32 v26, vcc_lo, v21, v17, vcc_lo
	v_add_co_ci_u32_e32 v25, vcc_lo, 0, v25, vcc_lo
	s_delay_alu instid0(VALU_DEP_1) | instskip(NEXT) | instid1(VALU_DEP_1)
	v_add_nc_u64_e32 v[16:17], v[26:27], v[24:25]
	v_mul_u64_e32 v[20:21], s[64:65], v[16:17]
	s_delay_alu instid0(VALU_DEP_1) | instskip(NEXT) | instid1(VALU_DEP_2)
	v_sub_nc_u32_e32 v1, v22, v21
	v_sub_co_u32 v3, vcc_lo, v18, v20
	s_delay_alu instid0(VALU_DEP_1) | instskip(NEXT) | instid1(VALU_DEP_3)
	v_sub_co_ci_u32_e64 v15, null, v22, v21, vcc_lo
	v_subrev_co_ci_u32_e64 v1, null, s65, v1, vcc_lo
	s_delay_alu instid0(VALU_DEP_3) | instskip(SKIP_1) | instid1(VALU_DEP_3)
	v_sub_co_u32 v7, s0, v3, s64
	v_add_nc_u64_e32 v[20:21], 1, v[16:17]
	v_subrev_co_ci_u32_e64 v1, null, 0, v1, s0
	s_delay_alu instid0(VALU_DEP_3) | instskip(SKIP_1) | instid1(VALU_DEP_3)
	v_cmp_le_u32_e32 vcc_lo, s64, v7
	v_cndmask_b32_e64 v7, 0, -1, vcc_lo
	v_cmp_le_u32_e32 vcc_lo, s65, v1
	v_cndmask_b32_e64 v18, 0, -1, vcc_lo
	;; [unrolled: 2-line block ×4, first 2 shown]
	v_cmp_eq_u32_e32 vcc_lo, s65, v1
	v_cndmask_b32_e32 v1, v18, v7, vcc_lo
	v_cmp_eq_u32_e32 vcc_lo, s65, v15
	v_add_nc_u64_e32 v[18:19], 2, v[16:17]
	v_cndmask_b32_e32 v3, v22, v3, vcc_lo
	s_delay_alu instid0(VALU_DEP_4) | instskip(NEXT) | instid1(VALU_DEP_2)
	v_cmp_ne_u32_e32 vcc_lo, 0, v1
	v_cmp_ne_u32_e64 s0, 0, v3
	s_delay_alu instid0(VALU_DEP_4) | instskip(NEXT) | instid1(VALU_DEP_1)
	v_dual_cndmask_b32 v1, v21, v19, vcc_lo :: v_dual_cndmask_b32 v3, v20, v18, vcc_lo
	v_dual_cndmask_b32 v1, v17, v1, s0 :: v_dual_bitop2_b32 v14, s62, v14 bitop3:0x14
	s_delay_alu instid0(VALU_DEP_1) | instskip(NEXT) | instid1(VALU_DEP_2)
	v_dual_cndmask_b32 v3, v16, v3, s0 :: v_dual_mov_b32 v15, v14
	v_xor_b32_e32 v17, v1, v14
	s_delay_alu instid0(VALU_DEP_2) | instskip(NEXT) | instid1(VALU_DEP_1)
	v_xor_b32_e32 v16, v3, v14
	v_sub_nc_u64_e32 v[14:15], v[16:17], v[14:15]
.LBB31_646:                             ;   in Loop: Header=BB31_644 Depth=1
	s_and_not1_saveexec_b32 s0, s42
	s_cbranch_execz .LBB31_643
; %bb.647:                              ;   in Loop: Header=BB31_644 Depth=1
	v_cvt_f32_u32_e32 v1, s60
	s_sub_co_i32 s20, 0, s60
	v_mov_b32_e32 v15, v6
	s_delay_alu instid0(VALU_DEP_2) | instskip(SKIP_1) | instid1(TRANS32_DEP_1)
	v_rcp_iflag_f32_e32 v1, v1
	v_nop
	v_mul_f32_e32 v1, 0x4f7ffffe, v1
	s_delay_alu instid0(VALU_DEP_1) | instskip(NEXT) | instid1(VALU_DEP_1)
	v_cvt_u32_f32_e32 v1, v1
	v_mul_lo_u32 v3, s20, v1
	s_delay_alu instid0(VALU_DEP_1) | instskip(NEXT) | instid1(VALU_DEP_1)
	v_mul_hi_u32 v3, v1, v3
	v_add_nc_u32_e32 v1, v1, v3
	s_delay_alu instid0(VALU_DEP_1) | instskip(NEXT) | instid1(VALU_DEP_1)
	v_mul_hi_u32 v1, v8, v1
	v_mul_lo_u32 v3, v1, s60
	s_delay_alu instid0(VALU_DEP_1) | instskip(NEXT) | instid1(VALU_DEP_1)
	v_sub_nc_u32_e32 v3, v8, v3
	v_subrev_nc_u32_e32 v14, s60, v3
	v_cmp_le_u32_e32 vcc_lo, s60, v3
	s_delay_alu instid0(VALU_DEP_2) | instskip(NEXT) | instid1(VALU_DEP_1)
	v_dual_add_nc_u32 v7, 1, v1 :: v_dual_cndmask_b32 v3, v3, v14, vcc_lo
	v_cndmask_b32_e32 v1, v1, v7, vcc_lo
	s_delay_alu instid0(VALU_DEP_2) | instskip(NEXT) | instid1(VALU_DEP_2)
	v_cmp_le_u32_e32 vcc_lo, s60, v3
	v_add_nc_u32_e32 v7, 1, v1
	s_delay_alu instid0(VALU_DEP_1)
	v_cndmask_b32_e32 v14, v1, v7, vcc_lo
	s_branch .LBB31_643
.LBB31_648:
	s_mov_b32 s0, 0
	s_mov_b32 s35, 0
	;; [unrolled: 1-line block ×6, first 2 shown]
.LBB31_649:
                                        ; implicit-def: $vgpr0
.LBB31_650:
	s_delay_alu instid0(SALU_CYCLE_1)
	s_and_b32 s64, s43, exec_lo
	s_and_b32 s65, s42, exec_lo
	;; [unrolled: 1-line block ×10, first 2 shown]
	s_or_not1_b32 s40, s0, exec_lo
.LBB31_651:
	s_wait_xcnt 0x0
	s_or_b32 exec_lo, exec_lo, s87
	s_mov_b32 s41, 0
	s_mov_b32 s35, 0
                                        ; implicit-def: $sgpr0
                                        ; implicit-def: $vgpr14_vgpr15
                                        ; implicit-def: $vgpr2
                                        ; implicit-def: $vgpr12
                                        ; implicit-def: $vgpr10
                                        ; implicit-def: $vgpr6
                                        ; implicit-def: $vgpr8
                                        ; implicit-def: $vgpr4_vgpr5
	s_and_saveexec_b32 s87, s40
	s_cbranch_execz .LBB31_660
; %bb.652:
	s_mov_b32 s35, -1
	s_mov_b32 s88, s86
	s_mov_b32 s90, s85
	;; [unrolled: 1-line block ×10, first 2 shown]
	s_mov_b32 s98, exec_lo
	v_cmpx_gt_i32_e64 s77, v0
	s_cbranch_execz .LBB31_1326
; %bb.653:
	s_and_not1_b32 vcc_lo, exec_lo, s68
	s_cbranch_vccnz .LBB31_663
; %bb.654:
	s_and_not1_b32 vcc_lo, exec_lo, s25
	s_cbranch_vccnz .LBB31_664
; %bb.655:
	s_wait_loadcnt 0x0
	v_dual_mov_b32 v10, 0 :: v_dual_mov_b32 v1, v0
	v_dual_mov_b32 v6, 0 :: v_dual_mov_b32 v8, 0
	;; [unrolled: 1-line block ×3, first 2 shown]
	v_mov_b32_e32 v4, 0
	s_add_co_i32 s0, s76, 1
	s_mov_b64 s[20:21], 0xffffffffffffffd0
	s_mov_b32 s4, s25
	s_and_b32 s0, s0, 30
	s_add_nc_u64 s[54:55], s[2:3], s[20:21]
	s_mov_b64 s[56:57], s[2:3]
.LBB31_656:                             ; =>This Inner Loop Header: Depth=1
	s_clause 0x1
	s_load_b128 s[20:23], s[56:57], 0x4
	s_load_b64 s[40:41], s[56:57], 0x14
	s_clause 0x1
	s_load_b256 s[88:95], s[54:55], 0xf4
	s_load_b128 s[24:27], s[54:55], 0x114
	s_add_co_i32 s0, s0, -2
	s_wait_xcnt 0x0
	s_add_nc_u64 s[56:57], s[56:57], 24
	s_cmp_eq_u32 s0, 0
	s_add_nc_u64 s[54:55], s[54:55], 48
	s_wait_kmcnt 0x0
	v_mul_hi_u32 v3, s21, v1
	s_delay_alu instid0(VALU_DEP_1) | instskip(NEXT) | instid1(VALU_DEP_1)
	v_add_nc_u32_e32 v3, v1, v3
	v_lshrrev_b32_e32 v3, s22, v3
	s_delay_alu instid0(VALU_DEP_1) | instskip(SKIP_1) | instid1(VALU_DEP_1)
	v_mul_hi_u32 v5, s40, v3
	v_mul_lo_u32 v7, v3, s20
	v_dual_add_nc_u32 v5, v3, v5 :: v_dual_sub_nc_u32 v7, v1, v7
	s_delay_alu instid0(VALU_DEP_1) | instskip(NEXT) | instid1(VALU_DEP_2)
	v_lshrrev_b32_e32 v1, s41, v5
	v_mad_u32 v4, v7, s89, v4
	v_mad_u32 v2, v7, s88, v2
	;; [unrolled: 1-line block ×4, first 2 shown]
	v_mul_lo_u32 v5, v1, s23
	v_mad_u32 v6, s93, v7, v6
	v_mad_u32 v7, s92, v7, v10
	s_delay_alu instid0(VALU_DEP_3) | instskip(NEXT) | instid1(VALU_DEP_1)
	v_sub_nc_u32_e32 v3, v3, v5
	v_mad_u32 v4, v3, s95, v4
	v_mad_u32 v2, v3, s94, v2
	;; [unrolled: 1-line block ×6, first 2 shown]
	s_cbranch_scc0 .LBB31_656
; %bb.657:
	s_bitcmp1_b32 s76, 0
	s_cselect_b32 s0, -1, 0
	s_delay_alu instid0(SALU_CYCLE_1)
	s_and_b32 vcc_lo, exec_lo, s0
	s_cbranch_vccnz .LBB31_659
; %bb.658:
	s_load_b96 s[24:26], s[56:57], 0x4
	s_wait_kmcnt 0x0
	v_mul_hi_u32 v3, s25, v1
	s_delay_alu instid0(VALU_DEP_1) | instskip(NEXT) | instid1(VALU_DEP_1)
	v_add_nc_u32_e32 v3, v1, v3
	v_lshrrev_b32_e32 v3, s26, v3
	s_clause 0x1
	s_load_b128 s[20:23], s[54:55], 0xf4
	s_load_b64 s[26:27], s[54:55], 0x104
	s_delay_alu instid0(VALU_DEP_1) | instskip(NEXT) | instid1(VALU_DEP_1)
	v_mul_lo_u32 v3, v3, s24
	v_sub_nc_u32_e32 v1, v1, v3
	s_wait_kmcnt 0x0
	s_delay_alu instid0(VALU_DEP_1)
	v_mad_u32 v2, v1, s20, v2
	v_mad_u32 v4, v1, s21, v4
	;; [unrolled: 1-line block ×6, first 2 shown]
.LBB31_659:
	s_load_b256 s[8:15], s[2:3], 0xc4
	s_mov_b32 s25, s4
	s_cbranch_execnz .LBB31_667
	s_branch .LBB31_665
.LBB31_660:
	s_or_b32 exec_lo, exec_lo, s87
	s_mov_b32 s1, 0
	s_and_saveexec_b32 s6, s86
	s_cbranch_execnz .LBB31_2194
.LBB31_661:
	s_or_b32 exec_lo, exec_lo, s6
	s_and_saveexec_b32 s6, s51
	s_delay_alu instid0(SALU_CYCLE_1)
	s_xor_b32 s6, exec_lo, s6
	s_cbranch_execz .LBB31_2195
.LBB31_662:
	s_wait_loadcnt 0x0
	global_load_u8 v0, v[14:15], off
	s_mov_b32 s7, 0
	s_or_b32 s35, s35, exec_lo
	v_mov_b32_e32 v5, s7
	s_wait_loadcnt 0x0
	v_cmp_ne_u16_e32 vcc_lo, 0, v0
	v_cndmask_b32_e64 v4, 0, 1, vcc_lo
	s_wait_xcnt 0x0
	s_or_b32 exec_lo, exec_lo, s6
	s_and_saveexec_b32 s6, s41
	s_cbranch_execz .LBB31_2241
	s_branch .LBB31_2196
.LBB31_663:
	s_load_b256 s[8:15], s[2:3], 0xc4
                                        ; implicit-def: $vgpr4
                                        ; implicit-def: $vgpr2
                                        ; implicit-def: $vgpr12
                                        ; implicit-def: $vgpr8
                                        ; implicit-def: $vgpr6
                                        ; implicit-def: $vgpr10
	s_branch .LBB31_665
.LBB31_664:
	s_load_b256 s[8:15], s[2:3], 0xc4
	s_wait_loadcnt 0x0
	v_dual_mov_b32 v4, 0 :: v_dual_mov_b32 v2, 0
	v_dual_mov_b32 v12, 0 :: v_dual_mov_b32 v8, 0
	;; [unrolled: 1-line block ×3, first 2 shown]
	s_cbranch_execnz .LBB31_667
.LBB31_665:
	v_mov_b32_e32 v1, 0
	s_load_b128 s[4:7], s[2:3], 0x4
	s_and_not1_b32 vcc_lo, exec_lo, s48
	s_delay_alu instid0(VALU_DEP_1) | instskip(NEXT) | instid1(VALU_DEP_1)
	v_mul_u64_e32 v[2:3], s[50:51], v[0:1]
	v_add_nc_u32_e32 v2, v0, v3
	s_wait_loadcnt 0x0
	s_wait_kmcnt 0x0
	s_delay_alu instid0(VALU_DEP_1) | instskip(NEXT) | instid1(VALU_DEP_1)
	v_lshrrev_b32_e32 v14, s6, v2
	v_mul_lo_u32 v2, v14, s4
	s_delay_alu instid0(VALU_DEP_1) | instskip(NEXT) | instid1(VALU_DEP_1)
	v_sub_nc_u32_e32 v3, v0, v2
	v_mul_lo_u32 v4, v3, s9
	v_mul_lo_u32 v2, v3, s8
	;; [unrolled: 1-line block ×6, first 2 shown]
	s_cbranch_vccnz .LBB31_667
; %bb.666:
	v_mov_b32_e32 v15, v1
	s_delay_alu instid0(VALU_DEP_1) | instskip(NEXT) | instid1(VALU_DEP_1)
	v_mul_u64_e32 v[16:17], s[52:53], v[14:15]
	v_add_nc_u32_e32 v1, v14, v17
	s_delay_alu instid0(VALU_DEP_1) | instskip(NEXT) | instid1(VALU_DEP_1)
	v_lshrrev_b32_e32 v1, s31, v1
	v_mul_lo_u32 v1, v1, s7
	s_delay_alu instid0(VALU_DEP_1) | instskip(NEXT) | instid1(VALU_DEP_1)
	v_sub_nc_u32_e32 v1, v14, v1
	v_mad_u32 v2, v1, s14, v2
	v_mad_u32 v4, v1, s15, v4
	v_mad_u32 v8, v1, s44, v8
	v_mad_u32 v12, v1, s45, v12
	v_mad_u32 v10, s46, v1, v10
	v_mad_u32 v6, s47, v1, v6
.LBB31_667:
	s_wait_kmcnt 0x0
	s_load_b512 s[4:19], s[2:3], 0x248
	s_wait_loadcnt 0x0
	v_mov_b32_e32 v5, 0
	s_and_b32 s0, s1, 0xff
	s_delay_alu instid0(SALU_CYCLE_1) | instskip(SKIP_1) | instid1(VALU_DEP_1)
	s_cmp_lt_i32 s0, 11
	s_wait_kmcnt 0x0
	v_add_nc_u64_e32 v[14:15], s[6:7], v[4:5]
	s_cbranch_scc1 .LBB31_674
; %bb.668:
	s_and_b32 s35, 0xffff, s0
	s_delay_alu instid0(SALU_CYCLE_1)
	s_cmp_gt_i32 s35, 25
	s_cbranch_scc0 .LBB31_683
; %bb.669:
	s_cmp_gt_i32 s35, 28
	s_cbranch_scc0 .LBB31_685
; %bb.670:
	;; [unrolled: 3-line block ×4, first 2 shown]
	s_cmp_eq_u32 s35, 46
	s_mov_b32 s41, 0
	s_cbranch_scc0 .LBB31_705
; %bb.673:
	global_load_b32 v1, v[14:15], off
	s_mov_b32 s40, -1
	s_mov_b32 s88, 0
	s_wait_loadcnt 0x0
	v_lshlrev_b32_e32 v1, 16, v1
	s_delay_alu instid0(VALU_DEP_1) | instskip(NEXT) | instid1(VALU_DEP_1)
	v_trunc_f32_e32 v1, v1
	v_mul_f32_e64 v3, 0x2f800000, |v1|
	v_ashrrev_i32_e32 v4, 31, v1
	s_delay_alu instid0(VALU_DEP_2) | instskip(NEXT) | instid1(VALU_DEP_1)
	v_floor_f32_e32 v3, v3
	v_fma_f32 v5, 0xcf800000, v3, |v1|
	v_cvt_u32_f32_e32 v1, v3
	s_delay_alu instid0(VALU_DEP_2) | instskip(NEXT) | instid1(VALU_DEP_2)
	v_cvt_u32_f32_e32 v3, v5
	v_dual_mov_b32 v5, v4 :: v_dual_bitop2_b32 v17, v1, v4 bitop3:0x14
	s_delay_alu instid0(VALU_DEP_2) | instskip(NEXT) | instid1(VALU_DEP_1)
	v_xor_b32_e32 v16, v3, v4
	v_sub_nc_u64_e32 v[4:5], v[16:17], v[4:5]
	s_branch .LBB31_707
.LBB31_674:
	s_mov_b32 s40, 0
	s_mov_b32 s88, s86
                                        ; implicit-def: $vgpr4_vgpr5
	s_cbranch_execnz .LBB31_769
.LBB31_675:
	s_and_not1_b32 vcc_lo, exec_lo, s40
	s_cbranch_vccnz .LBB31_817
.LBB31_676:
	s_load_b512 s[4:19], s[2:3], 0x248
	v_mov_b32_e32 v9, 0
	s_and_b32 s0, s70, 0xff
	s_delay_alu instid0(SALU_CYCLE_1) | instskip(SKIP_1) | instid1(VALU_DEP_1)
	s_cmp_lt_i32 s0, 11
	s_wait_kmcnt 0x0
	v_add_nc_u64_e32 v[14:15], s[8:9], v[8:9]
	s_cbranch_scc1 .LBB31_684
; %bb.677:
	s_and_b32 s35, 0xffff, s0
	s_delay_alu instid0(SALU_CYCLE_1)
	s_cmp_gt_i32 s35, 25
	s_cbranch_scc0 .LBB31_686
; %bb.678:
	s_cmp_gt_i32 s35, 28
	s_cbranch_scc0 .LBB31_688
; %bb.679:
	;; [unrolled: 3-line block ×4, first 2 shown]
	s_cmp_eq_u32 s35, 46
	s_mov_b32 s41, 0
	s_cbranch_scc0 .LBB31_819
; %bb.682:
	global_load_b32 v1, v[14:15], off
	s_mov_b32 s40, -1
	s_mov_b32 s90, 0
	s_wait_loadcnt 0x0
	v_lshlrev_b32_e32 v1, 16, v1
	s_delay_alu instid0(VALU_DEP_1) | instskip(NEXT) | instid1(VALU_DEP_1)
	v_trunc_f32_e32 v1, v1
	v_mul_f32_e64 v3, 0x2f800000, |v1|
	v_ashrrev_i32_e32 v8, 31, v1
	s_delay_alu instid0(VALU_DEP_2) | instskip(NEXT) | instid1(VALU_DEP_2)
	v_floor_f32_e32 v3, v3
	v_mov_b32_e32 v9, v8
	s_delay_alu instid0(VALU_DEP_2) | instskip(SKIP_1) | instid1(VALU_DEP_2)
	v_fma_f32 v7, 0xcf800000, v3, |v1|
	v_cvt_u32_f32_e32 v1, v3
	v_cvt_u32_f32_e32 v3, v7
	s_delay_alu instid0(VALU_DEP_2) | instskip(NEXT) | instid1(VALU_DEP_2)
	v_xor_b32_e32 v17, v1, v8
	v_xor_b32_e32 v16, v3, v8
	s_delay_alu instid0(VALU_DEP_1)
	v_sub_nc_u64_e32 v[8:9], v[16:17], v[8:9]
	s_branch .LBB31_821
.LBB31_683:
	s_mov_b32 s41, -1
	s_mov_b32 s40, 0
	s_mov_b32 s88, s86
                                        ; implicit-def: $vgpr4_vgpr5
	s_branch .LBB31_735
.LBB31_684:
	s_mov_b32 s35, -1
	s_mov_b32 s40, 0
	s_mov_b32 s90, s85
                                        ; implicit-def: $vgpr8_vgpr9
	s_branch .LBB31_882
.LBB31_685:
	s_mov_b32 s41, -1
	s_mov_b32 s40, 0
	s_mov_b32 s88, s86
                                        ; implicit-def: $vgpr4_vgpr5
	s_branch .LBB31_718
.LBB31_686:
	s_mov_b32 s41, -1
	s_mov_b32 s40, 0
	s_mov_b32 s90, s85
                                        ; implicit-def: $vgpr8_vgpr9
	s_branch .LBB31_848
.LBB31_687:
	s_mov_b32 s41, -1
	s_mov_b32 s40, 0
	s_mov_b32 s88, s86
                                        ; implicit-def: $vgpr4_vgpr5
	s_branch .LBB31_713
.LBB31_688:
	s_mov_b32 s41, -1
	s_mov_b32 s40, 0
	s_mov_b32 s90, s85
                                        ; implicit-def: $vgpr8_vgpr9
	s_branch .LBB31_831
.LBB31_689:
	s_mov_b32 s54, -1
	s_mov_b32 s42, 0
	s_mov_b32 s0, 0
	s_mov_b32 s35, exec_lo
	v_cmpx_gt_i64_e64 v[10:11], v[12:13]
	s_cbranch_execz .LBB31_697
; %bb.690:
	s_delay_alu instid0(VALU_DEP_2) | instskip(SKIP_1) | instid1(VALU_DEP_1)
	v_lshlrev_b64_e32 v[4:5], 3, v[4:5]
	s_xor_b32 s54, s71, -1
                                        ; implicit-def: $sgpr43
                                        ; implicit-def: $sgpr56
                                        ; implicit-def: $sgpr55
	v_lshl_add_u64 v[6:7], v[12:13], 3, v[4:5]
	v_add_nc_u64_e32 v[8:9], s[72:73], v[4:5]
	s_delay_alu instid0(VALU_DEP_2) | instskip(NEXT) | instid1(VALU_DEP_1)
	v_add_nc_u64_e32 v[6:7], s[72:73], v[6:7]
	v_add_nc_u64_e32 v[4:5], 8, v[6:7]
	s_delay_alu instid0(VALU_DEP_3)
	v_lshl_add_u64 v[6:7], v[10:11], 3, v[8:9]
	s_branch .LBB31_692
.LBB31_691:                             ;   in Loop: Header=BB31_692 Depth=1
	s_or_b32 exec_lo, exec_lo, s57
	s_delay_alu instid0(SALU_CYCLE_1) | instskip(NEXT) | instid1(SALU_CYCLE_1)
	s_and_b32 s20, exec_lo, s56
	s_or_b32 s0, s20, s0
	s_and_not1_b32 s20, s43, exec_lo
	s_and_b32 s21, s55, exec_lo
	s_delay_alu instid0(SALU_CYCLE_1)
	s_or_b32 s43, s20, s21
	s_and_not1_b32 exec_lo, exec_lo, s0
	s_cbranch_execz .LBB31_696
.LBB31_692:                             ; =>This Inner Loop Header: Depth=1
	s_or_b32 s55, s55, exec_lo
	s_or_b32 s56, s56, exec_lo
	s_mov_b32 s57, exec_lo
	s_delay_alu instid0(VALU_DEP_2)
	v_cmpx_lt_u64_e64 v[4:5], v[6:7]
	s_cbranch_execz .LBB31_691
; %bb.693:                              ;   in Loop: Header=BB31_692 Depth=1
	global_load_b128 v[8:11], v[4:5], off offset:-8
	s_wait_xcnt 0x0
	v_add_nc_u64_e32 v[4:5], 8, v[4:5]
	s_and_not1_b32 s21, s56, exec_lo
	s_and_not1_b32 s55, s55, exec_lo
	s_wait_loadcnt 0x0
	v_cmp_ge_i64_e32 vcc_lo, v[8:9], v[10:11]
	s_or_b32 s20, s54, vcc_lo
	s_delay_alu instid0(SALU_CYCLE_1) | instskip(NEXT) | instid1(SALU_CYCLE_1)
	s_and_b32 s20, s20, exec_lo
	s_or_b32 s56, s21, s20
	s_branch .LBB31_691
.LBB31_694:
	s_mov_b32 s41, -1
	s_mov_b32 s40, 0
	s_mov_b32 s88, s86
	s_branch .LBB31_706
.LBB31_695:
	s_mov_b32 s41, -1
	s_mov_b32 s40, 0
	s_mov_b32 s90, s85
                                        ; implicit-def: $vgpr8_vgpr9
	s_branch .LBB31_826
.LBB31_696:
	s_or_b32 exec_lo, exec_lo, s0
	s_delay_alu instid0(SALU_CYCLE_1)
	s_mov_b32 s0, exec_lo
	s_or_not1_b32 s54, s43, exec_lo
.LBB31_697:
	s_or_b32 exec_lo, exec_lo, s35
	s_mov_b32 s43, 0
	s_and_saveexec_b32 s35, s54
	s_cbranch_execz .LBB31_1957
; %bb.698:
	s_load_b512 s[4:19], s[2:3], 0x248
	v_mov_b32_e32 v3, 0
	s_and_b32 s43, s74, 0xff
	s_delay_alu instid0(SALU_CYCLE_1) | instskip(SKIP_1) | instid1(VALU_DEP_1)
	s_cmp_lt_i32 s43, 11
	s_wait_kmcnt 0x0
	v_add_nc_u64_e32 v[2:3], s[4:5], v[2:3]
	s_cbranch_scc1 .LBB31_818
; %bb.699:
	s_and_b32 s54, 0xffff, s43
	s_delay_alu instid0(SALU_CYCLE_1)
	s_cmp_gt_i32 s54, 25
	s_cbranch_scc0 .LBB31_945
; %bb.700:
	s_cmp_gt_i32 s54, 28
	s_cbranch_scc0 .LBB31_1072
; %bb.701:
	;; [unrolled: 3-line block ×3, first 2 shown]
	s_mov_b64 s[4:5], s[72:73]
	s_mov_b64 s[6:7], s[74:75]
	s_cmp_gt_i32 s54, 45
	s_cbranch_scc0 .LBB31_1874
; %bb.703:
	s_mov_b32 s56, 0
	s_mov_b32 s42, -1
	s_cmp_eq_u32 s54, 46
	s_mov_b32 s55, 0
	s_cbranch_scc0 .LBB31_1875
; %bb.704:
	v_mov_b32_e32 v1, 0
	s_mov_b32 s55, -1
	s_mov_b32 s42, 0
	global_store_b32 v[2:3], v1, off
	s_branch .LBB31_1875
.LBB31_705:
	s_mov_b32 s88, -1
	s_mov_b32 s40, 0
.LBB31_706:
                                        ; implicit-def: $vgpr4_vgpr5
.LBB31_707:
	s_and_b32 vcc_lo, exec_lo, s41
	s_cbranch_vccz .LBB31_712
; %bb.708:
	s_cmp_eq_u32 s35, 44
	s_cbranch_scc0 .LBB31_711
; %bb.709:
	global_load_u8 v1, v[14:15], off
	s_mov_b32 s88, 0
	s_mov_b32 s40, -1
	s_wait_loadcnt 0x0
	v_lshlrev_b32_e32 v3, 23, v1
	v_cmp_ne_u32_e32 vcc_lo, 0, v1
	s_delay_alu instid0(VALU_DEP_2) | instskip(NEXT) | instid1(VALU_DEP_1)
	v_trunc_f32_e32 v3, v3
	v_mul_f32_e64 v4, 0x2f800000, |v3|
	s_delay_alu instid0(VALU_DEP_1) | instskip(SKIP_1) | instid1(VALU_DEP_2)
	v_floor_f32_e32 v5, v4
	v_ashrrev_i32_e32 v4, 31, v3
	v_fma_f32 v7, 0xcf800000, v5, |v3|
	v_cvt_u32_f32_e32 v3, v5
	s_delay_alu instid0(VALU_DEP_3) | instskip(NEXT) | instid1(VALU_DEP_3)
	v_mov_b32_e32 v5, v4
	v_cvt_u32_f32_e32 v7, v7
	s_delay_alu instid0(VALU_DEP_3) | instskip(NEXT) | instid1(VALU_DEP_2)
	v_xor_b32_e32 v17, v3, v4
	v_xor_b32_e32 v16, v7, v4
	s_delay_alu instid0(VALU_DEP_1) | instskip(NEXT) | instid1(VALU_DEP_1)
	v_sub_nc_u64_e32 v[4:5], v[16:17], v[4:5]
	v_dual_cndmask_b32 v5, 0, v5 :: v_dual_cndmask_b32 v4, 0, v4
	s_branch .LBB31_712
.LBB31_710:
	s_mov_b32 s41, -1
	s_mov_b32 s40, 0
	s_mov_b32 s90, s85
	s_branch .LBB31_820
.LBB31_711:
	s_mov_b32 s88, -1
                                        ; implicit-def: $vgpr4_vgpr5
.LBB31_712:
	s_mov_b32 s41, 0
.LBB31_713:
	s_delay_alu instid0(SALU_CYCLE_1)
	s_and_b32 vcc_lo, exec_lo, s41
	s_cbranch_vccz .LBB31_717
; %bb.714:
	s_cmp_eq_u32 s35, 29
	s_cbranch_scc0 .LBB31_716
; %bb.715:
	global_load_b64 v[4:5], v[14:15], off
	s_mov_b32 s40, -1
	s_mov_b32 s88, 0
	s_branch .LBB31_717
.LBB31_716:
	s_mov_b32 s88, -1
                                        ; implicit-def: $vgpr4_vgpr5
.LBB31_717:
	s_mov_b32 s41, 0
.LBB31_718:
	s_delay_alu instid0(SALU_CYCLE_1)
	s_and_b32 vcc_lo, exec_lo, s41
	s_cbranch_vccz .LBB31_734
; %bb.719:
	s_cmp_lt_i32 s35, 27
	s_cbranch_scc1 .LBB31_722
; %bb.720:
	s_cmp_gt_i32 s35, 27
	s_cbranch_scc0 .LBB31_723
; %bb.721:
	s_wait_loadcnt 0x0
	global_load_b32 v4, v[14:15], off
	v_mov_b32_e32 v5, 0
	s_mov_b32 s40, 0
	s_branch .LBB31_724
.LBB31_722:
	s_mov_b32 s40, -1
                                        ; implicit-def: $vgpr4_vgpr5
	s_branch .LBB31_727
.LBB31_723:
	s_mov_b32 s40, -1
                                        ; implicit-def: $vgpr4_vgpr5
.LBB31_724:
	s_delay_alu instid0(SALU_CYCLE_1)
	s_and_not1_b32 vcc_lo, exec_lo, s40
	s_cbranch_vccnz .LBB31_726
; %bb.725:
	global_load_u16 v1, v[14:15], off
	s_mov_b32 s20, 0
	s_wait_loadcnt 0x1
	v_mov_b32_e32 v5, s20
	s_wait_loadcnt 0x0
	v_and_b32_e32 v4, 0xffff, v1
.LBB31_726:
	s_mov_b32 s40, 0
.LBB31_727:
	s_delay_alu instid0(SALU_CYCLE_1)
	s_and_not1_b32 vcc_lo, exec_lo, s40
	s_cbranch_vccnz .LBB31_733
; %bb.728:
	global_load_u8 v1, v[14:15], off
	s_mov_b32 s41, 0
	s_mov_b32 s20, exec_lo
	s_wait_loadcnt 0x0
	v_cmpx_lt_i16_e32 0x7f, v1
	s_xor_b32 s40, exec_lo, s20
	s_cbranch_execz .LBB31_745
; %bb.729:
	v_cmp_ne_u16_e32 vcc_lo, 0x80, v1
	s_and_b32 s41, vcc_lo, exec_lo
	s_and_not1_saveexec_b32 s40, s40
	s_cbranch_execnz .LBB31_746
.LBB31_730:
	s_or_b32 exec_lo, exec_lo, s40
	v_mov_b64_e32 v[4:5], 0
	s_and_saveexec_b32 s40, s41
	s_cbranch_execz .LBB31_732
.LBB31_731:
	v_and_b32_e32 v3, 0xffff, v1
	s_delay_alu instid0(VALU_DEP_1) | instskip(SKIP_1) | instid1(VALU_DEP_2)
	v_and_b32_e32 v4, 7, v3
	v_bfe_u32 v9, v3, 3, 4
	v_clz_i32_u32_e32 v5, v4
	s_delay_alu instid0(VALU_DEP_2) | instskip(NEXT) | instid1(VALU_DEP_2)
	v_cmp_eq_u32_e32 vcc_lo, 0, v9
	v_min_u32_e32 v5, 32, v5
	s_delay_alu instid0(VALU_DEP_1) | instskip(NEXT) | instid1(VALU_DEP_1)
	v_subrev_nc_u32_e32 v7, 28, v5
	v_dual_lshlrev_b32 v3, v7, v3 :: v_dual_sub_nc_u32 v5, 29, v5
	s_delay_alu instid0(VALU_DEP_1) | instskip(NEXT) | instid1(VALU_DEP_1)
	v_dual_lshlrev_b32 v1, 24, v1 :: v_dual_bitop2_b32 v3, 7, v3 bitop3:0x40
	v_dual_cndmask_b32 v3, v4, v3, vcc_lo :: v_dual_cndmask_b32 v5, v9, v5, vcc_lo
	s_delay_alu instid0(VALU_DEP_2) | instskip(NEXT) | instid1(VALU_DEP_2)
	v_and_b32_e32 v1, 0x80000000, v1
	v_lshlrev_b32_e32 v3, 20, v3
	s_delay_alu instid0(VALU_DEP_3) | instskip(NEXT) | instid1(VALU_DEP_1)
	v_lshl_add_u32 v4, v5, 23, 0x3b800000
	v_or3_b32 v1, v1, v4, v3
	s_delay_alu instid0(VALU_DEP_1) | instskip(NEXT) | instid1(VALU_DEP_1)
	v_trunc_f32_e32 v1, v1
	v_mul_f32_e64 v3, 0x2f800000, |v1|
	v_ashrrev_i32_e32 v4, 31, v1
	s_delay_alu instid0(VALU_DEP_2) | instskip(NEXT) | instid1(VALU_DEP_1)
	v_floor_f32_e32 v3, v3
	v_fma_f32 v5, 0xcf800000, v3, |v1|
	v_cvt_u32_f32_e32 v1, v3
	s_delay_alu instid0(VALU_DEP_2) | instskip(NEXT) | instid1(VALU_DEP_2)
	v_cvt_u32_f32_e32 v3, v5
	v_dual_mov_b32 v5, v4 :: v_dual_bitop2_b32 v17, v1, v4 bitop3:0x14
	s_delay_alu instid0(VALU_DEP_2) | instskip(NEXT) | instid1(VALU_DEP_1)
	v_xor_b32_e32 v16, v3, v4
	v_sub_nc_u64_e32 v[4:5], v[16:17], v[4:5]
.LBB31_732:
	s_or_b32 exec_lo, exec_lo, s40
.LBB31_733:
	s_mov_b32 s40, -1
.LBB31_734:
	s_mov_b32 s41, 0
.LBB31_735:
	s_delay_alu instid0(SALU_CYCLE_1)
	s_and_b32 vcc_lo, exec_lo, s41
	s_cbranch_vccz .LBB31_768
; %bb.736:
	s_cmp_gt_i32 s35, 22
	s_cbranch_scc0 .LBB31_744
; %bb.737:
	s_cmp_lt_i32 s35, 24
	s_cbranch_scc1 .LBB31_747
; %bb.738:
	s_cmp_gt_i32 s35, 24
	s_cbranch_scc0 .LBB31_748
; %bb.739:
	global_load_u8 v1, v[14:15], off
	s_mov_b32 s41, 0
	s_mov_b32 s20, exec_lo
	s_wait_loadcnt 0x0
	v_cmpx_lt_i16_e32 0x7f, v1
	s_xor_b32 s40, exec_lo, s20
	s_cbranch_execz .LBB31_760
; %bb.740:
	v_cmp_ne_u16_e32 vcc_lo, 0x80, v1
	s_and_b32 s41, vcc_lo, exec_lo
	s_and_not1_saveexec_b32 s40, s40
	s_cbranch_execnz .LBB31_761
.LBB31_741:
	s_or_b32 exec_lo, exec_lo, s40
	v_mov_b64_e32 v[4:5], 0
	s_and_saveexec_b32 s40, s41
	s_cbranch_execz .LBB31_743
.LBB31_742:
	v_and_b32_e32 v3, 0xffff, v1
	s_delay_alu instid0(VALU_DEP_1) | instskip(SKIP_1) | instid1(VALU_DEP_2)
	v_and_b32_e32 v4, 3, v3
	v_bfe_u32 v9, v3, 2, 5
	v_clz_i32_u32_e32 v5, v4
	s_delay_alu instid0(VALU_DEP_2) | instskip(NEXT) | instid1(VALU_DEP_2)
	v_cmp_eq_u32_e32 vcc_lo, 0, v9
	v_min_u32_e32 v5, 32, v5
	s_delay_alu instid0(VALU_DEP_1) | instskip(NEXT) | instid1(VALU_DEP_1)
	v_subrev_nc_u32_e32 v7, 29, v5
	v_dual_lshlrev_b32 v3, v7, v3 :: v_dual_sub_nc_u32 v5, 30, v5
	s_delay_alu instid0(VALU_DEP_1) | instskip(NEXT) | instid1(VALU_DEP_1)
	v_dual_lshlrev_b32 v1, 24, v1 :: v_dual_bitop2_b32 v3, 3, v3 bitop3:0x40
	v_dual_cndmask_b32 v3, v4, v3, vcc_lo :: v_dual_cndmask_b32 v5, v9, v5, vcc_lo
	s_delay_alu instid0(VALU_DEP_2) | instskip(NEXT) | instid1(VALU_DEP_2)
	v_and_b32_e32 v1, 0x80000000, v1
	v_lshlrev_b32_e32 v3, 21, v3
	s_delay_alu instid0(VALU_DEP_3) | instskip(NEXT) | instid1(VALU_DEP_1)
	v_lshl_add_u32 v4, v5, 23, 0x37800000
	v_or3_b32 v1, v1, v4, v3
	s_delay_alu instid0(VALU_DEP_1) | instskip(NEXT) | instid1(VALU_DEP_1)
	v_trunc_f32_e32 v1, v1
	v_mul_f32_e64 v3, 0x2f800000, |v1|
	v_ashrrev_i32_e32 v4, 31, v1
	s_delay_alu instid0(VALU_DEP_2) | instskip(NEXT) | instid1(VALU_DEP_1)
	v_floor_f32_e32 v3, v3
	v_fma_f32 v5, 0xcf800000, v3, |v1|
	v_cvt_u32_f32_e32 v1, v3
	s_delay_alu instid0(VALU_DEP_2) | instskip(NEXT) | instid1(VALU_DEP_2)
	v_cvt_u32_f32_e32 v3, v5
	v_dual_mov_b32 v5, v4 :: v_dual_bitop2_b32 v17, v1, v4 bitop3:0x14
	s_delay_alu instid0(VALU_DEP_2) | instskip(NEXT) | instid1(VALU_DEP_1)
	v_xor_b32_e32 v16, v3, v4
	v_sub_nc_u64_e32 v[4:5], v[16:17], v[4:5]
.LBB31_743:
	s_or_b32 exec_lo, exec_lo, s40
	s_mov_b32 s40, 0
	s_branch .LBB31_749
.LBB31_744:
	s_mov_b32 s41, -1
                                        ; implicit-def: $vgpr4_vgpr5
	s_branch .LBB31_755
.LBB31_745:
	s_and_not1_saveexec_b32 s40, s40
	s_cbranch_execz .LBB31_730
.LBB31_746:
	v_cmp_ne_u16_e32 vcc_lo, 0, v1
	s_and_not1_b32 s20, s41, exec_lo
	s_and_b32 s21, vcc_lo, exec_lo
	s_delay_alu instid0(SALU_CYCLE_1)
	s_or_b32 s41, s20, s21
	s_or_b32 exec_lo, exec_lo, s40
	v_mov_b64_e32 v[4:5], 0
	s_and_saveexec_b32 s40, s41
	s_cbranch_execnz .LBB31_731
	s_branch .LBB31_732
.LBB31_747:
	s_mov_b32 s40, -1
                                        ; implicit-def: $vgpr4_vgpr5
	s_branch .LBB31_752
.LBB31_748:
	s_mov_b32 s40, -1
                                        ; implicit-def: $vgpr4_vgpr5
.LBB31_749:
	s_delay_alu instid0(SALU_CYCLE_1)
	s_and_b32 vcc_lo, exec_lo, s40
	s_cbranch_vccz .LBB31_751
; %bb.750:
	global_load_u8 v1, v[14:15], off
	s_wait_loadcnt 0x0
	v_lshlrev_b32_e32 v1, 24, v1
	s_delay_alu instid0(VALU_DEP_1) | instskip(NEXT) | instid1(VALU_DEP_1)
	v_and_b32_e32 v3, 0x7f000000, v1
	v_clz_i32_u32_e32 v4, v3
	v_add_nc_u32_e32 v7, 0x1000000, v3
	v_cmp_ne_u32_e32 vcc_lo, 0, v3
	s_delay_alu instid0(VALU_DEP_3) | instskip(NEXT) | instid1(VALU_DEP_1)
	v_min_u32_e32 v4, 32, v4
	v_sub_nc_u32_e64 v4, v4, 4 clamp
	s_delay_alu instid0(VALU_DEP_1) | instskip(NEXT) | instid1(VALU_DEP_1)
	v_dual_lshlrev_b32 v5, v4, v3 :: v_dual_lshlrev_b32 v4, 23, v4
	v_lshrrev_b32_e32 v5, 4, v5
	s_delay_alu instid0(VALU_DEP_1) | instskip(NEXT) | instid1(VALU_DEP_1)
	v_dual_sub_nc_u32 v4, v5, v4 :: v_dual_ashrrev_i32 v5, 8, v7
	v_add_nc_u32_e32 v4, 0x3c000000, v4
	s_delay_alu instid0(VALU_DEP_1) | instskip(NEXT) | instid1(VALU_DEP_1)
	v_and_or_b32 v4, 0x7f800000, v5, v4
	v_cndmask_b32_e32 v3, 0, v4, vcc_lo
	s_delay_alu instid0(VALU_DEP_1) | instskip(NEXT) | instid1(VALU_DEP_1)
	v_and_or_b32 v1, 0x80000000, v1, v3
	v_trunc_f32_e32 v1, v1
	s_delay_alu instid0(VALU_DEP_1) | instskip(SKIP_1) | instid1(VALU_DEP_2)
	v_mul_f32_e64 v3, 0x2f800000, |v1|
	v_ashrrev_i32_e32 v4, 31, v1
	v_floor_f32_e32 v3, v3
	s_delay_alu instid0(VALU_DEP_1) | instskip(SKIP_1) | instid1(VALU_DEP_2)
	v_fma_f32 v5, 0xcf800000, v3, |v1|
	v_cvt_u32_f32_e32 v1, v3
	v_cvt_u32_f32_e32 v3, v5
	s_delay_alu instid0(VALU_DEP_2) | instskip(NEXT) | instid1(VALU_DEP_2)
	v_dual_mov_b32 v5, v4 :: v_dual_bitop2_b32 v17, v1, v4 bitop3:0x14
	v_xor_b32_e32 v16, v3, v4
	s_delay_alu instid0(VALU_DEP_1)
	v_sub_nc_u64_e32 v[4:5], v[16:17], v[4:5]
.LBB31_751:
	s_mov_b32 s40, 0
.LBB31_752:
	s_delay_alu instid0(SALU_CYCLE_1)
	s_and_not1_b32 vcc_lo, exec_lo, s40
	s_cbranch_vccnz .LBB31_754
; %bb.753:
	global_load_u8 v1, v[14:15], off
	s_wait_loadcnt 0x0
	v_lshlrev_b32_e32 v3, 25, v1
	v_lshlrev_b16 v1, 8, v1
	s_delay_alu instid0(VALU_DEP_1) | instskip(NEXT) | instid1(VALU_DEP_3)
	v_and_or_b32 v5, 0x7f00, v1, 0.5
	v_lshrrev_b32_e32 v4, 4, v3
	v_bfe_i32 v1, v1, 0, 16
	s_delay_alu instid0(VALU_DEP_3) | instskip(NEXT) | instid1(VALU_DEP_3)
	v_add_f32_e32 v5, -0.5, v5
	v_or_b32_e32 v4, 0x70000000, v4
	s_delay_alu instid0(VALU_DEP_1) | instskip(SKIP_1) | instid1(VALU_DEP_2)
	v_mul_f32_e32 v4, 0x7800000, v4
	v_cmp_gt_u32_e32 vcc_lo, 0x8000000, v3
	v_cndmask_b32_e32 v3, v4, v5, vcc_lo
	s_delay_alu instid0(VALU_DEP_1) | instskip(NEXT) | instid1(VALU_DEP_1)
	v_and_or_b32 v1, 0x80000000, v1, v3
	v_trunc_f32_e32 v1, v1
	s_delay_alu instid0(VALU_DEP_1) | instskip(SKIP_1) | instid1(VALU_DEP_2)
	v_mul_f32_e64 v3, 0x2f800000, |v1|
	v_ashrrev_i32_e32 v4, 31, v1
	v_floor_f32_e32 v3, v3
	s_delay_alu instid0(VALU_DEP_1) | instskip(SKIP_1) | instid1(VALU_DEP_2)
	v_fma_f32 v5, 0xcf800000, v3, |v1|
	v_cvt_u32_f32_e32 v1, v3
	v_cvt_u32_f32_e32 v3, v5
	s_delay_alu instid0(VALU_DEP_2) | instskip(NEXT) | instid1(VALU_DEP_2)
	v_dual_mov_b32 v5, v4 :: v_dual_bitop2_b32 v17, v1, v4 bitop3:0x14
	v_xor_b32_e32 v16, v3, v4
	s_delay_alu instid0(VALU_DEP_1)
	v_sub_nc_u64_e32 v[4:5], v[16:17], v[4:5]
.LBB31_754:
	s_mov_b32 s41, 0
	s_mov_b32 s40, -1
.LBB31_755:
	s_and_not1_b32 vcc_lo, exec_lo, s41
	s_cbranch_vccnz .LBB31_768
; %bb.756:
	s_cmp_gt_i32 s35, 14
	s_cbranch_scc0 .LBB31_759
; %bb.757:
	s_cmp_eq_u32 s35, 15
	s_cbranch_scc0 .LBB31_762
; %bb.758:
	global_load_u16 v1, v[14:15], off
	s_mov_b32 s40, -1
	s_mov_b32 s88, 0
	s_wait_loadcnt 0x0
	v_lshlrev_b32_e32 v1, 16, v1
	s_delay_alu instid0(VALU_DEP_1) | instskip(NEXT) | instid1(VALU_DEP_1)
	v_trunc_f32_e32 v1, v1
	v_mul_f32_e64 v3, 0x2f800000, |v1|
	v_ashrrev_i32_e32 v4, 31, v1
	s_delay_alu instid0(VALU_DEP_2) | instskip(NEXT) | instid1(VALU_DEP_1)
	v_floor_f32_e32 v3, v3
	v_fma_f32 v5, 0xcf800000, v3, |v1|
	v_cvt_u32_f32_e32 v1, v3
	s_delay_alu instid0(VALU_DEP_2) | instskip(NEXT) | instid1(VALU_DEP_2)
	v_cvt_u32_f32_e32 v3, v5
	v_dual_mov_b32 v5, v4 :: v_dual_bitop2_b32 v17, v1, v4 bitop3:0x14
	s_delay_alu instid0(VALU_DEP_2) | instskip(NEXT) | instid1(VALU_DEP_1)
	v_xor_b32_e32 v16, v3, v4
	v_sub_nc_u64_e32 v[4:5], v[16:17], v[4:5]
	s_branch .LBB31_763
.LBB31_759:
	s_mov_b32 s41, -1
                                        ; implicit-def: $vgpr4_vgpr5
	s_branch .LBB31_764
.LBB31_760:
	s_and_not1_saveexec_b32 s40, s40
	s_cbranch_execz .LBB31_741
.LBB31_761:
	v_cmp_ne_u16_e32 vcc_lo, 0, v1
	s_and_not1_b32 s20, s41, exec_lo
	s_and_b32 s21, vcc_lo, exec_lo
	s_delay_alu instid0(SALU_CYCLE_1)
	s_or_b32 s41, s20, s21
	s_or_b32 exec_lo, exec_lo, s40
	v_mov_b64_e32 v[4:5], 0
	s_and_saveexec_b32 s40, s41
	s_cbranch_execnz .LBB31_742
	s_branch .LBB31_743
.LBB31_762:
	s_mov_b32 s88, -1
                                        ; implicit-def: $vgpr4_vgpr5
.LBB31_763:
	s_mov_b32 s41, 0
.LBB31_764:
	s_delay_alu instid0(SALU_CYCLE_1)
	s_and_b32 vcc_lo, exec_lo, s41
	s_cbranch_vccz .LBB31_768
; %bb.765:
	s_cmp_eq_u32 s35, 11
	s_cbranch_scc0 .LBB31_767
; %bb.766:
	global_load_u8 v1, v[14:15], off
	s_mov_b32 s88, 0
	s_mov_b32 s40, -1
	s_wait_loadcnt 0x1
	v_mov_b32_e32 v5, s88
	s_wait_loadcnt 0x0
	v_cmp_ne_u16_e32 vcc_lo, 0, v1
	v_cndmask_b32_e64 v4, 0, 1, vcc_lo
	s_branch .LBB31_768
.LBB31_767:
	s_mov_b32 s88, -1
                                        ; implicit-def: $vgpr4_vgpr5
.LBB31_768:
	s_branch .LBB31_675
.LBB31_769:
	s_and_b32 s0, 0xffff, s0
	s_delay_alu instid0(SALU_CYCLE_1)
	s_cmp_lt_i32 s0, 5
	s_cbranch_scc1 .LBB31_774
; %bb.770:
	s_cmp_lt_i32 s0, 8
	s_cbranch_scc1 .LBB31_775
; %bb.771:
	;; [unrolled: 3-line block ×3, first 2 shown]
	s_cmp_gt_i32 s0, 9
	s_cbranch_scc0 .LBB31_777
; %bb.773:
	s_wait_loadcnt 0x0
	global_load_b64 v[4:5], v[14:15], off
	s_mov_b32 s35, 0
	s_wait_loadcnt 0x0
	v_trunc_f64_e32 v[4:5], v[4:5]
	s_delay_alu instid0(VALU_DEP_1) | instskip(NEXT) | instid1(VALU_DEP_1)
	v_ldexp_f64 v[16:17], v[4:5], 0xffffffe0
	v_floor_f64_e32 v[16:17], v[16:17]
	s_delay_alu instid0(VALU_DEP_1) | instskip(SKIP_1) | instid1(VALU_DEP_2)
	v_fmamk_f64 v[18:19], v[16:17], 0xc1f00000, v[4:5]
	v_cvt_i32_f64_e32 v5, v[16:17]
	v_cvt_u32_f64_e32 v4, v[18:19]
	s_branch .LBB31_778
.LBB31_774:
	s_mov_b32 s35, -1
                                        ; implicit-def: $vgpr4_vgpr5
	s_branch .LBB31_796
.LBB31_775:
	s_mov_b32 s35, -1
                                        ; implicit-def: $vgpr4_vgpr5
	s_branch .LBB31_784
.LBB31_776:
	s_mov_b32 s35, -1
                                        ; implicit-def: $vgpr4_vgpr5
	s_branch .LBB31_781
.LBB31_777:
	s_mov_b32 s35, -1
                                        ; implicit-def: $vgpr4_vgpr5
.LBB31_778:
	s_delay_alu instid0(SALU_CYCLE_1)
	s_and_not1_b32 vcc_lo, exec_lo, s35
	s_cbranch_vccnz .LBB31_780
; %bb.779:
	global_load_b32 v1, v[14:15], off
	s_wait_loadcnt 0x0
	v_trunc_f32_e32 v1, v1
	s_delay_alu instid0(VALU_DEP_1) | instskip(SKIP_1) | instid1(VALU_DEP_2)
	v_mul_f32_e64 v3, 0x2f800000, |v1|
	v_ashrrev_i32_e32 v4, 31, v1
	v_floor_f32_e32 v3, v3
	s_delay_alu instid0(VALU_DEP_1) | instskip(SKIP_1) | instid1(VALU_DEP_2)
	v_fma_f32 v5, 0xcf800000, v3, |v1|
	v_cvt_u32_f32_e32 v1, v3
	v_cvt_u32_f32_e32 v3, v5
	s_delay_alu instid0(VALU_DEP_2) | instskip(NEXT) | instid1(VALU_DEP_2)
	v_dual_mov_b32 v5, v4 :: v_dual_bitop2_b32 v17, v1, v4 bitop3:0x14
	v_xor_b32_e32 v16, v3, v4
	s_delay_alu instid0(VALU_DEP_1)
	v_sub_nc_u64_e32 v[4:5], v[16:17], v[4:5]
.LBB31_780:
	s_mov_b32 s35, 0
.LBB31_781:
	s_delay_alu instid0(SALU_CYCLE_1)
	s_and_not1_b32 vcc_lo, exec_lo, s35
	s_cbranch_vccnz .LBB31_783
; %bb.782:
	global_load_b32 v1, v[14:15], off
	s_wait_loadcnt 0x0
	v_cvt_f32_f16_e32 v1, v1
	s_delay_alu instid0(VALU_DEP_1) | instskip(NEXT) | instid1(VALU_DEP_1)
	v_cvt_i32_f32_e32 v4, v1
	v_ashrrev_i32_e32 v5, 31, v4
.LBB31_783:
	s_mov_b32 s35, 0
.LBB31_784:
	s_delay_alu instid0(SALU_CYCLE_1)
	s_and_not1_b32 vcc_lo, exec_lo, s35
	s_cbranch_vccnz .LBB31_795
; %bb.785:
	s_cmp_lt_i32 s0, 6
	s_cbranch_scc1 .LBB31_788
; %bb.786:
	s_cmp_gt_i32 s0, 6
	s_cbranch_scc0 .LBB31_789
; %bb.787:
	s_wait_loadcnt 0x0
	global_load_b64 v[4:5], v[14:15], off
	s_mov_b32 s35, 0
	s_wait_loadcnt 0x0
	v_trunc_f64_e32 v[4:5], v[4:5]
	s_delay_alu instid0(VALU_DEP_1) | instskip(NEXT) | instid1(VALU_DEP_1)
	v_ldexp_f64 v[16:17], v[4:5], 0xffffffe0
	v_floor_f64_e32 v[16:17], v[16:17]
	s_delay_alu instid0(VALU_DEP_1) | instskip(SKIP_1) | instid1(VALU_DEP_2)
	v_fmamk_f64 v[18:19], v[16:17], 0xc1f00000, v[4:5]
	v_cvt_i32_f64_e32 v5, v[16:17]
	v_cvt_u32_f64_e32 v4, v[18:19]
	s_branch .LBB31_790
.LBB31_788:
	s_mov_b32 s35, -1
                                        ; implicit-def: $vgpr4_vgpr5
	s_branch .LBB31_793
.LBB31_789:
	s_mov_b32 s35, -1
                                        ; implicit-def: $vgpr4_vgpr5
.LBB31_790:
	s_delay_alu instid0(SALU_CYCLE_1)
	s_and_not1_b32 vcc_lo, exec_lo, s35
	s_cbranch_vccnz .LBB31_792
; %bb.791:
	global_load_b32 v1, v[14:15], off
	s_wait_loadcnt 0x0
	v_trunc_f32_e32 v1, v1
	s_delay_alu instid0(VALU_DEP_1) | instskip(SKIP_1) | instid1(VALU_DEP_2)
	v_mul_f32_e64 v3, 0x2f800000, |v1|
	v_ashrrev_i32_e32 v4, 31, v1
	v_floor_f32_e32 v3, v3
	s_delay_alu instid0(VALU_DEP_1) | instskip(SKIP_1) | instid1(VALU_DEP_2)
	v_fma_f32 v5, 0xcf800000, v3, |v1|
	v_cvt_u32_f32_e32 v1, v3
	v_cvt_u32_f32_e32 v3, v5
	s_delay_alu instid0(VALU_DEP_2) | instskip(NEXT) | instid1(VALU_DEP_2)
	v_dual_mov_b32 v5, v4 :: v_dual_bitop2_b32 v17, v1, v4 bitop3:0x14
	v_xor_b32_e32 v16, v3, v4
	s_delay_alu instid0(VALU_DEP_1)
	v_sub_nc_u64_e32 v[4:5], v[16:17], v[4:5]
.LBB31_792:
	s_mov_b32 s35, 0
.LBB31_793:
	s_delay_alu instid0(SALU_CYCLE_1)
	s_and_not1_b32 vcc_lo, exec_lo, s35
	s_cbranch_vccnz .LBB31_795
; %bb.794:
	global_load_u16 v1, v[14:15], off
	s_wait_loadcnt 0x0
	v_cvt_f32_f16_e32 v1, v1
	s_delay_alu instid0(VALU_DEP_1) | instskip(NEXT) | instid1(VALU_DEP_1)
	v_cvt_i32_f32_e32 v4, v1
	v_ashrrev_i32_e32 v5, 31, v4
.LBB31_795:
	s_mov_b32 s35, 0
.LBB31_796:
	s_delay_alu instid0(SALU_CYCLE_1)
	s_and_not1_b32 vcc_lo, exec_lo, s35
	s_cbranch_vccnz .LBB31_816
; %bb.797:
	s_cmp_lt_i32 s0, 2
	s_cbranch_scc1 .LBB31_801
; %bb.798:
	s_cmp_lt_i32 s0, 3
	s_cbranch_scc1 .LBB31_802
; %bb.799:
	s_cmp_gt_i32 s0, 3
	s_cbranch_scc0 .LBB31_803
; %bb.800:
	s_wait_loadcnt 0x0
	global_load_b64 v[4:5], v[14:15], off
	s_mov_b32 s35, 0
	s_branch .LBB31_804
.LBB31_801:
	s_mov_b32 s35, -1
                                        ; implicit-def: $vgpr4_vgpr5
	s_branch .LBB31_810
.LBB31_802:
	s_mov_b32 s35, -1
                                        ; implicit-def: $vgpr4_vgpr5
	s_branch .LBB31_807
.LBB31_803:
	s_mov_b32 s35, -1
                                        ; implicit-def: $vgpr4_vgpr5
.LBB31_804:
	s_delay_alu instid0(SALU_CYCLE_1)
	s_and_not1_b32 vcc_lo, exec_lo, s35
	s_cbranch_vccnz .LBB31_806
; %bb.805:
	s_wait_loadcnt 0x0
	global_load_b32 v4, v[14:15], off
	s_wait_loadcnt 0x0
	v_ashrrev_i32_e32 v5, 31, v4
.LBB31_806:
	s_mov_b32 s35, 0
.LBB31_807:
	s_delay_alu instid0(SALU_CYCLE_1)
	s_and_not1_b32 vcc_lo, exec_lo, s35
	s_cbranch_vccnz .LBB31_809
; %bb.808:
	global_load_u16 v1, v[14:15], off
	s_wait_loadcnt 0x0
	v_bfe_i32 v4, v1, 0, 16
	s_delay_alu instid0(VALU_DEP_1)
	v_ashrrev_i32_e32 v5, 31, v4
.LBB31_809:
	s_mov_b32 s35, 0
.LBB31_810:
	s_delay_alu instid0(SALU_CYCLE_1)
	s_and_not1_b32 vcc_lo, exec_lo, s35
	s_cbranch_vccnz .LBB31_816
; %bb.811:
	s_cmp_gt_i32 s0, 0
	s_mov_b32 s0, 0
	s_cbranch_scc0 .LBB31_813
; %bb.812:
	global_load_i8 v1, v[14:15], off
	s_wait_loadcnt 0x0
	v_bfe_i32 v4, v1, 0, 16
	s_delay_alu instid0(VALU_DEP_1)
	v_ashrrev_i32_e32 v5, 31, v4
	s_branch .LBB31_814
.LBB31_813:
	s_mov_b32 s0, -1
                                        ; implicit-def: $vgpr4_vgpr5
.LBB31_814:
	s_delay_alu instid0(SALU_CYCLE_1)
	s_and_not1_b32 vcc_lo, exec_lo, s0
	s_cbranch_vccnz .LBB31_816
; %bb.815:
	global_load_u8 v1, v[14:15], off
	s_mov_b32 s0, 0
	s_wait_loadcnt 0x1
	v_mov_b32_e32 v5, s0
	s_wait_loadcnt 0x0
	v_and_b32_e32 v4, 0xffff, v1
.LBB31_816:
	s_branch .LBB31_676
.LBB31_817:
	s_mov_b32 s0, 0
	s_mov_b32 s35, s64
	;; [unrolled: 1-line block ×10, first 2 shown]
	s_branch .LBB31_1324
.LBB31_818:
	s_mov_b32 s54, -1
	s_mov_b32 s42, 0
	s_mov_b32 s55, 0
	s_branch .LBB31_1914
.LBB31_819:
	s_mov_b32 s90, -1
	s_mov_b32 s40, 0
.LBB31_820:
                                        ; implicit-def: $vgpr8_vgpr9
.LBB31_821:
	s_and_b32 vcc_lo, exec_lo, s41
	s_cbranch_vccz .LBB31_825
; %bb.822:
	s_cmp_eq_u32 s35, 44
	s_cbranch_scc0 .LBB31_824
; %bb.823:
	global_load_u8 v1, v[14:15], off
	s_mov_b32 s90, 0
	s_mov_b32 s40, -1
	s_wait_loadcnt 0x0
	v_lshlrev_b32_e32 v3, 23, v1
	v_cmp_ne_u32_e32 vcc_lo, 0, v1
	s_delay_alu instid0(VALU_DEP_2) | instskip(NEXT) | instid1(VALU_DEP_1)
	v_trunc_f32_e32 v3, v3
	v_mul_f32_e64 v7, 0x2f800000, |v3|
	v_ashrrev_i32_e32 v8, 31, v3
	s_delay_alu instid0(VALU_DEP_2) | instskip(NEXT) | instid1(VALU_DEP_1)
	v_floor_f32_e32 v7, v7
	v_fma_f32 v9, 0xcf800000, v7, |v3|
	v_cvt_u32_f32_e32 v3, v7
	s_delay_alu instid0(VALU_DEP_2) | instskip(NEXT) | instid1(VALU_DEP_2)
	v_cvt_u32_f32_e32 v7, v9
	v_dual_mov_b32 v9, v8 :: v_dual_bitop2_b32 v17, v3, v8 bitop3:0x14
	s_delay_alu instid0(VALU_DEP_2) | instskip(NEXT) | instid1(VALU_DEP_1)
	v_xor_b32_e32 v16, v7, v8
	v_sub_nc_u64_e32 v[8:9], v[16:17], v[8:9]
	s_delay_alu instid0(VALU_DEP_1)
	v_dual_cndmask_b32 v9, 0, v9 :: v_dual_cndmask_b32 v8, 0, v8
	s_branch .LBB31_825
.LBB31_824:
	s_mov_b32 s90, -1
                                        ; implicit-def: $vgpr8_vgpr9
.LBB31_825:
	s_mov_b32 s41, 0
.LBB31_826:
	s_delay_alu instid0(SALU_CYCLE_1)
	s_and_b32 vcc_lo, exec_lo, s41
	s_cbranch_vccz .LBB31_830
; %bb.827:
	s_cmp_eq_u32 s35, 29
	s_cbranch_scc0 .LBB31_829
; %bb.828:
	global_load_b64 v[8:9], v[14:15], off
	s_mov_b32 s40, -1
	s_mov_b32 s90, 0
	s_branch .LBB31_830
.LBB31_829:
	s_mov_b32 s90, -1
                                        ; implicit-def: $vgpr8_vgpr9
.LBB31_830:
	s_mov_b32 s41, 0
.LBB31_831:
	s_delay_alu instid0(SALU_CYCLE_1)
	s_and_b32 vcc_lo, exec_lo, s41
	s_cbranch_vccz .LBB31_847
; %bb.832:
	s_cmp_lt_i32 s35, 27
	s_cbranch_scc1 .LBB31_835
; %bb.833:
	s_cmp_gt_i32 s35, 27
	s_cbranch_scc0 .LBB31_836
; %bb.834:
	s_wait_loadcnt 0x0
	global_load_b32 v8, v[14:15], off
	v_mov_b32_e32 v9, 0
	s_mov_b32 s40, 0
	s_branch .LBB31_837
.LBB31_835:
	s_mov_b32 s40, -1
                                        ; implicit-def: $vgpr8_vgpr9
	s_branch .LBB31_840
.LBB31_836:
	s_mov_b32 s40, -1
                                        ; implicit-def: $vgpr8_vgpr9
.LBB31_837:
	s_delay_alu instid0(SALU_CYCLE_1)
	s_and_not1_b32 vcc_lo, exec_lo, s40
	s_cbranch_vccnz .LBB31_839
; %bb.838:
	global_load_u16 v1, v[14:15], off
	s_mov_b32 s20, 0
	s_wait_loadcnt 0x1
	v_mov_b32_e32 v9, s20
	s_wait_loadcnt 0x0
	v_and_b32_e32 v8, 0xffff, v1
.LBB31_839:
	s_mov_b32 s40, 0
.LBB31_840:
	s_delay_alu instid0(SALU_CYCLE_1)
	s_and_not1_b32 vcc_lo, exec_lo, s40
	s_cbranch_vccnz .LBB31_846
; %bb.841:
	global_load_u8 v1, v[14:15], off
	s_mov_b32 s41, 0
	s_mov_b32 s20, exec_lo
	s_wait_loadcnt 0x0
	v_cmpx_lt_i16_e32 0x7f, v1
	s_xor_b32 s40, exec_lo, s20
	s_cbranch_execz .LBB31_858
; %bb.842:
	v_cmp_ne_u16_e32 vcc_lo, 0x80, v1
	s_and_b32 s41, vcc_lo, exec_lo
	s_and_not1_saveexec_b32 s40, s40
	s_cbranch_execnz .LBB31_859
.LBB31_843:
	s_or_b32 exec_lo, exec_lo, s40
	v_mov_b64_e32 v[8:9], 0
	s_and_saveexec_b32 s40, s41
	s_cbranch_execz .LBB31_845
.LBB31_844:
	v_and_b32_e32 v3, 0xffff, v1
	s_delay_alu instid0(VALU_DEP_1) | instskip(SKIP_1) | instid1(VALU_DEP_2)
	v_and_b32_e32 v7, 7, v3
	v_bfe_u32 v11, v3, 3, 4
	v_clz_i32_u32_e32 v8, v7
	s_delay_alu instid0(VALU_DEP_2) | instskip(NEXT) | instid1(VALU_DEP_2)
	v_cmp_eq_u32_e32 vcc_lo, 0, v11
	v_min_u32_e32 v8, 32, v8
	s_delay_alu instid0(VALU_DEP_1) | instskip(NEXT) | instid1(VALU_DEP_1)
	v_subrev_nc_u32_e32 v9, 28, v8
	v_dual_lshlrev_b32 v3, v9, v3 :: v_dual_sub_nc_u32 v8, 29, v8
	s_delay_alu instid0(VALU_DEP_1) | instskip(NEXT) | instid1(VALU_DEP_2)
	v_dual_lshlrev_b32 v1, 24, v1 :: v_dual_bitop2_b32 v3, 7, v3 bitop3:0x40
	v_cndmask_b32_e32 v8, v11, v8, vcc_lo
	s_delay_alu instid0(VALU_DEP_2) | instskip(NEXT) | instid1(VALU_DEP_3)
	v_cndmask_b32_e32 v3, v7, v3, vcc_lo
	v_and_b32_e32 v1, 0x80000000, v1
	s_delay_alu instid0(VALU_DEP_3) | instskip(NEXT) | instid1(VALU_DEP_3)
	v_lshl_add_u32 v7, v8, 23, 0x3b800000
	v_lshlrev_b32_e32 v3, 20, v3
	s_delay_alu instid0(VALU_DEP_1) | instskip(NEXT) | instid1(VALU_DEP_1)
	v_or3_b32 v1, v1, v7, v3
	v_trunc_f32_e32 v1, v1
	s_delay_alu instid0(VALU_DEP_1) | instskip(SKIP_1) | instid1(VALU_DEP_2)
	v_mul_f32_e64 v3, 0x2f800000, |v1|
	v_ashrrev_i32_e32 v8, 31, v1
	v_floor_f32_e32 v3, v3
	s_delay_alu instid0(VALU_DEP_2) | instskip(NEXT) | instid1(VALU_DEP_2)
	v_mov_b32_e32 v9, v8
	v_fma_f32 v7, 0xcf800000, v3, |v1|
	v_cvt_u32_f32_e32 v1, v3
	s_delay_alu instid0(VALU_DEP_2) | instskip(NEXT) | instid1(VALU_DEP_2)
	v_cvt_u32_f32_e32 v3, v7
	v_xor_b32_e32 v17, v1, v8
	s_delay_alu instid0(VALU_DEP_2) | instskip(NEXT) | instid1(VALU_DEP_1)
	v_xor_b32_e32 v16, v3, v8
	v_sub_nc_u64_e32 v[8:9], v[16:17], v[8:9]
.LBB31_845:
	s_or_b32 exec_lo, exec_lo, s40
.LBB31_846:
	s_mov_b32 s40, -1
.LBB31_847:
	s_mov_b32 s41, 0
.LBB31_848:
	s_delay_alu instid0(SALU_CYCLE_1)
	s_and_b32 vcc_lo, exec_lo, s41
	s_cbranch_vccz .LBB31_881
; %bb.849:
	s_cmp_gt_i32 s35, 22
	s_cbranch_scc0 .LBB31_857
; %bb.850:
	s_cmp_lt_i32 s35, 24
	s_cbranch_scc1 .LBB31_860
; %bb.851:
	s_cmp_gt_i32 s35, 24
	s_cbranch_scc0 .LBB31_861
; %bb.852:
	global_load_u8 v1, v[14:15], off
	s_mov_b32 s41, 0
	s_mov_b32 s20, exec_lo
	s_wait_loadcnt 0x0
	v_cmpx_lt_i16_e32 0x7f, v1
	s_xor_b32 s40, exec_lo, s20
	s_cbranch_execz .LBB31_873
; %bb.853:
	v_cmp_ne_u16_e32 vcc_lo, 0x80, v1
	s_and_b32 s41, vcc_lo, exec_lo
	s_and_not1_saveexec_b32 s40, s40
	s_cbranch_execnz .LBB31_874
.LBB31_854:
	s_or_b32 exec_lo, exec_lo, s40
	v_mov_b64_e32 v[8:9], 0
	s_and_saveexec_b32 s40, s41
	s_cbranch_execz .LBB31_856
.LBB31_855:
	v_and_b32_e32 v3, 0xffff, v1
	s_delay_alu instid0(VALU_DEP_1) | instskip(SKIP_1) | instid1(VALU_DEP_2)
	v_and_b32_e32 v7, 3, v3
	v_bfe_u32 v11, v3, 2, 5
	v_clz_i32_u32_e32 v8, v7
	s_delay_alu instid0(VALU_DEP_2) | instskip(NEXT) | instid1(VALU_DEP_2)
	v_cmp_eq_u32_e32 vcc_lo, 0, v11
	v_min_u32_e32 v8, 32, v8
	s_delay_alu instid0(VALU_DEP_1) | instskip(NEXT) | instid1(VALU_DEP_1)
	v_subrev_nc_u32_e32 v9, 29, v8
	v_dual_lshlrev_b32 v3, v9, v3 :: v_dual_sub_nc_u32 v8, 30, v8
	s_delay_alu instid0(VALU_DEP_1) | instskip(NEXT) | instid1(VALU_DEP_2)
	v_dual_lshlrev_b32 v1, 24, v1 :: v_dual_bitop2_b32 v3, 3, v3 bitop3:0x40
	v_cndmask_b32_e32 v8, v11, v8, vcc_lo
	s_delay_alu instid0(VALU_DEP_2) | instskip(NEXT) | instid1(VALU_DEP_3)
	v_cndmask_b32_e32 v3, v7, v3, vcc_lo
	v_and_b32_e32 v1, 0x80000000, v1
	s_delay_alu instid0(VALU_DEP_3) | instskip(NEXT) | instid1(VALU_DEP_3)
	v_lshl_add_u32 v7, v8, 23, 0x37800000
	v_lshlrev_b32_e32 v3, 21, v3
	s_delay_alu instid0(VALU_DEP_1) | instskip(NEXT) | instid1(VALU_DEP_1)
	v_or3_b32 v1, v1, v7, v3
	v_trunc_f32_e32 v1, v1
	s_delay_alu instid0(VALU_DEP_1) | instskip(SKIP_1) | instid1(VALU_DEP_2)
	v_mul_f32_e64 v3, 0x2f800000, |v1|
	v_ashrrev_i32_e32 v8, 31, v1
	v_floor_f32_e32 v3, v3
	s_delay_alu instid0(VALU_DEP_2) | instskip(NEXT) | instid1(VALU_DEP_2)
	v_mov_b32_e32 v9, v8
	v_fma_f32 v7, 0xcf800000, v3, |v1|
	v_cvt_u32_f32_e32 v1, v3
	s_delay_alu instid0(VALU_DEP_2) | instskip(NEXT) | instid1(VALU_DEP_2)
	v_cvt_u32_f32_e32 v3, v7
	v_xor_b32_e32 v17, v1, v8
	s_delay_alu instid0(VALU_DEP_2) | instskip(NEXT) | instid1(VALU_DEP_1)
	v_xor_b32_e32 v16, v3, v8
	v_sub_nc_u64_e32 v[8:9], v[16:17], v[8:9]
.LBB31_856:
	s_or_b32 exec_lo, exec_lo, s40
	s_mov_b32 s40, 0
	s_branch .LBB31_862
.LBB31_857:
	s_mov_b32 s41, -1
                                        ; implicit-def: $vgpr8_vgpr9
	s_branch .LBB31_868
.LBB31_858:
	s_and_not1_saveexec_b32 s40, s40
	s_cbranch_execz .LBB31_843
.LBB31_859:
	v_cmp_ne_u16_e32 vcc_lo, 0, v1
	s_and_not1_b32 s20, s41, exec_lo
	s_and_b32 s21, vcc_lo, exec_lo
	s_delay_alu instid0(SALU_CYCLE_1)
	s_or_b32 s41, s20, s21
	s_or_b32 exec_lo, exec_lo, s40
	v_mov_b64_e32 v[8:9], 0
	s_and_saveexec_b32 s40, s41
	s_cbranch_execnz .LBB31_844
	s_branch .LBB31_845
.LBB31_860:
	s_mov_b32 s40, -1
                                        ; implicit-def: $vgpr8_vgpr9
	s_branch .LBB31_865
.LBB31_861:
	s_mov_b32 s40, -1
                                        ; implicit-def: $vgpr8_vgpr9
.LBB31_862:
	s_delay_alu instid0(SALU_CYCLE_1)
	s_and_b32 vcc_lo, exec_lo, s40
	s_cbranch_vccz .LBB31_864
; %bb.863:
	global_load_u8 v1, v[14:15], off
	s_wait_loadcnt 0x0
	v_lshlrev_b32_e32 v1, 24, v1
	s_delay_alu instid0(VALU_DEP_1) | instskip(NEXT) | instid1(VALU_DEP_1)
	v_and_b32_e32 v3, 0x7f000000, v1
	v_clz_i32_u32_e32 v7, v3
	v_add_nc_u32_e32 v9, 0x1000000, v3
	v_cmp_ne_u32_e32 vcc_lo, 0, v3
	s_delay_alu instid0(VALU_DEP_3) | instskip(NEXT) | instid1(VALU_DEP_1)
	v_min_u32_e32 v7, 32, v7
	v_sub_nc_u32_e64 v7, v7, 4 clamp
	s_delay_alu instid0(VALU_DEP_1) | instskip(NEXT) | instid1(VALU_DEP_1)
	v_lshlrev_b32_e32 v8, v7, v3
	v_dual_lshlrev_b32 v7, 23, v7 :: v_dual_lshrrev_b32 v8, 4, v8
	s_delay_alu instid0(VALU_DEP_1) | instskip(NEXT) | instid1(VALU_DEP_1)
	v_dual_sub_nc_u32 v7, v8, v7 :: v_dual_ashrrev_i32 v8, 8, v9
	v_add_nc_u32_e32 v7, 0x3c000000, v7
	s_delay_alu instid0(VALU_DEP_1) | instskip(NEXT) | instid1(VALU_DEP_1)
	v_and_or_b32 v7, 0x7f800000, v8, v7
	v_cndmask_b32_e32 v3, 0, v7, vcc_lo
	s_delay_alu instid0(VALU_DEP_1) | instskip(NEXT) | instid1(VALU_DEP_1)
	v_and_or_b32 v1, 0x80000000, v1, v3
	v_trunc_f32_e32 v1, v1
	s_delay_alu instid0(VALU_DEP_1) | instskip(SKIP_1) | instid1(VALU_DEP_2)
	v_mul_f32_e64 v3, 0x2f800000, |v1|
	v_ashrrev_i32_e32 v8, 31, v1
	v_floor_f32_e32 v3, v3
	s_delay_alu instid0(VALU_DEP_1) | instskip(SKIP_1) | instid1(VALU_DEP_4)
	v_fma_f32 v7, 0xcf800000, v3, |v1|
	v_cvt_u32_f32_e32 v1, v3
	v_mov_b32_e32 v9, v8
	s_delay_alu instid0(VALU_DEP_3) | instskip(NEXT) | instid1(VALU_DEP_3)
	v_cvt_u32_f32_e32 v3, v7
	v_xor_b32_e32 v17, v1, v8
	s_delay_alu instid0(VALU_DEP_2) | instskip(NEXT) | instid1(VALU_DEP_1)
	v_xor_b32_e32 v16, v3, v8
	v_sub_nc_u64_e32 v[8:9], v[16:17], v[8:9]
.LBB31_864:
	s_mov_b32 s40, 0
.LBB31_865:
	s_delay_alu instid0(SALU_CYCLE_1)
	s_and_not1_b32 vcc_lo, exec_lo, s40
	s_cbranch_vccnz .LBB31_867
; %bb.866:
	global_load_u8 v1, v[14:15], off
	s_wait_loadcnt 0x0
	v_lshlrev_b32_e32 v3, 25, v1
	v_lshlrev_b16 v1, 8, v1
	s_delay_alu instid0(VALU_DEP_1) | instskip(SKIP_1) | instid1(VALU_DEP_2)
	v_and_or_b32 v8, 0x7f00, v1, 0.5
	v_bfe_i32 v1, v1, 0, 16
	v_dual_add_f32 v8, -0.5, v8 :: v_dual_lshrrev_b32 v7, 4, v3
	v_cmp_gt_u32_e32 vcc_lo, 0x8000000, v3
	s_delay_alu instid0(VALU_DEP_2) | instskip(NEXT) | instid1(VALU_DEP_1)
	v_or_b32_e32 v7, 0x70000000, v7
	v_mul_f32_e32 v7, 0x7800000, v7
	s_delay_alu instid0(VALU_DEP_1) | instskip(NEXT) | instid1(VALU_DEP_1)
	v_cndmask_b32_e32 v3, v7, v8, vcc_lo
	v_and_or_b32 v1, 0x80000000, v1, v3
	s_delay_alu instid0(VALU_DEP_1) | instskip(NEXT) | instid1(VALU_DEP_1)
	v_trunc_f32_e32 v1, v1
	v_mul_f32_e64 v3, 0x2f800000, |v1|
	v_ashrrev_i32_e32 v8, 31, v1
	s_delay_alu instid0(VALU_DEP_2) | instskip(NEXT) | instid1(VALU_DEP_2)
	v_floor_f32_e32 v3, v3
	v_mov_b32_e32 v9, v8
	s_delay_alu instid0(VALU_DEP_2) | instskip(SKIP_1) | instid1(VALU_DEP_2)
	v_fma_f32 v7, 0xcf800000, v3, |v1|
	v_cvt_u32_f32_e32 v1, v3
	v_cvt_u32_f32_e32 v3, v7
	s_delay_alu instid0(VALU_DEP_2) | instskip(NEXT) | instid1(VALU_DEP_2)
	v_xor_b32_e32 v17, v1, v8
	v_xor_b32_e32 v16, v3, v8
	s_delay_alu instid0(VALU_DEP_1)
	v_sub_nc_u64_e32 v[8:9], v[16:17], v[8:9]
.LBB31_867:
	s_mov_b32 s41, 0
	s_mov_b32 s40, -1
.LBB31_868:
	s_and_not1_b32 vcc_lo, exec_lo, s41
	s_cbranch_vccnz .LBB31_881
; %bb.869:
	s_cmp_gt_i32 s35, 14
	s_cbranch_scc0 .LBB31_872
; %bb.870:
	s_cmp_eq_u32 s35, 15
	s_cbranch_scc0 .LBB31_875
; %bb.871:
	global_load_u16 v1, v[14:15], off
	s_mov_b32 s40, -1
	s_mov_b32 s90, 0
	s_wait_loadcnt 0x0
	v_lshlrev_b32_e32 v1, 16, v1
	s_delay_alu instid0(VALU_DEP_1) | instskip(NEXT) | instid1(VALU_DEP_1)
	v_trunc_f32_e32 v1, v1
	v_mul_f32_e64 v3, 0x2f800000, |v1|
	v_ashrrev_i32_e32 v8, 31, v1
	s_delay_alu instid0(VALU_DEP_2) | instskip(NEXT) | instid1(VALU_DEP_2)
	v_floor_f32_e32 v3, v3
	v_mov_b32_e32 v9, v8
	s_delay_alu instid0(VALU_DEP_2) | instskip(SKIP_1) | instid1(VALU_DEP_2)
	v_fma_f32 v7, 0xcf800000, v3, |v1|
	v_cvt_u32_f32_e32 v1, v3
	v_cvt_u32_f32_e32 v3, v7
	s_delay_alu instid0(VALU_DEP_2) | instskip(NEXT) | instid1(VALU_DEP_2)
	v_xor_b32_e32 v17, v1, v8
	v_xor_b32_e32 v16, v3, v8
	s_delay_alu instid0(VALU_DEP_1)
	v_sub_nc_u64_e32 v[8:9], v[16:17], v[8:9]
	s_branch .LBB31_876
.LBB31_872:
	s_mov_b32 s41, -1
                                        ; implicit-def: $vgpr8_vgpr9
	s_branch .LBB31_877
.LBB31_873:
	s_and_not1_saveexec_b32 s40, s40
	s_cbranch_execz .LBB31_854
.LBB31_874:
	v_cmp_ne_u16_e32 vcc_lo, 0, v1
	s_and_not1_b32 s20, s41, exec_lo
	s_and_b32 s21, vcc_lo, exec_lo
	s_delay_alu instid0(SALU_CYCLE_1)
	s_or_b32 s41, s20, s21
	s_or_b32 exec_lo, exec_lo, s40
	v_mov_b64_e32 v[8:9], 0
	s_and_saveexec_b32 s40, s41
	s_cbranch_execnz .LBB31_855
	s_branch .LBB31_856
.LBB31_875:
	s_mov_b32 s90, -1
                                        ; implicit-def: $vgpr8_vgpr9
.LBB31_876:
	s_mov_b32 s41, 0
.LBB31_877:
	s_delay_alu instid0(SALU_CYCLE_1)
	s_and_b32 vcc_lo, exec_lo, s41
	s_cbranch_vccz .LBB31_881
; %bb.878:
	s_cmp_eq_u32 s35, 11
	s_cbranch_scc0 .LBB31_880
; %bb.879:
	global_load_u8 v1, v[14:15], off
	s_mov_b32 s90, 0
	s_mov_b32 s40, -1
	s_wait_loadcnt 0x1
	v_mov_b32_e32 v9, s90
	s_wait_loadcnt 0x0
	v_cmp_ne_u16_e32 vcc_lo, 0, v1
	v_cndmask_b32_e64 v8, 0, 1, vcc_lo
	s_branch .LBB31_881
.LBB31_880:
	s_mov_b32 s90, -1
                                        ; implicit-def: $vgpr8_vgpr9
.LBB31_881:
	s_mov_b32 s35, 0
.LBB31_882:
	s_delay_alu instid0(SALU_CYCLE_1)
	s_and_b32 vcc_lo, exec_lo, s35
	s_cbranch_vccz .LBB31_931
; %bb.883:
	s_and_b32 s0, 0xffff, s0
	s_delay_alu instid0(SALU_CYCLE_1)
	s_cmp_lt_i32 s0, 5
	s_cbranch_scc1 .LBB31_888
; %bb.884:
	s_cmp_lt_i32 s0, 8
	s_cbranch_scc1 .LBB31_889
; %bb.885:
	;; [unrolled: 3-line block ×3, first 2 shown]
	s_cmp_gt_i32 s0, 9
	s_cbranch_scc0 .LBB31_891
; %bb.887:
	s_wait_loadcnt 0x0
	global_load_b64 v[8:9], v[14:15], off
	s_mov_b32 s35, 0
	s_wait_loadcnt 0x0
	v_trunc_f64_e32 v[8:9], v[8:9]
	s_delay_alu instid0(VALU_DEP_1) | instskip(NEXT) | instid1(VALU_DEP_1)
	v_ldexp_f64 v[16:17], v[8:9], 0xffffffe0
	v_floor_f64_e32 v[16:17], v[16:17]
	s_delay_alu instid0(VALU_DEP_1) | instskip(SKIP_1) | instid1(VALU_DEP_2)
	v_fmamk_f64 v[18:19], v[16:17], 0xc1f00000, v[8:9]
	v_cvt_i32_f64_e32 v9, v[16:17]
	v_cvt_u32_f64_e32 v8, v[18:19]
	s_branch .LBB31_892
.LBB31_888:
	s_mov_b32 s35, -1
                                        ; implicit-def: $vgpr8_vgpr9
	s_branch .LBB31_910
.LBB31_889:
	s_mov_b32 s35, -1
                                        ; implicit-def: $vgpr8_vgpr9
	s_branch .LBB31_898
.LBB31_890:
	s_mov_b32 s35, -1
                                        ; implicit-def: $vgpr8_vgpr9
	s_branch .LBB31_895
.LBB31_891:
	s_mov_b32 s35, -1
                                        ; implicit-def: $vgpr8_vgpr9
.LBB31_892:
	s_delay_alu instid0(SALU_CYCLE_1)
	s_and_not1_b32 vcc_lo, exec_lo, s35
	s_cbranch_vccnz .LBB31_894
; %bb.893:
	global_load_b32 v1, v[14:15], off
	s_wait_loadcnt 0x0
	v_trunc_f32_e32 v1, v1
	s_delay_alu instid0(VALU_DEP_1) | instskip(SKIP_1) | instid1(VALU_DEP_2)
	v_mul_f32_e64 v3, 0x2f800000, |v1|
	v_ashrrev_i32_e32 v8, 31, v1
	v_floor_f32_e32 v3, v3
	s_delay_alu instid0(VALU_DEP_1) | instskip(SKIP_1) | instid1(VALU_DEP_4)
	v_fma_f32 v7, 0xcf800000, v3, |v1|
	v_cvt_u32_f32_e32 v1, v3
	v_mov_b32_e32 v9, v8
	s_delay_alu instid0(VALU_DEP_3) | instskip(NEXT) | instid1(VALU_DEP_3)
	v_cvt_u32_f32_e32 v3, v7
	v_xor_b32_e32 v17, v1, v8
	s_delay_alu instid0(VALU_DEP_2) | instskip(NEXT) | instid1(VALU_DEP_1)
	v_xor_b32_e32 v16, v3, v8
	v_sub_nc_u64_e32 v[8:9], v[16:17], v[8:9]
.LBB31_894:
	s_mov_b32 s35, 0
.LBB31_895:
	s_delay_alu instid0(SALU_CYCLE_1)
	s_and_not1_b32 vcc_lo, exec_lo, s35
	s_cbranch_vccnz .LBB31_897
; %bb.896:
	global_load_b32 v1, v[14:15], off
	s_wait_loadcnt 0x0
	v_cvt_f32_f16_e32 v1, v1
	s_delay_alu instid0(VALU_DEP_1) | instskip(NEXT) | instid1(VALU_DEP_1)
	v_cvt_i32_f32_e32 v8, v1
	v_ashrrev_i32_e32 v9, 31, v8
.LBB31_897:
	s_mov_b32 s35, 0
.LBB31_898:
	s_delay_alu instid0(SALU_CYCLE_1)
	s_and_not1_b32 vcc_lo, exec_lo, s35
	s_cbranch_vccnz .LBB31_909
; %bb.899:
	s_cmp_lt_i32 s0, 6
	s_cbranch_scc1 .LBB31_902
; %bb.900:
	s_cmp_gt_i32 s0, 6
	s_cbranch_scc0 .LBB31_903
; %bb.901:
	s_wait_loadcnt 0x0
	global_load_b64 v[8:9], v[14:15], off
	s_mov_b32 s35, 0
	s_wait_loadcnt 0x0
	v_trunc_f64_e32 v[8:9], v[8:9]
	s_delay_alu instid0(VALU_DEP_1) | instskip(NEXT) | instid1(VALU_DEP_1)
	v_ldexp_f64 v[16:17], v[8:9], 0xffffffe0
	v_floor_f64_e32 v[16:17], v[16:17]
	s_delay_alu instid0(VALU_DEP_1) | instskip(SKIP_1) | instid1(VALU_DEP_2)
	v_fmamk_f64 v[18:19], v[16:17], 0xc1f00000, v[8:9]
	v_cvt_i32_f64_e32 v9, v[16:17]
	v_cvt_u32_f64_e32 v8, v[18:19]
	s_branch .LBB31_904
.LBB31_902:
	s_mov_b32 s35, -1
                                        ; implicit-def: $vgpr8_vgpr9
	s_branch .LBB31_907
.LBB31_903:
	s_mov_b32 s35, -1
                                        ; implicit-def: $vgpr8_vgpr9
.LBB31_904:
	s_delay_alu instid0(SALU_CYCLE_1)
	s_and_not1_b32 vcc_lo, exec_lo, s35
	s_cbranch_vccnz .LBB31_906
; %bb.905:
	global_load_b32 v1, v[14:15], off
	s_wait_loadcnt 0x0
	v_trunc_f32_e32 v1, v1
	s_delay_alu instid0(VALU_DEP_1) | instskip(SKIP_1) | instid1(VALU_DEP_2)
	v_mul_f32_e64 v3, 0x2f800000, |v1|
	v_ashrrev_i32_e32 v8, 31, v1
	v_floor_f32_e32 v3, v3
	s_delay_alu instid0(VALU_DEP_1) | instskip(SKIP_1) | instid1(VALU_DEP_4)
	v_fma_f32 v7, 0xcf800000, v3, |v1|
	v_cvt_u32_f32_e32 v1, v3
	v_mov_b32_e32 v9, v8
	s_delay_alu instid0(VALU_DEP_3) | instskip(NEXT) | instid1(VALU_DEP_3)
	v_cvt_u32_f32_e32 v3, v7
	v_xor_b32_e32 v17, v1, v8
	s_delay_alu instid0(VALU_DEP_2) | instskip(NEXT) | instid1(VALU_DEP_1)
	v_xor_b32_e32 v16, v3, v8
	v_sub_nc_u64_e32 v[8:9], v[16:17], v[8:9]
.LBB31_906:
	s_mov_b32 s35, 0
.LBB31_907:
	s_delay_alu instid0(SALU_CYCLE_1)
	s_and_not1_b32 vcc_lo, exec_lo, s35
	s_cbranch_vccnz .LBB31_909
; %bb.908:
	global_load_u16 v1, v[14:15], off
	s_wait_loadcnt 0x0
	v_cvt_f32_f16_e32 v1, v1
	s_delay_alu instid0(VALU_DEP_1) | instskip(NEXT) | instid1(VALU_DEP_1)
	v_cvt_i32_f32_e32 v8, v1
	v_ashrrev_i32_e32 v9, 31, v8
.LBB31_909:
	s_mov_b32 s35, 0
.LBB31_910:
	s_delay_alu instid0(SALU_CYCLE_1)
	s_and_not1_b32 vcc_lo, exec_lo, s35
	s_cbranch_vccnz .LBB31_930
; %bb.911:
	s_cmp_lt_i32 s0, 2
	s_cbranch_scc1 .LBB31_915
; %bb.912:
	s_cmp_lt_i32 s0, 3
	s_cbranch_scc1 .LBB31_916
; %bb.913:
	s_cmp_gt_i32 s0, 3
	s_cbranch_scc0 .LBB31_917
; %bb.914:
	s_wait_loadcnt 0x0
	global_load_b64 v[8:9], v[14:15], off
	s_mov_b32 s35, 0
	s_branch .LBB31_918
.LBB31_915:
	s_mov_b32 s35, -1
                                        ; implicit-def: $vgpr8_vgpr9
	s_branch .LBB31_924
.LBB31_916:
	s_mov_b32 s35, -1
                                        ; implicit-def: $vgpr8_vgpr9
	s_branch .LBB31_921
.LBB31_917:
	s_mov_b32 s35, -1
                                        ; implicit-def: $vgpr8_vgpr9
.LBB31_918:
	s_delay_alu instid0(SALU_CYCLE_1)
	s_and_not1_b32 vcc_lo, exec_lo, s35
	s_cbranch_vccnz .LBB31_920
; %bb.919:
	s_wait_loadcnt 0x0
	global_load_b32 v8, v[14:15], off
	s_wait_loadcnt 0x0
	v_ashrrev_i32_e32 v9, 31, v8
.LBB31_920:
	s_mov_b32 s35, 0
.LBB31_921:
	s_delay_alu instid0(SALU_CYCLE_1)
	s_and_not1_b32 vcc_lo, exec_lo, s35
	s_cbranch_vccnz .LBB31_923
; %bb.922:
	global_load_u16 v1, v[14:15], off
	s_wait_loadcnt 0x0
	v_bfe_i32 v8, v1, 0, 16
	s_delay_alu instid0(VALU_DEP_1)
	v_ashrrev_i32_e32 v9, 31, v8
.LBB31_923:
	s_mov_b32 s35, 0
.LBB31_924:
	s_delay_alu instid0(SALU_CYCLE_1)
	s_and_not1_b32 vcc_lo, exec_lo, s35
	s_cbranch_vccnz .LBB31_930
; %bb.925:
	s_cmp_gt_i32 s0, 0
	s_mov_b32 s0, 0
	s_cbranch_scc0 .LBB31_927
; %bb.926:
	global_load_i8 v1, v[14:15], off
	s_wait_loadcnt 0x0
	v_bfe_i32 v8, v1, 0, 16
	s_delay_alu instid0(VALU_DEP_1)
	v_ashrrev_i32_e32 v9, 31, v8
	s_branch .LBB31_928
.LBB31_927:
	s_mov_b32 s0, -1
                                        ; implicit-def: $vgpr8_vgpr9
.LBB31_928:
	s_delay_alu instid0(SALU_CYCLE_1)
	s_and_not1_b32 vcc_lo, exec_lo, s0
	s_cbranch_vccnz .LBB31_930
; %bb.929:
	global_load_u8 v1, v[14:15], off
	s_mov_b32 s0, 0
	s_wait_loadcnt 0x1
	v_mov_b32_e32 v9, s0
	s_wait_loadcnt 0x0
	v_and_b32_e32 v8, 0xffff, v1
.LBB31_930:
	s_mov_b32 s40, -1
.LBB31_931:
	s_delay_alu instid0(SALU_CYCLE_1)
	s_and_not1_b32 vcc_lo, exec_lo, s40
	s_cbranch_vccnz .LBB31_939
; %bb.932:
	s_load_b512 s[4:19], s[2:3], 0x248
	v_mov_b32_e32 v13, 0
	s_and_b32 s0, s28, 0xff
	s_delay_alu instid0(SALU_CYCLE_1) | instskip(SKIP_1) | instid1(VALU_DEP_1)
	s_cmp_lt_i32 s0, 11
	s_wait_kmcnt 0x0
	v_add_nc_u64_e32 v[14:15], s[10:11], v[12:13]
	s_cbranch_scc1 .LBB31_940
; %bb.933:
	s_and_b32 s35, 0xffff, s0
	s_delay_alu instid0(SALU_CYCLE_1)
	s_cmp_gt_i32 s35, 25
	s_cbranch_scc0 .LBB31_941
; %bb.934:
	s_cmp_gt_i32 s35, 28
	s_cbranch_scc0 .LBB31_942
; %bb.935:
	;; [unrolled: 3-line block ×4, first 2 shown]
	s_cmp_eq_u32 s35, 46
	s_mov_b32 s41, 0
	s_cbranch_scc0 .LBB31_946
; %bb.938:
	global_load_b32 v1, v[14:15], off
	s_mov_b32 s40, -1
	s_mov_b32 s89, 0
	s_wait_loadcnt 0x0
	v_lshlrev_b32_e32 v1, 16, v1
	s_delay_alu instid0(VALU_DEP_1) | instskip(NEXT) | instid1(VALU_DEP_1)
	v_trunc_f32_e32 v1, v1
	v_mul_f32_e64 v3, 0x2f800000, |v1|
	v_ashrrev_i32_e32 v12, 31, v1
	s_delay_alu instid0(VALU_DEP_2) | instskip(NEXT) | instid1(VALU_DEP_2)
	v_floor_f32_e32 v3, v3
	v_mov_b32_e32 v13, v12
	s_delay_alu instid0(VALU_DEP_2) | instskip(SKIP_1) | instid1(VALU_DEP_2)
	v_fma_f32 v7, 0xcf800000, v3, |v1|
	v_cvt_u32_f32_e32 v1, v3
	v_cvt_u32_f32_e32 v3, v7
	s_delay_alu instid0(VALU_DEP_2) | instskip(NEXT) | instid1(VALU_DEP_2)
	v_xor_b32_e32 v17, v1, v12
	v_xor_b32_e32 v16, v3, v12
	s_delay_alu instid0(VALU_DEP_1)
	v_sub_nc_u64_e32 v[12:13], v[16:17], v[12:13]
	s_branch .LBB31_948
.LBB31_939:
	s_mov_b32 s0, 0
	s_mov_b32 s35, s64
	;; [unrolled: 1-line block ×9, first 2 shown]
	s_branch .LBB31_1324
.LBB31_940:
	s_mov_b32 s35, -1
	s_mov_b32 s40, 0
	s_mov_b32 s89, s84
                                        ; implicit-def: $vgpr12_vgpr13
	s_branch .LBB31_1009
.LBB31_941:
	s_mov_b32 s41, -1
	s_mov_b32 s40, 0
	s_mov_b32 s89, s84
                                        ; implicit-def: $vgpr12_vgpr13
	s_branch .LBB31_975
.LBB31_942:
	s_mov_b32 s41, -1
	s_mov_b32 s40, 0
	s_mov_b32 s89, s84
                                        ; implicit-def: $vgpr12_vgpr13
	s_branch .LBB31_958
.LBB31_943:
	s_mov_b32 s41, -1
	s_mov_b32 s40, 0
	s_mov_b32 s89, s84
                                        ; implicit-def: $vgpr12_vgpr13
	s_branch .LBB31_953
.LBB31_944:
	s_mov_b32 s41, -1
	s_mov_b32 s40, 0
	s_mov_b32 s89, s84
	s_branch .LBB31_947
.LBB31_945:
	s_mov_b32 s56, -1
	s_mov_b32 s42, 0
	s_mov_b32 s55, 0
	s_branch .LBB31_1894
.LBB31_946:
	s_mov_b32 s89, -1
	s_mov_b32 s40, 0
.LBB31_947:
                                        ; implicit-def: $vgpr12_vgpr13
.LBB31_948:
	s_and_b32 vcc_lo, exec_lo, s41
	s_cbranch_vccz .LBB31_952
; %bb.949:
	s_cmp_eq_u32 s35, 44
	s_cbranch_scc0 .LBB31_951
; %bb.950:
	global_load_u8 v1, v[14:15], off
	s_mov_b32 s89, 0
	s_mov_b32 s40, -1
	s_wait_loadcnt 0x0
	v_lshlrev_b32_e32 v3, 23, v1
	v_cmp_ne_u32_e32 vcc_lo, 0, v1
	s_delay_alu instid0(VALU_DEP_2) | instskip(NEXT) | instid1(VALU_DEP_1)
	v_trunc_f32_e32 v3, v3
	v_mul_f32_e64 v7, 0x2f800000, |v3|
	v_ashrrev_i32_e32 v12, 31, v3
	s_delay_alu instid0(VALU_DEP_2) | instskip(NEXT) | instid1(VALU_DEP_2)
	v_floor_f32_e32 v7, v7
	v_mov_b32_e32 v13, v12
	s_delay_alu instid0(VALU_DEP_2) | instskip(SKIP_1) | instid1(VALU_DEP_2)
	v_fma_f32 v11, 0xcf800000, v7, |v3|
	v_cvt_u32_f32_e32 v3, v7
	v_cvt_u32_f32_e32 v7, v11
	s_delay_alu instid0(VALU_DEP_2) | instskip(NEXT) | instid1(VALU_DEP_2)
	v_xor_b32_e32 v17, v3, v12
	v_xor_b32_e32 v16, v7, v12
	s_delay_alu instid0(VALU_DEP_1) | instskip(NEXT) | instid1(VALU_DEP_1)
	v_sub_nc_u64_e32 v[12:13], v[16:17], v[12:13]
	v_dual_cndmask_b32 v13, 0, v13 :: v_dual_cndmask_b32 v12, 0, v12
	s_branch .LBB31_952
.LBB31_951:
	s_mov_b32 s89, -1
                                        ; implicit-def: $vgpr12_vgpr13
.LBB31_952:
	s_mov_b32 s41, 0
.LBB31_953:
	s_delay_alu instid0(SALU_CYCLE_1)
	s_and_b32 vcc_lo, exec_lo, s41
	s_cbranch_vccz .LBB31_957
; %bb.954:
	s_cmp_eq_u32 s35, 29
	s_cbranch_scc0 .LBB31_956
; %bb.955:
	global_load_b64 v[12:13], v[14:15], off
	s_mov_b32 s40, -1
	s_mov_b32 s89, 0
	s_branch .LBB31_957
.LBB31_956:
	s_mov_b32 s89, -1
                                        ; implicit-def: $vgpr12_vgpr13
.LBB31_957:
	s_mov_b32 s41, 0
.LBB31_958:
	s_delay_alu instid0(SALU_CYCLE_1)
	s_and_b32 vcc_lo, exec_lo, s41
	s_cbranch_vccz .LBB31_974
; %bb.959:
	s_cmp_lt_i32 s35, 27
	s_cbranch_scc1 .LBB31_962
; %bb.960:
	s_cmp_gt_i32 s35, 27
	s_cbranch_scc0 .LBB31_963
; %bb.961:
	s_wait_loadcnt 0x0
	global_load_b32 v12, v[14:15], off
	v_mov_b32_e32 v13, 0
	s_mov_b32 s40, 0
	s_branch .LBB31_964
.LBB31_962:
	s_mov_b32 s40, -1
                                        ; implicit-def: $vgpr12_vgpr13
	s_branch .LBB31_967
.LBB31_963:
	s_mov_b32 s40, -1
                                        ; implicit-def: $vgpr12_vgpr13
.LBB31_964:
	s_delay_alu instid0(SALU_CYCLE_1)
	s_and_not1_b32 vcc_lo, exec_lo, s40
	s_cbranch_vccnz .LBB31_966
; %bb.965:
	global_load_u16 v1, v[14:15], off
	s_mov_b32 s20, 0
	s_wait_loadcnt 0x1
	v_mov_b32_e32 v13, s20
	s_wait_loadcnt 0x0
	v_and_b32_e32 v12, 0xffff, v1
.LBB31_966:
	s_mov_b32 s40, 0
.LBB31_967:
	s_delay_alu instid0(SALU_CYCLE_1)
	s_and_not1_b32 vcc_lo, exec_lo, s40
	s_cbranch_vccnz .LBB31_973
; %bb.968:
	global_load_u8 v1, v[14:15], off
	s_mov_b32 s41, 0
	s_mov_b32 s20, exec_lo
	s_wait_loadcnt 0x0
	v_cmpx_lt_i16_e32 0x7f, v1
	s_xor_b32 s40, exec_lo, s20
	s_cbranch_execz .LBB31_985
; %bb.969:
	v_cmp_ne_u16_e32 vcc_lo, 0x80, v1
	s_and_b32 s41, vcc_lo, exec_lo
	s_and_not1_saveexec_b32 s40, s40
	s_cbranch_execnz .LBB31_986
.LBB31_970:
	s_or_b32 exec_lo, exec_lo, s40
	v_mov_b64_e32 v[12:13], 0
	s_and_saveexec_b32 s40, s41
	s_cbranch_execz .LBB31_972
.LBB31_971:
	v_and_b32_e32 v3, 0xffff, v1
	s_delay_alu instid0(VALU_DEP_1) | instskip(SKIP_1) | instid1(VALU_DEP_2)
	v_dual_lshlrev_b32 v1, 24, v1 :: v_dual_bitop2_b32 v7, 7, v3 bitop3:0x40
	v_bfe_u32 v13, v3, 3, 4
	v_and_b32_e32 v1, 0x80000000, v1
	s_delay_alu instid0(VALU_DEP_3) | instskip(NEXT) | instid1(VALU_DEP_3)
	v_clz_i32_u32_e32 v11, v7
	v_cmp_eq_u32_e32 vcc_lo, 0, v13
	s_delay_alu instid0(VALU_DEP_2) | instskip(NEXT) | instid1(VALU_DEP_1)
	v_min_u32_e32 v11, 32, v11
	v_subrev_nc_u32_e32 v12, 28, v11
	v_sub_nc_u32_e32 v11, 29, v11
	s_delay_alu instid0(VALU_DEP_2) | instskip(NEXT) | instid1(VALU_DEP_2)
	v_lshlrev_b32_e32 v3, v12, v3
	v_cndmask_b32_e32 v11, v13, v11, vcc_lo
	s_delay_alu instid0(VALU_DEP_2) | instskip(NEXT) | instid1(VALU_DEP_1)
	v_and_b32_e32 v3, 7, v3
	v_cndmask_b32_e32 v3, v7, v3, vcc_lo
	s_delay_alu instid0(VALU_DEP_3) | instskip(NEXT) | instid1(VALU_DEP_2)
	v_lshl_add_u32 v7, v11, 23, 0x3b800000
	v_lshlrev_b32_e32 v3, 20, v3
	s_delay_alu instid0(VALU_DEP_1) | instskip(NEXT) | instid1(VALU_DEP_1)
	v_or3_b32 v1, v1, v7, v3
	v_trunc_f32_e32 v1, v1
	s_delay_alu instid0(VALU_DEP_1) | instskip(SKIP_1) | instid1(VALU_DEP_2)
	v_mul_f32_e64 v3, 0x2f800000, |v1|
	v_ashrrev_i32_e32 v12, 31, v1
	v_floor_f32_e32 v3, v3
	s_delay_alu instid0(VALU_DEP_2) | instskip(NEXT) | instid1(VALU_DEP_2)
	v_mov_b32_e32 v13, v12
	v_fma_f32 v7, 0xcf800000, v3, |v1|
	v_cvt_u32_f32_e32 v1, v3
	s_delay_alu instid0(VALU_DEP_2) | instskip(NEXT) | instid1(VALU_DEP_2)
	v_cvt_u32_f32_e32 v3, v7
	v_xor_b32_e32 v17, v1, v12
	s_delay_alu instid0(VALU_DEP_2) | instskip(NEXT) | instid1(VALU_DEP_1)
	v_xor_b32_e32 v16, v3, v12
	v_sub_nc_u64_e32 v[12:13], v[16:17], v[12:13]
.LBB31_972:
	s_or_b32 exec_lo, exec_lo, s40
.LBB31_973:
	s_mov_b32 s40, -1
.LBB31_974:
	s_mov_b32 s41, 0
.LBB31_975:
	s_delay_alu instid0(SALU_CYCLE_1)
	s_and_b32 vcc_lo, exec_lo, s41
	s_cbranch_vccz .LBB31_1008
; %bb.976:
	s_cmp_gt_i32 s35, 22
	s_cbranch_scc0 .LBB31_984
; %bb.977:
	s_cmp_lt_i32 s35, 24
	s_cbranch_scc1 .LBB31_987
; %bb.978:
	s_cmp_gt_i32 s35, 24
	s_cbranch_scc0 .LBB31_988
; %bb.979:
	global_load_u8 v1, v[14:15], off
	s_mov_b32 s41, 0
	s_mov_b32 s20, exec_lo
	s_wait_loadcnt 0x0
	v_cmpx_lt_i16_e32 0x7f, v1
	s_xor_b32 s40, exec_lo, s20
	s_cbranch_execz .LBB31_1000
; %bb.980:
	v_cmp_ne_u16_e32 vcc_lo, 0x80, v1
	s_and_b32 s41, vcc_lo, exec_lo
	s_and_not1_saveexec_b32 s40, s40
	s_cbranch_execnz .LBB31_1001
.LBB31_981:
	s_or_b32 exec_lo, exec_lo, s40
	v_mov_b64_e32 v[12:13], 0
	s_and_saveexec_b32 s40, s41
	s_cbranch_execz .LBB31_983
.LBB31_982:
	v_and_b32_e32 v3, 0xffff, v1
	s_delay_alu instid0(VALU_DEP_1) | instskip(SKIP_1) | instid1(VALU_DEP_2)
	v_dual_lshlrev_b32 v1, 24, v1 :: v_dual_bitop2_b32 v7, 3, v3 bitop3:0x40
	v_bfe_u32 v13, v3, 2, 5
	v_and_b32_e32 v1, 0x80000000, v1
	s_delay_alu instid0(VALU_DEP_3) | instskip(NEXT) | instid1(VALU_DEP_3)
	v_clz_i32_u32_e32 v11, v7
	v_cmp_eq_u32_e32 vcc_lo, 0, v13
	s_delay_alu instid0(VALU_DEP_2) | instskip(NEXT) | instid1(VALU_DEP_1)
	v_min_u32_e32 v11, 32, v11
	v_subrev_nc_u32_e32 v12, 29, v11
	v_sub_nc_u32_e32 v11, 30, v11
	s_delay_alu instid0(VALU_DEP_2) | instskip(NEXT) | instid1(VALU_DEP_2)
	v_lshlrev_b32_e32 v3, v12, v3
	v_cndmask_b32_e32 v11, v13, v11, vcc_lo
	s_delay_alu instid0(VALU_DEP_2) | instskip(NEXT) | instid1(VALU_DEP_1)
	v_and_b32_e32 v3, 3, v3
	v_cndmask_b32_e32 v3, v7, v3, vcc_lo
	s_delay_alu instid0(VALU_DEP_3) | instskip(NEXT) | instid1(VALU_DEP_2)
	v_lshl_add_u32 v7, v11, 23, 0x37800000
	v_lshlrev_b32_e32 v3, 21, v3
	s_delay_alu instid0(VALU_DEP_1) | instskip(NEXT) | instid1(VALU_DEP_1)
	v_or3_b32 v1, v1, v7, v3
	v_trunc_f32_e32 v1, v1
	s_delay_alu instid0(VALU_DEP_1) | instskip(SKIP_1) | instid1(VALU_DEP_2)
	v_mul_f32_e64 v3, 0x2f800000, |v1|
	v_ashrrev_i32_e32 v12, 31, v1
	v_floor_f32_e32 v3, v3
	s_delay_alu instid0(VALU_DEP_2) | instskip(NEXT) | instid1(VALU_DEP_2)
	v_mov_b32_e32 v13, v12
	v_fma_f32 v7, 0xcf800000, v3, |v1|
	v_cvt_u32_f32_e32 v1, v3
	s_delay_alu instid0(VALU_DEP_2) | instskip(NEXT) | instid1(VALU_DEP_2)
	v_cvt_u32_f32_e32 v3, v7
	v_xor_b32_e32 v17, v1, v12
	s_delay_alu instid0(VALU_DEP_2) | instskip(NEXT) | instid1(VALU_DEP_1)
	v_xor_b32_e32 v16, v3, v12
	v_sub_nc_u64_e32 v[12:13], v[16:17], v[12:13]
.LBB31_983:
	s_or_b32 exec_lo, exec_lo, s40
	s_mov_b32 s40, 0
	s_branch .LBB31_989
.LBB31_984:
	s_mov_b32 s41, -1
                                        ; implicit-def: $vgpr12_vgpr13
	s_branch .LBB31_995
.LBB31_985:
	s_and_not1_saveexec_b32 s40, s40
	s_cbranch_execz .LBB31_970
.LBB31_986:
	v_cmp_ne_u16_e32 vcc_lo, 0, v1
	s_and_not1_b32 s20, s41, exec_lo
	s_and_b32 s21, vcc_lo, exec_lo
	s_delay_alu instid0(SALU_CYCLE_1)
	s_or_b32 s41, s20, s21
	s_or_b32 exec_lo, exec_lo, s40
	v_mov_b64_e32 v[12:13], 0
	s_and_saveexec_b32 s40, s41
	s_cbranch_execnz .LBB31_971
	s_branch .LBB31_972
.LBB31_987:
	s_mov_b32 s40, -1
                                        ; implicit-def: $vgpr12_vgpr13
	s_branch .LBB31_992
.LBB31_988:
	s_mov_b32 s40, -1
                                        ; implicit-def: $vgpr12_vgpr13
.LBB31_989:
	s_delay_alu instid0(SALU_CYCLE_1)
	s_and_b32 vcc_lo, exec_lo, s40
	s_cbranch_vccz .LBB31_991
; %bb.990:
	global_load_u8 v1, v[14:15], off
	s_wait_loadcnt 0x0
	v_lshlrev_b32_e32 v1, 24, v1
	s_delay_alu instid0(VALU_DEP_1) | instskip(NEXT) | instid1(VALU_DEP_1)
	v_and_b32_e32 v3, 0x7f000000, v1
	v_clz_i32_u32_e32 v7, v3
	v_add_nc_u32_e32 v12, 0x1000000, v3
	v_cmp_ne_u32_e32 vcc_lo, 0, v3
	s_delay_alu instid0(VALU_DEP_3) | instskip(NEXT) | instid1(VALU_DEP_1)
	v_min_u32_e32 v7, 32, v7
	v_sub_nc_u32_e64 v7, v7, 4 clamp
	s_delay_alu instid0(VALU_DEP_1) | instskip(SKIP_1) | instid1(VALU_DEP_2)
	v_lshlrev_b32_e32 v11, v7, v3
	v_lshlrev_b32_e32 v7, 23, v7
	v_lshrrev_b32_e32 v11, 4, v11
	s_delay_alu instid0(VALU_DEP_1) | instskip(NEXT) | instid1(VALU_DEP_1)
	v_dual_sub_nc_u32 v7, v11, v7 :: v_dual_ashrrev_i32 v11, 8, v12
	v_add_nc_u32_e32 v7, 0x3c000000, v7
	s_delay_alu instid0(VALU_DEP_1) | instskip(NEXT) | instid1(VALU_DEP_1)
	v_and_or_b32 v7, 0x7f800000, v11, v7
	v_cndmask_b32_e32 v3, 0, v7, vcc_lo
	s_delay_alu instid0(VALU_DEP_1) | instskip(NEXT) | instid1(VALU_DEP_1)
	v_and_or_b32 v1, 0x80000000, v1, v3
	v_trunc_f32_e32 v1, v1
	s_delay_alu instid0(VALU_DEP_1) | instskip(SKIP_1) | instid1(VALU_DEP_2)
	v_mul_f32_e64 v3, 0x2f800000, |v1|
	v_ashrrev_i32_e32 v12, 31, v1
	v_floor_f32_e32 v3, v3
	s_delay_alu instid0(VALU_DEP_2) | instskip(NEXT) | instid1(VALU_DEP_2)
	v_mov_b32_e32 v13, v12
	v_fma_f32 v7, 0xcf800000, v3, |v1|
	v_cvt_u32_f32_e32 v1, v3
	s_delay_alu instid0(VALU_DEP_2) | instskip(NEXT) | instid1(VALU_DEP_2)
	v_cvt_u32_f32_e32 v3, v7
	v_xor_b32_e32 v17, v1, v12
	s_delay_alu instid0(VALU_DEP_2) | instskip(NEXT) | instid1(VALU_DEP_1)
	v_xor_b32_e32 v16, v3, v12
	v_sub_nc_u64_e32 v[12:13], v[16:17], v[12:13]
.LBB31_991:
	s_mov_b32 s40, 0
.LBB31_992:
	s_delay_alu instid0(SALU_CYCLE_1)
	s_and_not1_b32 vcc_lo, exec_lo, s40
	s_cbranch_vccnz .LBB31_994
; %bb.993:
	global_load_u8 v1, v[14:15], off
	s_wait_loadcnt 0x0
	v_lshlrev_b32_e32 v3, 25, v1
	v_lshlrev_b16 v1, 8, v1
	s_delay_alu instid0(VALU_DEP_1) | instskip(SKIP_1) | instid1(VALU_DEP_2)
	v_and_or_b32 v11, 0x7f00, v1, 0.5
	v_bfe_i32 v1, v1, 0, 16
	v_add_f32_e32 v11, -0.5, v11
	v_lshrrev_b32_e32 v7, 4, v3
	v_cmp_gt_u32_e32 vcc_lo, 0x8000000, v3
	s_delay_alu instid0(VALU_DEP_2) | instskip(NEXT) | instid1(VALU_DEP_1)
	v_or_b32_e32 v7, 0x70000000, v7
	v_mul_f32_e32 v7, 0x7800000, v7
	s_delay_alu instid0(VALU_DEP_1) | instskip(NEXT) | instid1(VALU_DEP_1)
	v_cndmask_b32_e32 v3, v7, v11, vcc_lo
	v_and_or_b32 v1, 0x80000000, v1, v3
	s_delay_alu instid0(VALU_DEP_1) | instskip(NEXT) | instid1(VALU_DEP_1)
	v_trunc_f32_e32 v1, v1
	v_mul_f32_e64 v3, 0x2f800000, |v1|
	v_ashrrev_i32_e32 v12, 31, v1
	s_delay_alu instid0(VALU_DEP_2) | instskip(NEXT) | instid1(VALU_DEP_2)
	v_floor_f32_e32 v3, v3
	v_mov_b32_e32 v13, v12
	s_delay_alu instid0(VALU_DEP_2) | instskip(SKIP_1) | instid1(VALU_DEP_2)
	v_fma_f32 v7, 0xcf800000, v3, |v1|
	v_cvt_u32_f32_e32 v1, v3
	v_cvt_u32_f32_e32 v3, v7
	s_delay_alu instid0(VALU_DEP_2) | instskip(NEXT) | instid1(VALU_DEP_2)
	v_xor_b32_e32 v17, v1, v12
	v_xor_b32_e32 v16, v3, v12
	s_delay_alu instid0(VALU_DEP_1)
	v_sub_nc_u64_e32 v[12:13], v[16:17], v[12:13]
.LBB31_994:
	s_mov_b32 s41, 0
	s_mov_b32 s40, -1
.LBB31_995:
	s_and_not1_b32 vcc_lo, exec_lo, s41
	s_cbranch_vccnz .LBB31_1008
; %bb.996:
	s_cmp_gt_i32 s35, 14
	s_cbranch_scc0 .LBB31_999
; %bb.997:
	s_cmp_eq_u32 s35, 15
	s_cbranch_scc0 .LBB31_1002
; %bb.998:
	global_load_u16 v1, v[14:15], off
	s_mov_b32 s40, -1
	s_mov_b32 s89, 0
	s_wait_loadcnt 0x0
	v_lshlrev_b32_e32 v1, 16, v1
	s_delay_alu instid0(VALU_DEP_1) | instskip(NEXT) | instid1(VALU_DEP_1)
	v_trunc_f32_e32 v1, v1
	v_mul_f32_e64 v3, 0x2f800000, |v1|
	v_ashrrev_i32_e32 v12, 31, v1
	s_delay_alu instid0(VALU_DEP_2) | instskip(NEXT) | instid1(VALU_DEP_2)
	v_floor_f32_e32 v3, v3
	v_mov_b32_e32 v13, v12
	s_delay_alu instid0(VALU_DEP_2) | instskip(SKIP_1) | instid1(VALU_DEP_2)
	v_fma_f32 v7, 0xcf800000, v3, |v1|
	v_cvt_u32_f32_e32 v1, v3
	v_cvt_u32_f32_e32 v3, v7
	s_delay_alu instid0(VALU_DEP_2) | instskip(NEXT) | instid1(VALU_DEP_2)
	v_xor_b32_e32 v17, v1, v12
	v_xor_b32_e32 v16, v3, v12
	s_delay_alu instid0(VALU_DEP_1)
	v_sub_nc_u64_e32 v[12:13], v[16:17], v[12:13]
	s_branch .LBB31_1003
.LBB31_999:
	s_mov_b32 s41, -1
                                        ; implicit-def: $vgpr12_vgpr13
	s_branch .LBB31_1004
.LBB31_1000:
	s_and_not1_saveexec_b32 s40, s40
	s_cbranch_execz .LBB31_981
.LBB31_1001:
	v_cmp_ne_u16_e32 vcc_lo, 0, v1
	s_and_not1_b32 s20, s41, exec_lo
	s_and_b32 s21, vcc_lo, exec_lo
	s_delay_alu instid0(SALU_CYCLE_1)
	s_or_b32 s41, s20, s21
	s_or_b32 exec_lo, exec_lo, s40
	v_mov_b64_e32 v[12:13], 0
	s_and_saveexec_b32 s40, s41
	s_cbranch_execnz .LBB31_982
	s_branch .LBB31_983
.LBB31_1002:
	s_mov_b32 s89, -1
                                        ; implicit-def: $vgpr12_vgpr13
.LBB31_1003:
	s_mov_b32 s41, 0
.LBB31_1004:
	s_delay_alu instid0(SALU_CYCLE_1)
	s_and_b32 vcc_lo, exec_lo, s41
	s_cbranch_vccz .LBB31_1008
; %bb.1005:
	s_cmp_eq_u32 s35, 11
	s_cbranch_scc0 .LBB31_1007
; %bb.1006:
	global_load_u8 v1, v[14:15], off
	s_mov_b32 s89, 0
	s_mov_b32 s40, -1
	s_wait_loadcnt 0x1
	v_mov_b32_e32 v13, s89
	s_wait_loadcnt 0x0
	v_cmp_ne_u16_e32 vcc_lo, 0, v1
	v_cndmask_b32_e64 v12, 0, 1, vcc_lo
	s_branch .LBB31_1008
.LBB31_1007:
	s_mov_b32 s89, -1
                                        ; implicit-def: $vgpr12_vgpr13
.LBB31_1008:
	s_mov_b32 s35, 0
.LBB31_1009:
	s_delay_alu instid0(SALU_CYCLE_1)
	s_and_b32 vcc_lo, exec_lo, s35
	s_cbranch_vccz .LBB31_1058
; %bb.1010:
	s_and_b32 s0, 0xffff, s0
	s_delay_alu instid0(SALU_CYCLE_1)
	s_cmp_lt_i32 s0, 5
	s_cbranch_scc1 .LBB31_1015
; %bb.1011:
	s_cmp_lt_i32 s0, 8
	s_cbranch_scc1 .LBB31_1016
; %bb.1012:
	;; [unrolled: 3-line block ×3, first 2 shown]
	s_cmp_gt_i32 s0, 9
	s_cbranch_scc0 .LBB31_1018
; %bb.1014:
	s_wait_loadcnt 0x0
	global_load_b64 v[12:13], v[14:15], off
	s_mov_b32 s35, 0
	s_wait_loadcnt 0x0
	v_trunc_f64_e32 v[12:13], v[12:13]
	s_delay_alu instid0(VALU_DEP_1) | instskip(NEXT) | instid1(VALU_DEP_1)
	v_ldexp_f64 v[16:17], v[12:13], 0xffffffe0
	v_floor_f64_e32 v[16:17], v[16:17]
	s_delay_alu instid0(VALU_DEP_1) | instskip(SKIP_1) | instid1(VALU_DEP_2)
	v_fmamk_f64 v[18:19], v[16:17], 0xc1f00000, v[12:13]
	v_cvt_i32_f64_e32 v13, v[16:17]
	v_cvt_u32_f64_e32 v12, v[18:19]
	s_branch .LBB31_1019
.LBB31_1015:
	s_mov_b32 s35, -1
                                        ; implicit-def: $vgpr12_vgpr13
	s_branch .LBB31_1037
.LBB31_1016:
	s_mov_b32 s35, -1
                                        ; implicit-def: $vgpr12_vgpr13
	s_branch .LBB31_1025
.LBB31_1017:
	s_mov_b32 s35, -1
                                        ; implicit-def: $vgpr12_vgpr13
	s_branch .LBB31_1022
.LBB31_1018:
	s_mov_b32 s35, -1
                                        ; implicit-def: $vgpr12_vgpr13
.LBB31_1019:
	s_delay_alu instid0(SALU_CYCLE_1)
	s_and_not1_b32 vcc_lo, exec_lo, s35
	s_cbranch_vccnz .LBB31_1021
; %bb.1020:
	global_load_b32 v1, v[14:15], off
	s_wait_loadcnt 0x0
	v_trunc_f32_e32 v1, v1
	s_delay_alu instid0(VALU_DEP_1) | instskip(SKIP_1) | instid1(VALU_DEP_2)
	v_mul_f32_e64 v3, 0x2f800000, |v1|
	v_ashrrev_i32_e32 v12, 31, v1
	v_floor_f32_e32 v3, v3
	s_delay_alu instid0(VALU_DEP_1) | instskip(SKIP_1) | instid1(VALU_DEP_4)
	v_fma_f32 v7, 0xcf800000, v3, |v1|
	v_cvt_u32_f32_e32 v1, v3
	v_mov_b32_e32 v13, v12
	s_delay_alu instid0(VALU_DEP_3) | instskip(NEXT) | instid1(VALU_DEP_3)
	v_cvt_u32_f32_e32 v3, v7
	v_xor_b32_e32 v17, v1, v12
	s_delay_alu instid0(VALU_DEP_2) | instskip(NEXT) | instid1(VALU_DEP_1)
	v_xor_b32_e32 v16, v3, v12
	v_sub_nc_u64_e32 v[12:13], v[16:17], v[12:13]
.LBB31_1021:
	s_mov_b32 s35, 0
.LBB31_1022:
	s_delay_alu instid0(SALU_CYCLE_1)
	s_and_not1_b32 vcc_lo, exec_lo, s35
	s_cbranch_vccnz .LBB31_1024
; %bb.1023:
	global_load_b32 v1, v[14:15], off
	s_wait_loadcnt 0x0
	v_cvt_f32_f16_e32 v1, v1
	s_delay_alu instid0(VALU_DEP_1) | instskip(NEXT) | instid1(VALU_DEP_1)
	v_cvt_i32_f32_e32 v12, v1
	v_ashrrev_i32_e32 v13, 31, v12
.LBB31_1024:
	s_mov_b32 s35, 0
.LBB31_1025:
	s_delay_alu instid0(SALU_CYCLE_1)
	s_and_not1_b32 vcc_lo, exec_lo, s35
	s_cbranch_vccnz .LBB31_1036
; %bb.1026:
	s_cmp_lt_i32 s0, 6
	s_cbranch_scc1 .LBB31_1029
; %bb.1027:
	s_cmp_gt_i32 s0, 6
	s_cbranch_scc0 .LBB31_1030
; %bb.1028:
	s_wait_loadcnt 0x0
	global_load_b64 v[12:13], v[14:15], off
	s_mov_b32 s35, 0
	s_wait_loadcnt 0x0
	v_trunc_f64_e32 v[12:13], v[12:13]
	s_delay_alu instid0(VALU_DEP_1) | instskip(NEXT) | instid1(VALU_DEP_1)
	v_ldexp_f64 v[16:17], v[12:13], 0xffffffe0
	v_floor_f64_e32 v[16:17], v[16:17]
	s_delay_alu instid0(VALU_DEP_1) | instskip(SKIP_1) | instid1(VALU_DEP_2)
	v_fmamk_f64 v[18:19], v[16:17], 0xc1f00000, v[12:13]
	v_cvt_i32_f64_e32 v13, v[16:17]
	v_cvt_u32_f64_e32 v12, v[18:19]
	s_branch .LBB31_1031
.LBB31_1029:
	s_mov_b32 s35, -1
                                        ; implicit-def: $vgpr12_vgpr13
	s_branch .LBB31_1034
.LBB31_1030:
	s_mov_b32 s35, -1
                                        ; implicit-def: $vgpr12_vgpr13
.LBB31_1031:
	s_delay_alu instid0(SALU_CYCLE_1)
	s_and_not1_b32 vcc_lo, exec_lo, s35
	s_cbranch_vccnz .LBB31_1033
; %bb.1032:
	global_load_b32 v1, v[14:15], off
	s_wait_loadcnt 0x0
	v_trunc_f32_e32 v1, v1
	s_delay_alu instid0(VALU_DEP_1) | instskip(SKIP_1) | instid1(VALU_DEP_2)
	v_mul_f32_e64 v3, 0x2f800000, |v1|
	v_ashrrev_i32_e32 v12, 31, v1
	v_floor_f32_e32 v3, v3
	s_delay_alu instid0(VALU_DEP_1) | instskip(SKIP_1) | instid1(VALU_DEP_4)
	v_fma_f32 v7, 0xcf800000, v3, |v1|
	v_cvt_u32_f32_e32 v1, v3
	v_mov_b32_e32 v13, v12
	s_delay_alu instid0(VALU_DEP_3) | instskip(NEXT) | instid1(VALU_DEP_3)
	v_cvt_u32_f32_e32 v3, v7
	v_xor_b32_e32 v17, v1, v12
	s_delay_alu instid0(VALU_DEP_2) | instskip(NEXT) | instid1(VALU_DEP_1)
	v_xor_b32_e32 v16, v3, v12
	v_sub_nc_u64_e32 v[12:13], v[16:17], v[12:13]
.LBB31_1033:
	s_mov_b32 s35, 0
.LBB31_1034:
	s_delay_alu instid0(SALU_CYCLE_1)
	s_and_not1_b32 vcc_lo, exec_lo, s35
	s_cbranch_vccnz .LBB31_1036
; %bb.1035:
	global_load_u16 v1, v[14:15], off
	s_wait_loadcnt 0x0
	v_cvt_f32_f16_e32 v1, v1
	s_delay_alu instid0(VALU_DEP_1) | instskip(NEXT) | instid1(VALU_DEP_1)
	v_cvt_i32_f32_e32 v12, v1
	v_ashrrev_i32_e32 v13, 31, v12
.LBB31_1036:
	s_mov_b32 s35, 0
.LBB31_1037:
	s_delay_alu instid0(SALU_CYCLE_1)
	s_and_not1_b32 vcc_lo, exec_lo, s35
	s_cbranch_vccnz .LBB31_1057
; %bb.1038:
	s_cmp_lt_i32 s0, 2
	s_cbranch_scc1 .LBB31_1042
; %bb.1039:
	s_cmp_lt_i32 s0, 3
	s_cbranch_scc1 .LBB31_1043
; %bb.1040:
	s_cmp_gt_i32 s0, 3
	s_cbranch_scc0 .LBB31_1044
; %bb.1041:
	s_wait_loadcnt 0x0
	global_load_b64 v[12:13], v[14:15], off
	s_mov_b32 s35, 0
	s_branch .LBB31_1045
.LBB31_1042:
	s_mov_b32 s35, -1
                                        ; implicit-def: $vgpr12_vgpr13
	s_branch .LBB31_1051
.LBB31_1043:
	s_mov_b32 s35, -1
                                        ; implicit-def: $vgpr12_vgpr13
	s_branch .LBB31_1048
.LBB31_1044:
	s_mov_b32 s35, -1
                                        ; implicit-def: $vgpr12_vgpr13
.LBB31_1045:
	s_delay_alu instid0(SALU_CYCLE_1)
	s_and_not1_b32 vcc_lo, exec_lo, s35
	s_cbranch_vccnz .LBB31_1047
; %bb.1046:
	s_wait_loadcnt 0x0
	global_load_b32 v12, v[14:15], off
	s_wait_loadcnt 0x0
	v_ashrrev_i32_e32 v13, 31, v12
.LBB31_1047:
	s_mov_b32 s35, 0
.LBB31_1048:
	s_delay_alu instid0(SALU_CYCLE_1)
	s_and_not1_b32 vcc_lo, exec_lo, s35
	s_cbranch_vccnz .LBB31_1050
; %bb.1049:
	global_load_u16 v1, v[14:15], off
	s_wait_loadcnt 0x0
	v_bfe_i32 v12, v1, 0, 16
	s_delay_alu instid0(VALU_DEP_1)
	v_ashrrev_i32_e32 v13, 31, v12
.LBB31_1050:
	s_mov_b32 s35, 0
.LBB31_1051:
	s_delay_alu instid0(SALU_CYCLE_1)
	s_and_not1_b32 vcc_lo, exec_lo, s35
	s_cbranch_vccnz .LBB31_1057
; %bb.1052:
	s_cmp_gt_i32 s0, 0
	s_mov_b32 s0, 0
	s_cbranch_scc0 .LBB31_1054
; %bb.1053:
	global_load_i8 v1, v[14:15], off
	s_wait_loadcnt 0x0
	v_bfe_i32 v12, v1, 0, 16
	s_delay_alu instid0(VALU_DEP_1)
	v_ashrrev_i32_e32 v13, 31, v12
	s_branch .LBB31_1055
.LBB31_1054:
	s_mov_b32 s0, -1
                                        ; implicit-def: $vgpr12_vgpr13
.LBB31_1055:
	s_delay_alu instid0(SALU_CYCLE_1)
	s_and_not1_b32 vcc_lo, exec_lo, s0
	s_cbranch_vccnz .LBB31_1057
; %bb.1056:
	global_load_u8 v1, v[14:15], off
	s_mov_b32 s0, 0
	s_wait_loadcnt 0x1
	v_mov_b32_e32 v13, s0
	s_wait_loadcnt 0x0
	v_and_b32_e32 v12, 0xffff, v1
.LBB31_1057:
	s_mov_b32 s40, -1
.LBB31_1058:
	s_delay_alu instid0(SALU_CYCLE_1)
	s_and_not1_b32 vcc_lo, exec_lo, s40
	s_cbranch_vccnz .LBB31_1066
; %bb.1059:
	s_load_b512 s[4:19], s[2:3], 0x248
	v_mov_b32_e32 v11, 0
	s_and_b32 s0, s75, 0xff
	s_delay_alu instid0(SALU_CYCLE_1) | instskip(SKIP_1) | instid1(VALU_DEP_1)
	s_cmp_lt_i32 s0, 11
	s_wait_kmcnt 0x0
	v_add_nc_u64_e32 v[14:15], s[12:13], v[10:11]
	s_cbranch_scc1 .LBB31_1067
; %bb.1060:
	s_and_b32 s35, 0xffff, s0
	s_delay_alu instid0(SALU_CYCLE_1)
	s_cmp_gt_i32 s35, 25
	s_cbranch_scc0 .LBB31_1068
; %bb.1061:
	s_cmp_gt_i32 s35, 28
	s_cbranch_scc0 .LBB31_1069
; %bb.1062:
	;; [unrolled: 3-line block ×4, first 2 shown]
	s_cmp_eq_u32 s35, 46
	s_mov_b32 s41, 0
	s_cbranch_scc0 .LBB31_1073
; %bb.1065:
	global_load_b32 v1, v[14:15], off
	s_mov_b32 s40, -1
	s_mov_b32 s92, 0
	s_wait_loadcnt 0x0
	v_lshlrev_b32_e32 v1, 16, v1
	s_delay_alu instid0(VALU_DEP_1) | instskip(NEXT) | instid1(VALU_DEP_1)
	v_trunc_f32_e32 v1, v1
	v_mul_f32_e64 v3, 0x2f800000, |v1|
	v_ashrrev_i32_e32 v10, 31, v1
	s_delay_alu instid0(VALU_DEP_2) | instskip(NEXT) | instid1(VALU_DEP_2)
	v_floor_f32_e32 v3, v3
	v_mov_b32_e32 v11, v10
	s_delay_alu instid0(VALU_DEP_2) | instskip(SKIP_1) | instid1(VALU_DEP_2)
	v_fma_f32 v7, 0xcf800000, v3, |v1|
	v_cvt_u32_f32_e32 v1, v3
	v_cvt_u32_f32_e32 v3, v7
	s_delay_alu instid0(VALU_DEP_2) | instskip(NEXT) | instid1(VALU_DEP_2)
	v_xor_b32_e32 v17, v1, v10
	v_xor_b32_e32 v16, v3, v10
	s_delay_alu instid0(VALU_DEP_1)
	v_sub_nc_u64_e32 v[10:11], v[16:17], v[10:11]
	s_branch .LBB31_1075
.LBB31_1066:
	s_mov_b32 s0, 0
	s_mov_b32 s35, s64
	s_mov_b32 s40, s65
	s_mov_b32 s41, s39
	s_mov_b32 s43, s80
	s_mov_b32 s42, s81
	s_mov_b32 s91, s82
	s_mov_b32 s92, s83
	s_branch .LBB31_1324
.LBB31_1067:
	s_mov_b32 s35, -1
	s_mov_b32 s40, 0
	s_mov_b32 s92, s83
                                        ; implicit-def: $vgpr10_vgpr11
	s_branch .LBB31_1136
.LBB31_1068:
	s_mov_b32 s41, -1
	s_mov_b32 s40, 0
	s_mov_b32 s92, s83
                                        ; implicit-def: $vgpr10_vgpr11
	s_branch .LBB31_1102
.LBB31_1069:
	s_mov_b32 s41, -1
	s_mov_b32 s40, 0
	s_mov_b32 s92, s83
                                        ; implicit-def: $vgpr10_vgpr11
	s_branch .LBB31_1085
.LBB31_1070:
	s_mov_b32 s41, -1
	s_mov_b32 s40, 0
	s_mov_b32 s92, s83
                                        ; implicit-def: $vgpr10_vgpr11
	s_branch .LBB31_1080
.LBB31_1071:
	s_mov_b32 s41, -1
	s_mov_b32 s40, 0
	s_mov_b32 s92, s83
	s_branch .LBB31_1074
.LBB31_1072:
	s_mov_b32 s56, -1
	s_mov_b32 s42, 0
	s_mov_b32 s55, 0
	s_branch .LBB31_1883
.LBB31_1073:
	s_mov_b32 s92, -1
	s_mov_b32 s40, 0
.LBB31_1074:
                                        ; implicit-def: $vgpr10_vgpr11
.LBB31_1075:
	s_and_b32 vcc_lo, exec_lo, s41
	s_cbranch_vccz .LBB31_1079
; %bb.1076:
	s_cmp_eq_u32 s35, 44
	s_cbranch_scc0 .LBB31_1078
; %bb.1077:
	global_load_u8 v1, v[14:15], off
	s_mov_b32 s92, 0
	s_mov_b32 s40, -1
	s_wait_loadcnt 0x0
	v_lshlrev_b32_e32 v3, 23, v1
	v_cmp_ne_u32_e32 vcc_lo, 0, v1
	s_delay_alu instid0(VALU_DEP_2) | instskip(NEXT) | instid1(VALU_DEP_1)
	v_trunc_f32_e32 v3, v3
	v_mul_f32_e64 v7, 0x2f800000, |v3|
	v_ashrrev_i32_e32 v10, 31, v3
	s_delay_alu instid0(VALU_DEP_2) | instskip(NEXT) | instid1(VALU_DEP_1)
	v_floor_f32_e32 v7, v7
	v_fma_f32 v11, 0xcf800000, v7, |v3|
	v_cvt_u32_f32_e32 v3, v7
	s_delay_alu instid0(VALU_DEP_2) | instskip(NEXT) | instid1(VALU_DEP_2)
	v_cvt_u32_f32_e32 v7, v11
	v_dual_mov_b32 v11, v10 :: v_dual_bitop2_b32 v17, v3, v10 bitop3:0x14
	s_delay_alu instid0(VALU_DEP_2) | instskip(NEXT) | instid1(VALU_DEP_1)
	v_xor_b32_e32 v16, v7, v10
	v_sub_nc_u64_e32 v[10:11], v[16:17], v[10:11]
	s_delay_alu instid0(VALU_DEP_1)
	v_dual_cndmask_b32 v11, 0, v11 :: v_dual_cndmask_b32 v10, 0, v10
	s_branch .LBB31_1079
.LBB31_1078:
	s_mov_b32 s92, -1
                                        ; implicit-def: $vgpr10_vgpr11
.LBB31_1079:
	s_mov_b32 s41, 0
.LBB31_1080:
	s_delay_alu instid0(SALU_CYCLE_1)
	s_and_b32 vcc_lo, exec_lo, s41
	s_cbranch_vccz .LBB31_1084
; %bb.1081:
	s_cmp_eq_u32 s35, 29
	s_cbranch_scc0 .LBB31_1083
; %bb.1082:
	global_load_b64 v[10:11], v[14:15], off
	s_mov_b32 s40, -1
	s_mov_b32 s92, 0
	s_branch .LBB31_1084
.LBB31_1083:
	s_mov_b32 s92, -1
                                        ; implicit-def: $vgpr10_vgpr11
.LBB31_1084:
	s_mov_b32 s41, 0
.LBB31_1085:
	s_delay_alu instid0(SALU_CYCLE_1)
	s_and_b32 vcc_lo, exec_lo, s41
	s_cbranch_vccz .LBB31_1101
; %bb.1086:
	s_cmp_lt_i32 s35, 27
	s_cbranch_scc1 .LBB31_1089
; %bb.1087:
	s_cmp_gt_i32 s35, 27
	s_cbranch_scc0 .LBB31_1090
; %bb.1088:
	s_wait_loadcnt 0x0
	global_load_b32 v10, v[14:15], off
	v_mov_b32_e32 v11, 0
	s_mov_b32 s40, 0
	s_branch .LBB31_1091
.LBB31_1089:
	s_mov_b32 s40, -1
                                        ; implicit-def: $vgpr10_vgpr11
	s_branch .LBB31_1094
.LBB31_1090:
	s_mov_b32 s40, -1
                                        ; implicit-def: $vgpr10_vgpr11
.LBB31_1091:
	s_delay_alu instid0(SALU_CYCLE_1)
	s_and_not1_b32 vcc_lo, exec_lo, s40
	s_cbranch_vccnz .LBB31_1093
; %bb.1092:
	global_load_u16 v1, v[14:15], off
	s_mov_b32 s20, 0
	s_wait_loadcnt 0x1
	v_mov_b32_e32 v11, s20
	s_wait_loadcnt 0x0
	v_and_b32_e32 v10, 0xffff, v1
.LBB31_1093:
	s_mov_b32 s40, 0
.LBB31_1094:
	s_delay_alu instid0(SALU_CYCLE_1)
	s_and_not1_b32 vcc_lo, exec_lo, s40
	s_cbranch_vccnz .LBB31_1100
; %bb.1095:
	global_load_u8 v1, v[14:15], off
	s_mov_b32 s41, 0
	s_mov_b32 s20, exec_lo
	s_wait_loadcnt 0x0
	v_cmpx_lt_i16_e32 0x7f, v1
	s_xor_b32 s40, exec_lo, s20
	s_cbranch_execz .LBB31_1112
; %bb.1096:
	v_cmp_ne_u16_e32 vcc_lo, 0x80, v1
	s_and_b32 s41, vcc_lo, exec_lo
	s_and_not1_saveexec_b32 s40, s40
	s_cbranch_execnz .LBB31_1113
.LBB31_1097:
	s_or_b32 exec_lo, exec_lo, s40
	v_mov_b64_e32 v[10:11], 0
	s_and_saveexec_b32 s40, s41
	s_cbranch_execz .LBB31_1099
.LBB31_1098:
	v_and_b32_e32 v3, 0xffff, v1
	s_delay_alu instid0(VALU_DEP_1) | instskip(SKIP_1) | instid1(VALU_DEP_2)
	v_and_b32_e32 v7, 7, v3
	v_bfe_u32 v16, v3, 3, 4
	v_clz_i32_u32_e32 v10, v7
	s_delay_alu instid0(VALU_DEP_2) | instskip(NEXT) | instid1(VALU_DEP_2)
	v_cmp_eq_u32_e32 vcc_lo, 0, v16
	v_min_u32_e32 v10, 32, v10
	s_delay_alu instid0(VALU_DEP_1) | instskip(NEXT) | instid1(VALU_DEP_1)
	v_subrev_nc_u32_e32 v11, 28, v10
	v_dual_lshlrev_b32 v3, v11, v3 :: v_dual_sub_nc_u32 v10, 29, v10
	s_delay_alu instid0(VALU_DEP_1) | instskip(NEXT) | instid1(VALU_DEP_1)
	v_dual_lshlrev_b32 v1, 24, v1 :: v_dual_bitop2_b32 v3, 7, v3 bitop3:0x40
	v_dual_cndmask_b32 v10, v16, v10 :: v_dual_cndmask_b32 v3, v7, v3
	s_delay_alu instid0(VALU_DEP_2) | instskip(NEXT) | instid1(VALU_DEP_2)
	v_and_b32_e32 v1, 0x80000000, v1
	v_lshl_add_u32 v7, v10, 23, 0x3b800000
	s_delay_alu instid0(VALU_DEP_3) | instskip(NEXT) | instid1(VALU_DEP_1)
	v_lshlrev_b32_e32 v3, 20, v3
	v_or3_b32 v1, v1, v7, v3
	s_delay_alu instid0(VALU_DEP_1) | instskip(NEXT) | instid1(VALU_DEP_1)
	v_trunc_f32_e32 v1, v1
	v_mul_f32_e64 v3, 0x2f800000, |v1|
	v_ashrrev_i32_e32 v10, 31, v1
	s_delay_alu instid0(VALU_DEP_2) | instskip(NEXT) | instid1(VALU_DEP_2)
	v_floor_f32_e32 v3, v3
	v_mov_b32_e32 v11, v10
	s_delay_alu instid0(VALU_DEP_2) | instskip(SKIP_1) | instid1(VALU_DEP_2)
	v_fma_f32 v7, 0xcf800000, v3, |v1|
	v_cvt_u32_f32_e32 v1, v3
	v_cvt_u32_f32_e32 v3, v7
	s_delay_alu instid0(VALU_DEP_2) | instskip(NEXT) | instid1(VALU_DEP_2)
	v_xor_b32_e32 v17, v1, v10
	v_xor_b32_e32 v16, v3, v10
	s_delay_alu instid0(VALU_DEP_1)
	v_sub_nc_u64_e32 v[10:11], v[16:17], v[10:11]
.LBB31_1099:
	s_or_b32 exec_lo, exec_lo, s40
.LBB31_1100:
	s_mov_b32 s40, -1
.LBB31_1101:
	s_mov_b32 s41, 0
.LBB31_1102:
	s_delay_alu instid0(SALU_CYCLE_1)
	s_and_b32 vcc_lo, exec_lo, s41
	s_cbranch_vccz .LBB31_1135
; %bb.1103:
	s_cmp_gt_i32 s35, 22
	s_cbranch_scc0 .LBB31_1111
; %bb.1104:
	s_cmp_lt_i32 s35, 24
	s_cbranch_scc1 .LBB31_1114
; %bb.1105:
	s_cmp_gt_i32 s35, 24
	s_cbranch_scc0 .LBB31_1115
; %bb.1106:
	global_load_u8 v1, v[14:15], off
	s_mov_b32 s41, 0
	s_mov_b32 s20, exec_lo
	s_wait_loadcnt 0x0
	v_cmpx_lt_i16_e32 0x7f, v1
	s_xor_b32 s40, exec_lo, s20
	s_cbranch_execz .LBB31_1127
; %bb.1107:
	v_cmp_ne_u16_e32 vcc_lo, 0x80, v1
	s_and_b32 s41, vcc_lo, exec_lo
	s_and_not1_saveexec_b32 s40, s40
	s_cbranch_execnz .LBB31_1128
.LBB31_1108:
	s_or_b32 exec_lo, exec_lo, s40
	v_mov_b64_e32 v[10:11], 0
	s_and_saveexec_b32 s40, s41
	s_cbranch_execz .LBB31_1110
.LBB31_1109:
	v_and_b32_e32 v3, 0xffff, v1
	s_delay_alu instid0(VALU_DEP_1) | instskip(SKIP_1) | instid1(VALU_DEP_2)
	v_and_b32_e32 v7, 3, v3
	v_bfe_u32 v16, v3, 2, 5
	v_clz_i32_u32_e32 v10, v7
	s_delay_alu instid0(VALU_DEP_2) | instskip(NEXT) | instid1(VALU_DEP_2)
	v_cmp_eq_u32_e32 vcc_lo, 0, v16
	v_min_u32_e32 v10, 32, v10
	s_delay_alu instid0(VALU_DEP_1) | instskip(NEXT) | instid1(VALU_DEP_1)
	v_subrev_nc_u32_e32 v11, 29, v10
	v_dual_lshlrev_b32 v3, v11, v3 :: v_dual_sub_nc_u32 v10, 30, v10
	s_delay_alu instid0(VALU_DEP_1) | instskip(NEXT) | instid1(VALU_DEP_1)
	v_dual_lshlrev_b32 v1, 24, v1 :: v_dual_bitop2_b32 v3, 3, v3 bitop3:0x40
	v_dual_cndmask_b32 v10, v16, v10 :: v_dual_cndmask_b32 v3, v7, v3
	s_delay_alu instid0(VALU_DEP_2) | instskip(NEXT) | instid1(VALU_DEP_2)
	v_and_b32_e32 v1, 0x80000000, v1
	v_lshl_add_u32 v7, v10, 23, 0x37800000
	s_delay_alu instid0(VALU_DEP_3) | instskip(NEXT) | instid1(VALU_DEP_1)
	v_lshlrev_b32_e32 v3, 21, v3
	v_or3_b32 v1, v1, v7, v3
	s_delay_alu instid0(VALU_DEP_1) | instskip(NEXT) | instid1(VALU_DEP_1)
	v_trunc_f32_e32 v1, v1
	v_mul_f32_e64 v3, 0x2f800000, |v1|
	v_ashrrev_i32_e32 v10, 31, v1
	s_delay_alu instid0(VALU_DEP_2) | instskip(NEXT) | instid1(VALU_DEP_2)
	v_floor_f32_e32 v3, v3
	v_mov_b32_e32 v11, v10
	s_delay_alu instid0(VALU_DEP_2) | instskip(SKIP_1) | instid1(VALU_DEP_2)
	v_fma_f32 v7, 0xcf800000, v3, |v1|
	v_cvt_u32_f32_e32 v1, v3
	v_cvt_u32_f32_e32 v3, v7
	s_delay_alu instid0(VALU_DEP_2) | instskip(NEXT) | instid1(VALU_DEP_2)
	v_xor_b32_e32 v17, v1, v10
	v_xor_b32_e32 v16, v3, v10
	s_delay_alu instid0(VALU_DEP_1)
	v_sub_nc_u64_e32 v[10:11], v[16:17], v[10:11]
.LBB31_1110:
	s_or_b32 exec_lo, exec_lo, s40
	s_mov_b32 s40, 0
	s_branch .LBB31_1116
.LBB31_1111:
	s_mov_b32 s41, -1
                                        ; implicit-def: $vgpr10_vgpr11
	s_branch .LBB31_1122
.LBB31_1112:
	s_and_not1_saveexec_b32 s40, s40
	s_cbranch_execz .LBB31_1097
.LBB31_1113:
	v_cmp_ne_u16_e32 vcc_lo, 0, v1
	s_and_not1_b32 s20, s41, exec_lo
	s_and_b32 s21, vcc_lo, exec_lo
	s_delay_alu instid0(SALU_CYCLE_1)
	s_or_b32 s41, s20, s21
	s_or_b32 exec_lo, exec_lo, s40
	v_mov_b64_e32 v[10:11], 0
	s_and_saveexec_b32 s40, s41
	s_cbranch_execnz .LBB31_1098
	s_branch .LBB31_1099
.LBB31_1114:
	s_mov_b32 s40, -1
                                        ; implicit-def: $vgpr10_vgpr11
	s_branch .LBB31_1119
.LBB31_1115:
	s_mov_b32 s40, -1
                                        ; implicit-def: $vgpr10_vgpr11
.LBB31_1116:
	s_delay_alu instid0(SALU_CYCLE_1)
	s_and_b32 vcc_lo, exec_lo, s40
	s_cbranch_vccz .LBB31_1118
; %bb.1117:
	global_load_u8 v1, v[14:15], off
	s_wait_loadcnt 0x0
	v_lshlrev_b32_e32 v1, 24, v1
	s_delay_alu instid0(VALU_DEP_1) | instskip(NEXT) | instid1(VALU_DEP_1)
	v_and_b32_e32 v3, 0x7f000000, v1
	v_clz_i32_u32_e32 v7, v3
	v_add_nc_u32_e32 v11, 0x1000000, v3
	v_cmp_ne_u32_e32 vcc_lo, 0, v3
	s_delay_alu instid0(VALU_DEP_3) | instskip(NEXT) | instid1(VALU_DEP_1)
	v_min_u32_e32 v7, 32, v7
	v_sub_nc_u32_e64 v7, v7, 4 clamp
	s_delay_alu instid0(VALU_DEP_1) | instskip(NEXT) | instid1(VALU_DEP_1)
	v_lshlrev_b32_e32 v10, v7, v3
	v_dual_lshlrev_b32 v7, 23, v7 :: v_dual_lshrrev_b32 v10, 4, v10
	s_delay_alu instid0(VALU_DEP_1) | instskip(SKIP_1) | instid1(VALU_DEP_2)
	v_sub_nc_u32_e32 v7, v10, v7
	v_ashrrev_i32_e32 v10, 8, v11
	v_add_nc_u32_e32 v7, 0x3c000000, v7
	s_delay_alu instid0(VALU_DEP_1) | instskip(NEXT) | instid1(VALU_DEP_1)
	v_and_or_b32 v7, 0x7f800000, v10, v7
	v_cndmask_b32_e32 v3, 0, v7, vcc_lo
	s_delay_alu instid0(VALU_DEP_1) | instskip(NEXT) | instid1(VALU_DEP_1)
	v_and_or_b32 v1, 0x80000000, v1, v3
	v_trunc_f32_e32 v1, v1
	s_delay_alu instid0(VALU_DEP_1) | instskip(SKIP_1) | instid1(VALU_DEP_2)
	v_mul_f32_e64 v3, 0x2f800000, |v1|
	v_ashrrev_i32_e32 v10, 31, v1
	v_floor_f32_e32 v3, v3
	s_delay_alu instid0(VALU_DEP_2) | instskip(NEXT) | instid1(VALU_DEP_2)
	v_mov_b32_e32 v11, v10
	v_fma_f32 v7, 0xcf800000, v3, |v1|
	v_cvt_u32_f32_e32 v1, v3
	s_delay_alu instid0(VALU_DEP_2) | instskip(NEXT) | instid1(VALU_DEP_2)
	v_cvt_u32_f32_e32 v3, v7
	v_xor_b32_e32 v17, v1, v10
	s_delay_alu instid0(VALU_DEP_2) | instskip(NEXT) | instid1(VALU_DEP_1)
	v_xor_b32_e32 v16, v3, v10
	v_sub_nc_u64_e32 v[10:11], v[16:17], v[10:11]
.LBB31_1118:
	s_mov_b32 s40, 0
.LBB31_1119:
	s_delay_alu instid0(SALU_CYCLE_1)
	s_and_not1_b32 vcc_lo, exec_lo, s40
	s_cbranch_vccnz .LBB31_1121
; %bb.1120:
	global_load_u8 v1, v[14:15], off
	s_wait_loadcnt 0x0
	v_lshlrev_b32_e32 v3, 25, v1
	v_lshlrev_b16 v1, 8, v1
	s_delay_alu instid0(VALU_DEP_1) | instskip(SKIP_1) | instid1(VALU_DEP_2)
	v_and_or_b32 v10, 0x7f00, v1, 0.5
	v_bfe_i32 v1, v1, 0, 16
	v_dual_add_f32 v10, -0.5, v10 :: v_dual_lshrrev_b32 v7, 4, v3
	v_cmp_gt_u32_e32 vcc_lo, 0x8000000, v3
	s_delay_alu instid0(VALU_DEP_2) | instskip(NEXT) | instid1(VALU_DEP_1)
	v_or_b32_e32 v7, 0x70000000, v7
	v_mul_f32_e32 v7, 0x7800000, v7
	s_delay_alu instid0(VALU_DEP_1) | instskip(NEXT) | instid1(VALU_DEP_1)
	v_cndmask_b32_e32 v3, v7, v10, vcc_lo
	v_and_or_b32 v1, 0x80000000, v1, v3
	s_delay_alu instid0(VALU_DEP_1) | instskip(NEXT) | instid1(VALU_DEP_1)
	v_trunc_f32_e32 v1, v1
	v_mul_f32_e64 v3, 0x2f800000, |v1|
	v_ashrrev_i32_e32 v10, 31, v1
	s_delay_alu instid0(VALU_DEP_2) | instskip(NEXT) | instid1(VALU_DEP_2)
	v_floor_f32_e32 v3, v3
	v_mov_b32_e32 v11, v10
	s_delay_alu instid0(VALU_DEP_2) | instskip(SKIP_1) | instid1(VALU_DEP_2)
	v_fma_f32 v7, 0xcf800000, v3, |v1|
	v_cvt_u32_f32_e32 v1, v3
	v_cvt_u32_f32_e32 v3, v7
	s_delay_alu instid0(VALU_DEP_2) | instskip(NEXT) | instid1(VALU_DEP_2)
	v_xor_b32_e32 v17, v1, v10
	v_xor_b32_e32 v16, v3, v10
	s_delay_alu instid0(VALU_DEP_1)
	v_sub_nc_u64_e32 v[10:11], v[16:17], v[10:11]
.LBB31_1121:
	s_mov_b32 s41, 0
	s_mov_b32 s40, -1
.LBB31_1122:
	s_and_not1_b32 vcc_lo, exec_lo, s41
	s_cbranch_vccnz .LBB31_1135
; %bb.1123:
	s_cmp_gt_i32 s35, 14
	s_cbranch_scc0 .LBB31_1126
; %bb.1124:
	s_cmp_eq_u32 s35, 15
	s_cbranch_scc0 .LBB31_1129
; %bb.1125:
	global_load_u16 v1, v[14:15], off
	s_mov_b32 s40, -1
	s_mov_b32 s92, 0
	s_wait_loadcnt 0x0
	v_lshlrev_b32_e32 v1, 16, v1
	s_delay_alu instid0(VALU_DEP_1) | instskip(NEXT) | instid1(VALU_DEP_1)
	v_trunc_f32_e32 v1, v1
	v_mul_f32_e64 v3, 0x2f800000, |v1|
	v_ashrrev_i32_e32 v10, 31, v1
	s_delay_alu instid0(VALU_DEP_2) | instskip(NEXT) | instid1(VALU_DEP_2)
	v_floor_f32_e32 v3, v3
	v_mov_b32_e32 v11, v10
	s_delay_alu instid0(VALU_DEP_2) | instskip(SKIP_1) | instid1(VALU_DEP_2)
	v_fma_f32 v7, 0xcf800000, v3, |v1|
	v_cvt_u32_f32_e32 v1, v3
	v_cvt_u32_f32_e32 v3, v7
	s_delay_alu instid0(VALU_DEP_2) | instskip(NEXT) | instid1(VALU_DEP_2)
	v_xor_b32_e32 v17, v1, v10
	v_xor_b32_e32 v16, v3, v10
	s_delay_alu instid0(VALU_DEP_1)
	v_sub_nc_u64_e32 v[10:11], v[16:17], v[10:11]
	s_branch .LBB31_1130
.LBB31_1126:
	s_mov_b32 s41, -1
                                        ; implicit-def: $vgpr10_vgpr11
	s_branch .LBB31_1131
.LBB31_1127:
	s_and_not1_saveexec_b32 s40, s40
	s_cbranch_execz .LBB31_1108
.LBB31_1128:
	v_cmp_ne_u16_e32 vcc_lo, 0, v1
	s_and_not1_b32 s20, s41, exec_lo
	s_and_b32 s21, vcc_lo, exec_lo
	s_delay_alu instid0(SALU_CYCLE_1)
	s_or_b32 s41, s20, s21
	s_or_b32 exec_lo, exec_lo, s40
	v_mov_b64_e32 v[10:11], 0
	s_and_saveexec_b32 s40, s41
	s_cbranch_execnz .LBB31_1109
	s_branch .LBB31_1110
.LBB31_1129:
	s_mov_b32 s92, -1
                                        ; implicit-def: $vgpr10_vgpr11
.LBB31_1130:
	s_mov_b32 s41, 0
.LBB31_1131:
	s_delay_alu instid0(SALU_CYCLE_1)
	s_and_b32 vcc_lo, exec_lo, s41
	s_cbranch_vccz .LBB31_1135
; %bb.1132:
	s_cmp_eq_u32 s35, 11
	s_cbranch_scc0 .LBB31_1134
; %bb.1133:
	global_load_u8 v1, v[14:15], off
	s_mov_b32 s92, 0
	s_mov_b32 s40, -1
	s_wait_loadcnt 0x1
	v_mov_b32_e32 v11, s92
	s_wait_loadcnt 0x0
	v_cmp_ne_u16_e32 vcc_lo, 0, v1
	v_cndmask_b32_e64 v10, 0, 1, vcc_lo
	s_branch .LBB31_1135
.LBB31_1134:
	s_mov_b32 s92, -1
                                        ; implicit-def: $vgpr10_vgpr11
.LBB31_1135:
	s_mov_b32 s35, 0
.LBB31_1136:
	s_delay_alu instid0(SALU_CYCLE_1)
	s_and_b32 vcc_lo, exec_lo, s35
	s_cbranch_vccz .LBB31_1185
; %bb.1137:
	s_and_b32 s0, 0xffff, s0
	s_delay_alu instid0(SALU_CYCLE_1)
	s_cmp_lt_i32 s0, 5
	s_cbranch_scc1 .LBB31_1142
; %bb.1138:
	s_cmp_lt_i32 s0, 8
	s_cbranch_scc1 .LBB31_1143
; %bb.1139:
	;; [unrolled: 3-line block ×3, first 2 shown]
	s_cmp_gt_i32 s0, 9
	s_cbranch_scc0 .LBB31_1145
; %bb.1141:
	s_wait_loadcnt 0x0
	global_load_b64 v[10:11], v[14:15], off
	s_mov_b32 s35, 0
	s_wait_loadcnt 0x0
	v_trunc_f64_e32 v[10:11], v[10:11]
	s_delay_alu instid0(VALU_DEP_1) | instskip(NEXT) | instid1(VALU_DEP_1)
	v_ldexp_f64 v[16:17], v[10:11], 0xffffffe0
	v_floor_f64_e32 v[16:17], v[16:17]
	s_delay_alu instid0(VALU_DEP_1) | instskip(SKIP_1) | instid1(VALU_DEP_2)
	v_fmamk_f64 v[18:19], v[16:17], 0xc1f00000, v[10:11]
	v_cvt_i32_f64_e32 v11, v[16:17]
	v_cvt_u32_f64_e32 v10, v[18:19]
	s_branch .LBB31_1146
.LBB31_1142:
	s_mov_b32 s35, -1
                                        ; implicit-def: $vgpr10_vgpr11
	s_branch .LBB31_1164
.LBB31_1143:
	s_mov_b32 s35, -1
                                        ; implicit-def: $vgpr10_vgpr11
	s_branch .LBB31_1152
.LBB31_1144:
	s_mov_b32 s35, -1
                                        ; implicit-def: $vgpr10_vgpr11
	s_branch .LBB31_1149
.LBB31_1145:
	s_mov_b32 s35, -1
                                        ; implicit-def: $vgpr10_vgpr11
.LBB31_1146:
	s_delay_alu instid0(SALU_CYCLE_1)
	s_and_not1_b32 vcc_lo, exec_lo, s35
	s_cbranch_vccnz .LBB31_1148
; %bb.1147:
	global_load_b32 v1, v[14:15], off
	s_wait_loadcnt 0x0
	v_trunc_f32_e32 v1, v1
	s_delay_alu instid0(VALU_DEP_1) | instskip(SKIP_1) | instid1(VALU_DEP_2)
	v_mul_f32_e64 v3, 0x2f800000, |v1|
	v_ashrrev_i32_e32 v10, 31, v1
	v_floor_f32_e32 v3, v3
	s_delay_alu instid0(VALU_DEP_1) | instskip(SKIP_1) | instid1(VALU_DEP_4)
	v_fma_f32 v7, 0xcf800000, v3, |v1|
	v_cvt_u32_f32_e32 v1, v3
	v_mov_b32_e32 v11, v10
	s_delay_alu instid0(VALU_DEP_3) | instskip(NEXT) | instid1(VALU_DEP_3)
	v_cvt_u32_f32_e32 v3, v7
	v_xor_b32_e32 v17, v1, v10
	s_delay_alu instid0(VALU_DEP_2) | instskip(NEXT) | instid1(VALU_DEP_1)
	v_xor_b32_e32 v16, v3, v10
	v_sub_nc_u64_e32 v[10:11], v[16:17], v[10:11]
.LBB31_1148:
	s_mov_b32 s35, 0
.LBB31_1149:
	s_delay_alu instid0(SALU_CYCLE_1)
	s_and_not1_b32 vcc_lo, exec_lo, s35
	s_cbranch_vccnz .LBB31_1151
; %bb.1150:
	global_load_b32 v1, v[14:15], off
	s_wait_loadcnt 0x0
	v_cvt_f32_f16_e32 v1, v1
	s_delay_alu instid0(VALU_DEP_1) | instskip(NEXT) | instid1(VALU_DEP_1)
	v_cvt_i32_f32_e32 v10, v1
	v_ashrrev_i32_e32 v11, 31, v10
.LBB31_1151:
	s_mov_b32 s35, 0
.LBB31_1152:
	s_delay_alu instid0(SALU_CYCLE_1)
	s_and_not1_b32 vcc_lo, exec_lo, s35
	s_cbranch_vccnz .LBB31_1163
; %bb.1153:
	s_cmp_lt_i32 s0, 6
	s_cbranch_scc1 .LBB31_1156
; %bb.1154:
	s_cmp_gt_i32 s0, 6
	s_cbranch_scc0 .LBB31_1157
; %bb.1155:
	s_wait_loadcnt 0x0
	global_load_b64 v[10:11], v[14:15], off
	s_mov_b32 s35, 0
	s_wait_loadcnt 0x0
	v_trunc_f64_e32 v[10:11], v[10:11]
	s_delay_alu instid0(VALU_DEP_1) | instskip(NEXT) | instid1(VALU_DEP_1)
	v_ldexp_f64 v[16:17], v[10:11], 0xffffffe0
	v_floor_f64_e32 v[16:17], v[16:17]
	s_delay_alu instid0(VALU_DEP_1) | instskip(SKIP_1) | instid1(VALU_DEP_2)
	v_fmamk_f64 v[18:19], v[16:17], 0xc1f00000, v[10:11]
	v_cvt_i32_f64_e32 v11, v[16:17]
	v_cvt_u32_f64_e32 v10, v[18:19]
	s_branch .LBB31_1158
.LBB31_1156:
	s_mov_b32 s35, -1
                                        ; implicit-def: $vgpr10_vgpr11
	s_branch .LBB31_1161
.LBB31_1157:
	s_mov_b32 s35, -1
                                        ; implicit-def: $vgpr10_vgpr11
.LBB31_1158:
	s_delay_alu instid0(SALU_CYCLE_1)
	s_and_not1_b32 vcc_lo, exec_lo, s35
	s_cbranch_vccnz .LBB31_1160
; %bb.1159:
	global_load_b32 v1, v[14:15], off
	s_wait_loadcnt 0x0
	v_trunc_f32_e32 v1, v1
	s_delay_alu instid0(VALU_DEP_1) | instskip(SKIP_1) | instid1(VALU_DEP_2)
	v_mul_f32_e64 v3, 0x2f800000, |v1|
	v_ashrrev_i32_e32 v10, 31, v1
	v_floor_f32_e32 v3, v3
	s_delay_alu instid0(VALU_DEP_1) | instskip(SKIP_1) | instid1(VALU_DEP_4)
	v_fma_f32 v7, 0xcf800000, v3, |v1|
	v_cvt_u32_f32_e32 v1, v3
	v_mov_b32_e32 v11, v10
	s_delay_alu instid0(VALU_DEP_3) | instskip(NEXT) | instid1(VALU_DEP_3)
	v_cvt_u32_f32_e32 v3, v7
	v_xor_b32_e32 v17, v1, v10
	s_delay_alu instid0(VALU_DEP_2) | instskip(NEXT) | instid1(VALU_DEP_1)
	v_xor_b32_e32 v16, v3, v10
	v_sub_nc_u64_e32 v[10:11], v[16:17], v[10:11]
.LBB31_1160:
	s_mov_b32 s35, 0
.LBB31_1161:
	s_delay_alu instid0(SALU_CYCLE_1)
	s_and_not1_b32 vcc_lo, exec_lo, s35
	s_cbranch_vccnz .LBB31_1163
; %bb.1162:
	global_load_u16 v1, v[14:15], off
	s_wait_loadcnt 0x0
	v_cvt_f32_f16_e32 v1, v1
	s_delay_alu instid0(VALU_DEP_1) | instskip(NEXT) | instid1(VALU_DEP_1)
	v_cvt_i32_f32_e32 v10, v1
	v_ashrrev_i32_e32 v11, 31, v10
.LBB31_1163:
	s_mov_b32 s35, 0
.LBB31_1164:
	s_delay_alu instid0(SALU_CYCLE_1)
	s_and_not1_b32 vcc_lo, exec_lo, s35
	s_cbranch_vccnz .LBB31_1184
; %bb.1165:
	s_cmp_lt_i32 s0, 2
	s_cbranch_scc1 .LBB31_1169
; %bb.1166:
	s_cmp_lt_i32 s0, 3
	s_cbranch_scc1 .LBB31_1170
; %bb.1167:
	s_cmp_gt_i32 s0, 3
	s_cbranch_scc0 .LBB31_1171
; %bb.1168:
	s_wait_loadcnt 0x0
	global_load_b64 v[10:11], v[14:15], off
	s_mov_b32 s35, 0
	s_branch .LBB31_1172
.LBB31_1169:
	s_mov_b32 s35, -1
                                        ; implicit-def: $vgpr10_vgpr11
	s_branch .LBB31_1178
.LBB31_1170:
	s_mov_b32 s35, -1
                                        ; implicit-def: $vgpr10_vgpr11
	s_branch .LBB31_1175
.LBB31_1171:
	s_mov_b32 s35, -1
                                        ; implicit-def: $vgpr10_vgpr11
.LBB31_1172:
	s_delay_alu instid0(SALU_CYCLE_1)
	s_and_not1_b32 vcc_lo, exec_lo, s35
	s_cbranch_vccnz .LBB31_1174
; %bb.1173:
	s_wait_loadcnt 0x0
	global_load_b32 v10, v[14:15], off
	s_wait_loadcnt 0x0
	v_ashrrev_i32_e32 v11, 31, v10
.LBB31_1174:
	s_mov_b32 s35, 0
.LBB31_1175:
	s_delay_alu instid0(SALU_CYCLE_1)
	s_and_not1_b32 vcc_lo, exec_lo, s35
	s_cbranch_vccnz .LBB31_1177
; %bb.1176:
	global_load_u16 v1, v[14:15], off
	s_wait_loadcnt 0x0
	v_bfe_i32 v10, v1, 0, 16
	s_delay_alu instid0(VALU_DEP_1)
	v_ashrrev_i32_e32 v11, 31, v10
.LBB31_1177:
	s_mov_b32 s35, 0
.LBB31_1178:
	s_delay_alu instid0(SALU_CYCLE_1)
	s_and_not1_b32 vcc_lo, exec_lo, s35
	s_cbranch_vccnz .LBB31_1184
; %bb.1179:
	s_cmp_gt_i32 s0, 0
	s_mov_b32 s0, 0
	s_cbranch_scc0 .LBB31_1181
; %bb.1180:
	global_load_i8 v1, v[14:15], off
	s_wait_loadcnt 0x0
	v_bfe_i32 v10, v1, 0, 16
	s_delay_alu instid0(VALU_DEP_1)
	v_ashrrev_i32_e32 v11, 31, v10
	s_branch .LBB31_1182
.LBB31_1181:
	s_mov_b32 s0, -1
                                        ; implicit-def: $vgpr10_vgpr11
.LBB31_1182:
	s_delay_alu instid0(SALU_CYCLE_1)
	s_and_not1_b32 vcc_lo, exec_lo, s0
	s_cbranch_vccnz .LBB31_1184
; %bb.1183:
	global_load_u8 v1, v[14:15], off
	s_mov_b32 s0, 0
	s_wait_loadcnt 0x1
	v_mov_b32_e32 v11, s0
	s_wait_loadcnt 0x0
	v_and_b32_e32 v10, 0xffff, v1
.LBB31_1184:
	s_mov_b32 s40, -1
.LBB31_1185:
	s_delay_alu instid0(SALU_CYCLE_1)
	s_and_not1_b32 vcc_lo, exec_lo, s40
	s_cbranch_vccnz .LBB31_1193
; %bb.1186:
	s_load_b512 s[4:19], s[2:3], 0x248
	v_mov_b32_e32 v7, 0
	s_and_b32 s0, s78, 0xff
	s_delay_alu instid0(SALU_CYCLE_1) | instskip(SKIP_1) | instid1(VALU_DEP_1)
	s_cmp_lt_i32 s0, 11
	s_wait_kmcnt 0x0
	v_add_nc_u64_e32 v[6:7], s[14:15], v[6:7]
	s_cbranch_scc1 .LBB31_1194
; %bb.1187:
	s_and_b32 s35, 0xffff, s0
	s_delay_alu instid0(SALU_CYCLE_1)
	s_cmp_gt_i32 s35, 25
	s_cbranch_scc0 .LBB31_1195
; %bb.1188:
	s_cmp_gt_i32 s35, 28
	s_cbranch_scc0 .LBB31_1196
; %bb.1189:
	;; [unrolled: 3-line block ×4, first 2 shown]
	s_cmp_eq_u32 s35, 46
	s_mov_b32 s41, 0
	s_cbranch_scc0 .LBB31_1200
; %bb.1192:
	global_load_b32 v1, v[6:7], off
	s_mov_b32 s40, -1
	s_mov_b32 s91, 0
	s_wait_loadcnt 0x0
	v_lshlrev_b32_e32 v1, 16, v1
	s_delay_alu instid0(VALU_DEP_1) | instskip(NEXT) | instid1(VALU_DEP_1)
	v_trunc_f32_e32 v1, v1
	v_mul_f32_e64 v3, 0x2f800000, |v1|
	v_ashrrev_i32_e32 v14, 31, v1
	s_delay_alu instid0(VALU_DEP_2) | instskip(NEXT) | instid1(VALU_DEP_1)
	v_floor_f32_e32 v3, v3
	v_fma_f32 v15, 0xcf800000, v3, |v1|
	v_cvt_u32_f32_e32 v1, v3
	s_delay_alu instid0(VALU_DEP_2) | instskip(NEXT) | instid1(VALU_DEP_2)
	v_cvt_u32_f32_e32 v3, v15
	v_dual_mov_b32 v15, v14 :: v_dual_bitop2_b32 v17, v1, v14 bitop3:0x14
	s_delay_alu instid0(VALU_DEP_2) | instskip(NEXT) | instid1(VALU_DEP_1)
	v_xor_b32_e32 v16, v3, v14
	v_sub_nc_u64_e32 v[14:15], v[16:17], v[14:15]
	s_branch .LBB31_1202
.LBB31_1193:
	s_mov_b32 s0, 0
	s_mov_b32 s35, s64
	;; [unrolled: 1-line block ×7, first 2 shown]
	s_branch .LBB31_1324
.LBB31_1194:
	s_mov_b32 s35, -1
	s_mov_b32 s40, 0
	s_mov_b32 s91, s82
                                        ; implicit-def: $vgpr14_vgpr15
	s_branch .LBB31_1263
.LBB31_1195:
	s_mov_b32 s41, -1
	s_mov_b32 s40, 0
	s_mov_b32 s91, s82
                                        ; implicit-def: $vgpr14_vgpr15
	s_branch .LBB31_1229
.LBB31_1196:
	s_mov_b32 s41, -1
	s_mov_b32 s40, 0
	s_mov_b32 s91, s82
                                        ; implicit-def: $vgpr14_vgpr15
	s_branch .LBB31_1212
.LBB31_1197:
	s_mov_b32 s41, -1
	s_mov_b32 s40, 0
	s_mov_b32 s91, s82
                                        ; implicit-def: $vgpr14_vgpr15
	s_branch .LBB31_1207
.LBB31_1198:
	s_mov_b32 s41, -1
	s_mov_b32 s40, 0
	s_mov_b32 s91, s82
	s_branch .LBB31_1201
.LBB31_1199:
	s_mov_b32 s56, -1
	s_mov_b32 s42, 0
	s_mov_b32 s55, 0
	s_branch .LBB31_1879
.LBB31_1200:
	s_mov_b32 s91, -1
	s_mov_b32 s40, 0
.LBB31_1201:
                                        ; implicit-def: $vgpr14_vgpr15
.LBB31_1202:
	s_and_b32 vcc_lo, exec_lo, s41
	s_cbranch_vccz .LBB31_1206
; %bb.1203:
	s_cmp_eq_u32 s35, 44
	s_cbranch_scc0 .LBB31_1205
; %bb.1204:
	global_load_u8 v1, v[6:7], off
	s_mov_b32 s91, 0
	s_mov_b32 s40, -1
	s_wait_loadcnt 0x0
	v_lshlrev_b32_e32 v3, 23, v1
	v_cmp_ne_u32_e32 vcc_lo, 0, v1
	s_delay_alu instid0(VALU_DEP_2) | instskip(NEXT) | instid1(VALU_DEP_1)
	v_trunc_f32_e32 v3, v3
	v_mul_f32_e64 v14, 0x2f800000, |v3|
	s_delay_alu instid0(VALU_DEP_1) | instskip(SKIP_1) | instid1(VALU_DEP_2)
	v_floor_f32_e32 v15, v14
	v_ashrrev_i32_e32 v14, 31, v3
	v_fma_f32 v16, 0xcf800000, v15, |v3|
	v_cvt_u32_f32_e32 v3, v15
	s_delay_alu instid0(VALU_DEP_3) | instskip(NEXT) | instid1(VALU_DEP_3)
	v_mov_b32_e32 v15, v14
	v_cvt_u32_f32_e32 v16, v16
	s_delay_alu instid0(VALU_DEP_3) | instskip(NEXT) | instid1(VALU_DEP_2)
	v_xor_b32_e32 v17, v3, v14
	v_xor_b32_e32 v16, v16, v14
	s_delay_alu instid0(VALU_DEP_1) | instskip(NEXT) | instid1(VALU_DEP_1)
	v_sub_nc_u64_e32 v[14:15], v[16:17], v[14:15]
	v_dual_cndmask_b32 v15, 0, v15 :: v_dual_cndmask_b32 v14, 0, v14
	s_branch .LBB31_1206
.LBB31_1205:
	s_mov_b32 s91, -1
                                        ; implicit-def: $vgpr14_vgpr15
.LBB31_1206:
	s_mov_b32 s41, 0
.LBB31_1207:
	s_delay_alu instid0(SALU_CYCLE_1)
	s_and_b32 vcc_lo, exec_lo, s41
	s_cbranch_vccz .LBB31_1211
; %bb.1208:
	s_cmp_eq_u32 s35, 29
	s_cbranch_scc0 .LBB31_1210
; %bb.1209:
	global_load_b64 v[14:15], v[6:7], off
	s_mov_b32 s40, -1
	s_mov_b32 s91, 0
	s_branch .LBB31_1211
.LBB31_1210:
	s_mov_b32 s91, -1
                                        ; implicit-def: $vgpr14_vgpr15
.LBB31_1211:
	s_mov_b32 s41, 0
.LBB31_1212:
	s_delay_alu instid0(SALU_CYCLE_1)
	s_and_b32 vcc_lo, exec_lo, s41
	s_cbranch_vccz .LBB31_1228
; %bb.1213:
	s_cmp_lt_i32 s35, 27
	s_cbranch_scc1 .LBB31_1216
; %bb.1214:
	s_cmp_gt_i32 s35, 27
	s_cbranch_scc0 .LBB31_1217
; %bb.1215:
	s_wait_loadcnt 0x0
	global_load_b32 v14, v[6:7], off
	v_mov_b32_e32 v15, 0
	s_mov_b32 s40, 0
	s_branch .LBB31_1218
.LBB31_1216:
	s_mov_b32 s40, -1
                                        ; implicit-def: $vgpr14_vgpr15
	s_branch .LBB31_1221
.LBB31_1217:
	s_mov_b32 s40, -1
                                        ; implicit-def: $vgpr14_vgpr15
.LBB31_1218:
	s_delay_alu instid0(SALU_CYCLE_1)
	s_and_not1_b32 vcc_lo, exec_lo, s40
	s_cbranch_vccnz .LBB31_1220
; %bb.1219:
	global_load_u16 v1, v[6:7], off
	s_mov_b32 s20, 0
	s_wait_loadcnt 0x1
	v_mov_b32_e32 v15, s20
	s_wait_loadcnt 0x0
	v_and_b32_e32 v14, 0xffff, v1
.LBB31_1220:
	s_mov_b32 s40, 0
.LBB31_1221:
	s_delay_alu instid0(SALU_CYCLE_1)
	s_and_not1_b32 vcc_lo, exec_lo, s40
	s_cbranch_vccnz .LBB31_1227
; %bb.1222:
	global_load_u8 v1, v[6:7], off
	s_mov_b32 s41, 0
	s_mov_b32 s20, exec_lo
	s_wait_loadcnt 0x0
	v_cmpx_lt_i16_e32 0x7f, v1
	s_xor_b32 s40, exec_lo, s20
	s_cbranch_execz .LBB31_1239
; %bb.1223:
	v_cmp_ne_u16_e32 vcc_lo, 0x80, v1
	s_and_b32 s41, vcc_lo, exec_lo
	s_and_not1_saveexec_b32 s40, s40
	s_cbranch_execnz .LBB31_1240
.LBB31_1224:
	s_or_b32 exec_lo, exec_lo, s40
	v_mov_b64_e32 v[14:15], 0
	s_and_saveexec_b32 s40, s41
	s_cbranch_execz .LBB31_1226
.LBB31_1225:
	v_and_b32_e32 v3, 0xffff, v1
	s_delay_alu instid0(VALU_DEP_1) | instskip(SKIP_1) | instid1(VALU_DEP_2)
	v_dual_lshlrev_b32 v1, 24, v1 :: v_dual_bitop2_b32 v14, 7, v3 bitop3:0x40
	v_bfe_u32 v17, v3, 3, 4
	v_and_b32_e32 v1, 0x80000000, v1
	s_delay_alu instid0(VALU_DEP_3) | instskip(NEXT) | instid1(VALU_DEP_3)
	v_clz_i32_u32_e32 v15, v14
	v_cmp_eq_u32_e32 vcc_lo, 0, v17
	s_delay_alu instid0(VALU_DEP_2) | instskip(NEXT) | instid1(VALU_DEP_1)
	v_min_u32_e32 v15, 32, v15
	v_subrev_nc_u32_e32 v16, 28, v15
	v_sub_nc_u32_e32 v15, 29, v15
	s_delay_alu instid0(VALU_DEP_2) | instskip(NEXT) | instid1(VALU_DEP_2)
	v_lshlrev_b32_e32 v3, v16, v3
	v_cndmask_b32_e32 v15, v17, v15, vcc_lo
	s_delay_alu instid0(VALU_DEP_2) | instskip(NEXT) | instid1(VALU_DEP_1)
	v_and_b32_e32 v3, 7, v3
	v_cndmask_b32_e32 v3, v14, v3, vcc_lo
	s_delay_alu instid0(VALU_DEP_3) | instskip(NEXT) | instid1(VALU_DEP_2)
	v_lshl_add_u32 v14, v15, 23, 0x3b800000
	v_lshlrev_b32_e32 v3, 20, v3
	s_delay_alu instid0(VALU_DEP_1) | instskip(NEXT) | instid1(VALU_DEP_1)
	v_or3_b32 v1, v1, v14, v3
	v_trunc_f32_e32 v1, v1
	s_delay_alu instid0(VALU_DEP_1) | instskip(SKIP_1) | instid1(VALU_DEP_2)
	v_mul_f32_e64 v3, 0x2f800000, |v1|
	v_ashrrev_i32_e32 v14, 31, v1
	v_floor_f32_e32 v3, v3
	s_delay_alu instid0(VALU_DEP_1) | instskip(SKIP_1) | instid1(VALU_DEP_2)
	v_fma_f32 v15, 0xcf800000, v3, |v1|
	v_cvt_u32_f32_e32 v1, v3
	v_cvt_u32_f32_e32 v3, v15
	s_delay_alu instid0(VALU_DEP_2) | instskip(NEXT) | instid1(VALU_DEP_2)
	v_dual_mov_b32 v15, v14 :: v_dual_bitop2_b32 v17, v1, v14 bitop3:0x14
	v_xor_b32_e32 v16, v3, v14
	s_delay_alu instid0(VALU_DEP_1)
	v_sub_nc_u64_e32 v[14:15], v[16:17], v[14:15]
.LBB31_1226:
	s_or_b32 exec_lo, exec_lo, s40
.LBB31_1227:
	s_mov_b32 s40, -1
.LBB31_1228:
	s_mov_b32 s41, 0
.LBB31_1229:
	s_delay_alu instid0(SALU_CYCLE_1)
	s_and_b32 vcc_lo, exec_lo, s41
	s_cbranch_vccz .LBB31_1262
; %bb.1230:
	s_cmp_gt_i32 s35, 22
	s_cbranch_scc0 .LBB31_1238
; %bb.1231:
	s_cmp_lt_i32 s35, 24
	s_cbranch_scc1 .LBB31_1241
; %bb.1232:
	s_cmp_gt_i32 s35, 24
	s_cbranch_scc0 .LBB31_1242
; %bb.1233:
	global_load_u8 v1, v[6:7], off
	s_mov_b32 s41, 0
	s_mov_b32 s20, exec_lo
	s_wait_loadcnt 0x0
	v_cmpx_lt_i16_e32 0x7f, v1
	s_xor_b32 s40, exec_lo, s20
	s_cbranch_execz .LBB31_1254
; %bb.1234:
	v_cmp_ne_u16_e32 vcc_lo, 0x80, v1
	s_and_b32 s41, vcc_lo, exec_lo
	s_and_not1_saveexec_b32 s40, s40
	s_cbranch_execnz .LBB31_1255
.LBB31_1235:
	s_or_b32 exec_lo, exec_lo, s40
	v_mov_b64_e32 v[14:15], 0
	s_and_saveexec_b32 s40, s41
	s_cbranch_execz .LBB31_1237
.LBB31_1236:
	v_and_b32_e32 v3, 0xffff, v1
	s_delay_alu instid0(VALU_DEP_1) | instskip(SKIP_1) | instid1(VALU_DEP_2)
	v_dual_lshlrev_b32 v1, 24, v1 :: v_dual_bitop2_b32 v14, 3, v3 bitop3:0x40
	v_bfe_u32 v17, v3, 2, 5
	v_and_b32_e32 v1, 0x80000000, v1
	s_delay_alu instid0(VALU_DEP_3) | instskip(NEXT) | instid1(VALU_DEP_3)
	v_clz_i32_u32_e32 v15, v14
	v_cmp_eq_u32_e32 vcc_lo, 0, v17
	s_delay_alu instid0(VALU_DEP_2) | instskip(NEXT) | instid1(VALU_DEP_1)
	v_min_u32_e32 v15, 32, v15
	v_subrev_nc_u32_e32 v16, 29, v15
	v_sub_nc_u32_e32 v15, 30, v15
	s_delay_alu instid0(VALU_DEP_2) | instskip(NEXT) | instid1(VALU_DEP_2)
	v_lshlrev_b32_e32 v3, v16, v3
	v_cndmask_b32_e32 v15, v17, v15, vcc_lo
	s_delay_alu instid0(VALU_DEP_2) | instskip(NEXT) | instid1(VALU_DEP_1)
	v_and_b32_e32 v3, 3, v3
	v_cndmask_b32_e32 v3, v14, v3, vcc_lo
	s_delay_alu instid0(VALU_DEP_3) | instskip(NEXT) | instid1(VALU_DEP_2)
	v_lshl_add_u32 v14, v15, 23, 0x37800000
	v_lshlrev_b32_e32 v3, 21, v3
	s_delay_alu instid0(VALU_DEP_1) | instskip(NEXT) | instid1(VALU_DEP_1)
	v_or3_b32 v1, v1, v14, v3
	v_trunc_f32_e32 v1, v1
	s_delay_alu instid0(VALU_DEP_1) | instskip(SKIP_1) | instid1(VALU_DEP_2)
	v_mul_f32_e64 v3, 0x2f800000, |v1|
	v_ashrrev_i32_e32 v14, 31, v1
	v_floor_f32_e32 v3, v3
	s_delay_alu instid0(VALU_DEP_1) | instskip(SKIP_1) | instid1(VALU_DEP_2)
	v_fma_f32 v15, 0xcf800000, v3, |v1|
	v_cvt_u32_f32_e32 v1, v3
	v_cvt_u32_f32_e32 v3, v15
	s_delay_alu instid0(VALU_DEP_2) | instskip(NEXT) | instid1(VALU_DEP_2)
	v_dual_mov_b32 v15, v14 :: v_dual_bitop2_b32 v17, v1, v14 bitop3:0x14
	v_xor_b32_e32 v16, v3, v14
	s_delay_alu instid0(VALU_DEP_1)
	v_sub_nc_u64_e32 v[14:15], v[16:17], v[14:15]
.LBB31_1237:
	s_or_b32 exec_lo, exec_lo, s40
	s_mov_b32 s40, 0
	s_branch .LBB31_1243
.LBB31_1238:
	s_mov_b32 s41, -1
                                        ; implicit-def: $vgpr14_vgpr15
	s_branch .LBB31_1249
.LBB31_1239:
	s_and_not1_saveexec_b32 s40, s40
	s_cbranch_execz .LBB31_1224
.LBB31_1240:
	v_cmp_ne_u16_e32 vcc_lo, 0, v1
	s_and_not1_b32 s20, s41, exec_lo
	s_and_b32 s21, vcc_lo, exec_lo
	s_delay_alu instid0(SALU_CYCLE_1)
	s_or_b32 s41, s20, s21
	s_or_b32 exec_lo, exec_lo, s40
	v_mov_b64_e32 v[14:15], 0
	s_and_saveexec_b32 s40, s41
	s_cbranch_execnz .LBB31_1225
	s_branch .LBB31_1226
.LBB31_1241:
	s_mov_b32 s40, -1
                                        ; implicit-def: $vgpr14_vgpr15
	s_branch .LBB31_1246
.LBB31_1242:
	s_mov_b32 s40, -1
                                        ; implicit-def: $vgpr14_vgpr15
.LBB31_1243:
	s_delay_alu instid0(SALU_CYCLE_1)
	s_and_b32 vcc_lo, exec_lo, s40
	s_cbranch_vccz .LBB31_1245
; %bb.1244:
	global_load_u8 v1, v[6:7], off
	s_wait_loadcnt 0x0
	v_lshlrev_b32_e32 v1, 24, v1
	s_delay_alu instid0(VALU_DEP_1) | instskip(NEXT) | instid1(VALU_DEP_1)
	v_and_b32_e32 v3, 0x7f000000, v1
	v_clz_i32_u32_e32 v14, v3
	v_cmp_ne_u32_e32 vcc_lo, 0, v3
	v_add_nc_u32_e32 v16, 0x1000000, v3
	s_delay_alu instid0(VALU_DEP_3) | instskip(NEXT) | instid1(VALU_DEP_1)
	v_min_u32_e32 v14, 32, v14
	v_sub_nc_u32_e64 v14, v14, 4 clamp
	s_delay_alu instid0(VALU_DEP_1) | instskip(NEXT) | instid1(VALU_DEP_1)
	v_dual_lshlrev_b32 v15, v14, v3 :: v_dual_lshlrev_b32 v14, 23, v14
	v_lshrrev_b32_e32 v15, 4, v15
	s_delay_alu instid0(VALU_DEP_1) | instskip(NEXT) | instid1(VALU_DEP_1)
	v_dual_sub_nc_u32 v14, v15, v14 :: v_dual_ashrrev_i32 v15, 8, v16
	v_add_nc_u32_e32 v14, 0x3c000000, v14
	s_delay_alu instid0(VALU_DEP_1) | instskip(NEXT) | instid1(VALU_DEP_1)
	v_and_or_b32 v14, 0x7f800000, v15, v14
	v_cndmask_b32_e32 v3, 0, v14, vcc_lo
	s_delay_alu instid0(VALU_DEP_1) | instskip(NEXT) | instid1(VALU_DEP_1)
	v_and_or_b32 v1, 0x80000000, v1, v3
	v_trunc_f32_e32 v1, v1
	s_delay_alu instid0(VALU_DEP_1) | instskip(SKIP_1) | instid1(VALU_DEP_2)
	v_mul_f32_e64 v3, 0x2f800000, |v1|
	v_ashrrev_i32_e32 v14, 31, v1
	v_floor_f32_e32 v3, v3
	s_delay_alu instid0(VALU_DEP_1) | instskip(SKIP_1) | instid1(VALU_DEP_2)
	v_fma_f32 v15, 0xcf800000, v3, |v1|
	v_cvt_u32_f32_e32 v1, v3
	v_cvt_u32_f32_e32 v3, v15
	s_delay_alu instid0(VALU_DEP_2) | instskip(NEXT) | instid1(VALU_DEP_2)
	v_dual_mov_b32 v15, v14 :: v_dual_bitop2_b32 v17, v1, v14 bitop3:0x14
	v_xor_b32_e32 v16, v3, v14
	s_delay_alu instid0(VALU_DEP_1)
	v_sub_nc_u64_e32 v[14:15], v[16:17], v[14:15]
.LBB31_1245:
	s_mov_b32 s40, 0
.LBB31_1246:
	s_delay_alu instid0(SALU_CYCLE_1)
	s_and_not1_b32 vcc_lo, exec_lo, s40
	s_cbranch_vccnz .LBB31_1248
; %bb.1247:
	global_load_u8 v1, v[6:7], off
	s_wait_loadcnt 0x0
	v_lshlrev_b32_e32 v3, 25, v1
	v_lshlrev_b16 v1, 8, v1
	s_delay_alu instid0(VALU_DEP_1) | instskip(SKIP_1) | instid1(VALU_DEP_2)
	v_and_or_b32 v15, 0x7f00, v1, 0.5
	v_bfe_i32 v1, v1, 0, 16
	v_add_f32_e32 v15, -0.5, v15
	v_lshrrev_b32_e32 v14, 4, v3
	v_cmp_gt_u32_e32 vcc_lo, 0x8000000, v3
	s_delay_alu instid0(VALU_DEP_2) | instskip(NEXT) | instid1(VALU_DEP_1)
	v_or_b32_e32 v14, 0x70000000, v14
	v_mul_f32_e32 v14, 0x7800000, v14
	s_delay_alu instid0(VALU_DEP_1) | instskip(NEXT) | instid1(VALU_DEP_1)
	v_cndmask_b32_e32 v3, v14, v15, vcc_lo
	v_and_or_b32 v1, 0x80000000, v1, v3
	s_delay_alu instid0(VALU_DEP_1) | instskip(NEXT) | instid1(VALU_DEP_1)
	v_trunc_f32_e32 v1, v1
	v_mul_f32_e64 v3, 0x2f800000, |v1|
	v_ashrrev_i32_e32 v14, 31, v1
	s_delay_alu instid0(VALU_DEP_2) | instskip(NEXT) | instid1(VALU_DEP_1)
	v_floor_f32_e32 v3, v3
	v_fma_f32 v15, 0xcf800000, v3, |v1|
	v_cvt_u32_f32_e32 v1, v3
	s_delay_alu instid0(VALU_DEP_2) | instskip(NEXT) | instid1(VALU_DEP_2)
	v_cvt_u32_f32_e32 v3, v15
	v_dual_mov_b32 v15, v14 :: v_dual_bitop2_b32 v17, v1, v14 bitop3:0x14
	s_delay_alu instid0(VALU_DEP_2) | instskip(NEXT) | instid1(VALU_DEP_1)
	v_xor_b32_e32 v16, v3, v14
	v_sub_nc_u64_e32 v[14:15], v[16:17], v[14:15]
.LBB31_1248:
	s_mov_b32 s41, 0
	s_mov_b32 s40, -1
.LBB31_1249:
	s_and_not1_b32 vcc_lo, exec_lo, s41
	s_cbranch_vccnz .LBB31_1262
; %bb.1250:
	s_cmp_gt_i32 s35, 14
	s_cbranch_scc0 .LBB31_1253
; %bb.1251:
	s_cmp_eq_u32 s35, 15
	s_cbranch_scc0 .LBB31_1256
; %bb.1252:
	global_load_u16 v1, v[6:7], off
	s_mov_b32 s40, -1
	s_mov_b32 s91, 0
	s_wait_loadcnt 0x0
	v_lshlrev_b32_e32 v1, 16, v1
	s_delay_alu instid0(VALU_DEP_1) | instskip(NEXT) | instid1(VALU_DEP_1)
	v_trunc_f32_e32 v1, v1
	v_mul_f32_e64 v3, 0x2f800000, |v1|
	v_ashrrev_i32_e32 v14, 31, v1
	s_delay_alu instid0(VALU_DEP_2) | instskip(NEXT) | instid1(VALU_DEP_1)
	v_floor_f32_e32 v3, v3
	v_fma_f32 v15, 0xcf800000, v3, |v1|
	v_cvt_u32_f32_e32 v1, v3
	s_delay_alu instid0(VALU_DEP_2) | instskip(NEXT) | instid1(VALU_DEP_2)
	v_cvt_u32_f32_e32 v3, v15
	v_dual_mov_b32 v15, v14 :: v_dual_bitop2_b32 v17, v1, v14 bitop3:0x14
	s_delay_alu instid0(VALU_DEP_2) | instskip(NEXT) | instid1(VALU_DEP_1)
	v_xor_b32_e32 v16, v3, v14
	v_sub_nc_u64_e32 v[14:15], v[16:17], v[14:15]
	s_branch .LBB31_1257
.LBB31_1253:
	s_mov_b32 s41, -1
                                        ; implicit-def: $vgpr14_vgpr15
	s_branch .LBB31_1258
.LBB31_1254:
	s_and_not1_saveexec_b32 s40, s40
	s_cbranch_execz .LBB31_1235
.LBB31_1255:
	v_cmp_ne_u16_e32 vcc_lo, 0, v1
	s_and_not1_b32 s20, s41, exec_lo
	s_and_b32 s21, vcc_lo, exec_lo
	s_delay_alu instid0(SALU_CYCLE_1)
	s_or_b32 s41, s20, s21
	s_or_b32 exec_lo, exec_lo, s40
	v_mov_b64_e32 v[14:15], 0
	s_and_saveexec_b32 s40, s41
	s_cbranch_execnz .LBB31_1236
	s_branch .LBB31_1237
.LBB31_1256:
	s_mov_b32 s91, -1
                                        ; implicit-def: $vgpr14_vgpr15
.LBB31_1257:
	s_mov_b32 s41, 0
.LBB31_1258:
	s_delay_alu instid0(SALU_CYCLE_1)
	s_and_b32 vcc_lo, exec_lo, s41
	s_cbranch_vccz .LBB31_1262
; %bb.1259:
	s_cmp_eq_u32 s35, 11
	s_cbranch_scc0 .LBB31_1261
; %bb.1260:
	global_load_u8 v1, v[6:7], off
	s_mov_b32 s91, 0
	s_mov_b32 s40, -1
	s_wait_loadcnt 0x1
	v_mov_b32_e32 v15, s91
	s_wait_loadcnt 0x0
	v_cmp_ne_u16_e32 vcc_lo, 0, v1
	v_cndmask_b32_e64 v14, 0, 1, vcc_lo
	s_branch .LBB31_1262
.LBB31_1261:
	s_mov_b32 s91, -1
                                        ; implicit-def: $vgpr14_vgpr15
.LBB31_1262:
	s_mov_b32 s35, 0
.LBB31_1263:
	s_delay_alu instid0(SALU_CYCLE_1)
	s_and_b32 vcc_lo, exec_lo, s35
	s_cbranch_vccz .LBB31_1312
; %bb.1264:
	s_and_b32 s0, 0xffff, s0
	s_delay_alu instid0(SALU_CYCLE_1)
	s_cmp_lt_i32 s0, 5
	s_cbranch_scc1 .LBB31_1269
; %bb.1265:
	s_cmp_lt_i32 s0, 8
	s_cbranch_scc1 .LBB31_1270
; %bb.1266:
	;; [unrolled: 3-line block ×3, first 2 shown]
	s_cmp_gt_i32 s0, 9
	s_cbranch_scc0 .LBB31_1272
; %bb.1268:
	s_wait_loadcnt 0x0
	global_load_b64 v[14:15], v[6:7], off
	s_mov_b32 s35, 0
	s_wait_loadcnt 0x0
	v_trunc_f64_e32 v[14:15], v[14:15]
	s_delay_alu instid0(VALU_DEP_1) | instskip(NEXT) | instid1(VALU_DEP_1)
	v_ldexp_f64 v[16:17], v[14:15], 0xffffffe0
	v_floor_f64_e32 v[16:17], v[16:17]
	s_delay_alu instid0(VALU_DEP_1) | instskip(SKIP_1) | instid1(VALU_DEP_2)
	v_fmamk_f64 v[18:19], v[16:17], 0xc1f00000, v[14:15]
	v_cvt_i32_f64_e32 v15, v[16:17]
	v_cvt_u32_f64_e32 v14, v[18:19]
	s_branch .LBB31_1273
.LBB31_1269:
	s_mov_b32 s35, -1
                                        ; implicit-def: $vgpr14_vgpr15
	s_branch .LBB31_1291
.LBB31_1270:
	s_mov_b32 s35, -1
                                        ; implicit-def: $vgpr14_vgpr15
	s_branch .LBB31_1279
.LBB31_1271:
	s_mov_b32 s35, -1
                                        ; implicit-def: $vgpr14_vgpr15
	s_branch .LBB31_1276
.LBB31_1272:
	s_mov_b32 s35, -1
                                        ; implicit-def: $vgpr14_vgpr15
.LBB31_1273:
	s_delay_alu instid0(SALU_CYCLE_1)
	s_and_not1_b32 vcc_lo, exec_lo, s35
	s_cbranch_vccnz .LBB31_1275
; %bb.1274:
	global_load_b32 v1, v[6:7], off
	s_wait_loadcnt 0x0
	v_trunc_f32_e32 v1, v1
	s_delay_alu instid0(VALU_DEP_1) | instskip(SKIP_1) | instid1(VALU_DEP_2)
	v_mul_f32_e64 v3, 0x2f800000, |v1|
	v_ashrrev_i32_e32 v14, 31, v1
	v_floor_f32_e32 v3, v3
	s_delay_alu instid0(VALU_DEP_1) | instskip(SKIP_1) | instid1(VALU_DEP_2)
	v_fma_f32 v15, 0xcf800000, v3, |v1|
	v_cvt_u32_f32_e32 v1, v3
	v_cvt_u32_f32_e32 v3, v15
	s_delay_alu instid0(VALU_DEP_2) | instskip(NEXT) | instid1(VALU_DEP_2)
	v_dual_mov_b32 v15, v14 :: v_dual_bitop2_b32 v17, v1, v14 bitop3:0x14
	v_xor_b32_e32 v16, v3, v14
	s_delay_alu instid0(VALU_DEP_1)
	v_sub_nc_u64_e32 v[14:15], v[16:17], v[14:15]
.LBB31_1275:
	s_mov_b32 s35, 0
.LBB31_1276:
	s_delay_alu instid0(SALU_CYCLE_1)
	s_and_not1_b32 vcc_lo, exec_lo, s35
	s_cbranch_vccnz .LBB31_1278
; %bb.1277:
	global_load_b32 v1, v[6:7], off
	s_wait_loadcnt 0x0
	v_cvt_f32_f16_e32 v1, v1
	s_delay_alu instid0(VALU_DEP_1) | instskip(NEXT) | instid1(VALU_DEP_1)
	v_cvt_i32_f32_e32 v14, v1
	v_ashrrev_i32_e32 v15, 31, v14
.LBB31_1278:
	s_mov_b32 s35, 0
.LBB31_1279:
	s_delay_alu instid0(SALU_CYCLE_1)
	s_and_not1_b32 vcc_lo, exec_lo, s35
	s_cbranch_vccnz .LBB31_1290
; %bb.1280:
	s_cmp_lt_i32 s0, 6
	s_cbranch_scc1 .LBB31_1283
; %bb.1281:
	s_cmp_gt_i32 s0, 6
	s_cbranch_scc0 .LBB31_1284
; %bb.1282:
	s_wait_loadcnt 0x0
	global_load_b64 v[14:15], v[6:7], off
	s_mov_b32 s35, 0
	s_wait_loadcnt 0x0
	v_trunc_f64_e32 v[14:15], v[14:15]
	s_delay_alu instid0(VALU_DEP_1) | instskip(NEXT) | instid1(VALU_DEP_1)
	v_ldexp_f64 v[16:17], v[14:15], 0xffffffe0
	v_floor_f64_e32 v[16:17], v[16:17]
	s_delay_alu instid0(VALU_DEP_1) | instskip(SKIP_1) | instid1(VALU_DEP_2)
	v_fmamk_f64 v[18:19], v[16:17], 0xc1f00000, v[14:15]
	v_cvt_i32_f64_e32 v15, v[16:17]
	v_cvt_u32_f64_e32 v14, v[18:19]
	s_branch .LBB31_1285
.LBB31_1283:
	s_mov_b32 s35, -1
                                        ; implicit-def: $vgpr14_vgpr15
	s_branch .LBB31_1288
.LBB31_1284:
	s_mov_b32 s35, -1
                                        ; implicit-def: $vgpr14_vgpr15
.LBB31_1285:
	s_delay_alu instid0(SALU_CYCLE_1)
	s_and_not1_b32 vcc_lo, exec_lo, s35
	s_cbranch_vccnz .LBB31_1287
; %bb.1286:
	global_load_b32 v1, v[6:7], off
	s_wait_loadcnt 0x0
	v_trunc_f32_e32 v1, v1
	s_delay_alu instid0(VALU_DEP_1) | instskip(SKIP_1) | instid1(VALU_DEP_2)
	v_mul_f32_e64 v3, 0x2f800000, |v1|
	v_ashrrev_i32_e32 v14, 31, v1
	v_floor_f32_e32 v3, v3
	s_delay_alu instid0(VALU_DEP_1) | instskip(SKIP_1) | instid1(VALU_DEP_2)
	v_fma_f32 v15, 0xcf800000, v3, |v1|
	v_cvt_u32_f32_e32 v1, v3
	v_cvt_u32_f32_e32 v3, v15
	s_delay_alu instid0(VALU_DEP_2) | instskip(NEXT) | instid1(VALU_DEP_2)
	v_dual_mov_b32 v15, v14 :: v_dual_bitop2_b32 v17, v1, v14 bitop3:0x14
	v_xor_b32_e32 v16, v3, v14
	s_delay_alu instid0(VALU_DEP_1)
	v_sub_nc_u64_e32 v[14:15], v[16:17], v[14:15]
.LBB31_1287:
	s_mov_b32 s35, 0
.LBB31_1288:
	s_delay_alu instid0(SALU_CYCLE_1)
	s_and_not1_b32 vcc_lo, exec_lo, s35
	s_cbranch_vccnz .LBB31_1290
; %bb.1289:
	global_load_u16 v1, v[6:7], off
	s_wait_loadcnt 0x0
	v_cvt_f32_f16_e32 v1, v1
	s_delay_alu instid0(VALU_DEP_1) | instskip(NEXT) | instid1(VALU_DEP_1)
	v_cvt_i32_f32_e32 v14, v1
	v_ashrrev_i32_e32 v15, 31, v14
.LBB31_1290:
	s_mov_b32 s35, 0
.LBB31_1291:
	s_delay_alu instid0(SALU_CYCLE_1)
	s_and_not1_b32 vcc_lo, exec_lo, s35
	s_cbranch_vccnz .LBB31_1311
; %bb.1292:
	s_cmp_lt_i32 s0, 2
	s_cbranch_scc1 .LBB31_1296
; %bb.1293:
	s_cmp_lt_i32 s0, 3
	s_cbranch_scc1 .LBB31_1297
; %bb.1294:
	s_cmp_gt_i32 s0, 3
	s_cbranch_scc0 .LBB31_1298
; %bb.1295:
	s_wait_loadcnt 0x0
	global_load_b64 v[14:15], v[6:7], off
	s_mov_b32 s35, 0
	s_branch .LBB31_1299
.LBB31_1296:
	s_mov_b32 s35, -1
                                        ; implicit-def: $vgpr14_vgpr15
	s_branch .LBB31_1305
.LBB31_1297:
	s_mov_b32 s35, -1
                                        ; implicit-def: $vgpr14_vgpr15
	s_branch .LBB31_1302
.LBB31_1298:
	s_mov_b32 s35, -1
                                        ; implicit-def: $vgpr14_vgpr15
.LBB31_1299:
	s_delay_alu instid0(SALU_CYCLE_1)
	s_and_not1_b32 vcc_lo, exec_lo, s35
	s_cbranch_vccnz .LBB31_1301
; %bb.1300:
	s_wait_loadcnt 0x0
	global_load_b32 v14, v[6:7], off
	s_wait_loadcnt 0x0
	v_ashrrev_i32_e32 v15, 31, v14
.LBB31_1301:
	s_mov_b32 s35, 0
.LBB31_1302:
	s_delay_alu instid0(SALU_CYCLE_1)
	s_and_not1_b32 vcc_lo, exec_lo, s35
	s_cbranch_vccnz .LBB31_1304
; %bb.1303:
	global_load_u16 v1, v[6:7], off
	s_wait_loadcnt 0x0
	v_bfe_i32 v14, v1, 0, 16
	s_delay_alu instid0(VALU_DEP_1)
	v_ashrrev_i32_e32 v15, 31, v14
.LBB31_1304:
	s_mov_b32 s35, 0
.LBB31_1305:
	s_delay_alu instid0(SALU_CYCLE_1)
	s_and_not1_b32 vcc_lo, exec_lo, s35
	s_cbranch_vccnz .LBB31_1311
; %bb.1306:
	s_cmp_gt_i32 s0, 0
	s_mov_b32 s0, 0
	s_cbranch_scc0 .LBB31_1308
; %bb.1307:
	global_load_i8 v1, v[6:7], off
	s_wait_loadcnt 0x0
	v_bfe_i32 v14, v1, 0, 16
	s_delay_alu instid0(VALU_DEP_1)
	v_ashrrev_i32_e32 v15, 31, v14
	s_branch .LBB31_1309
.LBB31_1308:
	s_mov_b32 s0, -1
                                        ; implicit-def: $vgpr14_vgpr15
.LBB31_1309:
	s_delay_alu instid0(SALU_CYCLE_1)
	s_and_not1_b32 vcc_lo, exec_lo, s0
	s_cbranch_vccnz .LBB31_1311
; %bb.1310:
	global_load_u8 v1, v[6:7], off
	s_mov_b32 s0, 0
	s_wait_loadcnt 0x1
	v_mov_b32_e32 v15, s0
	s_wait_loadcnt 0x0
	v_and_b32_e32 v14, 0xffff, v1
.LBB31_1311:
	s_mov_b32 s40, -1
.LBB31_1312:
	s_delay_alu instid0(SALU_CYCLE_1)
	s_and_not1_b32 vcc_lo, exec_lo, s40
	s_cbranch_vccnz .LBB31_1323
; %bb.1313:
	s_load_b512 s[4:19], s[2:3], 0x248
	s_mov_b32 s0, 0
	s_mov_b32 s42, -1
	s_mov_b32 s43, s80
	s_mov_b32 s41, s39
	s_mov_b32 s40, s65
	s_mov_b32 s35, s64
	s_wait_loadcnt 0x0
	s_wait_kmcnt 0x0
	v_cmp_eq_u64_e32 vcc_lo, s[16:17], v[4:5]
	s_and_b32 s20, s101, vcc_lo
	s_delay_alu instid0(SALU_CYCLE_1)
	s_and_saveexec_b32 s93, s20
	s_cbranch_execz .LBB31_4165
; %bb.1314:
	v_cmp_eq_u64_e32 vcc_lo, s[36:37], v[8:9]
	s_mov_b32 s41, -1
	s_mov_b32 s42, s39
	s_mov_b32 s54, s65
	;; [unrolled: 1-line block ×3, first 2 shown]
	s_and_b32 s20, vcc_hi, vcc_lo
	s_delay_alu instid0(SALU_CYCLE_1)
	s_and_saveexec_b32 s40, s20
	s_cbranch_execz .LBB31_3691
; %bb.1315:
	s_load_b512 s[4:19], s[2:3], 0x248
	v_sub_nc_u64_e32 v[4:5], v[10:11], v[12:13]
	s_mov_b32 s35, 0
	s_mov_b32 s42, -1
	s_mov_b32 s54, s64
	s_wait_kmcnt 0x0
	s_delay_alu instid0(VALU_DEP_1) | instskip(SKIP_4) | instid1(SALU_CYCLE_1)
	v_cmp_le_i64_e32 vcc_lo, s[16:17], v[4:5]
	v_cmp_ge_i64_e64 s0, s[18:19], v[4:5]
	s_and_b32 s20, vcc_lo, s0
	s_mov_b32 s0, s65
	s_and_b32 s20, s104, s20
	s_and_saveexec_b32 s41, s20
	s_cbranch_execz .LBB31_3690
; %bb.1316:
	v_cmp_lt_i64_e64 s0, s[36:37], 1
	v_mov_b64_e32 v[4:5], 0
	s_xor_b32 s20, s49, -1
	s_delay_alu instid0(SALU_CYCLE_1) | instskip(NEXT) | instid1(SALU_CYCLE_1)
	s_or_b32 s0, s0, s20
	s_and_b32 vcc_lo, exec_lo, s0
	s_cbranch_vccnz .LBB31_1352
; %bb.1317:
	v_mul_u64_e32 v[8:9], s[36:37], v[14:15]
	s_mov_b32 s55, 0
	v_mov_b64_e32 v[4:5], 0
	s_mov_b32 s35, s55
	v_mov_b32_e32 v6, 0
	s_lshl_b64 s[20:21], s[34:35], 3
	s_mov_b32 s35, s38
	s_add_nc_u64 s[20:21], s[2:3], s[20:21]
	s_delay_alu instid0(SALU_CYCLE_1)
	s_add_nc_u64 s[56:57], s[20:21], 0x298
	s_branch .LBB31_1319
.LBB31_1318:                            ;   in Loop: Header=BB31_1319 Depth=1
	s_or_b32 exec_lo, exec_lo, s0
	s_delay_alu instid0(VALU_DEP_1)
	v_mul_u64_e32 v[16:17], s[58:59], v[14:15]
	s_load_b64 s[20:21], s[56:57], 0x40
	s_add_co_i32 s35, s35, -1
	s_wait_xcnt 0x0
	s_add_nc_u64 s[56:57], s[56:57], -8
	s_cmp_lg_u32 s35, 0
	s_delay_alu instid0(VALU_DEP_1) | instskip(SKIP_1) | instid1(VALU_DEP_1)
	v_sub_nc_u64_e32 v[8:9], v[8:9], v[16:17]
	s_wait_kmcnt 0x0
	v_mad_nc_u64_u32 v[4:5], v8, s20, v[4:5]
	s_delay_alu instid0(VALU_DEP_1) | instskip(NEXT) | instid1(VALU_DEP_1)
	v_mad_u32 v1, v9, s20, v5
	v_mad_u32 v5, v8, s21, v1
	v_mov_b64_e32 v[8:9], v[14:15]
	s_cbranch_scc0 .LBB31_1352
.LBB31_1319:                            ; =>This Inner Loop Header: Depth=1
	s_load_b64 s[58:59], s[56:57], 0x0
                                        ; implicit-def: $vgpr14_vgpr15
	s_mov_b32 s0, exec_lo
	s_wait_kmcnt 0x0
	s_delay_alu instid0(VALU_DEP_1) | instskip(NEXT) | instid1(VALU_DEP_1)
	v_or_b32_e32 v7, s59, v9
	v_cmpx_ne_u64_e32 0, v[6:7]
	s_xor_b32 s42, exec_lo, s0
	s_cbranch_execz .LBB31_1321
; %bb.1320:                             ;   in Loop: Header=BB31_1319 Depth=1
	s_ashr_i32 s60, s59, 31
	s_mov_b32 s6, s25
	s_mov_b32 s61, s60
	;; [unrolled: 1-line block ×3, first 2 shown]
	s_add_nc_u64 s[20:21], s[58:59], s[60:61]
	s_mov_b32 s5, s31
	s_xor_b64 s[62:63], s[20:21], s[60:61]
	s_mov_b64 s[28:29], s[44:45]
	s_cvt_f32_u32 s0, s62
	s_cvt_f32_u32 s20, s63
	s_sub_nc_u64 s[22:23], 0, s[62:63]
	s_mov_b64 s[30:31], s[46:47]
	v_dual_mov_b32 v19, v6 :: v_dual_ashrrev_i32 v14, 31, v9
	s_fmamk_f32 s0, s20, 0x4f800000, s0
	s_delay_alu instid0(VALU_DEP_1) | instskip(NEXT) | instid1(SALU_CYCLE_2)
	v_mov_b32_e32 v15, v14
	v_s_rcp_f32 s0, s0
	s_delay_alu instid0(VALU_DEP_1) | instskip(SKIP_1) | instid1(TRANS32_DEP_1)
	v_add_nc_u64_e32 v[16:17], v[8:9], v[14:15]
	v_mov_b32_e32 v21, v6
	s_mul_f32 s0, s0, 0x5f7ffffc
	s_delay_alu instid0(VALU_DEP_2) | instskip(NEXT) | instid1(SALU_CYCLE_2)
	v_xor_b32_e32 v18, v16, v14
	s_mul_f32 s20, s0, 0x2f800000
	s_delay_alu instid0(VALU_DEP_3) | instskip(SKIP_1) | instid1(SALU_CYCLE_1)
	v_dual_mov_b32 v27, v6 :: v_dual_bitop2_b32 v20, v17, v14 bitop3:0x14
	v_xor_b32_e32 v14, s60, v14
	s_trunc_f32 s20, s20
	s_delay_alu instid0(SALU_CYCLE_3) | instskip(SKIP_1) | instid1(SALU_CYCLE_2)
	s_fmamk_f32 s0, s20, 0xcf800000, s0
	s_cvt_u32_f32 s21, s20
	s_cvt_u32_f32 s20, s0
	s_delay_alu instid0(SALU_CYCLE_3) | instskip(NEXT) | instid1(SALU_CYCLE_1)
	s_mul_u64 s[24:25], s[22:23], s[20:21]
	s_mul_hi_u32 s27, s20, s25
	s_mul_i32 s26, s20, s25
	s_mul_hi_u32 s54, s20, s24
	s_mul_i32 s43, s21, s24
	s_add_nc_u64 s[26:27], s[54:55], s[26:27]
	s_mul_hi_u32 s0, s21, s24
	s_mul_hi_u32 s44, s21, s25
	s_mul_i32 s24, s21, s25
	s_add_co_u32 s25, s26, s43
	s_add_co_ci_u32 s54, s27, s0
	s_add_co_ci_u32 s25, s44, 0
	s_mov_b64 s[46:47], s[30:31]
	s_add_nc_u64 s[24:25], s[54:55], s[24:25]
	s_mov_b64 s[44:45], s[28:29]
	s_add_co_u32 s20, s20, s24
	s_cselect_b32 s0, -1, 0
	s_mov_b32 s31, s5
	s_cmp_lg_u32 s0, 0
	s_mov_b32 s28, s4
	s_add_co_ci_u32 s21, s21, s25
	s_delay_alu instid0(SALU_CYCLE_1) | instskip(NEXT) | instid1(SALU_CYCLE_1)
	s_mul_u64 s[22:23], s[22:23], s[20:21]
	s_mul_hi_u32 s25, s20, s23
	s_mul_i32 s24, s20, s23
	s_mul_hi_u32 s54, s20, s22
	s_mul_i32 s26, s21, s22
	s_add_nc_u64 s[24:25], s[54:55], s[24:25]
	s_mul_hi_u32 s0, s21, s22
	s_mul_hi_u32 s27, s21, s23
	s_mul_i32 s22, s21, s23
	s_add_co_u32 s23, s24, s26
	s_add_co_ci_u32 s54, s25, s0
	s_add_co_ci_u32 s23, s27, 0
	s_mov_b32 s25, s6
	s_add_nc_u64 s[22:23], s[54:55], s[22:23]
	s_delay_alu instid0(SALU_CYCLE_1)
	s_add_co_u32 s0, s20, s22
	s_cselect_b32 s20, -1, 0
	v_mul_hi_u32 v26, v18, s0
	s_cmp_lg_u32 s20, 0
	s_add_co_ci_u32 s54, s21, s23
	s_mov_b64 s[20:21], 0xffffffff
	v_mul_u64_e32 v[22:23], s[54:55], v[18:19]
	s_and_b64 s[20:21], s[0:1], s[20:21]
	v_mul_u64_e32 v[24:25], s[54:55], v[20:21]
	v_mul_u64_e32 v[16:17], s[20:21], v[20:21]
	s_delay_alu instid0(VALU_DEP_3) | instskip(NEXT) | instid1(VALU_DEP_1)
	v_add_nc_u64_e32 v[22:23], v[26:27], v[22:23]
	v_add_co_u32 v1, vcc_lo, v22, v16
	s_delay_alu instid0(VALU_DEP_2) | instskip(SKIP_1) | instid1(VALU_DEP_1)
	v_add_co_ci_u32_e32 v26, vcc_lo, v23, v17, vcc_lo
	v_add_co_ci_u32_e32 v25, vcc_lo, 0, v25, vcc_lo
	v_add_nc_u64_e32 v[16:17], v[26:27], v[24:25]
	s_delay_alu instid0(VALU_DEP_1) | instskip(NEXT) | instid1(VALU_DEP_1)
	v_mul_u64_e32 v[22:23], s[62:63], v[16:17]
	v_sub_nc_u32_e32 v1, v20, v23
	s_delay_alu instid0(VALU_DEP_2) | instskip(NEXT) | instid1(VALU_DEP_1)
	v_sub_co_u32 v3, vcc_lo, v18, v22
	v_sub_co_ci_u32_e64 v15, null, v20, v23, vcc_lo
	s_delay_alu instid0(VALU_DEP_3) | instskip(NEXT) | instid1(VALU_DEP_3)
	v_subrev_co_ci_u32_e64 v1, null, s63, v1, vcc_lo
	v_sub_co_u32 v7, s0, v3, s62
	v_add_nc_u64_e32 v[20:21], 1, v[16:17]
	s_delay_alu instid0(VALU_DEP_3) | instskip(NEXT) | instid1(VALU_DEP_3)
	v_subrev_co_ci_u32_e64 v1, null, 0, v1, s0
	v_cmp_le_u32_e32 vcc_lo, s62, v7
	v_cndmask_b32_e64 v7, 0, -1, vcc_lo
	s_delay_alu instid0(VALU_DEP_3)
	v_cmp_le_u32_e32 vcc_lo, s63, v1
	v_cndmask_b32_e64 v18, 0, -1, vcc_lo
	v_cmp_le_u32_e32 vcc_lo, s62, v3
	v_cndmask_b32_e64 v3, 0, -1, vcc_lo
	;; [unrolled: 2-line block ×3, first 2 shown]
	v_cmp_eq_u32_e32 vcc_lo, s63, v1
	v_cndmask_b32_e32 v1, v18, v7, vcc_lo
	v_cmp_eq_u32_e32 vcc_lo, s63, v15
	v_add_nc_u64_e32 v[18:19], 2, v[16:17]
	v_mov_b32_e32 v15, v14
	v_cndmask_b32_e32 v3, v22, v3, vcc_lo
	v_cmp_ne_u32_e32 vcc_lo, 0, v1
	s_delay_alu instid0(VALU_DEP_2) | instskip(SKIP_1) | instid1(VALU_DEP_1)
	v_cmp_ne_u32_e64 s0, 0, v3
	v_dual_cndmask_b32 v1, v21, v19, vcc_lo :: v_dual_cndmask_b32 v3, v20, v18, vcc_lo
	v_dual_cndmask_b32 v1, v17, v1, s0 :: v_dual_cndmask_b32 v3, v16, v3, s0
	s_delay_alu instid0(VALU_DEP_1) | instskip(NEXT) | instid1(VALU_DEP_2)
	v_xor_b32_e32 v17, v1, v14
	v_xor_b32_e32 v16, v3, v14
	s_delay_alu instid0(VALU_DEP_1)
	v_sub_nc_u64_e32 v[14:15], v[16:17], v[14:15]
.LBB31_1321:                            ;   in Loop: Header=BB31_1319 Depth=1
	s_and_not1_saveexec_b32 s0, s42
	s_cbranch_execz .LBB31_1318
; %bb.1322:                             ;   in Loop: Header=BB31_1319 Depth=1
	v_cvt_f32_u32_e32 v1, s58
	s_sub_co_i32 s20, 0, s58
	v_mov_b32_e32 v15, v6
	s_delay_alu instid0(VALU_DEP_2) | instskip(SKIP_1) | instid1(TRANS32_DEP_1)
	v_rcp_iflag_f32_e32 v1, v1
	v_nop
	v_mul_f32_e32 v1, 0x4f7ffffe, v1
	s_delay_alu instid0(VALU_DEP_1) | instskip(NEXT) | instid1(VALU_DEP_1)
	v_cvt_u32_f32_e32 v1, v1
	v_mul_lo_u32 v3, s20, v1
	s_delay_alu instid0(VALU_DEP_1) | instskip(NEXT) | instid1(VALU_DEP_1)
	v_mul_hi_u32 v3, v1, v3
	v_add_nc_u32_e32 v1, v1, v3
	s_delay_alu instid0(VALU_DEP_1) | instskip(NEXT) | instid1(VALU_DEP_1)
	v_mul_hi_u32 v1, v8, v1
	v_mul_lo_u32 v3, v1, s58
	s_delay_alu instid0(VALU_DEP_1) | instskip(NEXT) | instid1(VALU_DEP_1)
	v_sub_nc_u32_e32 v3, v8, v3
	v_subrev_nc_u32_e32 v14, s58, v3
	v_cmp_le_u32_e32 vcc_lo, s58, v3
	s_delay_alu instid0(VALU_DEP_2) | instskip(NEXT) | instid1(VALU_DEP_1)
	v_dual_add_nc_u32 v7, 1, v1 :: v_dual_cndmask_b32 v3, v3, v14, vcc_lo
	v_cndmask_b32_e32 v1, v1, v7, vcc_lo
	s_delay_alu instid0(VALU_DEP_2) | instskip(NEXT) | instid1(VALU_DEP_2)
	v_cmp_le_u32_e32 vcc_lo, s58, v3
	v_add_nc_u32_e32 v7, 1, v1
	s_delay_alu instid0(VALU_DEP_1)
	v_cndmask_b32_e32 v14, v1, v7, vcc_lo
	s_branch .LBB31_1318
.LBB31_1323:
	s_mov_b32 s0, 0
	s_mov_b32 s35, s64
	;; [unrolled: 1-line block ×6, first 2 shown]
.LBB31_1324:
                                        ; implicit-def: $vgpr0
.LBB31_1325:
	s_and_not1_b32 s20, s64, exec_lo
	s_and_b32 s21, s35, exec_lo
	s_and_not1_b32 s22, s65, exec_lo
	s_and_b32 s23, s40, exec_lo
	s_or_b32 s40, s20, s21
	s_or_b32 s96, s22, s23
	s_and_not1_b32 s20, s39, exec_lo
	s_and_b32 s21, s41, exec_lo
	s_and_not1_b32 s22, s80, exec_lo
	s_and_b32 s23, s43, exec_lo
	s_or_b32 s79, s20, s21
	s_or_b32 s93, s22, s23
	;; [unrolled: 6-line block ×5, first 2 shown]
	s_or_not1_b32 s35, s0, exec_lo
.LBB31_1326:
	s_wait_xcnt 0x0
	s_or_b32 exec_lo, exec_lo, s98
	s_mov_b32 s42, 0
	s_mov_b32 s41, 0
	;; [unrolled: 1-line block ×3, first 2 shown]
                                        ; implicit-def: $sgpr0
                                        ; implicit-def: $vgpr14_vgpr15
                                        ; implicit-def: $vgpr2
                                        ; implicit-def: $vgpr12
                                        ; implicit-def: $vgpr10
                                        ; implicit-def: $vgpr6
                                        ; implicit-def: $vgpr8
                                        ; implicit-def: $vgpr4_vgpr5
	s_and_saveexec_b32 s98, s35
	s_cbranch_execz .LBB31_2193
; %bb.1327:
	s_mov_b32 s55, -1
	s_mov_b32 s35, s88
	s_mov_b32 s60, s90
	s_mov_b32 s58, s89
	s_mov_b32 s62, s92
	s_mov_b32 s59, s91
	s_mov_b32 s100, s94
	s_mov_b32 s61, s93
	s_mov_b32 s97, s79
	s_mov_b32 s63, s96
	s_mov_b32 s95, s40
	s_mov_b32 s99, exec_lo
	v_cmpx_gt_i32_e64 s77, v0
	s_cbranch_execz .LBB31_2087
; %bb.1328:
	s_and_not1_b32 vcc_lo, exec_lo, s68
	s_cbranch_vccnz .LBB31_1335
; %bb.1329:
	s_and_not1_b32 vcc_lo, exec_lo, s25
	s_cbranch_vccnz .LBB31_1336
; %bb.1330:
	s_wait_loadcnt 0x0
	v_dual_mov_b32 v10, 0 :: v_dual_mov_b32 v1, v0
	v_dual_mov_b32 v6, 0 :: v_dual_mov_b32 v8, 0
	;; [unrolled: 1-line block ×3, first 2 shown]
	v_mov_b32_e32 v4, 0
	s_mov_b64 s[4:5], s[72:73]
	s_add_co_i32 s0, s76, 1
	s_mov_b64 s[20:21], 0xffffffffffffffd0
	s_mov_b64 s[6:7], s[74:75]
	;; [unrolled: 1-line block ×3, first 2 shown]
	s_mov_b32 s8, s25
	s_mov_b64 s[72:73], s[44:45]
	s_and_b32 s0, s0, 30
	s_add_nc_u64 s[54:55], s[2:3], s[20:21]
	s_mov_b64 s[56:57], s[2:3]
.LBB31_1331:                            ; =>This Inner Loop Header: Depth=1
	s_clause 0x1
	s_load_b128 s[60:63], s[56:57], 0x4
	s_load_b64 s[42:43], s[56:57], 0x14
	s_clause 0x1
	s_load_b256 s[20:27], s[54:55], 0xf4
	s_load_b128 s[44:47], s[54:55], 0x114
	s_add_co_i32 s0, s0, -2
	s_wait_xcnt 0x0
	s_add_nc_u64 s[56:57], s[56:57], 24
	s_cmp_eq_u32 s0, 0
	s_add_nc_u64 s[54:55], s[54:55], 48
	s_wait_kmcnt 0x0
	v_mul_hi_u32 v3, s61, v1
	s_delay_alu instid0(VALU_DEP_1) | instskip(NEXT) | instid1(VALU_DEP_1)
	v_add_nc_u32_e32 v3, v1, v3
	v_lshrrev_b32_e32 v3, s62, v3
	s_delay_alu instid0(VALU_DEP_1) | instskip(SKIP_1) | instid1(VALU_DEP_1)
	v_mul_hi_u32 v5, s42, v3
	v_mul_lo_u32 v7, v3, s60
	v_dual_add_nc_u32 v5, v3, v5 :: v_dual_sub_nc_u32 v7, v1, v7
	s_delay_alu instid0(VALU_DEP_1) | instskip(NEXT) | instid1(VALU_DEP_2)
	v_lshrrev_b32_e32 v1, s43, v5
	v_mad_u32 v4, v7, s21, v4
	v_mad_u32 v2, v7, s20, v2
	v_mad_u32 v9, v7, s23, v12
	v_mad_u32 v8, v7, s22, v8
	v_mul_lo_u32 v5, v1, s63
	v_mad_u32 v6, s25, v7, v6
	v_mad_u32 v7, s24, v7, v10
	s_delay_alu instid0(VALU_DEP_3) | instskip(NEXT) | instid1(VALU_DEP_1)
	v_sub_nc_u32_e32 v3, v3, v5
	v_mad_u32 v4, v3, s27, v4
	v_mad_u32 v2, v3, s26, v2
	;; [unrolled: 1-line block ×6, first 2 shown]
	s_cbranch_scc0 .LBB31_1331
; %bb.1332:
	s_bitcmp1_b32 s76, 0
	s_cselect_b32 s0, -1, 0
	s_delay_alu instid0(SALU_CYCLE_1)
	s_and_b32 vcc_lo, exec_lo, s0
	s_cbranch_vccnz .LBB31_1334
; %bb.1333:
	s_load_b96 s[24:26], s[56:57], 0x4
	s_wait_kmcnt 0x0
	v_mul_hi_u32 v3, s25, v1
	s_delay_alu instid0(VALU_DEP_1) | instskip(NEXT) | instid1(VALU_DEP_1)
	v_add_nc_u32_e32 v3, v1, v3
	v_lshrrev_b32_e32 v3, s26, v3
	s_clause 0x1
	s_load_b128 s[20:23], s[54:55], 0xf4
	s_load_b64 s[26:27], s[54:55], 0x104
	s_delay_alu instid0(VALU_DEP_1) | instskip(NEXT) | instid1(VALU_DEP_1)
	v_mul_lo_u32 v3, v3, s24
	v_sub_nc_u32_e32 v1, v1, v3
	s_wait_kmcnt 0x0
	s_delay_alu instid0(VALU_DEP_1)
	v_mad_u32 v2, v1, s20, v2
	v_mad_u32 v4, v1, s21, v4
	;; [unrolled: 1-line block ×6, first 2 shown]
.LBB31_1334:
	s_mov_b64 s[44:45], s[72:73]
	s_mov_b64 s[46:47], s[74:75]
	;; [unrolled: 1-line block ×4, first 2 shown]
	s_mov_b32 s25, s8
	s_branch .LBB31_1337
.LBB31_1335:
	s_mov_b32 s0, -1
                                        ; implicit-def: $vgpr4
                                        ; implicit-def: $vgpr2
                                        ; implicit-def: $vgpr12
                                        ; implicit-def: $vgpr8
                                        ; implicit-def: $vgpr6
                                        ; implicit-def: $vgpr10
	s_branch .LBB31_1338
.LBB31_1336:
	s_wait_loadcnt 0x0
	v_dual_mov_b32 v4, 0 :: v_dual_mov_b32 v2, 0
	v_dual_mov_b32 v12, 0 :: v_dual_mov_b32 v8, 0
	;; [unrolled: 1-line block ×3, first 2 shown]
.LBB31_1337:
	s_mov_b32 s0, 0
.LBB31_1338:
	s_delay_alu instid0(SALU_CYCLE_1)
	s_and_not1_b32 vcc_lo, exec_lo, s0
	s_cbranch_vccnz .LBB31_1341
; %bb.1339:
	v_mov_b32_e32 v1, 0
	s_clause 0x1
	s_load_b128 s[4:7], s[2:3], 0x4
	s_load_b256 s[8:15], s[2:3], 0xc4
	s_and_not1_b32 vcc_lo, exec_lo, s48
	v_mul_u64_e32 v[2:3], s[50:51], v[0:1]
	s_delay_alu instid0(VALU_DEP_1) | instskip(SKIP_2) | instid1(VALU_DEP_1)
	v_add_nc_u32_e32 v2, v0, v3
	s_wait_loadcnt 0x0
	s_wait_kmcnt 0x0
	v_lshrrev_b32_e32 v14, s6, v2
	s_delay_alu instid0(VALU_DEP_1) | instskip(NEXT) | instid1(VALU_DEP_1)
	v_mul_lo_u32 v2, v14, s4
	v_sub_nc_u32_e32 v3, v0, v2
	s_delay_alu instid0(VALU_DEP_1)
	v_mul_lo_u32 v4, v3, s9
	v_mul_lo_u32 v2, v3, s8
	;; [unrolled: 1-line block ×6, first 2 shown]
	s_cbranch_vccnz .LBB31_1341
; %bb.1340:
	v_mov_b32_e32 v15, v1
	s_delay_alu instid0(VALU_DEP_1) | instskip(NEXT) | instid1(VALU_DEP_1)
	v_mul_u64_e32 v[16:17], s[52:53], v[14:15]
	v_add_nc_u32_e32 v1, v14, v17
	s_delay_alu instid0(VALU_DEP_1) | instskip(NEXT) | instid1(VALU_DEP_1)
	v_lshrrev_b32_e32 v1, s31, v1
	v_mul_lo_u32 v1, v1, s7
	s_delay_alu instid0(VALU_DEP_1) | instskip(NEXT) | instid1(VALU_DEP_1)
	v_sub_nc_u32_e32 v1, v14, v1
	v_mad_u32 v2, v1, s14, v2
	v_mad_u32 v4, v1, s15, v4
	;; [unrolled: 1-line block ×6, first 2 shown]
.LBB31_1341:
	s_load_b512 s[4:19], s[2:3], 0x248
	s_wait_loadcnt 0x0
	v_mov_b32_e32 v5, 0
	s_and_b32 s0, s1, 0xff
	s_delay_alu instid0(SALU_CYCLE_1) | instskip(SKIP_1) | instid1(VALU_DEP_1)
	s_cmp_lt_i32 s0, 11
	s_wait_kmcnt 0x0
	v_add_nc_u64_e32 v[14:15], s[6:7], v[4:5]
	s_cbranch_scc1 .LBB31_1348
; %bb.1342:
	s_and_b32 s35, 0xffff, s0
	s_delay_alu instid0(SALU_CYCLE_1)
	s_cmp_gt_i32 s35, 25
	s_cbranch_scc0 .LBB31_1349
; %bb.1343:
	s_cmp_gt_i32 s35, 28
	s_cbranch_scc0 .LBB31_1350
; %bb.1344:
	;; [unrolled: 3-line block ×4, first 2 shown]
	s_cmp_eq_u32 s35, 46
	s_mov_b32 s42, 0
	s_cbranch_scc0 .LBB31_1367
; %bb.1347:
	global_load_b32 v1, v[14:15], off
	s_mov_b32 s41, -1
	s_mov_b32 s26, 0
	s_wait_loadcnt 0x0
	v_lshlrev_b32_e32 v1, 16, v1
	s_delay_alu instid0(VALU_DEP_1) | instskip(NEXT) | instid1(VALU_DEP_1)
	v_trunc_f32_e32 v1, v1
	v_mul_f32_e64 v3, 0x2f800000, |v1|
	v_ashrrev_i32_e32 v4, 31, v1
	s_delay_alu instid0(VALU_DEP_2) | instskip(NEXT) | instid1(VALU_DEP_1)
	v_floor_f32_e32 v3, v3
	v_fma_f32 v5, 0xcf800000, v3, |v1|
	v_cvt_u32_f32_e32 v1, v3
	s_delay_alu instid0(VALU_DEP_2) | instskip(NEXT) | instid1(VALU_DEP_2)
	v_cvt_u32_f32_e32 v3, v5
	v_dual_mov_b32 v5, v4 :: v_dual_bitop2_b32 v17, v1, v4 bitop3:0x14
	s_delay_alu instid0(VALU_DEP_2) | instskip(NEXT) | instid1(VALU_DEP_1)
	v_xor_b32_e32 v16, v3, v4
	v_sub_nc_u64_e32 v[4:5], v[16:17], v[4:5]
	s_branch .LBB31_1369
.LBB31_1348:
	s_mov_b32 s35, -1
	s_mov_b32 s41, 0
	s_mov_b32 s26, s88
                                        ; implicit-def: $vgpr4_vgpr5
	s_branch .LBB31_1430
.LBB31_1349:
	s_mov_b32 s42, -1
	s_mov_b32 s41, 0
	s_mov_b32 s26, s88
                                        ; implicit-def: $vgpr4_vgpr5
	s_branch .LBB31_1396
.LBB31_1350:
	s_mov_b32 s42, -1
	s_mov_b32 s41, 0
	s_mov_b32 s26, s88
                                        ; implicit-def: $vgpr4_vgpr5
	s_branch .LBB31_1379
.LBB31_1351:
	s_mov_b32 s42, -1
	s_mov_b32 s41, 0
	s_mov_b32 s26, s88
                                        ; implicit-def: $vgpr4_vgpr5
	s_branch .LBB31_1374
.LBB31_1352:
	s_mov_b32 s54, -1
	s_mov_b32 s0, s65
	s_mov_b32 s35, exec_lo
	v_cmpx_gt_i64_e64 v[10:11], v[12:13]
	s_cbranch_execz .LBB31_1359
; %bb.1353:
	s_delay_alu instid0(VALU_DEP_2) | instskip(SKIP_2) | instid1(VALU_DEP_1)
	v_lshlrev_b64_e32 v[4:5], 3, v[4:5]
	s_mov_b32 s0, 0
	s_xor_b32 s43, s71, -1
                                        ; implicit-def: $sgpr42
                                        ; implicit-def: $sgpr55
                                        ; implicit-def: $sgpr54
	v_lshl_add_u64 v[6:7], v[12:13], 3, v[4:5]
	v_add_nc_u64_e32 v[8:9], s[72:73], v[4:5]
	s_delay_alu instid0(VALU_DEP_2) | instskip(NEXT) | instid1(VALU_DEP_1)
	v_add_nc_u64_e32 v[6:7], s[72:73], v[6:7]
	v_add_nc_u64_e32 v[4:5], 8, v[6:7]
	s_delay_alu instid0(VALU_DEP_3)
	v_lshl_add_u64 v[6:7], v[10:11], 3, v[8:9]
	s_branch .LBB31_1355
.LBB31_1354:                            ;   in Loop: Header=BB31_1355 Depth=1
	s_or_b32 exec_lo, exec_lo, s56
	s_delay_alu instid0(SALU_CYCLE_1) | instskip(NEXT) | instid1(SALU_CYCLE_1)
	s_and_b32 s20, exec_lo, s55
	s_or_b32 s0, s20, s0
	s_and_not1_b32 s20, s42, exec_lo
	s_and_b32 s21, s54, exec_lo
	s_delay_alu instid0(SALU_CYCLE_1)
	s_or_b32 s42, s20, s21
	s_and_not1_b32 exec_lo, exec_lo, s0
	s_cbranch_execz .LBB31_1358
.LBB31_1355:                            ; =>This Inner Loop Header: Depth=1
	s_or_b32 s54, s54, exec_lo
	s_or_b32 s55, s55, exec_lo
	s_mov_b32 s56, exec_lo
	s_delay_alu instid0(VALU_DEP_2)
	v_cmpx_lt_u64_e64 v[4:5], v[6:7]
	s_cbranch_execz .LBB31_1354
; %bb.1356:                             ;   in Loop: Header=BB31_1355 Depth=1
	global_load_b128 v[8:11], v[4:5], off offset:-8
	s_wait_xcnt 0x0
	v_add_nc_u64_e32 v[4:5], 8, v[4:5]
	s_and_not1_b32 s21, s55, exec_lo
	s_and_not1_b32 s54, s54, exec_lo
	s_wait_loadcnt 0x0
	v_cmp_ge_i64_e32 vcc_lo, v[8:9], v[10:11]
	s_or_b32 s20, s43, vcc_lo
	s_delay_alu instid0(SALU_CYCLE_1) | instskip(NEXT) | instid1(SALU_CYCLE_1)
	s_and_b32 s20, s20, exec_lo
	s_or_b32 s55, s21, s20
	s_branch .LBB31_1354
.LBB31_1357:
	s_mov_b32 s42, -1
	s_mov_b32 s41, 0
	s_mov_b32 s26, s88
	s_branch .LBB31_1368
.LBB31_1358:
	s_or_b32 exec_lo, exec_lo, s0
	s_delay_alu instid0(SALU_CYCLE_1)
	s_or_b32 s0, s65, exec_lo
	s_or_not1_b32 s54, s42, exec_lo
.LBB31_1359:
	s_or_b32 exec_lo, exec_lo, s35
	s_mov_b32 s43, 0
	s_mov_b32 s42, s64
	s_and_saveexec_b32 s35, s54
	s_cbranch_execz .LBB31_3689
; %bb.1360:
	s_load_b512 s[4:19], s[2:3], 0x248
	v_mov_b32_e32 v3, 0
	s_and_b32 s43, s74, 0xff
	s_delay_alu instid0(SALU_CYCLE_1) | instskip(SKIP_1) | instid1(VALU_DEP_1)
	s_cmp_lt_i32 s43, 11
	s_wait_kmcnt 0x0
	v_add_nc_u64_e32 v[2:3], s[4:5], v[2:3]
	s_cbranch_scc1 .LBB31_1493
; %bb.1361:
	s_and_b32 s54, 0xffff, s43
	s_delay_alu instid0(SALU_CYCLE_1)
	s_cmp_gt_i32 s54, 25
	s_cbranch_scc0 .LBB31_1620
; %bb.1362:
	s_cmp_gt_i32 s54, 28
	s_cbranch_scc0 .LBB31_1747
; %bb.1363:
	s_mov_b64 s[4:5], s[72:73]
	s_mov_b64 s[6:7], s[74:75]
	s_cmp_gt_i32 s54, 43
	s_cbranch_scc0 .LBB31_1960
; %bb.1364:
	s_cmp_gt_i32 s54, 45
	s_cbranch_scc0 .LBB31_3605
; %bb.1365:
	s_mov_b32 s56, 0
	s_mov_b32 s42, -1
	s_cmp_eq_u32 s54, 46
	s_mov_b32 s55, 0
	s_cbranch_scc0 .LBB31_3606
; %bb.1366:
	v_mov_b32_e32 v1, 0
	s_mov_b32 s55, -1
	s_mov_b32 s42, 0
	global_store_b32 v[2:3], v1, off
	s_branch .LBB31_3606
.LBB31_1367:
	s_mov_b32 s26, -1
	s_mov_b32 s41, 0
.LBB31_1368:
                                        ; implicit-def: $vgpr4_vgpr5
.LBB31_1369:
	s_and_b32 vcc_lo, exec_lo, s42
	s_cbranch_vccz .LBB31_1373
; %bb.1370:
	s_cmp_eq_u32 s35, 44
	s_cbranch_scc0 .LBB31_1372
; %bb.1371:
	global_load_u8 v1, v[14:15], off
	s_mov_b32 s26, 0
	s_mov_b32 s41, -1
	s_wait_loadcnt 0x0
	v_lshlrev_b32_e32 v3, 23, v1
	v_cmp_ne_u32_e32 vcc_lo, 0, v1
	s_delay_alu instid0(VALU_DEP_2) | instskip(NEXT) | instid1(VALU_DEP_1)
	v_trunc_f32_e32 v3, v3
	v_mul_f32_e64 v4, 0x2f800000, |v3|
	s_delay_alu instid0(VALU_DEP_1) | instskip(SKIP_1) | instid1(VALU_DEP_2)
	v_floor_f32_e32 v5, v4
	v_ashrrev_i32_e32 v4, 31, v3
	v_fma_f32 v7, 0xcf800000, v5, |v3|
	v_cvt_u32_f32_e32 v3, v5
	s_delay_alu instid0(VALU_DEP_3) | instskip(NEXT) | instid1(VALU_DEP_3)
	v_mov_b32_e32 v5, v4
	v_cvt_u32_f32_e32 v7, v7
	s_delay_alu instid0(VALU_DEP_3) | instskip(NEXT) | instid1(VALU_DEP_2)
	v_xor_b32_e32 v17, v3, v4
	v_xor_b32_e32 v16, v7, v4
	s_delay_alu instid0(VALU_DEP_1) | instskip(NEXT) | instid1(VALU_DEP_1)
	v_sub_nc_u64_e32 v[4:5], v[16:17], v[4:5]
	v_dual_cndmask_b32 v5, 0, v5 :: v_dual_cndmask_b32 v4, 0, v4
	s_branch .LBB31_1373
.LBB31_1372:
	s_mov_b32 s26, -1
                                        ; implicit-def: $vgpr4_vgpr5
.LBB31_1373:
	s_mov_b32 s42, 0
.LBB31_1374:
	s_delay_alu instid0(SALU_CYCLE_1)
	s_and_b32 vcc_lo, exec_lo, s42
	s_cbranch_vccz .LBB31_1378
; %bb.1375:
	s_cmp_eq_u32 s35, 29
	s_cbranch_scc0 .LBB31_1377
; %bb.1376:
	global_load_b64 v[4:5], v[14:15], off
	s_mov_b32 s41, -1
	s_mov_b32 s26, 0
	s_branch .LBB31_1378
.LBB31_1377:
	s_mov_b32 s26, -1
                                        ; implicit-def: $vgpr4_vgpr5
.LBB31_1378:
	s_mov_b32 s42, 0
.LBB31_1379:
	s_delay_alu instid0(SALU_CYCLE_1)
	s_and_b32 vcc_lo, exec_lo, s42
	s_cbranch_vccz .LBB31_1395
; %bb.1380:
	s_cmp_lt_i32 s35, 27
	s_cbranch_scc1 .LBB31_1383
; %bb.1381:
	s_cmp_gt_i32 s35, 27
	s_cbranch_scc0 .LBB31_1384
; %bb.1382:
	s_wait_loadcnt 0x0
	global_load_b32 v4, v[14:15], off
	v_mov_b32_e32 v5, 0
	s_mov_b32 s41, 0
	s_branch .LBB31_1385
.LBB31_1383:
	s_mov_b32 s41, -1
                                        ; implicit-def: $vgpr4_vgpr5
	s_branch .LBB31_1388
.LBB31_1384:
	s_mov_b32 s41, -1
                                        ; implicit-def: $vgpr4_vgpr5
.LBB31_1385:
	s_delay_alu instid0(SALU_CYCLE_1)
	s_and_not1_b32 vcc_lo, exec_lo, s41
	s_cbranch_vccnz .LBB31_1387
; %bb.1386:
	global_load_u16 v1, v[14:15], off
	s_mov_b32 s20, 0
	s_wait_loadcnt 0x1
	v_mov_b32_e32 v5, s20
	s_wait_loadcnt 0x0
	v_and_b32_e32 v4, 0xffff, v1
.LBB31_1387:
	s_mov_b32 s41, 0
.LBB31_1388:
	s_delay_alu instid0(SALU_CYCLE_1)
	s_and_not1_b32 vcc_lo, exec_lo, s41
	s_cbranch_vccnz .LBB31_1394
; %bb.1389:
	global_load_u8 v1, v[14:15], off
	s_mov_b32 s42, 0
	s_mov_b32 s20, exec_lo
	s_wait_loadcnt 0x0
	v_cmpx_lt_i16_e32 0x7f, v1
	s_xor_b32 s41, exec_lo, s20
	s_cbranch_execz .LBB31_1406
; %bb.1390:
	v_cmp_ne_u16_e32 vcc_lo, 0x80, v1
	s_and_b32 s42, vcc_lo, exec_lo
	s_and_not1_saveexec_b32 s41, s41
	s_cbranch_execnz .LBB31_1407
.LBB31_1391:
	s_or_b32 exec_lo, exec_lo, s41
	v_mov_b64_e32 v[4:5], 0
	s_and_saveexec_b32 s41, s42
	s_cbranch_execz .LBB31_1393
.LBB31_1392:
	v_and_b32_e32 v3, 0xffff, v1
	s_delay_alu instid0(VALU_DEP_1) | instskip(SKIP_1) | instid1(VALU_DEP_2)
	v_and_b32_e32 v4, 7, v3
	v_bfe_u32 v9, v3, 3, 4
	v_clz_i32_u32_e32 v5, v4
	s_delay_alu instid0(VALU_DEP_2) | instskip(NEXT) | instid1(VALU_DEP_2)
	v_cmp_eq_u32_e32 vcc_lo, 0, v9
	v_min_u32_e32 v5, 32, v5
	s_delay_alu instid0(VALU_DEP_1) | instskip(NEXT) | instid1(VALU_DEP_1)
	v_subrev_nc_u32_e32 v7, 28, v5
	v_dual_lshlrev_b32 v3, v7, v3 :: v_dual_sub_nc_u32 v5, 29, v5
	s_delay_alu instid0(VALU_DEP_1) | instskip(NEXT) | instid1(VALU_DEP_1)
	v_dual_lshlrev_b32 v1, 24, v1 :: v_dual_bitop2_b32 v3, 7, v3 bitop3:0x40
	v_dual_cndmask_b32 v3, v4, v3, vcc_lo :: v_dual_cndmask_b32 v5, v9, v5, vcc_lo
	s_delay_alu instid0(VALU_DEP_2) | instskip(NEXT) | instid1(VALU_DEP_2)
	v_and_b32_e32 v1, 0x80000000, v1
	v_lshlrev_b32_e32 v3, 20, v3
	s_delay_alu instid0(VALU_DEP_3) | instskip(NEXT) | instid1(VALU_DEP_1)
	v_lshl_add_u32 v4, v5, 23, 0x3b800000
	v_or3_b32 v1, v1, v4, v3
	s_delay_alu instid0(VALU_DEP_1) | instskip(NEXT) | instid1(VALU_DEP_1)
	v_trunc_f32_e32 v1, v1
	v_mul_f32_e64 v3, 0x2f800000, |v1|
	v_ashrrev_i32_e32 v4, 31, v1
	s_delay_alu instid0(VALU_DEP_2) | instskip(NEXT) | instid1(VALU_DEP_1)
	v_floor_f32_e32 v3, v3
	v_fma_f32 v5, 0xcf800000, v3, |v1|
	v_cvt_u32_f32_e32 v1, v3
	s_delay_alu instid0(VALU_DEP_2) | instskip(NEXT) | instid1(VALU_DEP_2)
	v_cvt_u32_f32_e32 v3, v5
	v_dual_mov_b32 v5, v4 :: v_dual_bitop2_b32 v17, v1, v4 bitop3:0x14
	s_delay_alu instid0(VALU_DEP_2) | instskip(NEXT) | instid1(VALU_DEP_1)
	v_xor_b32_e32 v16, v3, v4
	v_sub_nc_u64_e32 v[4:5], v[16:17], v[4:5]
.LBB31_1393:
	s_or_b32 exec_lo, exec_lo, s41
.LBB31_1394:
	s_mov_b32 s41, -1
.LBB31_1395:
	s_mov_b32 s42, 0
.LBB31_1396:
	s_delay_alu instid0(SALU_CYCLE_1)
	s_and_b32 vcc_lo, exec_lo, s42
	s_cbranch_vccz .LBB31_1429
; %bb.1397:
	s_cmp_gt_i32 s35, 22
	s_cbranch_scc0 .LBB31_1405
; %bb.1398:
	s_cmp_lt_i32 s35, 24
	s_cbranch_scc1 .LBB31_1408
; %bb.1399:
	s_cmp_gt_i32 s35, 24
	s_cbranch_scc0 .LBB31_1409
; %bb.1400:
	global_load_u8 v1, v[14:15], off
	s_mov_b32 s42, 0
	s_mov_b32 s20, exec_lo
	s_wait_loadcnt 0x0
	v_cmpx_lt_i16_e32 0x7f, v1
	s_xor_b32 s41, exec_lo, s20
	s_cbranch_execz .LBB31_1421
; %bb.1401:
	v_cmp_ne_u16_e32 vcc_lo, 0x80, v1
	s_and_b32 s42, vcc_lo, exec_lo
	s_and_not1_saveexec_b32 s41, s41
	s_cbranch_execnz .LBB31_1422
.LBB31_1402:
	s_or_b32 exec_lo, exec_lo, s41
	v_mov_b64_e32 v[4:5], 0
	s_and_saveexec_b32 s41, s42
	s_cbranch_execz .LBB31_1404
.LBB31_1403:
	v_and_b32_e32 v3, 0xffff, v1
	s_delay_alu instid0(VALU_DEP_1) | instskip(SKIP_1) | instid1(VALU_DEP_2)
	v_and_b32_e32 v4, 3, v3
	v_bfe_u32 v9, v3, 2, 5
	v_clz_i32_u32_e32 v5, v4
	s_delay_alu instid0(VALU_DEP_2) | instskip(NEXT) | instid1(VALU_DEP_2)
	v_cmp_eq_u32_e32 vcc_lo, 0, v9
	v_min_u32_e32 v5, 32, v5
	s_delay_alu instid0(VALU_DEP_1) | instskip(NEXT) | instid1(VALU_DEP_1)
	v_subrev_nc_u32_e32 v7, 29, v5
	v_dual_lshlrev_b32 v3, v7, v3 :: v_dual_sub_nc_u32 v5, 30, v5
	s_delay_alu instid0(VALU_DEP_1) | instskip(NEXT) | instid1(VALU_DEP_1)
	v_dual_lshlrev_b32 v1, 24, v1 :: v_dual_bitop2_b32 v3, 3, v3 bitop3:0x40
	v_dual_cndmask_b32 v3, v4, v3, vcc_lo :: v_dual_cndmask_b32 v5, v9, v5, vcc_lo
	s_delay_alu instid0(VALU_DEP_2) | instskip(NEXT) | instid1(VALU_DEP_2)
	v_and_b32_e32 v1, 0x80000000, v1
	v_lshlrev_b32_e32 v3, 21, v3
	s_delay_alu instid0(VALU_DEP_3) | instskip(NEXT) | instid1(VALU_DEP_1)
	v_lshl_add_u32 v4, v5, 23, 0x37800000
	v_or3_b32 v1, v1, v4, v3
	s_delay_alu instid0(VALU_DEP_1) | instskip(NEXT) | instid1(VALU_DEP_1)
	v_trunc_f32_e32 v1, v1
	v_mul_f32_e64 v3, 0x2f800000, |v1|
	v_ashrrev_i32_e32 v4, 31, v1
	s_delay_alu instid0(VALU_DEP_2) | instskip(NEXT) | instid1(VALU_DEP_1)
	v_floor_f32_e32 v3, v3
	v_fma_f32 v5, 0xcf800000, v3, |v1|
	v_cvt_u32_f32_e32 v1, v3
	s_delay_alu instid0(VALU_DEP_2) | instskip(NEXT) | instid1(VALU_DEP_2)
	v_cvt_u32_f32_e32 v3, v5
	v_dual_mov_b32 v5, v4 :: v_dual_bitop2_b32 v17, v1, v4 bitop3:0x14
	s_delay_alu instid0(VALU_DEP_2) | instskip(NEXT) | instid1(VALU_DEP_1)
	v_xor_b32_e32 v16, v3, v4
	v_sub_nc_u64_e32 v[4:5], v[16:17], v[4:5]
.LBB31_1404:
	s_or_b32 exec_lo, exec_lo, s41
	s_mov_b32 s41, 0
	s_branch .LBB31_1410
.LBB31_1405:
	s_mov_b32 s42, -1
                                        ; implicit-def: $vgpr4_vgpr5
	s_branch .LBB31_1416
.LBB31_1406:
	s_and_not1_saveexec_b32 s41, s41
	s_cbranch_execz .LBB31_1391
.LBB31_1407:
	v_cmp_ne_u16_e32 vcc_lo, 0, v1
	s_and_not1_b32 s20, s42, exec_lo
	s_and_b32 s21, vcc_lo, exec_lo
	s_delay_alu instid0(SALU_CYCLE_1)
	s_or_b32 s42, s20, s21
	s_or_b32 exec_lo, exec_lo, s41
	v_mov_b64_e32 v[4:5], 0
	s_and_saveexec_b32 s41, s42
	s_cbranch_execnz .LBB31_1392
	s_branch .LBB31_1393
.LBB31_1408:
	s_mov_b32 s41, -1
                                        ; implicit-def: $vgpr4_vgpr5
	s_branch .LBB31_1413
.LBB31_1409:
	s_mov_b32 s41, -1
                                        ; implicit-def: $vgpr4_vgpr5
.LBB31_1410:
	s_delay_alu instid0(SALU_CYCLE_1)
	s_and_b32 vcc_lo, exec_lo, s41
	s_cbranch_vccz .LBB31_1412
; %bb.1411:
	global_load_u8 v1, v[14:15], off
	s_wait_loadcnt 0x0
	v_lshlrev_b32_e32 v1, 24, v1
	s_delay_alu instid0(VALU_DEP_1) | instskip(NEXT) | instid1(VALU_DEP_1)
	v_and_b32_e32 v3, 0x7f000000, v1
	v_clz_i32_u32_e32 v4, v3
	v_add_nc_u32_e32 v7, 0x1000000, v3
	v_cmp_ne_u32_e32 vcc_lo, 0, v3
	s_delay_alu instid0(VALU_DEP_3) | instskip(NEXT) | instid1(VALU_DEP_1)
	v_min_u32_e32 v4, 32, v4
	v_sub_nc_u32_e64 v4, v4, 4 clamp
	s_delay_alu instid0(VALU_DEP_1) | instskip(NEXT) | instid1(VALU_DEP_1)
	v_dual_lshlrev_b32 v5, v4, v3 :: v_dual_lshlrev_b32 v4, 23, v4
	v_lshrrev_b32_e32 v5, 4, v5
	s_delay_alu instid0(VALU_DEP_1) | instskip(NEXT) | instid1(VALU_DEP_1)
	v_dual_sub_nc_u32 v4, v5, v4 :: v_dual_ashrrev_i32 v5, 8, v7
	v_add_nc_u32_e32 v4, 0x3c000000, v4
	s_delay_alu instid0(VALU_DEP_1) | instskip(NEXT) | instid1(VALU_DEP_1)
	v_and_or_b32 v4, 0x7f800000, v5, v4
	v_cndmask_b32_e32 v3, 0, v4, vcc_lo
	s_delay_alu instid0(VALU_DEP_1) | instskip(NEXT) | instid1(VALU_DEP_1)
	v_and_or_b32 v1, 0x80000000, v1, v3
	v_trunc_f32_e32 v1, v1
	s_delay_alu instid0(VALU_DEP_1) | instskip(SKIP_1) | instid1(VALU_DEP_2)
	v_mul_f32_e64 v3, 0x2f800000, |v1|
	v_ashrrev_i32_e32 v4, 31, v1
	v_floor_f32_e32 v3, v3
	s_delay_alu instid0(VALU_DEP_1) | instskip(SKIP_1) | instid1(VALU_DEP_2)
	v_fma_f32 v5, 0xcf800000, v3, |v1|
	v_cvt_u32_f32_e32 v1, v3
	v_cvt_u32_f32_e32 v3, v5
	s_delay_alu instid0(VALU_DEP_2) | instskip(NEXT) | instid1(VALU_DEP_2)
	v_dual_mov_b32 v5, v4 :: v_dual_bitop2_b32 v17, v1, v4 bitop3:0x14
	v_xor_b32_e32 v16, v3, v4
	s_delay_alu instid0(VALU_DEP_1)
	v_sub_nc_u64_e32 v[4:5], v[16:17], v[4:5]
.LBB31_1412:
	s_mov_b32 s41, 0
.LBB31_1413:
	s_delay_alu instid0(SALU_CYCLE_1)
	s_and_not1_b32 vcc_lo, exec_lo, s41
	s_cbranch_vccnz .LBB31_1415
; %bb.1414:
	global_load_u8 v1, v[14:15], off
	s_wait_loadcnt 0x0
	v_lshlrev_b32_e32 v3, 25, v1
	v_lshlrev_b16 v1, 8, v1
	s_delay_alu instid0(VALU_DEP_1) | instskip(NEXT) | instid1(VALU_DEP_3)
	v_and_or_b32 v5, 0x7f00, v1, 0.5
	v_lshrrev_b32_e32 v4, 4, v3
	v_bfe_i32 v1, v1, 0, 16
	s_delay_alu instid0(VALU_DEP_3) | instskip(NEXT) | instid1(VALU_DEP_3)
	v_add_f32_e32 v5, -0.5, v5
	v_or_b32_e32 v4, 0x70000000, v4
	s_delay_alu instid0(VALU_DEP_1) | instskip(SKIP_1) | instid1(VALU_DEP_2)
	v_mul_f32_e32 v4, 0x7800000, v4
	v_cmp_gt_u32_e32 vcc_lo, 0x8000000, v3
	v_cndmask_b32_e32 v3, v4, v5, vcc_lo
	s_delay_alu instid0(VALU_DEP_1) | instskip(NEXT) | instid1(VALU_DEP_1)
	v_and_or_b32 v1, 0x80000000, v1, v3
	v_trunc_f32_e32 v1, v1
	s_delay_alu instid0(VALU_DEP_1) | instskip(SKIP_1) | instid1(VALU_DEP_2)
	v_mul_f32_e64 v3, 0x2f800000, |v1|
	v_ashrrev_i32_e32 v4, 31, v1
	v_floor_f32_e32 v3, v3
	s_delay_alu instid0(VALU_DEP_1) | instskip(SKIP_1) | instid1(VALU_DEP_2)
	v_fma_f32 v5, 0xcf800000, v3, |v1|
	v_cvt_u32_f32_e32 v1, v3
	v_cvt_u32_f32_e32 v3, v5
	s_delay_alu instid0(VALU_DEP_2) | instskip(NEXT) | instid1(VALU_DEP_2)
	v_dual_mov_b32 v5, v4 :: v_dual_bitop2_b32 v17, v1, v4 bitop3:0x14
	v_xor_b32_e32 v16, v3, v4
	s_delay_alu instid0(VALU_DEP_1)
	v_sub_nc_u64_e32 v[4:5], v[16:17], v[4:5]
.LBB31_1415:
	s_mov_b32 s42, 0
	s_mov_b32 s41, -1
.LBB31_1416:
	s_and_not1_b32 vcc_lo, exec_lo, s42
	s_cbranch_vccnz .LBB31_1429
; %bb.1417:
	s_cmp_gt_i32 s35, 14
	s_cbranch_scc0 .LBB31_1420
; %bb.1418:
	s_cmp_eq_u32 s35, 15
	s_cbranch_scc0 .LBB31_1423
; %bb.1419:
	global_load_u16 v1, v[14:15], off
	s_mov_b32 s41, -1
	s_mov_b32 s26, 0
	s_wait_loadcnt 0x0
	v_lshlrev_b32_e32 v1, 16, v1
	s_delay_alu instid0(VALU_DEP_1) | instskip(NEXT) | instid1(VALU_DEP_1)
	v_trunc_f32_e32 v1, v1
	v_mul_f32_e64 v3, 0x2f800000, |v1|
	v_ashrrev_i32_e32 v4, 31, v1
	s_delay_alu instid0(VALU_DEP_2) | instskip(NEXT) | instid1(VALU_DEP_1)
	v_floor_f32_e32 v3, v3
	v_fma_f32 v5, 0xcf800000, v3, |v1|
	v_cvt_u32_f32_e32 v1, v3
	s_delay_alu instid0(VALU_DEP_2) | instskip(NEXT) | instid1(VALU_DEP_2)
	v_cvt_u32_f32_e32 v3, v5
	v_dual_mov_b32 v5, v4 :: v_dual_bitop2_b32 v17, v1, v4 bitop3:0x14
	s_delay_alu instid0(VALU_DEP_2) | instskip(NEXT) | instid1(VALU_DEP_1)
	v_xor_b32_e32 v16, v3, v4
	v_sub_nc_u64_e32 v[4:5], v[16:17], v[4:5]
	s_branch .LBB31_1424
.LBB31_1420:
	s_mov_b32 s42, -1
                                        ; implicit-def: $vgpr4_vgpr5
	s_branch .LBB31_1425
.LBB31_1421:
	s_and_not1_saveexec_b32 s41, s41
	s_cbranch_execz .LBB31_1402
.LBB31_1422:
	v_cmp_ne_u16_e32 vcc_lo, 0, v1
	s_and_not1_b32 s20, s42, exec_lo
	s_and_b32 s21, vcc_lo, exec_lo
	s_delay_alu instid0(SALU_CYCLE_1)
	s_or_b32 s42, s20, s21
	s_or_b32 exec_lo, exec_lo, s41
	v_mov_b64_e32 v[4:5], 0
	s_and_saveexec_b32 s41, s42
	s_cbranch_execnz .LBB31_1403
	s_branch .LBB31_1404
.LBB31_1423:
	s_mov_b32 s26, -1
                                        ; implicit-def: $vgpr4_vgpr5
.LBB31_1424:
	s_mov_b32 s42, 0
.LBB31_1425:
	s_delay_alu instid0(SALU_CYCLE_1)
	s_and_b32 vcc_lo, exec_lo, s42
	s_cbranch_vccz .LBB31_1429
; %bb.1426:
	s_cmp_eq_u32 s35, 11
	s_cbranch_scc0 .LBB31_1428
; %bb.1427:
	global_load_u8 v1, v[14:15], off
	s_mov_b32 s26, 0
	s_mov_b32 s41, -1
	s_wait_loadcnt 0x1
	v_mov_b32_e32 v5, s26
	s_wait_loadcnt 0x0
	v_cmp_ne_u16_e32 vcc_lo, 0, v1
	v_cndmask_b32_e64 v4, 0, 1, vcc_lo
	s_branch .LBB31_1429
.LBB31_1428:
	s_mov_b32 s26, -1
                                        ; implicit-def: $vgpr4_vgpr5
.LBB31_1429:
	s_mov_b32 s35, 0
.LBB31_1430:
	s_delay_alu instid0(SALU_CYCLE_1)
	s_and_b32 vcc_lo, exec_lo, s35
	s_cbranch_vccz .LBB31_1479
; %bb.1431:
	s_and_b32 s0, 0xffff, s0
	s_delay_alu instid0(SALU_CYCLE_1)
	s_cmp_lt_i32 s0, 5
	s_cbranch_scc1 .LBB31_1436
; %bb.1432:
	s_cmp_lt_i32 s0, 8
	s_cbranch_scc1 .LBB31_1437
; %bb.1433:
	;; [unrolled: 3-line block ×3, first 2 shown]
	s_cmp_gt_i32 s0, 9
	s_cbranch_scc0 .LBB31_1439
; %bb.1435:
	s_wait_loadcnt 0x0
	global_load_b64 v[4:5], v[14:15], off
	s_mov_b32 s35, 0
	s_wait_loadcnt 0x0
	v_trunc_f64_e32 v[4:5], v[4:5]
	s_delay_alu instid0(VALU_DEP_1) | instskip(NEXT) | instid1(VALU_DEP_1)
	v_ldexp_f64 v[16:17], v[4:5], 0xffffffe0
	v_floor_f64_e32 v[16:17], v[16:17]
	s_delay_alu instid0(VALU_DEP_1) | instskip(SKIP_1) | instid1(VALU_DEP_2)
	v_fmamk_f64 v[18:19], v[16:17], 0xc1f00000, v[4:5]
	v_cvt_i32_f64_e32 v5, v[16:17]
	v_cvt_u32_f64_e32 v4, v[18:19]
	s_branch .LBB31_1440
.LBB31_1436:
	s_mov_b32 s35, -1
                                        ; implicit-def: $vgpr4_vgpr5
	s_branch .LBB31_1458
.LBB31_1437:
	s_mov_b32 s35, -1
                                        ; implicit-def: $vgpr4_vgpr5
	s_branch .LBB31_1446
.LBB31_1438:
	s_mov_b32 s35, -1
                                        ; implicit-def: $vgpr4_vgpr5
	s_branch .LBB31_1443
.LBB31_1439:
	s_mov_b32 s35, -1
                                        ; implicit-def: $vgpr4_vgpr5
.LBB31_1440:
	s_delay_alu instid0(SALU_CYCLE_1)
	s_and_not1_b32 vcc_lo, exec_lo, s35
	s_cbranch_vccnz .LBB31_1442
; %bb.1441:
	global_load_b32 v1, v[14:15], off
	s_wait_loadcnt 0x0
	v_trunc_f32_e32 v1, v1
	s_delay_alu instid0(VALU_DEP_1) | instskip(SKIP_1) | instid1(VALU_DEP_2)
	v_mul_f32_e64 v3, 0x2f800000, |v1|
	v_ashrrev_i32_e32 v4, 31, v1
	v_floor_f32_e32 v3, v3
	s_delay_alu instid0(VALU_DEP_1) | instskip(SKIP_1) | instid1(VALU_DEP_2)
	v_fma_f32 v5, 0xcf800000, v3, |v1|
	v_cvt_u32_f32_e32 v1, v3
	v_cvt_u32_f32_e32 v3, v5
	s_delay_alu instid0(VALU_DEP_2) | instskip(NEXT) | instid1(VALU_DEP_2)
	v_dual_mov_b32 v5, v4 :: v_dual_bitop2_b32 v17, v1, v4 bitop3:0x14
	v_xor_b32_e32 v16, v3, v4
	s_delay_alu instid0(VALU_DEP_1)
	v_sub_nc_u64_e32 v[4:5], v[16:17], v[4:5]
.LBB31_1442:
	s_mov_b32 s35, 0
.LBB31_1443:
	s_delay_alu instid0(SALU_CYCLE_1)
	s_and_not1_b32 vcc_lo, exec_lo, s35
	s_cbranch_vccnz .LBB31_1445
; %bb.1444:
	global_load_b32 v1, v[14:15], off
	s_wait_loadcnt 0x0
	v_cvt_f32_f16_e32 v1, v1
	s_delay_alu instid0(VALU_DEP_1) | instskip(NEXT) | instid1(VALU_DEP_1)
	v_cvt_i32_f32_e32 v4, v1
	v_ashrrev_i32_e32 v5, 31, v4
.LBB31_1445:
	s_mov_b32 s35, 0
.LBB31_1446:
	s_delay_alu instid0(SALU_CYCLE_1)
	s_and_not1_b32 vcc_lo, exec_lo, s35
	s_cbranch_vccnz .LBB31_1457
; %bb.1447:
	s_cmp_lt_i32 s0, 6
	s_cbranch_scc1 .LBB31_1450
; %bb.1448:
	s_cmp_gt_i32 s0, 6
	s_cbranch_scc0 .LBB31_1451
; %bb.1449:
	s_wait_loadcnt 0x0
	global_load_b64 v[4:5], v[14:15], off
	s_mov_b32 s35, 0
	s_wait_loadcnt 0x0
	v_trunc_f64_e32 v[4:5], v[4:5]
	s_delay_alu instid0(VALU_DEP_1) | instskip(NEXT) | instid1(VALU_DEP_1)
	v_ldexp_f64 v[16:17], v[4:5], 0xffffffe0
	v_floor_f64_e32 v[16:17], v[16:17]
	s_delay_alu instid0(VALU_DEP_1) | instskip(SKIP_1) | instid1(VALU_DEP_2)
	v_fmamk_f64 v[18:19], v[16:17], 0xc1f00000, v[4:5]
	v_cvt_i32_f64_e32 v5, v[16:17]
	v_cvt_u32_f64_e32 v4, v[18:19]
	s_branch .LBB31_1452
.LBB31_1450:
	s_mov_b32 s35, -1
                                        ; implicit-def: $vgpr4_vgpr5
	s_branch .LBB31_1455
.LBB31_1451:
	s_mov_b32 s35, -1
                                        ; implicit-def: $vgpr4_vgpr5
.LBB31_1452:
	s_delay_alu instid0(SALU_CYCLE_1)
	s_and_not1_b32 vcc_lo, exec_lo, s35
	s_cbranch_vccnz .LBB31_1454
; %bb.1453:
	global_load_b32 v1, v[14:15], off
	s_wait_loadcnt 0x0
	v_trunc_f32_e32 v1, v1
	s_delay_alu instid0(VALU_DEP_1) | instskip(SKIP_1) | instid1(VALU_DEP_2)
	v_mul_f32_e64 v3, 0x2f800000, |v1|
	v_ashrrev_i32_e32 v4, 31, v1
	v_floor_f32_e32 v3, v3
	s_delay_alu instid0(VALU_DEP_1) | instskip(SKIP_1) | instid1(VALU_DEP_2)
	v_fma_f32 v5, 0xcf800000, v3, |v1|
	v_cvt_u32_f32_e32 v1, v3
	v_cvt_u32_f32_e32 v3, v5
	s_delay_alu instid0(VALU_DEP_2) | instskip(NEXT) | instid1(VALU_DEP_2)
	v_dual_mov_b32 v5, v4 :: v_dual_bitop2_b32 v17, v1, v4 bitop3:0x14
	v_xor_b32_e32 v16, v3, v4
	s_delay_alu instid0(VALU_DEP_1)
	v_sub_nc_u64_e32 v[4:5], v[16:17], v[4:5]
.LBB31_1454:
	s_mov_b32 s35, 0
.LBB31_1455:
	s_delay_alu instid0(SALU_CYCLE_1)
	s_and_not1_b32 vcc_lo, exec_lo, s35
	s_cbranch_vccnz .LBB31_1457
; %bb.1456:
	global_load_u16 v1, v[14:15], off
	s_wait_loadcnt 0x0
	v_cvt_f32_f16_e32 v1, v1
	s_delay_alu instid0(VALU_DEP_1) | instskip(NEXT) | instid1(VALU_DEP_1)
	v_cvt_i32_f32_e32 v4, v1
	v_ashrrev_i32_e32 v5, 31, v4
.LBB31_1457:
	s_mov_b32 s35, 0
.LBB31_1458:
	s_delay_alu instid0(SALU_CYCLE_1)
	s_and_not1_b32 vcc_lo, exec_lo, s35
	s_cbranch_vccnz .LBB31_1478
; %bb.1459:
	s_cmp_lt_i32 s0, 2
	s_cbranch_scc1 .LBB31_1463
; %bb.1460:
	s_cmp_lt_i32 s0, 3
	s_cbranch_scc1 .LBB31_1464
; %bb.1461:
	s_cmp_gt_i32 s0, 3
	s_cbranch_scc0 .LBB31_1465
; %bb.1462:
	s_wait_loadcnt 0x0
	global_load_b64 v[4:5], v[14:15], off
	s_mov_b32 s35, 0
	s_branch .LBB31_1466
.LBB31_1463:
	s_mov_b32 s35, -1
                                        ; implicit-def: $vgpr4_vgpr5
	s_branch .LBB31_1472
.LBB31_1464:
	s_mov_b32 s35, -1
                                        ; implicit-def: $vgpr4_vgpr5
	s_branch .LBB31_1469
.LBB31_1465:
	s_mov_b32 s35, -1
                                        ; implicit-def: $vgpr4_vgpr5
.LBB31_1466:
	s_delay_alu instid0(SALU_CYCLE_1)
	s_and_not1_b32 vcc_lo, exec_lo, s35
	s_cbranch_vccnz .LBB31_1468
; %bb.1467:
	s_wait_loadcnt 0x0
	global_load_b32 v4, v[14:15], off
	s_wait_loadcnt 0x0
	v_ashrrev_i32_e32 v5, 31, v4
.LBB31_1468:
	s_mov_b32 s35, 0
.LBB31_1469:
	s_delay_alu instid0(SALU_CYCLE_1)
	s_and_not1_b32 vcc_lo, exec_lo, s35
	s_cbranch_vccnz .LBB31_1471
; %bb.1470:
	global_load_u16 v1, v[14:15], off
	s_wait_loadcnt 0x0
	v_bfe_i32 v4, v1, 0, 16
	s_delay_alu instid0(VALU_DEP_1)
	v_ashrrev_i32_e32 v5, 31, v4
.LBB31_1471:
	s_mov_b32 s35, 0
.LBB31_1472:
	s_delay_alu instid0(SALU_CYCLE_1)
	s_and_not1_b32 vcc_lo, exec_lo, s35
	s_cbranch_vccnz .LBB31_1478
; %bb.1473:
	s_cmp_gt_i32 s0, 0
	s_mov_b32 s0, 0
	s_cbranch_scc0 .LBB31_1475
; %bb.1474:
	global_load_i8 v1, v[14:15], off
	s_wait_loadcnt 0x0
	v_bfe_i32 v4, v1, 0, 16
	s_delay_alu instid0(VALU_DEP_1)
	v_ashrrev_i32_e32 v5, 31, v4
	s_branch .LBB31_1476
.LBB31_1475:
	s_mov_b32 s0, -1
                                        ; implicit-def: $vgpr4_vgpr5
.LBB31_1476:
	s_delay_alu instid0(SALU_CYCLE_1)
	s_and_not1_b32 vcc_lo, exec_lo, s0
	s_cbranch_vccnz .LBB31_1478
; %bb.1477:
	global_load_u8 v1, v[14:15], off
	s_mov_b32 s0, 0
	s_wait_loadcnt 0x1
	v_mov_b32_e32 v5, s0
	s_wait_loadcnt 0x0
	v_and_b32_e32 v4, 0xffff, v1
.LBB31_1478:
	s_mov_b32 s41, -1
.LBB31_1479:
	s_delay_alu instid0(SALU_CYCLE_1)
	s_and_not1_b32 vcc_lo, exec_lo, s41
                                        ; implicit-def: $vgpr66 : SGPR spill to VGPR lane
	v_writelane_b32 v66, s48, 0
	s_cbranch_vccnz .LBB31_1487
; %bb.1480:
	s_load_b512 s[4:19], s[2:3], 0x248
	v_mov_b32_e32 v9, 0
	s_and_b32 s0, s70, 0xff
	s_delay_alu instid0(SALU_CYCLE_1) | instskip(SKIP_1) | instid1(VALU_DEP_1)
	s_cmp_lt_i32 s0, 11
	s_wait_kmcnt 0x0
	v_add_nc_u64_e32 v[14:15], s[8:9], v[8:9]
	s_cbranch_scc1 .LBB31_1488
; %bb.1481:
	s_and_b32 s35, 0xffff, s0
	s_delay_alu instid0(SALU_CYCLE_1)
	s_cmp_gt_i32 s35, 25
	s_cbranch_scc0 .LBB31_1489
; %bb.1482:
	s_cmp_gt_i32 s35, 28
	s_cbranch_scc0 .LBB31_1490
; %bb.1483:
	;; [unrolled: 3-line block ×4, first 2 shown]
	s_cmp_eq_u32 s35, 46
	s_mov_b32 s42, 0
	s_cbranch_scc0 .LBB31_1494
; %bb.1486:
	global_load_b32 v1, v[14:15], off
	s_mov_b32 s41, -1
	s_mov_b32 s27, 0
	s_wait_loadcnt 0x0
	v_lshlrev_b32_e32 v1, 16, v1
	s_delay_alu instid0(VALU_DEP_1) | instskip(NEXT) | instid1(VALU_DEP_1)
	v_trunc_f32_e32 v1, v1
	v_mul_f32_e64 v3, 0x2f800000, |v1|
	v_ashrrev_i32_e32 v8, 31, v1
	s_delay_alu instid0(VALU_DEP_2) | instskip(NEXT) | instid1(VALU_DEP_2)
	v_floor_f32_e32 v3, v3
	v_mov_b32_e32 v9, v8
	s_delay_alu instid0(VALU_DEP_2) | instskip(SKIP_1) | instid1(VALU_DEP_2)
	v_fma_f32 v7, 0xcf800000, v3, |v1|
	v_cvt_u32_f32_e32 v1, v3
	v_cvt_u32_f32_e32 v3, v7
	s_delay_alu instid0(VALU_DEP_2) | instskip(NEXT) | instid1(VALU_DEP_2)
	v_xor_b32_e32 v17, v1, v8
	v_xor_b32_e32 v16, v3, v8
	s_delay_alu instid0(VALU_DEP_1)
	v_sub_nc_u64_e32 v[8:9], v[16:17], v[8:9]
	s_branch .LBB31_1496
.LBB31_1487:
	s_mov_b32 s48, vcc_hi
	s_mov_b32 s0, 0
	s_mov_b32 s35, s40
	s_mov_b32 s41, s96
	s_mov_b32 s42, s79
	s_mov_b32 s54, s93
	s_mov_b32 s43, s94
	s_mov_b32 s100, s91
	s_mov_b32 vcc_hi, s92
	s_mov_b32 s20, s89
	s_mov_b32 s27, s90
	s_branch .LBB31_2085
.LBB31_1488:
	s_mov_b32 s35, -1
	s_mov_b32 s41, 0
	s_mov_b32 s27, s90
                                        ; implicit-def: $vgpr8_vgpr9
	s_branch .LBB31_1557
.LBB31_1489:
	s_mov_b32 s42, -1
	s_mov_b32 s41, 0
	s_mov_b32 s27, s90
                                        ; implicit-def: $vgpr8_vgpr9
	s_branch .LBB31_1523
.LBB31_1490:
	s_mov_b32 s42, -1
	s_mov_b32 s41, 0
	s_mov_b32 s27, s90
                                        ; implicit-def: $vgpr8_vgpr9
	s_branch .LBB31_1506
.LBB31_1491:
	s_mov_b32 s42, -1
	s_mov_b32 s41, 0
	s_mov_b32 s27, s90
                                        ; implicit-def: $vgpr8_vgpr9
	s_branch .LBB31_1501
.LBB31_1492:
	s_mov_b32 s42, -1
	s_mov_b32 s41, 0
	s_mov_b32 s27, s90
	s_branch .LBB31_1495
.LBB31_1493:
	s_mov_b32 s54, -1
	s_mov_b32 s55, 0
	s_mov_b32 s42, s64
	s_branch .LBB31_3646
.LBB31_1494:
	s_mov_b32 s27, -1
	s_mov_b32 s41, 0
.LBB31_1495:
                                        ; implicit-def: $vgpr8_vgpr9
.LBB31_1496:
	s_and_b32 vcc_lo, exec_lo, s42
	s_cbranch_vccz .LBB31_1500
; %bb.1497:
	s_cmp_eq_u32 s35, 44
	s_cbranch_scc0 .LBB31_1499
; %bb.1498:
	global_load_u8 v1, v[14:15], off
	s_mov_b32 s27, 0
	s_mov_b32 s41, -1
	s_wait_loadcnt 0x0
	v_lshlrev_b32_e32 v3, 23, v1
	v_cmp_ne_u32_e32 vcc_lo, 0, v1
	s_delay_alu instid0(VALU_DEP_2) | instskip(NEXT) | instid1(VALU_DEP_1)
	v_trunc_f32_e32 v3, v3
	v_mul_f32_e64 v7, 0x2f800000, |v3|
	v_ashrrev_i32_e32 v8, 31, v3
	s_delay_alu instid0(VALU_DEP_2) | instskip(NEXT) | instid1(VALU_DEP_1)
	v_floor_f32_e32 v7, v7
	v_fma_f32 v9, 0xcf800000, v7, |v3|
	v_cvt_u32_f32_e32 v3, v7
	s_delay_alu instid0(VALU_DEP_2) | instskip(NEXT) | instid1(VALU_DEP_2)
	v_cvt_u32_f32_e32 v7, v9
	v_dual_mov_b32 v9, v8 :: v_dual_bitop2_b32 v17, v3, v8 bitop3:0x14
	s_delay_alu instid0(VALU_DEP_2) | instskip(NEXT) | instid1(VALU_DEP_1)
	v_xor_b32_e32 v16, v7, v8
	v_sub_nc_u64_e32 v[8:9], v[16:17], v[8:9]
	s_delay_alu instid0(VALU_DEP_1)
	v_dual_cndmask_b32 v9, 0, v9 :: v_dual_cndmask_b32 v8, 0, v8
	s_branch .LBB31_1500
.LBB31_1499:
	s_mov_b32 s27, -1
                                        ; implicit-def: $vgpr8_vgpr9
.LBB31_1500:
	s_mov_b32 s42, 0
.LBB31_1501:
	s_delay_alu instid0(SALU_CYCLE_1)
	s_and_b32 vcc_lo, exec_lo, s42
	s_cbranch_vccz .LBB31_1505
; %bb.1502:
	s_cmp_eq_u32 s35, 29
	s_cbranch_scc0 .LBB31_1504
; %bb.1503:
	global_load_b64 v[8:9], v[14:15], off
	s_mov_b32 s41, -1
	s_mov_b32 s27, 0
	s_branch .LBB31_1505
.LBB31_1504:
	s_mov_b32 s27, -1
                                        ; implicit-def: $vgpr8_vgpr9
.LBB31_1505:
	s_mov_b32 s42, 0
.LBB31_1506:
	s_delay_alu instid0(SALU_CYCLE_1)
	s_and_b32 vcc_lo, exec_lo, s42
	s_cbranch_vccz .LBB31_1522
; %bb.1507:
	s_cmp_lt_i32 s35, 27
	s_cbranch_scc1 .LBB31_1510
; %bb.1508:
	s_cmp_gt_i32 s35, 27
	s_cbranch_scc0 .LBB31_1511
; %bb.1509:
	s_wait_loadcnt 0x0
	global_load_b32 v8, v[14:15], off
	v_mov_b32_e32 v9, 0
	s_mov_b32 s41, 0
	s_branch .LBB31_1512
.LBB31_1510:
	s_mov_b32 s41, -1
                                        ; implicit-def: $vgpr8_vgpr9
	s_branch .LBB31_1515
.LBB31_1511:
	s_mov_b32 s41, -1
                                        ; implicit-def: $vgpr8_vgpr9
.LBB31_1512:
	s_delay_alu instid0(SALU_CYCLE_1)
	s_and_not1_b32 vcc_lo, exec_lo, s41
	s_cbranch_vccnz .LBB31_1514
; %bb.1513:
	global_load_u16 v1, v[14:15], off
	s_mov_b32 s21, 0
	s_wait_loadcnt 0x1
	v_mov_b32_e32 v9, s21
	s_wait_loadcnt 0x0
	v_and_b32_e32 v8, 0xffff, v1
.LBB31_1514:
	s_mov_b32 s41, 0
.LBB31_1515:
	s_delay_alu instid0(SALU_CYCLE_1)
	s_and_not1_b32 vcc_lo, exec_lo, s41
	s_cbranch_vccnz .LBB31_1521
; %bb.1516:
	global_load_u8 v1, v[14:15], off
	s_mov_b32 s42, 0
	s_mov_b32 s21, exec_lo
	s_wait_loadcnt 0x0
	v_cmpx_lt_i16_e32 0x7f, v1
	s_xor_b32 s41, exec_lo, s21
	s_cbranch_execz .LBB31_1533
; %bb.1517:
	v_cmp_ne_u16_e32 vcc_lo, 0x80, v1
	s_and_b32 s42, vcc_lo, exec_lo
	s_and_not1_saveexec_b32 s41, s41
	s_cbranch_execnz .LBB31_1534
.LBB31_1518:
	s_or_b32 exec_lo, exec_lo, s41
	v_mov_b64_e32 v[8:9], 0
	s_and_saveexec_b32 s41, s42
	s_cbranch_execz .LBB31_1520
.LBB31_1519:
	v_and_b32_e32 v3, 0xffff, v1
	s_delay_alu instid0(VALU_DEP_1) | instskip(SKIP_1) | instid1(VALU_DEP_2)
	v_and_b32_e32 v7, 7, v3
	v_bfe_u32 v11, v3, 3, 4
	v_clz_i32_u32_e32 v8, v7
	s_delay_alu instid0(VALU_DEP_2) | instskip(NEXT) | instid1(VALU_DEP_2)
	v_cmp_eq_u32_e32 vcc_lo, 0, v11
	v_min_u32_e32 v8, 32, v8
	s_delay_alu instid0(VALU_DEP_1) | instskip(NEXT) | instid1(VALU_DEP_1)
	v_subrev_nc_u32_e32 v9, 28, v8
	v_dual_lshlrev_b32 v3, v9, v3 :: v_dual_sub_nc_u32 v8, 29, v8
	s_delay_alu instid0(VALU_DEP_1) | instskip(NEXT) | instid1(VALU_DEP_2)
	v_dual_lshlrev_b32 v1, 24, v1 :: v_dual_bitop2_b32 v3, 7, v3 bitop3:0x40
	v_cndmask_b32_e32 v8, v11, v8, vcc_lo
	s_delay_alu instid0(VALU_DEP_2) | instskip(NEXT) | instid1(VALU_DEP_3)
	v_cndmask_b32_e32 v3, v7, v3, vcc_lo
	v_and_b32_e32 v1, 0x80000000, v1
	s_delay_alu instid0(VALU_DEP_3) | instskip(NEXT) | instid1(VALU_DEP_3)
	v_lshl_add_u32 v7, v8, 23, 0x3b800000
	v_lshlrev_b32_e32 v3, 20, v3
	s_delay_alu instid0(VALU_DEP_1) | instskip(NEXT) | instid1(VALU_DEP_1)
	v_or3_b32 v1, v1, v7, v3
	v_trunc_f32_e32 v1, v1
	s_delay_alu instid0(VALU_DEP_1) | instskip(SKIP_1) | instid1(VALU_DEP_2)
	v_mul_f32_e64 v3, 0x2f800000, |v1|
	v_ashrrev_i32_e32 v8, 31, v1
	v_floor_f32_e32 v3, v3
	s_delay_alu instid0(VALU_DEP_2) | instskip(NEXT) | instid1(VALU_DEP_2)
	v_mov_b32_e32 v9, v8
	v_fma_f32 v7, 0xcf800000, v3, |v1|
	v_cvt_u32_f32_e32 v1, v3
	s_delay_alu instid0(VALU_DEP_2) | instskip(NEXT) | instid1(VALU_DEP_2)
	v_cvt_u32_f32_e32 v3, v7
	v_xor_b32_e32 v17, v1, v8
	s_delay_alu instid0(VALU_DEP_2) | instskip(NEXT) | instid1(VALU_DEP_1)
	v_xor_b32_e32 v16, v3, v8
	v_sub_nc_u64_e32 v[8:9], v[16:17], v[8:9]
.LBB31_1520:
	s_or_b32 exec_lo, exec_lo, s41
.LBB31_1521:
	s_mov_b32 s41, -1
.LBB31_1522:
	s_mov_b32 s42, 0
.LBB31_1523:
	s_delay_alu instid0(SALU_CYCLE_1)
	s_and_b32 vcc_lo, exec_lo, s42
	s_cbranch_vccz .LBB31_1556
; %bb.1524:
	s_cmp_gt_i32 s35, 22
	s_cbranch_scc0 .LBB31_1532
; %bb.1525:
	s_cmp_lt_i32 s35, 24
	s_cbranch_scc1 .LBB31_1535
; %bb.1526:
	s_cmp_gt_i32 s35, 24
	s_cbranch_scc0 .LBB31_1536
; %bb.1527:
	global_load_u8 v1, v[14:15], off
	s_mov_b32 s42, 0
	s_mov_b32 s21, exec_lo
	s_wait_loadcnt 0x0
	v_cmpx_lt_i16_e32 0x7f, v1
	s_xor_b32 s41, exec_lo, s21
	s_cbranch_execz .LBB31_1548
; %bb.1528:
	v_cmp_ne_u16_e32 vcc_lo, 0x80, v1
	s_and_b32 s42, vcc_lo, exec_lo
	s_and_not1_saveexec_b32 s41, s41
	s_cbranch_execnz .LBB31_1549
.LBB31_1529:
	s_or_b32 exec_lo, exec_lo, s41
	v_mov_b64_e32 v[8:9], 0
	s_and_saveexec_b32 s41, s42
	s_cbranch_execz .LBB31_1531
.LBB31_1530:
	v_and_b32_e32 v3, 0xffff, v1
	s_delay_alu instid0(VALU_DEP_1) | instskip(SKIP_1) | instid1(VALU_DEP_2)
	v_and_b32_e32 v7, 3, v3
	v_bfe_u32 v11, v3, 2, 5
	v_clz_i32_u32_e32 v8, v7
	s_delay_alu instid0(VALU_DEP_2) | instskip(NEXT) | instid1(VALU_DEP_2)
	v_cmp_eq_u32_e32 vcc_lo, 0, v11
	v_min_u32_e32 v8, 32, v8
	s_delay_alu instid0(VALU_DEP_1) | instskip(NEXT) | instid1(VALU_DEP_1)
	v_subrev_nc_u32_e32 v9, 29, v8
	v_dual_lshlrev_b32 v3, v9, v3 :: v_dual_sub_nc_u32 v8, 30, v8
	s_delay_alu instid0(VALU_DEP_1) | instskip(NEXT) | instid1(VALU_DEP_2)
	v_dual_lshlrev_b32 v1, 24, v1 :: v_dual_bitop2_b32 v3, 3, v3 bitop3:0x40
	v_cndmask_b32_e32 v8, v11, v8, vcc_lo
	s_delay_alu instid0(VALU_DEP_2) | instskip(NEXT) | instid1(VALU_DEP_3)
	v_cndmask_b32_e32 v3, v7, v3, vcc_lo
	v_and_b32_e32 v1, 0x80000000, v1
	s_delay_alu instid0(VALU_DEP_3) | instskip(NEXT) | instid1(VALU_DEP_3)
	v_lshl_add_u32 v7, v8, 23, 0x37800000
	v_lshlrev_b32_e32 v3, 21, v3
	s_delay_alu instid0(VALU_DEP_1) | instskip(NEXT) | instid1(VALU_DEP_1)
	v_or3_b32 v1, v1, v7, v3
	v_trunc_f32_e32 v1, v1
	s_delay_alu instid0(VALU_DEP_1) | instskip(SKIP_1) | instid1(VALU_DEP_2)
	v_mul_f32_e64 v3, 0x2f800000, |v1|
	v_ashrrev_i32_e32 v8, 31, v1
	v_floor_f32_e32 v3, v3
	s_delay_alu instid0(VALU_DEP_2) | instskip(NEXT) | instid1(VALU_DEP_2)
	v_mov_b32_e32 v9, v8
	v_fma_f32 v7, 0xcf800000, v3, |v1|
	v_cvt_u32_f32_e32 v1, v3
	s_delay_alu instid0(VALU_DEP_2) | instskip(NEXT) | instid1(VALU_DEP_2)
	v_cvt_u32_f32_e32 v3, v7
	v_xor_b32_e32 v17, v1, v8
	s_delay_alu instid0(VALU_DEP_2) | instskip(NEXT) | instid1(VALU_DEP_1)
	v_xor_b32_e32 v16, v3, v8
	v_sub_nc_u64_e32 v[8:9], v[16:17], v[8:9]
.LBB31_1531:
	s_or_b32 exec_lo, exec_lo, s41
	s_mov_b32 s41, 0
	s_branch .LBB31_1537
.LBB31_1532:
	s_mov_b32 s42, -1
                                        ; implicit-def: $vgpr8_vgpr9
	s_branch .LBB31_1543
.LBB31_1533:
	s_and_not1_saveexec_b32 s41, s41
	s_cbranch_execz .LBB31_1518
.LBB31_1534:
	v_cmp_ne_u16_e32 vcc_lo, 0, v1
	s_and_not1_b32 s21, s42, exec_lo
	s_and_b32 s22, vcc_lo, exec_lo
	s_delay_alu instid0(SALU_CYCLE_1)
	s_or_b32 s42, s21, s22
	s_or_b32 exec_lo, exec_lo, s41
	v_mov_b64_e32 v[8:9], 0
	s_and_saveexec_b32 s41, s42
	s_cbranch_execnz .LBB31_1519
	s_branch .LBB31_1520
.LBB31_1535:
	s_mov_b32 s41, -1
                                        ; implicit-def: $vgpr8_vgpr9
	s_branch .LBB31_1540
.LBB31_1536:
	s_mov_b32 s41, -1
                                        ; implicit-def: $vgpr8_vgpr9
.LBB31_1537:
	s_delay_alu instid0(SALU_CYCLE_1)
	s_and_b32 vcc_lo, exec_lo, s41
	s_cbranch_vccz .LBB31_1539
; %bb.1538:
	global_load_u8 v1, v[14:15], off
	s_wait_loadcnt 0x0
	v_lshlrev_b32_e32 v1, 24, v1
	s_delay_alu instid0(VALU_DEP_1) | instskip(NEXT) | instid1(VALU_DEP_1)
	v_and_b32_e32 v3, 0x7f000000, v1
	v_clz_i32_u32_e32 v7, v3
	v_add_nc_u32_e32 v9, 0x1000000, v3
	v_cmp_ne_u32_e32 vcc_lo, 0, v3
	s_delay_alu instid0(VALU_DEP_3) | instskip(NEXT) | instid1(VALU_DEP_1)
	v_min_u32_e32 v7, 32, v7
	v_sub_nc_u32_e64 v7, v7, 4 clamp
	s_delay_alu instid0(VALU_DEP_1) | instskip(NEXT) | instid1(VALU_DEP_1)
	v_lshlrev_b32_e32 v8, v7, v3
	v_dual_lshlrev_b32 v7, 23, v7 :: v_dual_lshrrev_b32 v8, 4, v8
	s_delay_alu instid0(VALU_DEP_1) | instskip(NEXT) | instid1(VALU_DEP_1)
	v_dual_sub_nc_u32 v7, v8, v7 :: v_dual_ashrrev_i32 v8, 8, v9
	v_add_nc_u32_e32 v7, 0x3c000000, v7
	s_delay_alu instid0(VALU_DEP_1) | instskip(NEXT) | instid1(VALU_DEP_1)
	v_and_or_b32 v7, 0x7f800000, v8, v7
	v_cndmask_b32_e32 v3, 0, v7, vcc_lo
	s_delay_alu instid0(VALU_DEP_1) | instskip(NEXT) | instid1(VALU_DEP_1)
	v_and_or_b32 v1, 0x80000000, v1, v3
	v_trunc_f32_e32 v1, v1
	s_delay_alu instid0(VALU_DEP_1) | instskip(SKIP_1) | instid1(VALU_DEP_2)
	v_mul_f32_e64 v3, 0x2f800000, |v1|
	v_ashrrev_i32_e32 v8, 31, v1
	v_floor_f32_e32 v3, v3
	s_delay_alu instid0(VALU_DEP_1) | instskip(SKIP_1) | instid1(VALU_DEP_4)
	v_fma_f32 v7, 0xcf800000, v3, |v1|
	v_cvt_u32_f32_e32 v1, v3
	v_mov_b32_e32 v9, v8
	s_delay_alu instid0(VALU_DEP_3) | instskip(NEXT) | instid1(VALU_DEP_3)
	v_cvt_u32_f32_e32 v3, v7
	v_xor_b32_e32 v17, v1, v8
	s_delay_alu instid0(VALU_DEP_2) | instskip(NEXT) | instid1(VALU_DEP_1)
	v_xor_b32_e32 v16, v3, v8
	v_sub_nc_u64_e32 v[8:9], v[16:17], v[8:9]
.LBB31_1539:
	s_mov_b32 s41, 0
.LBB31_1540:
	s_delay_alu instid0(SALU_CYCLE_1)
	s_and_not1_b32 vcc_lo, exec_lo, s41
	s_cbranch_vccnz .LBB31_1542
; %bb.1541:
	global_load_u8 v1, v[14:15], off
	s_wait_loadcnt 0x0
	v_lshlrev_b32_e32 v3, 25, v1
	v_lshlrev_b16 v1, 8, v1
	s_delay_alu instid0(VALU_DEP_1) | instskip(SKIP_1) | instid1(VALU_DEP_2)
	v_and_or_b32 v8, 0x7f00, v1, 0.5
	v_bfe_i32 v1, v1, 0, 16
	v_dual_add_f32 v8, -0.5, v8 :: v_dual_lshrrev_b32 v7, 4, v3
	v_cmp_gt_u32_e32 vcc_lo, 0x8000000, v3
	s_delay_alu instid0(VALU_DEP_2) | instskip(NEXT) | instid1(VALU_DEP_1)
	v_or_b32_e32 v7, 0x70000000, v7
	v_mul_f32_e32 v7, 0x7800000, v7
	s_delay_alu instid0(VALU_DEP_1) | instskip(NEXT) | instid1(VALU_DEP_1)
	v_cndmask_b32_e32 v3, v7, v8, vcc_lo
	v_and_or_b32 v1, 0x80000000, v1, v3
	s_delay_alu instid0(VALU_DEP_1) | instskip(NEXT) | instid1(VALU_DEP_1)
	v_trunc_f32_e32 v1, v1
	v_mul_f32_e64 v3, 0x2f800000, |v1|
	v_ashrrev_i32_e32 v8, 31, v1
	s_delay_alu instid0(VALU_DEP_2) | instskip(NEXT) | instid1(VALU_DEP_2)
	v_floor_f32_e32 v3, v3
	v_mov_b32_e32 v9, v8
	s_delay_alu instid0(VALU_DEP_2) | instskip(SKIP_1) | instid1(VALU_DEP_2)
	v_fma_f32 v7, 0xcf800000, v3, |v1|
	v_cvt_u32_f32_e32 v1, v3
	v_cvt_u32_f32_e32 v3, v7
	s_delay_alu instid0(VALU_DEP_2) | instskip(NEXT) | instid1(VALU_DEP_2)
	v_xor_b32_e32 v17, v1, v8
	v_xor_b32_e32 v16, v3, v8
	s_delay_alu instid0(VALU_DEP_1)
	v_sub_nc_u64_e32 v[8:9], v[16:17], v[8:9]
.LBB31_1542:
	s_mov_b32 s42, 0
	s_mov_b32 s41, -1
.LBB31_1543:
	s_and_not1_b32 vcc_lo, exec_lo, s42
	s_cbranch_vccnz .LBB31_1556
; %bb.1544:
	s_cmp_gt_i32 s35, 14
	s_cbranch_scc0 .LBB31_1547
; %bb.1545:
	s_cmp_eq_u32 s35, 15
	s_cbranch_scc0 .LBB31_1550
; %bb.1546:
	global_load_u16 v1, v[14:15], off
	s_mov_b32 s41, -1
	s_mov_b32 s27, 0
	s_wait_loadcnt 0x0
	v_lshlrev_b32_e32 v1, 16, v1
	s_delay_alu instid0(VALU_DEP_1) | instskip(NEXT) | instid1(VALU_DEP_1)
	v_trunc_f32_e32 v1, v1
	v_mul_f32_e64 v3, 0x2f800000, |v1|
	v_ashrrev_i32_e32 v8, 31, v1
	s_delay_alu instid0(VALU_DEP_2) | instskip(NEXT) | instid1(VALU_DEP_2)
	v_floor_f32_e32 v3, v3
	v_mov_b32_e32 v9, v8
	s_delay_alu instid0(VALU_DEP_2) | instskip(SKIP_1) | instid1(VALU_DEP_2)
	v_fma_f32 v7, 0xcf800000, v3, |v1|
	v_cvt_u32_f32_e32 v1, v3
	v_cvt_u32_f32_e32 v3, v7
	s_delay_alu instid0(VALU_DEP_2) | instskip(NEXT) | instid1(VALU_DEP_2)
	v_xor_b32_e32 v17, v1, v8
	v_xor_b32_e32 v16, v3, v8
	s_delay_alu instid0(VALU_DEP_1)
	v_sub_nc_u64_e32 v[8:9], v[16:17], v[8:9]
	s_branch .LBB31_1551
.LBB31_1547:
	s_mov_b32 s42, -1
                                        ; implicit-def: $vgpr8_vgpr9
	s_branch .LBB31_1552
.LBB31_1548:
	s_and_not1_saveexec_b32 s41, s41
	s_cbranch_execz .LBB31_1529
.LBB31_1549:
	v_cmp_ne_u16_e32 vcc_lo, 0, v1
	s_and_not1_b32 s21, s42, exec_lo
	s_and_b32 s22, vcc_lo, exec_lo
	s_delay_alu instid0(SALU_CYCLE_1)
	s_or_b32 s42, s21, s22
	s_or_b32 exec_lo, exec_lo, s41
	v_mov_b64_e32 v[8:9], 0
	s_and_saveexec_b32 s41, s42
	s_cbranch_execnz .LBB31_1530
	s_branch .LBB31_1531
.LBB31_1550:
	s_mov_b32 s27, -1
                                        ; implicit-def: $vgpr8_vgpr9
.LBB31_1551:
	s_mov_b32 s42, 0
.LBB31_1552:
	s_delay_alu instid0(SALU_CYCLE_1)
	s_and_b32 vcc_lo, exec_lo, s42
	s_cbranch_vccz .LBB31_1556
; %bb.1553:
	s_cmp_eq_u32 s35, 11
	s_cbranch_scc0 .LBB31_1555
; %bb.1554:
	global_load_u8 v1, v[14:15], off
	s_mov_b32 s27, 0
	s_mov_b32 s41, -1
	s_wait_loadcnt 0x1
	v_mov_b32_e32 v9, s27
	s_wait_loadcnt 0x0
	v_cmp_ne_u16_e32 vcc_lo, 0, v1
	v_cndmask_b32_e64 v8, 0, 1, vcc_lo
	s_branch .LBB31_1556
.LBB31_1555:
	s_mov_b32 s27, -1
                                        ; implicit-def: $vgpr8_vgpr9
.LBB31_1556:
	s_mov_b32 s35, 0
.LBB31_1557:
	s_delay_alu instid0(SALU_CYCLE_1)
	s_and_b32 vcc_lo, exec_lo, s35
	s_cbranch_vccz .LBB31_1606
; %bb.1558:
	s_and_b32 s0, 0xffff, s0
	s_delay_alu instid0(SALU_CYCLE_1)
	s_cmp_lt_i32 s0, 5
	s_cbranch_scc1 .LBB31_1563
; %bb.1559:
	s_cmp_lt_i32 s0, 8
	s_cbranch_scc1 .LBB31_1564
; %bb.1560:
	;; [unrolled: 3-line block ×3, first 2 shown]
	s_cmp_gt_i32 s0, 9
	s_cbranch_scc0 .LBB31_1566
; %bb.1562:
	s_wait_loadcnt 0x0
	global_load_b64 v[8:9], v[14:15], off
	s_mov_b32 s35, 0
	s_wait_loadcnt 0x0
	v_trunc_f64_e32 v[8:9], v[8:9]
	s_delay_alu instid0(VALU_DEP_1) | instskip(NEXT) | instid1(VALU_DEP_1)
	v_ldexp_f64 v[16:17], v[8:9], 0xffffffe0
	v_floor_f64_e32 v[16:17], v[16:17]
	s_delay_alu instid0(VALU_DEP_1) | instskip(SKIP_1) | instid1(VALU_DEP_2)
	v_fmamk_f64 v[18:19], v[16:17], 0xc1f00000, v[8:9]
	v_cvt_i32_f64_e32 v9, v[16:17]
	v_cvt_u32_f64_e32 v8, v[18:19]
	s_branch .LBB31_1567
.LBB31_1563:
	s_mov_b32 s35, -1
                                        ; implicit-def: $vgpr8_vgpr9
	s_branch .LBB31_1585
.LBB31_1564:
	s_mov_b32 s35, -1
                                        ; implicit-def: $vgpr8_vgpr9
	s_branch .LBB31_1573
.LBB31_1565:
	s_mov_b32 s35, -1
                                        ; implicit-def: $vgpr8_vgpr9
	s_branch .LBB31_1570
.LBB31_1566:
	s_mov_b32 s35, -1
                                        ; implicit-def: $vgpr8_vgpr9
.LBB31_1567:
	s_delay_alu instid0(SALU_CYCLE_1)
	s_and_not1_b32 vcc_lo, exec_lo, s35
	s_cbranch_vccnz .LBB31_1569
; %bb.1568:
	global_load_b32 v1, v[14:15], off
	s_wait_loadcnt 0x0
	v_trunc_f32_e32 v1, v1
	s_delay_alu instid0(VALU_DEP_1) | instskip(SKIP_1) | instid1(VALU_DEP_2)
	v_mul_f32_e64 v3, 0x2f800000, |v1|
	v_ashrrev_i32_e32 v8, 31, v1
	v_floor_f32_e32 v3, v3
	s_delay_alu instid0(VALU_DEP_1) | instskip(SKIP_1) | instid1(VALU_DEP_4)
	v_fma_f32 v7, 0xcf800000, v3, |v1|
	v_cvt_u32_f32_e32 v1, v3
	v_mov_b32_e32 v9, v8
	s_delay_alu instid0(VALU_DEP_3) | instskip(NEXT) | instid1(VALU_DEP_3)
	v_cvt_u32_f32_e32 v3, v7
	v_xor_b32_e32 v17, v1, v8
	s_delay_alu instid0(VALU_DEP_2) | instskip(NEXT) | instid1(VALU_DEP_1)
	v_xor_b32_e32 v16, v3, v8
	v_sub_nc_u64_e32 v[8:9], v[16:17], v[8:9]
.LBB31_1569:
	s_mov_b32 s35, 0
.LBB31_1570:
	s_delay_alu instid0(SALU_CYCLE_1)
	s_and_not1_b32 vcc_lo, exec_lo, s35
	s_cbranch_vccnz .LBB31_1572
; %bb.1571:
	global_load_b32 v1, v[14:15], off
	s_wait_loadcnt 0x0
	v_cvt_f32_f16_e32 v1, v1
	s_delay_alu instid0(VALU_DEP_1) | instskip(NEXT) | instid1(VALU_DEP_1)
	v_cvt_i32_f32_e32 v8, v1
	v_ashrrev_i32_e32 v9, 31, v8
.LBB31_1572:
	s_mov_b32 s35, 0
.LBB31_1573:
	s_delay_alu instid0(SALU_CYCLE_1)
	s_and_not1_b32 vcc_lo, exec_lo, s35
	s_cbranch_vccnz .LBB31_1584
; %bb.1574:
	s_cmp_lt_i32 s0, 6
	s_cbranch_scc1 .LBB31_1577
; %bb.1575:
	s_cmp_gt_i32 s0, 6
	s_cbranch_scc0 .LBB31_1578
; %bb.1576:
	s_wait_loadcnt 0x0
	global_load_b64 v[8:9], v[14:15], off
	s_mov_b32 s35, 0
	s_wait_loadcnt 0x0
	v_trunc_f64_e32 v[8:9], v[8:9]
	s_delay_alu instid0(VALU_DEP_1) | instskip(NEXT) | instid1(VALU_DEP_1)
	v_ldexp_f64 v[16:17], v[8:9], 0xffffffe0
	v_floor_f64_e32 v[16:17], v[16:17]
	s_delay_alu instid0(VALU_DEP_1) | instskip(SKIP_1) | instid1(VALU_DEP_2)
	v_fmamk_f64 v[18:19], v[16:17], 0xc1f00000, v[8:9]
	v_cvt_i32_f64_e32 v9, v[16:17]
	v_cvt_u32_f64_e32 v8, v[18:19]
	s_branch .LBB31_1579
.LBB31_1577:
	s_mov_b32 s35, -1
                                        ; implicit-def: $vgpr8_vgpr9
	s_branch .LBB31_1582
.LBB31_1578:
	s_mov_b32 s35, -1
                                        ; implicit-def: $vgpr8_vgpr9
.LBB31_1579:
	s_delay_alu instid0(SALU_CYCLE_1)
	s_and_not1_b32 vcc_lo, exec_lo, s35
	s_cbranch_vccnz .LBB31_1581
; %bb.1580:
	global_load_b32 v1, v[14:15], off
	s_wait_loadcnt 0x0
	v_trunc_f32_e32 v1, v1
	s_delay_alu instid0(VALU_DEP_1) | instskip(SKIP_1) | instid1(VALU_DEP_2)
	v_mul_f32_e64 v3, 0x2f800000, |v1|
	v_ashrrev_i32_e32 v8, 31, v1
	v_floor_f32_e32 v3, v3
	s_delay_alu instid0(VALU_DEP_1) | instskip(SKIP_1) | instid1(VALU_DEP_4)
	v_fma_f32 v7, 0xcf800000, v3, |v1|
	v_cvt_u32_f32_e32 v1, v3
	v_mov_b32_e32 v9, v8
	s_delay_alu instid0(VALU_DEP_3) | instskip(NEXT) | instid1(VALU_DEP_3)
	v_cvt_u32_f32_e32 v3, v7
	v_xor_b32_e32 v17, v1, v8
	s_delay_alu instid0(VALU_DEP_2) | instskip(NEXT) | instid1(VALU_DEP_1)
	v_xor_b32_e32 v16, v3, v8
	v_sub_nc_u64_e32 v[8:9], v[16:17], v[8:9]
.LBB31_1581:
	s_mov_b32 s35, 0
.LBB31_1582:
	s_delay_alu instid0(SALU_CYCLE_1)
	s_and_not1_b32 vcc_lo, exec_lo, s35
	s_cbranch_vccnz .LBB31_1584
; %bb.1583:
	global_load_u16 v1, v[14:15], off
	s_wait_loadcnt 0x0
	v_cvt_f32_f16_e32 v1, v1
	s_delay_alu instid0(VALU_DEP_1) | instskip(NEXT) | instid1(VALU_DEP_1)
	v_cvt_i32_f32_e32 v8, v1
	v_ashrrev_i32_e32 v9, 31, v8
.LBB31_1584:
	s_mov_b32 s35, 0
.LBB31_1585:
	s_delay_alu instid0(SALU_CYCLE_1)
	s_and_not1_b32 vcc_lo, exec_lo, s35
	s_cbranch_vccnz .LBB31_1605
; %bb.1586:
	s_cmp_lt_i32 s0, 2
	s_cbranch_scc1 .LBB31_1590
; %bb.1587:
	s_cmp_lt_i32 s0, 3
	s_cbranch_scc1 .LBB31_1591
; %bb.1588:
	s_cmp_gt_i32 s0, 3
	s_cbranch_scc0 .LBB31_1592
; %bb.1589:
	s_wait_loadcnt 0x0
	global_load_b64 v[8:9], v[14:15], off
	s_mov_b32 s35, 0
	s_branch .LBB31_1593
.LBB31_1590:
	s_mov_b32 s35, -1
                                        ; implicit-def: $vgpr8_vgpr9
	s_branch .LBB31_1599
.LBB31_1591:
	s_mov_b32 s35, -1
                                        ; implicit-def: $vgpr8_vgpr9
	s_branch .LBB31_1596
.LBB31_1592:
	s_mov_b32 s35, -1
                                        ; implicit-def: $vgpr8_vgpr9
.LBB31_1593:
	s_delay_alu instid0(SALU_CYCLE_1)
	s_and_not1_b32 vcc_lo, exec_lo, s35
	s_cbranch_vccnz .LBB31_1595
; %bb.1594:
	s_wait_loadcnt 0x0
	global_load_b32 v8, v[14:15], off
	s_wait_loadcnt 0x0
	v_ashrrev_i32_e32 v9, 31, v8
.LBB31_1595:
	s_mov_b32 s35, 0
.LBB31_1596:
	s_delay_alu instid0(SALU_CYCLE_1)
	s_and_not1_b32 vcc_lo, exec_lo, s35
	s_cbranch_vccnz .LBB31_1598
; %bb.1597:
	global_load_u16 v1, v[14:15], off
	s_wait_loadcnt 0x0
	v_bfe_i32 v8, v1, 0, 16
	s_delay_alu instid0(VALU_DEP_1)
	v_ashrrev_i32_e32 v9, 31, v8
.LBB31_1598:
	s_mov_b32 s35, 0
.LBB31_1599:
	s_delay_alu instid0(SALU_CYCLE_1)
	s_and_not1_b32 vcc_lo, exec_lo, s35
	s_cbranch_vccnz .LBB31_1605
; %bb.1600:
	s_cmp_gt_i32 s0, 0
	s_mov_b32 s0, 0
	s_cbranch_scc0 .LBB31_1602
; %bb.1601:
	global_load_i8 v1, v[14:15], off
	s_wait_loadcnt 0x0
	v_bfe_i32 v8, v1, 0, 16
	s_delay_alu instid0(VALU_DEP_1)
	v_ashrrev_i32_e32 v9, 31, v8
	s_branch .LBB31_1603
.LBB31_1602:
	s_mov_b32 s0, -1
                                        ; implicit-def: $vgpr8_vgpr9
.LBB31_1603:
	s_delay_alu instid0(SALU_CYCLE_1)
	s_and_not1_b32 vcc_lo, exec_lo, s0
	s_cbranch_vccnz .LBB31_1605
; %bb.1604:
	global_load_u8 v1, v[14:15], off
	s_mov_b32 s0, 0
	s_wait_loadcnt 0x1
	v_mov_b32_e32 v9, s0
	s_wait_loadcnt 0x0
	v_and_b32_e32 v8, 0xffff, v1
.LBB31_1605:
	s_mov_b32 s41, -1
.LBB31_1606:
	s_delay_alu instid0(SALU_CYCLE_1)
	s_and_not1_b32 vcc_lo, exec_lo, s41
	s_cbranch_vccnz .LBB31_1614
; %bb.1607:
	s_load_b512 s[4:19], s[2:3], 0x248
	v_mov_b32_e32 v13, 0
	s_and_b32 s0, s28, 0xff
	s_delay_alu instid0(SALU_CYCLE_1) | instskip(SKIP_1) | instid1(VALU_DEP_1)
	s_cmp_lt_i32 s0, 11
	s_wait_kmcnt 0x0
	v_add_nc_u64_e32 v[14:15], s[10:11], v[12:13]
	s_cbranch_scc1 .LBB31_1615
; %bb.1608:
	s_and_b32 s35, 0xffff, s0
	s_delay_alu instid0(SALU_CYCLE_1)
	s_cmp_gt_i32 s35, 25
	s_cbranch_scc0 .LBB31_1616
; %bb.1609:
	s_cmp_gt_i32 s35, 28
	s_cbranch_scc0 .LBB31_1617
; %bb.1610:
	s_cmp_gt_i32 s35, 43
	s_cbranch_scc0 .LBB31_1618
; %bb.1611:
	s_cmp_gt_i32 s35, 45
	s_cbranch_scc0 .LBB31_1619
; %bb.1612:
	s_cmp_eq_u32 s35, 46
	s_mov_b32 s42, 0
	s_cbranch_scc0 .LBB31_1621
; %bb.1613:
	global_load_b32 v1, v[14:15], off
	s_mov_b32 s41, -1
	s_mov_b32 s20, 0
	s_wait_loadcnt 0x0
	v_lshlrev_b32_e32 v1, 16, v1
	s_delay_alu instid0(VALU_DEP_1) | instskip(NEXT) | instid1(VALU_DEP_1)
	v_trunc_f32_e32 v1, v1
	v_mul_f32_e64 v3, 0x2f800000, |v1|
	v_ashrrev_i32_e32 v12, 31, v1
	s_delay_alu instid0(VALU_DEP_2) | instskip(NEXT) | instid1(VALU_DEP_2)
	v_floor_f32_e32 v3, v3
	v_mov_b32_e32 v13, v12
	s_delay_alu instid0(VALU_DEP_2) | instskip(SKIP_1) | instid1(VALU_DEP_2)
	v_fma_f32 v7, 0xcf800000, v3, |v1|
	v_cvt_u32_f32_e32 v1, v3
	v_cvt_u32_f32_e32 v3, v7
	s_delay_alu instid0(VALU_DEP_2) | instskip(NEXT) | instid1(VALU_DEP_2)
	v_xor_b32_e32 v17, v1, v12
	v_xor_b32_e32 v16, v3, v12
	s_delay_alu instid0(VALU_DEP_1)
	v_sub_nc_u64_e32 v[12:13], v[16:17], v[12:13]
	s_branch .LBB31_1623
.LBB31_1614:
	s_mov_b32 s48, vcc_hi
	s_mov_b32 s0, 0
	s_mov_b32 s35, s40
	;; [unrolled: 1-line block ×7, first 2 shown]
	s_mov_b32 vcc_hi, s92
	s_mov_b32 s20, s89
	s_branch .LBB31_2085
.LBB31_1615:
	s_mov_b32 s35, -1
	s_mov_b32 s41, 0
	s_mov_b32 s20, s89
                                        ; implicit-def: $vgpr12_vgpr13
	s_branch .LBB31_1684
.LBB31_1616:
	s_mov_b32 s42, -1
	s_mov_b32 s41, 0
	s_mov_b32 s20, s89
                                        ; implicit-def: $vgpr12_vgpr13
	s_branch .LBB31_1650
.LBB31_1617:
	s_mov_b32 s42, -1
	s_mov_b32 s41, 0
	s_mov_b32 s20, s89
                                        ; implicit-def: $vgpr12_vgpr13
	s_branch .LBB31_1633
.LBB31_1618:
	s_mov_b32 s42, -1
	s_mov_b32 s41, 0
	s_mov_b32 s20, s89
                                        ; implicit-def: $vgpr12_vgpr13
	s_branch .LBB31_1628
.LBB31_1619:
	s_mov_b32 s42, -1
	s_mov_b32 s41, 0
	s_mov_b32 s20, s89
	s_branch .LBB31_1622
.LBB31_1620:
	s_mov_b32 s56, -1
	s_mov_b32 s55, 0
	s_mov_b32 s42, s64
	s_branch .LBB31_3625
.LBB31_1621:
	s_mov_b32 s20, -1
	s_mov_b32 s41, 0
.LBB31_1622:
                                        ; implicit-def: $vgpr12_vgpr13
.LBB31_1623:
	s_and_b32 vcc_lo, exec_lo, s42
	s_cbranch_vccz .LBB31_1627
; %bb.1624:
	s_cmp_eq_u32 s35, 44
	s_cbranch_scc0 .LBB31_1626
; %bb.1625:
	global_load_u8 v1, v[14:15], off
	s_mov_b32 s20, 0
	s_mov_b32 s41, -1
	s_wait_loadcnt 0x0
	v_lshlrev_b32_e32 v3, 23, v1
	v_cmp_ne_u32_e32 vcc_lo, 0, v1
	s_delay_alu instid0(VALU_DEP_2) | instskip(NEXT) | instid1(VALU_DEP_1)
	v_trunc_f32_e32 v3, v3
	v_mul_f32_e64 v7, 0x2f800000, |v3|
	v_ashrrev_i32_e32 v12, 31, v3
	s_delay_alu instid0(VALU_DEP_2) | instskip(NEXT) | instid1(VALU_DEP_2)
	v_floor_f32_e32 v7, v7
	v_mov_b32_e32 v13, v12
	s_delay_alu instid0(VALU_DEP_2) | instskip(SKIP_1) | instid1(VALU_DEP_2)
	v_fma_f32 v11, 0xcf800000, v7, |v3|
	v_cvt_u32_f32_e32 v3, v7
	v_cvt_u32_f32_e32 v7, v11
	s_delay_alu instid0(VALU_DEP_2) | instskip(NEXT) | instid1(VALU_DEP_2)
	v_xor_b32_e32 v17, v3, v12
	v_xor_b32_e32 v16, v7, v12
	s_delay_alu instid0(VALU_DEP_1) | instskip(NEXT) | instid1(VALU_DEP_1)
	v_sub_nc_u64_e32 v[12:13], v[16:17], v[12:13]
	v_dual_cndmask_b32 v13, 0, v13 :: v_dual_cndmask_b32 v12, 0, v12
	s_branch .LBB31_1627
.LBB31_1626:
	s_mov_b32 s20, -1
                                        ; implicit-def: $vgpr12_vgpr13
.LBB31_1627:
	s_mov_b32 s42, 0
.LBB31_1628:
	s_delay_alu instid0(SALU_CYCLE_1)
	s_and_b32 vcc_lo, exec_lo, s42
	s_cbranch_vccz .LBB31_1632
; %bb.1629:
	s_cmp_eq_u32 s35, 29
	s_cbranch_scc0 .LBB31_1631
; %bb.1630:
	global_load_b64 v[12:13], v[14:15], off
	s_mov_b32 s41, -1
	s_mov_b32 s20, 0
	s_branch .LBB31_1632
.LBB31_1631:
	s_mov_b32 s20, -1
                                        ; implicit-def: $vgpr12_vgpr13
.LBB31_1632:
	s_mov_b32 s42, 0
.LBB31_1633:
	s_delay_alu instid0(SALU_CYCLE_1)
	s_and_b32 vcc_lo, exec_lo, s42
	s_cbranch_vccz .LBB31_1649
; %bb.1634:
	s_cmp_lt_i32 s35, 27
	s_cbranch_scc1 .LBB31_1637
; %bb.1635:
	s_cmp_gt_i32 s35, 27
	s_cbranch_scc0 .LBB31_1638
; %bb.1636:
	s_wait_loadcnt 0x0
	global_load_b32 v12, v[14:15], off
	v_mov_b32_e32 v13, 0
	s_mov_b32 s41, 0
	s_branch .LBB31_1639
.LBB31_1637:
	s_mov_b32 s41, -1
                                        ; implicit-def: $vgpr12_vgpr13
	s_branch .LBB31_1642
.LBB31_1638:
	s_mov_b32 s41, -1
                                        ; implicit-def: $vgpr12_vgpr13
.LBB31_1639:
	s_delay_alu instid0(SALU_CYCLE_1)
	s_and_not1_b32 vcc_lo, exec_lo, s41
	s_cbranch_vccnz .LBB31_1641
; %bb.1640:
	global_load_u16 v1, v[14:15], off
	s_mov_b32 s21, 0
	s_wait_loadcnt 0x1
	v_mov_b32_e32 v13, s21
	s_wait_loadcnt 0x0
	v_and_b32_e32 v12, 0xffff, v1
.LBB31_1641:
	s_mov_b32 s41, 0
.LBB31_1642:
	s_delay_alu instid0(SALU_CYCLE_1)
	s_and_not1_b32 vcc_lo, exec_lo, s41
	s_cbranch_vccnz .LBB31_1648
; %bb.1643:
	global_load_u8 v1, v[14:15], off
	s_mov_b32 s42, 0
	s_mov_b32 s21, exec_lo
	s_wait_loadcnt 0x0
	v_cmpx_lt_i16_e32 0x7f, v1
	s_xor_b32 s41, exec_lo, s21
	s_cbranch_execz .LBB31_1660
; %bb.1644:
	v_cmp_ne_u16_e32 vcc_lo, 0x80, v1
	s_and_b32 s42, vcc_lo, exec_lo
	s_and_not1_saveexec_b32 s41, s41
	s_cbranch_execnz .LBB31_1661
.LBB31_1645:
	s_or_b32 exec_lo, exec_lo, s41
	v_mov_b64_e32 v[12:13], 0
	s_and_saveexec_b32 s41, s42
	s_cbranch_execz .LBB31_1647
.LBB31_1646:
	v_and_b32_e32 v3, 0xffff, v1
	s_delay_alu instid0(VALU_DEP_1) | instskip(SKIP_1) | instid1(VALU_DEP_2)
	v_dual_lshlrev_b32 v1, 24, v1 :: v_dual_bitop2_b32 v7, 7, v3 bitop3:0x40
	v_bfe_u32 v13, v3, 3, 4
	v_and_b32_e32 v1, 0x80000000, v1
	s_delay_alu instid0(VALU_DEP_3) | instskip(NEXT) | instid1(VALU_DEP_3)
	v_clz_i32_u32_e32 v11, v7
	v_cmp_eq_u32_e32 vcc_lo, 0, v13
	s_delay_alu instid0(VALU_DEP_2) | instskip(NEXT) | instid1(VALU_DEP_1)
	v_min_u32_e32 v11, 32, v11
	v_subrev_nc_u32_e32 v12, 28, v11
	v_sub_nc_u32_e32 v11, 29, v11
	s_delay_alu instid0(VALU_DEP_2) | instskip(NEXT) | instid1(VALU_DEP_2)
	v_lshlrev_b32_e32 v3, v12, v3
	v_cndmask_b32_e32 v11, v13, v11, vcc_lo
	s_delay_alu instid0(VALU_DEP_2) | instskip(NEXT) | instid1(VALU_DEP_1)
	v_and_b32_e32 v3, 7, v3
	v_cndmask_b32_e32 v3, v7, v3, vcc_lo
	s_delay_alu instid0(VALU_DEP_3) | instskip(NEXT) | instid1(VALU_DEP_2)
	v_lshl_add_u32 v7, v11, 23, 0x3b800000
	v_lshlrev_b32_e32 v3, 20, v3
	s_delay_alu instid0(VALU_DEP_1) | instskip(NEXT) | instid1(VALU_DEP_1)
	v_or3_b32 v1, v1, v7, v3
	v_trunc_f32_e32 v1, v1
	s_delay_alu instid0(VALU_DEP_1) | instskip(SKIP_1) | instid1(VALU_DEP_2)
	v_mul_f32_e64 v3, 0x2f800000, |v1|
	v_ashrrev_i32_e32 v12, 31, v1
	v_floor_f32_e32 v3, v3
	s_delay_alu instid0(VALU_DEP_2) | instskip(NEXT) | instid1(VALU_DEP_2)
	v_mov_b32_e32 v13, v12
	v_fma_f32 v7, 0xcf800000, v3, |v1|
	v_cvt_u32_f32_e32 v1, v3
	s_delay_alu instid0(VALU_DEP_2) | instskip(NEXT) | instid1(VALU_DEP_2)
	v_cvt_u32_f32_e32 v3, v7
	v_xor_b32_e32 v17, v1, v12
	s_delay_alu instid0(VALU_DEP_2) | instskip(NEXT) | instid1(VALU_DEP_1)
	v_xor_b32_e32 v16, v3, v12
	v_sub_nc_u64_e32 v[12:13], v[16:17], v[12:13]
.LBB31_1647:
	s_or_b32 exec_lo, exec_lo, s41
.LBB31_1648:
	s_mov_b32 s41, -1
.LBB31_1649:
	s_mov_b32 s42, 0
.LBB31_1650:
	s_delay_alu instid0(SALU_CYCLE_1)
	s_and_b32 vcc_lo, exec_lo, s42
	s_cbranch_vccz .LBB31_1683
; %bb.1651:
	s_cmp_gt_i32 s35, 22
	s_cbranch_scc0 .LBB31_1659
; %bb.1652:
	s_cmp_lt_i32 s35, 24
	s_cbranch_scc1 .LBB31_1662
; %bb.1653:
	s_cmp_gt_i32 s35, 24
	s_cbranch_scc0 .LBB31_1663
; %bb.1654:
	global_load_u8 v1, v[14:15], off
	s_mov_b32 s42, 0
	s_mov_b32 s21, exec_lo
	s_wait_loadcnt 0x0
	v_cmpx_lt_i16_e32 0x7f, v1
	s_xor_b32 s41, exec_lo, s21
	s_cbranch_execz .LBB31_1675
; %bb.1655:
	v_cmp_ne_u16_e32 vcc_lo, 0x80, v1
	s_and_b32 s42, vcc_lo, exec_lo
	s_and_not1_saveexec_b32 s41, s41
	s_cbranch_execnz .LBB31_1676
.LBB31_1656:
	s_or_b32 exec_lo, exec_lo, s41
	v_mov_b64_e32 v[12:13], 0
	s_and_saveexec_b32 s41, s42
	s_cbranch_execz .LBB31_1658
.LBB31_1657:
	v_and_b32_e32 v3, 0xffff, v1
	s_delay_alu instid0(VALU_DEP_1) | instskip(SKIP_1) | instid1(VALU_DEP_2)
	v_dual_lshlrev_b32 v1, 24, v1 :: v_dual_bitop2_b32 v7, 3, v3 bitop3:0x40
	v_bfe_u32 v13, v3, 2, 5
	v_and_b32_e32 v1, 0x80000000, v1
	s_delay_alu instid0(VALU_DEP_3) | instskip(NEXT) | instid1(VALU_DEP_3)
	v_clz_i32_u32_e32 v11, v7
	v_cmp_eq_u32_e32 vcc_lo, 0, v13
	s_delay_alu instid0(VALU_DEP_2) | instskip(NEXT) | instid1(VALU_DEP_1)
	v_min_u32_e32 v11, 32, v11
	v_subrev_nc_u32_e32 v12, 29, v11
	v_sub_nc_u32_e32 v11, 30, v11
	s_delay_alu instid0(VALU_DEP_2) | instskip(NEXT) | instid1(VALU_DEP_2)
	v_lshlrev_b32_e32 v3, v12, v3
	v_cndmask_b32_e32 v11, v13, v11, vcc_lo
	s_delay_alu instid0(VALU_DEP_2) | instskip(NEXT) | instid1(VALU_DEP_1)
	v_and_b32_e32 v3, 3, v3
	v_cndmask_b32_e32 v3, v7, v3, vcc_lo
	s_delay_alu instid0(VALU_DEP_3) | instskip(NEXT) | instid1(VALU_DEP_2)
	v_lshl_add_u32 v7, v11, 23, 0x37800000
	v_lshlrev_b32_e32 v3, 21, v3
	s_delay_alu instid0(VALU_DEP_1) | instskip(NEXT) | instid1(VALU_DEP_1)
	v_or3_b32 v1, v1, v7, v3
	v_trunc_f32_e32 v1, v1
	s_delay_alu instid0(VALU_DEP_1) | instskip(SKIP_1) | instid1(VALU_DEP_2)
	v_mul_f32_e64 v3, 0x2f800000, |v1|
	v_ashrrev_i32_e32 v12, 31, v1
	v_floor_f32_e32 v3, v3
	s_delay_alu instid0(VALU_DEP_2) | instskip(NEXT) | instid1(VALU_DEP_2)
	v_mov_b32_e32 v13, v12
	v_fma_f32 v7, 0xcf800000, v3, |v1|
	v_cvt_u32_f32_e32 v1, v3
	s_delay_alu instid0(VALU_DEP_2) | instskip(NEXT) | instid1(VALU_DEP_2)
	v_cvt_u32_f32_e32 v3, v7
	v_xor_b32_e32 v17, v1, v12
	s_delay_alu instid0(VALU_DEP_2) | instskip(NEXT) | instid1(VALU_DEP_1)
	v_xor_b32_e32 v16, v3, v12
	v_sub_nc_u64_e32 v[12:13], v[16:17], v[12:13]
.LBB31_1658:
	s_or_b32 exec_lo, exec_lo, s41
	s_mov_b32 s41, 0
	s_branch .LBB31_1664
.LBB31_1659:
	s_mov_b32 s42, -1
                                        ; implicit-def: $vgpr12_vgpr13
	s_branch .LBB31_1670
.LBB31_1660:
	s_and_not1_saveexec_b32 s41, s41
	s_cbranch_execz .LBB31_1645
.LBB31_1661:
	v_cmp_ne_u16_e32 vcc_lo, 0, v1
	s_and_not1_b32 s21, s42, exec_lo
	s_and_b32 s22, vcc_lo, exec_lo
	s_delay_alu instid0(SALU_CYCLE_1)
	s_or_b32 s42, s21, s22
	s_or_b32 exec_lo, exec_lo, s41
	v_mov_b64_e32 v[12:13], 0
	s_and_saveexec_b32 s41, s42
	s_cbranch_execnz .LBB31_1646
	s_branch .LBB31_1647
.LBB31_1662:
	s_mov_b32 s41, -1
                                        ; implicit-def: $vgpr12_vgpr13
	s_branch .LBB31_1667
.LBB31_1663:
	s_mov_b32 s41, -1
                                        ; implicit-def: $vgpr12_vgpr13
.LBB31_1664:
	s_delay_alu instid0(SALU_CYCLE_1)
	s_and_b32 vcc_lo, exec_lo, s41
	s_cbranch_vccz .LBB31_1666
; %bb.1665:
	global_load_u8 v1, v[14:15], off
	s_wait_loadcnt 0x0
	v_lshlrev_b32_e32 v1, 24, v1
	s_delay_alu instid0(VALU_DEP_1) | instskip(NEXT) | instid1(VALU_DEP_1)
	v_and_b32_e32 v3, 0x7f000000, v1
	v_clz_i32_u32_e32 v7, v3
	v_add_nc_u32_e32 v12, 0x1000000, v3
	v_cmp_ne_u32_e32 vcc_lo, 0, v3
	s_delay_alu instid0(VALU_DEP_3) | instskip(NEXT) | instid1(VALU_DEP_1)
	v_min_u32_e32 v7, 32, v7
	v_sub_nc_u32_e64 v7, v7, 4 clamp
	s_delay_alu instid0(VALU_DEP_1) | instskip(SKIP_1) | instid1(VALU_DEP_2)
	v_lshlrev_b32_e32 v11, v7, v3
	v_lshlrev_b32_e32 v7, 23, v7
	v_lshrrev_b32_e32 v11, 4, v11
	s_delay_alu instid0(VALU_DEP_1) | instskip(NEXT) | instid1(VALU_DEP_1)
	v_dual_sub_nc_u32 v7, v11, v7 :: v_dual_ashrrev_i32 v11, 8, v12
	v_add_nc_u32_e32 v7, 0x3c000000, v7
	s_delay_alu instid0(VALU_DEP_1) | instskip(NEXT) | instid1(VALU_DEP_1)
	v_and_or_b32 v7, 0x7f800000, v11, v7
	v_cndmask_b32_e32 v3, 0, v7, vcc_lo
	s_delay_alu instid0(VALU_DEP_1) | instskip(NEXT) | instid1(VALU_DEP_1)
	v_and_or_b32 v1, 0x80000000, v1, v3
	v_trunc_f32_e32 v1, v1
	s_delay_alu instid0(VALU_DEP_1) | instskip(SKIP_1) | instid1(VALU_DEP_2)
	v_mul_f32_e64 v3, 0x2f800000, |v1|
	v_ashrrev_i32_e32 v12, 31, v1
	v_floor_f32_e32 v3, v3
	s_delay_alu instid0(VALU_DEP_2) | instskip(NEXT) | instid1(VALU_DEP_2)
	v_mov_b32_e32 v13, v12
	v_fma_f32 v7, 0xcf800000, v3, |v1|
	v_cvt_u32_f32_e32 v1, v3
	s_delay_alu instid0(VALU_DEP_2) | instskip(NEXT) | instid1(VALU_DEP_2)
	v_cvt_u32_f32_e32 v3, v7
	v_xor_b32_e32 v17, v1, v12
	s_delay_alu instid0(VALU_DEP_2) | instskip(NEXT) | instid1(VALU_DEP_1)
	v_xor_b32_e32 v16, v3, v12
	v_sub_nc_u64_e32 v[12:13], v[16:17], v[12:13]
.LBB31_1666:
	s_mov_b32 s41, 0
.LBB31_1667:
	s_delay_alu instid0(SALU_CYCLE_1)
	s_and_not1_b32 vcc_lo, exec_lo, s41
	s_cbranch_vccnz .LBB31_1669
; %bb.1668:
	global_load_u8 v1, v[14:15], off
	s_wait_loadcnt 0x0
	v_lshlrev_b32_e32 v3, 25, v1
	v_lshlrev_b16 v1, 8, v1
	s_delay_alu instid0(VALU_DEP_1) | instskip(SKIP_1) | instid1(VALU_DEP_2)
	v_and_or_b32 v11, 0x7f00, v1, 0.5
	v_bfe_i32 v1, v1, 0, 16
	v_add_f32_e32 v11, -0.5, v11
	v_lshrrev_b32_e32 v7, 4, v3
	v_cmp_gt_u32_e32 vcc_lo, 0x8000000, v3
	s_delay_alu instid0(VALU_DEP_2) | instskip(NEXT) | instid1(VALU_DEP_1)
	v_or_b32_e32 v7, 0x70000000, v7
	v_mul_f32_e32 v7, 0x7800000, v7
	s_delay_alu instid0(VALU_DEP_1) | instskip(NEXT) | instid1(VALU_DEP_1)
	v_cndmask_b32_e32 v3, v7, v11, vcc_lo
	v_and_or_b32 v1, 0x80000000, v1, v3
	s_delay_alu instid0(VALU_DEP_1) | instskip(NEXT) | instid1(VALU_DEP_1)
	v_trunc_f32_e32 v1, v1
	v_mul_f32_e64 v3, 0x2f800000, |v1|
	v_ashrrev_i32_e32 v12, 31, v1
	s_delay_alu instid0(VALU_DEP_2) | instskip(NEXT) | instid1(VALU_DEP_2)
	v_floor_f32_e32 v3, v3
	v_mov_b32_e32 v13, v12
	s_delay_alu instid0(VALU_DEP_2) | instskip(SKIP_1) | instid1(VALU_DEP_2)
	v_fma_f32 v7, 0xcf800000, v3, |v1|
	v_cvt_u32_f32_e32 v1, v3
	v_cvt_u32_f32_e32 v3, v7
	s_delay_alu instid0(VALU_DEP_2) | instskip(NEXT) | instid1(VALU_DEP_2)
	v_xor_b32_e32 v17, v1, v12
	v_xor_b32_e32 v16, v3, v12
	s_delay_alu instid0(VALU_DEP_1)
	v_sub_nc_u64_e32 v[12:13], v[16:17], v[12:13]
.LBB31_1669:
	s_mov_b32 s42, 0
	s_mov_b32 s41, -1
.LBB31_1670:
	s_and_not1_b32 vcc_lo, exec_lo, s42
	s_cbranch_vccnz .LBB31_1683
; %bb.1671:
	s_cmp_gt_i32 s35, 14
	s_cbranch_scc0 .LBB31_1674
; %bb.1672:
	s_cmp_eq_u32 s35, 15
	s_cbranch_scc0 .LBB31_1677
; %bb.1673:
	global_load_u16 v1, v[14:15], off
	s_mov_b32 s41, -1
	s_mov_b32 s20, 0
	s_wait_loadcnt 0x0
	v_lshlrev_b32_e32 v1, 16, v1
	s_delay_alu instid0(VALU_DEP_1) | instskip(NEXT) | instid1(VALU_DEP_1)
	v_trunc_f32_e32 v1, v1
	v_mul_f32_e64 v3, 0x2f800000, |v1|
	v_ashrrev_i32_e32 v12, 31, v1
	s_delay_alu instid0(VALU_DEP_2) | instskip(NEXT) | instid1(VALU_DEP_2)
	v_floor_f32_e32 v3, v3
	v_mov_b32_e32 v13, v12
	s_delay_alu instid0(VALU_DEP_2) | instskip(SKIP_1) | instid1(VALU_DEP_2)
	v_fma_f32 v7, 0xcf800000, v3, |v1|
	v_cvt_u32_f32_e32 v1, v3
	v_cvt_u32_f32_e32 v3, v7
	s_delay_alu instid0(VALU_DEP_2) | instskip(NEXT) | instid1(VALU_DEP_2)
	v_xor_b32_e32 v17, v1, v12
	v_xor_b32_e32 v16, v3, v12
	s_delay_alu instid0(VALU_DEP_1)
	v_sub_nc_u64_e32 v[12:13], v[16:17], v[12:13]
	s_branch .LBB31_1678
.LBB31_1674:
	s_mov_b32 s42, -1
                                        ; implicit-def: $vgpr12_vgpr13
	s_branch .LBB31_1679
.LBB31_1675:
	s_and_not1_saveexec_b32 s41, s41
	s_cbranch_execz .LBB31_1656
.LBB31_1676:
	v_cmp_ne_u16_e32 vcc_lo, 0, v1
	s_and_not1_b32 s21, s42, exec_lo
	s_and_b32 s22, vcc_lo, exec_lo
	s_delay_alu instid0(SALU_CYCLE_1)
	s_or_b32 s42, s21, s22
	s_or_b32 exec_lo, exec_lo, s41
	v_mov_b64_e32 v[12:13], 0
	s_and_saveexec_b32 s41, s42
	s_cbranch_execnz .LBB31_1657
	s_branch .LBB31_1658
.LBB31_1677:
	s_mov_b32 s20, -1
                                        ; implicit-def: $vgpr12_vgpr13
.LBB31_1678:
	s_mov_b32 s42, 0
.LBB31_1679:
	s_delay_alu instid0(SALU_CYCLE_1)
	s_and_b32 vcc_lo, exec_lo, s42
	s_cbranch_vccz .LBB31_1683
; %bb.1680:
	s_cmp_eq_u32 s35, 11
	s_cbranch_scc0 .LBB31_1682
; %bb.1681:
	global_load_u8 v1, v[14:15], off
	s_mov_b32 s20, 0
	s_mov_b32 s41, -1
	s_wait_loadcnt 0x1
	v_mov_b32_e32 v13, s20
	s_wait_loadcnt 0x0
	v_cmp_ne_u16_e32 vcc_lo, 0, v1
	v_cndmask_b32_e64 v12, 0, 1, vcc_lo
	s_branch .LBB31_1683
.LBB31_1682:
	s_mov_b32 s20, -1
                                        ; implicit-def: $vgpr12_vgpr13
.LBB31_1683:
	s_mov_b32 s35, 0
.LBB31_1684:
	s_delay_alu instid0(SALU_CYCLE_1)
	s_and_b32 vcc_lo, exec_lo, s35
	s_cbranch_vccz .LBB31_1733
; %bb.1685:
	s_and_b32 s0, 0xffff, s0
	s_delay_alu instid0(SALU_CYCLE_1)
	s_cmp_lt_i32 s0, 5
	s_cbranch_scc1 .LBB31_1690
; %bb.1686:
	s_cmp_lt_i32 s0, 8
	s_cbranch_scc1 .LBB31_1691
; %bb.1687:
	;; [unrolled: 3-line block ×3, first 2 shown]
	s_cmp_gt_i32 s0, 9
	s_cbranch_scc0 .LBB31_1693
; %bb.1689:
	s_wait_loadcnt 0x0
	global_load_b64 v[12:13], v[14:15], off
	s_mov_b32 s35, 0
	s_wait_loadcnt 0x0
	v_trunc_f64_e32 v[12:13], v[12:13]
	s_delay_alu instid0(VALU_DEP_1) | instskip(NEXT) | instid1(VALU_DEP_1)
	v_ldexp_f64 v[16:17], v[12:13], 0xffffffe0
	v_floor_f64_e32 v[16:17], v[16:17]
	s_delay_alu instid0(VALU_DEP_1) | instskip(SKIP_1) | instid1(VALU_DEP_2)
	v_fmamk_f64 v[18:19], v[16:17], 0xc1f00000, v[12:13]
	v_cvt_i32_f64_e32 v13, v[16:17]
	v_cvt_u32_f64_e32 v12, v[18:19]
	s_branch .LBB31_1694
.LBB31_1690:
	s_mov_b32 s35, -1
                                        ; implicit-def: $vgpr12_vgpr13
	s_branch .LBB31_1712
.LBB31_1691:
	s_mov_b32 s35, -1
                                        ; implicit-def: $vgpr12_vgpr13
	s_branch .LBB31_1700
.LBB31_1692:
	s_mov_b32 s35, -1
                                        ; implicit-def: $vgpr12_vgpr13
	s_branch .LBB31_1697
.LBB31_1693:
	s_mov_b32 s35, -1
                                        ; implicit-def: $vgpr12_vgpr13
.LBB31_1694:
	s_delay_alu instid0(SALU_CYCLE_1)
	s_and_not1_b32 vcc_lo, exec_lo, s35
	s_cbranch_vccnz .LBB31_1696
; %bb.1695:
	global_load_b32 v1, v[14:15], off
	s_wait_loadcnt 0x0
	v_trunc_f32_e32 v1, v1
	s_delay_alu instid0(VALU_DEP_1) | instskip(SKIP_1) | instid1(VALU_DEP_2)
	v_mul_f32_e64 v3, 0x2f800000, |v1|
	v_ashrrev_i32_e32 v12, 31, v1
	v_floor_f32_e32 v3, v3
	s_delay_alu instid0(VALU_DEP_1) | instskip(SKIP_1) | instid1(VALU_DEP_4)
	v_fma_f32 v7, 0xcf800000, v3, |v1|
	v_cvt_u32_f32_e32 v1, v3
	v_mov_b32_e32 v13, v12
	s_delay_alu instid0(VALU_DEP_3) | instskip(NEXT) | instid1(VALU_DEP_3)
	v_cvt_u32_f32_e32 v3, v7
	v_xor_b32_e32 v17, v1, v12
	s_delay_alu instid0(VALU_DEP_2) | instskip(NEXT) | instid1(VALU_DEP_1)
	v_xor_b32_e32 v16, v3, v12
	v_sub_nc_u64_e32 v[12:13], v[16:17], v[12:13]
.LBB31_1696:
	s_mov_b32 s35, 0
.LBB31_1697:
	s_delay_alu instid0(SALU_CYCLE_1)
	s_and_not1_b32 vcc_lo, exec_lo, s35
	s_cbranch_vccnz .LBB31_1699
; %bb.1698:
	global_load_b32 v1, v[14:15], off
	s_wait_loadcnt 0x0
	v_cvt_f32_f16_e32 v1, v1
	s_delay_alu instid0(VALU_DEP_1) | instskip(NEXT) | instid1(VALU_DEP_1)
	v_cvt_i32_f32_e32 v12, v1
	v_ashrrev_i32_e32 v13, 31, v12
.LBB31_1699:
	s_mov_b32 s35, 0
.LBB31_1700:
	s_delay_alu instid0(SALU_CYCLE_1)
	s_and_not1_b32 vcc_lo, exec_lo, s35
	s_cbranch_vccnz .LBB31_1711
; %bb.1701:
	s_cmp_lt_i32 s0, 6
	s_cbranch_scc1 .LBB31_1704
; %bb.1702:
	s_cmp_gt_i32 s0, 6
	s_cbranch_scc0 .LBB31_1705
; %bb.1703:
	s_wait_loadcnt 0x0
	global_load_b64 v[12:13], v[14:15], off
	s_mov_b32 s35, 0
	s_wait_loadcnt 0x0
	v_trunc_f64_e32 v[12:13], v[12:13]
	s_delay_alu instid0(VALU_DEP_1) | instskip(NEXT) | instid1(VALU_DEP_1)
	v_ldexp_f64 v[16:17], v[12:13], 0xffffffe0
	v_floor_f64_e32 v[16:17], v[16:17]
	s_delay_alu instid0(VALU_DEP_1) | instskip(SKIP_1) | instid1(VALU_DEP_2)
	v_fmamk_f64 v[18:19], v[16:17], 0xc1f00000, v[12:13]
	v_cvt_i32_f64_e32 v13, v[16:17]
	v_cvt_u32_f64_e32 v12, v[18:19]
	s_branch .LBB31_1706
.LBB31_1704:
	s_mov_b32 s35, -1
                                        ; implicit-def: $vgpr12_vgpr13
	s_branch .LBB31_1709
.LBB31_1705:
	s_mov_b32 s35, -1
                                        ; implicit-def: $vgpr12_vgpr13
.LBB31_1706:
	s_delay_alu instid0(SALU_CYCLE_1)
	s_and_not1_b32 vcc_lo, exec_lo, s35
	s_cbranch_vccnz .LBB31_1708
; %bb.1707:
	global_load_b32 v1, v[14:15], off
	s_wait_loadcnt 0x0
	v_trunc_f32_e32 v1, v1
	s_delay_alu instid0(VALU_DEP_1) | instskip(SKIP_1) | instid1(VALU_DEP_2)
	v_mul_f32_e64 v3, 0x2f800000, |v1|
	v_ashrrev_i32_e32 v12, 31, v1
	v_floor_f32_e32 v3, v3
	s_delay_alu instid0(VALU_DEP_1) | instskip(SKIP_1) | instid1(VALU_DEP_4)
	v_fma_f32 v7, 0xcf800000, v3, |v1|
	v_cvt_u32_f32_e32 v1, v3
	v_mov_b32_e32 v13, v12
	s_delay_alu instid0(VALU_DEP_3) | instskip(NEXT) | instid1(VALU_DEP_3)
	v_cvt_u32_f32_e32 v3, v7
	v_xor_b32_e32 v17, v1, v12
	s_delay_alu instid0(VALU_DEP_2) | instskip(NEXT) | instid1(VALU_DEP_1)
	v_xor_b32_e32 v16, v3, v12
	v_sub_nc_u64_e32 v[12:13], v[16:17], v[12:13]
.LBB31_1708:
	s_mov_b32 s35, 0
.LBB31_1709:
	s_delay_alu instid0(SALU_CYCLE_1)
	s_and_not1_b32 vcc_lo, exec_lo, s35
	s_cbranch_vccnz .LBB31_1711
; %bb.1710:
	global_load_u16 v1, v[14:15], off
	s_wait_loadcnt 0x0
	v_cvt_f32_f16_e32 v1, v1
	s_delay_alu instid0(VALU_DEP_1) | instskip(NEXT) | instid1(VALU_DEP_1)
	v_cvt_i32_f32_e32 v12, v1
	v_ashrrev_i32_e32 v13, 31, v12
.LBB31_1711:
	s_mov_b32 s35, 0
.LBB31_1712:
	s_delay_alu instid0(SALU_CYCLE_1)
	s_and_not1_b32 vcc_lo, exec_lo, s35
	s_cbranch_vccnz .LBB31_1732
; %bb.1713:
	s_cmp_lt_i32 s0, 2
	s_cbranch_scc1 .LBB31_1717
; %bb.1714:
	s_cmp_lt_i32 s0, 3
	s_cbranch_scc1 .LBB31_1718
; %bb.1715:
	s_cmp_gt_i32 s0, 3
	s_cbranch_scc0 .LBB31_1719
; %bb.1716:
	s_wait_loadcnt 0x0
	global_load_b64 v[12:13], v[14:15], off
	s_mov_b32 s35, 0
	s_branch .LBB31_1720
.LBB31_1717:
	s_mov_b32 s35, -1
                                        ; implicit-def: $vgpr12_vgpr13
	s_branch .LBB31_1726
.LBB31_1718:
	s_mov_b32 s35, -1
                                        ; implicit-def: $vgpr12_vgpr13
	s_branch .LBB31_1723
.LBB31_1719:
	s_mov_b32 s35, -1
                                        ; implicit-def: $vgpr12_vgpr13
.LBB31_1720:
	s_delay_alu instid0(SALU_CYCLE_1)
	s_and_not1_b32 vcc_lo, exec_lo, s35
	s_cbranch_vccnz .LBB31_1722
; %bb.1721:
	s_wait_loadcnt 0x0
	global_load_b32 v12, v[14:15], off
	s_wait_loadcnt 0x0
	v_ashrrev_i32_e32 v13, 31, v12
.LBB31_1722:
	s_mov_b32 s35, 0
.LBB31_1723:
	s_delay_alu instid0(SALU_CYCLE_1)
	s_and_not1_b32 vcc_lo, exec_lo, s35
	s_cbranch_vccnz .LBB31_1725
; %bb.1724:
	global_load_u16 v1, v[14:15], off
	s_wait_loadcnt 0x0
	v_bfe_i32 v12, v1, 0, 16
	s_delay_alu instid0(VALU_DEP_1)
	v_ashrrev_i32_e32 v13, 31, v12
.LBB31_1725:
	s_mov_b32 s35, 0
.LBB31_1726:
	s_delay_alu instid0(SALU_CYCLE_1)
	s_and_not1_b32 vcc_lo, exec_lo, s35
	s_cbranch_vccnz .LBB31_1732
; %bb.1727:
	s_cmp_gt_i32 s0, 0
	s_mov_b32 s0, 0
	s_cbranch_scc0 .LBB31_1729
; %bb.1728:
	global_load_i8 v1, v[14:15], off
	s_wait_loadcnt 0x0
	v_bfe_i32 v12, v1, 0, 16
	s_delay_alu instid0(VALU_DEP_1)
	v_ashrrev_i32_e32 v13, 31, v12
	s_branch .LBB31_1730
.LBB31_1729:
	s_mov_b32 s0, -1
                                        ; implicit-def: $vgpr12_vgpr13
.LBB31_1730:
	s_delay_alu instid0(SALU_CYCLE_1)
	s_and_not1_b32 vcc_lo, exec_lo, s0
	s_cbranch_vccnz .LBB31_1732
; %bb.1731:
	global_load_u8 v1, v[14:15], off
	s_mov_b32 s0, 0
	s_wait_loadcnt 0x1
	v_mov_b32_e32 v13, s0
	s_wait_loadcnt 0x0
	v_and_b32_e32 v12, 0xffff, v1
.LBB31_1732:
	s_mov_b32 s41, -1
.LBB31_1733:
	s_delay_alu instid0(SALU_CYCLE_1)
	s_and_not1_b32 vcc_lo, exec_lo, s41
	s_cbranch_vccnz .LBB31_1741
; %bb.1734:
	s_load_b512 s[4:19], s[2:3], 0x248
	v_mov_b32_e32 v11, 0
	s_and_b32 s0, s75, 0xff
	s_delay_alu instid0(SALU_CYCLE_1) | instskip(SKIP_1) | instid1(VALU_DEP_1)
	s_cmp_lt_i32 s0, 11
	s_wait_kmcnt 0x0
	v_add_nc_u64_e32 v[14:15], s[12:13], v[10:11]
	s_cbranch_scc1 .LBB31_1742
; %bb.1735:
	s_and_b32 s35, 0xffff, s0
	s_mov_b32 s48, vcc_hi
	s_cmp_gt_i32 s35, 25
	s_cbranch_scc0 .LBB31_1743
; %bb.1736:
	s_cmp_gt_i32 s35, 28
	s_cbranch_scc0 .LBB31_1744
; %bb.1737:
	;; [unrolled: 3-line block ×4, first 2 shown]
	s_cmp_eq_u32 s35, 46
	s_mov_b32 s42, 0
	s_cbranch_scc0 .LBB31_1748
; %bb.1740:
	global_load_b32 v1, v[14:15], off
	s_mov_b32 s41, -1
	s_mov_b32 vcc_hi, 0
	s_wait_loadcnt 0x0
	v_lshlrev_b32_e32 v1, 16, v1
	s_delay_alu instid0(VALU_DEP_1) | instskip(NEXT) | instid1(VALU_DEP_1)
	v_trunc_f32_e32 v1, v1
	v_mul_f32_e64 v3, 0x2f800000, |v1|
	v_ashrrev_i32_e32 v10, 31, v1
	s_delay_alu instid0(VALU_DEP_2) | instskip(NEXT) | instid1(VALU_DEP_2)
	v_floor_f32_e32 v3, v3
	v_mov_b32_e32 v11, v10
	s_delay_alu instid0(VALU_DEP_2) | instskip(SKIP_1) | instid1(VALU_DEP_2)
	v_fma_f32 v7, 0xcf800000, v3, |v1|
	v_cvt_u32_f32_e32 v1, v3
	v_cvt_u32_f32_e32 v3, v7
	s_delay_alu instid0(VALU_DEP_2) | instskip(NEXT) | instid1(VALU_DEP_2)
	v_xor_b32_e32 v17, v1, v10
	v_xor_b32_e32 v16, v3, v10
	s_delay_alu instid0(VALU_DEP_1)
	v_sub_nc_u64_e32 v[10:11], v[16:17], v[10:11]
	s_branch .LBB31_1750
.LBB31_1741:
	s_mov_b32 s48, vcc_hi
	s_mov_b32 s0, 0
	s_mov_b32 s35, s40
	;; [unrolled: 1-line block ×7, first 2 shown]
	s_mov_b32 vcc_hi, s92
	s_branch .LBB31_2085
.LBB31_1742:
	s_mov_b32 s48, vcc_hi
	s_mov_b32 s35, -1
	s_mov_b32 s41, 0
	s_mov_b32 vcc_hi, s92
                                        ; implicit-def: $vgpr10_vgpr11
	s_branch .LBB31_1811
.LBB31_1743:
	s_mov_b32 s42, -1
	s_mov_b32 s41, 0
	s_mov_b32 vcc_hi, s92
                                        ; implicit-def: $vgpr10_vgpr11
	s_branch .LBB31_1777
.LBB31_1744:
	s_mov_b32 s42, -1
	s_mov_b32 s41, 0
	s_mov_b32 vcc_hi, s92
                                        ; implicit-def: $vgpr10_vgpr11
	s_branch .LBB31_1760
.LBB31_1745:
	s_mov_b32 s42, -1
	s_mov_b32 s41, 0
	s_mov_b32 vcc_hi, s92
                                        ; implicit-def: $vgpr10_vgpr11
	s_branch .LBB31_1755
.LBB31_1746:
	s_mov_b32 s42, -1
	s_mov_b32 s41, 0
	s_mov_b32 vcc_hi, s92
	s_branch .LBB31_1749
.LBB31_1747:
	s_mov_b32 s56, -1
	s_mov_b32 s55, 0
	s_mov_b32 s42, s64
	s_branch .LBB31_3614
.LBB31_1748:
	s_mov_b32 vcc_hi, -1
	s_mov_b32 s41, 0
.LBB31_1749:
                                        ; implicit-def: $vgpr10_vgpr11
.LBB31_1750:
	s_and_b32 vcc_lo, exec_lo, s42
	s_cbranch_vccz .LBB31_1754
; %bb.1751:
	s_cmp_eq_u32 s35, 44
	s_cbranch_scc0 .LBB31_1753
; %bb.1752:
	global_load_u8 v1, v[14:15], off
	s_mov_b32 vcc_hi, 0
	s_mov_b32 s41, -1
	s_wait_loadcnt 0x0
	v_lshlrev_b32_e32 v3, 23, v1
	v_cmp_ne_u32_e32 vcc_lo, 0, v1
	s_delay_alu instid0(VALU_DEP_2) | instskip(NEXT) | instid1(VALU_DEP_1)
	v_trunc_f32_e32 v3, v3
	v_mul_f32_e64 v7, 0x2f800000, |v3|
	v_ashrrev_i32_e32 v10, 31, v3
	s_delay_alu instid0(VALU_DEP_2) | instskip(NEXT) | instid1(VALU_DEP_1)
	v_floor_f32_e32 v7, v7
	v_fma_f32 v11, 0xcf800000, v7, |v3|
	v_cvt_u32_f32_e32 v3, v7
	s_delay_alu instid0(VALU_DEP_2) | instskip(NEXT) | instid1(VALU_DEP_2)
	v_cvt_u32_f32_e32 v7, v11
	v_dual_mov_b32 v11, v10 :: v_dual_bitop2_b32 v17, v3, v10 bitop3:0x14
	s_delay_alu instid0(VALU_DEP_2) | instskip(NEXT) | instid1(VALU_DEP_1)
	v_xor_b32_e32 v16, v7, v10
	v_sub_nc_u64_e32 v[10:11], v[16:17], v[10:11]
	s_delay_alu instid0(VALU_DEP_1)
	v_dual_cndmask_b32 v11, 0, v11 :: v_dual_cndmask_b32 v10, 0, v10
	s_branch .LBB31_1754
.LBB31_1753:
	s_mov_b32 vcc_hi, -1
                                        ; implicit-def: $vgpr10_vgpr11
.LBB31_1754:
	s_mov_b32 s42, 0
.LBB31_1755:
	s_delay_alu instid0(SALU_CYCLE_1)
	s_and_b32 vcc_lo, exec_lo, s42
	s_cbranch_vccz .LBB31_1759
; %bb.1756:
	s_cmp_eq_u32 s35, 29
	s_cbranch_scc0 .LBB31_1758
; %bb.1757:
	global_load_b64 v[10:11], v[14:15], off
	s_mov_b32 s41, -1
	s_mov_b32 vcc_hi, 0
	s_branch .LBB31_1759
.LBB31_1758:
	s_mov_b32 vcc_hi, -1
                                        ; implicit-def: $vgpr10_vgpr11
.LBB31_1759:
	s_mov_b32 s42, 0
.LBB31_1760:
	s_delay_alu instid0(SALU_CYCLE_1)
	s_and_b32 vcc_lo, exec_lo, s42
	s_cbranch_vccz .LBB31_1776
; %bb.1761:
	s_cmp_lt_i32 s35, 27
	s_cbranch_scc1 .LBB31_1764
; %bb.1762:
	s_cmp_gt_i32 s35, 27
	s_cbranch_scc0 .LBB31_1765
; %bb.1763:
	s_wait_loadcnt 0x0
	global_load_b32 v10, v[14:15], off
	v_mov_b32_e32 v11, 0
	s_mov_b32 s41, 0
	s_branch .LBB31_1766
.LBB31_1764:
	s_mov_b32 s41, -1
                                        ; implicit-def: $vgpr10_vgpr11
	s_branch .LBB31_1769
.LBB31_1765:
	s_mov_b32 s41, -1
                                        ; implicit-def: $vgpr10_vgpr11
.LBB31_1766:
	s_delay_alu instid0(SALU_CYCLE_1)
	s_and_not1_b32 vcc_lo, exec_lo, s41
	s_cbranch_vccnz .LBB31_1768
; %bb.1767:
	global_load_u16 v1, v[14:15], off
	s_mov_b32 s21, 0
	s_wait_loadcnt 0x1
	v_mov_b32_e32 v11, s21
	s_wait_loadcnt 0x0
	v_and_b32_e32 v10, 0xffff, v1
.LBB31_1768:
	s_mov_b32 s41, 0
.LBB31_1769:
	s_delay_alu instid0(SALU_CYCLE_1)
	s_and_not1_b32 vcc_lo, exec_lo, s41
	s_cbranch_vccnz .LBB31_1775
; %bb.1770:
	global_load_u8 v1, v[14:15], off
	s_mov_b32 s42, 0
	s_mov_b32 s21, exec_lo
	s_wait_loadcnt 0x0
	v_cmpx_lt_i16_e32 0x7f, v1
	s_xor_b32 s41, exec_lo, s21
	s_cbranch_execz .LBB31_1787
; %bb.1771:
	v_cmp_ne_u16_e32 vcc_lo, 0x80, v1
	s_and_b32 s42, vcc_lo, exec_lo
	s_and_not1_saveexec_b32 s41, s41
	s_cbranch_execnz .LBB31_1788
.LBB31_1772:
	s_or_b32 exec_lo, exec_lo, s41
	v_mov_b64_e32 v[10:11], 0
	s_and_saveexec_b32 s41, s42
	s_cbranch_execz .LBB31_1774
.LBB31_1773:
	v_and_b32_e32 v3, 0xffff, v1
	s_delay_alu instid0(VALU_DEP_1) | instskip(SKIP_1) | instid1(VALU_DEP_2)
	v_and_b32_e32 v7, 7, v3
	v_bfe_u32 v16, v3, 3, 4
	v_clz_i32_u32_e32 v10, v7
	s_delay_alu instid0(VALU_DEP_2) | instskip(NEXT) | instid1(VALU_DEP_2)
	v_cmp_eq_u32_e32 vcc_lo, 0, v16
	v_min_u32_e32 v10, 32, v10
	s_delay_alu instid0(VALU_DEP_1) | instskip(NEXT) | instid1(VALU_DEP_1)
	v_subrev_nc_u32_e32 v11, 28, v10
	v_dual_lshlrev_b32 v3, v11, v3 :: v_dual_sub_nc_u32 v10, 29, v10
	s_delay_alu instid0(VALU_DEP_1) | instskip(NEXT) | instid1(VALU_DEP_1)
	v_dual_lshlrev_b32 v1, 24, v1 :: v_dual_bitop2_b32 v3, 7, v3 bitop3:0x40
	v_dual_cndmask_b32 v10, v16, v10 :: v_dual_cndmask_b32 v3, v7, v3
	s_delay_alu instid0(VALU_DEP_2) | instskip(NEXT) | instid1(VALU_DEP_2)
	v_and_b32_e32 v1, 0x80000000, v1
	v_lshl_add_u32 v7, v10, 23, 0x3b800000
	s_delay_alu instid0(VALU_DEP_3) | instskip(NEXT) | instid1(VALU_DEP_1)
	v_lshlrev_b32_e32 v3, 20, v3
	v_or3_b32 v1, v1, v7, v3
	s_delay_alu instid0(VALU_DEP_1) | instskip(NEXT) | instid1(VALU_DEP_1)
	v_trunc_f32_e32 v1, v1
	v_mul_f32_e64 v3, 0x2f800000, |v1|
	v_ashrrev_i32_e32 v10, 31, v1
	s_delay_alu instid0(VALU_DEP_2) | instskip(NEXT) | instid1(VALU_DEP_2)
	v_floor_f32_e32 v3, v3
	v_mov_b32_e32 v11, v10
	s_delay_alu instid0(VALU_DEP_2) | instskip(SKIP_1) | instid1(VALU_DEP_2)
	v_fma_f32 v7, 0xcf800000, v3, |v1|
	v_cvt_u32_f32_e32 v1, v3
	v_cvt_u32_f32_e32 v3, v7
	s_delay_alu instid0(VALU_DEP_2) | instskip(NEXT) | instid1(VALU_DEP_2)
	v_xor_b32_e32 v17, v1, v10
	v_xor_b32_e32 v16, v3, v10
	s_delay_alu instid0(VALU_DEP_1)
	v_sub_nc_u64_e32 v[10:11], v[16:17], v[10:11]
.LBB31_1774:
	s_or_b32 exec_lo, exec_lo, s41
.LBB31_1775:
	s_mov_b32 s41, -1
.LBB31_1776:
	s_mov_b32 s42, 0
.LBB31_1777:
	s_delay_alu instid0(SALU_CYCLE_1)
	s_and_b32 vcc_lo, exec_lo, s42
	s_cbranch_vccz .LBB31_1810
; %bb.1778:
	s_cmp_gt_i32 s35, 22
	s_cbranch_scc0 .LBB31_1786
; %bb.1779:
	s_cmp_lt_i32 s35, 24
	s_cbranch_scc1 .LBB31_1789
; %bb.1780:
	s_cmp_gt_i32 s35, 24
	s_cbranch_scc0 .LBB31_1790
; %bb.1781:
	global_load_u8 v1, v[14:15], off
	s_mov_b32 s42, 0
	s_mov_b32 s21, exec_lo
	s_wait_loadcnt 0x0
	v_cmpx_lt_i16_e32 0x7f, v1
	s_xor_b32 s41, exec_lo, s21
	s_cbranch_execz .LBB31_1802
; %bb.1782:
	v_cmp_ne_u16_e32 vcc_lo, 0x80, v1
	s_and_b32 s42, vcc_lo, exec_lo
	s_and_not1_saveexec_b32 s41, s41
	s_cbranch_execnz .LBB31_1803
.LBB31_1783:
	s_or_b32 exec_lo, exec_lo, s41
	v_mov_b64_e32 v[10:11], 0
	s_and_saveexec_b32 s41, s42
	s_cbranch_execz .LBB31_1785
.LBB31_1784:
	v_and_b32_e32 v3, 0xffff, v1
	s_delay_alu instid0(VALU_DEP_1) | instskip(SKIP_1) | instid1(VALU_DEP_2)
	v_and_b32_e32 v7, 3, v3
	v_bfe_u32 v16, v3, 2, 5
	v_clz_i32_u32_e32 v10, v7
	s_delay_alu instid0(VALU_DEP_2) | instskip(NEXT) | instid1(VALU_DEP_2)
	v_cmp_eq_u32_e32 vcc_lo, 0, v16
	v_min_u32_e32 v10, 32, v10
	s_delay_alu instid0(VALU_DEP_1) | instskip(NEXT) | instid1(VALU_DEP_1)
	v_subrev_nc_u32_e32 v11, 29, v10
	v_dual_lshlrev_b32 v3, v11, v3 :: v_dual_sub_nc_u32 v10, 30, v10
	s_delay_alu instid0(VALU_DEP_1) | instskip(NEXT) | instid1(VALU_DEP_1)
	v_dual_lshlrev_b32 v1, 24, v1 :: v_dual_bitop2_b32 v3, 3, v3 bitop3:0x40
	v_dual_cndmask_b32 v10, v16, v10 :: v_dual_cndmask_b32 v3, v7, v3
	s_delay_alu instid0(VALU_DEP_2) | instskip(NEXT) | instid1(VALU_DEP_2)
	v_and_b32_e32 v1, 0x80000000, v1
	v_lshl_add_u32 v7, v10, 23, 0x37800000
	s_delay_alu instid0(VALU_DEP_3) | instskip(NEXT) | instid1(VALU_DEP_1)
	v_lshlrev_b32_e32 v3, 21, v3
	v_or3_b32 v1, v1, v7, v3
	s_delay_alu instid0(VALU_DEP_1) | instskip(NEXT) | instid1(VALU_DEP_1)
	v_trunc_f32_e32 v1, v1
	v_mul_f32_e64 v3, 0x2f800000, |v1|
	v_ashrrev_i32_e32 v10, 31, v1
	s_delay_alu instid0(VALU_DEP_2) | instskip(NEXT) | instid1(VALU_DEP_2)
	v_floor_f32_e32 v3, v3
	v_mov_b32_e32 v11, v10
	s_delay_alu instid0(VALU_DEP_2) | instskip(SKIP_1) | instid1(VALU_DEP_2)
	v_fma_f32 v7, 0xcf800000, v3, |v1|
	v_cvt_u32_f32_e32 v1, v3
	v_cvt_u32_f32_e32 v3, v7
	s_delay_alu instid0(VALU_DEP_2) | instskip(NEXT) | instid1(VALU_DEP_2)
	v_xor_b32_e32 v17, v1, v10
	v_xor_b32_e32 v16, v3, v10
	s_delay_alu instid0(VALU_DEP_1)
	v_sub_nc_u64_e32 v[10:11], v[16:17], v[10:11]
.LBB31_1785:
	s_or_b32 exec_lo, exec_lo, s41
	s_mov_b32 s41, 0
	s_branch .LBB31_1791
.LBB31_1786:
	s_mov_b32 s42, -1
                                        ; implicit-def: $vgpr10_vgpr11
	s_branch .LBB31_1797
.LBB31_1787:
	s_and_not1_saveexec_b32 s41, s41
	s_cbranch_execz .LBB31_1772
.LBB31_1788:
	v_cmp_ne_u16_e32 vcc_lo, 0, v1
	s_and_not1_b32 s21, s42, exec_lo
	s_and_b32 s22, vcc_lo, exec_lo
	s_delay_alu instid0(SALU_CYCLE_1)
	s_or_b32 s42, s21, s22
	s_or_b32 exec_lo, exec_lo, s41
	v_mov_b64_e32 v[10:11], 0
	s_and_saveexec_b32 s41, s42
	s_cbranch_execnz .LBB31_1773
	s_branch .LBB31_1774
.LBB31_1789:
	s_mov_b32 s41, -1
                                        ; implicit-def: $vgpr10_vgpr11
	s_branch .LBB31_1794
.LBB31_1790:
	s_mov_b32 s41, -1
                                        ; implicit-def: $vgpr10_vgpr11
.LBB31_1791:
	s_delay_alu instid0(SALU_CYCLE_1)
	s_and_b32 vcc_lo, exec_lo, s41
	s_cbranch_vccz .LBB31_1793
; %bb.1792:
	global_load_u8 v1, v[14:15], off
	s_wait_loadcnt 0x0
	v_lshlrev_b32_e32 v1, 24, v1
	s_delay_alu instid0(VALU_DEP_1) | instskip(NEXT) | instid1(VALU_DEP_1)
	v_and_b32_e32 v3, 0x7f000000, v1
	v_clz_i32_u32_e32 v7, v3
	v_add_nc_u32_e32 v11, 0x1000000, v3
	v_cmp_ne_u32_e32 vcc_lo, 0, v3
	s_delay_alu instid0(VALU_DEP_3) | instskip(NEXT) | instid1(VALU_DEP_1)
	v_min_u32_e32 v7, 32, v7
	v_sub_nc_u32_e64 v7, v7, 4 clamp
	s_delay_alu instid0(VALU_DEP_1) | instskip(NEXT) | instid1(VALU_DEP_1)
	v_lshlrev_b32_e32 v10, v7, v3
	v_dual_lshlrev_b32 v7, 23, v7 :: v_dual_lshrrev_b32 v10, 4, v10
	s_delay_alu instid0(VALU_DEP_1) | instskip(SKIP_1) | instid1(VALU_DEP_2)
	v_sub_nc_u32_e32 v7, v10, v7
	v_ashrrev_i32_e32 v10, 8, v11
	v_add_nc_u32_e32 v7, 0x3c000000, v7
	s_delay_alu instid0(VALU_DEP_1) | instskip(NEXT) | instid1(VALU_DEP_1)
	v_and_or_b32 v7, 0x7f800000, v10, v7
	v_cndmask_b32_e32 v3, 0, v7, vcc_lo
	s_delay_alu instid0(VALU_DEP_1) | instskip(NEXT) | instid1(VALU_DEP_1)
	v_and_or_b32 v1, 0x80000000, v1, v3
	v_trunc_f32_e32 v1, v1
	s_delay_alu instid0(VALU_DEP_1) | instskip(SKIP_1) | instid1(VALU_DEP_2)
	v_mul_f32_e64 v3, 0x2f800000, |v1|
	v_ashrrev_i32_e32 v10, 31, v1
	v_floor_f32_e32 v3, v3
	s_delay_alu instid0(VALU_DEP_2) | instskip(NEXT) | instid1(VALU_DEP_2)
	v_mov_b32_e32 v11, v10
	v_fma_f32 v7, 0xcf800000, v3, |v1|
	v_cvt_u32_f32_e32 v1, v3
	s_delay_alu instid0(VALU_DEP_2) | instskip(NEXT) | instid1(VALU_DEP_2)
	v_cvt_u32_f32_e32 v3, v7
	v_xor_b32_e32 v17, v1, v10
	s_delay_alu instid0(VALU_DEP_2) | instskip(NEXT) | instid1(VALU_DEP_1)
	v_xor_b32_e32 v16, v3, v10
	v_sub_nc_u64_e32 v[10:11], v[16:17], v[10:11]
.LBB31_1793:
	s_mov_b32 s41, 0
.LBB31_1794:
	s_delay_alu instid0(SALU_CYCLE_1)
	s_and_not1_b32 vcc_lo, exec_lo, s41
	s_cbranch_vccnz .LBB31_1796
; %bb.1795:
	global_load_u8 v1, v[14:15], off
	s_wait_loadcnt 0x0
	v_lshlrev_b32_e32 v3, 25, v1
	v_lshlrev_b16 v1, 8, v1
	s_delay_alu instid0(VALU_DEP_1) | instskip(SKIP_1) | instid1(VALU_DEP_2)
	v_and_or_b32 v10, 0x7f00, v1, 0.5
	v_bfe_i32 v1, v1, 0, 16
	v_dual_add_f32 v10, -0.5, v10 :: v_dual_lshrrev_b32 v7, 4, v3
	v_cmp_gt_u32_e32 vcc_lo, 0x8000000, v3
	s_delay_alu instid0(VALU_DEP_2) | instskip(NEXT) | instid1(VALU_DEP_1)
	v_or_b32_e32 v7, 0x70000000, v7
	v_mul_f32_e32 v7, 0x7800000, v7
	s_delay_alu instid0(VALU_DEP_1) | instskip(NEXT) | instid1(VALU_DEP_1)
	v_cndmask_b32_e32 v3, v7, v10, vcc_lo
	v_and_or_b32 v1, 0x80000000, v1, v3
	s_delay_alu instid0(VALU_DEP_1) | instskip(NEXT) | instid1(VALU_DEP_1)
	v_trunc_f32_e32 v1, v1
	v_mul_f32_e64 v3, 0x2f800000, |v1|
	v_ashrrev_i32_e32 v10, 31, v1
	s_delay_alu instid0(VALU_DEP_2) | instskip(NEXT) | instid1(VALU_DEP_2)
	v_floor_f32_e32 v3, v3
	v_mov_b32_e32 v11, v10
	s_delay_alu instid0(VALU_DEP_2) | instskip(SKIP_1) | instid1(VALU_DEP_2)
	v_fma_f32 v7, 0xcf800000, v3, |v1|
	v_cvt_u32_f32_e32 v1, v3
	v_cvt_u32_f32_e32 v3, v7
	s_delay_alu instid0(VALU_DEP_2) | instskip(NEXT) | instid1(VALU_DEP_2)
	v_xor_b32_e32 v17, v1, v10
	v_xor_b32_e32 v16, v3, v10
	s_delay_alu instid0(VALU_DEP_1)
	v_sub_nc_u64_e32 v[10:11], v[16:17], v[10:11]
.LBB31_1796:
	s_mov_b32 s42, 0
	s_mov_b32 s41, -1
.LBB31_1797:
	s_and_not1_b32 vcc_lo, exec_lo, s42
	s_cbranch_vccnz .LBB31_1810
; %bb.1798:
	s_cmp_gt_i32 s35, 14
	s_cbranch_scc0 .LBB31_1801
; %bb.1799:
	s_cmp_eq_u32 s35, 15
	s_cbranch_scc0 .LBB31_1804
; %bb.1800:
	global_load_u16 v1, v[14:15], off
	s_mov_b32 s41, -1
	s_mov_b32 vcc_hi, 0
	s_wait_loadcnt 0x0
	v_lshlrev_b32_e32 v1, 16, v1
	s_delay_alu instid0(VALU_DEP_1) | instskip(NEXT) | instid1(VALU_DEP_1)
	v_trunc_f32_e32 v1, v1
	v_mul_f32_e64 v3, 0x2f800000, |v1|
	v_ashrrev_i32_e32 v10, 31, v1
	s_delay_alu instid0(VALU_DEP_2) | instskip(NEXT) | instid1(VALU_DEP_2)
	v_floor_f32_e32 v3, v3
	v_mov_b32_e32 v11, v10
	s_delay_alu instid0(VALU_DEP_2) | instskip(SKIP_1) | instid1(VALU_DEP_2)
	v_fma_f32 v7, 0xcf800000, v3, |v1|
	v_cvt_u32_f32_e32 v1, v3
	v_cvt_u32_f32_e32 v3, v7
	s_delay_alu instid0(VALU_DEP_2) | instskip(NEXT) | instid1(VALU_DEP_2)
	v_xor_b32_e32 v17, v1, v10
	v_xor_b32_e32 v16, v3, v10
	s_delay_alu instid0(VALU_DEP_1)
	v_sub_nc_u64_e32 v[10:11], v[16:17], v[10:11]
	s_branch .LBB31_1805
.LBB31_1801:
	s_mov_b32 s42, -1
                                        ; implicit-def: $vgpr10_vgpr11
	s_branch .LBB31_1806
.LBB31_1802:
	s_and_not1_saveexec_b32 s41, s41
	s_cbranch_execz .LBB31_1783
.LBB31_1803:
	v_cmp_ne_u16_e32 vcc_lo, 0, v1
	s_and_not1_b32 s21, s42, exec_lo
	s_and_b32 s22, vcc_lo, exec_lo
	s_delay_alu instid0(SALU_CYCLE_1)
	s_or_b32 s42, s21, s22
	s_or_b32 exec_lo, exec_lo, s41
	v_mov_b64_e32 v[10:11], 0
	s_and_saveexec_b32 s41, s42
	s_cbranch_execnz .LBB31_1784
	s_branch .LBB31_1785
.LBB31_1804:
	s_mov_b32 vcc_hi, -1
                                        ; implicit-def: $vgpr10_vgpr11
.LBB31_1805:
	s_mov_b32 s42, 0
.LBB31_1806:
	s_delay_alu instid0(SALU_CYCLE_1)
	s_and_b32 vcc_lo, exec_lo, s42
	s_cbranch_vccz .LBB31_1810
; %bb.1807:
	s_cmp_eq_u32 s35, 11
	s_cbranch_scc0 .LBB31_1809
; %bb.1808:
	global_load_u8 v1, v[14:15], off
	s_mov_b32 vcc_hi, 0
	s_mov_b32 s41, -1
	s_wait_loadcnt 0x1
	v_mov_b32_e32 v11, vcc_hi
	s_wait_loadcnt 0x0
	v_cmp_ne_u16_e32 vcc_lo, 0, v1
	v_cndmask_b32_e64 v10, 0, 1, vcc_lo
	s_branch .LBB31_1810
.LBB31_1809:
	s_mov_b32 vcc_hi, -1
                                        ; implicit-def: $vgpr10_vgpr11
.LBB31_1810:
	s_mov_b32 s35, 0
.LBB31_1811:
	s_delay_alu instid0(SALU_CYCLE_1)
	s_and_b32 vcc_lo, exec_lo, s35
	s_cbranch_vccz .LBB31_1860
; %bb.1812:
	s_and_b32 s0, 0xffff, s0
	s_delay_alu instid0(SALU_CYCLE_1)
	s_cmp_lt_i32 s0, 5
	s_cbranch_scc1 .LBB31_1817
; %bb.1813:
	s_cmp_lt_i32 s0, 8
	s_cbranch_scc1 .LBB31_1818
; %bb.1814:
	;; [unrolled: 3-line block ×3, first 2 shown]
	s_cmp_gt_i32 s0, 9
	s_cbranch_scc0 .LBB31_1820
; %bb.1816:
	s_wait_loadcnt 0x0
	global_load_b64 v[10:11], v[14:15], off
	s_mov_b32 s35, 0
	s_wait_loadcnt 0x0
	v_trunc_f64_e32 v[10:11], v[10:11]
	s_delay_alu instid0(VALU_DEP_1) | instskip(NEXT) | instid1(VALU_DEP_1)
	v_ldexp_f64 v[16:17], v[10:11], 0xffffffe0
	v_floor_f64_e32 v[16:17], v[16:17]
	s_delay_alu instid0(VALU_DEP_1) | instskip(SKIP_1) | instid1(VALU_DEP_2)
	v_fmamk_f64 v[18:19], v[16:17], 0xc1f00000, v[10:11]
	v_cvt_i32_f64_e32 v11, v[16:17]
	v_cvt_u32_f64_e32 v10, v[18:19]
	s_branch .LBB31_1821
.LBB31_1817:
	s_mov_b32 s35, -1
                                        ; implicit-def: $vgpr10_vgpr11
	s_branch .LBB31_1839
.LBB31_1818:
	s_mov_b32 s35, -1
                                        ; implicit-def: $vgpr10_vgpr11
	s_branch .LBB31_1827
.LBB31_1819:
	s_mov_b32 s35, -1
                                        ; implicit-def: $vgpr10_vgpr11
	s_branch .LBB31_1824
.LBB31_1820:
	s_mov_b32 s35, -1
                                        ; implicit-def: $vgpr10_vgpr11
.LBB31_1821:
	s_delay_alu instid0(SALU_CYCLE_1)
	s_and_not1_b32 vcc_lo, exec_lo, s35
	s_cbranch_vccnz .LBB31_1823
; %bb.1822:
	global_load_b32 v1, v[14:15], off
	s_wait_loadcnt 0x0
	v_trunc_f32_e32 v1, v1
	s_delay_alu instid0(VALU_DEP_1) | instskip(SKIP_1) | instid1(VALU_DEP_2)
	v_mul_f32_e64 v3, 0x2f800000, |v1|
	v_ashrrev_i32_e32 v10, 31, v1
	v_floor_f32_e32 v3, v3
	s_delay_alu instid0(VALU_DEP_1) | instskip(SKIP_1) | instid1(VALU_DEP_4)
	v_fma_f32 v7, 0xcf800000, v3, |v1|
	v_cvt_u32_f32_e32 v1, v3
	v_mov_b32_e32 v11, v10
	s_delay_alu instid0(VALU_DEP_3) | instskip(NEXT) | instid1(VALU_DEP_3)
	v_cvt_u32_f32_e32 v3, v7
	v_xor_b32_e32 v17, v1, v10
	s_delay_alu instid0(VALU_DEP_2) | instskip(NEXT) | instid1(VALU_DEP_1)
	v_xor_b32_e32 v16, v3, v10
	v_sub_nc_u64_e32 v[10:11], v[16:17], v[10:11]
.LBB31_1823:
	s_mov_b32 s35, 0
.LBB31_1824:
	s_delay_alu instid0(SALU_CYCLE_1)
	s_and_not1_b32 vcc_lo, exec_lo, s35
	s_cbranch_vccnz .LBB31_1826
; %bb.1825:
	global_load_b32 v1, v[14:15], off
	s_wait_loadcnt 0x0
	v_cvt_f32_f16_e32 v1, v1
	s_delay_alu instid0(VALU_DEP_1) | instskip(NEXT) | instid1(VALU_DEP_1)
	v_cvt_i32_f32_e32 v10, v1
	v_ashrrev_i32_e32 v11, 31, v10
.LBB31_1826:
	s_mov_b32 s35, 0
.LBB31_1827:
	s_delay_alu instid0(SALU_CYCLE_1)
	s_and_not1_b32 vcc_lo, exec_lo, s35
	s_cbranch_vccnz .LBB31_1838
; %bb.1828:
	s_cmp_lt_i32 s0, 6
	s_cbranch_scc1 .LBB31_1831
; %bb.1829:
	s_cmp_gt_i32 s0, 6
	s_cbranch_scc0 .LBB31_1832
; %bb.1830:
	s_wait_loadcnt 0x0
	global_load_b64 v[10:11], v[14:15], off
	s_mov_b32 s35, 0
	s_wait_loadcnt 0x0
	v_trunc_f64_e32 v[10:11], v[10:11]
	s_delay_alu instid0(VALU_DEP_1) | instskip(NEXT) | instid1(VALU_DEP_1)
	v_ldexp_f64 v[16:17], v[10:11], 0xffffffe0
	v_floor_f64_e32 v[16:17], v[16:17]
	s_delay_alu instid0(VALU_DEP_1) | instskip(SKIP_1) | instid1(VALU_DEP_2)
	v_fmamk_f64 v[18:19], v[16:17], 0xc1f00000, v[10:11]
	v_cvt_i32_f64_e32 v11, v[16:17]
	v_cvt_u32_f64_e32 v10, v[18:19]
	s_branch .LBB31_1833
.LBB31_1831:
	s_mov_b32 s35, -1
                                        ; implicit-def: $vgpr10_vgpr11
	s_branch .LBB31_1836
.LBB31_1832:
	s_mov_b32 s35, -1
                                        ; implicit-def: $vgpr10_vgpr11
.LBB31_1833:
	s_delay_alu instid0(SALU_CYCLE_1)
	s_and_not1_b32 vcc_lo, exec_lo, s35
	s_cbranch_vccnz .LBB31_1835
; %bb.1834:
	global_load_b32 v1, v[14:15], off
	s_wait_loadcnt 0x0
	v_trunc_f32_e32 v1, v1
	s_delay_alu instid0(VALU_DEP_1) | instskip(SKIP_1) | instid1(VALU_DEP_2)
	v_mul_f32_e64 v3, 0x2f800000, |v1|
	v_ashrrev_i32_e32 v10, 31, v1
	v_floor_f32_e32 v3, v3
	s_delay_alu instid0(VALU_DEP_1) | instskip(SKIP_1) | instid1(VALU_DEP_4)
	v_fma_f32 v7, 0xcf800000, v3, |v1|
	v_cvt_u32_f32_e32 v1, v3
	v_mov_b32_e32 v11, v10
	s_delay_alu instid0(VALU_DEP_3) | instskip(NEXT) | instid1(VALU_DEP_3)
	v_cvt_u32_f32_e32 v3, v7
	v_xor_b32_e32 v17, v1, v10
	s_delay_alu instid0(VALU_DEP_2) | instskip(NEXT) | instid1(VALU_DEP_1)
	v_xor_b32_e32 v16, v3, v10
	v_sub_nc_u64_e32 v[10:11], v[16:17], v[10:11]
.LBB31_1835:
	s_mov_b32 s35, 0
.LBB31_1836:
	s_delay_alu instid0(SALU_CYCLE_1)
	s_and_not1_b32 vcc_lo, exec_lo, s35
	s_cbranch_vccnz .LBB31_1838
; %bb.1837:
	global_load_u16 v1, v[14:15], off
	s_wait_loadcnt 0x0
	v_cvt_f32_f16_e32 v1, v1
	s_delay_alu instid0(VALU_DEP_1) | instskip(NEXT) | instid1(VALU_DEP_1)
	v_cvt_i32_f32_e32 v10, v1
	v_ashrrev_i32_e32 v11, 31, v10
.LBB31_1838:
	s_mov_b32 s35, 0
.LBB31_1839:
	s_delay_alu instid0(SALU_CYCLE_1)
	s_and_not1_b32 vcc_lo, exec_lo, s35
	s_cbranch_vccnz .LBB31_1859
; %bb.1840:
	s_cmp_lt_i32 s0, 2
	s_cbranch_scc1 .LBB31_1844
; %bb.1841:
	s_cmp_lt_i32 s0, 3
	s_cbranch_scc1 .LBB31_1845
; %bb.1842:
	s_cmp_gt_i32 s0, 3
	s_cbranch_scc0 .LBB31_1846
; %bb.1843:
	s_wait_loadcnt 0x0
	global_load_b64 v[10:11], v[14:15], off
	s_mov_b32 s35, 0
	s_branch .LBB31_1847
.LBB31_1844:
	s_mov_b32 s35, -1
                                        ; implicit-def: $vgpr10_vgpr11
	s_branch .LBB31_1853
.LBB31_1845:
	s_mov_b32 s35, -1
                                        ; implicit-def: $vgpr10_vgpr11
	s_branch .LBB31_1850
.LBB31_1846:
	s_mov_b32 s35, -1
                                        ; implicit-def: $vgpr10_vgpr11
.LBB31_1847:
	s_delay_alu instid0(SALU_CYCLE_1)
	s_and_not1_b32 vcc_lo, exec_lo, s35
	s_cbranch_vccnz .LBB31_1849
; %bb.1848:
	s_wait_loadcnt 0x0
	global_load_b32 v10, v[14:15], off
	s_wait_loadcnt 0x0
	v_ashrrev_i32_e32 v11, 31, v10
.LBB31_1849:
	s_mov_b32 s35, 0
.LBB31_1850:
	s_delay_alu instid0(SALU_CYCLE_1)
	s_and_not1_b32 vcc_lo, exec_lo, s35
	s_cbranch_vccnz .LBB31_1852
; %bb.1851:
	global_load_u16 v1, v[14:15], off
	s_wait_loadcnt 0x0
	v_bfe_i32 v10, v1, 0, 16
	s_delay_alu instid0(VALU_DEP_1)
	v_ashrrev_i32_e32 v11, 31, v10
.LBB31_1852:
	s_mov_b32 s35, 0
.LBB31_1853:
	s_delay_alu instid0(SALU_CYCLE_1)
	s_and_not1_b32 vcc_lo, exec_lo, s35
	s_cbranch_vccnz .LBB31_1859
; %bb.1854:
	s_cmp_gt_i32 s0, 0
	s_mov_b32 s0, 0
	s_cbranch_scc0 .LBB31_1856
; %bb.1855:
	global_load_i8 v1, v[14:15], off
	s_wait_loadcnt 0x0
	v_bfe_i32 v10, v1, 0, 16
	s_delay_alu instid0(VALU_DEP_1)
	v_ashrrev_i32_e32 v11, 31, v10
	s_branch .LBB31_1857
.LBB31_1856:
	s_mov_b32 s0, -1
                                        ; implicit-def: $vgpr10_vgpr11
.LBB31_1857:
	s_delay_alu instid0(SALU_CYCLE_1)
	s_and_not1_b32 vcc_lo, exec_lo, s0
	s_cbranch_vccnz .LBB31_1859
; %bb.1858:
	global_load_u8 v1, v[14:15], off
	s_mov_b32 s0, 0
	s_wait_loadcnt 0x1
	v_mov_b32_e32 v11, s0
	s_wait_loadcnt 0x0
	v_and_b32_e32 v10, 0xffff, v1
.LBB31_1859:
	s_mov_b32 s41, -1
.LBB31_1860:
	s_delay_alu instid0(SALU_CYCLE_1)
	s_and_not1_b32 vcc_lo, exec_lo, s41
	s_cbranch_vccnz .LBB31_1868
; %bb.1861:
	s_load_b512 s[4:19], s[2:3], 0x248
	v_mov_b32_e32 v7, 0
	s_and_b32 s0, s78, 0xff
	s_delay_alu instid0(SALU_CYCLE_1) | instskip(SKIP_1) | instid1(VALU_DEP_1)
	s_cmp_lt_i32 s0, 11
	s_wait_kmcnt 0x0
	v_add_nc_u64_e32 v[6:7], s[14:15], v[6:7]
	s_cbranch_scc1 .LBB31_1869
; %bb.1862:
	s_and_b32 s35, 0xffff, s0
	s_delay_alu instid0(SALU_CYCLE_1)
	s_cmp_gt_i32 s35, 25
	s_cbranch_scc0 .LBB31_1870
; %bb.1863:
	s_cmp_gt_i32 s35, 28
	s_cbranch_scc0 .LBB31_1871
; %bb.1864:
	;; [unrolled: 3-line block ×4, first 2 shown]
	s_cmp_eq_u32 s35, 46
	s_mov_b32 s42, 0
	s_cbranch_scc0 .LBB31_1961
; %bb.1867:
	global_load_b32 v1, v[6:7], off
	s_mov_b32 s41, -1
	s_mov_b32 s100, 0
	s_wait_loadcnt 0x0
	v_lshlrev_b32_e32 v1, 16, v1
	s_delay_alu instid0(VALU_DEP_1) | instskip(NEXT) | instid1(VALU_DEP_1)
	v_trunc_f32_e32 v1, v1
	v_mul_f32_e64 v3, 0x2f800000, |v1|
	v_ashrrev_i32_e32 v14, 31, v1
	s_delay_alu instid0(VALU_DEP_2) | instskip(NEXT) | instid1(VALU_DEP_1)
	v_floor_f32_e32 v3, v3
	v_fma_f32 v15, 0xcf800000, v3, |v1|
	v_cvt_u32_f32_e32 v1, v3
	s_delay_alu instid0(VALU_DEP_2) | instskip(NEXT) | instid1(VALU_DEP_2)
	v_cvt_u32_f32_e32 v3, v15
	v_dual_mov_b32 v15, v14 :: v_dual_bitop2_b32 v17, v1, v14 bitop3:0x14
	s_delay_alu instid0(VALU_DEP_2) | instskip(NEXT) | instid1(VALU_DEP_1)
	v_xor_b32_e32 v16, v3, v14
	v_sub_nc_u64_e32 v[14:15], v[16:17], v[14:15]
	s_branch .LBB31_1963
.LBB31_1868:
	s_mov_b32 s0, 0
	s_mov_b32 s35, s40
	;; [unrolled: 1-line block ×7, first 2 shown]
	s_branch .LBB31_2085
.LBB31_1869:
	s_mov_b32 s35, -1
	s_mov_b32 s41, 0
	s_mov_b32 s100, s91
                                        ; implicit-def: $vgpr14_vgpr15
	s_branch .LBB31_2024
.LBB31_1870:
	s_mov_b32 s42, -1
	s_mov_b32 s41, 0
	s_mov_b32 s100, s91
                                        ; implicit-def: $vgpr14_vgpr15
	s_branch .LBB31_1990
.LBB31_1871:
	s_mov_b32 s42, -1
	s_mov_b32 s41, 0
	s_mov_b32 s100, s91
                                        ; implicit-def: $vgpr14_vgpr15
	s_branch .LBB31_1973
.LBB31_1872:
	s_mov_b32 s42, -1
	s_mov_b32 s41, 0
	s_mov_b32 s100, s91
                                        ; implicit-def: $vgpr14_vgpr15
	s_branch .LBB31_1968
.LBB31_1873:
	s_mov_b32 s42, -1
	s_mov_b32 s41, 0
	s_mov_b32 s100, s91
	s_branch .LBB31_1962
.LBB31_1874:
	s_mov_b32 s56, -1
	s_mov_b32 s42, 0
	s_mov_b32 s55, 0
.LBB31_1875:
	s_and_b32 vcc_lo, exec_lo, s56
	s_cbranch_vccz .LBB31_1878
; %bb.1876:
	s_cmp_eq_u32 s54, 44
	s_mov_b32 s42, -1
	s_cbranch_scc0 .LBB31_1878
; %bb.1877:
	s_wait_xcnt 0x0
	v_mov_b32_e32 v1, 0
	s_mov_b32 s55, -1
	s_mov_b32 s42, 0
	global_store_b8 v[2:3], v1, off
.LBB31_1878:
	s_mov_b64 s[74:75], s[6:7]
	s_mov_b32 s56, 0
	s_mov_b64 s[72:73], s[4:5]
.LBB31_1879:
	s_and_b32 vcc_lo, exec_lo, s56
	s_cbranch_vccz .LBB31_1882
; %bb.1880:
	s_cmp_eq_u32 s54, 29
	s_mov_b32 s42, -1
	s_cbranch_scc0 .LBB31_1882
; %bb.1881:
	v_mov_b64_e32 v[4:5], 0
	s_mov_b32 s55, -1
	s_mov_b32 s42, 0
	s_mov_b32 s56, 0
	global_store_b64 v[2:3], v[4:5], off
	s_branch .LBB31_1883
.LBB31_1882:
	s_mov_b32 s56, 0
.LBB31_1883:
	s_delay_alu instid0(SALU_CYCLE_1)
	s_and_b32 vcc_lo, exec_lo, s56
	s_cbranch_vccz .LBB31_1893
; %bb.1884:
	s_cmp_lt_i32 s54, 27
	s_mov_b32 s55, -1
	s_cbranch_scc1 .LBB31_1890
; %bb.1885:
	s_cmp_gt_i32 s54, 27
	s_cbranch_scc0 .LBB31_1887
; %bb.1886:
	s_wait_xcnt 0x0
	v_mov_b32_e32 v1, 0
	s_mov_b32 s55, 0
	global_store_b32 v[2:3], v1, off
.LBB31_1887:
	s_and_not1_b32 vcc_lo, exec_lo, s55
	s_cbranch_vccnz .LBB31_1889
; %bb.1888:
	s_wait_xcnt 0x0
	v_mov_b32_e32 v1, 0
	global_store_b16 v[2:3], v1, off
.LBB31_1889:
	s_mov_b32 s55, 0
.LBB31_1890:
	s_delay_alu instid0(SALU_CYCLE_1)
	s_and_not1_b32 vcc_lo, exec_lo, s55
	s_cbranch_vccnz .LBB31_1892
; %bb.1891:
	s_wait_xcnt 0x0
	v_mov_b32_e32 v1, 0
	global_store_b8 v[2:3], v1, off
.LBB31_1892:
	s_mov_b32 s55, -1
.LBB31_1893:
	s_mov_b32 s56, 0
.LBB31_1894:
	s_delay_alu instid0(SALU_CYCLE_1)
	s_and_b32 vcc_lo, exec_lo, s56
	s_cbranch_vccz .LBB31_1913
; %bb.1895:
	s_cmp_gt_i32 s54, 22
	s_mov_b32 s56, -1
	s_cbranch_scc0 .LBB31_1905
; %bb.1896:
	s_cmp_lt_i32 s54, 24
	s_mov_b32 s55, -1
	s_cbranch_scc1 .LBB31_1902
; %bb.1897:
	s_cmp_gt_i32 s54, 24
	s_cbranch_scc0 .LBB31_1899
; %bb.1898:
	s_wait_xcnt 0x0
	v_mov_b32_e32 v1, 0
	s_mov_b32 s55, 0
	global_store_b8 v[2:3], v1, off
.LBB31_1899:
	s_and_not1_b32 vcc_lo, exec_lo, s55
	s_cbranch_vccnz .LBB31_1901
; %bb.1900:
	s_wait_xcnt 0x0
	v_mov_b32_e32 v1, 0
	global_store_b8 v[2:3], v1, off
.LBB31_1901:
	s_mov_b32 s55, 0
.LBB31_1902:
	s_delay_alu instid0(SALU_CYCLE_1)
	s_and_not1_b32 vcc_lo, exec_lo, s55
	s_cbranch_vccnz .LBB31_1904
; %bb.1903:
	s_wait_xcnt 0x0
	v_mov_b32_e32 v1, 0
	global_store_b8 v[2:3], v1, off
.LBB31_1904:
	s_mov_b32 s56, 0
	s_mov_b32 s55, -1
.LBB31_1905:
	s_and_not1_b32 vcc_lo, exec_lo, s56
	s_cbranch_vccnz .LBB31_1913
; %bb.1906:
	s_cmp_gt_i32 s54, 14
	s_mov_b32 s56, -1
	s_cbranch_scc0 .LBB31_1910
; %bb.1907:
	s_cmp_eq_u32 s54, 15
	s_mov_b32 s42, -1
	s_cbranch_scc0 .LBB31_1909
; %bb.1908:
	s_wait_xcnt 0x0
	v_mov_b32_e32 v1, 0
	s_mov_b32 s55, -1
	s_mov_b32 s42, 0
	global_store_b16 v[2:3], v1, off
.LBB31_1909:
	s_mov_b32 s56, 0
.LBB31_1910:
	s_delay_alu instid0(SALU_CYCLE_1)
	s_and_b32 vcc_lo, exec_lo, s56
	s_cbranch_vccz .LBB31_1913
; %bb.1911:
	s_cmp_eq_u32 s54, 11
	s_mov_b32 s42, -1
	s_cbranch_scc0 .LBB31_1913
; %bb.1912:
	s_wait_xcnt 0x0
	v_mov_b32_e32 v1, 0
	s_mov_b32 s55, -1
	s_mov_b32 s42, 0
	global_store_b8 v[2:3], v1, off
.LBB31_1913:
	s_mov_b32 s54, 0
.LBB31_1914:
	s_delay_alu instid0(SALU_CYCLE_1)
	s_and_b32 vcc_lo, exec_lo, s54
	s_cbranch_vccz .LBB31_1953
; %bb.1915:
	s_and_b32 s43, 0xffff, s43
	s_mov_b32 s54, -1
	s_cmp_lt_i32 s43, 5
	s_cbranch_scc1 .LBB31_1936
; %bb.1916:
	s_cmp_lt_i32 s43, 8
	s_cbranch_scc1 .LBB31_1926
; %bb.1917:
	;; [unrolled: 3-line block ×3, first 2 shown]
	s_cmp_gt_i32 s43, 9
	s_cbranch_scc0 .LBB31_1920
; %bb.1919:
	s_wait_xcnt 0x0
	v_mov_b32_e32 v4, 0
	s_mov_b32 s54, 0
	s_delay_alu instid0(VALU_DEP_1)
	v_dual_mov_b32 v5, v4 :: v_dual_mov_b32 v6, v4
	v_mov_b32_e32 v7, v4
	global_store_b128 v[2:3], v[4:7], off
.LBB31_1920:
	s_and_not1_b32 vcc_lo, exec_lo, s54
	s_cbranch_vccnz .LBB31_1922
; %bb.1921:
	s_wait_xcnt 0x0
	v_mov_b64_e32 v[4:5], 0
	global_store_b64 v[2:3], v[4:5], off
.LBB31_1922:
	s_mov_b32 s54, 0
.LBB31_1923:
	s_delay_alu instid0(SALU_CYCLE_1)
	s_and_not1_b32 vcc_lo, exec_lo, s54
	s_cbranch_vccnz .LBB31_1925
; %bb.1924:
	s_wait_xcnt 0x0
	v_mov_b32_e32 v1, 0
	global_store_b32 v[2:3], v1, off
.LBB31_1925:
	s_mov_b32 s54, 0
.LBB31_1926:
	s_delay_alu instid0(SALU_CYCLE_1)
	s_and_not1_b32 vcc_lo, exec_lo, s54
	s_cbranch_vccnz .LBB31_1935
; %bb.1927:
	s_cmp_lt_i32 s43, 6
	s_mov_b32 s54, -1
	s_cbranch_scc1 .LBB31_1933
; %bb.1928:
	s_cmp_gt_i32 s43, 6
	s_cbranch_scc0 .LBB31_1930
; %bb.1929:
	s_wait_xcnt 0x0
	v_mov_b64_e32 v[4:5], 0
	s_mov_b32 s54, 0
	global_store_b64 v[2:3], v[4:5], off
.LBB31_1930:
	s_and_not1_b32 vcc_lo, exec_lo, s54
	s_cbranch_vccnz .LBB31_1932
; %bb.1931:
	s_wait_xcnt 0x0
	v_mov_b32_e32 v1, 0
	global_store_b32 v[2:3], v1, off
.LBB31_1932:
	s_mov_b32 s54, 0
.LBB31_1933:
	s_delay_alu instid0(SALU_CYCLE_1)
	s_and_not1_b32 vcc_lo, exec_lo, s54
	s_cbranch_vccnz .LBB31_1935
; %bb.1934:
	s_wait_xcnt 0x0
	v_mov_b32_e32 v1, 0
	global_store_b16 v[2:3], v1, off
.LBB31_1935:
	s_mov_b32 s54, 0
.LBB31_1936:
	s_delay_alu instid0(SALU_CYCLE_1)
	s_and_not1_b32 vcc_lo, exec_lo, s54
	s_cbranch_vccnz .LBB31_1952
; %bb.1937:
	s_cmp_lt_i32 s43, 2
	s_mov_b32 s54, -1
	s_cbranch_scc1 .LBB31_1947
; %bb.1938:
	s_cmp_lt_i32 s43, 3
	s_cbranch_scc1 .LBB31_1944
; %bb.1939:
	s_cmp_gt_i32 s43, 3
	s_cbranch_scc0 .LBB31_1941
; %bb.1940:
	s_wait_xcnt 0x0
	v_mov_b64_e32 v[4:5], 0
	s_mov_b32 s54, 0
	global_store_b64 v[2:3], v[4:5], off
.LBB31_1941:
	s_and_not1_b32 vcc_lo, exec_lo, s54
	s_cbranch_vccnz .LBB31_1943
; %bb.1942:
	s_wait_xcnt 0x0
	v_mov_b32_e32 v1, 0
	global_store_b32 v[2:3], v1, off
.LBB31_1943:
	s_mov_b32 s54, 0
.LBB31_1944:
	s_delay_alu instid0(SALU_CYCLE_1)
	s_and_not1_b32 vcc_lo, exec_lo, s54
	s_cbranch_vccnz .LBB31_1946
; %bb.1945:
	s_wait_xcnt 0x0
	v_mov_b32_e32 v1, 0
	global_store_b16 v[2:3], v1, off
.LBB31_1946:
	s_mov_b32 s54, 0
.LBB31_1947:
	s_delay_alu instid0(SALU_CYCLE_1)
	s_and_not1_b32 vcc_lo, exec_lo, s54
	s_cbranch_vccnz .LBB31_1952
; %bb.1948:
	s_cmp_gt_i32 s43, 0
	s_mov_b32 s43, -1
	s_cbranch_scc0 .LBB31_1950
; %bb.1949:
	s_wait_xcnt 0x0
	v_mov_b32_e32 v1, 0
	s_mov_b32 s43, 0
	global_store_b8 v[2:3], v1, off
.LBB31_1950:
	s_and_not1_b32 vcc_lo, exec_lo, s43
	s_cbranch_vccnz .LBB31_1952
; %bb.1951:
	s_wait_xcnt 0x0
	v_mov_b32_e32 v1, 0
	global_store_b8 v[2:3], v1, off
.LBB31_1952:
	s_mov_b32 s55, -1
.LBB31_1953:
	s_delay_alu instid0(SALU_CYCLE_1)
	s_and_not1_b32 vcc_lo, exec_lo, s55
	s_cbranch_vccnz .LBB31_1955
; %bb.1954:
	v_add_nc_u32_e32 v0, 0x80, v0
	s_mov_b32 s54, -1
	s_branch .LBB31_1956
.LBB31_1955:
	s_mov_b32 s54, 0
                                        ; implicit-def: $vgpr0
.LBB31_1956:
	s_and_b32 s43, s42, exec_lo
	s_and_not1_b32 s0, s0, exec_lo
	s_and_b32 s42, s54, exec_lo
.LBB31_1957:
	s_wait_xcnt 0x0
	s_or_b32 exec_lo, exec_lo, s35
	s_delay_alu instid0(SALU_CYCLE_1)
	s_and_b32 s43, s43, exec_lo
	s_and_b32 s0, s0, exec_lo
	s_xor_b32 s35, exec_lo, -1
	s_and_b32 s42, s42, exec_lo
.LBB31_1958:
	s_or_b32 exec_lo, exec_lo, s41
	s_delay_alu instid0(SALU_CYCLE_1)
	s_and_b32 s43, s43, exec_lo
	s_and_b32 s54, s0, exec_lo
	;; [unrolled: 1-line block ×3, first 2 shown]
	s_xor_b32 s35, exec_lo, -1
	s_and_b32 s0, s42, exec_lo
.LBB31_1959:
	s_or_b32 exec_lo, exec_lo, s40
	s_delay_alu instid0(SALU_CYCLE_1)
	s_and_b32 s43, s43, exec_lo
	s_and_b32 s42, s54, exec_lo
	;; [unrolled: 1-line block ×4, first 2 shown]
	s_xor_b32 s35, exec_lo, -1
	s_and_b32 s0, s0, exec_lo
	s_or_b32 exec_lo, exec_lo, s39
	s_branch .LBB31_650
.LBB31_1960:
	s_mov_b32 s56, -1
	s_mov_b32 s55, 0
	s_mov_b32 s42, s64
	s_branch .LBB31_3610
.LBB31_1961:
	s_mov_b32 s100, -1
	s_mov_b32 s41, 0
.LBB31_1962:
                                        ; implicit-def: $vgpr14_vgpr15
.LBB31_1963:
	s_and_b32 vcc_lo, exec_lo, s42
	s_cbranch_vccz .LBB31_1967
; %bb.1964:
	s_cmp_eq_u32 s35, 44
	s_cbranch_scc0 .LBB31_1966
; %bb.1965:
	global_load_u8 v1, v[6:7], off
	s_mov_b32 s100, 0
	s_mov_b32 s41, -1
	s_wait_loadcnt 0x0
	v_lshlrev_b32_e32 v3, 23, v1
	v_cmp_ne_u32_e32 vcc_lo, 0, v1
	s_delay_alu instid0(VALU_DEP_2) | instskip(NEXT) | instid1(VALU_DEP_1)
	v_trunc_f32_e32 v3, v3
	v_mul_f32_e64 v14, 0x2f800000, |v3|
	s_delay_alu instid0(VALU_DEP_1) | instskip(SKIP_1) | instid1(VALU_DEP_2)
	v_floor_f32_e32 v15, v14
	v_ashrrev_i32_e32 v14, 31, v3
	v_fma_f32 v16, 0xcf800000, v15, |v3|
	v_cvt_u32_f32_e32 v3, v15
	s_delay_alu instid0(VALU_DEP_3) | instskip(NEXT) | instid1(VALU_DEP_3)
	v_mov_b32_e32 v15, v14
	v_cvt_u32_f32_e32 v16, v16
	s_delay_alu instid0(VALU_DEP_3) | instskip(NEXT) | instid1(VALU_DEP_2)
	v_xor_b32_e32 v17, v3, v14
	v_xor_b32_e32 v16, v16, v14
	s_delay_alu instid0(VALU_DEP_1) | instskip(NEXT) | instid1(VALU_DEP_1)
	v_sub_nc_u64_e32 v[14:15], v[16:17], v[14:15]
	v_dual_cndmask_b32 v15, 0, v15 :: v_dual_cndmask_b32 v14, 0, v14
	s_branch .LBB31_1967
.LBB31_1966:
	s_mov_b32 s100, -1
                                        ; implicit-def: $vgpr14_vgpr15
.LBB31_1967:
	s_mov_b32 s42, 0
.LBB31_1968:
	s_delay_alu instid0(SALU_CYCLE_1)
	s_and_b32 vcc_lo, exec_lo, s42
	s_cbranch_vccz .LBB31_1972
; %bb.1969:
	s_cmp_eq_u32 s35, 29
	s_cbranch_scc0 .LBB31_1971
; %bb.1970:
	global_load_b64 v[14:15], v[6:7], off
	s_mov_b32 s41, -1
	s_mov_b32 s100, 0
	s_branch .LBB31_1972
.LBB31_1971:
	s_mov_b32 s100, -1
                                        ; implicit-def: $vgpr14_vgpr15
.LBB31_1972:
	s_mov_b32 s42, 0
.LBB31_1973:
	s_delay_alu instid0(SALU_CYCLE_1)
	s_and_b32 vcc_lo, exec_lo, s42
	s_cbranch_vccz .LBB31_1989
; %bb.1974:
	s_cmp_lt_i32 s35, 27
	s_cbranch_scc1 .LBB31_1977
; %bb.1975:
	s_cmp_gt_i32 s35, 27
	s_cbranch_scc0 .LBB31_1978
; %bb.1976:
	s_wait_loadcnt 0x0
	global_load_b32 v14, v[6:7], off
	v_mov_b32_e32 v15, 0
	s_mov_b32 s41, 0
	s_branch .LBB31_1979
.LBB31_1977:
	s_mov_b32 s41, -1
                                        ; implicit-def: $vgpr14_vgpr15
	s_branch .LBB31_1982
.LBB31_1978:
	s_mov_b32 s41, -1
                                        ; implicit-def: $vgpr14_vgpr15
.LBB31_1979:
	s_delay_alu instid0(SALU_CYCLE_1)
	s_and_not1_b32 vcc_lo, exec_lo, s41
	s_cbranch_vccnz .LBB31_1981
; %bb.1980:
	global_load_u16 v1, v[6:7], off
	s_mov_b32 s21, 0
	s_wait_loadcnt 0x1
	v_mov_b32_e32 v15, s21
	s_wait_loadcnt 0x0
	v_and_b32_e32 v14, 0xffff, v1
.LBB31_1981:
	s_mov_b32 s41, 0
.LBB31_1982:
	s_delay_alu instid0(SALU_CYCLE_1)
	s_and_not1_b32 vcc_lo, exec_lo, s41
	s_cbranch_vccnz .LBB31_1988
; %bb.1983:
	global_load_u8 v1, v[6:7], off
	s_mov_b32 s42, 0
	s_mov_b32 s21, exec_lo
	s_wait_loadcnt 0x0
	v_cmpx_lt_i16_e32 0x7f, v1
	s_xor_b32 s41, exec_lo, s21
	s_cbranch_execz .LBB31_2000
; %bb.1984:
	v_cmp_ne_u16_e32 vcc_lo, 0x80, v1
	s_and_b32 s42, vcc_lo, exec_lo
	s_and_not1_saveexec_b32 s41, s41
	s_cbranch_execnz .LBB31_2001
.LBB31_1985:
	s_or_b32 exec_lo, exec_lo, s41
	v_mov_b64_e32 v[14:15], 0
	s_and_saveexec_b32 s41, s42
	s_cbranch_execz .LBB31_1987
.LBB31_1986:
	v_and_b32_e32 v3, 0xffff, v1
	s_delay_alu instid0(VALU_DEP_1) | instskip(SKIP_1) | instid1(VALU_DEP_2)
	v_dual_lshlrev_b32 v1, 24, v1 :: v_dual_bitop2_b32 v14, 7, v3 bitop3:0x40
	v_bfe_u32 v17, v3, 3, 4
	v_and_b32_e32 v1, 0x80000000, v1
	s_delay_alu instid0(VALU_DEP_3) | instskip(NEXT) | instid1(VALU_DEP_3)
	v_clz_i32_u32_e32 v15, v14
	v_cmp_eq_u32_e32 vcc_lo, 0, v17
	s_delay_alu instid0(VALU_DEP_2) | instskip(NEXT) | instid1(VALU_DEP_1)
	v_min_u32_e32 v15, 32, v15
	v_subrev_nc_u32_e32 v16, 28, v15
	v_sub_nc_u32_e32 v15, 29, v15
	s_delay_alu instid0(VALU_DEP_2) | instskip(NEXT) | instid1(VALU_DEP_2)
	v_lshlrev_b32_e32 v3, v16, v3
	v_cndmask_b32_e32 v15, v17, v15, vcc_lo
	s_delay_alu instid0(VALU_DEP_2) | instskip(NEXT) | instid1(VALU_DEP_1)
	v_and_b32_e32 v3, 7, v3
	v_cndmask_b32_e32 v3, v14, v3, vcc_lo
	s_delay_alu instid0(VALU_DEP_3) | instskip(NEXT) | instid1(VALU_DEP_2)
	v_lshl_add_u32 v14, v15, 23, 0x3b800000
	v_lshlrev_b32_e32 v3, 20, v3
	s_delay_alu instid0(VALU_DEP_1) | instskip(NEXT) | instid1(VALU_DEP_1)
	v_or3_b32 v1, v1, v14, v3
	v_trunc_f32_e32 v1, v1
	s_delay_alu instid0(VALU_DEP_1) | instskip(SKIP_1) | instid1(VALU_DEP_2)
	v_mul_f32_e64 v3, 0x2f800000, |v1|
	v_ashrrev_i32_e32 v14, 31, v1
	v_floor_f32_e32 v3, v3
	s_delay_alu instid0(VALU_DEP_1) | instskip(SKIP_1) | instid1(VALU_DEP_2)
	v_fma_f32 v15, 0xcf800000, v3, |v1|
	v_cvt_u32_f32_e32 v1, v3
	v_cvt_u32_f32_e32 v3, v15
	s_delay_alu instid0(VALU_DEP_2) | instskip(NEXT) | instid1(VALU_DEP_2)
	v_dual_mov_b32 v15, v14 :: v_dual_bitop2_b32 v17, v1, v14 bitop3:0x14
	v_xor_b32_e32 v16, v3, v14
	s_delay_alu instid0(VALU_DEP_1)
	v_sub_nc_u64_e32 v[14:15], v[16:17], v[14:15]
.LBB31_1987:
	s_or_b32 exec_lo, exec_lo, s41
.LBB31_1988:
	s_mov_b32 s41, -1
.LBB31_1989:
	s_mov_b32 s42, 0
.LBB31_1990:
	s_delay_alu instid0(SALU_CYCLE_1)
	s_and_b32 vcc_lo, exec_lo, s42
	s_cbranch_vccz .LBB31_2023
; %bb.1991:
	s_cmp_gt_i32 s35, 22
	s_cbranch_scc0 .LBB31_1999
; %bb.1992:
	s_cmp_lt_i32 s35, 24
	s_cbranch_scc1 .LBB31_2002
; %bb.1993:
	s_cmp_gt_i32 s35, 24
	s_cbranch_scc0 .LBB31_2003
; %bb.1994:
	global_load_u8 v1, v[6:7], off
	s_mov_b32 s42, 0
	s_mov_b32 s21, exec_lo
	s_wait_loadcnt 0x0
	v_cmpx_lt_i16_e32 0x7f, v1
	s_xor_b32 s41, exec_lo, s21
	s_cbranch_execz .LBB31_2015
; %bb.1995:
	v_cmp_ne_u16_e32 vcc_lo, 0x80, v1
	s_and_b32 s42, vcc_lo, exec_lo
	s_and_not1_saveexec_b32 s41, s41
	s_cbranch_execnz .LBB31_2016
.LBB31_1996:
	s_or_b32 exec_lo, exec_lo, s41
	v_mov_b64_e32 v[14:15], 0
	s_and_saveexec_b32 s41, s42
	s_cbranch_execz .LBB31_1998
.LBB31_1997:
	v_and_b32_e32 v3, 0xffff, v1
	s_delay_alu instid0(VALU_DEP_1) | instskip(SKIP_1) | instid1(VALU_DEP_2)
	v_dual_lshlrev_b32 v1, 24, v1 :: v_dual_bitop2_b32 v14, 3, v3 bitop3:0x40
	v_bfe_u32 v17, v3, 2, 5
	v_and_b32_e32 v1, 0x80000000, v1
	s_delay_alu instid0(VALU_DEP_3) | instskip(NEXT) | instid1(VALU_DEP_3)
	v_clz_i32_u32_e32 v15, v14
	v_cmp_eq_u32_e32 vcc_lo, 0, v17
	s_delay_alu instid0(VALU_DEP_2) | instskip(NEXT) | instid1(VALU_DEP_1)
	v_min_u32_e32 v15, 32, v15
	v_subrev_nc_u32_e32 v16, 29, v15
	v_sub_nc_u32_e32 v15, 30, v15
	s_delay_alu instid0(VALU_DEP_2) | instskip(NEXT) | instid1(VALU_DEP_2)
	v_lshlrev_b32_e32 v3, v16, v3
	v_cndmask_b32_e32 v15, v17, v15, vcc_lo
	s_delay_alu instid0(VALU_DEP_2) | instskip(NEXT) | instid1(VALU_DEP_1)
	v_and_b32_e32 v3, 3, v3
	v_cndmask_b32_e32 v3, v14, v3, vcc_lo
	s_delay_alu instid0(VALU_DEP_3) | instskip(NEXT) | instid1(VALU_DEP_2)
	v_lshl_add_u32 v14, v15, 23, 0x37800000
	v_lshlrev_b32_e32 v3, 21, v3
	s_delay_alu instid0(VALU_DEP_1) | instskip(NEXT) | instid1(VALU_DEP_1)
	v_or3_b32 v1, v1, v14, v3
	v_trunc_f32_e32 v1, v1
	s_delay_alu instid0(VALU_DEP_1) | instskip(SKIP_1) | instid1(VALU_DEP_2)
	v_mul_f32_e64 v3, 0x2f800000, |v1|
	v_ashrrev_i32_e32 v14, 31, v1
	v_floor_f32_e32 v3, v3
	s_delay_alu instid0(VALU_DEP_1) | instskip(SKIP_1) | instid1(VALU_DEP_2)
	v_fma_f32 v15, 0xcf800000, v3, |v1|
	v_cvt_u32_f32_e32 v1, v3
	v_cvt_u32_f32_e32 v3, v15
	s_delay_alu instid0(VALU_DEP_2) | instskip(NEXT) | instid1(VALU_DEP_2)
	v_dual_mov_b32 v15, v14 :: v_dual_bitop2_b32 v17, v1, v14 bitop3:0x14
	v_xor_b32_e32 v16, v3, v14
	s_delay_alu instid0(VALU_DEP_1)
	v_sub_nc_u64_e32 v[14:15], v[16:17], v[14:15]
.LBB31_1998:
	s_or_b32 exec_lo, exec_lo, s41
	s_mov_b32 s41, 0
	s_branch .LBB31_2004
.LBB31_1999:
	s_mov_b32 s42, -1
                                        ; implicit-def: $vgpr14_vgpr15
	s_branch .LBB31_2010
.LBB31_2000:
	s_and_not1_saveexec_b32 s41, s41
	s_cbranch_execz .LBB31_1985
.LBB31_2001:
	v_cmp_ne_u16_e32 vcc_lo, 0, v1
	s_and_not1_b32 s21, s42, exec_lo
	s_and_b32 s22, vcc_lo, exec_lo
	s_delay_alu instid0(SALU_CYCLE_1)
	s_or_b32 s42, s21, s22
	s_or_b32 exec_lo, exec_lo, s41
	v_mov_b64_e32 v[14:15], 0
	s_and_saveexec_b32 s41, s42
	s_cbranch_execnz .LBB31_1986
	s_branch .LBB31_1987
.LBB31_2002:
	s_mov_b32 s41, -1
                                        ; implicit-def: $vgpr14_vgpr15
	s_branch .LBB31_2007
.LBB31_2003:
	s_mov_b32 s41, -1
                                        ; implicit-def: $vgpr14_vgpr15
.LBB31_2004:
	s_delay_alu instid0(SALU_CYCLE_1)
	s_and_b32 vcc_lo, exec_lo, s41
	s_cbranch_vccz .LBB31_2006
; %bb.2005:
	global_load_u8 v1, v[6:7], off
	s_wait_loadcnt 0x0
	v_lshlrev_b32_e32 v1, 24, v1
	s_delay_alu instid0(VALU_DEP_1) | instskip(NEXT) | instid1(VALU_DEP_1)
	v_and_b32_e32 v3, 0x7f000000, v1
	v_clz_i32_u32_e32 v14, v3
	v_cmp_ne_u32_e32 vcc_lo, 0, v3
	v_add_nc_u32_e32 v16, 0x1000000, v3
	s_delay_alu instid0(VALU_DEP_3) | instskip(NEXT) | instid1(VALU_DEP_1)
	v_min_u32_e32 v14, 32, v14
	v_sub_nc_u32_e64 v14, v14, 4 clamp
	s_delay_alu instid0(VALU_DEP_1) | instskip(NEXT) | instid1(VALU_DEP_1)
	v_dual_lshlrev_b32 v15, v14, v3 :: v_dual_lshlrev_b32 v14, 23, v14
	v_lshrrev_b32_e32 v15, 4, v15
	s_delay_alu instid0(VALU_DEP_1) | instskip(NEXT) | instid1(VALU_DEP_1)
	v_dual_sub_nc_u32 v14, v15, v14 :: v_dual_ashrrev_i32 v15, 8, v16
	v_add_nc_u32_e32 v14, 0x3c000000, v14
	s_delay_alu instid0(VALU_DEP_1) | instskip(NEXT) | instid1(VALU_DEP_1)
	v_and_or_b32 v14, 0x7f800000, v15, v14
	v_cndmask_b32_e32 v3, 0, v14, vcc_lo
	s_delay_alu instid0(VALU_DEP_1) | instskip(NEXT) | instid1(VALU_DEP_1)
	v_and_or_b32 v1, 0x80000000, v1, v3
	v_trunc_f32_e32 v1, v1
	s_delay_alu instid0(VALU_DEP_1) | instskip(SKIP_1) | instid1(VALU_DEP_2)
	v_mul_f32_e64 v3, 0x2f800000, |v1|
	v_ashrrev_i32_e32 v14, 31, v1
	v_floor_f32_e32 v3, v3
	s_delay_alu instid0(VALU_DEP_1) | instskip(SKIP_1) | instid1(VALU_DEP_2)
	v_fma_f32 v15, 0xcf800000, v3, |v1|
	v_cvt_u32_f32_e32 v1, v3
	v_cvt_u32_f32_e32 v3, v15
	s_delay_alu instid0(VALU_DEP_2) | instskip(NEXT) | instid1(VALU_DEP_2)
	v_dual_mov_b32 v15, v14 :: v_dual_bitop2_b32 v17, v1, v14 bitop3:0x14
	v_xor_b32_e32 v16, v3, v14
	s_delay_alu instid0(VALU_DEP_1)
	v_sub_nc_u64_e32 v[14:15], v[16:17], v[14:15]
.LBB31_2006:
	s_mov_b32 s41, 0
.LBB31_2007:
	s_delay_alu instid0(SALU_CYCLE_1)
	s_and_not1_b32 vcc_lo, exec_lo, s41
	s_cbranch_vccnz .LBB31_2009
; %bb.2008:
	global_load_u8 v1, v[6:7], off
	s_wait_loadcnt 0x0
	v_lshlrev_b32_e32 v3, 25, v1
	v_lshlrev_b16 v1, 8, v1
	s_delay_alu instid0(VALU_DEP_1) | instskip(SKIP_1) | instid1(VALU_DEP_2)
	v_and_or_b32 v15, 0x7f00, v1, 0.5
	v_bfe_i32 v1, v1, 0, 16
	v_add_f32_e32 v15, -0.5, v15
	v_lshrrev_b32_e32 v14, 4, v3
	v_cmp_gt_u32_e32 vcc_lo, 0x8000000, v3
	s_delay_alu instid0(VALU_DEP_2) | instskip(NEXT) | instid1(VALU_DEP_1)
	v_or_b32_e32 v14, 0x70000000, v14
	v_mul_f32_e32 v14, 0x7800000, v14
	s_delay_alu instid0(VALU_DEP_1) | instskip(NEXT) | instid1(VALU_DEP_1)
	v_cndmask_b32_e32 v3, v14, v15, vcc_lo
	v_and_or_b32 v1, 0x80000000, v1, v3
	s_delay_alu instid0(VALU_DEP_1) | instskip(NEXT) | instid1(VALU_DEP_1)
	v_trunc_f32_e32 v1, v1
	v_mul_f32_e64 v3, 0x2f800000, |v1|
	v_ashrrev_i32_e32 v14, 31, v1
	s_delay_alu instid0(VALU_DEP_2) | instskip(NEXT) | instid1(VALU_DEP_1)
	v_floor_f32_e32 v3, v3
	v_fma_f32 v15, 0xcf800000, v3, |v1|
	v_cvt_u32_f32_e32 v1, v3
	s_delay_alu instid0(VALU_DEP_2) | instskip(NEXT) | instid1(VALU_DEP_2)
	v_cvt_u32_f32_e32 v3, v15
	v_dual_mov_b32 v15, v14 :: v_dual_bitop2_b32 v17, v1, v14 bitop3:0x14
	s_delay_alu instid0(VALU_DEP_2) | instskip(NEXT) | instid1(VALU_DEP_1)
	v_xor_b32_e32 v16, v3, v14
	v_sub_nc_u64_e32 v[14:15], v[16:17], v[14:15]
.LBB31_2009:
	s_mov_b32 s42, 0
	s_mov_b32 s41, -1
.LBB31_2010:
	s_and_not1_b32 vcc_lo, exec_lo, s42
	s_cbranch_vccnz .LBB31_2023
; %bb.2011:
	s_cmp_gt_i32 s35, 14
	s_cbranch_scc0 .LBB31_2014
; %bb.2012:
	s_cmp_eq_u32 s35, 15
	s_cbranch_scc0 .LBB31_2017
; %bb.2013:
	global_load_u16 v1, v[6:7], off
	s_mov_b32 s41, -1
	s_mov_b32 s100, 0
	s_wait_loadcnt 0x0
	v_lshlrev_b32_e32 v1, 16, v1
	s_delay_alu instid0(VALU_DEP_1) | instskip(NEXT) | instid1(VALU_DEP_1)
	v_trunc_f32_e32 v1, v1
	v_mul_f32_e64 v3, 0x2f800000, |v1|
	v_ashrrev_i32_e32 v14, 31, v1
	s_delay_alu instid0(VALU_DEP_2) | instskip(NEXT) | instid1(VALU_DEP_1)
	v_floor_f32_e32 v3, v3
	v_fma_f32 v15, 0xcf800000, v3, |v1|
	v_cvt_u32_f32_e32 v1, v3
	s_delay_alu instid0(VALU_DEP_2) | instskip(NEXT) | instid1(VALU_DEP_2)
	v_cvt_u32_f32_e32 v3, v15
	v_dual_mov_b32 v15, v14 :: v_dual_bitop2_b32 v17, v1, v14 bitop3:0x14
	s_delay_alu instid0(VALU_DEP_2) | instskip(NEXT) | instid1(VALU_DEP_1)
	v_xor_b32_e32 v16, v3, v14
	v_sub_nc_u64_e32 v[14:15], v[16:17], v[14:15]
	s_branch .LBB31_2018
.LBB31_2014:
	s_mov_b32 s42, -1
                                        ; implicit-def: $vgpr14_vgpr15
	s_branch .LBB31_2019
.LBB31_2015:
	s_and_not1_saveexec_b32 s41, s41
	s_cbranch_execz .LBB31_1996
.LBB31_2016:
	v_cmp_ne_u16_e32 vcc_lo, 0, v1
	s_and_not1_b32 s21, s42, exec_lo
	s_and_b32 s22, vcc_lo, exec_lo
	s_delay_alu instid0(SALU_CYCLE_1)
	s_or_b32 s42, s21, s22
	s_or_b32 exec_lo, exec_lo, s41
	v_mov_b64_e32 v[14:15], 0
	s_and_saveexec_b32 s41, s42
	s_cbranch_execnz .LBB31_1997
	s_branch .LBB31_1998
.LBB31_2017:
	s_mov_b32 s100, -1
                                        ; implicit-def: $vgpr14_vgpr15
.LBB31_2018:
	s_mov_b32 s42, 0
.LBB31_2019:
	s_delay_alu instid0(SALU_CYCLE_1)
	s_and_b32 vcc_lo, exec_lo, s42
	s_cbranch_vccz .LBB31_2023
; %bb.2020:
	s_cmp_eq_u32 s35, 11
	s_cbranch_scc0 .LBB31_2022
; %bb.2021:
	global_load_u8 v1, v[6:7], off
	s_mov_b32 s100, 0
	s_mov_b32 s41, -1
	s_wait_loadcnt 0x1
	v_mov_b32_e32 v15, s100
	s_wait_loadcnt 0x0
	v_cmp_ne_u16_e32 vcc_lo, 0, v1
	v_cndmask_b32_e64 v14, 0, 1, vcc_lo
	s_branch .LBB31_2023
.LBB31_2022:
	s_mov_b32 s100, -1
                                        ; implicit-def: $vgpr14_vgpr15
.LBB31_2023:
	s_mov_b32 s35, 0
.LBB31_2024:
	s_delay_alu instid0(SALU_CYCLE_1)
	s_and_b32 vcc_lo, exec_lo, s35
	s_cbranch_vccz .LBB31_2073
; %bb.2025:
	s_and_b32 s0, 0xffff, s0
	s_delay_alu instid0(SALU_CYCLE_1)
	s_cmp_lt_i32 s0, 5
	s_cbranch_scc1 .LBB31_2030
; %bb.2026:
	s_cmp_lt_i32 s0, 8
	s_cbranch_scc1 .LBB31_2031
; %bb.2027:
	;; [unrolled: 3-line block ×3, first 2 shown]
	s_cmp_gt_i32 s0, 9
	s_cbranch_scc0 .LBB31_2033
; %bb.2029:
	s_wait_loadcnt 0x0
	global_load_b64 v[14:15], v[6:7], off
	s_mov_b32 s35, 0
	s_wait_loadcnt 0x0
	v_trunc_f64_e32 v[14:15], v[14:15]
	s_delay_alu instid0(VALU_DEP_1) | instskip(NEXT) | instid1(VALU_DEP_1)
	v_ldexp_f64 v[16:17], v[14:15], 0xffffffe0
	v_floor_f64_e32 v[16:17], v[16:17]
	s_delay_alu instid0(VALU_DEP_1) | instskip(SKIP_1) | instid1(VALU_DEP_2)
	v_fmamk_f64 v[18:19], v[16:17], 0xc1f00000, v[14:15]
	v_cvt_i32_f64_e32 v15, v[16:17]
	v_cvt_u32_f64_e32 v14, v[18:19]
	s_branch .LBB31_2034
.LBB31_2030:
	s_mov_b32 s35, -1
                                        ; implicit-def: $vgpr14_vgpr15
	s_branch .LBB31_2052
.LBB31_2031:
	s_mov_b32 s35, -1
                                        ; implicit-def: $vgpr14_vgpr15
	s_branch .LBB31_2040
.LBB31_2032:
	s_mov_b32 s35, -1
                                        ; implicit-def: $vgpr14_vgpr15
	s_branch .LBB31_2037
.LBB31_2033:
	s_mov_b32 s35, -1
                                        ; implicit-def: $vgpr14_vgpr15
.LBB31_2034:
	s_delay_alu instid0(SALU_CYCLE_1)
	s_and_not1_b32 vcc_lo, exec_lo, s35
	s_cbranch_vccnz .LBB31_2036
; %bb.2035:
	global_load_b32 v1, v[6:7], off
	s_wait_loadcnt 0x0
	v_trunc_f32_e32 v1, v1
	s_delay_alu instid0(VALU_DEP_1) | instskip(SKIP_1) | instid1(VALU_DEP_2)
	v_mul_f32_e64 v3, 0x2f800000, |v1|
	v_ashrrev_i32_e32 v14, 31, v1
	v_floor_f32_e32 v3, v3
	s_delay_alu instid0(VALU_DEP_1) | instskip(SKIP_1) | instid1(VALU_DEP_2)
	v_fma_f32 v15, 0xcf800000, v3, |v1|
	v_cvt_u32_f32_e32 v1, v3
	v_cvt_u32_f32_e32 v3, v15
	s_delay_alu instid0(VALU_DEP_2) | instskip(NEXT) | instid1(VALU_DEP_2)
	v_dual_mov_b32 v15, v14 :: v_dual_bitop2_b32 v17, v1, v14 bitop3:0x14
	v_xor_b32_e32 v16, v3, v14
	s_delay_alu instid0(VALU_DEP_1)
	v_sub_nc_u64_e32 v[14:15], v[16:17], v[14:15]
.LBB31_2036:
	s_mov_b32 s35, 0
.LBB31_2037:
	s_delay_alu instid0(SALU_CYCLE_1)
	s_and_not1_b32 vcc_lo, exec_lo, s35
	s_cbranch_vccnz .LBB31_2039
; %bb.2038:
	global_load_b32 v1, v[6:7], off
	s_wait_loadcnt 0x0
	v_cvt_f32_f16_e32 v1, v1
	s_delay_alu instid0(VALU_DEP_1) | instskip(NEXT) | instid1(VALU_DEP_1)
	v_cvt_i32_f32_e32 v14, v1
	v_ashrrev_i32_e32 v15, 31, v14
.LBB31_2039:
	s_mov_b32 s35, 0
.LBB31_2040:
	s_delay_alu instid0(SALU_CYCLE_1)
	s_and_not1_b32 vcc_lo, exec_lo, s35
	s_cbranch_vccnz .LBB31_2051
; %bb.2041:
	s_cmp_lt_i32 s0, 6
	s_cbranch_scc1 .LBB31_2044
; %bb.2042:
	s_cmp_gt_i32 s0, 6
	s_cbranch_scc0 .LBB31_2045
; %bb.2043:
	s_wait_loadcnt 0x0
	global_load_b64 v[14:15], v[6:7], off
	s_mov_b32 s35, 0
	s_wait_loadcnt 0x0
	v_trunc_f64_e32 v[14:15], v[14:15]
	s_delay_alu instid0(VALU_DEP_1) | instskip(NEXT) | instid1(VALU_DEP_1)
	v_ldexp_f64 v[16:17], v[14:15], 0xffffffe0
	v_floor_f64_e32 v[16:17], v[16:17]
	s_delay_alu instid0(VALU_DEP_1) | instskip(SKIP_1) | instid1(VALU_DEP_2)
	v_fmamk_f64 v[18:19], v[16:17], 0xc1f00000, v[14:15]
	v_cvt_i32_f64_e32 v15, v[16:17]
	v_cvt_u32_f64_e32 v14, v[18:19]
	s_branch .LBB31_2046
.LBB31_2044:
	s_mov_b32 s35, -1
                                        ; implicit-def: $vgpr14_vgpr15
	s_branch .LBB31_2049
.LBB31_2045:
	s_mov_b32 s35, -1
                                        ; implicit-def: $vgpr14_vgpr15
.LBB31_2046:
	s_delay_alu instid0(SALU_CYCLE_1)
	s_and_not1_b32 vcc_lo, exec_lo, s35
	s_cbranch_vccnz .LBB31_2048
; %bb.2047:
	global_load_b32 v1, v[6:7], off
	s_wait_loadcnt 0x0
	v_trunc_f32_e32 v1, v1
	s_delay_alu instid0(VALU_DEP_1) | instskip(SKIP_1) | instid1(VALU_DEP_2)
	v_mul_f32_e64 v3, 0x2f800000, |v1|
	v_ashrrev_i32_e32 v14, 31, v1
	v_floor_f32_e32 v3, v3
	s_delay_alu instid0(VALU_DEP_1) | instskip(SKIP_1) | instid1(VALU_DEP_2)
	v_fma_f32 v15, 0xcf800000, v3, |v1|
	v_cvt_u32_f32_e32 v1, v3
	v_cvt_u32_f32_e32 v3, v15
	s_delay_alu instid0(VALU_DEP_2) | instskip(NEXT) | instid1(VALU_DEP_2)
	v_dual_mov_b32 v15, v14 :: v_dual_bitop2_b32 v17, v1, v14 bitop3:0x14
	v_xor_b32_e32 v16, v3, v14
	s_delay_alu instid0(VALU_DEP_1)
	v_sub_nc_u64_e32 v[14:15], v[16:17], v[14:15]
.LBB31_2048:
	s_mov_b32 s35, 0
.LBB31_2049:
	s_delay_alu instid0(SALU_CYCLE_1)
	s_and_not1_b32 vcc_lo, exec_lo, s35
	s_cbranch_vccnz .LBB31_2051
; %bb.2050:
	global_load_u16 v1, v[6:7], off
	s_wait_loadcnt 0x0
	v_cvt_f32_f16_e32 v1, v1
	s_delay_alu instid0(VALU_DEP_1) | instskip(NEXT) | instid1(VALU_DEP_1)
	v_cvt_i32_f32_e32 v14, v1
	v_ashrrev_i32_e32 v15, 31, v14
.LBB31_2051:
	s_mov_b32 s35, 0
.LBB31_2052:
	s_delay_alu instid0(SALU_CYCLE_1)
	s_and_not1_b32 vcc_lo, exec_lo, s35
	s_cbranch_vccnz .LBB31_2072
; %bb.2053:
	s_cmp_lt_i32 s0, 2
	s_cbranch_scc1 .LBB31_2057
; %bb.2054:
	s_cmp_lt_i32 s0, 3
	s_cbranch_scc1 .LBB31_2058
; %bb.2055:
	s_cmp_gt_i32 s0, 3
	s_cbranch_scc0 .LBB31_2059
; %bb.2056:
	s_wait_loadcnt 0x0
	global_load_b64 v[14:15], v[6:7], off
	s_mov_b32 s35, 0
	s_branch .LBB31_2060
.LBB31_2057:
	s_mov_b32 s35, -1
                                        ; implicit-def: $vgpr14_vgpr15
	s_branch .LBB31_2066
.LBB31_2058:
	s_mov_b32 s35, -1
                                        ; implicit-def: $vgpr14_vgpr15
	s_branch .LBB31_2063
.LBB31_2059:
	s_mov_b32 s35, -1
                                        ; implicit-def: $vgpr14_vgpr15
.LBB31_2060:
	s_delay_alu instid0(SALU_CYCLE_1)
	s_and_not1_b32 vcc_lo, exec_lo, s35
	s_cbranch_vccnz .LBB31_2062
; %bb.2061:
	s_wait_loadcnt 0x0
	global_load_b32 v14, v[6:7], off
	s_wait_loadcnt 0x0
	v_ashrrev_i32_e32 v15, 31, v14
.LBB31_2062:
	s_mov_b32 s35, 0
.LBB31_2063:
	s_delay_alu instid0(SALU_CYCLE_1)
	s_and_not1_b32 vcc_lo, exec_lo, s35
	s_cbranch_vccnz .LBB31_2065
; %bb.2064:
	global_load_u16 v1, v[6:7], off
	s_wait_loadcnt 0x0
	v_bfe_i32 v14, v1, 0, 16
	s_delay_alu instid0(VALU_DEP_1)
	v_ashrrev_i32_e32 v15, 31, v14
.LBB31_2065:
	s_mov_b32 s35, 0
.LBB31_2066:
	s_delay_alu instid0(SALU_CYCLE_1)
	s_and_not1_b32 vcc_lo, exec_lo, s35
	s_cbranch_vccnz .LBB31_2072
; %bb.2067:
	s_cmp_gt_i32 s0, 0
	s_mov_b32 s0, 0
	s_cbranch_scc0 .LBB31_2069
; %bb.2068:
	global_load_i8 v1, v[6:7], off
	s_wait_loadcnt 0x0
	v_bfe_i32 v14, v1, 0, 16
	s_delay_alu instid0(VALU_DEP_1)
	v_ashrrev_i32_e32 v15, 31, v14
	s_branch .LBB31_2070
.LBB31_2069:
	s_mov_b32 s0, -1
                                        ; implicit-def: $vgpr14_vgpr15
.LBB31_2070:
	s_delay_alu instid0(SALU_CYCLE_1)
	s_and_not1_b32 vcc_lo, exec_lo, s0
	s_cbranch_vccnz .LBB31_2072
; %bb.2071:
	global_load_u8 v1, v[6:7], off
	s_mov_b32 s0, 0
	s_wait_loadcnt 0x1
	v_mov_b32_e32 v15, s0
	s_wait_loadcnt 0x0
	v_and_b32_e32 v14, 0xffff, v1
.LBB31_2072:
	s_mov_b32 s41, -1
.LBB31_2073:
	s_delay_alu instid0(SALU_CYCLE_1)
	s_and_not1_b32 vcc_lo, exec_lo, s41
	s_cbranch_vccnz .LBB31_2084
; %bb.2074:
	s_load_b512 s[4:19], s[2:3], 0x248
	s_mov_b32 s0, 0
	s_mov_b32 s43, -1
	s_mov_b32 s54, s93
	s_mov_b32 s42, s79
	;; [unrolled: 1-line block ×4, first 2 shown]
	s_wait_loadcnt 0x0
	s_wait_kmcnt 0x0
	v_cmp_eq_u64_e32 vcc_lo, s[16:17], v[4:5]
	s_and_b32 s21, s101, vcc_lo
	s_delay_alu instid0(SALU_CYCLE_1)
	s_and_saveexec_b32 s95, s21
	s_cbranch_execz .LBB31_4294
; %bb.2075:
	v_cmp_eq_u64_e32 vcc_lo, s[36:37], v[8:9]
	s_mov_b32 s42, -1
	s_mov_b32 s43, s79
	s_mov_b32 s55, s96
	;; [unrolled: 1-line block ×3, first 2 shown]
	s_and_b32 s21, s48, vcc_lo
	s_delay_alu instid0(SALU_CYCLE_1)
	s_and_saveexec_b32 s41, s21
	s_cbranch_execz .LBB31_3780
; %bb.2076:
	s_load_b512 s[4:19], s[2:3], 0x248
	v_sub_nc_u64_e32 v[4:5], v[10:11], v[12:13]
	s_mov_b32 s35, 0
	s_mov_b32 s43, -1
	s_mov_b32 s55, s40
	s_wait_kmcnt 0x0
	s_delay_alu instid0(VALU_DEP_1) | instskip(SKIP_4) | instid1(SALU_CYCLE_1)
	v_cmp_le_i64_e32 vcc_lo, s[16:17], v[4:5]
	v_cmp_ge_i64_e64 s0, s[18:19], v[4:5]
	s_and_b32 s21, vcc_lo, s0
	s_mov_b32 s0, s96
	s_and_b32 s21, s104, s21
	s_and_saveexec_b32 s42, s21
	s_cbranch_execz .LBB31_3779
; %bb.2077:
	v_cmp_lt_i64_e64 s0, s[36:37], 1
	v_mov_b64_e32 v[4:5], 0
	s_xor_b32 s21, s49, -1
	s_delay_alu instid0(SALU_CYCLE_1) | instskip(NEXT) | instid1(SALU_CYCLE_1)
	s_or_b32 s0, s0, s21
	s_and_b32 vcc_lo, exec_lo, s0
	s_cbranch_vccnz .LBB31_2115
; %bb.2078:
	v_mul_u64_e32 v[8:9], s[36:37], v[14:15]
	s_mov_b32 s55, 0
	v_mov_b64_e32 v[4:5], 0
	s_mov_b32 s35, s55
	v_mov_b32_e32 v6, 0
	s_lshl_b64 s[22:23], s[34:35], 3
	s_mov_b32 s8, s27
	s_add_nc_u64 s[22:23], s[2:3], s[22:23]
	s_mov_b32 s7, s26
	s_add_nc_u64 s[56:57], s[22:23], 0x298
	s_mov_b32 s35, s38
	s_branch .LBB31_2080
.LBB31_2079:                            ;   in Loop: Header=BB31_2080 Depth=1
	s_or_b32 exec_lo, exec_lo, s0
	s_delay_alu instid0(VALU_DEP_1)
	v_mul_u64_e32 v[16:17], s[58:59], v[14:15]
	s_load_b64 s[22:23], s[56:57], 0x40
	s_add_co_i32 s35, s35, -1
	s_wait_xcnt 0x0
	s_add_nc_u64 s[56:57], s[56:57], -8
	s_cmp_lg_u32 s35, 0
	s_delay_alu instid0(VALU_DEP_1) | instskip(SKIP_1) | instid1(VALU_DEP_1)
	v_sub_nc_u64_e32 v[8:9], v[8:9], v[16:17]
	s_wait_kmcnt 0x0
	v_mad_nc_u64_u32 v[4:5], v8, s22, v[4:5]
	s_delay_alu instid0(VALU_DEP_1) | instskip(NEXT) | instid1(VALU_DEP_1)
	v_mad_u32 v1, v9, s22, v5
	v_mad_u32 v5, v8, s23, v1
	v_mov_b64_e32 v[8:9], v[14:15]
	s_cbranch_scc0 .LBB31_2114
.LBB31_2080:                            ; =>This Inner Loop Header: Depth=1
	s_load_b64 s[58:59], s[56:57], 0x0
                                        ; implicit-def: $vgpr14_vgpr15
	s_mov_b32 s0, exec_lo
	s_wait_kmcnt 0x0
	s_delay_alu instid0(VALU_DEP_1) | instskip(NEXT) | instid1(VALU_DEP_1)
	v_or_b32_e32 v7, s59, v9
	v_cmpx_ne_u64_e32 0, v[6:7]
	s_xor_b32 s43, exec_lo, s0
	s_cbranch_execz .LBB31_2082
; %bb.2081:                             ;   in Loop: Header=BB31_2080 Depth=1
	s_ashr_i32 s60, s59, 31
	s_mov_b32 s6, s25
	s_mov_b32 s61, s60
	;; [unrolled: 1-line block ×3, first 2 shown]
	s_add_nc_u64 s[22:23], s[58:59], s[60:61]
	s_mov_b32 s5, s31
	s_xor_b64 s[62:63], s[22:23], s[60:61]
	s_mov_b64 s[28:29], s[44:45]
	s_cvt_f32_u32 s0, s62
	s_cvt_f32_u32 s21, s63
	s_sub_nc_u64 s[24:25], 0, s[62:63]
	s_mov_b64 s[30:31], s[46:47]
	v_dual_mov_b32 v19, v6 :: v_dual_ashrrev_i32 v14, 31, v9
	s_fmamk_f32 s0, s21, 0x4f800000, s0
	s_delay_alu instid0(VALU_DEP_1) | instskip(NEXT) | instid1(SALU_CYCLE_2)
	v_mov_b32_e32 v15, v14
	v_s_rcp_f32 s0, s0
	s_delay_alu instid0(VALU_DEP_1) | instskip(SKIP_1) | instid1(TRANS32_DEP_1)
	v_add_nc_u64_e32 v[16:17], v[8:9], v[14:15]
	v_mov_b32_e32 v21, v6
	s_mul_f32 s0, s0, 0x5f7ffffc
	s_delay_alu instid0(VALU_DEP_2) | instskip(NEXT) | instid1(SALU_CYCLE_2)
	v_xor_b32_e32 v18, v16, v14
	s_mul_f32 s21, s0, 0x2f800000
	s_delay_alu instid0(VALU_DEP_3) | instskip(SKIP_1) | instid1(SALU_CYCLE_1)
	v_dual_mov_b32 v27, v6 :: v_dual_bitop2_b32 v20, v17, v14 bitop3:0x14
	v_xor_b32_e32 v14, s60, v14
	s_trunc_f32 s21, s21
	s_delay_alu instid0(SALU_CYCLE_3) | instskip(SKIP_1) | instid1(SALU_CYCLE_2)
	s_fmamk_f32 s0, s21, 0xcf800000, s0
	s_cvt_u32_f32 s23, s21
	s_cvt_u32_f32 s22, s0
	s_delay_alu instid0(SALU_CYCLE_3) | instskip(NEXT) | instid1(SALU_CYCLE_1)
	s_mul_u64 s[26:27], s[24:25], s[22:23]
	s_mul_hi_u32 s45, s22, s27
	s_mul_i32 s44, s22, s27
	s_mul_hi_u32 s54, s22, s26
	s_mul_i32 s21, s23, s26
	s_add_nc_u64 s[44:45], s[54:55], s[44:45]
	s_mul_hi_u32 s0, s23, s26
	s_mul_hi_u32 s46, s23, s27
	s_add_co_u32 s21, s44, s21
	s_add_co_ci_u32 s54, s45, s0
	s_mul_i32 s26, s23, s27
	s_add_co_ci_u32 s27, s46, 0
	s_delay_alu instid0(SALU_CYCLE_1) | instskip(NEXT) | instid1(SALU_CYCLE_1)
	s_add_nc_u64 s[26:27], s[54:55], s[26:27]
	s_add_co_u32 s22, s22, s26
	s_cselect_b32 s0, -1, 0
	s_delay_alu instid0(SALU_CYCLE_1) | instskip(SKIP_1) | instid1(SALU_CYCLE_1)
	s_cmp_lg_u32 s0, 0
	s_add_co_ci_u32 s23, s23, s27
	s_mul_u64 s[24:25], s[24:25], s[22:23]
	s_delay_alu instid0(SALU_CYCLE_1)
	s_mul_hi_u32 s27, s22, s25
	s_mul_i32 s26, s22, s25
	s_mul_hi_u32 s54, s22, s24
	s_mul_i32 s21, s23, s24
	s_add_nc_u64 s[26:27], s[54:55], s[26:27]
	s_mul_hi_u32 s0, s23, s24
	s_mul_hi_u32 s44, s23, s25
	s_add_co_u32 s21, s26, s21
	s_add_co_ci_u32 s54, s27, s0
	s_mul_i32 s24, s23, s25
	s_add_co_ci_u32 s25, s44, 0
	s_mov_b64 s[46:47], s[30:31]
	s_add_nc_u64 s[24:25], s[54:55], s[24:25]
	s_mov_b64 s[44:45], s[28:29]
	s_add_co_u32 s0, s22, s24
	s_cselect_b32 s21, -1, 0
	v_mul_hi_u32 v26, v18, s0
	s_cmp_lg_u32 s21, 0
	s_mov_b32 s31, s5
	s_add_co_ci_u32 s54, s23, s25
	s_mov_b64 s[22:23], 0xffffffff
	v_mul_u64_e32 v[22:23], s[54:55], v[18:19]
	s_and_b64 s[22:23], s[0:1], s[22:23]
	v_mul_u64_e32 v[24:25], s[54:55], v[20:21]
	v_mul_u64_e32 v[16:17], s[22:23], v[20:21]
	s_mov_b32 s28, s4
	s_mov_b32 s25, s6
	s_delay_alu instid0(VALU_DEP_3) | instskip(NEXT) | instid1(VALU_DEP_1)
	v_add_nc_u64_e32 v[22:23], v[26:27], v[22:23]
	v_add_co_u32 v1, vcc_lo, v22, v16
	s_delay_alu instid0(VALU_DEP_2) | instskip(SKIP_1) | instid1(VALU_DEP_1)
	v_add_co_ci_u32_e32 v26, vcc_lo, v23, v17, vcc_lo
	v_add_co_ci_u32_e32 v25, vcc_lo, 0, v25, vcc_lo
	v_add_nc_u64_e32 v[16:17], v[26:27], v[24:25]
	s_delay_alu instid0(VALU_DEP_1) | instskip(NEXT) | instid1(VALU_DEP_1)
	v_mul_u64_e32 v[22:23], s[62:63], v[16:17]
	v_sub_nc_u32_e32 v1, v20, v23
	s_delay_alu instid0(VALU_DEP_2) | instskip(NEXT) | instid1(VALU_DEP_1)
	v_sub_co_u32 v3, vcc_lo, v18, v22
	v_sub_co_ci_u32_e64 v15, null, v20, v23, vcc_lo
	s_delay_alu instid0(VALU_DEP_3) | instskip(NEXT) | instid1(VALU_DEP_3)
	v_subrev_co_ci_u32_e64 v1, null, s63, v1, vcc_lo
	v_sub_co_u32 v7, s0, v3, s62
	v_add_nc_u64_e32 v[20:21], 1, v[16:17]
	s_delay_alu instid0(VALU_DEP_3) | instskip(NEXT) | instid1(VALU_DEP_3)
	v_subrev_co_ci_u32_e64 v1, null, 0, v1, s0
	v_cmp_le_u32_e32 vcc_lo, s62, v7
	v_cndmask_b32_e64 v7, 0, -1, vcc_lo
	s_delay_alu instid0(VALU_DEP_3)
	v_cmp_le_u32_e32 vcc_lo, s63, v1
	v_cndmask_b32_e64 v18, 0, -1, vcc_lo
	v_cmp_le_u32_e32 vcc_lo, s62, v3
	v_cndmask_b32_e64 v3, 0, -1, vcc_lo
	;; [unrolled: 2-line block ×3, first 2 shown]
	v_cmp_eq_u32_e32 vcc_lo, s63, v1
	v_cndmask_b32_e32 v1, v18, v7, vcc_lo
	v_cmp_eq_u32_e32 vcc_lo, s63, v15
	v_add_nc_u64_e32 v[18:19], 2, v[16:17]
	v_mov_b32_e32 v15, v14
	v_cndmask_b32_e32 v3, v22, v3, vcc_lo
	v_cmp_ne_u32_e32 vcc_lo, 0, v1
	s_delay_alu instid0(VALU_DEP_2) | instskip(SKIP_1) | instid1(VALU_DEP_1)
	v_cmp_ne_u32_e64 s0, 0, v3
	v_dual_cndmask_b32 v1, v21, v19, vcc_lo :: v_dual_cndmask_b32 v3, v20, v18, vcc_lo
	v_dual_cndmask_b32 v1, v17, v1, s0 :: v_dual_cndmask_b32 v3, v16, v3, s0
	s_delay_alu instid0(VALU_DEP_1) | instskip(NEXT) | instid1(VALU_DEP_2)
	v_xor_b32_e32 v17, v1, v14
	v_xor_b32_e32 v16, v3, v14
	s_delay_alu instid0(VALU_DEP_1)
	v_sub_nc_u64_e32 v[14:15], v[16:17], v[14:15]
.LBB31_2082:                            ;   in Loop: Header=BB31_2080 Depth=1
	s_and_not1_saveexec_b32 s0, s43
	s_cbranch_execz .LBB31_2079
; %bb.2083:                             ;   in Loop: Header=BB31_2080 Depth=1
	v_cvt_f32_u32_e32 v1, s58
	s_sub_co_i32 s21, 0, s58
	v_mov_b32_e32 v15, v6
	s_delay_alu instid0(VALU_DEP_2) | instskip(SKIP_1) | instid1(TRANS32_DEP_1)
	v_rcp_iflag_f32_e32 v1, v1
	v_nop
	v_mul_f32_e32 v1, 0x4f7ffffe, v1
	s_delay_alu instid0(VALU_DEP_1) | instskip(NEXT) | instid1(VALU_DEP_1)
	v_cvt_u32_f32_e32 v1, v1
	v_mul_lo_u32 v3, s21, v1
	s_delay_alu instid0(VALU_DEP_1) | instskip(NEXT) | instid1(VALU_DEP_1)
	v_mul_hi_u32 v3, v1, v3
	v_add_nc_u32_e32 v1, v1, v3
	s_delay_alu instid0(VALU_DEP_1) | instskip(NEXT) | instid1(VALU_DEP_1)
	v_mul_hi_u32 v1, v8, v1
	v_mul_lo_u32 v3, v1, s58
	s_delay_alu instid0(VALU_DEP_1) | instskip(NEXT) | instid1(VALU_DEP_1)
	v_sub_nc_u32_e32 v3, v8, v3
	v_subrev_nc_u32_e32 v14, s58, v3
	v_cmp_le_u32_e32 vcc_lo, s58, v3
	s_delay_alu instid0(VALU_DEP_2) | instskip(NEXT) | instid1(VALU_DEP_1)
	v_dual_add_nc_u32 v7, 1, v1 :: v_dual_cndmask_b32 v3, v3, v14, vcc_lo
	v_cndmask_b32_e32 v1, v1, v7, vcc_lo
	s_delay_alu instid0(VALU_DEP_2) | instskip(NEXT) | instid1(VALU_DEP_2)
	v_cmp_le_u32_e32 vcc_lo, s58, v3
	v_add_nc_u32_e32 v7, 1, v1
	s_delay_alu instid0(VALU_DEP_1)
	v_cndmask_b32_e32 v14, v1, v7, vcc_lo
	s_branch .LBB31_2079
.LBB31_2084:
	s_mov_b32 s0, 0
	s_mov_b32 s35, s40
	;; [unrolled: 1-line block ×6, first 2 shown]
.LBB31_2085:
                                        ; implicit-def: $vgpr0
.LBB31_2086:
	s_and_not1_b32 s21, s40, exec_lo
	s_and_b32 s22, s35, exec_lo
	s_and_not1_b32 s23, s96, exec_lo
	s_and_b32 s24, s41, exec_lo
	s_or_b32 s95, s21, s22
	s_or_b32 s63, s23, s24
	s_and_not1_b32 s21, s79, exec_lo
	s_and_b32 s22, s42, exec_lo
	s_and_not1_b32 s23, s93, exec_lo
	s_and_b32 s24, s54, exec_lo
	s_or_b32 s97, s21, s22
	s_or_b32 s61, s23, s24
	;; [unrolled: 6-line block ×3, first 2 shown]
	s_and_not1_b32 s21, s92, exec_lo
	s_and_b32 s22, vcc_hi, exec_lo
	s_and_not1_b32 s23, s89, exec_lo
	s_and_b32 s24, s20, exec_lo
	s_mov_b32 vcc_hi, s48
	v_readlane_b32 s48, v66, 0
	s_or_b32 s62, s21, s22
	s_or_b32 s58, s23, s24
	s_and_not1_b32 s21, s90, exec_lo
	s_and_b32 s20, s27, exec_lo
	s_and_not1_b32 s22, s88, exec_lo
	s_and_b32 s23, s26, exec_lo
	s_or_b32 s60, s21, s20
	s_or_b32 s35, s22, s23
	s_or_not1_b32 s55, s0, exec_lo
.LBB31_2087:
	s_wait_xcnt 0x0
	s_or_b32 exec_lo, exec_lo, s99
	s_mov_b32 s42, 0
	s_mov_b32 s54, 0
	;; [unrolled: 1-line block ×3, first 2 shown]
                                        ; implicit-def: $sgpr0
                                        ; implicit-def: $vgpr14_vgpr15
                                        ; implicit-def: $vgpr2
                                        ; implicit-def: $vgpr12
                                        ; implicit-def: $vgpr10
                                        ; implicit-def: $vgpr6
                                        ; implicit-def: $vgpr8
                                        ; implicit-def: $vgpr4_vgpr5
	s_and_saveexec_b32 s41, s55
	s_cbranch_execz .LBB31_2192
; %bb.2088:
	s_mov_b32 s55, 0
	s_mov_b32 s56, s35
	s_mov_b32 s42, exec_lo
                                        ; implicit-def: $sgpr0
                                        ; implicit-def: $vgpr14_vgpr15
                                        ; implicit-def: $vgpr2
                                        ; implicit-def: $vgpr12
                                        ; implicit-def: $vgpr10
                                        ; implicit-def: $vgpr6
                                        ; implicit-def: $vgpr8
                                        ; implicit-def: $vgpr4_vgpr5
	v_cmpx_gt_i32_e64 s77, v0
	s_cbranch_execz .LBB31_2191
; %bb.2089:
	s_and_not1_b32 vcc_lo, exec_lo, s68
	s_cbranch_vccnz .LBB31_2096
; %bb.2090:
	s_and_not1_b32 vcc_lo, exec_lo, s25
	s_cbranch_vccnz .LBB31_2097
; %bb.2091:
	s_wait_loadcnt 0x0
	v_dual_mov_b32 v8, 0 :: v_dual_mov_b32 v1, v0
	v_dual_mov_b32 v6, 0 :: v_dual_mov_b32 v10, 0
	;; [unrolled: 1-line block ×3, first 2 shown]
	v_mov_b32_e32 v4, 0
	s_add_co_i32 s0, s76, 1
	s_mov_b64 s[20:21], 0xffffffffffffffd0
	s_mov_b32 s11, s31
	s_mov_b32 s10, s28
	s_mov_b64 s[4:5], s[72:73]
	s_mov_b64 s[28:29], s[44:45]
	s_mov_b32 s8, vcc_hi
	s_mov_b64 s[6:7], s[74:75]
	s_mov_b64 s[30:31], s[46:47]
	s_and_b32 s0, s0, 30
	s_add_nc_u64 s[54:55], s[2:3], s[20:21]
	s_mov_b64 s[56:57], s[2:3]
.LBB31_2092:                            ; =>This Inner Loop Header: Depth=1
	s_clause 0x1
	s_load_b128 s[44:47], s[56:57], 0x4
	s_load_b64 vcc, s[56:57], 0x14
	s_clause 0x1
	s_load_b256 s[20:27], s[54:55], 0xf4
	s_load_b128 s[72:75], s[54:55], 0x114
	s_add_co_i32 s0, s0, -2
	s_wait_xcnt 0x0
	s_add_nc_u64 s[56:57], s[56:57], 24
	s_cmp_eq_u32 s0, 0
	s_add_nc_u64 s[54:55], s[54:55], 48
	s_wait_kmcnt 0x0
	v_mul_hi_u32 v3, s45, v1
	s_delay_alu instid0(VALU_DEP_1) | instskip(NEXT) | instid1(VALU_DEP_1)
	v_add_nc_u32_e32 v3, v1, v3
	v_lshrrev_b32_e32 v3, s46, v3
	s_delay_alu instid0(VALU_DEP_1) | instskip(SKIP_1) | instid1(VALU_DEP_1)
	v_mul_hi_u32 v5, vcc_lo, v3
	v_mul_lo_u32 v7, v3, s44
	v_dual_add_nc_u32 v5, v3, v5 :: v_dual_sub_nc_u32 v7, v1, v7
	s_delay_alu instid0(VALU_DEP_1) | instskip(NEXT) | instid1(VALU_DEP_2)
	v_lshrrev_b32_e32 v1, vcc_hi, v5
	v_mad_u32 v4, v7, s21, v4
	v_mad_u32 v2, v7, s20, v2
	;; [unrolled: 1-line block ×4, first 2 shown]
	v_mul_lo_u32 v5, v1, s47
	v_mad_u32 v6, s25, v7, v6
	v_mad_u32 v7, s24, v7, v8
	s_delay_alu instid0(VALU_DEP_3) | instskip(NEXT) | instid1(VALU_DEP_1)
	v_sub_nc_u32_e32 v3, v3, v5
	v_mad_u32 v4, v3, s27, v4
	v_mad_u32 v2, v3, s26, v2
	;; [unrolled: 1-line block ×6, first 2 shown]
	s_cbranch_scc0 .LBB31_2092
; %bb.2093:
	s_bitcmp1_b32 s76, 0
	s_cselect_b32 s0, -1, 0
	s_delay_alu instid0(SALU_CYCLE_1)
	s_and_b32 vcc_lo, exec_lo, s0
	s_cbranch_vccnz .LBB31_2095
; %bb.2094:
	s_load_b96 s[24:26], s[56:57], 0x4
	s_wait_kmcnt 0x0
	v_mul_hi_u32 v3, s25, v1
	s_delay_alu instid0(VALU_DEP_1) | instskip(NEXT) | instid1(VALU_DEP_1)
	v_add_nc_u32_e32 v3, v1, v3
	v_lshrrev_b32_e32 v3, s26, v3
	s_clause 0x1
	s_load_b128 s[20:23], s[54:55], 0xf4
	s_load_b64 s[26:27], s[54:55], 0x104
	s_delay_alu instid0(VALU_DEP_1) | instskip(NEXT) | instid1(VALU_DEP_1)
	v_mul_lo_u32 v3, v3, s24
	v_sub_nc_u32_e32 v1, v1, v3
	s_wait_kmcnt 0x0
	s_delay_alu instid0(VALU_DEP_1)
	v_mad_u32 v2, v1, s20, v2
	v_mad_u32 v4, v1, s21, v4
	;; [unrolled: 1-line block ×6, first 2 shown]
.LBB31_2095:
	s_mov_b64 s[46:47], s[30:31]
	s_mov_b64 s[74:75], s[6:7]
	;; [unrolled: 1-line block ×4, first 2 shown]
	s_mov_b32 vcc_hi, s8
	s_mov_b32 s28, s10
	s_mov_b32 s31, s11
	s_branch .LBB31_2098
.LBB31_2096:
	s_mov_b32 s0, -1
                                        ; implicit-def: $vgpr4
                                        ; implicit-def: $vgpr2
                                        ; implicit-def: $vgpr12
                                        ; implicit-def: $vgpr10
                                        ; implicit-def: $vgpr6
                                        ; implicit-def: $vgpr8
	s_branch .LBB31_2099
.LBB31_2097:
	s_wait_loadcnt 0x0
	v_dual_mov_b32 v4, 0 :: v_dual_mov_b32 v2, 0
	v_dual_mov_b32 v12, 0 :: v_dual_mov_b32 v10, 0
	;; [unrolled: 1-line block ×3, first 2 shown]
.LBB31_2098:
	s_mov_b32 s0, 0
.LBB31_2099:
	s_delay_alu instid0(SALU_CYCLE_1)
	s_and_not1_b32 vcc_lo, exec_lo, s0
	s_cbranch_vccnz .LBB31_2102
; %bb.2100:
	v_mov_b32_e32 v1, 0
	s_clause 0x1
	s_load_b128 s[4:7], s[2:3], 0x4
	s_load_b256 s[8:15], s[2:3], 0xc4
	s_and_not1_b32 vcc_lo, exec_lo, s48
	v_mul_u64_e32 v[2:3], s[50:51], v[0:1]
	s_delay_alu instid0(VALU_DEP_1) | instskip(SKIP_2) | instid1(VALU_DEP_1)
	v_add_nc_u32_e32 v2, v0, v3
	s_wait_loadcnt 0x0
	s_wait_kmcnt 0x0
	v_lshrrev_b32_e32 v14, s6, v2
	s_delay_alu instid0(VALU_DEP_1) | instskip(NEXT) | instid1(VALU_DEP_1)
	v_mul_lo_u32 v2, v14, s4
	v_sub_nc_u32_e32 v0, v0, v2
	s_delay_alu instid0(VALU_DEP_1)
	v_mul_lo_u32 v4, v0, s9
	v_mul_lo_u32 v2, v0, s8
	;; [unrolled: 1-line block ×6, first 2 shown]
	s_cbranch_vccnz .LBB31_2102
; %bb.2101:
	v_mov_b32_e32 v15, v1
	s_delay_alu instid0(VALU_DEP_1) | instskip(NEXT) | instid1(VALU_DEP_1)
	v_mul_u64_e32 v[0:1], s[52:53], v[14:15]
	v_add_nc_u32_e32 v0, v14, v1
	s_delay_alu instid0(VALU_DEP_1) | instskip(NEXT) | instid1(VALU_DEP_1)
	v_lshrrev_b32_e32 v0, s31, v0
	v_mul_lo_u32 v0, v0, s7
	s_delay_alu instid0(VALU_DEP_1) | instskip(NEXT) | instid1(VALU_DEP_1)
	v_sub_nc_u32_e32 v0, v14, v0
	v_mad_u32 v2, v0, s14, v2
	v_mad_u32 v4, v0, s15, v4
	;; [unrolled: 1-line block ×6, first 2 shown]
.LBB31_2102:
	s_load_b512 s[4:19], s[2:3], 0x248
	s_wait_loadcnt 0x0
	v_mov_b32_e32 v5, 0
	s_and_b32 s0, s1, 0xff
	s_delay_alu instid0(SALU_CYCLE_1) | instskip(SKIP_1) | instid1(VALU_DEP_1)
	s_cmp_lt_i32 s0, 11
	s_wait_kmcnt 0x0
	v_add_nc_u64_e32 v[14:15], s[6:7], v[4:5]
	s_cbranch_scc1 .LBB31_2109
; %bb.2103:
	s_and_b32 s1, 0xffff, s0
	s_mov_b32 s7, 0
	s_cmp_gt_i32 s1, 25
	s_cbranch_scc0 .LBB31_2110
; %bb.2104:
	s_cmp_gt_i32 s1, 28
	s_cbranch_scc0 .LBB31_2111
; %bb.2105:
	;; [unrolled: 3-line block ×4, first 2 shown]
	s_cmp_eq_u32 s1, 46
	s_mov_b32 s21, 0
	s_cbranch_scc0 .LBB31_2129
; %bb.2108:
	global_load_b32 v0, v[14:15], off
	s_mov_b32 s6, 0
	s_mov_b32 s20, -1
	s_wait_loadcnt 0x0
	v_lshlrev_b32_e32 v0, 16, v0
	s_delay_alu instid0(VALU_DEP_1) | instskip(NEXT) | instid1(VALU_DEP_1)
	v_trunc_f32_e32 v0, v0
	v_mul_f32_e64 v1, 0x2f800000, |v0|
	s_delay_alu instid0(VALU_DEP_1) | instskip(NEXT) | instid1(VALU_DEP_1)
	v_floor_f32_e32 v1, v1
	v_fma_f32 v3, 0xcf800000, v1, |v0|
	v_ashrrev_i32_e32 v0, 31, v0
	v_cvt_u32_f32_e32 v4, v1
	s_delay_alu instid0(VALU_DEP_3) | instskip(NEXT) | instid1(VALU_DEP_3)
	v_cvt_u32_f32_e32 v3, v3
	v_mov_b32_e32 v1, v0
	s_delay_alu instid0(VALU_DEP_3) | instskip(NEXT) | instid1(VALU_DEP_3)
	v_xor_b32_e32 v5, v4, v0
	v_xor_b32_e32 v4, v3, v0
	s_delay_alu instid0(VALU_DEP_1)
	v_sub_nc_u64_e32 v[4:5], v[4:5], v[0:1]
	s_branch .LBB31_2131
.LBB31_2109:
	s_mov_b32 s1, -1
	s_mov_b32 s20, 0
	s_mov_b32 s7, 0
	;; [unrolled: 1-line block ×3, first 2 shown]
                                        ; implicit-def: $vgpr4_vgpr5
	s_branch .LBB31_2190
.LBB31_2110:
	s_mov_b32 s21, -1
	s_mov_b32 s20, 0
	s_mov_b32 s6, s35
                                        ; implicit-def: $vgpr4_vgpr5
	s_branch .LBB31_2158
.LBB31_2111:
	s_mov_b32 s21, -1
	s_mov_b32 s20, 0
	s_mov_b32 s6, s35
                                        ; implicit-def: $vgpr4_vgpr5
	s_branch .LBB31_2141
.LBB31_2112:
	s_mov_b32 s21, -1
	s_mov_b32 s20, 0
	s_mov_b32 s6, s35
                                        ; implicit-def: $vgpr4_vgpr5
	s_branch .LBB31_2136
.LBB31_2113:
	s_mov_b32 s21, -1
	s_mov_b32 s20, 0
	s_mov_b32 s6, s35
	s_branch .LBB31_2130
.LBB31_2114:
	s_mov_b32 s26, s7
	s_mov_b32 s27, s8
.LBB31_2115:
	s_mov_b32 s55, -1
	s_mov_b32 s0, s96
	s_mov_b32 s35, exec_lo
	v_cmpx_gt_i64_e64 v[10:11], v[12:13]
	s_cbranch_execz .LBB31_2121
; %bb.2116:
	s_delay_alu instid0(VALU_DEP_2) | instskip(SKIP_4) | instid1(VALU_DEP_1)
	v_lshlrev_b64_e32 v[4:5], 3, v[4:5]
	s_mov_b64 s[4:5], s[72:73]
	s_mov_b32 s0, 0
	s_xor_b32 s54, s71, -1
	s_mov_b64 s[6:7], s[74:75]
                                        ; implicit-def: $sgpr43
                                        ; implicit-def: $sgpr56
                                        ; implicit-def: $sgpr55
	v_lshl_add_u64 v[6:7], v[12:13], 3, v[4:5]
	v_add_nc_u64_e32 v[8:9], s[4:5], v[4:5]
	s_delay_alu instid0(VALU_DEP_2) | instskip(NEXT) | instid1(VALU_DEP_1)
	v_add_nc_u64_e32 v[6:7], s[4:5], v[6:7]
	v_add_nc_u64_e32 v[4:5], 8, v[6:7]
	s_delay_alu instid0(VALU_DEP_3)
	v_lshl_add_u64 v[6:7], v[10:11], 3, v[8:9]
	s_branch .LBB31_2118
.LBB31_2117:                            ;   in Loop: Header=BB31_2118 Depth=1
	s_or_b32 exec_lo, exec_lo, s57
	s_delay_alu instid0(SALU_CYCLE_1) | instskip(NEXT) | instid1(SALU_CYCLE_1)
	s_and_b32 s21, exec_lo, s56
	s_or_b32 s0, s21, s0
	s_and_not1_b32 s21, s43, exec_lo
	s_and_b32 s22, s55, exec_lo
	s_delay_alu instid0(SALU_CYCLE_1)
	s_or_b32 s43, s21, s22
	s_and_not1_b32 exec_lo, exec_lo, s0
	s_cbranch_execz .LBB31_2120
.LBB31_2118:                            ; =>This Inner Loop Header: Depth=1
	s_or_b32 s55, s55, exec_lo
	s_or_b32 s56, s56, exec_lo
	s_mov_b32 s57, exec_lo
	s_delay_alu instid0(VALU_DEP_2)
	v_cmpx_lt_u64_e64 v[4:5], v[6:7]
	s_cbranch_execz .LBB31_2117
; %bb.2119:                             ;   in Loop: Header=BB31_2118 Depth=1
	global_load_b128 v[8:11], v[4:5], off offset:-8
	s_wait_xcnt 0x0
	v_add_nc_u64_e32 v[4:5], 8, v[4:5]
	s_and_not1_b32 s22, s56, exec_lo
	s_and_not1_b32 s55, s55, exec_lo
	s_wait_loadcnt 0x0
	v_cmp_ge_i64_e32 vcc_lo, v[8:9], v[10:11]
	s_or_b32 s21, s54, vcc_lo
	s_delay_alu instid0(SALU_CYCLE_1) | instskip(NEXT) | instid1(SALU_CYCLE_1)
	s_and_b32 s21, s21, exec_lo
	s_or_b32 s56, s22, s21
	s_branch .LBB31_2117
.LBB31_2120:
	s_or_b32 exec_lo, exec_lo, s0
	s_delay_alu instid0(SALU_CYCLE_1)
	s_or_b32 s0, s96, exec_lo
	s_or_not1_b32 s55, s43, exec_lo
.LBB31_2121:
	s_or_b32 exec_lo, exec_lo, s35
	s_mov_b32 s54, 0
	s_mov_b32 s43, s40
	s_and_saveexec_b32 s35, s55
	s_cbranch_execz .LBB31_3778
; %bb.2122:
	s_load_b512 s[4:19], s[2:3], 0x248
	v_mov_b32_e32 v3, 0
	s_and_b32 s54, s74, 0xff
	s_delay_alu instid0(SALU_CYCLE_1) | instskip(SKIP_1) | instid1(VALU_DEP_1)
	s_cmp_lt_i32 s54, 11
	s_wait_kmcnt 0x0
	v_add_nc_u64_e32 v[2:3], s[4:5], v[2:3]
	s_cbranch_scc1 .LBB31_3599
; %bb.2123:
	s_and_b32 s55, 0xffff, s54
	s_delay_alu instid0(SALU_CYCLE_1)
	s_cmp_gt_i32 s55, 25
	s_cbranch_scc0 .LBB31_3601
; %bb.2124:
	s_cmp_gt_i32 s55, 28
	s_cbranch_scc0 .LBB31_3603
; %bb.2125:
	;; [unrolled: 3-line block ×4, first 2 shown]
	s_mov_b32 s57, 0
	s_mov_b32 s43, -1
	s_cmp_eq_u32 s55, 46
	s_mov_b32 s56, 0
	s_cbranch_scc0 .LBB31_3696
; %bb.2128:
	v_mov_b32_e32 v1, 0
	s_mov_b32 s56, -1
	s_mov_b32 s43, 0
	global_store_b32 v[2:3], v1, off
	s_branch .LBB31_3696
.LBB31_2129:
	s_mov_b32 s6, -1
	s_mov_b32 s20, 0
.LBB31_2130:
                                        ; implicit-def: $vgpr4_vgpr5
.LBB31_2131:
	s_and_b32 vcc_lo, exec_lo, s21
	s_cbranch_vccz .LBB31_2135
; %bb.2132:
	s_cmp_eq_u32 s1, 44
	s_cbranch_scc0 .LBB31_2134
; %bb.2133:
	global_load_u8 v3, v[14:15], off
	s_mov_b32 s6, 0
	s_mov_b32 s20, -1
	s_wait_loadcnt 0x0
	v_cmp_ne_u32_e32 vcc_lo, 0, v3
	v_lshlrev_b32_e32 v0, 23, v3
	s_delay_alu instid0(VALU_DEP_1) | instskip(NEXT) | instid1(VALU_DEP_1)
	v_trunc_f32_e32 v0, v0
	v_mul_f32_e64 v1, 0x2f800000, |v0|
	s_delay_alu instid0(VALU_DEP_1) | instskip(NEXT) | instid1(VALU_DEP_1)
	v_floor_f32_e32 v1, v1
	v_fma_f32 v4, 0xcf800000, v1, |v0|
	v_ashrrev_i32_e32 v0, 31, v0
	v_cvt_u32_f32_e32 v5, v1
	s_delay_alu instid0(VALU_DEP_3) | instskip(NEXT) | instid1(VALU_DEP_2)
	v_cvt_u32_f32_e32 v4, v4
	v_dual_mov_b32 v1, v0 :: v_dual_bitop2_b32 v5, v5, v0 bitop3:0x14
	s_delay_alu instid0(VALU_DEP_2) | instskip(NEXT) | instid1(VALU_DEP_1)
	v_xor_b32_e32 v4, v4, v0
	v_sub_nc_u64_e32 v[0:1], v[4:5], v[0:1]
	s_delay_alu instid0(VALU_DEP_1)
	v_dual_cndmask_b32 v5, 0, v1 :: v_dual_cndmask_b32 v4, 0, v0
	s_branch .LBB31_2135
.LBB31_2134:
	s_mov_b32 s6, -1
                                        ; implicit-def: $vgpr4_vgpr5
.LBB31_2135:
	s_mov_b32 s21, 0
.LBB31_2136:
	s_delay_alu instid0(SALU_CYCLE_1)
	s_and_b32 vcc_lo, exec_lo, s21
	s_cbranch_vccz .LBB31_2140
; %bb.2137:
	s_cmp_eq_u32 s1, 29
	s_cbranch_scc0 .LBB31_2139
; %bb.2138:
	global_load_b64 v[4:5], v[14:15], off
	s_mov_b32 s6, 0
	s_mov_b32 s20, -1
	s_branch .LBB31_2140
.LBB31_2139:
	s_mov_b32 s6, -1
                                        ; implicit-def: $vgpr4_vgpr5
.LBB31_2140:
	s_mov_b32 s21, 0
.LBB31_2141:
	s_delay_alu instid0(SALU_CYCLE_1)
	s_and_b32 vcc_lo, exec_lo, s21
	s_cbranch_vccz .LBB31_2157
; %bb.2142:
	s_cmp_lt_i32 s1, 27
	s_cbranch_scc1 .LBB31_2145
; %bb.2143:
	s_cmp_gt_i32 s1, 27
	s_cbranch_scc0 .LBB31_2146
; %bb.2144:
	s_wait_loadcnt 0x0
	global_load_b32 v4, v[14:15], off
	v_mov_b32_e32 v5, 0
	s_mov_b32 s20, 0
	s_branch .LBB31_2147
.LBB31_2145:
	s_mov_b32 s20, -1
                                        ; implicit-def: $vgpr4_vgpr5
	s_branch .LBB31_2150
.LBB31_2146:
	s_mov_b32 s20, -1
                                        ; implicit-def: $vgpr4_vgpr5
.LBB31_2147:
	s_delay_alu instid0(SALU_CYCLE_1)
	s_and_not1_b32 vcc_lo, exec_lo, s20
	s_cbranch_vccnz .LBB31_2149
; %bb.2148:
	global_load_u16 v0, v[14:15], off
	s_mov_b32 s20, 0
	s_wait_loadcnt 0x1
	v_mov_b32_e32 v5, s20
	s_wait_loadcnt 0x0
	v_and_b32_e32 v4, 0xffff, v0
.LBB31_2149:
	s_mov_b32 s20, 0
.LBB31_2150:
	s_delay_alu instid0(SALU_CYCLE_1)
	s_and_not1_b32 vcc_lo, exec_lo, s20
	s_cbranch_vccnz .LBB31_2156
; %bb.2151:
	global_load_u8 v0, v[14:15], off
	s_mov_b32 s21, 0
	s_mov_b32 s20, exec_lo
	s_wait_loadcnt 0x0
	v_cmpx_lt_i16_e32 0x7f, v0
	s_xor_b32 s20, exec_lo, s20
	s_cbranch_execz .LBB31_2168
; %bb.2152:
	v_cmp_ne_u16_e32 vcc_lo, 0x80, v0
	s_and_b32 s21, vcc_lo, exec_lo
	s_and_not1_saveexec_b32 s20, s20
	s_cbranch_execnz .LBB31_2169
.LBB31_2153:
	s_or_b32 exec_lo, exec_lo, s20
	v_mov_b64_e32 v[4:5], 0
	s_and_saveexec_b32 s20, s21
	s_cbranch_execz .LBB31_2155
.LBB31_2154:
	v_and_b32_e32 v1, 0xffff, v0
	s_delay_alu instid0(VALU_DEP_1) | instskip(SKIP_1) | instid1(VALU_DEP_2)
	v_and_b32_e32 v3, 7, v1
	v_bfe_u32 v7, v1, 3, 4
	v_clz_i32_u32_e32 v4, v3
	s_delay_alu instid0(VALU_DEP_2) | instskip(NEXT) | instid1(VALU_DEP_2)
	v_cmp_eq_u32_e32 vcc_lo, 0, v7
	v_min_u32_e32 v4, 32, v4
	s_delay_alu instid0(VALU_DEP_1) | instskip(NEXT) | instid1(VALU_DEP_1)
	v_subrev_nc_u32_e32 v5, 28, v4
	v_dual_lshlrev_b32 v1, v5, v1 :: v_dual_sub_nc_u32 v4, 29, v4
	s_delay_alu instid0(VALU_DEP_1) | instskip(NEXT) | instid1(VALU_DEP_1)
	v_dual_lshlrev_b32 v0, 24, v0 :: v_dual_bitop2_b32 v1, 7, v1 bitop3:0x40
	v_cndmask_b32_e32 v1, v3, v1, vcc_lo
	s_delay_alu instid0(VALU_DEP_3) | instskip(NEXT) | instid1(VALU_DEP_3)
	v_cndmask_b32_e32 v4, v7, v4, vcc_lo
	v_and_b32_e32 v0, 0x80000000, v0
	s_delay_alu instid0(VALU_DEP_3) | instskip(NEXT) | instid1(VALU_DEP_3)
	v_lshlrev_b32_e32 v1, 20, v1
	v_lshl_add_u32 v3, v4, 23, 0x3b800000
	s_delay_alu instid0(VALU_DEP_1) | instskip(NEXT) | instid1(VALU_DEP_1)
	v_or3_b32 v0, v0, v3, v1
	v_trunc_f32_e32 v0, v0
	s_delay_alu instid0(VALU_DEP_1) | instskip(NEXT) | instid1(VALU_DEP_1)
	v_mul_f32_e64 v1, 0x2f800000, |v0|
	v_floor_f32_e32 v1, v1
	s_delay_alu instid0(VALU_DEP_1) | instskip(SKIP_2) | instid1(VALU_DEP_3)
	v_fma_f32 v3, 0xcf800000, v1, |v0|
	v_ashrrev_i32_e32 v0, 31, v0
	v_cvt_u32_f32_e32 v4, v1
	v_cvt_u32_f32_e32 v3, v3
	s_delay_alu instid0(VALU_DEP_3) | instskip(NEXT) | instid1(VALU_DEP_3)
	v_mov_b32_e32 v1, v0
	v_xor_b32_e32 v5, v4, v0
	s_delay_alu instid0(VALU_DEP_3) | instskip(NEXT) | instid1(VALU_DEP_1)
	v_xor_b32_e32 v4, v3, v0
	v_sub_nc_u64_e32 v[4:5], v[4:5], v[0:1]
.LBB31_2155:
	s_or_b32 exec_lo, exec_lo, s20
.LBB31_2156:
	s_mov_b32 s20, -1
.LBB31_2157:
	s_mov_b32 s21, 0
.LBB31_2158:
	s_delay_alu instid0(SALU_CYCLE_1)
	s_and_b32 vcc_lo, exec_lo, s21
	s_cbranch_vccz .LBB31_2189
; %bb.2159:
	s_cmp_gt_i32 s1, 22
	s_cbranch_scc0 .LBB31_2167
; %bb.2160:
	s_cmp_lt_i32 s1, 24
	s_cbranch_scc1 .LBB31_2170
; %bb.2161:
	s_cmp_gt_i32 s1, 24
	s_cbranch_scc0 .LBB31_2171
; %bb.2162:
	global_load_u8 v0, v[14:15], off
	s_mov_b32 s20, 0
	s_mov_b32 s7, exec_lo
	s_wait_loadcnt 0x0
	v_cmpx_lt_i16_e32 0x7f, v0
	s_xor_b32 s7, exec_lo, s7
	s_cbranch_execz .LBB31_2183
; %bb.2163:
	v_cmp_ne_u16_e32 vcc_lo, 0x80, v0
	s_and_b32 s20, vcc_lo, exec_lo
	s_and_not1_saveexec_b32 s7, s7
	s_cbranch_execnz .LBB31_2184
.LBB31_2164:
	s_or_b32 exec_lo, exec_lo, s7
	v_mov_b64_e32 v[4:5], 0
	s_and_saveexec_b32 s7, s20
	s_cbranch_execz .LBB31_2166
.LBB31_2165:
	v_and_b32_e32 v1, 0xffff, v0
	s_delay_alu instid0(VALU_DEP_1) | instskip(SKIP_1) | instid1(VALU_DEP_2)
	v_and_b32_e32 v3, 3, v1
	v_bfe_u32 v7, v1, 2, 5
	v_clz_i32_u32_e32 v4, v3
	s_delay_alu instid0(VALU_DEP_2) | instskip(NEXT) | instid1(VALU_DEP_2)
	v_cmp_eq_u32_e32 vcc_lo, 0, v7
	v_min_u32_e32 v4, 32, v4
	s_delay_alu instid0(VALU_DEP_1) | instskip(NEXT) | instid1(VALU_DEP_1)
	v_subrev_nc_u32_e32 v5, 29, v4
	v_dual_lshlrev_b32 v1, v5, v1 :: v_dual_sub_nc_u32 v4, 30, v4
	s_delay_alu instid0(VALU_DEP_1) | instskip(NEXT) | instid1(VALU_DEP_1)
	v_dual_lshlrev_b32 v0, 24, v0 :: v_dual_bitop2_b32 v1, 3, v1 bitop3:0x40
	v_cndmask_b32_e32 v1, v3, v1, vcc_lo
	s_delay_alu instid0(VALU_DEP_3) | instskip(NEXT) | instid1(VALU_DEP_3)
	v_cndmask_b32_e32 v4, v7, v4, vcc_lo
	v_and_b32_e32 v0, 0x80000000, v0
	s_delay_alu instid0(VALU_DEP_3) | instskip(NEXT) | instid1(VALU_DEP_3)
	v_lshlrev_b32_e32 v1, 21, v1
	v_lshl_add_u32 v3, v4, 23, 0x37800000
	s_delay_alu instid0(VALU_DEP_1) | instskip(NEXT) | instid1(VALU_DEP_1)
	v_or3_b32 v0, v0, v3, v1
	v_trunc_f32_e32 v0, v0
	s_delay_alu instid0(VALU_DEP_1) | instskip(NEXT) | instid1(VALU_DEP_1)
	v_mul_f32_e64 v1, 0x2f800000, |v0|
	v_floor_f32_e32 v1, v1
	s_delay_alu instid0(VALU_DEP_1) | instskip(SKIP_2) | instid1(VALU_DEP_3)
	v_fma_f32 v3, 0xcf800000, v1, |v0|
	v_ashrrev_i32_e32 v0, 31, v0
	v_cvt_u32_f32_e32 v4, v1
	v_cvt_u32_f32_e32 v3, v3
	s_delay_alu instid0(VALU_DEP_3) | instskip(NEXT) | instid1(VALU_DEP_3)
	v_mov_b32_e32 v1, v0
	v_xor_b32_e32 v5, v4, v0
	s_delay_alu instid0(VALU_DEP_3) | instskip(NEXT) | instid1(VALU_DEP_1)
	v_xor_b32_e32 v4, v3, v0
	v_sub_nc_u64_e32 v[4:5], v[4:5], v[0:1]
.LBB31_2166:
	s_or_b32 exec_lo, exec_lo, s7
	s_mov_b32 s7, 0
	s_branch .LBB31_2172
.LBB31_2167:
	s_mov_b32 s7, -1
                                        ; implicit-def: $vgpr4_vgpr5
	s_branch .LBB31_2178
.LBB31_2168:
	s_and_not1_saveexec_b32 s20, s20
	s_cbranch_execz .LBB31_2153
.LBB31_2169:
	v_cmp_ne_u16_e32 vcc_lo, 0, v0
	s_and_not1_b32 s21, s21, exec_lo
	s_and_b32 s22, vcc_lo, exec_lo
	s_delay_alu instid0(SALU_CYCLE_1)
	s_or_b32 s21, s21, s22
	s_or_b32 exec_lo, exec_lo, s20
	v_mov_b64_e32 v[4:5], 0
	s_and_saveexec_b32 s20, s21
	s_cbranch_execnz .LBB31_2154
	s_branch .LBB31_2155
.LBB31_2170:
	s_mov_b32 s7, -1
                                        ; implicit-def: $vgpr4_vgpr5
	s_branch .LBB31_2175
.LBB31_2171:
	s_mov_b32 s7, -1
                                        ; implicit-def: $vgpr4_vgpr5
.LBB31_2172:
	s_delay_alu instid0(SALU_CYCLE_1)
	s_and_b32 vcc_lo, exec_lo, s7
	s_cbranch_vccz .LBB31_2174
; %bb.2173:
	global_load_u8 v0, v[14:15], off
	s_wait_loadcnt 0x0
	v_lshlrev_b32_e32 v0, 24, v0
	s_delay_alu instid0(VALU_DEP_1) | instskip(NEXT) | instid1(VALU_DEP_1)
	v_and_b32_e32 v1, 0x7f000000, v0
	v_clz_i32_u32_e32 v3, v1
	v_add_nc_u32_e32 v5, 0x1000000, v1
	v_cmp_ne_u32_e32 vcc_lo, 0, v1
	s_delay_alu instid0(VALU_DEP_3) | instskip(NEXT) | instid1(VALU_DEP_1)
	v_min_u32_e32 v3, 32, v3
	v_sub_nc_u32_e64 v3, v3, 4 clamp
	s_delay_alu instid0(VALU_DEP_1) | instskip(NEXT) | instid1(VALU_DEP_1)
	v_dual_lshlrev_b32 v4, v3, v1 :: v_dual_lshlrev_b32 v3, 23, v3
	v_lshrrev_b32_e32 v4, 4, v4
	s_delay_alu instid0(VALU_DEP_1) | instskip(NEXT) | instid1(VALU_DEP_1)
	v_dual_sub_nc_u32 v3, v4, v3 :: v_dual_ashrrev_i32 v4, 8, v5
	v_add_nc_u32_e32 v3, 0x3c000000, v3
	s_delay_alu instid0(VALU_DEP_1) | instskip(NEXT) | instid1(VALU_DEP_1)
	v_and_or_b32 v3, 0x7f800000, v4, v3
	v_cndmask_b32_e32 v1, 0, v3, vcc_lo
	s_delay_alu instid0(VALU_DEP_1) | instskip(NEXT) | instid1(VALU_DEP_1)
	v_and_or_b32 v0, 0x80000000, v0, v1
	v_trunc_f32_e32 v0, v0
	s_delay_alu instid0(VALU_DEP_1) | instskip(NEXT) | instid1(VALU_DEP_1)
	v_mul_f32_e64 v1, 0x2f800000, |v0|
	v_floor_f32_e32 v1, v1
	s_delay_alu instid0(VALU_DEP_1) | instskip(SKIP_2) | instid1(VALU_DEP_3)
	v_fma_f32 v3, 0xcf800000, v1, |v0|
	v_ashrrev_i32_e32 v0, 31, v0
	v_cvt_u32_f32_e32 v4, v1
	v_cvt_u32_f32_e32 v3, v3
	s_delay_alu instid0(VALU_DEP_3) | instskip(NEXT) | instid1(VALU_DEP_3)
	v_mov_b32_e32 v1, v0
	v_xor_b32_e32 v5, v4, v0
	s_delay_alu instid0(VALU_DEP_3) | instskip(NEXT) | instid1(VALU_DEP_1)
	v_xor_b32_e32 v4, v3, v0
	v_sub_nc_u64_e32 v[4:5], v[4:5], v[0:1]
.LBB31_2174:
	s_mov_b32 s7, 0
.LBB31_2175:
	s_delay_alu instid0(SALU_CYCLE_1)
	s_and_not1_b32 vcc_lo, exec_lo, s7
	s_cbranch_vccnz .LBB31_2177
; %bb.2176:
	global_load_u8 v0, v[14:15], off
	s_wait_loadcnt 0x0
	v_lshlrev_b32_e32 v1, 25, v0
	v_lshlrev_b16 v0, 8, v0
	s_delay_alu instid0(VALU_DEP_2) | instskip(NEXT) | instid1(VALU_DEP_2)
	v_cmp_gt_u32_e32 vcc_lo, 0x8000000, v1
	v_and_or_b32 v4, 0x7f00, v0, 0.5
	v_lshrrev_b32_e32 v3, 4, v1
	v_bfe_i32 v0, v0, 0, 16
	s_delay_alu instid0(VALU_DEP_3) | instskip(NEXT) | instid1(VALU_DEP_3)
	v_add_f32_e32 v4, -0.5, v4
	v_or_b32_e32 v3, 0x70000000, v3
	s_delay_alu instid0(VALU_DEP_1) | instskip(NEXT) | instid1(VALU_DEP_1)
	v_mul_f32_e32 v3, 0x7800000, v3
	v_cndmask_b32_e32 v1, v3, v4, vcc_lo
	s_delay_alu instid0(VALU_DEP_1) | instskip(NEXT) | instid1(VALU_DEP_1)
	v_and_or_b32 v0, 0x80000000, v0, v1
	v_trunc_f32_e32 v0, v0
	s_delay_alu instid0(VALU_DEP_1) | instskip(NEXT) | instid1(VALU_DEP_1)
	v_mul_f32_e64 v1, 0x2f800000, |v0|
	v_floor_f32_e32 v1, v1
	s_delay_alu instid0(VALU_DEP_1) | instskip(SKIP_2) | instid1(VALU_DEP_3)
	v_fma_f32 v3, 0xcf800000, v1, |v0|
	v_ashrrev_i32_e32 v0, 31, v0
	v_cvt_u32_f32_e32 v4, v1
	v_cvt_u32_f32_e32 v3, v3
	s_delay_alu instid0(VALU_DEP_3) | instskip(NEXT) | instid1(VALU_DEP_3)
	v_mov_b32_e32 v1, v0
	v_xor_b32_e32 v5, v4, v0
	s_delay_alu instid0(VALU_DEP_3) | instskip(NEXT) | instid1(VALU_DEP_1)
	v_xor_b32_e32 v4, v3, v0
	v_sub_nc_u64_e32 v[4:5], v[4:5], v[0:1]
.LBB31_2177:
	s_mov_b32 s7, 0
	s_mov_b32 s20, -1
.LBB31_2178:
	s_and_not1_b32 vcc_lo, exec_lo, s7
	s_mov_b32 s7, 0
	s_cbranch_vccnz .LBB31_2189
; %bb.2179:
	s_cmp_gt_i32 s1, 14
	s_cbranch_scc0 .LBB31_2182
; %bb.2180:
	s_cmp_eq_u32 s1, 15
	s_cbranch_scc0 .LBB31_2185
; %bb.2181:
	global_load_u16 v0, v[14:15], off
	s_mov_b32 s6, 0
	s_mov_b32 s20, -1
	s_wait_loadcnt 0x0
	v_lshlrev_b32_e32 v0, 16, v0
	s_delay_alu instid0(VALU_DEP_1) | instskip(NEXT) | instid1(VALU_DEP_1)
	v_trunc_f32_e32 v0, v0
	v_mul_f32_e64 v1, 0x2f800000, |v0|
	s_delay_alu instid0(VALU_DEP_1) | instskip(NEXT) | instid1(VALU_DEP_1)
	v_floor_f32_e32 v1, v1
	v_fma_f32 v3, 0xcf800000, v1, |v0|
	v_ashrrev_i32_e32 v0, 31, v0
	v_cvt_u32_f32_e32 v4, v1
	s_delay_alu instid0(VALU_DEP_3) | instskip(NEXT) | instid1(VALU_DEP_3)
	v_cvt_u32_f32_e32 v3, v3
	v_mov_b32_e32 v1, v0
	s_delay_alu instid0(VALU_DEP_3) | instskip(NEXT) | instid1(VALU_DEP_3)
	v_xor_b32_e32 v5, v4, v0
	v_xor_b32_e32 v4, v3, v0
	s_delay_alu instid0(VALU_DEP_1)
	v_sub_nc_u64_e32 v[4:5], v[4:5], v[0:1]
	s_branch .LBB31_2187
.LBB31_2182:
	s_mov_b32 s7, -1
	s_branch .LBB31_2186
.LBB31_2183:
	s_and_not1_saveexec_b32 s7, s7
	s_cbranch_execz .LBB31_2164
.LBB31_2184:
	v_cmp_ne_u16_e32 vcc_lo, 0, v0
	s_and_not1_b32 s20, s20, exec_lo
	s_and_b32 s21, vcc_lo, exec_lo
	s_delay_alu instid0(SALU_CYCLE_1)
	s_or_b32 s20, s20, s21
	s_or_b32 exec_lo, exec_lo, s7
	v_mov_b64_e32 v[4:5], 0
	s_and_saveexec_b32 s7, s20
	s_cbranch_execnz .LBB31_2165
	s_branch .LBB31_2166
.LBB31_2185:
	s_mov_b32 s6, -1
.LBB31_2186:
                                        ; implicit-def: $vgpr4_vgpr5
.LBB31_2187:
	s_and_b32 vcc_lo, exec_lo, s7
	s_mov_b32 s7, 0
	s_cbranch_vccz .LBB31_2189
; %bb.2188:
	s_cmp_lg_u32 s1, 11
	s_mov_b32 s7, -1
	s_cselect_b32 s1, -1, 0
	s_and_not1_b32 s6, s6, exec_lo
	s_and_b32 s1, s1, exec_lo
	s_delay_alu instid0(SALU_CYCLE_1)
	s_or_b32 s6, s6, s1
.LBB31_2189:
	s_mov_b32 s1, 0
.LBB31_2190:
	s_delay_alu instid0(SALU_CYCLE_1)
	s_and_b32 s54, s1, exec_lo
	s_and_not1_b32 s1, s35, exec_lo
	s_and_b32 s6, s6, exec_lo
	s_and_b32 s43, s20, exec_lo
	;; [unrolled: 1-line block ×3, first 2 shown]
	s_or_b32 s56, s1, s6
.LBB31_2191:
	s_wait_xcnt 0x0
	s_or_b32 exec_lo, exec_lo, s42
	s_delay_alu instid0(SALU_CYCLE_1)
	s_and_not1_b32 s1, s35, exec_lo
	s_and_b32 s6, s56, exec_lo
	s_and_b32 s43, s43, exec_lo
	;; [unrolled: 1-line block ×4, first 2 shown]
	s_or_b32 s35, s1, s6
.LBB31_2192:
	s_or_b32 exec_lo, exec_lo, s41
	s_delay_alu instid0(SALU_CYCLE_1)
	s_and_not1_b32 s1, s40, exec_lo
	s_and_b32 s6, s95, exec_lo
	s_and_not1_b32 s7, s79, exec_lo
	s_or_b32 s40, s1, s6
	s_and_not1_b32 s1, s96, exec_lo
	s_and_b32 s6, s63, exec_lo
	s_and_b32 s20, s97, exec_lo
	s_or_b32 s96, s1, s6
	s_and_not1_b32 s1, s93, exec_lo
	s_and_b32 s6, s61, exec_lo
	s_or_b32 s79, s7, s20
	s_and_not1_b32 s7, s94, exec_lo
	;; [unrolled: 3-line block ×7, first 2 shown]
	s_and_b32 s6, s35, exec_lo
	s_or_b32 s90, s7, s20
	s_and_b32 s43, s43, exec_lo
	s_and_b32 s41, s54, exec_lo
	;; [unrolled: 1-line block ×3, first 2 shown]
	s_or_b32 s88, s1, s6
.LBB31_2193:
	s_or_b32 exec_lo, exec_lo, s98
	s_delay_alu instid0(SALU_CYCLE_1)
	s_and_not1_b32 s1, s64, exec_lo
	s_and_b32 s6, s40, exec_lo
	s_and_not1_b32 s7, s39, exec_lo
	s_or_b32 s64, s1, s6
	s_and_not1_b32 s1, s65, exec_lo
	s_and_b32 s6, s96, exec_lo
	s_and_b32 s20, s79, exec_lo
	s_or_b32 s65, s1, s6
	s_and_not1_b32 s1, s80, exec_lo
	s_and_b32 s6, s93, exec_lo
	s_or_b32 s39, s7, s20
	s_and_not1_b32 s7, s81, exec_lo
	;; [unrolled: 3-line block ×7, first 2 shown]
	s_and_b32 s6, s88, exec_lo
	s_or_b32 s85, s7, s20
	s_and_b32 s35, s43, exec_lo
	s_and_b32 s41, s41, exec_lo
	;; [unrolled: 1-line block ×3, first 2 shown]
	s_or_b32 s86, s1, s6
	s_or_b32 exec_lo, exec_lo, s87
	s_mov_b32 s1, 0
	s_and_saveexec_b32 s6, s86
	s_cbranch_execz .LBB31_661
.LBB31_2194:
	s_mov_b32 s1, exec_lo
	s_and_not1_b32 s51, s51, exec_lo
	s_trap 2
	s_or_b32 exec_lo, exec_lo, s6
	s_and_saveexec_b32 s6, s51
	s_delay_alu instid0(SALU_CYCLE_1)
	s_xor_b32 s6, exec_lo, s6
	s_cbranch_execnz .LBB31_662
.LBB31_2195:
	s_or_b32 exec_lo, exec_lo, s6
	s_and_saveexec_b32 s6, s41
	s_cbranch_execz .LBB31_2241
.LBB31_2196:
	s_sext_i32_i16 s7, s0
	s_delay_alu instid0(SALU_CYCLE_1)
	s_cmp_lt_i32 s7, 5
	s_cbranch_scc1 .LBB31_2201
; %bb.2197:
	s_cmp_lt_i32 s7, 8
	s_cbranch_scc1 .LBB31_2202
; %bb.2198:
	;; [unrolled: 3-line block ×3, first 2 shown]
	s_cmp_gt_i32 s7, 9
	s_cbranch_scc0 .LBB31_2204
; %bb.2200:
	s_wait_loadcnt 0x0
	global_load_b64 v[0:1], v[14:15], off
	s_mov_b32 s7, 0
	s_wait_loadcnt 0x0
	v_trunc_f64_e32 v[0:1], v[0:1]
	s_delay_alu instid0(VALU_DEP_1) | instskip(NEXT) | instid1(VALU_DEP_1)
	v_ldexp_f64 v[4:5], v[0:1], 0xffffffe0
	v_floor_f64_e32 v[4:5], v[4:5]
	s_delay_alu instid0(VALU_DEP_1) | instskip(SKIP_1) | instid1(VALU_DEP_2)
	v_fmamk_f64 v[0:1], v[4:5], 0xc1f00000, v[0:1]
	v_cvt_i32_f64_e32 v5, v[4:5]
	v_cvt_u32_f64_e32 v4, v[0:1]
	s_branch .LBB31_2205
.LBB31_2201:
                                        ; implicit-def: $vgpr4_vgpr5
	s_branch .LBB31_2222
.LBB31_2202:
                                        ; implicit-def: $vgpr4_vgpr5
	s_branch .LBB31_2211
.LBB31_2203:
	s_mov_b32 s7, -1
                                        ; implicit-def: $vgpr4_vgpr5
	s_branch .LBB31_2208
.LBB31_2204:
	s_mov_b32 s7, -1
                                        ; implicit-def: $vgpr4_vgpr5
.LBB31_2205:
	s_delay_alu instid0(SALU_CYCLE_1)
	s_and_not1_b32 vcc_lo, exec_lo, s7
	s_cbranch_vccnz .LBB31_2207
; %bb.2206:
	s_wait_loadcnt 0x0
	global_load_b32 v0, v[14:15], off
	s_wait_loadcnt 0x0
	v_trunc_f32_e32 v0, v0
	s_delay_alu instid0(VALU_DEP_1) | instskip(NEXT) | instid1(VALU_DEP_1)
	v_mul_f32_e64 v1, 0x2f800000, |v0|
	v_floor_f32_e32 v1, v1
	s_delay_alu instid0(VALU_DEP_1) | instskip(SKIP_2) | instid1(VALU_DEP_3)
	v_fma_f32 v3, 0xcf800000, v1, |v0|
	v_ashrrev_i32_e32 v0, 31, v0
	v_cvt_u32_f32_e32 v4, v1
	v_cvt_u32_f32_e32 v3, v3
	s_delay_alu instid0(VALU_DEP_3) | instskip(NEXT) | instid1(VALU_DEP_3)
	v_mov_b32_e32 v1, v0
	v_xor_b32_e32 v5, v4, v0
	s_delay_alu instid0(VALU_DEP_3) | instskip(NEXT) | instid1(VALU_DEP_1)
	v_xor_b32_e32 v4, v3, v0
	v_sub_nc_u64_e32 v[4:5], v[4:5], v[0:1]
.LBB31_2207:
	s_mov_b32 s7, 0
.LBB31_2208:
	s_delay_alu instid0(SALU_CYCLE_1)
	s_and_not1_b32 vcc_lo, exec_lo, s7
	s_cbranch_vccnz .LBB31_2210
; %bb.2209:
	s_wait_loadcnt 0x0
	global_load_b32 v0, v[14:15], off
	s_wait_loadcnt 0x0
	v_cvt_f32_f16_e32 v0, v0
	s_delay_alu instid0(VALU_DEP_1) | instskip(NEXT) | instid1(VALU_DEP_1)
	v_cvt_i32_f32_e32 v4, v0
	v_ashrrev_i32_e32 v5, 31, v4
.LBB31_2210:
	s_cbranch_execnz .LBB31_2221
.LBB31_2211:
	s_sext_i32_i16 s7, s0
	s_delay_alu instid0(SALU_CYCLE_1)
	s_cmp_lt_i32 s7, 6
	s_cbranch_scc1 .LBB31_2214
; %bb.2212:
	s_cmp_gt_i32 s7, 6
	s_cbranch_scc0 .LBB31_2215
; %bb.2213:
	s_wait_loadcnt 0x0
	global_load_b64 v[0:1], v[14:15], off
	s_mov_b32 s7, 0
	s_wait_loadcnt 0x0
	v_trunc_f64_e32 v[0:1], v[0:1]
	s_delay_alu instid0(VALU_DEP_1) | instskip(NEXT) | instid1(VALU_DEP_1)
	v_ldexp_f64 v[4:5], v[0:1], 0xffffffe0
	v_floor_f64_e32 v[4:5], v[4:5]
	s_delay_alu instid0(VALU_DEP_1) | instskip(SKIP_1) | instid1(VALU_DEP_2)
	v_fmamk_f64 v[0:1], v[4:5], 0xc1f00000, v[0:1]
	v_cvt_i32_f64_e32 v5, v[4:5]
	v_cvt_u32_f64_e32 v4, v[0:1]
	s_branch .LBB31_2216
.LBB31_2214:
	s_mov_b32 s7, -1
                                        ; implicit-def: $vgpr4_vgpr5
	s_branch .LBB31_2219
.LBB31_2215:
	s_mov_b32 s7, -1
                                        ; implicit-def: $vgpr4_vgpr5
.LBB31_2216:
	s_delay_alu instid0(SALU_CYCLE_1)
	s_and_not1_b32 vcc_lo, exec_lo, s7
	s_cbranch_vccnz .LBB31_2218
; %bb.2217:
	s_wait_loadcnt 0x0
	global_load_b32 v0, v[14:15], off
	s_wait_loadcnt 0x0
	v_trunc_f32_e32 v0, v0
	s_delay_alu instid0(VALU_DEP_1) | instskip(NEXT) | instid1(VALU_DEP_1)
	v_mul_f32_e64 v1, 0x2f800000, |v0|
	v_floor_f32_e32 v1, v1
	s_delay_alu instid0(VALU_DEP_1) | instskip(SKIP_2) | instid1(VALU_DEP_3)
	v_fma_f32 v3, 0xcf800000, v1, |v0|
	v_ashrrev_i32_e32 v0, 31, v0
	v_cvt_u32_f32_e32 v4, v1
	v_cvt_u32_f32_e32 v3, v3
	s_delay_alu instid0(VALU_DEP_3) | instskip(NEXT) | instid1(VALU_DEP_3)
	v_mov_b32_e32 v1, v0
	v_xor_b32_e32 v5, v4, v0
	s_delay_alu instid0(VALU_DEP_3) | instskip(NEXT) | instid1(VALU_DEP_1)
	v_xor_b32_e32 v4, v3, v0
	v_sub_nc_u64_e32 v[4:5], v[4:5], v[0:1]
.LBB31_2218:
	s_mov_b32 s7, 0
.LBB31_2219:
	s_delay_alu instid0(SALU_CYCLE_1)
	s_and_not1_b32 vcc_lo, exec_lo, s7
	s_cbranch_vccnz .LBB31_2221
; %bb.2220:
	s_wait_loadcnt 0x0
	global_load_u16 v0, v[14:15], off
	s_wait_loadcnt 0x0
	v_cvt_f32_f16_e32 v0, v0
	s_delay_alu instid0(VALU_DEP_1) | instskip(NEXT) | instid1(VALU_DEP_1)
	v_cvt_i32_f32_e32 v4, v0
	v_ashrrev_i32_e32 v5, 31, v4
.LBB31_2221:
	s_cbranch_execnz .LBB31_2240
.LBB31_2222:
	s_sext_i32_i16 s7, s0
	s_delay_alu instid0(SALU_CYCLE_1)
	s_cmp_lt_i32 s7, 2
	s_cbranch_scc1 .LBB31_2226
; %bb.2223:
	s_cmp_lt_i32 s7, 3
	s_cbranch_scc1 .LBB31_2227
; %bb.2224:
	s_cmp_gt_i32 s7, 3
	s_cbranch_scc0 .LBB31_2228
; %bb.2225:
	s_wait_loadcnt 0x0
	global_load_b64 v[4:5], v[14:15], off
	s_mov_b32 s7, 0
	s_branch .LBB31_2229
.LBB31_2226:
                                        ; implicit-def: $vgpr4_vgpr5
	s_branch .LBB31_2235
.LBB31_2227:
	s_mov_b32 s7, -1
                                        ; implicit-def: $vgpr4_vgpr5
	s_branch .LBB31_2232
.LBB31_2228:
	s_mov_b32 s7, -1
                                        ; implicit-def: $vgpr4_vgpr5
.LBB31_2229:
	s_delay_alu instid0(SALU_CYCLE_1)
	s_and_not1_b32 vcc_lo, exec_lo, s7
	s_cbranch_vccnz .LBB31_2231
; %bb.2230:
	s_wait_loadcnt 0x0
	global_load_b32 v4, v[14:15], off
	s_wait_loadcnt 0x0
	v_ashrrev_i32_e32 v5, 31, v4
.LBB31_2231:
	s_mov_b32 s7, 0
.LBB31_2232:
	s_delay_alu instid0(SALU_CYCLE_1)
	s_and_not1_b32 vcc_lo, exec_lo, s7
	s_cbranch_vccnz .LBB31_2234
; %bb.2233:
	s_wait_loadcnt 0x0
	global_load_u16 v0, v[14:15], off
	s_wait_loadcnt 0x0
	v_bfe_i32 v4, v0, 0, 16
	s_delay_alu instid0(VALU_DEP_1)
	v_ashrrev_i32_e32 v5, 31, v4
.LBB31_2234:
	s_cbranch_execnz .LBB31_2240
.LBB31_2235:
	s_sext_i32_i16 s0, s0
	s_delay_alu instid0(SALU_CYCLE_1)
	s_cmp_gt_i32 s0, 0
	s_mov_b32 s0, 0
	s_cbranch_scc0 .LBB31_2237
; %bb.2236:
	s_wait_loadcnt 0x0
	global_load_i8 v0, v[14:15], off
	s_wait_loadcnt 0x0
	v_bfe_i32 v4, v0, 0, 16
	s_delay_alu instid0(VALU_DEP_1)
	v_ashrrev_i32_e32 v5, 31, v4
	s_branch .LBB31_2238
.LBB31_2237:
	s_mov_b32 s0, -1
                                        ; implicit-def: $vgpr4_vgpr5
.LBB31_2238:
	s_delay_alu instid0(SALU_CYCLE_1)
	s_and_not1_b32 vcc_lo, exec_lo, s0
	s_cbranch_vccnz .LBB31_2240
; %bb.2239:
	s_wait_loadcnt 0x0
	global_load_u8 v0, v[14:15], off
	s_mov_b32 s0, 0
	s_delay_alu instid0(SALU_CYCLE_1)
	v_mov_b32_e32 v5, s0
	s_wait_loadcnt 0x0
	v_and_b32_e32 v4, 0xffff, v0
.LBB31_2240:
	s_or_b32 s35, s35, exec_lo
.LBB31_2241:
	s_wait_xcnt 0x0
	s_or_b32 exec_lo, exec_lo, s6
	s_mov_b32 s21, 0
	s_mov_b32 s20, 0
	s_mov_b32 s7, 0
                                        ; implicit-def: $sgpr0
                                        ; implicit-def: $vgpr14_vgpr15
                                        ; implicit-def: $vgpr0_vgpr1
	s_and_saveexec_b32 s6, s35
	s_cbranch_execz .LBB31_2249
; %bb.2242:
	s_load_b512 s[8:23], s[2:3], 0x248
	s_wait_loadcnt 0x0
	v_mov_b32_e32 v11, 0
	s_and_b32 s0, s70, 0xff
	s_delay_alu instid0(SALU_CYCLE_1) | instskip(SKIP_1) | instid1(VALU_DEP_1)
	s_cmp_lt_i32 s0, 11
	s_wait_kmcnt 0x0
	v_add_nc_u64_e32 v[14:15], s[12:13], v[10:11]
	s_cbranch_scc1 .LBB31_2252
; %bb.2243:
	s_and_b32 s7, 0xffff, s0
	s_mov_b32 s9, 0
	s_cmp_gt_i32 s7, 25
	s_cbranch_scc0 .LBB31_2253
; %bb.2244:
	s_cmp_gt_i32 s7, 28
	s_cbranch_scc0 .LBB31_2254
; %bb.2245:
	;; [unrolled: 3-line block ×4, first 2 shown]
	s_cmp_eq_u32 s7, 46
	s_mov_b32 s21, 0
	s_cbranch_scc0 .LBB31_2257
; %bb.2248:
	global_load_b32 v0, v[14:15], off
	s_mov_b32 s8, 0
	s_mov_b32 s20, -1
	s_wait_loadcnt 0x0
	v_lshlrev_b32_e32 v0, 16, v0
	s_delay_alu instid0(VALU_DEP_1) | instskip(NEXT) | instid1(VALU_DEP_1)
	v_trunc_f32_e32 v0, v0
	v_mul_f32_e64 v1, 0x2f800000, |v0|
	s_delay_alu instid0(VALU_DEP_1) | instskip(NEXT) | instid1(VALU_DEP_1)
	v_floor_f32_e32 v1, v1
	v_fma_f32 v3, 0xcf800000, v1, |v0|
	v_ashrrev_i32_e32 v0, 31, v0
	v_cvt_u32_f32_e32 v7, v1
	s_delay_alu instid0(VALU_DEP_3) | instskip(NEXT) | instid1(VALU_DEP_2)
	v_cvt_u32_f32_e32 v3, v3
	v_dual_mov_b32 v1, v0 :: v_dual_bitop2_b32 v11, v7, v0 bitop3:0x14
	s_delay_alu instid0(VALU_DEP_2) | instskip(NEXT) | instid1(VALU_DEP_1)
	v_xor_b32_e32 v10, v3, v0
	v_sub_nc_u64_e32 v[0:1], v[10:11], v[0:1]
	s_branch .LBB31_2259
.LBB31_2249:
	s_or_b32 exec_lo, exec_lo, s6
	s_and_saveexec_b32 s6, s85
	s_cbranch_execnz .LBB31_2318
.LBB31_2250:
	s_or_b32 exec_lo, exec_lo, s6
	s_and_saveexec_b32 s6, s21
	s_delay_alu instid0(SALU_CYCLE_1)
	s_xor_b32 s6, exec_lo, s6
	s_cbranch_execz .LBB31_2319
.LBB31_2251:
	s_wait_loadcnt 0x0
	global_load_u8 v0, v[14:15], off
	s_mov_b32 s8, 0
	s_or_b32 s7, s7, exec_lo
	v_mov_b32_e32 v1, s8
	s_wait_loadcnt 0x0
	v_cmp_ne_u16_e32 vcc_lo, 0, v0
	v_cndmask_b32_e64 v0, 0, 1, vcc_lo
	s_wait_xcnt 0x0
	s_or_b32 exec_lo, exec_lo, s6
	s_and_saveexec_b32 s6, s20
	s_cbranch_execz .LBB31_2365
	s_branch .LBB31_2320
.LBB31_2252:
	s_mov_b32 s21, -1
	s_mov_b32 s20, 0
	s_mov_b32 s9, 0
	;; [unrolled: 1-line block ×3, first 2 shown]
                                        ; implicit-def: $vgpr0_vgpr1
	s_branch .LBB31_2317
.LBB31_2253:
	s_mov_b32 s20, 0
	s_mov_b32 s8, s85
                                        ; implicit-def: $vgpr0_vgpr1
	s_cbranch_execnz .LBB31_2286
	s_branch .LBB31_2316
.LBB31_2254:
	s_mov_b32 s21, -1
	s_mov_b32 s20, 0
	s_mov_b32 s8, s85
                                        ; implicit-def: $vgpr0_vgpr1
	s_branch .LBB31_2269
.LBB31_2255:
	s_mov_b32 s21, -1
	s_mov_b32 s20, 0
	s_mov_b32 s8, s85
                                        ; implicit-def: $vgpr0_vgpr1
	s_branch .LBB31_2264
.LBB31_2256:
	s_mov_b32 s21, -1
	s_mov_b32 s20, 0
	s_mov_b32 s8, s85
	s_branch .LBB31_2258
.LBB31_2257:
	s_mov_b32 s8, -1
	s_mov_b32 s20, 0
.LBB31_2258:
                                        ; implicit-def: $vgpr0_vgpr1
.LBB31_2259:
	s_and_b32 vcc_lo, exec_lo, s21
	s_cbranch_vccz .LBB31_2263
; %bb.2260:
	s_cmp_eq_u32 s7, 44
	s_cbranch_scc0 .LBB31_2262
; %bb.2261:
	global_load_u8 v3, v[14:15], off
	s_mov_b32 s8, 0
	s_mov_b32 s20, -1
	s_wait_loadcnt 0x0
	v_cmp_ne_u32_e32 vcc_lo, 0, v3
	v_lshlrev_b32_e32 v0, 23, v3
	s_delay_alu instid0(VALU_DEP_1) | instskip(NEXT) | instid1(VALU_DEP_1)
	v_trunc_f32_e32 v0, v0
	v_mul_f32_e64 v1, 0x2f800000, |v0|
	s_delay_alu instid0(VALU_DEP_1) | instskip(NEXT) | instid1(VALU_DEP_1)
	v_floor_f32_e32 v1, v1
	v_fma_f32 v7, 0xcf800000, v1, |v0|
	v_ashrrev_i32_e32 v0, 31, v0
	v_cvt_u32_f32_e32 v9, v1
	s_delay_alu instid0(VALU_DEP_3) | instskip(NEXT) | instid1(VALU_DEP_2)
	v_cvt_u32_f32_e32 v7, v7
	v_dual_mov_b32 v1, v0 :: v_dual_bitop2_b32 v11, v9, v0 bitop3:0x14
	s_delay_alu instid0(VALU_DEP_2) | instskip(NEXT) | instid1(VALU_DEP_1)
	v_xor_b32_e32 v10, v7, v0
	v_sub_nc_u64_e32 v[0:1], v[10:11], v[0:1]
	s_delay_alu instid0(VALU_DEP_1)
	v_dual_cndmask_b32 v1, 0, v1 :: v_dual_cndmask_b32 v0, 0, v0
	s_branch .LBB31_2263
.LBB31_2262:
	s_mov_b32 s8, -1
                                        ; implicit-def: $vgpr0_vgpr1
.LBB31_2263:
	s_mov_b32 s21, 0
.LBB31_2264:
	s_delay_alu instid0(SALU_CYCLE_1)
	s_and_b32 vcc_lo, exec_lo, s21
	s_cbranch_vccz .LBB31_2268
; %bb.2265:
	s_cmp_eq_u32 s7, 29
	s_cbranch_scc0 .LBB31_2267
; %bb.2266:
	global_load_b64 v[0:1], v[14:15], off
	s_mov_b32 s8, 0
	s_mov_b32 s20, -1
	s_branch .LBB31_2268
.LBB31_2267:
	s_mov_b32 s8, -1
                                        ; implicit-def: $vgpr0_vgpr1
.LBB31_2268:
	s_mov_b32 s21, 0
.LBB31_2269:
	s_delay_alu instid0(SALU_CYCLE_1)
	s_and_b32 vcc_lo, exec_lo, s21
	s_cbranch_vccz .LBB31_2285
; %bb.2270:
	s_cmp_lt_i32 s7, 27
	s_cbranch_scc1 .LBB31_2273
; %bb.2271:
	s_cmp_gt_i32 s7, 27
	s_cbranch_scc0 .LBB31_2274
; %bb.2272:
	s_wait_loadcnt 0x0
	global_load_b32 v0, v[14:15], off
	v_mov_b32_e32 v1, 0
	s_mov_b32 s20, 0
	s_branch .LBB31_2275
.LBB31_2273:
	s_mov_b32 s20, -1
                                        ; implicit-def: $vgpr0_vgpr1
	s_branch .LBB31_2278
.LBB31_2274:
	s_mov_b32 s20, -1
                                        ; implicit-def: $vgpr0_vgpr1
.LBB31_2275:
	s_delay_alu instid0(SALU_CYCLE_1)
	s_and_not1_b32 vcc_lo, exec_lo, s20
	s_cbranch_vccnz .LBB31_2277
; %bb.2276:
	s_wait_loadcnt 0x0
	global_load_u16 v0, v[14:15], off
	s_mov_b32 s20, 0
	s_delay_alu instid0(SALU_CYCLE_1)
	v_mov_b32_e32 v1, s20
	s_wait_loadcnt 0x0
	v_and_b32_e32 v0, 0xffff, v0
.LBB31_2277:
	s_mov_b32 s20, 0
.LBB31_2278:
	s_delay_alu instid0(SALU_CYCLE_1)
	s_and_not1_b32 vcc_lo, exec_lo, s20
	s_cbranch_vccnz .LBB31_2284
; %bb.2279:
	global_load_u8 v3, v[14:15], off
	s_mov_b32 s21, 0
	s_mov_b32 s20, exec_lo
	s_wait_loadcnt 0x0
	v_cmpx_lt_i16_e32 0x7f, v3
	s_xor_b32 s20, exec_lo, s20
	s_cbranch_execz .LBB31_2295
; %bb.2280:
	v_cmp_ne_u16_e32 vcc_lo, 0x80, v3
	s_and_b32 s21, vcc_lo, exec_lo
	s_and_not1_saveexec_b32 s20, s20
	s_cbranch_execnz .LBB31_2296
.LBB31_2281:
	s_or_b32 exec_lo, exec_lo, s20
	v_mov_b64_e32 v[0:1], 0
	s_and_saveexec_b32 s20, s21
	s_cbranch_execz .LBB31_2283
.LBB31_2282:
	v_and_b32_e32 v0, 0xffff, v3
	s_delay_alu instid0(VALU_DEP_1) | instskip(SKIP_1) | instid1(VALU_DEP_2)
	v_and_b32_e32 v1, 7, v0
	v_bfe_u32 v10, v0, 3, 4
	v_clz_i32_u32_e32 v7, v1
	s_delay_alu instid0(VALU_DEP_2) | instskip(NEXT) | instid1(VALU_DEP_2)
	v_cmp_eq_u32_e32 vcc_lo, 0, v10
	v_min_u32_e32 v7, 32, v7
	s_delay_alu instid0(VALU_DEP_1) | instskip(NEXT) | instid1(VALU_DEP_1)
	v_subrev_nc_u32_e32 v9, 28, v7
	v_dual_lshlrev_b32 v0, v9, v0 :: v_dual_sub_nc_u32 v7, 29, v7
	s_delay_alu instid0(VALU_DEP_1) | instskip(NEXT) | instid1(VALU_DEP_1)
	v_dual_lshlrev_b32 v3, 24, v3 :: v_dual_bitop2_b32 v0, 7, v0 bitop3:0x40
	v_dual_cndmask_b32 v0, v1, v0 :: v_dual_cndmask_b32 v7, v10, v7
	s_delay_alu instid0(VALU_DEP_2) | instskip(NEXT) | instid1(VALU_DEP_2)
	v_and_b32_e32 v1, 0x80000000, v3
	v_lshlrev_b32_e32 v0, 20, v0
	s_delay_alu instid0(VALU_DEP_3) | instskip(NEXT) | instid1(VALU_DEP_1)
	v_lshl_add_u32 v3, v7, 23, 0x3b800000
	v_or3_b32 v0, v1, v3, v0
	s_delay_alu instid0(VALU_DEP_1) | instskip(NEXT) | instid1(VALU_DEP_1)
	v_trunc_f32_e32 v0, v0
	v_mul_f32_e64 v1, 0x2f800000, |v0|
	s_delay_alu instid0(VALU_DEP_1) | instskip(NEXT) | instid1(VALU_DEP_1)
	v_floor_f32_e32 v1, v1
	v_fma_f32 v3, 0xcf800000, v1, |v0|
	v_ashrrev_i32_e32 v0, 31, v0
	v_cvt_u32_f32_e32 v7, v1
	s_delay_alu instid0(VALU_DEP_3) | instskip(NEXT) | instid1(VALU_DEP_2)
	v_cvt_u32_f32_e32 v3, v3
	v_dual_mov_b32 v1, v0 :: v_dual_bitop2_b32 v11, v7, v0 bitop3:0x14
	s_delay_alu instid0(VALU_DEP_2) | instskip(NEXT) | instid1(VALU_DEP_1)
	v_xor_b32_e32 v10, v3, v0
	v_sub_nc_u64_e32 v[0:1], v[10:11], v[0:1]
.LBB31_2283:
	s_or_b32 exec_lo, exec_lo, s20
.LBB31_2284:
	s_mov_b32 s20, -1
.LBB31_2285:
	s_branch .LBB31_2316
.LBB31_2286:
	s_cmp_gt_i32 s7, 22
	s_cbranch_scc0 .LBB31_2294
; %bb.2287:
	s_cmp_lt_i32 s7, 24
	s_cbranch_scc1 .LBB31_2297
; %bb.2288:
	s_cmp_gt_i32 s7, 24
	s_cbranch_scc0 .LBB31_2298
; %bb.2289:
	global_load_u8 v3, v[14:15], off
	s_mov_b32 s20, 0
	s_mov_b32 s9, exec_lo
	s_wait_loadcnt 0x0
	v_cmpx_lt_i16_e32 0x7f, v3
	s_xor_b32 s9, exec_lo, s9
	s_cbranch_execz .LBB31_2310
; %bb.2290:
	v_cmp_ne_u16_e32 vcc_lo, 0x80, v3
	s_and_b32 s20, vcc_lo, exec_lo
	s_and_not1_saveexec_b32 s9, s9
	s_cbranch_execnz .LBB31_2311
.LBB31_2291:
	s_or_b32 exec_lo, exec_lo, s9
	v_mov_b64_e32 v[0:1], 0
	s_and_saveexec_b32 s9, s20
	s_cbranch_execz .LBB31_2293
.LBB31_2292:
	v_and_b32_e32 v0, 0xffff, v3
	s_delay_alu instid0(VALU_DEP_1) | instskip(SKIP_1) | instid1(VALU_DEP_2)
	v_and_b32_e32 v1, 3, v0
	v_bfe_u32 v10, v0, 2, 5
	v_clz_i32_u32_e32 v7, v1
	s_delay_alu instid0(VALU_DEP_2) | instskip(NEXT) | instid1(VALU_DEP_2)
	v_cmp_eq_u32_e32 vcc_lo, 0, v10
	v_min_u32_e32 v7, 32, v7
	s_delay_alu instid0(VALU_DEP_1) | instskip(NEXT) | instid1(VALU_DEP_1)
	v_subrev_nc_u32_e32 v9, 29, v7
	v_dual_lshlrev_b32 v0, v9, v0 :: v_dual_sub_nc_u32 v7, 30, v7
	s_delay_alu instid0(VALU_DEP_1) | instskip(NEXT) | instid1(VALU_DEP_1)
	v_dual_lshlrev_b32 v3, 24, v3 :: v_dual_bitop2_b32 v0, 3, v0 bitop3:0x40
	v_dual_cndmask_b32 v0, v1, v0 :: v_dual_cndmask_b32 v7, v10, v7
	s_delay_alu instid0(VALU_DEP_2) | instskip(NEXT) | instid1(VALU_DEP_2)
	v_and_b32_e32 v1, 0x80000000, v3
	v_lshlrev_b32_e32 v0, 21, v0
	s_delay_alu instid0(VALU_DEP_3) | instskip(NEXT) | instid1(VALU_DEP_1)
	v_lshl_add_u32 v3, v7, 23, 0x37800000
	v_or3_b32 v0, v1, v3, v0
	s_delay_alu instid0(VALU_DEP_1) | instskip(NEXT) | instid1(VALU_DEP_1)
	v_trunc_f32_e32 v0, v0
	v_mul_f32_e64 v1, 0x2f800000, |v0|
	s_delay_alu instid0(VALU_DEP_1) | instskip(NEXT) | instid1(VALU_DEP_1)
	v_floor_f32_e32 v1, v1
	v_fma_f32 v3, 0xcf800000, v1, |v0|
	v_ashrrev_i32_e32 v0, 31, v0
	v_cvt_u32_f32_e32 v7, v1
	s_delay_alu instid0(VALU_DEP_3) | instskip(NEXT) | instid1(VALU_DEP_2)
	v_cvt_u32_f32_e32 v3, v3
	v_dual_mov_b32 v1, v0 :: v_dual_bitop2_b32 v11, v7, v0 bitop3:0x14
	s_delay_alu instid0(VALU_DEP_2) | instskip(NEXT) | instid1(VALU_DEP_1)
	v_xor_b32_e32 v10, v3, v0
	v_sub_nc_u64_e32 v[0:1], v[10:11], v[0:1]
.LBB31_2293:
	s_or_b32 exec_lo, exec_lo, s9
	s_mov_b32 s9, 0
	s_branch .LBB31_2299
.LBB31_2294:
	s_mov_b32 s9, -1
                                        ; implicit-def: $vgpr0_vgpr1
	s_branch .LBB31_2305
.LBB31_2295:
	s_and_not1_saveexec_b32 s20, s20
	s_cbranch_execz .LBB31_2281
.LBB31_2296:
	v_cmp_ne_u16_e32 vcc_lo, 0, v3
	s_and_not1_b32 s21, s21, exec_lo
	s_and_b32 s22, vcc_lo, exec_lo
	s_delay_alu instid0(SALU_CYCLE_1)
	s_or_b32 s21, s21, s22
	s_or_b32 exec_lo, exec_lo, s20
	v_mov_b64_e32 v[0:1], 0
	s_and_saveexec_b32 s20, s21
	s_cbranch_execnz .LBB31_2282
	s_branch .LBB31_2283
.LBB31_2297:
	s_mov_b32 s9, -1
                                        ; implicit-def: $vgpr0_vgpr1
	s_branch .LBB31_2302
.LBB31_2298:
	s_mov_b32 s9, -1
                                        ; implicit-def: $vgpr0_vgpr1
.LBB31_2299:
	s_delay_alu instid0(SALU_CYCLE_1)
	s_and_b32 vcc_lo, exec_lo, s9
	s_cbranch_vccz .LBB31_2301
; %bb.2300:
	s_wait_loadcnt 0x0
	global_load_u8 v0, v[14:15], off
	s_wait_loadcnt 0x0
	v_lshlrev_b32_e32 v0, 24, v0
	s_delay_alu instid0(VALU_DEP_1) | instskip(NEXT) | instid1(VALU_DEP_1)
	v_and_b32_e32 v1, 0x7f000000, v0
	v_clz_i32_u32_e32 v3, v1
	v_add_nc_u32_e32 v9, 0x1000000, v1
	v_cmp_ne_u32_e32 vcc_lo, 0, v1
	s_delay_alu instid0(VALU_DEP_3) | instskip(NEXT) | instid1(VALU_DEP_1)
	v_min_u32_e32 v3, 32, v3
	v_sub_nc_u32_e64 v3, v3, 4 clamp
	s_delay_alu instid0(VALU_DEP_1) | instskip(NEXT) | instid1(VALU_DEP_1)
	v_dual_lshlrev_b32 v7, v3, v1 :: v_dual_lshlrev_b32 v3, 23, v3
	v_lshrrev_b32_e32 v7, 4, v7
	s_delay_alu instid0(VALU_DEP_1) | instskip(NEXT) | instid1(VALU_DEP_1)
	v_dual_sub_nc_u32 v3, v7, v3 :: v_dual_ashrrev_i32 v7, 8, v9
	v_add_nc_u32_e32 v3, 0x3c000000, v3
	s_delay_alu instid0(VALU_DEP_1) | instskip(NEXT) | instid1(VALU_DEP_1)
	v_and_or_b32 v3, 0x7f800000, v7, v3
	v_cndmask_b32_e32 v1, 0, v3, vcc_lo
	s_delay_alu instid0(VALU_DEP_1) | instskip(NEXT) | instid1(VALU_DEP_1)
	v_and_or_b32 v0, 0x80000000, v0, v1
	v_trunc_f32_e32 v0, v0
	s_delay_alu instid0(VALU_DEP_1) | instskip(NEXT) | instid1(VALU_DEP_1)
	v_mul_f32_e64 v1, 0x2f800000, |v0|
	v_floor_f32_e32 v1, v1
	s_delay_alu instid0(VALU_DEP_1) | instskip(SKIP_2) | instid1(VALU_DEP_3)
	v_fma_f32 v3, 0xcf800000, v1, |v0|
	v_ashrrev_i32_e32 v0, 31, v0
	v_cvt_u32_f32_e32 v7, v1
	v_cvt_u32_f32_e32 v3, v3
	s_delay_alu instid0(VALU_DEP_2) | instskip(NEXT) | instid1(VALU_DEP_2)
	v_dual_mov_b32 v1, v0 :: v_dual_bitop2_b32 v11, v7, v0 bitop3:0x14
	v_xor_b32_e32 v10, v3, v0
	s_delay_alu instid0(VALU_DEP_1)
	v_sub_nc_u64_e32 v[0:1], v[10:11], v[0:1]
.LBB31_2301:
	s_mov_b32 s9, 0
.LBB31_2302:
	s_delay_alu instid0(SALU_CYCLE_1)
	s_and_not1_b32 vcc_lo, exec_lo, s9
	s_cbranch_vccnz .LBB31_2304
; %bb.2303:
	s_wait_loadcnt 0x0
	global_load_u8 v0, v[14:15], off
	s_wait_loadcnt 0x0
	v_lshlrev_b32_e32 v1, 25, v0
	v_lshlrev_b16 v0, 8, v0
	s_delay_alu instid0(VALU_DEP_1) | instskip(SKIP_1) | instid1(VALU_DEP_2)
	v_and_or_b32 v7, 0x7f00, v0, 0.5
	v_bfe_i32 v0, v0, 0, 16
	v_dual_add_f32 v7, -0.5, v7 :: v_dual_lshrrev_b32 v3, 4, v1
	v_cmp_gt_u32_e32 vcc_lo, 0x8000000, v1
	s_delay_alu instid0(VALU_DEP_2) | instskip(NEXT) | instid1(VALU_DEP_1)
	v_or_b32_e32 v3, 0x70000000, v3
	v_mul_f32_e32 v3, 0x7800000, v3
	s_delay_alu instid0(VALU_DEP_1) | instskip(NEXT) | instid1(VALU_DEP_1)
	v_cndmask_b32_e32 v1, v3, v7, vcc_lo
	v_and_or_b32 v0, 0x80000000, v0, v1
	s_delay_alu instid0(VALU_DEP_1) | instskip(NEXT) | instid1(VALU_DEP_1)
	v_trunc_f32_e32 v0, v0
	v_mul_f32_e64 v1, 0x2f800000, |v0|
	s_delay_alu instid0(VALU_DEP_1) | instskip(NEXT) | instid1(VALU_DEP_1)
	v_floor_f32_e32 v1, v1
	v_fma_f32 v3, 0xcf800000, v1, |v0|
	v_ashrrev_i32_e32 v0, 31, v0
	v_cvt_u32_f32_e32 v7, v1
	s_delay_alu instid0(VALU_DEP_3) | instskip(NEXT) | instid1(VALU_DEP_2)
	v_cvt_u32_f32_e32 v3, v3
	v_dual_mov_b32 v1, v0 :: v_dual_bitop2_b32 v11, v7, v0 bitop3:0x14
	s_delay_alu instid0(VALU_DEP_2) | instskip(NEXT) | instid1(VALU_DEP_1)
	v_xor_b32_e32 v10, v3, v0
	v_sub_nc_u64_e32 v[0:1], v[10:11], v[0:1]
.LBB31_2304:
	s_mov_b32 s9, 0
	s_mov_b32 s20, -1
.LBB31_2305:
	s_and_not1_b32 vcc_lo, exec_lo, s9
	s_mov_b32 s9, 0
	s_cbranch_vccnz .LBB31_2316
; %bb.2306:
	s_cmp_gt_i32 s7, 14
	s_cbranch_scc0 .LBB31_2309
; %bb.2307:
	s_cmp_eq_u32 s7, 15
	s_cbranch_scc0 .LBB31_2312
; %bb.2308:
	s_wait_loadcnt 0x0
	global_load_u16 v0, v[14:15], off
	s_mov_b32 s8, 0
	s_mov_b32 s20, -1
	s_wait_loadcnt 0x0
	v_lshlrev_b32_e32 v0, 16, v0
	s_delay_alu instid0(VALU_DEP_1) | instskip(NEXT) | instid1(VALU_DEP_1)
	v_trunc_f32_e32 v0, v0
	v_mul_f32_e64 v1, 0x2f800000, |v0|
	s_delay_alu instid0(VALU_DEP_1) | instskip(NEXT) | instid1(VALU_DEP_1)
	v_floor_f32_e32 v1, v1
	v_fma_f32 v3, 0xcf800000, v1, |v0|
	v_ashrrev_i32_e32 v0, 31, v0
	v_cvt_u32_f32_e32 v7, v1
	s_delay_alu instid0(VALU_DEP_3) | instskip(NEXT) | instid1(VALU_DEP_2)
	v_cvt_u32_f32_e32 v3, v3
	v_dual_mov_b32 v1, v0 :: v_dual_bitop2_b32 v11, v7, v0 bitop3:0x14
	s_delay_alu instid0(VALU_DEP_2) | instskip(NEXT) | instid1(VALU_DEP_1)
	v_xor_b32_e32 v10, v3, v0
	v_sub_nc_u64_e32 v[0:1], v[10:11], v[0:1]
	s_branch .LBB31_2314
.LBB31_2309:
	s_mov_b32 s9, -1
	s_branch .LBB31_2313
.LBB31_2310:
	s_and_not1_saveexec_b32 s9, s9
	s_cbranch_execz .LBB31_2291
.LBB31_2311:
	v_cmp_ne_u16_e32 vcc_lo, 0, v3
	s_and_not1_b32 s20, s20, exec_lo
	s_and_b32 s21, vcc_lo, exec_lo
	s_delay_alu instid0(SALU_CYCLE_1)
	s_or_b32 s20, s20, s21
	s_or_b32 exec_lo, exec_lo, s9
	v_mov_b64_e32 v[0:1], 0
	s_and_saveexec_b32 s9, s20
	s_cbranch_execnz .LBB31_2292
	s_branch .LBB31_2293
.LBB31_2312:
	s_mov_b32 s8, -1
.LBB31_2313:
                                        ; implicit-def: $vgpr0_vgpr1
.LBB31_2314:
	s_and_b32 vcc_lo, exec_lo, s9
	s_mov_b32 s9, 0
	s_cbranch_vccz .LBB31_2316
; %bb.2315:
	s_cmp_lg_u32 s7, 11
	s_mov_b32 s9, -1
	s_cselect_b32 s7, -1, 0
	s_and_not1_b32 s8, s8, exec_lo
	s_and_b32 s7, s7, exec_lo
	s_delay_alu instid0(SALU_CYCLE_1)
	s_or_b32 s8, s8, s7
.LBB31_2316:
	s_mov_b32 s21, 0
.LBB31_2317:
	s_and_not1_b32 s22, s85, exec_lo
	s_and_b32 s8, s8, exec_lo
	s_and_b32 s7, s20, exec_lo
	s_and_b32 s20, s21, exec_lo
	s_and_b32 s21, s9, exec_lo
	s_or_b32 s85, s22, s8
	s_wait_xcnt 0x0
	s_or_b32 exec_lo, exec_lo, s6
	s_and_saveexec_b32 s6, s85
	s_cbranch_execz .LBB31_2250
.LBB31_2318:
	s_or_b32 s1, s1, exec_lo
	s_and_not1_b32 s21, s21, exec_lo
	s_trap 2
	s_or_b32 exec_lo, exec_lo, s6
	s_and_saveexec_b32 s6, s21
	s_delay_alu instid0(SALU_CYCLE_1)
	s_xor_b32 s6, exec_lo, s6
	s_cbranch_execnz .LBB31_2251
.LBB31_2319:
	s_or_b32 exec_lo, exec_lo, s6
	s_and_saveexec_b32 s6, s20
	s_cbranch_execz .LBB31_2365
.LBB31_2320:
	s_sext_i32_i16 s8, s0
	s_delay_alu instid0(SALU_CYCLE_1)
	s_cmp_lt_i32 s8, 5
	s_cbranch_scc1 .LBB31_2325
; %bb.2321:
	s_cmp_lt_i32 s8, 8
	s_cbranch_scc1 .LBB31_2326
; %bb.2322:
	;; [unrolled: 3-line block ×3, first 2 shown]
	s_cmp_gt_i32 s8, 9
	s_cbranch_scc0 .LBB31_2328
; %bb.2324:
	s_wait_loadcnt 0x0
	global_load_b64 v[0:1], v[14:15], off
	s_mov_b32 s8, 0
	s_wait_loadcnt 0x0
	v_trunc_f64_e32 v[0:1], v[0:1]
	s_delay_alu instid0(VALU_DEP_1) | instskip(NEXT) | instid1(VALU_DEP_1)
	v_ldexp_f64 v[10:11], v[0:1], 0xffffffe0
	v_floor_f64_e32 v[10:11], v[10:11]
	s_delay_alu instid0(VALU_DEP_1) | instskip(SKIP_1) | instid1(VALU_DEP_2)
	v_fmamk_f64 v[16:17], v[10:11], 0xc1f00000, v[0:1]
	v_cvt_i32_f64_e32 v1, v[10:11]
	v_cvt_u32_f64_e32 v0, v[16:17]
	s_branch .LBB31_2329
.LBB31_2325:
                                        ; implicit-def: $vgpr0_vgpr1
	s_branch .LBB31_2346
.LBB31_2326:
                                        ; implicit-def: $vgpr0_vgpr1
	s_branch .LBB31_2335
.LBB31_2327:
	s_mov_b32 s8, -1
                                        ; implicit-def: $vgpr0_vgpr1
	s_branch .LBB31_2332
.LBB31_2328:
	s_mov_b32 s8, -1
                                        ; implicit-def: $vgpr0_vgpr1
.LBB31_2329:
	s_delay_alu instid0(SALU_CYCLE_1)
	s_and_not1_b32 vcc_lo, exec_lo, s8
	s_cbranch_vccnz .LBB31_2331
; %bb.2330:
	s_wait_loadcnt 0x0
	global_load_b32 v0, v[14:15], off
	s_wait_loadcnt 0x0
	v_trunc_f32_e32 v0, v0
	s_delay_alu instid0(VALU_DEP_1) | instskip(NEXT) | instid1(VALU_DEP_1)
	v_mul_f32_e64 v1, 0x2f800000, |v0|
	v_floor_f32_e32 v1, v1
	s_delay_alu instid0(VALU_DEP_1) | instskip(SKIP_2) | instid1(VALU_DEP_3)
	v_fma_f32 v3, 0xcf800000, v1, |v0|
	v_ashrrev_i32_e32 v0, 31, v0
	v_cvt_u32_f32_e32 v7, v1
	v_cvt_u32_f32_e32 v3, v3
	s_delay_alu instid0(VALU_DEP_2) | instskip(NEXT) | instid1(VALU_DEP_2)
	v_dual_mov_b32 v1, v0 :: v_dual_bitop2_b32 v11, v7, v0 bitop3:0x14
	v_xor_b32_e32 v10, v3, v0
	s_delay_alu instid0(VALU_DEP_1)
	v_sub_nc_u64_e32 v[0:1], v[10:11], v[0:1]
.LBB31_2331:
	s_mov_b32 s8, 0
.LBB31_2332:
	s_delay_alu instid0(SALU_CYCLE_1)
	s_and_not1_b32 vcc_lo, exec_lo, s8
	s_cbranch_vccnz .LBB31_2334
; %bb.2333:
	s_wait_loadcnt 0x0
	global_load_b32 v0, v[14:15], off
	s_wait_loadcnt 0x0
	v_cvt_f32_f16_e32 v0, v0
	s_delay_alu instid0(VALU_DEP_1) | instskip(NEXT) | instid1(VALU_DEP_1)
	v_cvt_i32_f32_e32 v0, v0
	v_ashrrev_i32_e32 v1, 31, v0
.LBB31_2334:
	s_cbranch_execnz .LBB31_2345
.LBB31_2335:
	s_sext_i32_i16 s8, s0
	s_delay_alu instid0(SALU_CYCLE_1)
	s_cmp_lt_i32 s8, 6
	s_cbranch_scc1 .LBB31_2338
; %bb.2336:
	s_cmp_gt_i32 s8, 6
	s_cbranch_scc0 .LBB31_2339
; %bb.2337:
	s_wait_loadcnt 0x0
	global_load_b64 v[0:1], v[14:15], off
	s_mov_b32 s8, 0
	s_wait_loadcnt 0x0
	v_trunc_f64_e32 v[0:1], v[0:1]
	s_delay_alu instid0(VALU_DEP_1) | instskip(NEXT) | instid1(VALU_DEP_1)
	v_ldexp_f64 v[10:11], v[0:1], 0xffffffe0
	v_floor_f64_e32 v[10:11], v[10:11]
	s_delay_alu instid0(VALU_DEP_1) | instskip(SKIP_1) | instid1(VALU_DEP_2)
	v_fmamk_f64 v[16:17], v[10:11], 0xc1f00000, v[0:1]
	v_cvt_i32_f64_e32 v1, v[10:11]
	v_cvt_u32_f64_e32 v0, v[16:17]
	s_branch .LBB31_2340
.LBB31_2338:
	s_mov_b32 s8, -1
                                        ; implicit-def: $vgpr0_vgpr1
	s_branch .LBB31_2343
.LBB31_2339:
	s_mov_b32 s8, -1
                                        ; implicit-def: $vgpr0_vgpr1
.LBB31_2340:
	s_delay_alu instid0(SALU_CYCLE_1)
	s_and_not1_b32 vcc_lo, exec_lo, s8
	s_cbranch_vccnz .LBB31_2342
; %bb.2341:
	s_wait_loadcnt 0x0
	global_load_b32 v0, v[14:15], off
	s_wait_loadcnt 0x0
	v_trunc_f32_e32 v0, v0
	s_delay_alu instid0(VALU_DEP_1) | instskip(NEXT) | instid1(VALU_DEP_1)
	v_mul_f32_e64 v1, 0x2f800000, |v0|
	v_floor_f32_e32 v1, v1
	s_delay_alu instid0(VALU_DEP_1) | instskip(SKIP_2) | instid1(VALU_DEP_3)
	v_fma_f32 v3, 0xcf800000, v1, |v0|
	v_ashrrev_i32_e32 v0, 31, v0
	v_cvt_u32_f32_e32 v7, v1
	v_cvt_u32_f32_e32 v3, v3
	s_delay_alu instid0(VALU_DEP_2) | instskip(NEXT) | instid1(VALU_DEP_2)
	v_dual_mov_b32 v1, v0 :: v_dual_bitop2_b32 v11, v7, v0 bitop3:0x14
	v_xor_b32_e32 v10, v3, v0
	s_delay_alu instid0(VALU_DEP_1)
	v_sub_nc_u64_e32 v[0:1], v[10:11], v[0:1]
.LBB31_2342:
	s_mov_b32 s8, 0
.LBB31_2343:
	s_delay_alu instid0(SALU_CYCLE_1)
	s_and_not1_b32 vcc_lo, exec_lo, s8
	s_cbranch_vccnz .LBB31_2345
; %bb.2344:
	s_wait_loadcnt 0x0
	global_load_u16 v0, v[14:15], off
	s_wait_loadcnt 0x0
	v_cvt_f32_f16_e32 v0, v0
	s_delay_alu instid0(VALU_DEP_1) | instskip(NEXT) | instid1(VALU_DEP_1)
	v_cvt_i32_f32_e32 v0, v0
	v_ashrrev_i32_e32 v1, 31, v0
.LBB31_2345:
	s_cbranch_execnz .LBB31_2364
.LBB31_2346:
	s_sext_i32_i16 s8, s0
	s_delay_alu instid0(SALU_CYCLE_1)
	s_cmp_lt_i32 s8, 2
	s_cbranch_scc1 .LBB31_2350
; %bb.2347:
	s_cmp_lt_i32 s8, 3
	s_cbranch_scc1 .LBB31_2351
; %bb.2348:
	s_cmp_gt_i32 s8, 3
	s_cbranch_scc0 .LBB31_2352
; %bb.2349:
	s_wait_loadcnt 0x0
	global_load_b64 v[0:1], v[14:15], off
	s_mov_b32 s8, 0
	s_branch .LBB31_2353
.LBB31_2350:
                                        ; implicit-def: $vgpr0_vgpr1
	s_branch .LBB31_2359
.LBB31_2351:
	s_mov_b32 s8, -1
                                        ; implicit-def: $vgpr0_vgpr1
	s_branch .LBB31_2356
.LBB31_2352:
	s_mov_b32 s8, -1
                                        ; implicit-def: $vgpr0_vgpr1
.LBB31_2353:
	s_delay_alu instid0(SALU_CYCLE_1)
	s_and_not1_b32 vcc_lo, exec_lo, s8
	s_cbranch_vccnz .LBB31_2355
; %bb.2354:
	s_wait_loadcnt 0x0
	global_load_b32 v0, v[14:15], off
	s_wait_loadcnt 0x0
	v_ashrrev_i32_e32 v1, 31, v0
.LBB31_2355:
	s_mov_b32 s8, 0
.LBB31_2356:
	s_delay_alu instid0(SALU_CYCLE_1)
	s_and_not1_b32 vcc_lo, exec_lo, s8
	s_cbranch_vccnz .LBB31_2358
; %bb.2357:
	s_wait_loadcnt 0x0
	global_load_u16 v0, v[14:15], off
	s_wait_loadcnt 0x0
	v_bfe_i32 v0, v0, 0, 16
	s_delay_alu instid0(VALU_DEP_1)
	v_ashrrev_i32_e32 v1, 31, v0
.LBB31_2358:
	s_cbranch_execnz .LBB31_2364
.LBB31_2359:
	s_sext_i32_i16 s0, s0
	s_delay_alu instid0(SALU_CYCLE_1)
	s_cmp_gt_i32 s0, 0
	s_mov_b32 s0, 0
	s_cbranch_scc0 .LBB31_2361
; %bb.2360:
	s_wait_loadcnt 0x0
	global_load_i8 v0, v[14:15], off
	s_wait_loadcnt 0x0
	v_bfe_i32 v0, v0, 0, 16
	s_delay_alu instid0(VALU_DEP_1)
	v_ashrrev_i32_e32 v1, 31, v0
	s_branch .LBB31_2362
.LBB31_2361:
	s_mov_b32 s0, -1
                                        ; implicit-def: $vgpr0_vgpr1
.LBB31_2362:
	s_delay_alu instid0(SALU_CYCLE_1)
	s_and_not1_b32 vcc_lo, exec_lo, s0
	s_cbranch_vccnz .LBB31_2364
; %bb.2363:
	s_wait_loadcnt 0x0
	global_load_u8 v0, v[14:15], off
	s_mov_b32 s0, 0
	s_delay_alu instid0(SALU_CYCLE_1)
	v_mov_b32_e32 v1, s0
	s_wait_loadcnt 0x0
	v_and_b32_e32 v0, 0xffff, v0
.LBB31_2364:
	s_or_b32 s7, s7, exec_lo
.LBB31_2365:
	s_wait_xcnt 0x0
	s_or_b32 exec_lo, exec_lo, s6
	s_mov_b32 s8, 0
	s_mov_b32 s20, 0
	;; [unrolled: 1-line block ×3, first 2 shown]
                                        ; implicit-def: $sgpr0
                                        ; implicit-def: $vgpr14_vgpr15
                                        ; implicit-def: $vgpr10_vgpr11
	s_and_saveexec_b32 s6, s7
	s_cbranch_execz .LBB31_2373
; %bb.2366:
	s_load_b512 s[8:23], s[2:3], 0x248
	s_wait_loadcnt 0x0
	v_mov_b32_e32 v13, 0
	s_and_b32 s0, s28, 0xff
	s_delay_alu instid0(SALU_CYCLE_1) | instskip(SKIP_1) | instid1(VALU_DEP_1)
	s_cmp_lt_i32 s0, 11
	s_wait_kmcnt 0x0
	v_add_nc_u64_e32 v[14:15], s[14:15], v[12:13]
	s_cbranch_scc1 .LBB31_2376
; %bb.2367:
	s_and_b32 s7, 0xffff, s0
	s_mov_b32 s10, 0
	s_cmp_gt_i32 s7, 25
	s_cbranch_scc0 .LBB31_2377
; %bb.2368:
	s_cmp_gt_i32 s7, 28
	s_cbranch_scc0 .LBB31_2378
; %bb.2369:
	;; [unrolled: 3-line block ×4, first 2 shown]
	s_cmp_eq_u32 s7, 46
	s_mov_b32 s11, 0
	s_cbranch_scc0 .LBB31_2381
; %bb.2372:
	global_load_b32 v3, v[14:15], off
	s_mov_b32 s8, 0
	s_mov_b32 s9, -1
	s_wait_loadcnt 0x0
	v_lshlrev_b32_e32 v3, 16, v3
	s_delay_alu instid0(VALU_DEP_1) | instskip(NEXT) | instid1(VALU_DEP_1)
	v_trunc_f32_e32 v3, v3
	v_mul_f32_e64 v7, 0x2f800000, |v3|
	v_ashrrev_i32_e32 v10, 31, v3
	s_delay_alu instid0(VALU_DEP_2) | instskip(NEXT) | instid1(VALU_DEP_2)
	v_floor_f32_e32 v7, v7
	v_mov_b32_e32 v11, v10
	s_delay_alu instid0(VALU_DEP_2) | instskip(SKIP_1) | instid1(VALU_DEP_2)
	v_fma_f32 v9, 0xcf800000, v7, |v3|
	v_cvt_u32_f32_e32 v3, v7
	v_cvt_u32_f32_e32 v7, v9
	s_delay_alu instid0(VALU_DEP_2) | instskip(NEXT) | instid1(VALU_DEP_2)
	v_xor_b32_e32 v13, v3, v10
	v_xor_b32_e32 v12, v7, v10
	s_delay_alu instid0(VALU_DEP_1)
	v_sub_nc_u64_e32 v[10:11], v[12:13], v[10:11]
	s_branch .LBB31_2383
.LBB31_2373:
	s_or_b32 exec_lo, exec_lo, s6
	s_and_saveexec_b32 s6, s84
	s_cbranch_execnz .LBB31_2442
.LBB31_2374:
	s_or_b32 exec_lo, exec_lo, s6
	s_and_saveexec_b32 s6, s8
	s_delay_alu instid0(SALU_CYCLE_1)
	s_xor_b32 s6, exec_lo, s6
	s_cbranch_execz .LBB31_2443
.LBB31_2375:
	s_wait_loadcnt 0x0
	global_load_u8 v3, v[14:15], off
	s_mov_b32 s7, 0
	s_or_b32 s9, s9, exec_lo
	v_mov_b32_e32 v11, s7
	s_wait_loadcnt 0x0
	v_cmp_ne_u16_e32 vcc_lo, 0, v3
	v_cndmask_b32_e64 v10, 0, 1, vcc_lo
	s_wait_xcnt 0x0
	s_or_b32 exec_lo, exec_lo, s6
	s_and_saveexec_b32 s6, s20
	s_cbranch_execz .LBB31_2489
	s_branch .LBB31_2444
.LBB31_2376:
	s_mov_b32 s7, -1
	s_mov_b32 s9, 0
	s_mov_b32 s10, 0
	;; [unrolled: 1-line block ×3, first 2 shown]
                                        ; implicit-def: $vgpr10_vgpr11
	s_branch .LBB31_2441
.LBB31_2377:
	s_mov_b32 s9, 0
	s_mov_b32 s8, s84
                                        ; implicit-def: $vgpr10_vgpr11
	s_cbranch_execnz .LBB31_2410
	s_branch .LBB31_2440
.LBB31_2378:
	s_mov_b32 s11, -1
	s_mov_b32 s9, 0
	s_mov_b32 s8, s84
                                        ; implicit-def: $vgpr10_vgpr11
	s_branch .LBB31_2393
.LBB31_2379:
	s_mov_b32 s11, -1
	s_mov_b32 s9, 0
	s_mov_b32 s8, s84
                                        ; implicit-def: $vgpr10_vgpr11
	s_branch .LBB31_2388
.LBB31_2380:
	s_mov_b32 s11, -1
	s_mov_b32 s9, 0
	s_mov_b32 s8, s84
	s_branch .LBB31_2382
.LBB31_2381:
	s_mov_b32 s8, -1
	s_mov_b32 s9, 0
.LBB31_2382:
                                        ; implicit-def: $vgpr10_vgpr11
.LBB31_2383:
	s_and_b32 vcc_lo, exec_lo, s11
	s_cbranch_vccz .LBB31_2387
; %bb.2384:
	s_cmp_eq_u32 s7, 44
	s_cbranch_scc0 .LBB31_2386
; %bb.2385:
	global_load_u8 v3, v[14:15], off
	s_mov_b32 s8, 0
	s_mov_b32 s9, -1
	s_wait_loadcnt 0x0
	v_lshlrev_b32_e32 v7, 23, v3
	v_cmp_ne_u32_e32 vcc_lo, 0, v3
	s_delay_alu instid0(VALU_DEP_2) | instskip(NEXT) | instid1(VALU_DEP_1)
	v_trunc_f32_e32 v7, v7
	v_mul_f32_e64 v9, 0x2f800000, |v7|
	v_ashrrev_i32_e32 v10, 31, v7
	s_delay_alu instid0(VALU_DEP_2) | instskip(NEXT) | instid1(VALU_DEP_1)
	v_floor_f32_e32 v9, v9
	v_fma_f32 v11, 0xcf800000, v9, |v7|
	v_cvt_u32_f32_e32 v7, v9
	s_delay_alu instid0(VALU_DEP_2) | instskip(NEXT) | instid1(VALU_DEP_2)
	v_cvt_u32_f32_e32 v9, v11
	v_dual_mov_b32 v11, v10 :: v_dual_bitop2_b32 v13, v7, v10 bitop3:0x14
	s_delay_alu instid0(VALU_DEP_2) | instskip(NEXT) | instid1(VALU_DEP_1)
	v_xor_b32_e32 v12, v9, v10
	v_sub_nc_u64_e32 v[10:11], v[12:13], v[10:11]
	s_delay_alu instid0(VALU_DEP_1)
	v_dual_cndmask_b32 v11, 0, v11 :: v_dual_cndmask_b32 v10, 0, v10
	s_branch .LBB31_2387
.LBB31_2386:
	s_mov_b32 s8, -1
                                        ; implicit-def: $vgpr10_vgpr11
.LBB31_2387:
	s_mov_b32 s11, 0
.LBB31_2388:
	s_delay_alu instid0(SALU_CYCLE_1)
	s_and_b32 vcc_lo, exec_lo, s11
	s_cbranch_vccz .LBB31_2392
; %bb.2389:
	s_cmp_eq_u32 s7, 29
	s_cbranch_scc0 .LBB31_2391
; %bb.2390:
	global_load_b64 v[10:11], v[14:15], off
	s_mov_b32 s8, 0
	s_mov_b32 s9, -1
	s_branch .LBB31_2392
.LBB31_2391:
	s_mov_b32 s8, -1
                                        ; implicit-def: $vgpr10_vgpr11
.LBB31_2392:
	s_mov_b32 s11, 0
.LBB31_2393:
	s_delay_alu instid0(SALU_CYCLE_1)
	s_and_b32 vcc_lo, exec_lo, s11
	s_cbranch_vccz .LBB31_2409
; %bb.2394:
	s_cmp_lt_i32 s7, 27
	s_cbranch_scc1 .LBB31_2397
; %bb.2395:
	s_cmp_gt_i32 s7, 27
	s_cbranch_scc0 .LBB31_2398
; %bb.2396:
	s_wait_loadcnt 0x0
	global_load_b32 v10, v[14:15], off
	v_mov_b32_e32 v11, 0
	s_mov_b32 s9, 0
	s_branch .LBB31_2399
.LBB31_2397:
	s_mov_b32 s9, -1
                                        ; implicit-def: $vgpr10_vgpr11
	s_branch .LBB31_2402
.LBB31_2398:
	s_mov_b32 s9, -1
                                        ; implicit-def: $vgpr10_vgpr11
.LBB31_2399:
	s_delay_alu instid0(SALU_CYCLE_1)
	s_and_not1_b32 vcc_lo, exec_lo, s9
	s_cbranch_vccnz .LBB31_2401
; %bb.2400:
	global_load_u16 v3, v[14:15], off
	s_mov_b32 s9, 0
	s_wait_loadcnt 0x1
	v_mov_b32_e32 v11, s9
	s_wait_loadcnt 0x0
	v_and_b32_e32 v10, 0xffff, v3
.LBB31_2401:
	s_mov_b32 s9, 0
.LBB31_2402:
	s_delay_alu instid0(SALU_CYCLE_1)
	s_and_not1_b32 vcc_lo, exec_lo, s9
	s_cbranch_vccnz .LBB31_2408
; %bb.2403:
	global_load_u8 v3, v[14:15], off
	s_mov_b32 s11, 0
	s_mov_b32 s9, exec_lo
	s_wait_loadcnt 0x0
	v_cmpx_lt_i16_e32 0x7f, v3
	s_xor_b32 s9, exec_lo, s9
	s_cbranch_execz .LBB31_2419
; %bb.2404:
	v_cmp_ne_u16_e32 vcc_lo, 0x80, v3
	s_and_b32 s11, vcc_lo, exec_lo
	s_and_not1_saveexec_b32 s9, s9
	s_cbranch_execnz .LBB31_2420
.LBB31_2405:
	s_or_b32 exec_lo, exec_lo, s9
	v_mov_b64_e32 v[10:11], 0
	s_and_saveexec_b32 s9, s11
	s_cbranch_execz .LBB31_2407
.LBB31_2406:
	v_and_b32_e32 v7, 0xffff, v3
	s_delay_alu instid0(VALU_DEP_1) | instskip(SKIP_1) | instid1(VALU_DEP_2)
	v_and_b32_e32 v9, 7, v7
	v_bfe_u32 v12, v7, 3, 4
	v_clz_i32_u32_e32 v10, v9
	s_delay_alu instid0(VALU_DEP_2) | instskip(NEXT) | instid1(VALU_DEP_2)
	v_cmp_eq_u32_e32 vcc_lo, 0, v12
	v_min_u32_e32 v10, 32, v10
	s_delay_alu instid0(VALU_DEP_1) | instskip(NEXT) | instid1(VALU_DEP_1)
	v_subrev_nc_u32_e32 v11, 28, v10
	v_dual_lshlrev_b32 v7, v11, v7 :: v_dual_sub_nc_u32 v10, 29, v10
	s_delay_alu instid0(VALU_DEP_1) | instskip(NEXT) | instid1(VALU_DEP_2)
	v_and_b32_e32 v7, 7, v7
	v_dual_cndmask_b32 v10, v12, v10 :: v_dual_lshlrev_b32 v3, 24, v3
	s_delay_alu instid0(VALU_DEP_2) | instskip(NEXT) | instid1(VALU_DEP_2)
	v_cndmask_b32_e32 v7, v9, v7, vcc_lo
	v_and_b32_e32 v3, 0x80000000, v3
	s_delay_alu instid0(VALU_DEP_3) | instskip(NEXT) | instid1(VALU_DEP_3)
	v_lshl_add_u32 v9, v10, 23, 0x3b800000
	v_lshlrev_b32_e32 v7, 20, v7
	s_delay_alu instid0(VALU_DEP_1) | instskip(NEXT) | instid1(VALU_DEP_1)
	v_or3_b32 v3, v3, v9, v7
	v_trunc_f32_e32 v3, v3
	s_delay_alu instid0(VALU_DEP_1) | instskip(SKIP_1) | instid1(VALU_DEP_2)
	v_mul_f32_e64 v7, 0x2f800000, |v3|
	v_ashrrev_i32_e32 v10, 31, v3
	v_floor_f32_e32 v7, v7
	s_delay_alu instid0(VALU_DEP_2) | instskip(NEXT) | instid1(VALU_DEP_2)
	v_mov_b32_e32 v11, v10
	v_fma_f32 v9, 0xcf800000, v7, |v3|
	v_cvt_u32_f32_e32 v3, v7
	s_delay_alu instid0(VALU_DEP_2) | instskip(NEXT) | instid1(VALU_DEP_2)
	v_cvt_u32_f32_e32 v7, v9
	v_xor_b32_e32 v13, v3, v10
	s_delay_alu instid0(VALU_DEP_2) | instskip(NEXT) | instid1(VALU_DEP_1)
	v_xor_b32_e32 v12, v7, v10
	v_sub_nc_u64_e32 v[10:11], v[12:13], v[10:11]
.LBB31_2407:
	s_or_b32 exec_lo, exec_lo, s9
.LBB31_2408:
	s_mov_b32 s9, -1
.LBB31_2409:
	s_branch .LBB31_2440
.LBB31_2410:
	s_cmp_gt_i32 s7, 22
	s_cbranch_scc0 .LBB31_2418
; %bb.2411:
	s_cmp_lt_i32 s7, 24
	s_cbranch_scc1 .LBB31_2421
; %bb.2412:
	s_cmp_gt_i32 s7, 24
	s_cbranch_scc0 .LBB31_2422
; %bb.2413:
	global_load_u8 v3, v[14:15], off
	s_mov_b32 s9, exec_lo
	s_wait_loadcnt 0x0
	v_cmpx_lt_i16_e32 0x7f, v3
	s_xor_b32 s9, exec_lo, s9
	s_cbranch_execz .LBB31_2434
; %bb.2414:
	v_cmp_ne_u16_e32 vcc_lo, 0x80, v3
	s_and_b32 s10, vcc_lo, exec_lo
	s_and_not1_saveexec_b32 s9, s9
	s_cbranch_execnz .LBB31_2435
.LBB31_2415:
	s_or_b32 exec_lo, exec_lo, s9
	v_mov_b64_e32 v[10:11], 0
	s_and_saveexec_b32 s9, s10
	s_cbranch_execz .LBB31_2417
.LBB31_2416:
	v_and_b32_e32 v7, 0xffff, v3
	s_delay_alu instid0(VALU_DEP_1) | instskip(SKIP_1) | instid1(VALU_DEP_2)
	v_and_b32_e32 v9, 3, v7
	v_bfe_u32 v12, v7, 2, 5
	v_clz_i32_u32_e32 v10, v9
	s_delay_alu instid0(VALU_DEP_2) | instskip(NEXT) | instid1(VALU_DEP_2)
	v_cmp_eq_u32_e32 vcc_lo, 0, v12
	v_min_u32_e32 v10, 32, v10
	s_delay_alu instid0(VALU_DEP_1) | instskip(NEXT) | instid1(VALU_DEP_1)
	v_subrev_nc_u32_e32 v11, 29, v10
	v_dual_lshlrev_b32 v7, v11, v7 :: v_dual_sub_nc_u32 v10, 30, v10
	s_delay_alu instid0(VALU_DEP_1) | instskip(NEXT) | instid1(VALU_DEP_2)
	v_and_b32_e32 v7, 3, v7
	v_dual_cndmask_b32 v10, v12, v10 :: v_dual_lshlrev_b32 v3, 24, v3
	s_delay_alu instid0(VALU_DEP_2) | instskip(NEXT) | instid1(VALU_DEP_2)
	v_cndmask_b32_e32 v7, v9, v7, vcc_lo
	v_and_b32_e32 v3, 0x80000000, v3
	s_delay_alu instid0(VALU_DEP_3) | instskip(NEXT) | instid1(VALU_DEP_3)
	v_lshl_add_u32 v9, v10, 23, 0x37800000
	v_lshlrev_b32_e32 v7, 21, v7
	s_delay_alu instid0(VALU_DEP_1) | instskip(NEXT) | instid1(VALU_DEP_1)
	v_or3_b32 v3, v3, v9, v7
	v_trunc_f32_e32 v3, v3
	s_delay_alu instid0(VALU_DEP_1) | instskip(SKIP_1) | instid1(VALU_DEP_2)
	v_mul_f32_e64 v7, 0x2f800000, |v3|
	v_ashrrev_i32_e32 v10, 31, v3
	v_floor_f32_e32 v7, v7
	s_delay_alu instid0(VALU_DEP_2) | instskip(NEXT) | instid1(VALU_DEP_2)
	v_mov_b32_e32 v11, v10
	v_fma_f32 v9, 0xcf800000, v7, |v3|
	v_cvt_u32_f32_e32 v3, v7
	s_delay_alu instid0(VALU_DEP_2) | instskip(NEXT) | instid1(VALU_DEP_2)
	v_cvt_u32_f32_e32 v7, v9
	v_xor_b32_e32 v13, v3, v10
	s_delay_alu instid0(VALU_DEP_2) | instskip(NEXT) | instid1(VALU_DEP_1)
	v_xor_b32_e32 v12, v7, v10
	v_sub_nc_u64_e32 v[10:11], v[12:13], v[10:11]
.LBB31_2417:
	s_or_b32 exec_lo, exec_lo, s9
	s_mov_b32 s9, 0
	s_branch .LBB31_2423
.LBB31_2418:
	s_mov_b32 s10, -1
                                        ; implicit-def: $vgpr10_vgpr11
	s_branch .LBB31_2429
.LBB31_2419:
	s_and_not1_saveexec_b32 s9, s9
	s_cbranch_execz .LBB31_2405
.LBB31_2420:
	v_cmp_ne_u16_e32 vcc_lo, 0, v3
	s_and_not1_b32 s11, s11, exec_lo
	s_and_b32 s20, vcc_lo, exec_lo
	s_delay_alu instid0(SALU_CYCLE_1)
	s_or_b32 s11, s11, s20
	s_or_b32 exec_lo, exec_lo, s9
	v_mov_b64_e32 v[10:11], 0
	s_and_saveexec_b32 s9, s11
	s_cbranch_execnz .LBB31_2406
	s_branch .LBB31_2407
.LBB31_2421:
	s_mov_b32 s9, -1
                                        ; implicit-def: $vgpr10_vgpr11
	s_branch .LBB31_2426
.LBB31_2422:
	s_mov_b32 s9, -1
                                        ; implicit-def: $vgpr10_vgpr11
.LBB31_2423:
	s_delay_alu instid0(SALU_CYCLE_1)
	s_and_b32 vcc_lo, exec_lo, s9
	s_cbranch_vccz .LBB31_2425
; %bb.2424:
	global_load_u8 v3, v[14:15], off
	s_wait_loadcnt 0x0
	v_lshlrev_b32_e32 v3, 24, v3
	s_delay_alu instid0(VALU_DEP_1) | instskip(NEXT) | instid1(VALU_DEP_1)
	v_and_b32_e32 v7, 0x7f000000, v3
	v_clz_i32_u32_e32 v9, v7
	v_add_nc_u32_e32 v11, 0x1000000, v7
	v_cmp_ne_u32_e32 vcc_lo, 0, v7
	s_delay_alu instid0(VALU_DEP_3) | instskip(NEXT) | instid1(VALU_DEP_1)
	v_min_u32_e32 v9, 32, v9
	v_sub_nc_u32_e64 v9, v9, 4 clamp
	s_delay_alu instid0(VALU_DEP_1) | instskip(NEXT) | instid1(VALU_DEP_1)
	v_dual_lshlrev_b32 v10, v9, v7 :: v_dual_lshlrev_b32 v9, 23, v9
	v_lshrrev_b32_e32 v10, 4, v10
	s_delay_alu instid0(VALU_DEP_1) | instskip(NEXT) | instid1(VALU_DEP_1)
	v_dual_sub_nc_u32 v9, v10, v9 :: v_dual_ashrrev_i32 v10, 8, v11
	v_add_nc_u32_e32 v9, 0x3c000000, v9
	s_delay_alu instid0(VALU_DEP_1) | instskip(NEXT) | instid1(VALU_DEP_1)
	v_and_or_b32 v9, 0x7f800000, v10, v9
	v_cndmask_b32_e32 v7, 0, v9, vcc_lo
	s_delay_alu instid0(VALU_DEP_1) | instskip(NEXT) | instid1(VALU_DEP_1)
	v_and_or_b32 v3, 0x80000000, v3, v7
	v_trunc_f32_e32 v3, v3
	s_delay_alu instid0(VALU_DEP_1) | instskip(SKIP_1) | instid1(VALU_DEP_2)
	v_mul_f32_e64 v7, 0x2f800000, |v3|
	v_ashrrev_i32_e32 v10, 31, v3
	v_floor_f32_e32 v7, v7
	s_delay_alu instid0(VALU_DEP_1) | instskip(SKIP_1) | instid1(VALU_DEP_4)
	v_fma_f32 v9, 0xcf800000, v7, |v3|
	v_cvt_u32_f32_e32 v3, v7
	v_mov_b32_e32 v11, v10
	s_delay_alu instid0(VALU_DEP_3) | instskip(NEXT) | instid1(VALU_DEP_3)
	v_cvt_u32_f32_e32 v7, v9
	v_xor_b32_e32 v13, v3, v10
	s_delay_alu instid0(VALU_DEP_2) | instskip(NEXT) | instid1(VALU_DEP_1)
	v_xor_b32_e32 v12, v7, v10
	v_sub_nc_u64_e32 v[10:11], v[12:13], v[10:11]
.LBB31_2425:
	s_mov_b32 s9, 0
.LBB31_2426:
	s_delay_alu instid0(SALU_CYCLE_1)
	s_and_not1_b32 vcc_lo, exec_lo, s9
	s_cbranch_vccnz .LBB31_2428
; %bb.2427:
	global_load_u8 v3, v[14:15], off
	s_wait_loadcnt 0x0
	v_lshlrev_b32_e32 v7, 25, v3
	v_lshlrev_b16 v3, 8, v3
	s_delay_alu instid0(VALU_DEP_1) | instskip(SKIP_1) | instid1(VALU_DEP_2)
	v_and_or_b32 v10, 0x7f00, v3, 0.5
	v_bfe_i32 v3, v3, 0, 16
	v_dual_add_f32 v10, -0.5, v10 :: v_dual_lshrrev_b32 v9, 4, v7
	v_cmp_gt_u32_e32 vcc_lo, 0x8000000, v7
	s_delay_alu instid0(VALU_DEP_2) | instskip(NEXT) | instid1(VALU_DEP_1)
	v_or_b32_e32 v9, 0x70000000, v9
	v_mul_f32_e32 v9, 0x7800000, v9
	s_delay_alu instid0(VALU_DEP_1) | instskip(NEXT) | instid1(VALU_DEP_1)
	v_cndmask_b32_e32 v7, v9, v10, vcc_lo
	v_and_or_b32 v3, 0x80000000, v3, v7
	s_delay_alu instid0(VALU_DEP_1) | instskip(NEXT) | instid1(VALU_DEP_1)
	v_trunc_f32_e32 v3, v3
	v_mul_f32_e64 v7, 0x2f800000, |v3|
	v_ashrrev_i32_e32 v10, 31, v3
	s_delay_alu instid0(VALU_DEP_2) | instskip(NEXT) | instid1(VALU_DEP_2)
	v_floor_f32_e32 v7, v7
	v_mov_b32_e32 v11, v10
	s_delay_alu instid0(VALU_DEP_2) | instskip(SKIP_1) | instid1(VALU_DEP_2)
	v_fma_f32 v9, 0xcf800000, v7, |v3|
	v_cvt_u32_f32_e32 v3, v7
	v_cvt_u32_f32_e32 v7, v9
	s_delay_alu instid0(VALU_DEP_2) | instskip(NEXT) | instid1(VALU_DEP_2)
	v_xor_b32_e32 v13, v3, v10
	v_xor_b32_e32 v12, v7, v10
	s_delay_alu instid0(VALU_DEP_1)
	v_sub_nc_u64_e32 v[10:11], v[12:13], v[10:11]
.LBB31_2428:
	s_mov_b32 s10, 0
	s_mov_b32 s9, -1
.LBB31_2429:
	s_and_not1_b32 vcc_lo, exec_lo, s10
	s_mov_b32 s10, 0
	s_cbranch_vccnz .LBB31_2440
; %bb.2430:
	s_cmp_gt_i32 s7, 14
	s_cbranch_scc0 .LBB31_2433
; %bb.2431:
	s_cmp_eq_u32 s7, 15
	s_cbranch_scc0 .LBB31_2436
; %bb.2432:
	global_load_u16 v3, v[14:15], off
	s_mov_b32 s8, 0
	s_mov_b32 s9, -1
	s_wait_loadcnt 0x0
	v_lshlrev_b32_e32 v3, 16, v3
	s_delay_alu instid0(VALU_DEP_1) | instskip(NEXT) | instid1(VALU_DEP_1)
	v_trunc_f32_e32 v3, v3
	v_mul_f32_e64 v7, 0x2f800000, |v3|
	v_ashrrev_i32_e32 v10, 31, v3
	s_delay_alu instid0(VALU_DEP_2) | instskip(NEXT) | instid1(VALU_DEP_2)
	v_floor_f32_e32 v7, v7
	v_mov_b32_e32 v11, v10
	s_delay_alu instid0(VALU_DEP_2) | instskip(SKIP_1) | instid1(VALU_DEP_2)
	v_fma_f32 v9, 0xcf800000, v7, |v3|
	v_cvt_u32_f32_e32 v3, v7
	v_cvt_u32_f32_e32 v7, v9
	s_delay_alu instid0(VALU_DEP_2) | instskip(NEXT) | instid1(VALU_DEP_2)
	v_xor_b32_e32 v13, v3, v10
	v_xor_b32_e32 v12, v7, v10
	s_delay_alu instid0(VALU_DEP_1)
	v_sub_nc_u64_e32 v[10:11], v[12:13], v[10:11]
	s_branch .LBB31_2438
.LBB31_2433:
	s_mov_b32 s10, -1
	s_branch .LBB31_2437
.LBB31_2434:
	s_and_not1_saveexec_b32 s9, s9
	s_cbranch_execz .LBB31_2415
.LBB31_2435:
	v_cmp_ne_u16_e32 vcc_lo, 0, v3
	s_and_not1_b32 s10, s10, exec_lo
	s_and_b32 s11, vcc_lo, exec_lo
	s_delay_alu instid0(SALU_CYCLE_1)
	s_or_b32 s10, s10, s11
	s_or_b32 exec_lo, exec_lo, s9
	v_mov_b64_e32 v[10:11], 0
	s_and_saveexec_b32 s9, s10
	s_cbranch_execnz .LBB31_2416
	s_branch .LBB31_2417
.LBB31_2436:
	s_mov_b32 s8, -1
.LBB31_2437:
                                        ; implicit-def: $vgpr10_vgpr11
.LBB31_2438:
	s_and_b32 vcc_lo, exec_lo, s10
	s_mov_b32 s10, 0
	s_cbranch_vccz .LBB31_2440
; %bb.2439:
	s_cmp_lg_u32 s7, 11
	s_mov_b32 s10, -1
	s_cselect_b32 s7, -1, 0
	s_and_not1_b32 s8, s8, exec_lo
	s_and_b32 s7, s7, exec_lo
	s_delay_alu instid0(SALU_CYCLE_1)
	s_or_b32 s8, s8, s7
.LBB31_2440:
	s_mov_b32 s7, 0
.LBB31_2441:
	s_delay_alu instid0(SALU_CYCLE_1)
	s_and_b32 s20, s7, exec_lo
	s_and_not1_b32 s7, s84, exec_lo
	s_and_b32 s11, s8, exec_lo
	s_and_b32 s9, s9, exec_lo
	;; [unrolled: 1-line block ×3, first 2 shown]
	s_or_b32 s84, s7, s11
	s_wait_xcnt 0x0
	s_or_b32 exec_lo, exec_lo, s6
	s_and_saveexec_b32 s6, s84
	s_cbranch_execz .LBB31_2374
.LBB31_2442:
	s_or_b32 s1, s1, exec_lo
	s_and_not1_b32 s8, s8, exec_lo
	s_trap 2
	s_or_b32 exec_lo, exec_lo, s6
	s_and_saveexec_b32 s6, s8
	s_delay_alu instid0(SALU_CYCLE_1)
	s_xor_b32 s6, exec_lo, s6
	s_cbranch_execnz .LBB31_2375
.LBB31_2443:
	s_or_b32 exec_lo, exec_lo, s6
	s_and_saveexec_b32 s6, s20
	s_cbranch_execz .LBB31_2489
.LBB31_2444:
	s_sext_i32_i16 s7, s0
	s_delay_alu instid0(SALU_CYCLE_1)
	s_cmp_lt_i32 s7, 5
	s_cbranch_scc1 .LBB31_2449
; %bb.2445:
	s_cmp_lt_i32 s7, 8
	s_cbranch_scc1 .LBB31_2450
; %bb.2446:
	;; [unrolled: 3-line block ×3, first 2 shown]
	s_cmp_gt_i32 s7, 9
	s_cbranch_scc0 .LBB31_2452
; %bb.2448:
	s_wait_loadcnt 0x0
	global_load_b64 v[10:11], v[14:15], off
	s_mov_b32 s7, 0
	s_wait_loadcnt 0x0
	v_trunc_f64_e32 v[10:11], v[10:11]
	s_delay_alu instid0(VALU_DEP_1) | instskip(NEXT) | instid1(VALU_DEP_1)
	v_ldexp_f64 v[12:13], v[10:11], 0xffffffe0
	v_floor_f64_e32 v[12:13], v[12:13]
	s_delay_alu instid0(VALU_DEP_1) | instskip(SKIP_1) | instid1(VALU_DEP_2)
	v_fmamk_f64 v[16:17], v[12:13], 0xc1f00000, v[10:11]
	v_cvt_i32_f64_e32 v11, v[12:13]
	v_cvt_u32_f64_e32 v10, v[16:17]
	s_branch .LBB31_2453
.LBB31_2449:
                                        ; implicit-def: $vgpr10_vgpr11
	s_branch .LBB31_2470
.LBB31_2450:
                                        ; implicit-def: $vgpr10_vgpr11
	s_branch .LBB31_2459
.LBB31_2451:
	s_mov_b32 s7, -1
                                        ; implicit-def: $vgpr10_vgpr11
	s_branch .LBB31_2456
.LBB31_2452:
	s_mov_b32 s7, -1
                                        ; implicit-def: $vgpr10_vgpr11
.LBB31_2453:
	s_delay_alu instid0(SALU_CYCLE_1)
	s_and_not1_b32 vcc_lo, exec_lo, s7
	s_cbranch_vccnz .LBB31_2455
; %bb.2454:
	s_wait_loadcnt 0x0
	global_load_b32 v3, v[14:15], off
	s_wait_loadcnt 0x0
	v_trunc_f32_e32 v3, v3
	s_delay_alu instid0(VALU_DEP_1) | instskip(SKIP_1) | instid1(VALU_DEP_2)
	v_mul_f32_e64 v7, 0x2f800000, |v3|
	v_ashrrev_i32_e32 v10, 31, v3
	v_floor_f32_e32 v7, v7
	s_delay_alu instid0(VALU_DEP_1) | instskip(SKIP_1) | instid1(VALU_DEP_4)
	v_fma_f32 v9, 0xcf800000, v7, |v3|
	v_cvt_u32_f32_e32 v3, v7
	v_mov_b32_e32 v11, v10
	s_delay_alu instid0(VALU_DEP_3) | instskip(NEXT) | instid1(VALU_DEP_3)
	v_cvt_u32_f32_e32 v7, v9
	v_xor_b32_e32 v13, v3, v10
	s_delay_alu instid0(VALU_DEP_2) | instskip(NEXT) | instid1(VALU_DEP_1)
	v_xor_b32_e32 v12, v7, v10
	v_sub_nc_u64_e32 v[10:11], v[12:13], v[10:11]
.LBB31_2455:
	s_mov_b32 s7, 0
.LBB31_2456:
	s_delay_alu instid0(SALU_CYCLE_1)
	s_and_not1_b32 vcc_lo, exec_lo, s7
	s_cbranch_vccnz .LBB31_2458
; %bb.2457:
	s_wait_loadcnt 0x0
	global_load_b32 v3, v[14:15], off
	s_wait_loadcnt 0x0
	v_cvt_f32_f16_e32 v3, v3
	s_delay_alu instid0(VALU_DEP_1) | instskip(NEXT) | instid1(VALU_DEP_1)
	v_cvt_i32_f32_e32 v10, v3
	v_ashrrev_i32_e32 v11, 31, v10
.LBB31_2458:
	s_cbranch_execnz .LBB31_2469
.LBB31_2459:
	s_sext_i32_i16 s7, s0
	s_delay_alu instid0(SALU_CYCLE_1)
	s_cmp_lt_i32 s7, 6
	s_cbranch_scc1 .LBB31_2462
; %bb.2460:
	s_cmp_gt_i32 s7, 6
	s_cbranch_scc0 .LBB31_2463
; %bb.2461:
	s_wait_loadcnt 0x0
	global_load_b64 v[10:11], v[14:15], off
	s_mov_b32 s7, 0
	s_wait_loadcnt 0x0
	v_trunc_f64_e32 v[10:11], v[10:11]
	s_delay_alu instid0(VALU_DEP_1) | instskip(NEXT) | instid1(VALU_DEP_1)
	v_ldexp_f64 v[12:13], v[10:11], 0xffffffe0
	v_floor_f64_e32 v[12:13], v[12:13]
	s_delay_alu instid0(VALU_DEP_1) | instskip(SKIP_1) | instid1(VALU_DEP_2)
	v_fmamk_f64 v[16:17], v[12:13], 0xc1f00000, v[10:11]
	v_cvt_i32_f64_e32 v11, v[12:13]
	v_cvt_u32_f64_e32 v10, v[16:17]
	s_branch .LBB31_2464
.LBB31_2462:
	s_mov_b32 s7, -1
                                        ; implicit-def: $vgpr10_vgpr11
	s_branch .LBB31_2467
.LBB31_2463:
	s_mov_b32 s7, -1
                                        ; implicit-def: $vgpr10_vgpr11
.LBB31_2464:
	s_delay_alu instid0(SALU_CYCLE_1)
	s_and_not1_b32 vcc_lo, exec_lo, s7
	s_cbranch_vccnz .LBB31_2466
; %bb.2465:
	s_wait_loadcnt 0x0
	global_load_b32 v3, v[14:15], off
	s_wait_loadcnt 0x0
	v_trunc_f32_e32 v3, v3
	s_delay_alu instid0(VALU_DEP_1) | instskip(SKIP_1) | instid1(VALU_DEP_2)
	v_mul_f32_e64 v7, 0x2f800000, |v3|
	v_ashrrev_i32_e32 v10, 31, v3
	v_floor_f32_e32 v7, v7
	s_delay_alu instid0(VALU_DEP_1) | instskip(SKIP_1) | instid1(VALU_DEP_4)
	v_fma_f32 v9, 0xcf800000, v7, |v3|
	v_cvt_u32_f32_e32 v3, v7
	v_mov_b32_e32 v11, v10
	s_delay_alu instid0(VALU_DEP_3) | instskip(NEXT) | instid1(VALU_DEP_3)
	v_cvt_u32_f32_e32 v7, v9
	v_xor_b32_e32 v13, v3, v10
	s_delay_alu instid0(VALU_DEP_2) | instskip(NEXT) | instid1(VALU_DEP_1)
	v_xor_b32_e32 v12, v7, v10
	v_sub_nc_u64_e32 v[10:11], v[12:13], v[10:11]
.LBB31_2466:
	s_mov_b32 s7, 0
.LBB31_2467:
	s_delay_alu instid0(SALU_CYCLE_1)
	s_and_not1_b32 vcc_lo, exec_lo, s7
	s_cbranch_vccnz .LBB31_2469
; %bb.2468:
	s_wait_loadcnt 0x0
	global_load_u16 v3, v[14:15], off
	s_wait_loadcnt 0x0
	v_cvt_f32_f16_e32 v3, v3
	s_delay_alu instid0(VALU_DEP_1) | instskip(NEXT) | instid1(VALU_DEP_1)
	v_cvt_i32_f32_e32 v10, v3
	v_ashrrev_i32_e32 v11, 31, v10
.LBB31_2469:
	s_cbranch_execnz .LBB31_2488
.LBB31_2470:
	s_sext_i32_i16 s7, s0
	s_delay_alu instid0(SALU_CYCLE_1)
	s_cmp_lt_i32 s7, 2
	s_cbranch_scc1 .LBB31_2474
; %bb.2471:
	s_cmp_lt_i32 s7, 3
	s_cbranch_scc1 .LBB31_2475
; %bb.2472:
	s_cmp_gt_i32 s7, 3
	s_cbranch_scc0 .LBB31_2476
; %bb.2473:
	s_wait_loadcnt 0x0
	global_load_b64 v[10:11], v[14:15], off
	s_mov_b32 s7, 0
	s_branch .LBB31_2477
.LBB31_2474:
                                        ; implicit-def: $vgpr10_vgpr11
	s_branch .LBB31_2483
.LBB31_2475:
	s_mov_b32 s7, -1
                                        ; implicit-def: $vgpr10_vgpr11
	s_branch .LBB31_2480
.LBB31_2476:
	s_mov_b32 s7, -1
                                        ; implicit-def: $vgpr10_vgpr11
.LBB31_2477:
	s_delay_alu instid0(SALU_CYCLE_1)
	s_and_not1_b32 vcc_lo, exec_lo, s7
	s_cbranch_vccnz .LBB31_2479
; %bb.2478:
	s_wait_loadcnt 0x0
	global_load_b32 v10, v[14:15], off
	s_wait_loadcnt 0x0
	v_ashrrev_i32_e32 v11, 31, v10
.LBB31_2479:
	s_mov_b32 s7, 0
.LBB31_2480:
	s_delay_alu instid0(SALU_CYCLE_1)
	s_and_not1_b32 vcc_lo, exec_lo, s7
	s_cbranch_vccnz .LBB31_2482
; %bb.2481:
	s_wait_loadcnt 0x0
	global_load_u16 v3, v[14:15], off
	s_wait_loadcnt 0x0
	v_bfe_i32 v10, v3, 0, 16
	s_delay_alu instid0(VALU_DEP_1)
	v_ashrrev_i32_e32 v11, 31, v10
.LBB31_2482:
	s_cbranch_execnz .LBB31_2488
.LBB31_2483:
	s_sext_i32_i16 s0, s0
	s_delay_alu instid0(SALU_CYCLE_1)
	s_cmp_gt_i32 s0, 0
	s_mov_b32 s0, 0
	s_cbranch_scc0 .LBB31_2485
; %bb.2484:
	s_wait_loadcnt 0x0
	global_load_i8 v3, v[14:15], off
	s_wait_loadcnt 0x0
	v_bfe_i32 v10, v3, 0, 16
	s_delay_alu instid0(VALU_DEP_1)
	v_ashrrev_i32_e32 v11, 31, v10
	s_branch .LBB31_2486
.LBB31_2485:
	s_mov_b32 s0, -1
                                        ; implicit-def: $vgpr10_vgpr11
.LBB31_2486:
	s_delay_alu instid0(SALU_CYCLE_1)
	s_and_not1_b32 vcc_lo, exec_lo, s0
	s_cbranch_vccnz .LBB31_2488
; %bb.2487:
	s_wait_loadcnt 0x0
	global_load_u8 v3, v[14:15], off
	s_mov_b32 s0, 0
	s_delay_alu instid0(SALU_CYCLE_1)
	v_mov_b32_e32 v11, s0
	s_wait_loadcnt 0x0
	v_and_b32_e32 v10, 0xffff, v3
.LBB31_2488:
	s_or_b32 s9, s9, exec_lo
.LBB31_2489:
	s_wait_xcnt 0x0
	s_or_b32 exec_lo, exec_lo, s6
	s_mov_b32 s8, 0
	s_mov_b32 s10, 0
	;; [unrolled: 1-line block ×3, first 2 shown]
                                        ; implicit-def: $sgpr0
                                        ; implicit-def: $vgpr14_vgpr15
                                        ; implicit-def: $vgpr12_vgpr13
	s_and_saveexec_b32 s6, s9
	s_cbranch_execz .LBB31_2497
; %bb.2490:
	s_load_b512 s[8:23], s[2:3], 0x248
	s_wait_loadcnt 0x0
	v_mov_b32_e32 v9, 0
	s_and_b32 s0, s75, 0xff
	s_delay_alu instid0(SALU_CYCLE_1) | instskip(SKIP_1) | instid1(VALU_DEP_1)
	s_cmp_lt_i32 s0, 11
	s_wait_kmcnt 0x0
	v_add_nc_u64_e32 v[14:15], s[16:17], v[8:9]
	s_cbranch_scc1 .LBB31_2500
; %bb.2491:
	s_and_b32 s7, 0xffff, s0
	s_mov_b32 s9, 0
	s_cmp_gt_i32 s7, 25
	s_cbranch_scc0 .LBB31_2501
; %bb.2492:
	s_cmp_gt_i32 s7, 28
	s_cbranch_scc0 .LBB31_2502
; %bb.2493:
	;; [unrolled: 3-line block ×4, first 2 shown]
	s_cmp_eq_u32 s7, 46
	s_mov_b32 s11, 0
	s_cbranch_scc0 .LBB31_2505
; %bb.2496:
	global_load_b32 v3, v[14:15], off
	s_mov_b32 s8, 0
	s_mov_b32 s10, -1
	s_wait_loadcnt 0x0
	v_lshlrev_b32_e32 v3, 16, v3
	s_delay_alu instid0(VALU_DEP_1) | instskip(NEXT) | instid1(VALU_DEP_1)
	v_trunc_f32_e32 v3, v3
	v_mul_f32_e64 v7, 0x2f800000, |v3|
	v_ashrrev_i32_e32 v8, 31, v3
	s_delay_alu instid0(VALU_DEP_2) | instskip(NEXT) | instid1(VALU_DEP_1)
	v_floor_f32_e32 v7, v7
	v_fma_f32 v9, 0xcf800000, v7, |v3|
	v_cvt_u32_f32_e32 v3, v7
	s_delay_alu instid0(VALU_DEP_2) | instskip(NEXT) | instid1(VALU_DEP_2)
	v_cvt_u32_f32_e32 v7, v9
	v_dual_mov_b32 v9, v8 :: v_dual_bitop2_b32 v13, v3, v8 bitop3:0x14
	s_delay_alu instid0(VALU_DEP_2) | instskip(NEXT) | instid1(VALU_DEP_1)
	v_xor_b32_e32 v12, v7, v8
	v_sub_nc_u64_e32 v[12:13], v[12:13], v[8:9]
	s_branch .LBB31_2507
.LBB31_2497:
	s_or_b32 exec_lo, exec_lo, s6
	s_and_saveexec_b32 s6, s83
	s_cbranch_execnz .LBB31_2566
.LBB31_2498:
	s_or_b32 exec_lo, exec_lo, s6
	s_and_saveexec_b32 s6, s8
	s_delay_alu instid0(SALU_CYCLE_1)
	s_xor_b32 s6, exec_lo, s6
	s_cbranch_execz .LBB31_2567
.LBB31_2499:
	s_wait_loadcnt 0x0
	global_load_u8 v3, v[14:15], off
	s_mov_b32 s8, 0
	s_or_b32 s7, s7, exec_lo
	v_mov_b32_e32 v13, s8
	s_wait_loadcnt 0x0
	v_cmp_ne_u16_e32 vcc_lo, 0, v3
	v_cndmask_b32_e64 v12, 0, 1, vcc_lo
	s_wait_xcnt 0x0
	s_or_b32 exec_lo, exec_lo, s6
	s_and_saveexec_b32 s6, s10
	s_cbranch_execz .LBB31_2613
	s_branch .LBB31_2568
.LBB31_2500:
	s_mov_b32 s11, -1
	s_mov_b32 s10, 0
	s_mov_b32 s9, 0
	;; [unrolled: 1-line block ×3, first 2 shown]
                                        ; implicit-def: $vgpr12_vgpr13
	s_branch .LBB31_2565
.LBB31_2501:
	s_mov_b32 s10, 0
	s_mov_b32 s8, s83
                                        ; implicit-def: $vgpr12_vgpr13
	s_cbranch_execnz .LBB31_2534
	s_branch .LBB31_2564
.LBB31_2502:
	s_mov_b32 s11, -1
	s_mov_b32 s10, 0
	s_mov_b32 s8, s83
                                        ; implicit-def: $vgpr12_vgpr13
	s_branch .LBB31_2517
.LBB31_2503:
	s_mov_b32 s11, -1
	s_mov_b32 s10, 0
	s_mov_b32 s8, s83
                                        ; implicit-def: $vgpr12_vgpr13
	s_branch .LBB31_2512
.LBB31_2504:
	s_mov_b32 s11, -1
	s_mov_b32 s10, 0
	s_mov_b32 s8, s83
	s_branch .LBB31_2506
.LBB31_2505:
	s_mov_b32 s8, -1
	s_mov_b32 s10, 0
.LBB31_2506:
                                        ; implicit-def: $vgpr12_vgpr13
.LBB31_2507:
	s_and_b32 vcc_lo, exec_lo, s11
	s_cbranch_vccz .LBB31_2511
; %bb.2508:
	s_cmp_eq_u32 s7, 44
	s_cbranch_scc0 .LBB31_2510
; %bb.2509:
	global_load_u8 v3, v[14:15], off
	s_mov_b32 s8, 0
	s_mov_b32 s10, -1
	s_wait_loadcnt 0x0
	v_lshlrev_b32_e32 v7, 23, v3
	v_cmp_ne_u32_e32 vcc_lo, 0, v3
	s_delay_alu instid0(VALU_DEP_2) | instskip(NEXT) | instid1(VALU_DEP_1)
	v_trunc_f32_e32 v7, v7
	v_mul_f32_e64 v8, 0x2f800000, |v7|
	s_delay_alu instid0(VALU_DEP_1) | instskip(SKIP_1) | instid1(VALU_DEP_2)
	v_floor_f32_e32 v9, v8
	v_ashrrev_i32_e32 v8, 31, v7
	v_fma_f32 v12, 0xcf800000, v9, |v7|
	v_cvt_u32_f32_e32 v7, v9
	s_delay_alu instid0(VALU_DEP_3) | instskip(NEXT) | instid1(VALU_DEP_3)
	v_mov_b32_e32 v9, v8
	v_cvt_u32_f32_e32 v12, v12
	s_delay_alu instid0(VALU_DEP_3) | instskip(NEXT) | instid1(VALU_DEP_2)
	v_xor_b32_e32 v13, v7, v8
	v_xor_b32_e32 v12, v12, v8
	s_delay_alu instid0(VALU_DEP_1) | instskip(NEXT) | instid1(VALU_DEP_1)
	v_sub_nc_u64_e32 v[8:9], v[12:13], v[8:9]
	v_dual_cndmask_b32 v13, 0, v9 :: v_dual_cndmask_b32 v12, 0, v8
	s_branch .LBB31_2511
.LBB31_2510:
	s_mov_b32 s8, -1
                                        ; implicit-def: $vgpr12_vgpr13
.LBB31_2511:
	s_mov_b32 s11, 0
.LBB31_2512:
	s_delay_alu instid0(SALU_CYCLE_1)
	s_and_b32 vcc_lo, exec_lo, s11
	s_cbranch_vccz .LBB31_2516
; %bb.2513:
	s_cmp_eq_u32 s7, 29
	s_cbranch_scc0 .LBB31_2515
; %bb.2514:
	global_load_b64 v[12:13], v[14:15], off
	s_mov_b32 s8, 0
	s_mov_b32 s10, -1
	s_branch .LBB31_2516
.LBB31_2515:
	s_mov_b32 s8, -1
                                        ; implicit-def: $vgpr12_vgpr13
.LBB31_2516:
	s_mov_b32 s11, 0
.LBB31_2517:
	s_delay_alu instid0(SALU_CYCLE_1)
	s_and_b32 vcc_lo, exec_lo, s11
	s_cbranch_vccz .LBB31_2533
; %bb.2518:
	s_cmp_lt_i32 s7, 27
	s_cbranch_scc1 .LBB31_2521
; %bb.2519:
	s_cmp_gt_i32 s7, 27
	s_cbranch_scc0 .LBB31_2522
; %bb.2520:
	s_wait_loadcnt 0x0
	global_load_b32 v12, v[14:15], off
	v_mov_b32_e32 v13, 0
	s_mov_b32 s10, 0
	s_branch .LBB31_2523
.LBB31_2521:
	s_mov_b32 s10, -1
                                        ; implicit-def: $vgpr12_vgpr13
	s_branch .LBB31_2526
.LBB31_2522:
	s_mov_b32 s10, -1
                                        ; implicit-def: $vgpr12_vgpr13
.LBB31_2523:
	s_delay_alu instid0(SALU_CYCLE_1)
	s_and_not1_b32 vcc_lo, exec_lo, s10
	s_cbranch_vccnz .LBB31_2525
; %bb.2524:
	global_load_u16 v3, v[14:15], off
	s_mov_b32 s10, 0
	s_wait_loadcnt 0x1
	v_mov_b32_e32 v13, s10
	s_wait_loadcnt 0x0
	v_and_b32_e32 v12, 0xffff, v3
.LBB31_2525:
	s_mov_b32 s10, 0
.LBB31_2526:
	s_delay_alu instid0(SALU_CYCLE_1)
	s_and_not1_b32 vcc_lo, exec_lo, s10
	s_cbranch_vccnz .LBB31_2532
; %bb.2527:
	global_load_u8 v3, v[14:15], off
	s_mov_b32 s11, 0
	s_mov_b32 s10, exec_lo
	s_wait_loadcnt 0x0
	v_cmpx_lt_i16_e32 0x7f, v3
	s_xor_b32 s10, exec_lo, s10
	s_cbranch_execz .LBB31_2543
; %bb.2528:
	v_cmp_ne_u16_e32 vcc_lo, 0x80, v3
	s_and_b32 s11, vcc_lo, exec_lo
	s_and_not1_saveexec_b32 s10, s10
	s_cbranch_execnz .LBB31_2544
.LBB31_2529:
	s_or_b32 exec_lo, exec_lo, s10
	v_mov_b64_e32 v[12:13], 0
	s_and_saveexec_b32 s10, s11
	s_cbranch_execz .LBB31_2531
.LBB31_2530:
	v_and_b32_e32 v7, 0xffff, v3
	s_delay_alu instid0(VALU_DEP_1) | instskip(SKIP_1) | instid1(VALU_DEP_2)
	v_and_b32_e32 v8, 7, v7
	v_bfe_u32 v13, v7, 3, 4
	v_clz_i32_u32_e32 v9, v8
	s_delay_alu instid0(VALU_DEP_2) | instskip(NEXT) | instid1(VALU_DEP_2)
	v_cmp_eq_u32_e32 vcc_lo, 0, v13
	v_min_u32_e32 v9, 32, v9
	s_delay_alu instid0(VALU_DEP_1) | instskip(NEXT) | instid1(VALU_DEP_1)
	v_subrev_nc_u32_e32 v12, 28, v9
	v_dual_lshlrev_b32 v7, v12, v7 :: v_dual_sub_nc_u32 v9, 29, v9
	s_delay_alu instid0(VALU_DEP_1) | instskip(NEXT) | instid1(VALU_DEP_2)
	v_and_b32_e32 v7, 7, v7
	v_dual_lshlrev_b32 v3, 24, v3 :: v_dual_cndmask_b32 v9, v13, v9, vcc_lo
	s_delay_alu instid0(VALU_DEP_2) | instskip(NEXT) | instid1(VALU_DEP_2)
	v_cndmask_b32_e32 v7, v8, v7, vcc_lo
	v_and_b32_e32 v3, 0x80000000, v3
	s_delay_alu instid0(VALU_DEP_3) | instskip(NEXT) | instid1(VALU_DEP_3)
	v_lshl_add_u32 v8, v9, 23, 0x3b800000
	v_lshlrev_b32_e32 v7, 20, v7
	s_delay_alu instid0(VALU_DEP_1) | instskip(NEXT) | instid1(VALU_DEP_1)
	v_or3_b32 v3, v3, v8, v7
	v_trunc_f32_e32 v3, v3
	s_delay_alu instid0(VALU_DEP_1) | instskip(SKIP_1) | instid1(VALU_DEP_2)
	v_mul_f32_e64 v7, 0x2f800000, |v3|
	v_ashrrev_i32_e32 v8, 31, v3
	v_floor_f32_e32 v7, v7
	s_delay_alu instid0(VALU_DEP_1) | instskip(SKIP_1) | instid1(VALU_DEP_2)
	v_fma_f32 v9, 0xcf800000, v7, |v3|
	v_cvt_u32_f32_e32 v3, v7
	v_cvt_u32_f32_e32 v7, v9
	s_delay_alu instid0(VALU_DEP_2) | instskip(NEXT) | instid1(VALU_DEP_2)
	v_dual_mov_b32 v9, v8 :: v_dual_bitop2_b32 v13, v3, v8 bitop3:0x14
	v_xor_b32_e32 v12, v7, v8
	s_delay_alu instid0(VALU_DEP_1)
	v_sub_nc_u64_e32 v[12:13], v[12:13], v[8:9]
.LBB31_2531:
	s_or_b32 exec_lo, exec_lo, s10
.LBB31_2532:
	s_mov_b32 s10, -1
.LBB31_2533:
	s_branch .LBB31_2564
.LBB31_2534:
	s_cmp_gt_i32 s7, 22
	s_cbranch_scc0 .LBB31_2542
; %bb.2535:
	s_cmp_lt_i32 s7, 24
	s_cbranch_scc1 .LBB31_2545
; %bb.2536:
	s_cmp_gt_i32 s7, 24
	s_cbranch_scc0 .LBB31_2546
; %bb.2537:
	global_load_u8 v3, v[14:15], off
	s_mov_b32 s10, 0
	s_mov_b32 s9, exec_lo
	s_wait_loadcnt 0x0
	v_cmpx_lt_i16_e32 0x7f, v3
	s_xor_b32 s9, exec_lo, s9
	s_cbranch_execz .LBB31_2558
; %bb.2538:
	v_cmp_ne_u16_e32 vcc_lo, 0x80, v3
	s_and_b32 s10, vcc_lo, exec_lo
	s_and_not1_saveexec_b32 s9, s9
	s_cbranch_execnz .LBB31_2559
.LBB31_2539:
	s_or_b32 exec_lo, exec_lo, s9
	v_mov_b64_e32 v[12:13], 0
	s_and_saveexec_b32 s9, s10
	s_cbranch_execz .LBB31_2541
.LBB31_2540:
	v_and_b32_e32 v7, 0xffff, v3
	s_delay_alu instid0(VALU_DEP_1) | instskip(SKIP_1) | instid1(VALU_DEP_2)
	v_and_b32_e32 v8, 3, v7
	v_bfe_u32 v13, v7, 2, 5
	v_clz_i32_u32_e32 v9, v8
	s_delay_alu instid0(VALU_DEP_2) | instskip(NEXT) | instid1(VALU_DEP_2)
	v_cmp_eq_u32_e32 vcc_lo, 0, v13
	v_min_u32_e32 v9, 32, v9
	s_delay_alu instid0(VALU_DEP_1) | instskip(NEXT) | instid1(VALU_DEP_1)
	v_subrev_nc_u32_e32 v12, 29, v9
	v_dual_lshlrev_b32 v7, v12, v7 :: v_dual_sub_nc_u32 v9, 30, v9
	s_delay_alu instid0(VALU_DEP_1) | instskip(NEXT) | instid1(VALU_DEP_2)
	v_and_b32_e32 v7, 3, v7
	v_dual_lshlrev_b32 v3, 24, v3 :: v_dual_cndmask_b32 v9, v13, v9, vcc_lo
	s_delay_alu instid0(VALU_DEP_2) | instskip(NEXT) | instid1(VALU_DEP_2)
	v_cndmask_b32_e32 v7, v8, v7, vcc_lo
	v_and_b32_e32 v3, 0x80000000, v3
	s_delay_alu instid0(VALU_DEP_3) | instskip(NEXT) | instid1(VALU_DEP_3)
	v_lshl_add_u32 v8, v9, 23, 0x37800000
	v_lshlrev_b32_e32 v7, 21, v7
	s_delay_alu instid0(VALU_DEP_1) | instskip(NEXT) | instid1(VALU_DEP_1)
	v_or3_b32 v3, v3, v8, v7
	v_trunc_f32_e32 v3, v3
	s_delay_alu instid0(VALU_DEP_1) | instskip(SKIP_1) | instid1(VALU_DEP_2)
	v_mul_f32_e64 v7, 0x2f800000, |v3|
	v_ashrrev_i32_e32 v8, 31, v3
	v_floor_f32_e32 v7, v7
	s_delay_alu instid0(VALU_DEP_1) | instskip(SKIP_1) | instid1(VALU_DEP_2)
	v_fma_f32 v9, 0xcf800000, v7, |v3|
	v_cvt_u32_f32_e32 v3, v7
	v_cvt_u32_f32_e32 v7, v9
	s_delay_alu instid0(VALU_DEP_2) | instskip(NEXT) | instid1(VALU_DEP_2)
	v_dual_mov_b32 v9, v8 :: v_dual_bitop2_b32 v13, v3, v8 bitop3:0x14
	v_xor_b32_e32 v12, v7, v8
	s_delay_alu instid0(VALU_DEP_1)
	v_sub_nc_u64_e32 v[12:13], v[12:13], v[8:9]
.LBB31_2541:
	s_or_b32 exec_lo, exec_lo, s9
	s_mov_b32 s9, 0
	s_branch .LBB31_2547
.LBB31_2542:
	s_mov_b32 s9, -1
                                        ; implicit-def: $vgpr12_vgpr13
	s_branch .LBB31_2553
.LBB31_2543:
	s_and_not1_saveexec_b32 s10, s10
	s_cbranch_execz .LBB31_2529
.LBB31_2544:
	v_cmp_ne_u16_e32 vcc_lo, 0, v3
	s_and_not1_b32 s11, s11, exec_lo
	s_and_b32 s12, vcc_lo, exec_lo
	s_delay_alu instid0(SALU_CYCLE_1)
	s_or_b32 s11, s11, s12
	s_or_b32 exec_lo, exec_lo, s10
	v_mov_b64_e32 v[12:13], 0
	s_and_saveexec_b32 s10, s11
	s_cbranch_execnz .LBB31_2530
	s_branch .LBB31_2531
.LBB31_2545:
	s_mov_b32 s9, -1
                                        ; implicit-def: $vgpr12_vgpr13
	s_branch .LBB31_2550
.LBB31_2546:
	s_mov_b32 s9, -1
                                        ; implicit-def: $vgpr12_vgpr13
.LBB31_2547:
	s_delay_alu instid0(SALU_CYCLE_1)
	s_and_b32 vcc_lo, exec_lo, s9
	s_cbranch_vccz .LBB31_2549
; %bb.2548:
	global_load_u8 v3, v[14:15], off
	s_wait_loadcnt 0x0
	v_lshlrev_b32_e32 v3, 24, v3
	s_delay_alu instid0(VALU_DEP_1) | instskip(NEXT) | instid1(VALU_DEP_1)
	v_and_b32_e32 v7, 0x7f000000, v3
	v_clz_i32_u32_e32 v8, v7
	v_cmp_ne_u32_e32 vcc_lo, 0, v7
	v_add_nc_u32_e32 v12, 0x1000000, v7
	s_delay_alu instid0(VALU_DEP_3) | instskip(NEXT) | instid1(VALU_DEP_1)
	v_min_u32_e32 v8, 32, v8
	v_sub_nc_u32_e64 v8, v8, 4 clamp
	s_delay_alu instid0(VALU_DEP_1) | instskip(NEXT) | instid1(VALU_DEP_1)
	v_dual_lshlrev_b32 v9, v8, v7 :: v_dual_lshlrev_b32 v8, 23, v8
	v_lshrrev_b32_e32 v9, 4, v9
	s_delay_alu instid0(VALU_DEP_1) | instskip(SKIP_1) | instid1(VALU_DEP_2)
	v_sub_nc_u32_e32 v8, v9, v8
	v_ashrrev_i32_e32 v9, 8, v12
	v_add_nc_u32_e32 v8, 0x3c000000, v8
	s_delay_alu instid0(VALU_DEP_1) | instskip(NEXT) | instid1(VALU_DEP_1)
	v_and_or_b32 v8, 0x7f800000, v9, v8
	v_cndmask_b32_e32 v7, 0, v8, vcc_lo
	s_delay_alu instid0(VALU_DEP_1) | instskip(NEXT) | instid1(VALU_DEP_1)
	v_and_or_b32 v3, 0x80000000, v3, v7
	v_trunc_f32_e32 v3, v3
	s_delay_alu instid0(VALU_DEP_1) | instskip(SKIP_1) | instid1(VALU_DEP_2)
	v_mul_f32_e64 v7, 0x2f800000, |v3|
	v_ashrrev_i32_e32 v8, 31, v3
	v_floor_f32_e32 v7, v7
	s_delay_alu instid0(VALU_DEP_1) | instskip(SKIP_1) | instid1(VALU_DEP_2)
	v_fma_f32 v9, 0xcf800000, v7, |v3|
	v_cvt_u32_f32_e32 v3, v7
	v_cvt_u32_f32_e32 v7, v9
	s_delay_alu instid0(VALU_DEP_2) | instskip(NEXT) | instid1(VALU_DEP_2)
	v_dual_mov_b32 v9, v8 :: v_dual_bitop2_b32 v13, v3, v8 bitop3:0x14
	v_xor_b32_e32 v12, v7, v8
	s_delay_alu instid0(VALU_DEP_1)
	v_sub_nc_u64_e32 v[12:13], v[12:13], v[8:9]
.LBB31_2549:
	s_mov_b32 s9, 0
.LBB31_2550:
	s_delay_alu instid0(SALU_CYCLE_1)
	s_and_not1_b32 vcc_lo, exec_lo, s9
	s_cbranch_vccnz .LBB31_2552
; %bb.2551:
	global_load_u8 v3, v[14:15], off
	s_wait_loadcnt 0x0
	v_lshlrev_b32_e32 v7, 25, v3
	v_lshlrev_b16 v3, 8, v3
	s_delay_alu instid0(VALU_DEP_1) | instskip(SKIP_1) | instid1(VALU_DEP_2)
	v_and_or_b32 v9, 0x7f00, v3, 0.5
	v_bfe_i32 v3, v3, 0, 16
	v_dual_add_f32 v9, -0.5, v9 :: v_dual_lshrrev_b32 v8, 4, v7
	v_cmp_gt_u32_e32 vcc_lo, 0x8000000, v7
	s_delay_alu instid0(VALU_DEP_2) | instskip(NEXT) | instid1(VALU_DEP_1)
	v_or_b32_e32 v8, 0x70000000, v8
	v_mul_f32_e32 v8, 0x7800000, v8
	s_delay_alu instid0(VALU_DEP_1) | instskip(NEXT) | instid1(VALU_DEP_1)
	v_cndmask_b32_e32 v7, v8, v9, vcc_lo
	v_and_or_b32 v3, 0x80000000, v3, v7
	s_delay_alu instid0(VALU_DEP_1) | instskip(NEXT) | instid1(VALU_DEP_1)
	v_trunc_f32_e32 v3, v3
	v_mul_f32_e64 v7, 0x2f800000, |v3|
	v_ashrrev_i32_e32 v8, 31, v3
	s_delay_alu instid0(VALU_DEP_2) | instskip(NEXT) | instid1(VALU_DEP_1)
	v_floor_f32_e32 v7, v7
	v_fma_f32 v9, 0xcf800000, v7, |v3|
	v_cvt_u32_f32_e32 v3, v7
	s_delay_alu instid0(VALU_DEP_2) | instskip(NEXT) | instid1(VALU_DEP_2)
	v_cvt_u32_f32_e32 v7, v9
	v_dual_mov_b32 v9, v8 :: v_dual_bitop2_b32 v13, v3, v8 bitop3:0x14
	s_delay_alu instid0(VALU_DEP_2) | instskip(NEXT) | instid1(VALU_DEP_1)
	v_xor_b32_e32 v12, v7, v8
	v_sub_nc_u64_e32 v[12:13], v[12:13], v[8:9]
.LBB31_2552:
	s_mov_b32 s9, 0
	s_mov_b32 s10, -1
.LBB31_2553:
	s_and_not1_b32 vcc_lo, exec_lo, s9
	s_mov_b32 s9, 0
	s_cbranch_vccnz .LBB31_2564
; %bb.2554:
	s_cmp_gt_i32 s7, 14
	s_cbranch_scc0 .LBB31_2557
; %bb.2555:
	s_cmp_eq_u32 s7, 15
	s_cbranch_scc0 .LBB31_2560
; %bb.2556:
	global_load_u16 v3, v[14:15], off
	s_mov_b32 s8, 0
	s_mov_b32 s10, -1
	s_wait_loadcnt 0x0
	v_lshlrev_b32_e32 v3, 16, v3
	s_delay_alu instid0(VALU_DEP_1) | instskip(NEXT) | instid1(VALU_DEP_1)
	v_trunc_f32_e32 v3, v3
	v_mul_f32_e64 v7, 0x2f800000, |v3|
	v_ashrrev_i32_e32 v8, 31, v3
	s_delay_alu instid0(VALU_DEP_2) | instskip(NEXT) | instid1(VALU_DEP_1)
	v_floor_f32_e32 v7, v7
	v_fma_f32 v9, 0xcf800000, v7, |v3|
	v_cvt_u32_f32_e32 v3, v7
	s_delay_alu instid0(VALU_DEP_2) | instskip(NEXT) | instid1(VALU_DEP_2)
	v_cvt_u32_f32_e32 v7, v9
	v_dual_mov_b32 v9, v8 :: v_dual_bitop2_b32 v13, v3, v8 bitop3:0x14
	s_delay_alu instid0(VALU_DEP_2) | instskip(NEXT) | instid1(VALU_DEP_1)
	v_xor_b32_e32 v12, v7, v8
	v_sub_nc_u64_e32 v[12:13], v[12:13], v[8:9]
	s_branch .LBB31_2562
.LBB31_2557:
	s_mov_b32 s9, -1
	s_branch .LBB31_2561
.LBB31_2558:
	s_and_not1_saveexec_b32 s9, s9
	s_cbranch_execz .LBB31_2539
.LBB31_2559:
	v_cmp_ne_u16_e32 vcc_lo, 0, v3
	s_and_not1_b32 s10, s10, exec_lo
	s_and_b32 s11, vcc_lo, exec_lo
	s_delay_alu instid0(SALU_CYCLE_1)
	s_or_b32 s10, s10, s11
	s_or_b32 exec_lo, exec_lo, s9
	v_mov_b64_e32 v[12:13], 0
	s_and_saveexec_b32 s9, s10
	s_cbranch_execnz .LBB31_2540
	s_branch .LBB31_2541
.LBB31_2560:
	s_mov_b32 s8, -1
.LBB31_2561:
                                        ; implicit-def: $vgpr12_vgpr13
.LBB31_2562:
	s_and_b32 vcc_lo, exec_lo, s9
	s_mov_b32 s9, 0
	s_cbranch_vccz .LBB31_2564
; %bb.2563:
	s_cmp_lg_u32 s7, 11
	s_mov_b32 s9, -1
	s_cselect_b32 s7, -1, 0
	s_and_not1_b32 s8, s8, exec_lo
	s_and_b32 s7, s7, exec_lo
	s_delay_alu instid0(SALU_CYCLE_1)
	s_or_b32 s8, s8, s7
.LBB31_2564:
	s_mov_b32 s11, 0
.LBB31_2565:
	s_and_b32 s7, s10, exec_lo
	s_and_b32 s10, s11, exec_lo
	s_and_not1_b32 s11, s83, exec_lo
	s_and_b32 s12, s8, exec_lo
	s_and_b32 s8, s9, exec_lo
	s_or_b32 s83, s11, s12
	s_wait_xcnt 0x0
	s_or_b32 exec_lo, exec_lo, s6
	s_and_saveexec_b32 s6, s83
	s_cbranch_execz .LBB31_2498
.LBB31_2566:
	s_or_b32 s1, s1, exec_lo
	s_and_not1_b32 s8, s8, exec_lo
	s_trap 2
	s_or_b32 exec_lo, exec_lo, s6
	s_and_saveexec_b32 s6, s8
	s_delay_alu instid0(SALU_CYCLE_1)
	s_xor_b32 s6, exec_lo, s6
	s_cbranch_execnz .LBB31_2499
.LBB31_2567:
	s_or_b32 exec_lo, exec_lo, s6
	s_and_saveexec_b32 s6, s10
	s_cbranch_execz .LBB31_2613
.LBB31_2568:
	s_sext_i32_i16 s8, s0
	s_delay_alu instid0(SALU_CYCLE_1)
	s_cmp_lt_i32 s8, 5
	s_cbranch_scc1 .LBB31_2573
; %bb.2569:
	s_cmp_lt_i32 s8, 8
	s_cbranch_scc1 .LBB31_2574
; %bb.2570:
	s_cmp_lt_i32 s8, 9
	s_cbranch_scc1 .LBB31_2575
; %bb.2571:
	s_cmp_gt_i32 s8, 9
	s_cbranch_scc0 .LBB31_2576
; %bb.2572:
	s_wait_loadcnt 0x0
	global_load_b64 v[8:9], v[14:15], off
	s_mov_b32 s8, 0
	s_wait_loadcnt 0x0
	v_trunc_f64_e32 v[8:9], v[8:9]
	s_delay_alu instid0(VALU_DEP_1) | instskip(NEXT) | instid1(VALU_DEP_1)
	v_ldexp_f64 v[12:13], v[8:9], 0xffffffe0
	v_floor_f64_e32 v[12:13], v[12:13]
	s_delay_alu instid0(VALU_DEP_1) | instskip(SKIP_1) | instid1(VALU_DEP_2)
	v_fmamk_f64 v[8:9], v[12:13], 0xc1f00000, v[8:9]
	v_cvt_i32_f64_e32 v13, v[12:13]
	v_cvt_u32_f64_e32 v12, v[8:9]
	s_branch .LBB31_2577
.LBB31_2573:
                                        ; implicit-def: $vgpr12_vgpr13
	s_branch .LBB31_2594
.LBB31_2574:
                                        ; implicit-def: $vgpr12_vgpr13
	s_branch .LBB31_2583
.LBB31_2575:
	s_mov_b32 s8, -1
                                        ; implicit-def: $vgpr12_vgpr13
	s_branch .LBB31_2580
.LBB31_2576:
	s_mov_b32 s8, -1
                                        ; implicit-def: $vgpr12_vgpr13
.LBB31_2577:
	s_delay_alu instid0(SALU_CYCLE_1)
	s_and_not1_b32 vcc_lo, exec_lo, s8
	s_cbranch_vccnz .LBB31_2579
; %bb.2578:
	s_wait_loadcnt 0x0
	global_load_b32 v3, v[14:15], off
	s_wait_loadcnt 0x0
	v_trunc_f32_e32 v3, v3
	s_delay_alu instid0(VALU_DEP_1) | instskip(SKIP_1) | instid1(VALU_DEP_2)
	v_mul_f32_e64 v7, 0x2f800000, |v3|
	v_ashrrev_i32_e32 v8, 31, v3
	v_floor_f32_e32 v7, v7
	s_delay_alu instid0(VALU_DEP_1) | instskip(SKIP_1) | instid1(VALU_DEP_2)
	v_fma_f32 v9, 0xcf800000, v7, |v3|
	v_cvt_u32_f32_e32 v3, v7
	v_cvt_u32_f32_e32 v7, v9
	s_delay_alu instid0(VALU_DEP_2) | instskip(NEXT) | instid1(VALU_DEP_2)
	v_dual_mov_b32 v9, v8 :: v_dual_bitop2_b32 v13, v3, v8 bitop3:0x14
	v_xor_b32_e32 v12, v7, v8
	s_delay_alu instid0(VALU_DEP_1)
	v_sub_nc_u64_e32 v[12:13], v[12:13], v[8:9]
.LBB31_2579:
	s_mov_b32 s8, 0
.LBB31_2580:
	s_delay_alu instid0(SALU_CYCLE_1)
	s_and_not1_b32 vcc_lo, exec_lo, s8
	s_cbranch_vccnz .LBB31_2582
; %bb.2581:
	s_wait_loadcnt 0x0
	global_load_b32 v3, v[14:15], off
	s_wait_loadcnt 0x0
	v_cvt_f32_f16_e32 v3, v3
	s_delay_alu instid0(VALU_DEP_1) | instskip(NEXT) | instid1(VALU_DEP_1)
	v_cvt_i32_f32_e32 v12, v3
	v_ashrrev_i32_e32 v13, 31, v12
.LBB31_2582:
	s_cbranch_execnz .LBB31_2593
.LBB31_2583:
	s_sext_i32_i16 s8, s0
	s_delay_alu instid0(SALU_CYCLE_1)
	s_cmp_lt_i32 s8, 6
	s_cbranch_scc1 .LBB31_2586
; %bb.2584:
	s_cmp_gt_i32 s8, 6
	s_cbranch_scc0 .LBB31_2587
; %bb.2585:
	s_wait_loadcnt 0x0
	global_load_b64 v[8:9], v[14:15], off
	s_mov_b32 s8, 0
	s_wait_loadcnt 0x0
	v_trunc_f64_e32 v[8:9], v[8:9]
	s_delay_alu instid0(VALU_DEP_1) | instskip(NEXT) | instid1(VALU_DEP_1)
	v_ldexp_f64 v[12:13], v[8:9], 0xffffffe0
	v_floor_f64_e32 v[12:13], v[12:13]
	s_delay_alu instid0(VALU_DEP_1) | instskip(SKIP_1) | instid1(VALU_DEP_2)
	v_fmamk_f64 v[8:9], v[12:13], 0xc1f00000, v[8:9]
	v_cvt_i32_f64_e32 v13, v[12:13]
	v_cvt_u32_f64_e32 v12, v[8:9]
	s_branch .LBB31_2588
.LBB31_2586:
	s_mov_b32 s8, -1
                                        ; implicit-def: $vgpr12_vgpr13
	s_branch .LBB31_2591
.LBB31_2587:
	s_mov_b32 s8, -1
                                        ; implicit-def: $vgpr12_vgpr13
.LBB31_2588:
	s_delay_alu instid0(SALU_CYCLE_1)
	s_and_not1_b32 vcc_lo, exec_lo, s8
	s_cbranch_vccnz .LBB31_2590
; %bb.2589:
	s_wait_loadcnt 0x0
	global_load_b32 v3, v[14:15], off
	s_wait_loadcnt 0x0
	v_trunc_f32_e32 v3, v3
	s_delay_alu instid0(VALU_DEP_1) | instskip(SKIP_1) | instid1(VALU_DEP_2)
	v_mul_f32_e64 v7, 0x2f800000, |v3|
	v_ashrrev_i32_e32 v8, 31, v3
	v_floor_f32_e32 v7, v7
	s_delay_alu instid0(VALU_DEP_1) | instskip(SKIP_1) | instid1(VALU_DEP_2)
	v_fma_f32 v9, 0xcf800000, v7, |v3|
	v_cvt_u32_f32_e32 v3, v7
	v_cvt_u32_f32_e32 v7, v9
	s_delay_alu instid0(VALU_DEP_2) | instskip(NEXT) | instid1(VALU_DEP_2)
	v_dual_mov_b32 v9, v8 :: v_dual_bitop2_b32 v13, v3, v8 bitop3:0x14
	v_xor_b32_e32 v12, v7, v8
	s_delay_alu instid0(VALU_DEP_1)
	v_sub_nc_u64_e32 v[12:13], v[12:13], v[8:9]
.LBB31_2590:
	s_mov_b32 s8, 0
.LBB31_2591:
	s_delay_alu instid0(SALU_CYCLE_1)
	s_and_not1_b32 vcc_lo, exec_lo, s8
	s_cbranch_vccnz .LBB31_2593
; %bb.2592:
	s_wait_loadcnt 0x0
	global_load_u16 v3, v[14:15], off
	s_wait_loadcnt 0x0
	v_cvt_f32_f16_e32 v3, v3
	s_delay_alu instid0(VALU_DEP_1) | instskip(NEXT) | instid1(VALU_DEP_1)
	v_cvt_i32_f32_e32 v12, v3
	v_ashrrev_i32_e32 v13, 31, v12
.LBB31_2593:
	s_cbranch_execnz .LBB31_2612
.LBB31_2594:
	s_sext_i32_i16 s8, s0
	s_delay_alu instid0(SALU_CYCLE_1)
	s_cmp_lt_i32 s8, 2
	s_cbranch_scc1 .LBB31_2598
; %bb.2595:
	s_cmp_lt_i32 s8, 3
	s_cbranch_scc1 .LBB31_2599
; %bb.2596:
	s_cmp_gt_i32 s8, 3
	s_cbranch_scc0 .LBB31_2600
; %bb.2597:
	s_wait_loadcnt 0x0
	global_load_b64 v[12:13], v[14:15], off
	s_mov_b32 s8, 0
	s_branch .LBB31_2601
.LBB31_2598:
                                        ; implicit-def: $vgpr12_vgpr13
	s_branch .LBB31_2607
.LBB31_2599:
	s_mov_b32 s8, -1
                                        ; implicit-def: $vgpr12_vgpr13
	s_branch .LBB31_2604
.LBB31_2600:
	s_mov_b32 s8, -1
                                        ; implicit-def: $vgpr12_vgpr13
.LBB31_2601:
	s_delay_alu instid0(SALU_CYCLE_1)
	s_and_not1_b32 vcc_lo, exec_lo, s8
	s_cbranch_vccnz .LBB31_2603
; %bb.2602:
	s_wait_loadcnt 0x0
	global_load_b32 v12, v[14:15], off
	s_wait_loadcnt 0x0
	v_ashrrev_i32_e32 v13, 31, v12
.LBB31_2603:
	s_mov_b32 s8, 0
.LBB31_2604:
	s_delay_alu instid0(SALU_CYCLE_1)
	s_and_not1_b32 vcc_lo, exec_lo, s8
	s_cbranch_vccnz .LBB31_2606
; %bb.2605:
	s_wait_loadcnt 0x0
	global_load_u16 v3, v[14:15], off
	s_wait_loadcnt 0x0
	v_bfe_i32 v12, v3, 0, 16
	s_delay_alu instid0(VALU_DEP_1)
	v_ashrrev_i32_e32 v13, 31, v12
.LBB31_2606:
	s_cbranch_execnz .LBB31_2612
.LBB31_2607:
	s_sext_i32_i16 s0, s0
	s_delay_alu instid0(SALU_CYCLE_1)
	s_cmp_gt_i32 s0, 0
	s_mov_b32 s0, 0
	s_cbranch_scc0 .LBB31_2609
; %bb.2608:
	s_wait_loadcnt 0x0
	global_load_i8 v3, v[14:15], off
	s_wait_loadcnt 0x0
	v_bfe_i32 v12, v3, 0, 16
	s_delay_alu instid0(VALU_DEP_1)
	v_ashrrev_i32_e32 v13, 31, v12
	s_branch .LBB31_2610
.LBB31_2609:
	s_mov_b32 s0, -1
                                        ; implicit-def: $vgpr12_vgpr13
.LBB31_2610:
	s_delay_alu instid0(SALU_CYCLE_1)
	s_and_not1_b32 vcc_lo, exec_lo, s0
	s_cbranch_vccnz .LBB31_2612
; %bb.2611:
	s_wait_loadcnt 0x0
	global_load_u8 v3, v[14:15], off
	s_mov_b32 s0, 0
	s_delay_alu instid0(SALU_CYCLE_1)
	v_mov_b32_e32 v13, s0
	s_wait_loadcnt 0x0
	v_and_b32_e32 v12, 0xffff, v3
.LBB31_2612:
	s_or_b32 s7, s7, exec_lo
.LBB31_2613:
	s_wait_xcnt 0x0
	s_or_b32 exec_lo, exec_lo, s6
	s_mov_b32 s8, 0
	s_mov_b32 s11, 0
	;; [unrolled: 1-line block ×3, first 2 shown]
                                        ; implicit-def: $sgpr0
                                        ; implicit-def: $vgpr8_vgpr9
                                        ; implicit-def: $vgpr14_vgpr15
	s_and_saveexec_b32 s6, s7
	s_cbranch_execz .LBB31_2621
; %bb.2614:
	s_load_b512 s[8:23], s[2:3], 0x248
	v_mov_b32_e32 v7, 0
	s_and_b32 s0, s78, 0xff
	s_delay_alu instid0(SALU_CYCLE_1)
	s_cmp_lt_i32 s0, 11
	s_wait_loadcnt 0x0
	s_wait_kmcnt 0x0
	v_add_nc_u64_e32 v[8:9], s[18:19], v[6:7]
	s_cbranch_scc1 .LBB31_2624
; %bb.2615:
	s_and_b32 s7, 0xffff, s0
	s_mov_b32 s10, 0
	s_cmp_gt_i32 s7, 25
	s_cbranch_scc0 .LBB31_2625
; %bb.2616:
	s_cmp_gt_i32 s7, 28
	s_cbranch_scc0 .LBB31_2626
; %bb.2617:
	;; [unrolled: 3-line block ×4, first 2 shown]
	s_cmp_eq_u32 s7, 46
	s_mov_b32 s11, 0
	s_cbranch_scc0 .LBB31_2629
; %bb.2620:
	global_load_b32 v3, v[8:9], off
	s_mov_b32 s8, 0
	s_mov_b32 s9, -1
	s_wait_loadcnt 0x0
	v_lshlrev_b32_e32 v3, 16, v3
	s_delay_alu instid0(VALU_DEP_1) | instskip(NEXT) | instid1(VALU_DEP_1)
	v_trunc_f32_e32 v3, v3
	v_mul_f32_e64 v6, 0x2f800000, |v3|
	s_delay_alu instid0(VALU_DEP_1) | instskip(SKIP_1) | instid1(VALU_DEP_2)
	v_floor_f32_e32 v7, v6
	v_ashrrev_i32_e32 v6, 31, v3
	v_fma_f32 v14, 0xcf800000, v7, |v3|
	v_cvt_u32_f32_e32 v3, v7
	s_delay_alu instid0(VALU_DEP_3) | instskip(NEXT) | instid1(VALU_DEP_3)
	v_mov_b32_e32 v7, v6
	v_cvt_u32_f32_e32 v14, v14
	s_delay_alu instid0(VALU_DEP_3) | instskip(NEXT) | instid1(VALU_DEP_2)
	v_xor_b32_e32 v15, v3, v6
	v_xor_b32_e32 v14, v14, v6
	s_delay_alu instid0(VALU_DEP_1)
	v_sub_nc_u64_e32 v[14:15], v[14:15], v[6:7]
	s_branch .LBB31_2631
.LBB31_2621:
	s_or_b32 exec_lo, exec_lo, s6
	s_and_saveexec_b32 s6, s82
	s_cbranch_execnz .LBB31_2690
.LBB31_2622:
	s_or_b32 exec_lo, exec_lo, s6
	s_and_saveexec_b32 s6, s8
	s_delay_alu instid0(SALU_CYCLE_1)
	s_xor_b32 s6, exec_lo, s6
	s_cbranch_execz .LBB31_2691
.LBB31_2623:
	s_wait_loadcnt 0x0
	global_load_u8 v3, v[8:9], off
	s_mov_b32 s7, 0
	s_or_b32 s9, s9, exec_lo
	v_mov_b32_e32 v15, s7
	s_wait_loadcnt 0x0
	v_cmp_ne_u16_e32 vcc_lo, 0, v3
	v_cndmask_b32_e64 v14, 0, 1, vcc_lo
	s_wait_xcnt 0x0
	s_or_b32 exec_lo, exec_lo, s6
	s_and_saveexec_b32 s6, s11
	s_cbranch_execz .LBB31_2737
	s_branch .LBB31_2692
.LBB31_2624:
	s_mov_b32 s7, -1
	s_mov_b32 s9, 0
	s_mov_b32 s10, 0
	;; [unrolled: 1-line block ×3, first 2 shown]
                                        ; implicit-def: $vgpr14_vgpr15
	s_branch .LBB31_2689
.LBB31_2625:
	s_mov_b32 s9, 0
	s_mov_b32 s8, s82
                                        ; implicit-def: $vgpr14_vgpr15
	s_cbranch_execnz .LBB31_2658
	s_branch .LBB31_2688
.LBB31_2626:
	s_mov_b32 s11, -1
	s_mov_b32 s9, 0
	s_mov_b32 s8, s82
                                        ; implicit-def: $vgpr14_vgpr15
	s_branch .LBB31_2641
.LBB31_2627:
	s_mov_b32 s11, -1
	s_mov_b32 s9, 0
	s_mov_b32 s8, s82
                                        ; implicit-def: $vgpr14_vgpr15
	s_branch .LBB31_2636
.LBB31_2628:
	s_mov_b32 s11, -1
	s_mov_b32 s9, 0
	s_mov_b32 s8, s82
	s_branch .LBB31_2630
.LBB31_2629:
	s_mov_b32 s8, -1
	s_mov_b32 s9, 0
.LBB31_2630:
                                        ; implicit-def: $vgpr14_vgpr15
.LBB31_2631:
	s_and_b32 vcc_lo, exec_lo, s11
	s_cbranch_vccz .LBB31_2635
; %bb.2632:
	s_cmp_eq_u32 s7, 44
	s_cbranch_scc0 .LBB31_2634
; %bb.2633:
	global_load_u8 v3, v[8:9], off
	s_mov_b32 s8, 0
	s_mov_b32 s9, -1
	s_wait_loadcnt 0x0
	v_lshlrev_b32_e32 v6, 23, v3
	v_cmp_ne_u32_e32 vcc_lo, 0, v3
	s_delay_alu instid0(VALU_DEP_2) | instskip(NEXT) | instid1(VALU_DEP_1)
	v_trunc_f32_e32 v6, v6
	v_mul_f32_e64 v7, 0x2f800000, |v6|
	s_delay_alu instid0(VALU_DEP_1) | instskip(NEXT) | instid1(VALU_DEP_1)
	v_floor_f32_e32 v7, v7
	v_fma_f32 v14, 0xcf800000, v7, |v6|
	v_ashrrev_i32_e32 v6, 31, v6
	v_cvt_u32_f32_e32 v15, v7
	s_delay_alu instid0(VALU_DEP_3) | instskip(NEXT) | instid1(VALU_DEP_2)
	v_cvt_u32_f32_e32 v14, v14
	v_dual_mov_b32 v7, v6 :: v_dual_bitop2_b32 v15, v15, v6 bitop3:0x14
	s_delay_alu instid0(VALU_DEP_2) | instskip(NEXT) | instid1(VALU_DEP_1)
	v_xor_b32_e32 v14, v14, v6
	v_sub_nc_u64_e32 v[6:7], v[14:15], v[6:7]
	s_delay_alu instid0(VALU_DEP_1)
	v_dual_cndmask_b32 v15, 0, v7 :: v_dual_cndmask_b32 v14, 0, v6
	s_branch .LBB31_2635
.LBB31_2634:
	s_mov_b32 s8, -1
                                        ; implicit-def: $vgpr14_vgpr15
.LBB31_2635:
	s_mov_b32 s11, 0
.LBB31_2636:
	s_delay_alu instid0(SALU_CYCLE_1)
	s_and_b32 vcc_lo, exec_lo, s11
	s_cbranch_vccz .LBB31_2640
; %bb.2637:
	s_cmp_eq_u32 s7, 29
	s_cbranch_scc0 .LBB31_2639
; %bb.2638:
	global_load_b64 v[14:15], v[8:9], off
	s_mov_b32 s8, 0
	s_mov_b32 s9, -1
	s_branch .LBB31_2640
.LBB31_2639:
	s_mov_b32 s8, -1
                                        ; implicit-def: $vgpr14_vgpr15
.LBB31_2640:
	s_mov_b32 s11, 0
.LBB31_2641:
	s_delay_alu instid0(SALU_CYCLE_1)
	s_and_b32 vcc_lo, exec_lo, s11
	s_cbranch_vccz .LBB31_2657
; %bb.2642:
	s_cmp_lt_i32 s7, 27
	s_cbranch_scc1 .LBB31_2645
; %bb.2643:
	s_cmp_gt_i32 s7, 27
	s_cbranch_scc0 .LBB31_2646
; %bb.2644:
	s_wait_loadcnt 0x0
	global_load_b32 v14, v[8:9], off
	v_mov_b32_e32 v15, 0
	s_mov_b32 s9, 0
	s_branch .LBB31_2647
.LBB31_2645:
	s_mov_b32 s9, -1
                                        ; implicit-def: $vgpr14_vgpr15
	s_branch .LBB31_2650
.LBB31_2646:
	s_mov_b32 s9, -1
                                        ; implicit-def: $vgpr14_vgpr15
.LBB31_2647:
	s_delay_alu instid0(SALU_CYCLE_1)
	s_and_not1_b32 vcc_lo, exec_lo, s9
	s_cbranch_vccnz .LBB31_2649
; %bb.2648:
	global_load_u16 v3, v[8:9], off
	s_mov_b32 s9, 0
	s_wait_loadcnt 0x1
	v_mov_b32_e32 v15, s9
	s_wait_loadcnt 0x0
	v_and_b32_e32 v14, 0xffff, v3
.LBB31_2649:
	s_mov_b32 s9, 0
.LBB31_2650:
	s_delay_alu instid0(SALU_CYCLE_1)
	s_and_not1_b32 vcc_lo, exec_lo, s9
	s_cbranch_vccnz .LBB31_2656
; %bb.2651:
	global_load_u8 v3, v[8:9], off
	s_mov_b32 s11, 0
	s_mov_b32 s9, exec_lo
	s_wait_loadcnt 0x0
	v_cmpx_lt_i16_e32 0x7f, v3
	s_xor_b32 s9, exec_lo, s9
	s_cbranch_execz .LBB31_2667
; %bb.2652:
	v_cmp_ne_u16_e32 vcc_lo, 0x80, v3
	s_and_b32 s11, vcc_lo, exec_lo
	s_and_not1_saveexec_b32 s9, s9
	s_cbranch_execnz .LBB31_2668
.LBB31_2653:
	s_or_b32 exec_lo, exec_lo, s9
	v_mov_b64_e32 v[14:15], 0
	s_and_saveexec_b32 s9, s11
	s_cbranch_execz .LBB31_2655
.LBB31_2654:
	v_and_b32_e32 v6, 0xffff, v3
	s_delay_alu instid0(VALU_DEP_1) | instskip(SKIP_1) | instid1(VALU_DEP_2)
	v_dual_lshlrev_b32 v3, 24, v3 :: v_dual_bitop2_b32 v7, 7, v6 bitop3:0x40
	v_bfe_u32 v16, v6, 3, 4
	v_and_b32_e32 v3, 0x80000000, v3
	s_delay_alu instid0(VALU_DEP_3) | instskip(NEXT) | instid1(VALU_DEP_3)
	v_clz_i32_u32_e32 v14, v7
	v_cmp_eq_u32_e32 vcc_lo, 0, v16
	s_delay_alu instid0(VALU_DEP_2) | instskip(NEXT) | instid1(VALU_DEP_1)
	v_min_u32_e32 v14, 32, v14
	v_subrev_nc_u32_e32 v15, 28, v14
	v_sub_nc_u32_e32 v14, 29, v14
	s_delay_alu instid0(VALU_DEP_2) | instskip(NEXT) | instid1(VALU_DEP_2)
	v_lshlrev_b32_e32 v6, v15, v6
	v_cndmask_b32_e32 v14, v16, v14, vcc_lo
	s_delay_alu instid0(VALU_DEP_2) | instskip(NEXT) | instid1(VALU_DEP_1)
	v_and_b32_e32 v6, 7, v6
	v_cndmask_b32_e32 v6, v7, v6, vcc_lo
	s_delay_alu instid0(VALU_DEP_3) | instskip(NEXT) | instid1(VALU_DEP_2)
	v_lshl_add_u32 v7, v14, 23, 0x3b800000
	v_lshlrev_b32_e32 v6, 20, v6
	s_delay_alu instid0(VALU_DEP_1) | instskip(NEXT) | instid1(VALU_DEP_1)
	v_or3_b32 v3, v3, v7, v6
	v_trunc_f32_e32 v3, v3
	s_delay_alu instid0(VALU_DEP_1) | instskip(NEXT) | instid1(VALU_DEP_1)
	v_mul_f32_e64 v6, 0x2f800000, |v3|
	v_floor_f32_e32 v7, v6
	v_ashrrev_i32_e32 v6, 31, v3
	s_delay_alu instid0(VALU_DEP_2) | instskip(SKIP_1) | instid1(VALU_DEP_3)
	v_fma_f32 v14, 0xcf800000, v7, |v3|
	v_cvt_u32_f32_e32 v3, v7
	v_mov_b32_e32 v7, v6
	s_delay_alu instid0(VALU_DEP_3) | instskip(NEXT) | instid1(VALU_DEP_3)
	v_cvt_u32_f32_e32 v14, v14
	v_xor_b32_e32 v15, v3, v6
	s_delay_alu instid0(VALU_DEP_2) | instskip(NEXT) | instid1(VALU_DEP_1)
	v_xor_b32_e32 v14, v14, v6
	v_sub_nc_u64_e32 v[14:15], v[14:15], v[6:7]
.LBB31_2655:
	s_or_b32 exec_lo, exec_lo, s9
.LBB31_2656:
	s_mov_b32 s9, -1
.LBB31_2657:
	s_branch .LBB31_2688
.LBB31_2658:
	s_cmp_gt_i32 s7, 22
	s_cbranch_scc0 .LBB31_2666
; %bb.2659:
	s_cmp_lt_i32 s7, 24
	s_cbranch_scc1 .LBB31_2669
; %bb.2660:
	s_cmp_gt_i32 s7, 24
	s_cbranch_scc0 .LBB31_2670
; %bb.2661:
	global_load_u8 v3, v[8:9], off
	s_mov_b32 s9, exec_lo
	s_wait_loadcnt 0x0
	v_cmpx_lt_i16_e32 0x7f, v3
	s_xor_b32 s9, exec_lo, s9
	s_cbranch_execz .LBB31_2682
; %bb.2662:
	v_cmp_ne_u16_e32 vcc_lo, 0x80, v3
	s_and_b32 s10, vcc_lo, exec_lo
	s_and_not1_saveexec_b32 s9, s9
	s_cbranch_execnz .LBB31_2683
.LBB31_2663:
	s_or_b32 exec_lo, exec_lo, s9
	v_mov_b64_e32 v[14:15], 0
	s_and_saveexec_b32 s9, s10
	s_cbranch_execz .LBB31_2665
.LBB31_2664:
	v_and_b32_e32 v6, 0xffff, v3
	s_delay_alu instid0(VALU_DEP_1) | instskip(SKIP_1) | instid1(VALU_DEP_2)
	v_dual_lshlrev_b32 v3, 24, v3 :: v_dual_bitop2_b32 v7, 3, v6 bitop3:0x40
	v_bfe_u32 v16, v6, 2, 5
	v_and_b32_e32 v3, 0x80000000, v3
	s_delay_alu instid0(VALU_DEP_3) | instskip(NEXT) | instid1(VALU_DEP_3)
	v_clz_i32_u32_e32 v14, v7
	v_cmp_eq_u32_e32 vcc_lo, 0, v16
	s_delay_alu instid0(VALU_DEP_2) | instskip(NEXT) | instid1(VALU_DEP_1)
	v_min_u32_e32 v14, 32, v14
	v_subrev_nc_u32_e32 v15, 29, v14
	v_sub_nc_u32_e32 v14, 30, v14
	s_delay_alu instid0(VALU_DEP_2) | instskip(NEXT) | instid1(VALU_DEP_2)
	v_lshlrev_b32_e32 v6, v15, v6
	v_cndmask_b32_e32 v14, v16, v14, vcc_lo
	s_delay_alu instid0(VALU_DEP_2) | instskip(NEXT) | instid1(VALU_DEP_1)
	v_and_b32_e32 v6, 3, v6
	v_cndmask_b32_e32 v6, v7, v6, vcc_lo
	s_delay_alu instid0(VALU_DEP_3) | instskip(NEXT) | instid1(VALU_DEP_2)
	v_lshl_add_u32 v7, v14, 23, 0x37800000
	v_lshlrev_b32_e32 v6, 21, v6
	s_delay_alu instid0(VALU_DEP_1) | instskip(NEXT) | instid1(VALU_DEP_1)
	v_or3_b32 v3, v3, v7, v6
	v_trunc_f32_e32 v3, v3
	s_delay_alu instid0(VALU_DEP_1) | instskip(NEXT) | instid1(VALU_DEP_1)
	v_mul_f32_e64 v6, 0x2f800000, |v3|
	v_floor_f32_e32 v7, v6
	v_ashrrev_i32_e32 v6, 31, v3
	s_delay_alu instid0(VALU_DEP_2) | instskip(SKIP_1) | instid1(VALU_DEP_3)
	v_fma_f32 v14, 0xcf800000, v7, |v3|
	v_cvt_u32_f32_e32 v3, v7
	v_mov_b32_e32 v7, v6
	s_delay_alu instid0(VALU_DEP_3) | instskip(NEXT) | instid1(VALU_DEP_3)
	v_cvt_u32_f32_e32 v14, v14
	v_xor_b32_e32 v15, v3, v6
	s_delay_alu instid0(VALU_DEP_2) | instskip(NEXT) | instid1(VALU_DEP_1)
	v_xor_b32_e32 v14, v14, v6
	v_sub_nc_u64_e32 v[14:15], v[14:15], v[6:7]
.LBB31_2665:
	s_or_b32 exec_lo, exec_lo, s9
	s_mov_b32 s9, 0
	s_branch .LBB31_2671
.LBB31_2666:
	s_mov_b32 s10, -1
                                        ; implicit-def: $vgpr14_vgpr15
	s_branch .LBB31_2677
.LBB31_2667:
	s_and_not1_saveexec_b32 s9, s9
	s_cbranch_execz .LBB31_2653
.LBB31_2668:
	v_cmp_ne_u16_e32 vcc_lo, 0, v3
	s_and_not1_b32 s11, s11, exec_lo
	s_and_b32 s12, vcc_lo, exec_lo
	s_delay_alu instid0(SALU_CYCLE_1)
	s_or_b32 s11, s11, s12
	s_or_b32 exec_lo, exec_lo, s9
	v_mov_b64_e32 v[14:15], 0
	s_and_saveexec_b32 s9, s11
	s_cbranch_execnz .LBB31_2654
	s_branch .LBB31_2655
.LBB31_2669:
	s_mov_b32 s9, -1
                                        ; implicit-def: $vgpr14_vgpr15
	s_branch .LBB31_2674
.LBB31_2670:
	s_mov_b32 s9, -1
                                        ; implicit-def: $vgpr14_vgpr15
.LBB31_2671:
	s_delay_alu instid0(SALU_CYCLE_1)
	s_and_b32 vcc_lo, exec_lo, s9
	s_cbranch_vccz .LBB31_2673
; %bb.2672:
	global_load_u8 v3, v[8:9], off
	s_wait_loadcnt 0x0
	v_lshlrev_b32_e32 v3, 24, v3
	s_delay_alu instid0(VALU_DEP_1) | instskip(NEXT) | instid1(VALU_DEP_1)
	v_and_b32_e32 v6, 0x7f000000, v3
	v_clz_i32_u32_e32 v7, v6
	v_cmp_ne_u32_e32 vcc_lo, 0, v6
	v_add_nc_u32_e32 v15, 0x1000000, v6
	s_delay_alu instid0(VALU_DEP_3) | instskip(NEXT) | instid1(VALU_DEP_1)
	v_min_u32_e32 v7, 32, v7
	v_sub_nc_u32_e64 v7, v7, 4 clamp
	s_delay_alu instid0(VALU_DEP_1) | instskip(NEXT) | instid1(VALU_DEP_1)
	v_dual_lshlrev_b32 v14, v7, v6 :: v_dual_lshlrev_b32 v7, 23, v7
	v_lshrrev_b32_e32 v14, 4, v14
	s_delay_alu instid0(VALU_DEP_1) | instskip(SKIP_1) | instid1(VALU_DEP_2)
	v_sub_nc_u32_e32 v7, v14, v7
	v_ashrrev_i32_e32 v14, 8, v15
	v_add_nc_u32_e32 v7, 0x3c000000, v7
	s_delay_alu instid0(VALU_DEP_1) | instskip(NEXT) | instid1(VALU_DEP_1)
	v_and_or_b32 v7, 0x7f800000, v14, v7
	v_cndmask_b32_e32 v6, 0, v7, vcc_lo
	s_delay_alu instid0(VALU_DEP_1) | instskip(NEXT) | instid1(VALU_DEP_1)
	v_and_or_b32 v3, 0x80000000, v3, v6
	v_trunc_f32_e32 v3, v3
	s_delay_alu instid0(VALU_DEP_1) | instskip(NEXT) | instid1(VALU_DEP_1)
	v_mul_f32_e64 v6, 0x2f800000, |v3|
	v_floor_f32_e32 v7, v6
	v_ashrrev_i32_e32 v6, 31, v3
	s_delay_alu instid0(VALU_DEP_2) | instskip(SKIP_1) | instid1(VALU_DEP_3)
	v_fma_f32 v14, 0xcf800000, v7, |v3|
	v_cvt_u32_f32_e32 v3, v7
	v_mov_b32_e32 v7, v6
	s_delay_alu instid0(VALU_DEP_3) | instskip(NEXT) | instid1(VALU_DEP_3)
	v_cvt_u32_f32_e32 v14, v14
	v_xor_b32_e32 v15, v3, v6
	s_delay_alu instid0(VALU_DEP_2) | instskip(NEXT) | instid1(VALU_DEP_1)
	v_xor_b32_e32 v14, v14, v6
	v_sub_nc_u64_e32 v[14:15], v[14:15], v[6:7]
.LBB31_2673:
	s_mov_b32 s9, 0
.LBB31_2674:
	s_delay_alu instid0(SALU_CYCLE_1)
	s_and_not1_b32 vcc_lo, exec_lo, s9
	s_cbranch_vccnz .LBB31_2676
; %bb.2675:
	global_load_u8 v3, v[8:9], off
	s_wait_loadcnt 0x0
	v_lshlrev_b32_e32 v6, 25, v3
	v_lshlrev_b16 v3, 8, v3
	s_delay_alu instid0(VALU_DEP_1) | instskip(SKIP_1) | instid1(VALU_DEP_2)
	v_and_or_b32 v14, 0x7f00, v3, 0.5
	v_bfe_i32 v3, v3, 0, 16
	v_add_f32_e32 v14, -0.5, v14
	v_lshrrev_b32_e32 v7, 4, v6
	v_cmp_gt_u32_e32 vcc_lo, 0x8000000, v6
	s_delay_alu instid0(VALU_DEP_2) | instskip(NEXT) | instid1(VALU_DEP_1)
	v_or_b32_e32 v7, 0x70000000, v7
	v_mul_f32_e32 v7, 0x7800000, v7
	s_delay_alu instid0(VALU_DEP_1) | instskip(NEXT) | instid1(VALU_DEP_1)
	v_cndmask_b32_e32 v6, v7, v14, vcc_lo
	v_and_or_b32 v3, 0x80000000, v3, v6
	s_delay_alu instid0(VALU_DEP_1) | instskip(NEXT) | instid1(VALU_DEP_1)
	v_trunc_f32_e32 v3, v3
	v_mul_f32_e64 v6, 0x2f800000, |v3|
	s_delay_alu instid0(VALU_DEP_1) | instskip(SKIP_1) | instid1(VALU_DEP_2)
	v_floor_f32_e32 v7, v6
	v_ashrrev_i32_e32 v6, 31, v3
	v_fma_f32 v14, 0xcf800000, v7, |v3|
	v_cvt_u32_f32_e32 v3, v7
	s_delay_alu instid0(VALU_DEP_3) | instskip(NEXT) | instid1(VALU_DEP_3)
	v_mov_b32_e32 v7, v6
	v_cvt_u32_f32_e32 v14, v14
	s_delay_alu instid0(VALU_DEP_3) | instskip(NEXT) | instid1(VALU_DEP_2)
	v_xor_b32_e32 v15, v3, v6
	v_xor_b32_e32 v14, v14, v6
	s_delay_alu instid0(VALU_DEP_1)
	v_sub_nc_u64_e32 v[14:15], v[14:15], v[6:7]
.LBB31_2676:
	s_mov_b32 s10, 0
	s_mov_b32 s9, -1
.LBB31_2677:
	s_and_not1_b32 vcc_lo, exec_lo, s10
	s_mov_b32 s10, 0
	s_cbranch_vccnz .LBB31_2688
; %bb.2678:
	s_cmp_gt_i32 s7, 14
	s_cbranch_scc0 .LBB31_2681
; %bb.2679:
	s_cmp_eq_u32 s7, 15
	s_cbranch_scc0 .LBB31_2684
; %bb.2680:
	global_load_u16 v3, v[8:9], off
	s_mov_b32 s8, 0
	s_mov_b32 s9, -1
	s_wait_loadcnt 0x0
	v_lshlrev_b32_e32 v3, 16, v3
	s_delay_alu instid0(VALU_DEP_1) | instskip(NEXT) | instid1(VALU_DEP_1)
	v_trunc_f32_e32 v3, v3
	v_mul_f32_e64 v6, 0x2f800000, |v3|
	s_delay_alu instid0(VALU_DEP_1) | instskip(SKIP_1) | instid1(VALU_DEP_2)
	v_floor_f32_e32 v7, v6
	v_ashrrev_i32_e32 v6, 31, v3
	v_fma_f32 v14, 0xcf800000, v7, |v3|
	v_cvt_u32_f32_e32 v3, v7
	s_delay_alu instid0(VALU_DEP_3) | instskip(NEXT) | instid1(VALU_DEP_3)
	v_mov_b32_e32 v7, v6
	v_cvt_u32_f32_e32 v14, v14
	s_delay_alu instid0(VALU_DEP_3) | instskip(NEXT) | instid1(VALU_DEP_2)
	v_xor_b32_e32 v15, v3, v6
	v_xor_b32_e32 v14, v14, v6
	s_delay_alu instid0(VALU_DEP_1)
	v_sub_nc_u64_e32 v[14:15], v[14:15], v[6:7]
	s_branch .LBB31_2686
.LBB31_2681:
	s_mov_b32 s10, -1
	s_branch .LBB31_2685
.LBB31_2682:
	s_and_not1_saveexec_b32 s9, s9
	s_cbranch_execz .LBB31_2663
.LBB31_2683:
	v_cmp_ne_u16_e32 vcc_lo, 0, v3
	s_and_not1_b32 s10, s10, exec_lo
	s_and_b32 s11, vcc_lo, exec_lo
	s_delay_alu instid0(SALU_CYCLE_1)
	s_or_b32 s10, s10, s11
	s_or_b32 exec_lo, exec_lo, s9
	v_mov_b64_e32 v[14:15], 0
	s_and_saveexec_b32 s9, s10
	s_cbranch_execnz .LBB31_2664
	s_branch .LBB31_2665
.LBB31_2684:
	s_mov_b32 s8, -1
.LBB31_2685:
                                        ; implicit-def: $vgpr14_vgpr15
.LBB31_2686:
	s_and_b32 vcc_lo, exec_lo, s10
	s_mov_b32 s10, 0
	s_cbranch_vccz .LBB31_2688
; %bb.2687:
	s_cmp_lg_u32 s7, 11
	s_mov_b32 s10, -1
	s_cselect_b32 s7, -1, 0
	s_and_not1_b32 s8, s8, exec_lo
	s_and_b32 s7, s7, exec_lo
	s_delay_alu instid0(SALU_CYCLE_1)
	s_or_b32 s8, s8, s7
.LBB31_2688:
	s_mov_b32 s7, 0
.LBB31_2689:
	s_delay_alu instid0(SALU_CYCLE_1)
	s_and_b32 s11, s7, exec_lo
	s_and_not1_b32 s7, s82, exec_lo
	s_and_b32 s12, s8, exec_lo
	s_and_b32 s9, s9, exec_lo
	;; [unrolled: 1-line block ×3, first 2 shown]
	s_or_b32 s82, s7, s12
	s_wait_xcnt 0x0
	s_or_b32 exec_lo, exec_lo, s6
	s_and_saveexec_b32 s6, s82
	s_cbranch_execz .LBB31_2622
.LBB31_2690:
	s_or_b32 s1, s1, exec_lo
	s_and_not1_b32 s8, s8, exec_lo
	s_trap 2
	s_or_b32 exec_lo, exec_lo, s6
	s_and_saveexec_b32 s6, s8
	s_delay_alu instid0(SALU_CYCLE_1)
	s_xor_b32 s6, exec_lo, s6
	s_cbranch_execnz .LBB31_2623
.LBB31_2691:
	s_or_b32 exec_lo, exec_lo, s6
	s_and_saveexec_b32 s6, s11
	s_cbranch_execz .LBB31_2737
.LBB31_2692:
	s_sext_i32_i16 s7, s0
	s_delay_alu instid0(SALU_CYCLE_1)
	s_cmp_lt_i32 s7, 5
	s_cbranch_scc1 .LBB31_2697
; %bb.2693:
	s_cmp_lt_i32 s7, 8
	s_cbranch_scc1 .LBB31_2698
; %bb.2694:
	;; [unrolled: 3-line block ×3, first 2 shown]
	s_cmp_gt_i32 s7, 9
	s_cbranch_scc0 .LBB31_2700
; %bb.2696:
	s_wait_loadcnt 0x0
	global_load_b64 v[6:7], v[8:9], off
	s_mov_b32 s7, 0
	s_wait_loadcnt 0x0
	v_trunc_f64_e32 v[6:7], v[6:7]
	s_delay_alu instid0(VALU_DEP_1) | instskip(NEXT) | instid1(VALU_DEP_1)
	v_ldexp_f64 v[14:15], v[6:7], 0xffffffe0
	v_floor_f64_e32 v[14:15], v[14:15]
	s_delay_alu instid0(VALU_DEP_1) | instskip(SKIP_1) | instid1(VALU_DEP_2)
	v_fmamk_f64 v[6:7], v[14:15], 0xc1f00000, v[6:7]
	v_cvt_i32_f64_e32 v15, v[14:15]
	v_cvt_u32_f64_e32 v14, v[6:7]
	s_branch .LBB31_2701
.LBB31_2697:
                                        ; implicit-def: $vgpr14_vgpr15
	s_branch .LBB31_2718
.LBB31_2698:
                                        ; implicit-def: $vgpr14_vgpr15
	s_branch .LBB31_2707
.LBB31_2699:
	s_mov_b32 s7, -1
                                        ; implicit-def: $vgpr14_vgpr15
	s_branch .LBB31_2704
.LBB31_2700:
	s_mov_b32 s7, -1
                                        ; implicit-def: $vgpr14_vgpr15
.LBB31_2701:
	s_delay_alu instid0(SALU_CYCLE_1)
	s_and_not1_b32 vcc_lo, exec_lo, s7
	s_cbranch_vccnz .LBB31_2703
; %bb.2702:
	s_wait_loadcnt 0x0
	global_load_b32 v3, v[8:9], off
	s_wait_loadcnt 0x0
	v_trunc_f32_e32 v3, v3
	s_delay_alu instid0(VALU_DEP_1) | instskip(NEXT) | instid1(VALU_DEP_1)
	v_mul_f32_e64 v6, 0x2f800000, |v3|
	v_floor_f32_e32 v7, v6
	v_ashrrev_i32_e32 v6, 31, v3
	s_delay_alu instid0(VALU_DEP_2) | instskip(SKIP_1) | instid1(VALU_DEP_3)
	v_fma_f32 v14, 0xcf800000, v7, |v3|
	v_cvt_u32_f32_e32 v3, v7
	v_mov_b32_e32 v7, v6
	s_delay_alu instid0(VALU_DEP_3) | instskip(NEXT) | instid1(VALU_DEP_3)
	v_cvt_u32_f32_e32 v14, v14
	v_xor_b32_e32 v15, v3, v6
	s_delay_alu instid0(VALU_DEP_2) | instskip(NEXT) | instid1(VALU_DEP_1)
	v_xor_b32_e32 v14, v14, v6
	v_sub_nc_u64_e32 v[14:15], v[14:15], v[6:7]
.LBB31_2703:
	s_mov_b32 s7, 0
.LBB31_2704:
	s_delay_alu instid0(SALU_CYCLE_1)
	s_and_not1_b32 vcc_lo, exec_lo, s7
	s_cbranch_vccnz .LBB31_2706
; %bb.2705:
	s_wait_loadcnt 0x0
	global_load_b32 v3, v[8:9], off
	s_wait_loadcnt 0x0
	v_cvt_f32_f16_e32 v3, v3
	s_delay_alu instid0(VALU_DEP_1) | instskip(NEXT) | instid1(VALU_DEP_1)
	v_cvt_i32_f32_e32 v14, v3
	v_ashrrev_i32_e32 v15, 31, v14
.LBB31_2706:
	s_cbranch_execnz .LBB31_2717
.LBB31_2707:
	s_sext_i32_i16 s7, s0
	s_delay_alu instid0(SALU_CYCLE_1)
	s_cmp_lt_i32 s7, 6
	s_cbranch_scc1 .LBB31_2710
; %bb.2708:
	s_cmp_gt_i32 s7, 6
	s_cbranch_scc0 .LBB31_2711
; %bb.2709:
	s_wait_loadcnt 0x0
	global_load_b64 v[6:7], v[8:9], off
	s_mov_b32 s7, 0
	s_wait_loadcnt 0x0
	v_trunc_f64_e32 v[6:7], v[6:7]
	s_delay_alu instid0(VALU_DEP_1) | instskip(NEXT) | instid1(VALU_DEP_1)
	v_ldexp_f64 v[14:15], v[6:7], 0xffffffe0
	v_floor_f64_e32 v[14:15], v[14:15]
	s_delay_alu instid0(VALU_DEP_1) | instskip(SKIP_1) | instid1(VALU_DEP_2)
	v_fmamk_f64 v[6:7], v[14:15], 0xc1f00000, v[6:7]
	v_cvt_i32_f64_e32 v15, v[14:15]
	v_cvt_u32_f64_e32 v14, v[6:7]
	s_branch .LBB31_2712
.LBB31_2710:
	s_mov_b32 s7, -1
                                        ; implicit-def: $vgpr14_vgpr15
	s_branch .LBB31_2715
.LBB31_2711:
	s_mov_b32 s7, -1
                                        ; implicit-def: $vgpr14_vgpr15
.LBB31_2712:
	s_delay_alu instid0(SALU_CYCLE_1)
	s_and_not1_b32 vcc_lo, exec_lo, s7
	s_cbranch_vccnz .LBB31_2714
; %bb.2713:
	s_wait_loadcnt 0x0
	global_load_b32 v3, v[8:9], off
	s_wait_loadcnt 0x0
	v_trunc_f32_e32 v3, v3
	s_delay_alu instid0(VALU_DEP_1) | instskip(NEXT) | instid1(VALU_DEP_1)
	v_mul_f32_e64 v6, 0x2f800000, |v3|
	v_floor_f32_e32 v7, v6
	v_ashrrev_i32_e32 v6, 31, v3
	s_delay_alu instid0(VALU_DEP_2) | instskip(SKIP_1) | instid1(VALU_DEP_3)
	v_fma_f32 v14, 0xcf800000, v7, |v3|
	v_cvt_u32_f32_e32 v3, v7
	v_mov_b32_e32 v7, v6
	s_delay_alu instid0(VALU_DEP_3) | instskip(NEXT) | instid1(VALU_DEP_3)
	v_cvt_u32_f32_e32 v14, v14
	v_xor_b32_e32 v15, v3, v6
	s_delay_alu instid0(VALU_DEP_2) | instskip(NEXT) | instid1(VALU_DEP_1)
	v_xor_b32_e32 v14, v14, v6
	v_sub_nc_u64_e32 v[14:15], v[14:15], v[6:7]
.LBB31_2714:
	s_mov_b32 s7, 0
.LBB31_2715:
	s_delay_alu instid0(SALU_CYCLE_1)
	s_and_not1_b32 vcc_lo, exec_lo, s7
	s_cbranch_vccnz .LBB31_2717
; %bb.2716:
	s_wait_loadcnt 0x0
	global_load_u16 v3, v[8:9], off
	s_wait_loadcnt 0x0
	v_cvt_f32_f16_e32 v3, v3
	s_delay_alu instid0(VALU_DEP_1) | instskip(NEXT) | instid1(VALU_DEP_1)
	v_cvt_i32_f32_e32 v14, v3
	v_ashrrev_i32_e32 v15, 31, v14
.LBB31_2717:
	s_cbranch_execnz .LBB31_2736
.LBB31_2718:
	s_sext_i32_i16 s7, s0
	s_delay_alu instid0(SALU_CYCLE_1)
	s_cmp_lt_i32 s7, 2
	s_cbranch_scc1 .LBB31_2722
; %bb.2719:
	s_cmp_lt_i32 s7, 3
	s_cbranch_scc1 .LBB31_2723
; %bb.2720:
	s_cmp_gt_i32 s7, 3
	s_cbranch_scc0 .LBB31_2724
; %bb.2721:
	s_wait_loadcnt 0x0
	global_load_b64 v[14:15], v[8:9], off
	s_mov_b32 s7, 0
	s_branch .LBB31_2725
.LBB31_2722:
                                        ; implicit-def: $vgpr14_vgpr15
	s_branch .LBB31_2731
.LBB31_2723:
	s_mov_b32 s7, -1
                                        ; implicit-def: $vgpr14_vgpr15
	s_branch .LBB31_2728
.LBB31_2724:
	s_mov_b32 s7, -1
                                        ; implicit-def: $vgpr14_vgpr15
.LBB31_2725:
	s_delay_alu instid0(SALU_CYCLE_1)
	s_and_not1_b32 vcc_lo, exec_lo, s7
	s_cbranch_vccnz .LBB31_2727
; %bb.2726:
	s_wait_loadcnt 0x0
	global_load_b32 v14, v[8:9], off
	s_wait_loadcnt 0x0
	v_ashrrev_i32_e32 v15, 31, v14
.LBB31_2727:
	s_mov_b32 s7, 0
.LBB31_2728:
	s_delay_alu instid0(SALU_CYCLE_1)
	s_and_not1_b32 vcc_lo, exec_lo, s7
	s_cbranch_vccnz .LBB31_2730
; %bb.2729:
	s_wait_loadcnt 0x0
	global_load_u16 v3, v[8:9], off
	s_wait_loadcnt 0x0
	v_bfe_i32 v14, v3, 0, 16
	s_delay_alu instid0(VALU_DEP_1)
	v_ashrrev_i32_e32 v15, 31, v14
.LBB31_2730:
	s_cbranch_execnz .LBB31_2736
.LBB31_2731:
	s_sext_i32_i16 s0, s0
	s_delay_alu instid0(SALU_CYCLE_1)
	s_cmp_gt_i32 s0, 0
	s_mov_b32 s0, 0
	s_cbranch_scc0 .LBB31_2733
; %bb.2732:
	s_wait_loadcnt 0x0
	global_load_i8 v3, v[8:9], off
	s_wait_loadcnt 0x0
	v_bfe_i32 v14, v3, 0, 16
	s_delay_alu instid0(VALU_DEP_1)
	v_ashrrev_i32_e32 v15, 31, v14
	s_branch .LBB31_2734
.LBB31_2733:
	s_mov_b32 s0, -1
                                        ; implicit-def: $vgpr14_vgpr15
.LBB31_2734:
	s_delay_alu instid0(SALU_CYCLE_1)
	s_and_not1_b32 vcc_lo, exec_lo, s0
	s_cbranch_vccnz .LBB31_2736
; %bb.2735:
	s_wait_loadcnt 0x0
	global_load_u8 v3, v[8:9], off
	s_mov_b32 s0, 0
	s_delay_alu instid0(SALU_CYCLE_1)
	v_mov_b32_e32 v15, s0
	s_wait_loadcnt 0x0
	v_and_b32_e32 v14, 0xffff, v3
.LBB31_2736:
	s_or_b32 s9, s9, exec_lo
.LBB31_2737:
	s_wait_xcnt 0x0
	s_or_b32 exec_lo, exec_lo, s6
	s_mov_b32 s0, 0
	s_and_saveexec_b32 s6, s9
	s_delay_alu instid0(SALU_CYCLE_1)
	s_xor_b32 s6, exec_lo, s6
	s_cbranch_execz .LBB31_2739
; %bb.2738:
	s_load_b512 s[8:23], s[2:3], 0x248
	s_xor_b32 s7, s101, -1
	s_wait_kmcnt 0x0
	s_and_not1_b32 s8, s81, exec_lo
	s_mov_b32 s0, exec_lo
	s_wait_loadcnt 0x0
	v_cmp_ne_u64_e32 vcc_lo, s[20:21], v[4:5]
	s_or_b32 s7, s7, vcc_lo
	s_delay_alu instid0(SALU_CYCLE_1) | instskip(NEXT) | instid1(SALU_CYCLE_1)
	s_and_b32 s7, s7, exec_lo
	s_or_b32 s81, s8, s7
.LBB31_2739:
	s_or_b32 exec_lo, exec_lo, s6
	s_and_saveexec_b32 s6, s81
	s_cbranch_execnz .LBB31_2776
.LBB31_2740:
	s_or_b32 exec_lo, exec_lo, s6
	s_mov_b32 s7, 0
	s_and_saveexec_b32 s6, s0
	s_delay_alu instid0(SALU_CYCLE_1)
	s_xor_b32 s0, exec_lo, s6
	s_cbranch_execz .LBB31_2742
; %bb.2741:
	s_wait_loadcnt 0x0
	v_cmp_ne_u64_e32 vcc_lo, s[36:37], v[0:1]
	s_xor_b32 s6, vcc_hi, -1
	s_and_not1_b32 s8, s80, exec_lo
	s_mov_b32 s7, exec_lo
	s_or_b32 s6, s6, vcc_lo
	s_delay_alu instid0(SALU_CYCLE_1) | instskip(NEXT) | instid1(SALU_CYCLE_1)
	s_and_b32 s6, s6, exec_lo
	s_or_b32 s80, s8, s6
.LBB31_2742:
	s_or_b32 exec_lo, exec_lo, s0
	s_and_saveexec_b32 s0, s80
	s_cbranch_execnz .LBB31_2777
.LBB31_2743:
	s_or_b32 exec_lo, exec_lo, s0
	s_mov_b32 s6, 0
	s_and_saveexec_b32 s0, s7
	s_delay_alu instid0(SALU_CYCLE_1)
	s_xor_b32 s7, exec_lo, s0
	s_cbranch_execz .LBB31_2755
; %bb.2744:
	s_load_b512 s[8:23], s[2:3], 0x248
	s_wait_loadcnt 0x0
	v_sub_nc_u64_e32 v[0:1], v[12:13], v[10:11]
	s_wait_kmcnt 0x0
	s_and_not1_b32 s8, s39, exec_lo
	s_mov_b32 s6, exec_lo
	s_mov_b64 s[16:17], s[20:21]
	s_mov_b64 s[18:19], s[22:23]
	s_delay_alu instid0(VALU_DEP_1) | instskip(SKIP_2) | instid1(SALU_CYCLE_1)
	v_cmp_le_i64_e32 vcc_lo, s[16:17], v[0:1]
	v_cmp_ge_i64_e64 s0, s[18:19], v[0:1]
	s_and_b32 s0, vcc_lo, s0
	s_and_b32 s0, s104, s0
	s_delay_alu instid0(SALU_CYCLE_1) | instskip(NEXT) | instid1(SALU_CYCLE_1)
	s_xor_b32 s0, s0, -1
	s_and_b32 s0, s0, exec_lo
	s_delay_alu instid0(SALU_CYCLE_1)
	s_or_b32 s39, s8, s0
	s_or_b32 exec_lo, exec_lo, s7
	s_and_saveexec_b32 s0, s39
	s_cbranch_execz .LBB31_2756
.LBB31_2745:
	s_or_b32 s1, s1, exec_lo
	s_and_not1_b32 s6, s6, exec_lo
	s_trap 2
	s_or_b32 exec_lo, exec_lo, s0
	s_mov_b32 s8, 0
	s_and_saveexec_b32 s16, s6
	s_cbranch_execnz .LBB31_2757
.LBB31_2746:
	s_or_b32 exec_lo, exec_lo, s16
	s_and_saveexec_b32 s0, s65
	s_cbranch_execnz .LBB31_2775
.LBB31_2747:
	s_or_b32 exec_lo, exec_lo, s0
	s_mov_b32 s9, 0
	s_mov_b32 s7, 0
                                        ; implicit-def: $sgpr0
                                        ; implicit-def: $vgpr0_vgpr1
	s_and_saveexec_b32 s6, s8
	s_cbranch_execz .LBB31_2764
; %bb.2748:
	s_load_b512 s[8:23], s[2:3], 0x248
	v_mov_b32_e32 v3, 0
	s_and_b32 s0, s74, 0xff
	s_delay_alu instid0(SALU_CYCLE_1)
	s_cmp_lt_i32 s0, 11
	s_wait_loadcnt 0x0
	s_wait_kmcnt 0x0
	v_add_nc_u64_e32 v[0:1], s[8:9], v[2:3]
	s_cbranch_scc1 .LBB31_2772
; %bb.2749:
	s_and_b32 s5, 0xffff, s0
	s_mov_b32 s7, -1
	s_cmp_gt_i32 s5, 25
	s_mov_b32 s4, s64
	s_cbranch_scc0 .LBB31_2797
; %bb.2750:
	s_cmp_gt_i32 s5, 28
	s_mov_b32 s4, s64
	s_cbranch_scc0 .LBB31_2787
; %bb.2751:
	;; [unrolled: 4-line block ×4, first 2 shown]
	s_cmp_eq_u32 s5, 46
	s_mov_b32 s4, -1
	s_cbranch_scc0 .LBB31_2778
; %bb.2754:
	v_mov_b32_e32 v2, 0
	s_mov_b32 s4, 0
	s_mov_b32 s7, 0
	global_store_b32 v[0:1], v2, off
	s_branch .LBB31_2779
.LBB31_2755:
	s_or_b32 exec_lo, exec_lo, s7
	s_and_saveexec_b32 s0, s39
	s_cbranch_execnz .LBB31_2745
.LBB31_2756:
	s_or_b32 exec_lo, exec_lo, s0
	s_mov_b32 s8, 0
	s_and_saveexec_b32 s16, s6
	s_cbranch_execz .LBB31_2746
.LBB31_2757:
	v_cmp_lt_i64_e64 s0, s[36:37], 1
	s_wait_loadcnt 0x0
	v_mov_b64_e32 v[0:1], 0
	s_xor_b32 s6, s49, -1
	s_delay_alu instid0(SALU_CYCLE_1) | instskip(NEXT) | instid1(SALU_CYCLE_1)
	s_or_b32 s0, s0, s6
	s_and_b32 vcc_lo, exec_lo, s0
	s_cbranch_vccnz .LBB31_2767
; %bb.2758:
	v_mul_u64_e32 v[6:7], s[36:37], v[14:15]
	s_mov_b32 s35, 0
	v_mov_b64_e32 v[0:1], 0
	s_lshl_b64 s[8:9], s[34:35], 3
	v_mov_b32_e32 v4, 0
	s_add_nc_u64 s[8:9], s[2:3], s[8:9]
	s_mov_b64 s[6:7], 0xffffffff
	s_add_nc_u64 s[8:9], s[8:9], 0x298
	s_branch .LBB31_2760
.LBB31_2759:                            ;   in Loop: Header=BB31_2760 Depth=1
	s_or_b32 exec_lo, exec_lo, s0
	s_delay_alu instid0(VALU_DEP_1)
	v_mul_u64_e32 v[14:15], s[10:11], v[8:9]
	s_load_b64 s[10:11], s[8:9], 0x40
	s_add_co_i32 s38, s38, -1
	s_wait_xcnt 0x0
	s_add_nc_u64 s[8:9], s[8:9], -8
	s_cmp_lg_u32 s38, 0
	s_delay_alu instid0(VALU_DEP_1) | instskip(SKIP_1) | instid1(VALU_DEP_1)
	v_sub_nc_u64_e32 v[6:7], v[6:7], v[14:15]
	s_wait_kmcnt 0x0
	v_mad_nc_u64_u32 v[0:1], v6, s10, v[0:1]
	s_delay_alu instid0(VALU_DEP_1) | instskip(NEXT) | instid1(VALU_DEP_1)
	v_mad_u32 v1, v7, s10, v1
	v_mad_u32 v1, v6, s11, v1
	v_mov_b64_e32 v[6:7], v[8:9]
	s_cbranch_scc0 .LBB31_2767
.LBB31_2760:                            ; =>This Inner Loop Header: Depth=1
	s_load_b64 s[10:11], s[8:9], 0x0
                                        ; implicit-def: $vgpr8_vgpr9
	s_mov_b32 s0, exec_lo
	s_wait_kmcnt 0x0
	s_delay_alu instid0(VALU_DEP_1) | instskip(NEXT) | instid1(VALU_DEP_1)
	v_or_b32_e32 v5, s11, v7
	v_cmpx_ne_u64_e32 0, v[4:5]
	s_xor_b32 s17, exec_lo, s0
	s_cbranch_execz .LBB31_2762
; %bb.2761:                             ;   in Loop: Header=BB31_2760 Depth=1
	s_ashr_i32 s12, s11, 31
	v_dual_mov_b32 v17, v4 :: v_dual_ashrrev_i32 v8, 31, v7
	s_mov_b32 s13, s12
	v_mov_b32_e32 v25, v4
	s_add_nc_u64 s[14:15], s[10:11], s[12:13]
	s_delay_alu instid0(VALU_DEP_2) | instskip(SKIP_1) | instid1(SALU_CYCLE_1)
	v_mov_b32_e32 v9, v8
	s_xor_b64 s[14:15], s[14:15], s[12:13]
	s_cvt_f32_u32 s0, s14
	s_cvt_f32_u32 s13, s15
	s_sub_nc_u64 s[20:21], 0, s[14:15]
	v_add_nc_u64_e32 v[14:15], v[6:7], v[8:9]
	v_mov_b32_e32 v21, v4
	s_fmamk_f32 s0, s13, 0x4f800000, s0
	s_delay_alu instid0(SALU_CYCLE_3) | instskip(NEXT) | instid1(VALU_DEP_2)
	v_s_rcp_f32 s0, s0
	v_xor_b32_e32 v16, v14, v8
	s_delay_alu instid0(VALU_DEP_3) | instskip(SKIP_1) | instid1(TRANS32_DEP_1)
	v_xor_b32_e32 v20, v15, v8
	v_xor_b32_e32 v8, s12, v8
	s_mul_f32 s0, s0, 0x5f7ffffc
	s_delay_alu instid0(SALU_CYCLE_3) | instskip(NEXT) | instid1(SALU_CYCLE_3)
	s_mul_f32 s13, s0, 0x2f800000
	s_trunc_f32 s13, s13
	s_delay_alu instid0(SALU_CYCLE_3) | instskip(SKIP_1) | instid1(SALU_CYCLE_2)
	s_fmamk_f32 s0, s13, 0xcf800000, s0
	s_cvt_u32_f32 s19, s13
	s_cvt_u32_f32 s18, s0
	s_delay_alu instid0(SALU_CYCLE_3) | instskip(NEXT) | instid1(SALU_CYCLE_1)
	s_mul_u64 s[22:23], s[20:21], s[18:19]
	s_mul_hi_u32 s25, s18, s23
	s_mul_i32 s24, s18, s23
	s_mul_hi_u32 s34, s18, s22
	s_mul_i32 s13, s19, s22
	s_add_nc_u64 s[24:25], s[34:35], s[24:25]
	s_mul_hi_u32 s0, s19, s22
	s_mul_hi_u32 s26, s19, s23
	s_add_co_u32 s13, s24, s13
	s_add_co_ci_u32 s34, s25, s0
	s_mul_i32 s22, s19, s23
	s_add_co_ci_u32 s23, s26, 0
	s_delay_alu instid0(SALU_CYCLE_1) | instskip(NEXT) | instid1(SALU_CYCLE_1)
	s_add_nc_u64 s[22:23], s[34:35], s[22:23]
	s_add_co_u32 s18, s18, s22
	s_cselect_b32 s0, -1, 0
	s_delay_alu instid0(SALU_CYCLE_1) | instskip(SKIP_1) | instid1(SALU_CYCLE_1)
	s_cmp_lg_u32 s0, 0
	s_add_co_ci_u32 s19, s19, s23
	s_mul_u64 s[20:21], s[20:21], s[18:19]
	s_delay_alu instid0(SALU_CYCLE_1)
	s_mul_hi_u32 s23, s18, s21
	s_mul_i32 s22, s18, s21
	s_mul_hi_u32 s34, s18, s20
	s_mul_i32 s13, s19, s20
	s_add_nc_u64 s[22:23], s[34:35], s[22:23]
	s_mul_hi_u32 s0, s19, s20
	s_mul_hi_u32 s24, s19, s21
	s_add_co_u32 s13, s22, s13
	s_add_co_ci_u32 s34, s23, s0
	s_mul_i32 s20, s19, s21
	s_add_co_ci_u32 s21, s24, 0
	s_delay_alu instid0(SALU_CYCLE_1) | instskip(NEXT) | instid1(SALU_CYCLE_1)
	s_add_nc_u64 s[20:21], s[34:35], s[20:21]
	s_add_co_u32 s0, s18, s20
	s_cselect_b32 s13, -1, 0
	v_mul_hi_u32 v24, v16, s0
	s_cmp_lg_u32 s13, 0
	s_add_co_ci_u32 s34, s19, s21
	s_and_b64 s[18:19], s[0:1], s[6:7]
	v_mul_u64_e32 v[18:19], s[34:35], v[16:17]
	v_mul_u64_e32 v[14:15], s[18:19], v[20:21]
	;; [unrolled: 1-line block ×3, first 2 shown]
	s_delay_alu instid0(VALU_DEP_3) | instskip(NEXT) | instid1(VALU_DEP_1)
	v_add_nc_u64_e32 v[18:19], v[24:25], v[18:19]
	v_add_co_u32 v3, vcc_lo, v18, v14
	s_delay_alu instid0(VALU_DEP_2) | instskip(NEXT) | instid1(VALU_DEP_4)
	v_add_co_ci_u32_e32 v24, vcc_lo, v19, v15, vcc_lo
	v_add_co_ci_u32_e32 v23, vcc_lo, 0, v23, vcc_lo
	s_delay_alu instid0(VALU_DEP_1) | instskip(NEXT) | instid1(VALU_DEP_1)
	v_add_nc_u64_e32 v[14:15], v[24:25], v[22:23]
	v_mul_u64_e32 v[18:19], s[14:15], v[14:15]
	s_delay_alu instid0(VALU_DEP_1) | instskip(NEXT) | instid1(VALU_DEP_2)
	v_sub_nc_u32_e32 v3, v20, v19
	v_sub_co_u32 v5, vcc_lo, v16, v18
	s_delay_alu instid0(VALU_DEP_1) | instskip(NEXT) | instid1(VALU_DEP_3)
	v_sub_co_ci_u32_e64 v20, null, v20, v19, vcc_lo
	v_subrev_co_ci_u32_e64 v3, null, s15, v3, vcc_lo
	s_delay_alu instid0(VALU_DEP_3) | instskip(SKIP_1) | instid1(VALU_DEP_3)
	v_sub_co_u32 v9, s0, v5, s14
	v_add_nc_u64_e32 v[18:19], 1, v[14:15]
	v_subrev_co_ci_u32_e64 v3, null, 0, v3, s0
	s_delay_alu instid0(VALU_DEP_3) | instskip(SKIP_1) | instid1(VALU_DEP_3)
	v_cmp_le_u32_e32 vcc_lo, s14, v9
	v_cndmask_b32_e64 v9, 0, -1, vcc_lo
	v_cmp_le_u32_e32 vcc_lo, s15, v3
	v_cndmask_b32_e64 v16, 0, -1, vcc_lo
	;; [unrolled: 2-line block ×4, first 2 shown]
	v_cmp_eq_u32_e32 vcc_lo, s15, v3
	v_cndmask_b32_e32 v3, v16, v9, vcc_lo
	v_cmp_eq_u32_e32 vcc_lo, s15, v20
	v_add_nc_u64_e32 v[16:17], 2, v[14:15]
	v_dual_mov_b32 v9, v8 :: v_dual_cndmask_b32 v5, v21, v5, vcc_lo
	s_delay_alu instid0(VALU_DEP_4) | instskip(NEXT) | instid1(VALU_DEP_2)
	v_cmp_ne_u32_e32 vcc_lo, 0, v3
	v_cmp_ne_u32_e64 s0, 0, v5
	s_delay_alu instid0(VALU_DEP_4) | instskip(NEXT) | instid1(VALU_DEP_1)
	v_dual_cndmask_b32 v3, v19, v17, vcc_lo :: v_dual_cndmask_b32 v5, v18, v16, vcc_lo
	v_dual_cndmask_b32 v3, v15, v3, s0 :: v_dual_cndmask_b32 v5, v14, v5, s0
	s_delay_alu instid0(VALU_DEP_1) | instskip(NEXT) | instid1(VALU_DEP_2)
	v_xor_b32_e32 v15, v3, v8
	v_xor_b32_e32 v14, v5, v8
	s_delay_alu instid0(VALU_DEP_1)
	v_sub_nc_u64_e32 v[8:9], v[14:15], v[8:9]
.LBB31_2762:                            ;   in Loop: Header=BB31_2760 Depth=1
	s_and_not1_saveexec_b32 s0, s17
	s_cbranch_execz .LBB31_2759
; %bb.2763:                             ;   in Loop: Header=BB31_2760 Depth=1
	v_cvt_f32_u32_e32 v3, s10
	s_sub_co_i32 s12, 0, s10
	s_delay_alu instid0(VALU_DEP_1) | instskip(SKIP_1) | instid1(TRANS32_DEP_1)
	v_rcp_iflag_f32_e32 v3, v3
	v_nop
	v_mul_f32_e32 v3, 0x4f7ffffe, v3
	s_delay_alu instid0(VALU_DEP_1) | instskip(NEXT) | instid1(VALU_DEP_1)
	v_cvt_u32_f32_e32 v3, v3
	v_mul_lo_u32 v5, s12, v3
	s_delay_alu instid0(VALU_DEP_1) | instskip(NEXT) | instid1(VALU_DEP_1)
	v_mul_hi_u32 v5, v3, v5
	v_add_nc_u32_e32 v3, v3, v5
	s_delay_alu instid0(VALU_DEP_1) | instskip(NEXT) | instid1(VALU_DEP_1)
	v_mul_hi_u32 v3, v6, v3
	v_mul_lo_u32 v5, v3, s10
	s_delay_alu instid0(VALU_DEP_1) | instskip(NEXT) | instid1(VALU_DEP_1)
	v_sub_nc_u32_e32 v5, v6, v5
	v_subrev_nc_u32_e32 v9, s10, v5
	v_cmp_le_u32_e32 vcc_lo, s10, v5
	s_delay_alu instid0(VALU_DEP_2) | instskip(NEXT) | instid1(VALU_DEP_1)
	v_dual_cndmask_b32 v5, v5, v9 :: v_dual_add_nc_u32 v8, 1, v3
	v_dual_cndmask_b32 v3, v3, v8, vcc_lo :: v_dual_mov_b32 v9, v4
	s_delay_alu instid0(VALU_DEP_2) | instskip(NEXT) | instid1(VALU_DEP_2)
	v_cmp_le_u32_e32 vcc_lo, s10, v5
	v_add_nc_u32_e32 v8, 1, v3
	s_delay_alu instid0(VALU_DEP_1)
	v_cndmask_b32_e32 v8, v3, v8, vcc_lo
	s_branch .LBB31_2759
.LBB31_2764:
	s_or_b32 exec_lo, exec_lo, s6
	s_and_saveexec_b32 s4, s64
	s_cbranch_execnz .LBB31_2817
.LBB31_2765:
	s_or_b32 exec_lo, exec_lo, s4
	s_and_saveexec_b32 s4, s9
	s_delay_alu instid0(SALU_CYCLE_1)
	s_xor_b32 s4, exec_lo, s4
	s_cbranch_execz .LBB31_2818
.LBB31_2766:
	v_mov_b32_e32 v2, 0
	s_wait_loadcnt 0x0
	global_store_b8 v[0:1], v2, off
	s_wait_xcnt 0x0
	s_or_b32 exec_lo, exec_lo, s4
	s_and_saveexec_b32 s4, s7
	s_delay_alu instid0(SALU_CYCLE_1)
	s_xor_b32 s4, exec_lo, s4
	s_cbranch_execz .LBB31_2856
	s_branch .LBB31_2819
.LBB31_2767:
	s_mov_b32 s6, s65
	s_mov_b32 s0, exec_lo
	v_cmpx_gt_i64_e64 v[12:13], v[10:11]
	s_cbranch_execz .LBB31_2774
; %bb.2768:
	s_delay_alu instid0(VALU_DEP_2) | instskip(SKIP_2) | instid1(VALU_DEP_1)
	v_lshlrev_b64_e32 v[0:1], 3, v[0:1]
	s_mov_b32 s6, 0
	s_xor_b32 s8, s71, -1
                                        ; implicit-def: $sgpr7
                                        ; implicit-def: $sgpr10
                                        ; implicit-def: $sgpr9
	v_lshl_add_u64 v[4:5], v[10:11], 3, v[0:1]
	v_add_nc_u64_e32 v[6:7], s[72:73], v[0:1]
	s_delay_alu instid0(VALU_DEP_2) | instskip(NEXT) | instid1(VALU_DEP_1)
	v_add_nc_u64_e32 v[4:5], s[72:73], v[4:5]
	v_add_nc_u64_e32 v[0:1], 8, v[4:5]
	s_delay_alu instid0(VALU_DEP_3)
	v_lshl_add_u64 v[4:5], v[12:13], 3, v[6:7]
	s_branch .LBB31_2770
.LBB31_2769:                            ;   in Loop: Header=BB31_2770 Depth=1
	s_or_b32 exec_lo, exec_lo, s11
	s_xor_b32 s11, s9, -1
	s_and_b32 s12, exec_lo, s10
	s_delay_alu instid0(SALU_CYCLE_1) | instskip(SKIP_2) | instid1(SALU_CYCLE_1)
	s_or_b32 s6, s12, s6
	s_and_not1_b32 s7, s7, exec_lo
	s_and_b32 s11, s11, exec_lo
	s_or_b32 s7, s7, s11
	s_and_not1_b32 exec_lo, exec_lo, s6
	s_cbranch_execz .LBB31_2773
.LBB31_2770:                            ; =>This Inner Loop Header: Depth=1
	s_or_b32 s9, s9, exec_lo
	s_or_b32 s10, s10, exec_lo
	s_mov_b32 s11, exec_lo
	s_delay_alu instid0(VALU_DEP_2)
	v_cmpx_lt_u64_e64 v[0:1], v[4:5]
	s_cbranch_execz .LBB31_2769
; %bb.2771:                             ;   in Loop: Header=BB31_2770 Depth=1
	global_load_b128 v[6:9], v[0:1], off offset:-8
	s_wait_xcnt 0x0
	v_add_nc_u64_e32 v[0:1], 8, v[0:1]
	s_and_not1_b32 s10, s10, exec_lo
	s_and_not1_b32 s9, s9, exec_lo
	s_wait_loadcnt 0x0
	v_cmp_ge_i64_e32 vcc_lo, v[6:7], v[8:9]
	s_or_b32 s12, s8, vcc_lo
	s_delay_alu instid0(SALU_CYCLE_1) | instskip(NEXT) | instid1(SALU_CYCLE_1)
	s_and_b32 s12, s12, exec_lo
	s_or_b32 s10, s10, s12
	s_branch .LBB31_2769
.LBB31_2772:
	s_mov_b32 s8, 0
	s_mov_b32 s7, -1
	s_mov_b32 s4, s64
	s_branch .LBB31_2816
.LBB31_2773:
	s_or_b32 exec_lo, exec_lo, s6
	s_delay_alu instid0(SALU_CYCLE_1) | instskip(SKIP_1) | instid1(SALU_CYCLE_1)
	s_and_not1_b32 s6, s65, exec_lo
	s_and_b32 s7, s7, exec_lo
	s_or_b32 s6, s6, s7
.LBB31_2774:
	s_or_b32 exec_lo, exec_lo, s0
	s_delay_alu instid0(SALU_CYCLE_1)
	s_and_not1_b32 s0, s65, exec_lo
	s_and_b32 s6, s6, exec_lo
	s_mov_b32 s8, exec_lo
	s_or_b32 s65, s0, s6
	s_or_b32 exec_lo, exec_lo, s16
	s_and_saveexec_b32 s0, s65
	s_cbranch_execz .LBB31_2747
.LBB31_2775:
	s_or_b32 s1, s1, exec_lo
	s_and_not1_b32 s8, s8, exec_lo
	s_trap 2
	s_branch .LBB31_2747
.LBB31_2776:
	s_or_b32 s1, s1, exec_lo
	s_and_not1_b32 s0, s0, exec_lo
	s_trap 2
	s_branch .LBB31_2740
.LBB31_2777:
	s_or_b32 s1, s1, exec_lo
	s_and_not1_b32 s7, s7, exec_lo
	s_trap 2
	s_branch .LBB31_2743
.LBB31_2778:
	s_mov_b32 s7, 0
.LBB31_2779:
	s_delay_alu instid0(SALU_CYCLE_1)
	s_and_b32 vcc_lo, exec_lo, s7
	s_cbranch_vccz .LBB31_2782
; %bb.2780:
	s_cmp_eq_u32 s5, 44
	s_mov_b32 s4, -1
	s_cbranch_scc0 .LBB31_2782
; %bb.2781:
	s_wait_xcnt 0x0
	v_mov_b32_e32 v2, 0
	s_mov_b32 s4, 0
	s_mov_b32 s7, 0
	global_store_b8 v[0:1], v2, off
	s_branch .LBB31_2783
.LBB31_2782:
	s_mov_b32 s7, 0
.LBB31_2783:
	s_delay_alu instid0(SALU_CYCLE_1)
	s_and_b32 vcc_lo, exec_lo, s7
	s_cbranch_vccz .LBB31_2786
; %bb.2784:
	s_cmp_eq_u32 s5, 29
	s_mov_b32 s4, -1
	s_cbranch_scc0 .LBB31_2786
; %bb.2785:
	s_wait_xcnt 0x0
	v_mov_b64_e32 v[2:3], 0
	s_mov_b32 s4, 0
	s_mov_b32 s7, 0
	global_store_b64 v[0:1], v[2:3], off
	s_branch .LBB31_2787
.LBB31_2786:
	s_mov_b32 s7, 0
.LBB31_2787:
	s_delay_alu instid0(SALU_CYCLE_1)
	s_and_b32 vcc_lo, exec_lo, s7
	s_cbranch_vccz .LBB31_2796
; %bb.2788:
	s_cmp_lt_i32 s5, 27
	s_mov_b32 s7, -1
	s_cbranch_scc1 .LBB31_2794
; %bb.2789:
	s_cmp_gt_i32 s5, 27
	s_cbranch_scc0 .LBB31_2791
; %bb.2790:
	s_wait_xcnt 0x0
	v_mov_b32_e32 v2, 0
	s_mov_b32 s7, 0
	global_store_b32 v[0:1], v2, off
.LBB31_2791:
	s_and_not1_b32 vcc_lo, exec_lo, s7
	s_cbranch_vccnz .LBB31_2793
; %bb.2792:
	s_wait_xcnt 0x0
	v_mov_b32_e32 v2, 0
	global_store_b16 v[0:1], v2, off
.LBB31_2793:
	s_mov_b32 s7, 0
.LBB31_2794:
	s_delay_alu instid0(SALU_CYCLE_1)
	s_and_not1_b32 vcc_lo, exec_lo, s7
	s_cbranch_vccnz .LBB31_2796
; %bb.2795:
	s_wait_xcnt 0x0
	v_mov_b32_e32 v2, 0
	global_store_b8 v[0:1], v2, off
.LBB31_2796:
	s_mov_b32 s7, 0
.LBB31_2797:
	s_delay_alu instid0(SALU_CYCLE_1)
	s_and_b32 vcc_lo, exec_lo, s7
	s_mov_b32 s7, 0
	s_cbranch_vccz .LBB31_2815
; %bb.2798:
	s_cmp_gt_i32 s5, 22
	s_mov_b32 s8, -1
	s_cbranch_scc0 .LBB31_2808
; %bb.2799:
	s_cmp_lt_i32 s5, 24
	s_cbranch_scc1 .LBB31_2805
; %bb.2800:
	s_cmp_gt_i32 s5, 24
	s_cbranch_scc0 .LBB31_2802
; %bb.2801:
	s_wait_xcnt 0x0
	v_mov_b32_e32 v2, 0
	s_mov_b32 s8, 0
	global_store_b8 v[0:1], v2, off
.LBB31_2802:
	s_and_not1_b32 vcc_lo, exec_lo, s8
	s_cbranch_vccnz .LBB31_2804
; %bb.2803:
	s_wait_xcnt 0x0
	v_mov_b32_e32 v2, 0
	global_store_b8 v[0:1], v2, off
.LBB31_2804:
	s_mov_b32 s8, 0
.LBB31_2805:
	s_delay_alu instid0(SALU_CYCLE_1)
	s_and_not1_b32 vcc_lo, exec_lo, s8
	s_cbranch_vccnz .LBB31_2807
; %bb.2806:
	s_wait_xcnt 0x0
	v_mov_b32_e32 v2, 0
	global_store_b8 v[0:1], v2, off
.LBB31_2807:
	s_mov_b32 s8, 0
.LBB31_2808:
	s_delay_alu instid0(SALU_CYCLE_1)
	s_and_not1_b32 vcc_lo, exec_lo, s8
	s_mov_b32 s8, 0
	s_cbranch_vccnz .LBB31_2816
; %bb.2809:
	s_cmp_gt_i32 s5, 14
	s_mov_b32 s8, -1
	s_cbranch_scc0 .LBB31_2813
; %bb.2810:
	s_cmp_eq_u32 s5, 15
	s_mov_b32 s4, -1
	s_cbranch_scc0 .LBB31_2812
; %bb.2811:
	s_wait_xcnt 0x0
	v_mov_b32_e32 v2, 0
	s_mov_b32 s4, 0
	global_store_b16 v[0:1], v2, off
.LBB31_2812:
	s_mov_b32 s8, 0
.LBB31_2813:
	s_delay_alu instid0(SALU_CYCLE_1)
	s_and_b32 vcc_lo, exec_lo, s8
	s_mov_b32 s8, 0
	s_cbranch_vccz .LBB31_2816
; %bb.2814:
	s_cmp_lg_u32 s5, 11
	s_mov_b32 s8, -1
	s_cselect_b32 s5, -1, 0
	s_and_not1_b32 s4, s4, exec_lo
	s_and_b32 s5, s5, exec_lo
	s_delay_alu instid0(SALU_CYCLE_1)
	s_or_b32 s4, s4, s5
	s_branch .LBB31_2816
.LBB31_2815:
	s_mov_b32 s8, 0
.LBB31_2816:
	s_and_not1_b32 s5, s64, exec_lo
	s_and_b32 s4, s4, exec_lo
	s_and_b32 s7, s7, exec_lo
	;; [unrolled: 1-line block ×3, first 2 shown]
	s_or_b32 s64, s5, s4
	s_wait_xcnt 0x0
	s_or_b32 exec_lo, exec_lo, s6
	s_and_saveexec_b32 s4, s64
	s_cbranch_execz .LBB31_2765
.LBB31_2817:
	s_or_b32 s1, s1, exec_lo
	s_and_not1_b32 s9, s9, exec_lo
	s_trap 2
	s_or_b32 exec_lo, exec_lo, s4
	s_and_saveexec_b32 s4, s9
	s_delay_alu instid0(SALU_CYCLE_1)
	s_xor_b32 s4, exec_lo, s4
	s_cbranch_execnz .LBB31_2766
.LBB31_2818:
	s_or_b32 exec_lo, exec_lo, s4
	s_and_saveexec_b32 s4, s7
	s_delay_alu instid0(SALU_CYCLE_1)
	s_xor_b32 s4, exec_lo, s4
	s_cbranch_execz .LBB31_2856
.LBB31_2819:
	s_sext_i32_i16 s6, s0
	s_mov_b32 s5, -1
	s_cmp_lt_i32 s6, 5
	s_cbranch_scc1 .LBB31_2840
; %bb.2820:
	s_cmp_lt_i32 s6, 8
	s_cbranch_scc1 .LBB31_2830
; %bb.2821:
	;; [unrolled: 3-line block ×3, first 2 shown]
	s_cmp_gt_i32 s6, 9
	s_cbranch_scc0 .LBB31_2824
; %bb.2823:
	v_mov_b32_e32 v2, 0
	s_mov_b32 s5, 0
	s_wait_loadcnt 0x0
	s_delay_alu instid0(VALU_DEP_1)
	v_dual_mov_b32 v3, v2 :: v_dual_mov_b32 v4, v2
	v_mov_b32_e32 v5, v2
	global_store_b128 v[0:1], v[2:5], off
.LBB31_2824:
	s_and_not1_b32 vcc_lo, exec_lo, s5
	s_cbranch_vccnz .LBB31_2826
; %bb.2825:
	s_wait_xcnt 0x0
	v_mov_b64_e32 v[2:3], 0
	s_wait_loadcnt 0x0
	global_store_b64 v[0:1], v[2:3], off
.LBB31_2826:
	s_mov_b32 s5, 0
.LBB31_2827:
	s_delay_alu instid0(SALU_CYCLE_1)
	s_and_not1_b32 vcc_lo, exec_lo, s5
	s_cbranch_vccnz .LBB31_2829
; %bb.2828:
	s_wait_xcnt 0x0
	v_mov_b32_e32 v2, 0
	s_wait_loadcnt 0x0
	global_store_b32 v[0:1], v2, off
.LBB31_2829:
	s_mov_b32 s5, 0
.LBB31_2830:
	s_delay_alu instid0(SALU_CYCLE_1)
	s_and_not1_b32 vcc_lo, exec_lo, s5
	s_cbranch_vccnz .LBB31_2839
; %bb.2831:
	s_sext_i32_i16 s6, s0
	s_mov_b32 s5, -1
	s_cmp_lt_i32 s6, 6
	s_cbranch_scc1 .LBB31_2837
; %bb.2832:
	s_cmp_gt_i32 s6, 6
	s_cbranch_scc0 .LBB31_2834
; %bb.2833:
	s_wait_xcnt 0x0
	v_mov_b64_e32 v[2:3], 0
	s_mov_b32 s5, 0
	s_wait_loadcnt 0x0
	global_store_b64 v[0:1], v[2:3], off
.LBB31_2834:
	s_and_not1_b32 vcc_lo, exec_lo, s5
	s_cbranch_vccnz .LBB31_2836
; %bb.2835:
	s_wait_xcnt 0x0
	v_mov_b32_e32 v2, 0
	s_wait_loadcnt 0x0
	global_store_b32 v[0:1], v2, off
.LBB31_2836:
	s_mov_b32 s5, 0
.LBB31_2837:
	s_delay_alu instid0(SALU_CYCLE_1)
	s_and_not1_b32 vcc_lo, exec_lo, s5
	s_cbranch_vccnz .LBB31_2839
; %bb.2838:
	s_wait_xcnt 0x0
	v_mov_b32_e32 v2, 0
	s_wait_loadcnt 0x0
	global_store_b16 v[0:1], v2, off
.LBB31_2839:
	s_mov_b32 s5, 0
.LBB31_2840:
	s_delay_alu instid0(SALU_CYCLE_1)
	s_and_not1_b32 vcc_lo, exec_lo, s5
	s_cbranch_vccnz .LBB31_2856
; %bb.2841:
	s_sext_i32_i16 s6, s0
	s_mov_b32 s5, -1
	s_cmp_lt_i32 s6, 2
	s_cbranch_scc1 .LBB31_2851
; %bb.2842:
	s_cmp_lt_i32 s6, 3
	s_cbranch_scc1 .LBB31_2848
; %bb.2843:
	s_cmp_gt_i32 s6, 3
	s_cbranch_scc0 .LBB31_2845
; %bb.2844:
	s_wait_xcnt 0x0
	v_mov_b64_e32 v[2:3], 0
	s_mov_b32 s5, 0
	s_wait_loadcnt 0x0
	global_store_b64 v[0:1], v[2:3], off
.LBB31_2845:
	s_and_not1_b32 vcc_lo, exec_lo, s5
	s_cbranch_vccnz .LBB31_2847
; %bb.2846:
	s_wait_xcnt 0x0
	v_mov_b32_e32 v2, 0
	s_wait_loadcnt 0x0
	global_store_b32 v[0:1], v2, off
.LBB31_2847:
	s_mov_b32 s5, 0
.LBB31_2848:
	s_delay_alu instid0(SALU_CYCLE_1)
	s_and_not1_b32 vcc_lo, exec_lo, s5
	s_cbranch_vccnz .LBB31_2850
; %bb.2849:
	s_wait_xcnt 0x0
	v_mov_b32_e32 v2, 0
	s_wait_loadcnt 0x0
	global_store_b16 v[0:1], v2, off
.LBB31_2850:
	s_mov_b32 s5, 0
.LBB31_2851:
	s_delay_alu instid0(SALU_CYCLE_1)
	s_and_not1_b32 vcc_lo, exec_lo, s5
	s_cbranch_vccnz .LBB31_2856
; %bb.2852:
	s_sext_i32_i16 s0, s0
	s_delay_alu instid0(SALU_CYCLE_1)
	s_cmp_gt_i32 s0, 0
	s_mov_b32 s0, -1
	s_cbranch_scc0 .LBB31_2854
; %bb.2853:
	s_wait_xcnt 0x0
	v_mov_b32_e32 v2, 0
	s_mov_b32 s0, 0
	s_wait_loadcnt 0x0
	global_store_b8 v[0:1], v2, off
.LBB31_2854:
	s_and_not1_b32 vcc_lo, exec_lo, s0
	s_cbranch_vccnz .LBB31_2856
; %bb.2855:
	s_wait_xcnt 0x0
	v_mov_b32_e32 v2, 0
	s_wait_loadcnt 0x0
	global_store_b8 v[0:1], v2, off
.LBB31_2856:
	s_wait_xcnt 0x0
	s_or_b32 exec_lo, exec_lo, s4
	s_delay_alu instid0(SALU_CYCLE_1)
	s_and_b32 s34, s1, exec_lo
                                        ; implicit-def: $vgpr1
                                        ; implicit-def: $vgpr0
.LBB31_2857:
	s_or_saveexec_b32 s35, s69
	s_mov_b32 s4, 0
                                        ; implicit-def: $vgpr42_vgpr43
                                        ; implicit-def: $sgpr0
	s_xor_b32 exec_lo, exec_lo, s35
	s_cbranch_execz .LBB31_3534
; %bb.2858:
	v_cndmask_b32_e64 v3, 0, 1, s68
	s_and_not1_b32 vcc_lo, exec_lo, s68
	s_cbranch_vccnz .LBB31_2864
; %bb.2859:
	s_cmp_lg_u32 s33, 0
	s_mov_b32 s6, 0
	s_cbranch_scc0 .LBB31_2868
; %bb.2860:
	s_min_u32 s7, s66, 15
	s_wait_loadcnt 0x0
	v_dual_mov_b32 v44, 0 :: v_dual_mov_b32 v2, v0
	v_dual_mov_b32 v42, 0 :: v_dual_mov_b32 v12, 0
	;; [unrolled: 1-line block ×3, first 2 shown]
	v_mov_b32_e32 v8, 0
	s_add_co_i32 s4, s7, 1
	s_mov_b64 s[0:1], 0xffffffffffffffd0
	s_and_b32 s8, s4, 30
	s_add_nc_u64 s[0:1], s[2:3], s[0:1]
	s_mov_b64 s[4:5], s[2:3]
.LBB31_2861:                            ; =>This Inner Loop Header: Depth=1
	s_clause 0x1
	s_load_b128 s[20:23], s[4:5], 0x4
	s_load_b64 s[10:11], s[4:5], 0x14
	s_clause 0x1
	s_load_b256 s[12:19], s[0:1], 0xf4
	s_load_b128 s[24:27], s[0:1], 0x114
	s_add_co_i32 s8, s8, -2
	s_wait_xcnt 0x0
	s_add_nc_u64 s[4:5], s[4:5], 24
	s_cmp_lg_u32 s8, 0
	s_add_nc_u64 s[0:1], s[0:1], 48
	s_wait_kmcnt 0x0
	v_mul_hi_u32 v4, s21, v2
	s_delay_alu instid0(VALU_DEP_1) | instskip(NEXT) | instid1(VALU_DEP_1)
	v_add_nc_u32_e32 v4, v2, v4
	v_lshrrev_b32_e32 v4, s22, v4
	s_delay_alu instid0(VALU_DEP_1) | instskip(SKIP_1) | instid1(VALU_DEP_1)
	v_mul_hi_u32 v5, s10, v4
	v_mul_lo_u32 v7, v4, s20
	v_dual_add_nc_u32 v5, v4, v5 :: v_dual_sub_nc_u32 v7, v2, v7
	s_delay_alu instid0(VALU_DEP_1) | instskip(NEXT) | instid1(VALU_DEP_2)
	v_lshrrev_b32_e32 v2, s11, v5
	v_mad_u32 v5, v7, s13, v8
	v_mad_u32 v6, v7, s12, v6
	;; [unrolled: 1-line block ×4, first 2 shown]
	v_mul_lo_u32 v8, v2, s23
	v_mad_u32 v11, s17, v7, v42
	v_mad_u32 v7, s16, v7, v44
	s_delay_alu instid0(VALU_DEP_3) | instskip(NEXT) | instid1(VALU_DEP_1)
	v_sub_nc_u32_e32 v4, v4, v8
	v_mad_u32 v8, v4, s19, v5
	v_mad_u32 v6, v4, s18, v6
	;; [unrolled: 1-line block ×6, first 2 shown]
	s_cbranch_scc1 .LBB31_2861
; %bb.2862:
	s_bitcmp1_b32 s7, 0
	s_cselect_b32 s7, -1, 0
	s_delay_alu instid0(SALU_CYCLE_1)
	s_and_b32 vcc_lo, exec_lo, s7
	s_cbranch_vccnz .LBB31_2865
; %bb.2863:
	s_load_b96 s[12:14], s[4:5], 0x4
	s_load_b128 s[8:11], s[0:1], 0xf4
	s_wait_xcnt 0x0
	s_load_b64 s[4:5], s[0:1], 0x104
	s_wait_kmcnt 0x0
	v_mul_hi_u32 v4, s13, v2
	s_delay_alu instid0(VALU_DEP_1) | instskip(NEXT) | instid1(VALU_DEP_1)
	v_add_nc_u32_e32 v4, v2, v4
	v_lshrrev_b32_e32 v4, s14, v4
	s_delay_alu instid0(VALU_DEP_1) | instskip(NEXT) | instid1(VALU_DEP_1)
	v_mul_lo_u32 v4, v4, s12
	v_sub_nc_u32_e32 v2, v2, v4
	s_delay_alu instid0(VALU_DEP_1)
	v_mad_u32 v6, v2, s8, v6
	v_mad_u32 v8, v2, s9, v8
	;; [unrolled: 1-line block ×6, first 2 shown]
	s_and_not1_b32 vcc_lo, exec_lo, s6
	s_cbranch_vccz .LBB31_2866
	s_branch .LBB31_2869
.LBB31_2864:
	s_mov_b32 s6, -1
                                        ; implicit-def: $vgpr8
                                        ; implicit-def: $vgpr6
                                        ; implicit-def: $vgpr46
                                        ; implicit-def: $vgpr12
                                        ; implicit-def: $vgpr42
                                        ; implicit-def: $vgpr44
.LBB31_2865:
	s_delay_alu instid0(SALU_CYCLE_1)
	s_and_not1_b32 vcc_lo, exec_lo, s6
	s_cbranch_vccnz .LBB31_2869
.LBB31_2866:
	s_clause 0x2
	s_load_b96 s[8:10], s[2:3], 0x4
	s_load_b128 s[4:7], s[2:3], 0xc4
	s_load_b64 s[0:1], s[2:3], 0xd4
	s_cmp_lt_u32 s33, 2
	s_wait_loadcnt 0x0
	s_wait_kmcnt 0x0
	v_mul_hi_u32 v2, s9, v0
	s_delay_alu instid0(VALU_DEP_1) | instskip(NEXT) | instid1(VALU_DEP_1)
	v_add_nc_u32_e32 v2, v0, v2
	v_lshrrev_b32_e32 v2, s10, v2
	s_delay_alu instid0(VALU_DEP_1) | instskip(NEXT) | instid1(VALU_DEP_1)
	v_mul_lo_u32 v4, v2, s8
	v_sub_nc_u32_e32 v4, v0, v4
	s_delay_alu instid0(VALU_DEP_1)
	v_mul_lo_u32 v8, v4, s5
	v_mul_lo_u32 v6, v4, s4
	;; [unrolled: 1-line block ×6, first 2 shown]
	s_cbranch_scc1 .LBB31_2869
; %bb.2867:
	s_clause 0x2
	s_load_b96 s[8:10], s[2:3], 0x10
	s_load_b128 s[4:7], s[2:3], 0xdc
	s_load_b64 s[0:1], s[2:3], 0xec
	s_wait_kmcnt 0x0
	v_mul_hi_u32 v4, s9, v2
	s_delay_alu instid0(VALU_DEP_1) | instskip(NEXT) | instid1(VALU_DEP_1)
	v_add_nc_u32_e32 v4, v2, v4
	v_lshrrev_b32_e32 v4, s10, v4
	s_delay_alu instid0(VALU_DEP_1) | instskip(NEXT) | instid1(VALU_DEP_1)
	v_mul_lo_u32 v4, v4, s8
	v_sub_nc_u32_e32 v2, v2, v4
	s_delay_alu instid0(VALU_DEP_1)
	v_mad_u32 v6, v2, s4, v6
	v_mad_u32 v8, v2, s5, v8
	v_mad_u32 v12, v2, s6, v12
	v_mad_u32 v46, v2, s7, v46
	v_mad_u32 v44, s0, v2, v44
	v_mad_u32 v42, s1, v2, v42
	s_branch .LBB31_2869
.LBB31_2868:
	s_wait_loadcnt 0x0
	v_dual_mov_b32 v8, 0 :: v_dual_mov_b32 v6, 0
	v_dual_mov_b32 v46, 0 :: v_dual_mov_b32 v12, 0
	;; [unrolled: 1-line block ×3, first 2 shown]
	s_and_not1_b32 vcc_lo, exec_lo, s6
	s_cbranch_vccz .LBB31_2866
.LBB31_2869:
	v_cmp_ne_u32_e32 vcc_lo, 1, v3
	s_wait_loadcnt 0x0
	v_add_nc_u32_e32 v2, 0x80, v0
	s_cbranch_vccnz .LBB31_2875
; %bb.2870:
	s_cmp_lg_u32 s33, 0
	s_mov_b32 s6, 0
	s_cbranch_scc0 .LBB31_2879
; %bb.2871:
	s_min_u32 s7, s66, 15
	v_dual_mov_b32 v34, 0 :: v_dual_mov_b32 v5, v2
	v_dual_mov_b32 v32, 0 :: v_dual_mov_b32 v38, 0
	;; [unrolled: 1-line block ×3, first 2 shown]
	v_mov_b32_e32 v40, 0
	s_add_co_i32 s4, s7, 1
	s_mov_b64 s[0:1], 0xffffffffffffffd0
	s_and_b32 s8, s4, 30
	s_add_nc_u64 s[0:1], s[2:3], s[0:1]
	s_mov_b64 s[4:5], s[2:3]
.LBB31_2872:                            ; =>This Inner Loop Header: Depth=1
	s_clause 0x1
	s_load_b128 s[20:23], s[4:5], 0x4
	s_load_b64 s[10:11], s[4:5], 0x14
	s_clause 0x1
	s_load_b256 s[12:19], s[0:1], 0xf4
	s_load_b128 s[24:27], s[0:1], 0x114
	s_add_co_i32 s8, s8, -2
	s_wait_xcnt 0x0
	s_add_nc_u64 s[4:5], s[4:5], 24
	s_cmp_lg_u32 s8, 0
	s_add_nc_u64 s[0:1], s[0:1], 48
	s_wait_kmcnt 0x0
	v_mul_hi_u32 v7, s21, v5
	s_delay_alu instid0(VALU_DEP_1) | instskip(NEXT) | instid1(VALU_DEP_1)
	v_add_nc_u32_e32 v7, v5, v7
	v_lshrrev_b32_e32 v7, s22, v7
	s_delay_alu instid0(VALU_DEP_1) | instskip(SKIP_1) | instid1(VALU_DEP_1)
	v_mul_hi_u32 v9, s10, v7
	v_mul_lo_u32 v10, v7, s20
	v_dual_add_nc_u32 v9, v7, v9 :: v_dual_sub_nc_u32 v10, v5, v10
	s_delay_alu instid0(VALU_DEP_1) | instskip(NEXT) | instid1(VALU_DEP_2)
	v_lshrrev_b32_e32 v5, s11, v9
	v_mad_u32 v9, v10, s13, v40
	v_mad_u32 v4, v10, s12, v4
	;; [unrolled: 1-line block ×4, first 2 shown]
	v_mul_lo_u32 v11, v5, s23
	v_mad_u32 v15, s17, v10, v32
	v_mad_u32 v10, s16, v10, v34
	s_delay_alu instid0(VALU_DEP_3) | instskip(NEXT) | instid1(VALU_DEP_1)
	v_sub_nc_u32_e32 v7, v7, v11
	v_mad_u32 v40, v7, s19, v9
	v_mad_u32 v4, v7, s18, v4
	;; [unrolled: 1-line block ×6, first 2 shown]
	s_cbranch_scc1 .LBB31_2872
; %bb.2873:
	s_bitcmp1_b32 s7, 0
	s_cselect_b32 s7, -1, 0
	s_delay_alu instid0(SALU_CYCLE_1)
	s_and_b32 vcc_lo, exec_lo, s7
	s_cbranch_vccnz .LBB31_2876
; %bb.2874:
	s_load_b96 s[12:14], s[4:5], 0x4
	s_load_b128 s[8:11], s[0:1], 0xf4
	s_wait_xcnt 0x0
	s_load_b64 s[4:5], s[0:1], 0x104
	s_wait_kmcnt 0x0
	v_mul_hi_u32 v7, s13, v5
	s_delay_alu instid0(VALU_DEP_1) | instskip(NEXT) | instid1(VALU_DEP_1)
	v_add_nc_u32_e32 v7, v5, v7
	v_lshrrev_b32_e32 v7, s14, v7
	s_delay_alu instid0(VALU_DEP_1) | instskip(NEXT) | instid1(VALU_DEP_1)
	v_mul_lo_u32 v7, v7, s12
	v_sub_nc_u32_e32 v5, v5, v7
	s_delay_alu instid0(VALU_DEP_1)
	v_mad_u32 v4, v5, s8, v4
	v_mad_u32 v40, v5, s9, v40
	;; [unrolled: 1-line block ×6, first 2 shown]
	s_and_not1_b32 vcc_lo, exec_lo, s6
	s_cbranch_vccz .LBB31_2877
	s_branch .LBB31_2880
.LBB31_2875:
	s_mov_b32 s6, -1
                                        ; implicit-def: $vgpr40
                                        ; implicit-def: $vgpr4
                                        ; implicit-def: $vgpr36
                                        ; implicit-def: $vgpr38
                                        ; implicit-def: $vgpr32
                                        ; implicit-def: $vgpr34
.LBB31_2876:
	s_delay_alu instid0(SALU_CYCLE_1)
	s_and_not1_b32 vcc_lo, exec_lo, s6
	s_cbranch_vccnz .LBB31_2880
.LBB31_2877:
	s_clause 0x2
	s_load_b96 s[8:10], s[2:3], 0x4
	s_load_b128 s[4:7], s[2:3], 0xc4
	s_load_b64 s[0:1], s[2:3], 0xd4
	s_cmp_lt_u32 s33, 2
	s_wait_kmcnt 0x0
	v_mul_hi_u32 v4, s9, v2
	s_delay_alu instid0(VALU_DEP_1) | instskip(NEXT) | instid1(VALU_DEP_1)
	v_add_nc_u32_e32 v4, v2, v4
	v_lshrrev_b32_e32 v5, s10, v4
	s_delay_alu instid0(VALU_DEP_1) | instskip(NEXT) | instid1(VALU_DEP_1)
	v_mul_lo_u32 v4, v5, s8
	v_sub_nc_u32_e32 v2, v2, v4
	s_delay_alu instid0(VALU_DEP_1)
	v_mul_lo_u32 v40, v2, s5
	v_mul_lo_u32 v4, v2, s4
	;; [unrolled: 1-line block ×6, first 2 shown]
	s_cbranch_scc1 .LBB31_2880
; %bb.2878:
	s_clause 0x2
	s_load_b96 s[8:10], s[2:3], 0x10
	s_load_b128 s[4:7], s[2:3], 0xdc
	s_load_b64 s[0:1], s[2:3], 0xec
	s_wait_kmcnt 0x0
	v_mul_hi_u32 v2, s9, v5
	s_delay_alu instid0(VALU_DEP_1) | instskip(NEXT) | instid1(VALU_DEP_1)
	v_add_nc_u32_e32 v2, v5, v2
	v_lshrrev_b32_e32 v2, s10, v2
	s_delay_alu instid0(VALU_DEP_1) | instskip(NEXT) | instid1(VALU_DEP_1)
	v_mul_lo_u32 v2, v2, s8
	v_sub_nc_u32_e32 v2, v5, v2
	s_delay_alu instid0(VALU_DEP_1)
	v_mad_u32 v4, v2, s4, v4
	v_mad_u32 v40, v2, s5, v40
	;; [unrolled: 1-line block ×6, first 2 shown]
	s_branch .LBB31_2880
.LBB31_2879:
	v_dual_mov_b32 v40, 0 :: v_dual_mov_b32 v4, 0
	v_dual_mov_b32 v36, 0 :: v_dual_mov_b32 v38, 0
	;; [unrolled: 1-line block ×3, first 2 shown]
	s_and_not1_b32 vcc_lo, exec_lo, s6
	s_cbranch_vccz .LBB31_2877
.LBB31_2880:
	v_cmp_ne_u32_e32 vcc_lo, 1, v3
	v_add_nc_u32_e32 v0, 0x100, v0
	s_cbranch_vccnz .LBB31_2886
; %bb.2881:
	s_cmp_lg_u32 s33, 0
	s_mov_b32 s6, 0
	s_cbranch_scc0 .LBB31_2890
; %bb.2882:
	s_min_u32 s7, s66, 15
	v_dual_mov_b32 v24, 0 :: v_dual_mov_b32 v5, v0
	v_dual_mov_b32 v22, 0 :: v_dual_mov_b32 v28, 0
	;; [unrolled: 1-line block ×3, first 2 shown]
	v_mov_b32_e32 v30, 0
	s_add_co_i32 s4, s7, 1
	s_mov_b64 s[0:1], 0xffffffffffffffd0
	s_and_b32 s8, s4, 30
	s_add_nc_u64 s[0:1], s[2:3], s[0:1]
	s_mov_b64 s[4:5], s[2:3]
.LBB31_2883:                            ; =>This Inner Loop Header: Depth=1
	s_clause 0x1
	s_load_b128 s[20:23], s[4:5], 0x4
	s_load_b64 s[10:11], s[4:5], 0x14
	s_clause 0x1
	s_load_b256 s[12:19], s[0:1], 0xf4
	s_load_b128 s[24:27], s[0:1], 0x114
	s_add_co_i32 s8, s8, -2
	s_wait_xcnt 0x0
	s_add_nc_u64 s[4:5], s[4:5], 24
	s_cmp_lg_u32 s8, 0
	s_add_nc_u64 s[0:1], s[0:1], 48
	s_wait_kmcnt 0x0
	v_mul_hi_u32 v7, s21, v5
	s_delay_alu instid0(VALU_DEP_1) | instskip(NEXT) | instid1(VALU_DEP_1)
	v_add_nc_u32_e32 v7, v5, v7
	v_lshrrev_b32_e32 v7, s22, v7
	s_delay_alu instid0(VALU_DEP_1) | instskip(SKIP_1) | instid1(VALU_DEP_1)
	v_mul_hi_u32 v9, s10, v7
	v_mul_lo_u32 v10, v7, s20
	v_dual_add_nc_u32 v9, v7, v9 :: v_dual_sub_nc_u32 v10, v5, v10
	s_delay_alu instid0(VALU_DEP_1) | instskip(NEXT) | instid1(VALU_DEP_2)
	v_lshrrev_b32_e32 v5, s11, v9
	v_mad_u32 v9, v10, s13, v30
	v_mad_u32 v2, v10, s12, v2
	;; [unrolled: 1-line block ×4, first 2 shown]
	v_mul_lo_u32 v11, v5, s23
	v_mad_u32 v15, s17, v10, v22
	v_mad_u32 v10, s16, v10, v24
	s_delay_alu instid0(VALU_DEP_3) | instskip(NEXT) | instid1(VALU_DEP_1)
	v_sub_nc_u32_e32 v7, v7, v11
	v_mad_u32 v30, v7, s19, v9
	v_mad_u32 v2, v7, s18, v2
	;; [unrolled: 1-line block ×6, first 2 shown]
	s_cbranch_scc1 .LBB31_2883
; %bb.2884:
	s_bitcmp1_b32 s7, 0
	s_cselect_b32 s7, -1, 0
	s_delay_alu instid0(SALU_CYCLE_1)
	s_and_b32 vcc_lo, exec_lo, s7
	s_cbranch_vccnz .LBB31_2887
; %bb.2885:
	s_load_b96 s[12:14], s[4:5], 0x4
	s_load_b128 s[8:11], s[0:1], 0xf4
	s_wait_xcnt 0x0
	s_load_b64 s[4:5], s[0:1], 0x104
	s_wait_kmcnt 0x0
	v_mul_hi_u32 v7, s13, v5
	s_delay_alu instid0(VALU_DEP_1) | instskip(NEXT) | instid1(VALU_DEP_1)
	v_add_nc_u32_e32 v7, v5, v7
	v_lshrrev_b32_e32 v7, s14, v7
	s_delay_alu instid0(VALU_DEP_1) | instskip(NEXT) | instid1(VALU_DEP_1)
	v_mul_lo_u32 v7, v7, s12
	v_sub_nc_u32_e32 v5, v5, v7
	s_delay_alu instid0(VALU_DEP_1)
	v_mad_u32 v2, v5, s8, v2
	v_mad_u32 v30, v5, s9, v30
	;; [unrolled: 1-line block ×6, first 2 shown]
	s_and_not1_b32 vcc_lo, exec_lo, s6
	s_cbranch_vccz .LBB31_2888
	s_branch .LBB31_2891
.LBB31_2886:
	s_mov_b32 s6, -1
                                        ; implicit-def: $vgpr30
                                        ; implicit-def: $vgpr2
                                        ; implicit-def: $vgpr26
                                        ; implicit-def: $vgpr28
                                        ; implicit-def: $vgpr22
                                        ; implicit-def: $vgpr24
.LBB31_2887:
	s_delay_alu instid0(SALU_CYCLE_1)
	s_and_not1_b32 vcc_lo, exec_lo, s6
	s_cbranch_vccnz .LBB31_2891
.LBB31_2888:
	s_clause 0x2
	s_load_b96 s[8:10], s[2:3], 0x4
	s_load_b128 s[4:7], s[2:3], 0xc4
	s_load_b64 s[0:1], s[2:3], 0xd4
	s_cmp_lt_u32 s33, 2
	s_wait_kmcnt 0x0
	v_mul_hi_u32 v2, s9, v0
	s_delay_alu instid0(VALU_DEP_1) | instskip(NEXT) | instid1(VALU_DEP_1)
	v_add_nc_u32_e32 v2, v0, v2
	v_lshrrev_b32_e32 v5, s10, v2
	s_delay_alu instid0(VALU_DEP_1) | instskip(NEXT) | instid1(VALU_DEP_1)
	v_mul_lo_u32 v2, v5, s8
	v_sub_nc_u32_e32 v0, v0, v2
	s_delay_alu instid0(VALU_DEP_1)
	v_mul_lo_u32 v30, v0, s5
	v_mul_lo_u32 v2, v0, s4
	v_mul_lo_u32 v26, v0, s7
	v_mul_lo_u32 v28, v0, s6
	v_mul_lo_u32 v22, s1, v0
	v_mul_lo_u32 v24, s0, v0
	s_cbranch_scc1 .LBB31_2891
; %bb.2889:
	s_clause 0x2
	s_load_b96 s[8:10], s[2:3], 0x10
	s_load_b128 s[4:7], s[2:3], 0xdc
	s_load_b64 s[0:1], s[2:3], 0xec
	s_wait_kmcnt 0x0
	v_mul_hi_u32 v0, s9, v5
	s_delay_alu instid0(VALU_DEP_1) | instskip(NEXT) | instid1(VALU_DEP_1)
	v_add_nc_u32_e32 v0, v5, v0
	v_lshrrev_b32_e32 v0, s10, v0
	s_delay_alu instid0(VALU_DEP_1) | instskip(NEXT) | instid1(VALU_DEP_1)
	v_mul_lo_u32 v0, v0, s8
	v_sub_nc_u32_e32 v0, v5, v0
	s_delay_alu instid0(VALU_DEP_1)
	v_mad_u32 v2, v0, s4, v2
	v_mad_u32 v30, v0, s5, v30
	;; [unrolled: 1-line block ×6, first 2 shown]
	s_branch .LBB31_2891
.LBB31_2890:
	v_dual_mov_b32 v30, 0 :: v_dual_mov_b32 v2, 0
	v_dual_mov_b32 v26, 0 :: v_dual_mov_b32 v28, 0
	;; [unrolled: 1-line block ×3, first 2 shown]
	s_and_not1_b32 vcc_lo, exec_lo, s6
	s_cbranch_vccz .LBB31_2888
.LBB31_2891:
	v_cmp_ne_u32_e32 vcc_lo, 1, v3
	s_cbranch_vccnz .LBB31_2897
; %bb.2892:
	s_cmp_lg_u32 s33, 0
	s_mov_b32 s6, 0
	s_cbranch_scc0 .LBB31_2901
; %bb.2893:
	s_min_u32 s7, s66, 15
	v_dual_mov_b32 v14, 0 :: v_dual_mov_b32 v3, v1
	v_dual_mov_b32 v10, 0 :: v_dual_mov_b32 v18, 0
	;; [unrolled: 1-line block ×3, first 2 shown]
	v_mov_b32_e32 v20, 0
	s_add_co_i32 s4, s7, 1
	s_mov_b64 s[0:1], 0xffffffffffffffd0
	s_and_b32 s8, s4, 30
	s_add_nc_u64 s[0:1], s[2:3], s[0:1]
	s_mov_b64 s[4:5], s[2:3]
.LBB31_2894:                            ; =>This Inner Loop Header: Depth=1
	s_clause 0x1
	s_load_b128 s[20:23], s[4:5], 0x4
	s_load_b64 s[10:11], s[4:5], 0x14
	s_clause 0x1
	s_load_b256 s[12:19], s[0:1], 0xf4
	s_load_b128 s[24:27], s[0:1], 0x114
	s_add_co_i32 s8, s8, -2
	s_wait_xcnt 0x0
	s_add_nc_u64 s[4:5], s[4:5], 24
	s_cmp_lg_u32 s8, 0
	s_add_nc_u64 s[0:1], s[0:1], 48
	s_wait_kmcnt 0x0
	v_mul_hi_u32 v5, s21, v3
	s_delay_alu instid0(VALU_DEP_1) | instskip(NEXT) | instid1(VALU_DEP_1)
	v_add_nc_u32_e32 v5, v3, v5
	v_lshrrev_b32_e32 v5, s22, v5
	s_delay_alu instid0(VALU_DEP_1) | instskip(SKIP_1) | instid1(VALU_DEP_1)
	v_mul_hi_u32 v7, s10, v5
	v_mul_lo_u32 v9, v5, s20
	v_dual_add_nc_u32 v7, v5, v7 :: v_dual_sub_nc_u32 v9, v3, v9
	s_delay_alu instid0(VALU_DEP_1) | instskip(NEXT) | instid1(VALU_DEP_2)
	v_lshrrev_b32_e32 v3, s11, v7
	v_mad_u32 v7, v9, s13, v20
	v_mad_u32 v0, v9, s12, v0
	;; [unrolled: 1-line block ×4, first 2 shown]
	v_mul_lo_u32 v11, v3, s23
	v_mad_u32 v10, s17, v9, v10
	v_mad_u32 v9, s16, v9, v14
	s_delay_alu instid0(VALU_DEP_3) | instskip(NEXT) | instid1(VALU_DEP_1)
	v_sub_nc_u32_e32 v5, v5, v11
	v_mad_u32 v20, v5, s19, v7
	v_mad_u32 v0, v5, s18, v0
	;; [unrolled: 1-line block ×6, first 2 shown]
	s_cbranch_scc1 .LBB31_2894
; %bb.2895:
	s_bitcmp1_b32 s7, 0
	s_cselect_b32 s7, -1, 0
	s_delay_alu instid0(SALU_CYCLE_1)
	s_and_b32 vcc_lo, exec_lo, s7
	s_cbranch_vccnz .LBB31_2898
; %bb.2896:
	s_load_b96 s[12:14], s[4:5], 0x4
	s_load_b128 s[8:11], s[0:1], 0xf4
	s_wait_xcnt 0x0
	s_load_b64 s[4:5], s[0:1], 0x104
	s_wait_kmcnt 0x0
	v_mul_hi_u32 v5, s13, v3
	s_delay_alu instid0(VALU_DEP_1) | instskip(NEXT) | instid1(VALU_DEP_1)
	v_add_nc_u32_e32 v5, v3, v5
	v_lshrrev_b32_e32 v5, s14, v5
	s_delay_alu instid0(VALU_DEP_1) | instskip(NEXT) | instid1(VALU_DEP_1)
	v_mul_lo_u32 v5, v5, s12
	v_sub_nc_u32_e32 v3, v3, v5
	s_delay_alu instid0(VALU_DEP_1)
	v_mad_u32 v0, v3, s8, v0
	v_mad_u32 v20, v3, s9, v20
	;; [unrolled: 1-line block ×6, first 2 shown]
	s_and_not1_b32 vcc_lo, exec_lo, s6
	s_cbranch_vccz .LBB31_2899
	s_branch .LBB31_2902
.LBB31_2897:
	s_mov_b32 s6, -1
                                        ; implicit-def: $vgpr20
                                        ; implicit-def: $vgpr0
                                        ; implicit-def: $vgpr16
                                        ; implicit-def: $vgpr18
                                        ; implicit-def: $vgpr10
                                        ; implicit-def: $vgpr14
.LBB31_2898:
	s_delay_alu instid0(SALU_CYCLE_1)
	s_and_not1_b32 vcc_lo, exec_lo, s6
	s_cbranch_vccnz .LBB31_2902
.LBB31_2899:
	s_clause 0x2
	s_load_b96 s[8:10], s[2:3], 0x4
	s_load_b128 s[4:7], s[2:3], 0xc4
	s_load_b64 s[0:1], s[2:3], 0xd4
	s_cmp_lt_u32 s33, 2
	s_wait_kmcnt 0x0
	v_mul_hi_u32 v0, s9, v1
	s_delay_alu instid0(VALU_DEP_1) | instskip(NEXT) | instid1(VALU_DEP_1)
	v_add_nc_u32_e32 v0, v1, v0
	v_lshrrev_b32_e32 v3, s10, v0
	s_delay_alu instid0(VALU_DEP_1) | instskip(NEXT) | instid1(VALU_DEP_1)
	v_mul_lo_u32 v0, v3, s8
	v_sub_nc_u32_e32 v1, v1, v0
	s_delay_alu instid0(VALU_DEP_1)
	v_mul_lo_u32 v20, v1, s5
	v_mul_lo_u32 v0, v1, s4
	;; [unrolled: 1-line block ×6, first 2 shown]
	s_cbranch_scc1 .LBB31_2902
; %bb.2900:
	s_clause 0x2
	s_load_b96 s[8:10], s[2:3], 0x10
	s_load_b128 s[4:7], s[2:3], 0xdc
	s_load_b64 s[0:1], s[2:3], 0xec
	s_wait_kmcnt 0x0
	v_mul_hi_u32 v1, s9, v3
	s_delay_alu instid0(VALU_DEP_1) | instskip(NEXT) | instid1(VALU_DEP_1)
	v_add_nc_u32_e32 v1, v3, v1
	v_lshrrev_b32_e32 v1, s10, v1
	s_delay_alu instid0(VALU_DEP_1) | instskip(NEXT) | instid1(VALU_DEP_1)
	v_mul_lo_u32 v1, v1, s8
	v_sub_nc_u32_e32 v1, v3, v1
	s_delay_alu instid0(VALU_DEP_1)
	v_mad_u32 v0, v1, s4, v0
	v_mad_u32 v20, v1, s5, v20
	;; [unrolled: 1-line block ×6, first 2 shown]
	s_branch .LBB31_2902
.LBB31_2901:
	v_dual_mov_b32 v20, 0 :: v_dual_mov_b32 v0, 0
	v_dual_mov_b32 v16, 0 :: v_dual_mov_b32 v18, 0
	;; [unrolled: 1-line block ×3, first 2 shown]
	s_and_not1_b32 vcc_lo, exec_lo, s6
	s_cbranch_vccz .LBB31_2899
.LBB31_2902:
	v_mov_b32_e32 v9, 0
	s_load_b128 s[4:7], s[2:3], 0x248
	global_load_u8 v1, v9, s[2:3] offset:801
	s_wait_kmcnt 0x0
	v_add_nc_u64_e32 v[48:49], s[6:7], v[8:9]
	s_wait_loadcnt 0x0
	v_and_b32_e32 v3, 0xffff, v1
	v_readfirstlane_b32 s30, v1
	s_delay_alu instid0(VALU_DEP_2)
	v_cmp_gt_i32_e32 vcc_lo, 11, v3
	s_cbranch_vccnz .LBB31_2909
; %bb.2903:
	s_and_b32 s0, 0xffff, s30
	s_mov_b32 s8, 0
	s_cmp_gt_i32 s0, 25
	s_cbranch_scc0 .LBB31_2911
; %bb.2904:
	s_cmp_gt_i32 s0, 28
	s_cbranch_scc0 .LBB31_2912
; %bb.2905:
	;; [unrolled: 3-line block ×4, first 2 shown]
	s_cmp_eq_u32 s0, 46
	s_mov_b32 s10, 0
	s_cbranch_scc0 .LBB31_2915
; %bb.2908:
	global_load_b32 v1, v[48:49], off
	s_mov_b32 s1, 0
	s_mov_b32 s9, -1
	s_wait_loadcnt 0x0
	v_lshlrev_b32_e32 v1, 16, v1
	s_delay_alu instid0(VALU_DEP_1) | instskip(NEXT) | instid1(VALU_DEP_1)
	v_trunc_f32_e32 v1, v1
	v_mul_f32_e64 v3, 0x2f800000, |v1|
	v_ashrrev_i32_e32 v8, 31, v1
	s_delay_alu instid0(VALU_DEP_2) | instskip(SKIP_1) | instid1(VALU_DEP_2)
	v_floor_f32_e32 v3, v3
	s_wait_xcnt 0x1
	v_mov_b32_e32 v9, v8
	s_delay_alu instid0(VALU_DEP_2) | instskip(SKIP_1) | instid1(VALU_DEP_2)
	v_fma_f32 v5, 0xcf800000, v3, |v1|
	v_cvt_u32_f32_e32 v1, v3
	v_cvt_u32_f32_e32 v3, v5
	s_delay_alu instid0(VALU_DEP_2) | instskip(NEXT) | instid1(VALU_DEP_2)
	v_xor_b32_e32 v51, v1, v8
	v_xor_b32_e32 v50, v3, v8
	s_delay_alu instid0(VALU_DEP_1)
	v_sub_nc_u64_e32 v[8:9], v[50:51], v[8:9]
	s_branch .LBB31_2917
.LBB31_2909:
	s_mov_b32 s9, 0
	s_mov_b32 s33, s34
                                        ; implicit-def: $vgpr8_vgpr9
	s_cbranch_execnz .LBB31_2975
.LBB31_2910:
	s_and_not1_b32 vcc_lo, exec_lo, s9
	s_cbranch_vccz .LBB31_3020
	s_branch .LBB31_3532
.LBB31_2911:
	s_mov_b32 s9, 0
	s_mov_b32 s1, 0
                                        ; implicit-def: $vgpr8_vgpr9
	s_cbranch_execnz .LBB31_2942
	s_branch .LBB31_2971
.LBB31_2912:
	s_mov_b32 s9, 0
	s_mov_b32 s1, 0
                                        ; implicit-def: $vgpr8_vgpr9
	s_cbranch_execz .LBB31_2941
	s_branch .LBB31_2926
.LBB31_2913:
	s_mov_b32 s9, 0
	s_mov_b32 s1, 0
                                        ; implicit-def: $vgpr8_vgpr9
	s_cbranch_execnz .LBB31_2922
	s_branch .LBB31_2925
.LBB31_2914:
	s_mov_b32 s10, -1
	s_mov_b32 s9, 0
	s_mov_b32 s1, 0
	s_branch .LBB31_2916
.LBB31_2915:
	s_mov_b32 s1, -1
	s_mov_b32 s9, 0
.LBB31_2916:
                                        ; implicit-def: $vgpr8_vgpr9
.LBB31_2917:
	s_and_b32 vcc_lo, exec_lo, s10
	s_cbranch_vccz .LBB31_2920
; %bb.2918:
	s_cmp_eq_u32 s0, 44
	s_cbranch_scc0 .LBB31_2921
; %bb.2919:
	global_load_u8 v1, v[48:49], off
	s_mov_b32 s1, 0
	s_mov_b32 s9, -1
	s_wait_loadcnt 0x0
	v_lshlrev_b32_e32 v3, 23, v1
	v_cmp_ne_u32_e32 vcc_lo, 0, v1
	s_delay_alu instid0(VALU_DEP_2) | instskip(NEXT) | instid1(VALU_DEP_1)
	v_trunc_f32_e32 v3, v3
	v_mul_f32_e64 v5, 0x2f800000, |v3|
	v_ashrrev_i32_e32 v8, 31, v3
	s_delay_alu instid0(VALU_DEP_2) | instskip(SKIP_1) | instid1(VALU_DEP_2)
	v_floor_f32_e32 v5, v5
	s_wait_xcnt 0x1
	v_mov_b32_e32 v9, v8
	s_delay_alu instid0(VALU_DEP_2) | instskip(SKIP_1) | instid1(VALU_DEP_2)
	v_fma_f32 v7, 0xcf800000, v5, |v3|
	v_cvt_u32_f32_e32 v3, v5
	v_cvt_u32_f32_e32 v5, v7
	s_delay_alu instid0(VALU_DEP_2) | instskip(NEXT) | instid1(VALU_DEP_2)
	v_xor_b32_e32 v51, v3, v8
	v_xor_b32_e32 v50, v5, v8
	s_delay_alu instid0(VALU_DEP_1) | instskip(NEXT) | instid1(VALU_DEP_1)
	v_sub_nc_u64_e32 v[8:9], v[50:51], v[8:9]
	v_dual_cndmask_b32 v9, 0, v9 :: v_dual_cndmask_b32 v8, 0, v8
.LBB31_2920:
	s_branch .LBB31_2925
.LBB31_2921:
	s_mov_b32 s1, -1
                                        ; implicit-def: $vgpr8_vgpr9
	s_branch .LBB31_2925
.LBB31_2922:
	s_cmp_eq_u32 s0, 29
	s_cbranch_scc0 .LBB31_2924
; %bb.2923:
	global_load_b64 v[8:9], v[48:49], off
	s_mov_b32 s1, 0
	s_mov_b32 s9, -1
	s_branch .LBB31_2925
.LBB31_2924:
	s_mov_b32 s1, -1
                                        ; implicit-def: $vgpr8_vgpr9
.LBB31_2925:
	s_branch .LBB31_2941
.LBB31_2926:
	s_cmp_lt_i32 s0, 27
	s_cbranch_scc1 .LBB31_2929
; %bb.2927:
	s_cmp_gt_i32 s0, 27
	s_cbranch_scc0 .LBB31_2930
; %bb.2928:
	s_wait_loadcnt 0x0
	global_load_b32 v8, v[48:49], off
	s_wait_xcnt 0x1
	v_mov_b32_e32 v9, 0
	s_mov_b32 s9, 0
	s_branch .LBB31_2931
.LBB31_2929:
	s_mov_b32 s9, -1
                                        ; implicit-def: $vgpr8_vgpr9
	s_branch .LBB31_2934
.LBB31_2930:
	s_mov_b32 s9, -1
                                        ; implicit-def: $vgpr8_vgpr9
.LBB31_2931:
	s_delay_alu instid0(SALU_CYCLE_1)
	s_and_not1_b32 vcc_lo, exec_lo, s9
	s_cbranch_vccnz .LBB31_2933
; %bb.2932:
	global_load_u16 v1, v[48:49], off
	s_mov_b32 s9, 0
	s_wait_loadcnt 0x1
	s_wait_xcnt 0x1
	v_mov_b32_e32 v9, s9
	s_wait_loadcnt 0x0
	v_and_b32_e32 v8, 0xffff, v1
.LBB31_2933:
	s_mov_b32 s9, 0
.LBB31_2934:
	s_delay_alu instid0(SALU_CYCLE_1)
	s_and_not1_b32 vcc_lo, exec_lo, s9
	s_cbranch_vccnz .LBB31_2940
; %bb.2935:
	global_load_u8 v1, v[48:49], off
	s_mov_b32 s10, 0
	s_mov_b32 s9, exec_lo
	s_wait_loadcnt 0x0
	v_cmpx_lt_i16_e32 0x7f, v1
	s_xor_b32 s9, exec_lo, s9
	s_cbranch_execz .LBB31_2951
; %bb.2936:
	v_cmp_ne_u16_e32 vcc_lo, 0x80, v1
	s_and_b32 s10, vcc_lo, exec_lo
	s_and_not1_saveexec_b32 s9, s9
	s_cbranch_execnz .LBB31_2952
.LBB31_2937:
	s_or_b32 exec_lo, exec_lo, s9
	v_mov_b64_e32 v[8:9], 0
	s_and_saveexec_b32 s9, s10
	s_cbranch_execz .LBB31_2939
.LBB31_2938:
	v_and_b32_e32 v3, 0xffff, v1
	s_delay_alu instid0(VALU_DEP_1) | instskip(SKIP_1) | instid1(VALU_DEP_2)
	v_dual_lshlrev_b32 v1, 24, v1 :: v_dual_bitop2_b32 v5, 7, v3 bitop3:0x40
	v_bfe_u32 v9, v3, 3, 4
	v_and_b32_e32 v1, 0x80000000, v1
	s_delay_alu instid0(VALU_DEP_3) | instskip(NEXT) | instid1(VALU_DEP_3)
	v_clz_i32_u32_e32 v7, v5
	v_cmp_eq_u32_e32 vcc_lo, 0, v9
	s_delay_alu instid0(VALU_DEP_2) | instskip(NEXT) | instid1(VALU_DEP_1)
	v_min_u32_e32 v7, 32, v7
	v_subrev_nc_u32_e32 v8, 28, v7
	v_sub_nc_u32_e32 v7, 29, v7
	s_delay_alu instid0(VALU_DEP_2) | instskip(NEXT) | instid1(VALU_DEP_2)
	v_lshlrev_b32_e32 v3, v8, v3
	v_cndmask_b32_e32 v7, v9, v7, vcc_lo
	s_delay_alu instid0(VALU_DEP_2) | instskip(NEXT) | instid1(VALU_DEP_1)
	v_and_b32_e32 v3, 7, v3
	v_cndmask_b32_e32 v3, v5, v3, vcc_lo
	s_delay_alu instid0(VALU_DEP_3) | instskip(NEXT) | instid1(VALU_DEP_2)
	v_lshl_add_u32 v5, v7, 23, 0x3b800000
	v_lshlrev_b32_e32 v3, 20, v3
	s_delay_alu instid0(VALU_DEP_1) | instskip(NEXT) | instid1(VALU_DEP_1)
	v_or3_b32 v1, v1, v5, v3
	v_trunc_f32_e32 v1, v1
	s_delay_alu instid0(VALU_DEP_1) | instskip(SKIP_1) | instid1(VALU_DEP_2)
	v_mul_f32_e64 v3, 0x2f800000, |v1|
	v_ashrrev_i32_e32 v8, 31, v1
	v_floor_f32_e32 v3, v3
	s_delay_alu instid0(VALU_DEP_2) | instskip(NEXT) | instid1(VALU_DEP_2)
	v_mov_b32_e32 v9, v8
	v_fma_f32 v5, 0xcf800000, v3, |v1|
	v_cvt_u32_f32_e32 v1, v3
	s_delay_alu instid0(VALU_DEP_2) | instskip(NEXT) | instid1(VALU_DEP_2)
	v_cvt_u32_f32_e32 v3, v5
	v_xor_b32_e32 v51, v1, v8
	s_delay_alu instid0(VALU_DEP_2) | instskip(NEXT) | instid1(VALU_DEP_1)
	v_xor_b32_e32 v50, v3, v8
	v_sub_nc_u64_e32 v[8:9], v[50:51], v[8:9]
.LBB31_2939:
	s_or_b32 exec_lo, exec_lo, s9
.LBB31_2940:
	s_mov_b32 s9, -1
.LBB31_2941:
	s_branch .LBB31_2971
.LBB31_2942:
	s_cmp_gt_i32 s0, 22
	s_cbranch_scc0 .LBB31_2950
; %bb.2943:
	s_cmp_lt_i32 s0, 24
	s_cbranch_scc1 .LBB31_2953
; %bb.2944:
	s_cmp_gt_i32 s0, 24
	s_cbranch_scc0 .LBB31_2954
; %bb.2945:
	global_load_u8 v1, v[48:49], off
	s_mov_b32 s9, 0
	s_mov_b32 s8, exec_lo
	s_wait_loadcnt 0x0
	v_cmpx_lt_i16_e32 0x7f, v1
	s_xor_b32 s8, exec_lo, s8
	s_cbranch_execz .LBB31_2965
; %bb.2946:
	v_cmp_ne_u16_e32 vcc_lo, 0x80, v1
	s_and_b32 s9, vcc_lo, exec_lo
	s_and_not1_saveexec_b32 s8, s8
	s_cbranch_execnz .LBB31_2966
.LBB31_2947:
	s_or_b32 exec_lo, exec_lo, s8
	v_mov_b64_e32 v[8:9], 0
	s_and_saveexec_b32 s8, s9
	s_cbranch_execz .LBB31_2949
.LBB31_2948:
	v_and_b32_e32 v3, 0xffff, v1
	s_delay_alu instid0(VALU_DEP_1) | instskip(SKIP_1) | instid1(VALU_DEP_2)
	v_dual_lshlrev_b32 v1, 24, v1 :: v_dual_bitop2_b32 v5, 3, v3 bitop3:0x40
	v_bfe_u32 v9, v3, 2, 5
	v_and_b32_e32 v1, 0x80000000, v1
	s_delay_alu instid0(VALU_DEP_3) | instskip(NEXT) | instid1(VALU_DEP_3)
	v_clz_i32_u32_e32 v7, v5
	v_cmp_eq_u32_e32 vcc_lo, 0, v9
	s_delay_alu instid0(VALU_DEP_2) | instskip(NEXT) | instid1(VALU_DEP_1)
	v_min_u32_e32 v7, 32, v7
	v_subrev_nc_u32_e32 v8, 29, v7
	v_sub_nc_u32_e32 v7, 30, v7
	s_delay_alu instid0(VALU_DEP_2) | instskip(NEXT) | instid1(VALU_DEP_2)
	v_lshlrev_b32_e32 v3, v8, v3
	v_cndmask_b32_e32 v7, v9, v7, vcc_lo
	s_delay_alu instid0(VALU_DEP_2) | instskip(NEXT) | instid1(VALU_DEP_1)
	v_and_b32_e32 v3, 3, v3
	v_cndmask_b32_e32 v3, v5, v3, vcc_lo
	s_delay_alu instid0(VALU_DEP_3) | instskip(NEXT) | instid1(VALU_DEP_2)
	v_lshl_add_u32 v5, v7, 23, 0x37800000
	v_lshlrev_b32_e32 v3, 21, v3
	s_delay_alu instid0(VALU_DEP_1) | instskip(NEXT) | instid1(VALU_DEP_1)
	v_or3_b32 v1, v1, v5, v3
	v_trunc_f32_e32 v1, v1
	s_delay_alu instid0(VALU_DEP_1) | instskip(SKIP_1) | instid1(VALU_DEP_2)
	v_mul_f32_e64 v3, 0x2f800000, |v1|
	v_ashrrev_i32_e32 v8, 31, v1
	v_floor_f32_e32 v3, v3
	s_delay_alu instid0(VALU_DEP_2) | instskip(NEXT) | instid1(VALU_DEP_2)
	v_mov_b32_e32 v9, v8
	v_fma_f32 v5, 0xcf800000, v3, |v1|
	v_cvt_u32_f32_e32 v1, v3
	s_delay_alu instid0(VALU_DEP_2) | instskip(NEXT) | instid1(VALU_DEP_2)
	v_cvt_u32_f32_e32 v3, v5
	v_xor_b32_e32 v51, v1, v8
	s_delay_alu instid0(VALU_DEP_2) | instskip(NEXT) | instid1(VALU_DEP_1)
	v_xor_b32_e32 v50, v3, v8
	v_sub_nc_u64_e32 v[8:9], v[50:51], v[8:9]
.LBB31_2949:
	s_or_b32 exec_lo, exec_lo, s8
	s_mov_b32 s8, 0
	s_branch .LBB31_2955
.LBB31_2950:
                                        ; implicit-def: $vgpr8_vgpr9
	s_mov_b32 s8, 0
	s_branch .LBB31_2961
.LBB31_2951:
	s_and_not1_saveexec_b32 s9, s9
	s_cbranch_execz .LBB31_2937
.LBB31_2952:
	v_cmp_ne_u16_e32 vcc_lo, 0, v1
	s_and_not1_b32 s10, s10, exec_lo
	s_and_b32 s11, vcc_lo, exec_lo
	s_delay_alu instid0(SALU_CYCLE_1)
	s_or_b32 s10, s10, s11
	s_or_b32 exec_lo, exec_lo, s9
	v_mov_b64_e32 v[8:9], 0
	s_and_saveexec_b32 s9, s10
	s_cbranch_execnz .LBB31_2938
	s_branch .LBB31_2939
.LBB31_2953:
	s_mov_b32 s8, -1
                                        ; implicit-def: $vgpr8_vgpr9
	s_branch .LBB31_2958
.LBB31_2954:
	s_mov_b32 s8, -1
                                        ; implicit-def: $vgpr8_vgpr9
.LBB31_2955:
	s_delay_alu instid0(SALU_CYCLE_1)
	s_and_b32 vcc_lo, exec_lo, s8
	s_cbranch_vccz .LBB31_2957
; %bb.2956:
	global_load_u8 v1, v[48:49], off
	s_wait_loadcnt 0x0
	v_lshlrev_b32_e32 v1, 24, v1
	s_delay_alu instid0(VALU_DEP_1) | instskip(NEXT) | instid1(VALU_DEP_1)
	v_and_b32_e32 v3, 0x7f000000, v1
	v_clz_i32_u32_e32 v5, v3
	v_cmp_ne_u32_e32 vcc_lo, 0, v3
	v_add_nc_u32_e32 v8, 0x1000000, v3
	s_delay_alu instid0(VALU_DEP_3) | instskip(NEXT) | instid1(VALU_DEP_1)
	v_min_u32_e32 v5, 32, v5
	v_sub_nc_u32_e64 v5, v5, 4 clamp
	s_delay_alu instid0(VALU_DEP_1) | instskip(NEXT) | instid1(VALU_DEP_1)
	v_dual_lshlrev_b32 v7, v5, v3 :: v_dual_lshlrev_b32 v5, 23, v5
	v_lshrrev_b32_e32 v7, 4, v7
	s_delay_alu instid0(VALU_DEP_1) | instskip(NEXT) | instid1(VALU_DEP_1)
	v_dual_sub_nc_u32 v5, v7, v5 :: v_dual_ashrrev_i32 v7, 8, v8
	v_add_nc_u32_e32 v5, 0x3c000000, v5
	s_delay_alu instid0(VALU_DEP_1) | instskip(NEXT) | instid1(VALU_DEP_1)
	v_and_or_b32 v5, 0x7f800000, v7, v5
	v_cndmask_b32_e32 v3, 0, v5, vcc_lo
	s_delay_alu instid0(VALU_DEP_1) | instskip(NEXT) | instid1(VALU_DEP_1)
	v_and_or_b32 v1, 0x80000000, v1, v3
	v_trunc_f32_e32 v1, v1
	s_delay_alu instid0(VALU_DEP_1) | instskip(SKIP_1) | instid1(VALU_DEP_2)
	v_mul_f32_e64 v3, 0x2f800000, |v1|
	v_ashrrev_i32_e32 v8, 31, v1
	v_floor_f32_e32 v3, v3
	s_delay_alu instid0(VALU_DEP_1) | instskip(SKIP_3) | instid1(VALU_DEP_3)
	v_fma_f32 v5, 0xcf800000, v3, |v1|
	v_cvt_u32_f32_e32 v1, v3
	s_wait_xcnt 0x1
	v_mov_b32_e32 v9, v8
	v_cvt_u32_f32_e32 v3, v5
	s_delay_alu instid0(VALU_DEP_3) | instskip(NEXT) | instid1(VALU_DEP_2)
	v_xor_b32_e32 v51, v1, v8
	v_xor_b32_e32 v50, v3, v8
	s_delay_alu instid0(VALU_DEP_1)
	v_sub_nc_u64_e32 v[8:9], v[50:51], v[8:9]
.LBB31_2957:
	s_mov_b32 s8, 0
.LBB31_2958:
	s_delay_alu instid0(SALU_CYCLE_1)
	s_and_not1_b32 vcc_lo, exec_lo, s8
	s_cbranch_vccnz .LBB31_2960
; %bb.2959:
	global_load_u8 v1, v[48:49], off
	s_wait_loadcnt 0x0
	v_lshlrev_b32_e32 v3, 25, v1
	v_lshlrev_b16 v1, 8, v1
	s_delay_alu instid0(VALU_DEP_1) | instskip(SKIP_1) | instid1(VALU_DEP_2)
	v_and_or_b32 v7, 0x7f00, v1, 0.5
	v_bfe_i32 v1, v1, 0, 16
	v_add_f32_e32 v7, -0.5, v7
	v_lshrrev_b32_e32 v5, 4, v3
	v_cmp_gt_u32_e32 vcc_lo, 0x8000000, v3
	s_delay_alu instid0(VALU_DEP_2) | instskip(NEXT) | instid1(VALU_DEP_1)
	v_or_b32_e32 v5, 0x70000000, v5
	v_mul_f32_e32 v5, 0x7800000, v5
	s_delay_alu instid0(VALU_DEP_1) | instskip(NEXT) | instid1(VALU_DEP_1)
	v_cndmask_b32_e32 v3, v5, v7, vcc_lo
	v_and_or_b32 v1, 0x80000000, v1, v3
	s_delay_alu instid0(VALU_DEP_1) | instskip(NEXT) | instid1(VALU_DEP_1)
	v_trunc_f32_e32 v1, v1
	v_mul_f32_e64 v3, 0x2f800000, |v1|
	v_ashrrev_i32_e32 v8, 31, v1
	s_delay_alu instid0(VALU_DEP_2) | instskip(SKIP_1) | instid1(VALU_DEP_2)
	v_floor_f32_e32 v3, v3
	s_wait_xcnt 0x1
	v_mov_b32_e32 v9, v8
	s_delay_alu instid0(VALU_DEP_2) | instskip(SKIP_1) | instid1(VALU_DEP_2)
	v_fma_f32 v5, 0xcf800000, v3, |v1|
	v_cvt_u32_f32_e32 v1, v3
	v_cvt_u32_f32_e32 v3, v5
	s_delay_alu instid0(VALU_DEP_2) | instskip(NEXT) | instid1(VALU_DEP_2)
	v_xor_b32_e32 v51, v1, v8
	v_xor_b32_e32 v50, v3, v8
	s_delay_alu instid0(VALU_DEP_1)
	v_sub_nc_u64_e32 v[8:9], v[50:51], v[8:9]
.LBB31_2960:
	s_mov_b32 s9, -1
	s_mov_b32 s8, 0
	s_cbranch_execnz .LBB31_2971
.LBB31_2961:
	s_cmp_gt_i32 s0, 14
	s_cbranch_scc0 .LBB31_2964
; %bb.2962:
	s_cmp_eq_u32 s0, 15
	s_cbranch_scc0 .LBB31_2967
; %bb.2963:
	global_load_u16 v1, v[48:49], off
	s_mov_b32 s1, 0
	s_mov_b32 s9, -1
	s_wait_loadcnt 0x0
	v_lshlrev_b32_e32 v1, 16, v1
	s_delay_alu instid0(VALU_DEP_1) | instskip(NEXT) | instid1(VALU_DEP_1)
	v_trunc_f32_e32 v1, v1
	v_mul_f32_e64 v3, 0x2f800000, |v1|
	v_ashrrev_i32_e32 v8, 31, v1
	s_delay_alu instid0(VALU_DEP_2) | instskip(SKIP_1) | instid1(VALU_DEP_2)
	v_floor_f32_e32 v3, v3
	s_wait_xcnt 0x1
	v_mov_b32_e32 v9, v8
	s_delay_alu instid0(VALU_DEP_2) | instskip(SKIP_1) | instid1(VALU_DEP_2)
	v_fma_f32 v5, 0xcf800000, v3, |v1|
	v_cvt_u32_f32_e32 v1, v3
	v_cvt_u32_f32_e32 v3, v5
	s_delay_alu instid0(VALU_DEP_2) | instskip(NEXT) | instid1(VALU_DEP_2)
	v_xor_b32_e32 v51, v1, v8
	v_xor_b32_e32 v50, v3, v8
	s_delay_alu instid0(VALU_DEP_1)
	v_sub_nc_u64_e32 v[8:9], v[50:51], v[8:9]
	s_branch .LBB31_2969
.LBB31_2964:
	s_mov_b32 s8, -1
	s_branch .LBB31_2968
.LBB31_2965:
	s_and_not1_saveexec_b32 s8, s8
	s_cbranch_execz .LBB31_2947
.LBB31_2966:
	v_cmp_ne_u16_e32 vcc_lo, 0, v1
	s_and_not1_b32 s9, s9, exec_lo
	s_and_b32 s10, vcc_lo, exec_lo
	s_delay_alu instid0(SALU_CYCLE_1)
	s_or_b32 s9, s9, s10
	s_or_b32 exec_lo, exec_lo, s8
	v_mov_b64_e32 v[8:9], 0
	s_and_saveexec_b32 s8, s9
	s_cbranch_execnz .LBB31_2948
	s_branch .LBB31_2949
.LBB31_2967:
	s_mov_b32 s1, -1
.LBB31_2968:
                                        ; implicit-def: $vgpr8_vgpr9
.LBB31_2969:
	s_and_b32 vcc_lo, exec_lo, s8
	s_mov_b32 s8, 0
	s_cbranch_vccz .LBB31_2971
; %bb.2970:
	s_cmp_lg_u32 s0, 11
	s_mov_b32 s8, -1
	s_cselect_b32 s1, -1, 0
.LBB31_2971:
	s_delay_alu instid0(SALU_CYCLE_1)
	s_and_b32 vcc_lo, exec_lo, s1
	s_mov_b32 s33, s34
	s_cbranch_vccnz .LBB31_3032
; %bb.2972:
	s_and_not1_b32 vcc_lo, exec_lo, s8
	s_cbranch_vccnz .LBB31_2974
.LBB31_2973:
	global_load_u8 v1, v[48:49], off
	s_mov_b32 s0, 0
	s_mov_b32 s9, -1
	s_wait_loadcnt 0x1
	s_wait_xcnt 0x1
	v_mov_b32_e32 v9, s0
	s_wait_loadcnt 0x0
	v_cmp_ne_u16_e32 vcc_lo, 0, v1
	v_cndmask_b32_e64 v8, 0, 1, vcc_lo
.LBB31_2974:
	s_branch .LBB31_2910
.LBB31_2975:
	s_and_b32 s0, 0xffff, s30
	s_delay_alu instid0(SALU_CYCLE_1)
	s_cmp_lt_i32 s0, 5
	s_cbranch_scc1 .LBB31_2980
; %bb.2976:
	s_cmp_lt_i32 s0, 8
	s_cbranch_scc1 .LBB31_2981
; %bb.2977:
	;; [unrolled: 3-line block ×3, first 2 shown]
	s_cmp_gt_i32 s0, 9
	s_cbranch_scc0 .LBB31_2983
; %bb.2979:
	s_wait_loadcnt 0x0
	global_load_b64 v[8:9], v[48:49], off
	s_mov_b32 s1, 0
	s_wait_loadcnt 0x0
	v_trunc_f64_e32 v[8:9], v[8:9]
	s_delay_alu instid0(VALU_DEP_1) | instskip(NEXT) | instid1(VALU_DEP_1)
	v_ldexp_f64 v[50:51], v[8:9], 0xffffffe0
	v_floor_f64_e32 v[50:51], v[50:51]
	s_delay_alu instid0(VALU_DEP_1) | instskip(SKIP_1) | instid1(VALU_DEP_2)
	v_fmamk_f64 v[52:53], v[50:51], 0xc1f00000, v[8:9]
	v_cvt_i32_f64_e32 v9, v[50:51]
	v_cvt_u32_f64_e32 v8, v[52:53]
	s_branch .LBB31_2984
.LBB31_2980:
                                        ; implicit-def: $vgpr8_vgpr9
	s_branch .LBB31_3001
.LBB31_2981:
                                        ; implicit-def: $vgpr8_vgpr9
	s_branch .LBB31_2990
.LBB31_2982:
	s_mov_b32 s1, -1
                                        ; implicit-def: $vgpr8_vgpr9
	s_branch .LBB31_2987
.LBB31_2983:
	s_mov_b32 s1, -1
                                        ; implicit-def: $vgpr8_vgpr9
.LBB31_2984:
	s_delay_alu instid0(SALU_CYCLE_1)
	s_and_not1_b32 vcc_lo, exec_lo, s1
	s_cbranch_vccnz .LBB31_2986
; %bb.2985:
	global_load_b32 v1, v[48:49], off
	s_wait_loadcnt 0x0
	v_trunc_f32_e32 v1, v1
	s_delay_alu instid0(VALU_DEP_1) | instskip(SKIP_1) | instid1(VALU_DEP_2)
	v_mul_f32_e64 v3, 0x2f800000, |v1|
	v_ashrrev_i32_e32 v8, 31, v1
	v_floor_f32_e32 v3, v3
	s_delay_alu instid0(VALU_DEP_1) | instskip(SKIP_3) | instid1(VALU_DEP_3)
	v_fma_f32 v5, 0xcf800000, v3, |v1|
	v_cvt_u32_f32_e32 v1, v3
	s_wait_xcnt 0x1
	v_mov_b32_e32 v9, v8
	v_cvt_u32_f32_e32 v3, v5
	s_delay_alu instid0(VALU_DEP_3) | instskip(NEXT) | instid1(VALU_DEP_2)
	v_xor_b32_e32 v51, v1, v8
	v_xor_b32_e32 v50, v3, v8
	s_delay_alu instid0(VALU_DEP_1)
	v_sub_nc_u64_e32 v[8:9], v[50:51], v[8:9]
.LBB31_2986:
	s_mov_b32 s1, 0
.LBB31_2987:
	s_delay_alu instid0(SALU_CYCLE_1)
	s_and_not1_b32 vcc_lo, exec_lo, s1
	s_cbranch_vccnz .LBB31_2989
; %bb.2988:
	global_load_b32 v1, v[48:49], off
	s_wait_loadcnt 0x0
	v_cvt_f32_f16_e32 v1, v1
	s_delay_alu instid0(VALU_DEP_1) | instskip(SKIP_1) | instid1(VALU_DEP_1)
	v_cvt_i32_f32_e32 v8, v1
	s_wait_xcnt 0x1
	v_ashrrev_i32_e32 v9, 31, v8
.LBB31_2989:
	s_cbranch_execnz .LBB31_3000
.LBB31_2990:
	s_cmp_lt_i32 s0, 6
	s_cbranch_scc1 .LBB31_2993
; %bb.2991:
	s_cmp_gt_i32 s0, 6
	s_cbranch_scc0 .LBB31_2994
; %bb.2992:
	s_wait_loadcnt 0x0
	global_load_b64 v[8:9], v[48:49], off
	s_mov_b32 s1, 0
	s_wait_loadcnt 0x0
	v_trunc_f64_e32 v[8:9], v[8:9]
	s_delay_alu instid0(VALU_DEP_1) | instskip(NEXT) | instid1(VALU_DEP_1)
	v_ldexp_f64 v[50:51], v[8:9], 0xffffffe0
	v_floor_f64_e32 v[50:51], v[50:51]
	s_delay_alu instid0(VALU_DEP_1) | instskip(SKIP_1) | instid1(VALU_DEP_2)
	v_fmamk_f64 v[52:53], v[50:51], 0xc1f00000, v[8:9]
	v_cvt_i32_f64_e32 v9, v[50:51]
	v_cvt_u32_f64_e32 v8, v[52:53]
	s_branch .LBB31_2995
.LBB31_2993:
	s_mov_b32 s1, -1
                                        ; implicit-def: $vgpr8_vgpr9
	s_branch .LBB31_2998
.LBB31_2994:
	s_mov_b32 s1, -1
                                        ; implicit-def: $vgpr8_vgpr9
.LBB31_2995:
	s_delay_alu instid0(SALU_CYCLE_1)
	s_and_not1_b32 vcc_lo, exec_lo, s1
	s_cbranch_vccnz .LBB31_2997
; %bb.2996:
	global_load_b32 v1, v[48:49], off
	s_wait_loadcnt 0x0
	v_trunc_f32_e32 v1, v1
	s_delay_alu instid0(VALU_DEP_1) | instskip(SKIP_1) | instid1(VALU_DEP_2)
	v_mul_f32_e64 v3, 0x2f800000, |v1|
	v_ashrrev_i32_e32 v8, 31, v1
	v_floor_f32_e32 v3, v3
	s_delay_alu instid0(VALU_DEP_1) | instskip(SKIP_3) | instid1(VALU_DEP_3)
	v_fma_f32 v5, 0xcf800000, v3, |v1|
	v_cvt_u32_f32_e32 v1, v3
	s_wait_xcnt 0x1
	v_mov_b32_e32 v9, v8
	v_cvt_u32_f32_e32 v3, v5
	s_delay_alu instid0(VALU_DEP_3) | instskip(NEXT) | instid1(VALU_DEP_2)
	v_xor_b32_e32 v51, v1, v8
	v_xor_b32_e32 v50, v3, v8
	s_delay_alu instid0(VALU_DEP_1)
	v_sub_nc_u64_e32 v[8:9], v[50:51], v[8:9]
.LBB31_2997:
	s_mov_b32 s1, 0
.LBB31_2998:
	s_delay_alu instid0(SALU_CYCLE_1)
	s_and_not1_b32 vcc_lo, exec_lo, s1
	s_cbranch_vccnz .LBB31_3000
; %bb.2999:
	global_load_u16 v1, v[48:49], off
	s_wait_loadcnt 0x0
	v_cvt_f32_f16_e32 v1, v1
	s_delay_alu instid0(VALU_DEP_1) | instskip(SKIP_1) | instid1(VALU_DEP_1)
	v_cvt_i32_f32_e32 v8, v1
	s_wait_xcnt 0x1
	v_ashrrev_i32_e32 v9, 31, v8
.LBB31_3000:
	s_cbranch_execnz .LBB31_3019
.LBB31_3001:
	s_cmp_lt_i32 s0, 2
	s_cbranch_scc1 .LBB31_3005
; %bb.3002:
	s_cmp_lt_i32 s0, 3
	s_cbranch_scc1 .LBB31_3006
; %bb.3003:
	s_cmp_gt_i32 s0, 3
	s_cbranch_scc0 .LBB31_3007
; %bb.3004:
	s_wait_loadcnt 0x0
	global_load_b64 v[8:9], v[48:49], off
	s_mov_b32 s1, 0
	s_branch .LBB31_3008
.LBB31_3005:
                                        ; implicit-def: $vgpr8_vgpr9
	s_branch .LBB31_3014
.LBB31_3006:
	s_mov_b32 s1, -1
                                        ; implicit-def: $vgpr8_vgpr9
	s_branch .LBB31_3011
.LBB31_3007:
	s_mov_b32 s1, -1
                                        ; implicit-def: $vgpr8_vgpr9
.LBB31_3008:
	s_delay_alu instid0(SALU_CYCLE_1)
	s_and_not1_b32 vcc_lo, exec_lo, s1
	s_cbranch_vccnz .LBB31_3010
; %bb.3009:
	s_wait_loadcnt 0x0
	global_load_b32 v8, v[48:49], off
	s_wait_loadcnt 0x0
	s_wait_xcnt 0x1
	v_ashrrev_i32_e32 v9, 31, v8
.LBB31_3010:
	s_mov_b32 s1, 0
.LBB31_3011:
	s_delay_alu instid0(SALU_CYCLE_1)
	s_and_not1_b32 vcc_lo, exec_lo, s1
	s_cbranch_vccnz .LBB31_3013
; %bb.3012:
	global_load_u16 v1, v[48:49], off
	s_wait_loadcnt 0x0
	v_bfe_i32 v8, v1, 0, 16
	s_wait_xcnt 0x1
	s_delay_alu instid0(VALU_DEP_1)
	v_ashrrev_i32_e32 v9, 31, v8
.LBB31_3013:
	s_cbranch_execnz .LBB31_3019
.LBB31_3014:
	s_cmp_gt_i32 s0, 0
	s_mov_b32 s0, 0
	s_cbranch_scc0 .LBB31_3016
; %bb.3015:
	global_load_i8 v1, v[48:49], off
	s_wait_loadcnt 0x0
	v_bfe_i32 v8, v1, 0, 16
	s_wait_xcnt 0x1
	s_delay_alu instid0(VALU_DEP_1)
	v_ashrrev_i32_e32 v9, 31, v8
	s_branch .LBB31_3017
.LBB31_3016:
	s_mov_b32 s0, -1
                                        ; implicit-def: $vgpr8_vgpr9
.LBB31_3017:
	s_delay_alu instid0(SALU_CYCLE_1)
	s_and_not1_b32 vcc_lo, exec_lo, s0
	s_cbranch_vccnz .LBB31_3019
; %bb.3018:
	global_load_u8 v1, v[48:49], off
	s_mov_b32 s0, 0
	s_wait_loadcnt 0x1
	s_wait_xcnt 0x1
	v_mov_b32_e32 v9, s0
	s_wait_loadcnt 0x0
	v_and_b32_e32 v8, 0xffff, v1
.LBB31_3019:
.LBB31_3020:
	v_mov_b32_e32 v13, 0
	s_load_b64 s[10:11], s[2:3], 0x258
	global_load_u8 v1, v13, s[2:3] offset:802
	s_wait_kmcnt 0x0
	v_add_nc_u64_e32 v[48:49], s[10:11], v[12:13]
	s_wait_loadcnt 0x0
	v_and_b32_e32 v3, 0xffff, v1
	v_readfirstlane_b32 s31, v1
	s_delay_alu instid0(VALU_DEP_2)
	v_cmp_gt_i32_e32 vcc_lo, 11, v3
	s_cbranch_vccnz .LBB31_3027
; %bb.3021:
	s_and_b32 s0, 0xffff, s31
	s_mov_b32 s8, 0
	s_cmp_gt_i32 s0, 25
	s_cbranch_scc0 .LBB31_3029
; %bb.3022:
	s_cmp_gt_i32 s0, 28
	s_cbranch_scc0 .LBB31_3030
; %bb.3023:
	;; [unrolled: 3-line block ×4, first 2 shown]
	s_cmp_eq_u32 s0, 46
	s_mov_b32 s12, 0
	s_cbranch_scc0 .LBB31_3034
; %bb.3026:
	global_load_b32 v1, v[48:49], off
	s_mov_b32 s1, 0
	s_mov_b32 s9, -1
	s_wait_loadcnt 0x0
	v_lshlrev_b32_e32 v1, 16, v1
	s_delay_alu instid0(VALU_DEP_1) | instskip(NEXT) | instid1(VALU_DEP_1)
	v_trunc_f32_e32 v1, v1
	v_mul_f32_e64 v3, 0x2f800000, |v1|
	v_ashrrev_i32_e32 v12, 31, v1
	s_delay_alu instid0(VALU_DEP_2) | instskip(SKIP_1) | instid1(VALU_DEP_2)
	v_floor_f32_e32 v3, v3
	s_wait_xcnt 0x1
	v_mov_b32_e32 v13, v12
	s_delay_alu instid0(VALU_DEP_2) | instskip(SKIP_1) | instid1(VALU_DEP_2)
	v_fma_f32 v5, 0xcf800000, v3, |v1|
	v_cvt_u32_f32_e32 v1, v3
	v_cvt_u32_f32_e32 v3, v5
	s_delay_alu instid0(VALU_DEP_2) | instskip(NEXT) | instid1(VALU_DEP_2)
	v_xor_b32_e32 v51, v1, v12
	v_xor_b32_e32 v50, v3, v12
	s_delay_alu instid0(VALU_DEP_1)
	v_sub_nc_u64_e32 v[12:13], v[50:51], v[12:13]
	s_branch .LBB31_3036
.LBB31_3027:
	s_mov_b32 s9, 0
                                        ; implicit-def: $vgpr12_vgpr13
	s_cbranch_execnz .LBB31_3097
.LBB31_3028:
	s_and_not1_b32 vcc_lo, exec_lo, s9
	s_cbranch_vccnz .LBB31_3532
	s_branch .LBB31_3144
.LBB31_3029:
	s_mov_b32 s9, 0
	s_mov_b32 s1, 0
                                        ; implicit-def: $vgpr12_vgpr13
	s_cbranch_execnz .LBB31_3063
	s_branch .LBB31_3093
.LBB31_3030:
	s_mov_b32 s12, -1
	s_mov_b32 s9, 0
	s_mov_b32 s1, 0
                                        ; implicit-def: $vgpr12_vgpr13
	s_branch .LBB31_3046
.LBB31_3031:
	s_mov_b32 s12, -1
	s_mov_b32 s9, 0
	s_mov_b32 s1, 0
                                        ; implicit-def: $vgpr12_vgpr13
	s_branch .LBB31_3041
.LBB31_3032:
	s_or_b32 s33, s34, exec_lo
	s_trap 2
	s_cbranch_execz .LBB31_2973
	s_branch .LBB31_2974
.LBB31_3033:
	s_mov_b32 s12, -1
	s_mov_b32 s9, 0
	s_mov_b32 s1, 0
	s_branch .LBB31_3035
.LBB31_3034:
	s_mov_b32 s1, -1
	s_mov_b32 s9, 0
.LBB31_3035:
                                        ; implicit-def: $vgpr12_vgpr13
.LBB31_3036:
	s_and_b32 vcc_lo, exec_lo, s12
	s_cbranch_vccz .LBB31_3040
; %bb.3037:
	s_cmp_eq_u32 s0, 44
	s_cbranch_scc0 .LBB31_3039
; %bb.3038:
	global_load_u8 v1, v[48:49], off
	s_mov_b32 s1, 0
	s_mov_b32 s9, -1
	s_wait_loadcnt 0x0
	v_lshlrev_b32_e32 v3, 23, v1
	v_cmp_ne_u32_e32 vcc_lo, 0, v1
	s_delay_alu instid0(VALU_DEP_2) | instskip(NEXT) | instid1(VALU_DEP_1)
	v_trunc_f32_e32 v3, v3
	v_mul_f32_e64 v5, 0x2f800000, |v3|
	v_ashrrev_i32_e32 v12, 31, v3
	s_delay_alu instid0(VALU_DEP_2) | instskip(SKIP_1) | instid1(VALU_DEP_2)
	v_floor_f32_e32 v5, v5
	s_wait_xcnt 0x1
	v_mov_b32_e32 v13, v12
	s_delay_alu instid0(VALU_DEP_2) | instskip(SKIP_1) | instid1(VALU_DEP_2)
	v_fma_f32 v7, 0xcf800000, v5, |v3|
	v_cvt_u32_f32_e32 v3, v5
	v_cvt_u32_f32_e32 v5, v7
	s_delay_alu instid0(VALU_DEP_2) | instskip(NEXT) | instid1(VALU_DEP_2)
	v_xor_b32_e32 v51, v3, v12
	v_xor_b32_e32 v50, v5, v12
	s_delay_alu instid0(VALU_DEP_1) | instskip(NEXT) | instid1(VALU_DEP_1)
	v_sub_nc_u64_e32 v[12:13], v[50:51], v[12:13]
	v_dual_cndmask_b32 v13, 0, v13 :: v_dual_cndmask_b32 v12, 0, v12
	s_branch .LBB31_3040
.LBB31_3039:
	s_mov_b32 s1, -1
                                        ; implicit-def: $vgpr12_vgpr13
.LBB31_3040:
	s_mov_b32 s12, 0
.LBB31_3041:
	s_delay_alu instid0(SALU_CYCLE_1)
	s_and_b32 vcc_lo, exec_lo, s12
	s_cbranch_vccz .LBB31_3045
; %bb.3042:
	s_cmp_eq_u32 s0, 29
	s_cbranch_scc0 .LBB31_3044
; %bb.3043:
	global_load_b64 v[12:13], v[48:49], off
	s_mov_b32 s1, 0
	s_mov_b32 s9, -1
	s_branch .LBB31_3045
.LBB31_3044:
	s_mov_b32 s1, -1
                                        ; implicit-def: $vgpr12_vgpr13
.LBB31_3045:
	s_mov_b32 s12, 0
.LBB31_3046:
	s_delay_alu instid0(SALU_CYCLE_1)
	s_and_b32 vcc_lo, exec_lo, s12
	s_cbranch_vccz .LBB31_3062
; %bb.3047:
	s_cmp_lt_i32 s0, 27
	s_cbranch_scc1 .LBB31_3050
; %bb.3048:
	s_cmp_gt_i32 s0, 27
	s_cbranch_scc0 .LBB31_3051
; %bb.3049:
	s_wait_loadcnt 0x0
	global_load_b32 v12, v[48:49], off
	s_wait_xcnt 0x1
	v_mov_b32_e32 v13, 0
	s_mov_b32 s9, 0
	s_branch .LBB31_3052
.LBB31_3050:
	s_mov_b32 s9, -1
                                        ; implicit-def: $vgpr12_vgpr13
	s_branch .LBB31_3055
.LBB31_3051:
	s_mov_b32 s9, -1
                                        ; implicit-def: $vgpr12_vgpr13
.LBB31_3052:
	s_delay_alu instid0(SALU_CYCLE_1)
	s_and_not1_b32 vcc_lo, exec_lo, s9
	s_cbranch_vccnz .LBB31_3054
; %bb.3053:
	global_load_u16 v1, v[48:49], off
	s_mov_b32 s9, 0
	s_wait_loadcnt 0x1
	s_wait_xcnt 0x1
	v_mov_b32_e32 v13, s9
	s_wait_loadcnt 0x0
	v_and_b32_e32 v12, 0xffff, v1
.LBB31_3054:
	s_mov_b32 s9, 0
.LBB31_3055:
	s_delay_alu instid0(SALU_CYCLE_1)
	s_and_not1_b32 vcc_lo, exec_lo, s9
	s_cbranch_vccnz .LBB31_3061
; %bb.3056:
	global_load_u8 v1, v[48:49], off
	s_mov_b32 s12, 0
	s_mov_b32 s9, exec_lo
	s_wait_loadcnt 0x0
	v_cmpx_lt_i16_e32 0x7f, v1
	s_xor_b32 s9, exec_lo, s9
	s_cbranch_execz .LBB31_3072
; %bb.3057:
	v_cmp_ne_u16_e32 vcc_lo, 0x80, v1
	s_and_b32 s12, vcc_lo, exec_lo
	s_and_not1_saveexec_b32 s9, s9
	s_cbranch_execnz .LBB31_3073
.LBB31_3058:
	s_or_b32 exec_lo, exec_lo, s9
	v_mov_b64_e32 v[12:13], 0
	s_and_saveexec_b32 s9, s12
	s_cbranch_execz .LBB31_3060
.LBB31_3059:
	v_and_b32_e32 v3, 0xffff, v1
	s_delay_alu instid0(VALU_DEP_1) | instskip(SKIP_1) | instid1(VALU_DEP_2)
	v_dual_lshlrev_b32 v1, 24, v1 :: v_dual_bitop2_b32 v5, 7, v3 bitop3:0x40
	v_bfe_u32 v12, v3, 3, 4
	v_and_b32_e32 v1, 0x80000000, v1
	s_delay_alu instid0(VALU_DEP_3) | instskip(NEXT) | instid1(VALU_DEP_3)
	v_clz_i32_u32_e32 v7, v5
	v_cmp_eq_u32_e32 vcc_lo, 0, v12
	s_delay_alu instid0(VALU_DEP_2) | instskip(NEXT) | instid1(VALU_DEP_1)
	v_min_u32_e32 v7, 32, v7
	v_subrev_nc_u32_e32 v11, 28, v7
	v_sub_nc_u32_e32 v7, 29, v7
	s_delay_alu instid0(VALU_DEP_2) | instskip(NEXT) | instid1(VALU_DEP_2)
	v_lshlrev_b32_e32 v3, v11, v3
	v_cndmask_b32_e32 v7, v12, v7, vcc_lo
	s_delay_alu instid0(VALU_DEP_2) | instskip(NEXT) | instid1(VALU_DEP_1)
	v_and_b32_e32 v3, 7, v3
	v_cndmask_b32_e32 v3, v5, v3, vcc_lo
	s_delay_alu instid0(VALU_DEP_3) | instskip(NEXT) | instid1(VALU_DEP_2)
	v_lshl_add_u32 v5, v7, 23, 0x3b800000
	v_lshlrev_b32_e32 v3, 20, v3
	s_delay_alu instid0(VALU_DEP_1) | instskip(NEXT) | instid1(VALU_DEP_1)
	v_or3_b32 v1, v1, v5, v3
	v_trunc_f32_e32 v1, v1
	s_delay_alu instid0(VALU_DEP_1) | instskip(SKIP_1) | instid1(VALU_DEP_2)
	v_mul_f32_e64 v3, 0x2f800000, |v1|
	v_ashrrev_i32_e32 v12, 31, v1
	v_floor_f32_e32 v3, v3
	s_delay_alu instid0(VALU_DEP_2) | instskip(NEXT) | instid1(VALU_DEP_2)
	v_mov_b32_e32 v13, v12
	v_fma_f32 v5, 0xcf800000, v3, |v1|
	v_cvt_u32_f32_e32 v1, v3
	s_delay_alu instid0(VALU_DEP_2) | instskip(NEXT) | instid1(VALU_DEP_2)
	v_cvt_u32_f32_e32 v3, v5
	v_xor_b32_e32 v51, v1, v12
	s_delay_alu instid0(VALU_DEP_2) | instskip(NEXT) | instid1(VALU_DEP_1)
	v_xor_b32_e32 v50, v3, v12
	v_sub_nc_u64_e32 v[12:13], v[50:51], v[12:13]
.LBB31_3060:
	s_or_b32 exec_lo, exec_lo, s9
.LBB31_3061:
	s_mov_b32 s9, -1
.LBB31_3062:
	s_branch .LBB31_3093
.LBB31_3063:
	s_cmp_gt_i32 s0, 22
	s_cbranch_scc0 .LBB31_3071
; %bb.3064:
	s_cmp_lt_i32 s0, 24
	s_cbranch_scc1 .LBB31_3074
; %bb.3065:
	s_cmp_gt_i32 s0, 24
	s_cbranch_scc0 .LBB31_3075
; %bb.3066:
	global_load_u8 v1, v[48:49], off
	s_mov_b32 s9, 0
	s_mov_b32 s8, exec_lo
	s_wait_loadcnt 0x0
	v_cmpx_lt_i16_e32 0x7f, v1
	s_xor_b32 s8, exec_lo, s8
	s_cbranch_execz .LBB31_3087
; %bb.3067:
	v_cmp_ne_u16_e32 vcc_lo, 0x80, v1
	s_and_b32 s9, vcc_lo, exec_lo
	s_and_not1_saveexec_b32 s8, s8
	s_cbranch_execnz .LBB31_3088
.LBB31_3068:
	s_or_b32 exec_lo, exec_lo, s8
	v_mov_b64_e32 v[12:13], 0
	s_and_saveexec_b32 s8, s9
	s_cbranch_execz .LBB31_3070
.LBB31_3069:
	v_and_b32_e32 v3, 0xffff, v1
	s_delay_alu instid0(VALU_DEP_1) | instskip(SKIP_1) | instid1(VALU_DEP_2)
	v_dual_lshlrev_b32 v1, 24, v1 :: v_dual_bitop2_b32 v5, 3, v3 bitop3:0x40
	v_bfe_u32 v12, v3, 2, 5
	v_and_b32_e32 v1, 0x80000000, v1
	s_delay_alu instid0(VALU_DEP_3) | instskip(NEXT) | instid1(VALU_DEP_3)
	v_clz_i32_u32_e32 v7, v5
	v_cmp_eq_u32_e32 vcc_lo, 0, v12
	s_delay_alu instid0(VALU_DEP_2) | instskip(NEXT) | instid1(VALU_DEP_1)
	v_min_u32_e32 v7, 32, v7
	v_subrev_nc_u32_e32 v11, 29, v7
	v_sub_nc_u32_e32 v7, 30, v7
	s_delay_alu instid0(VALU_DEP_2) | instskip(NEXT) | instid1(VALU_DEP_2)
	v_lshlrev_b32_e32 v3, v11, v3
	v_cndmask_b32_e32 v7, v12, v7, vcc_lo
	s_delay_alu instid0(VALU_DEP_2) | instskip(NEXT) | instid1(VALU_DEP_1)
	v_and_b32_e32 v3, 3, v3
	v_cndmask_b32_e32 v3, v5, v3, vcc_lo
	s_delay_alu instid0(VALU_DEP_3) | instskip(NEXT) | instid1(VALU_DEP_2)
	v_lshl_add_u32 v5, v7, 23, 0x37800000
	v_lshlrev_b32_e32 v3, 21, v3
	s_delay_alu instid0(VALU_DEP_1) | instskip(NEXT) | instid1(VALU_DEP_1)
	v_or3_b32 v1, v1, v5, v3
	v_trunc_f32_e32 v1, v1
	s_delay_alu instid0(VALU_DEP_1) | instskip(SKIP_1) | instid1(VALU_DEP_2)
	v_mul_f32_e64 v3, 0x2f800000, |v1|
	v_ashrrev_i32_e32 v12, 31, v1
	v_floor_f32_e32 v3, v3
	s_delay_alu instid0(VALU_DEP_2) | instskip(NEXT) | instid1(VALU_DEP_2)
	v_mov_b32_e32 v13, v12
	v_fma_f32 v5, 0xcf800000, v3, |v1|
	v_cvt_u32_f32_e32 v1, v3
	s_delay_alu instid0(VALU_DEP_2) | instskip(NEXT) | instid1(VALU_DEP_2)
	v_cvt_u32_f32_e32 v3, v5
	v_xor_b32_e32 v51, v1, v12
	s_delay_alu instid0(VALU_DEP_2) | instskip(NEXT) | instid1(VALU_DEP_1)
	v_xor_b32_e32 v50, v3, v12
	v_sub_nc_u64_e32 v[12:13], v[50:51], v[12:13]
.LBB31_3070:
	s_or_b32 exec_lo, exec_lo, s8
	s_mov_b32 s8, 0
	s_branch .LBB31_3076
.LBB31_3071:
	s_mov_b32 s8, -1
                                        ; implicit-def: $vgpr12_vgpr13
	s_branch .LBB31_3082
.LBB31_3072:
	s_and_not1_saveexec_b32 s9, s9
	s_cbranch_execz .LBB31_3058
.LBB31_3073:
	v_cmp_ne_u16_e32 vcc_lo, 0, v1
	s_and_not1_b32 s12, s12, exec_lo
	s_and_b32 s13, vcc_lo, exec_lo
	s_delay_alu instid0(SALU_CYCLE_1)
	s_or_b32 s12, s12, s13
	s_or_b32 exec_lo, exec_lo, s9
	v_mov_b64_e32 v[12:13], 0
	s_and_saveexec_b32 s9, s12
	s_cbranch_execnz .LBB31_3059
	s_branch .LBB31_3060
.LBB31_3074:
	s_mov_b32 s8, -1
                                        ; implicit-def: $vgpr12_vgpr13
	s_branch .LBB31_3079
.LBB31_3075:
	s_mov_b32 s8, -1
                                        ; implicit-def: $vgpr12_vgpr13
.LBB31_3076:
	s_delay_alu instid0(SALU_CYCLE_1)
	s_and_b32 vcc_lo, exec_lo, s8
	s_cbranch_vccz .LBB31_3078
; %bb.3077:
	global_load_u8 v1, v[48:49], off
	s_wait_loadcnt 0x0
	v_lshlrev_b32_e32 v1, 24, v1
	s_delay_alu instid0(VALU_DEP_1) | instskip(NEXT) | instid1(VALU_DEP_1)
	v_and_b32_e32 v3, 0x7f000000, v1
	v_clz_i32_u32_e32 v5, v3
	v_add_nc_u32_e32 v11, 0x1000000, v3
	v_cmp_ne_u32_e32 vcc_lo, 0, v3
	s_delay_alu instid0(VALU_DEP_3) | instskip(NEXT) | instid1(VALU_DEP_1)
	v_min_u32_e32 v5, 32, v5
	v_sub_nc_u32_e64 v5, v5, 4 clamp
	s_delay_alu instid0(VALU_DEP_1) | instskip(NEXT) | instid1(VALU_DEP_1)
	v_dual_lshlrev_b32 v7, v5, v3 :: v_dual_lshlrev_b32 v5, 23, v5
	v_lshrrev_b32_e32 v7, 4, v7
	s_delay_alu instid0(VALU_DEP_1) | instskip(NEXT) | instid1(VALU_DEP_1)
	v_dual_sub_nc_u32 v5, v7, v5 :: v_dual_ashrrev_i32 v7, 8, v11
	v_add_nc_u32_e32 v5, 0x3c000000, v5
	s_delay_alu instid0(VALU_DEP_1) | instskip(NEXT) | instid1(VALU_DEP_1)
	v_and_or_b32 v5, 0x7f800000, v7, v5
	v_cndmask_b32_e32 v3, 0, v5, vcc_lo
	s_delay_alu instid0(VALU_DEP_1) | instskip(NEXT) | instid1(VALU_DEP_1)
	v_and_or_b32 v1, 0x80000000, v1, v3
	v_trunc_f32_e32 v1, v1
	s_delay_alu instid0(VALU_DEP_1) | instskip(SKIP_1) | instid1(VALU_DEP_2)
	v_mul_f32_e64 v3, 0x2f800000, |v1|
	v_ashrrev_i32_e32 v12, 31, v1
	v_floor_f32_e32 v3, v3
	s_wait_xcnt 0x1
	s_delay_alu instid0(VALU_DEP_2) | instskip(NEXT) | instid1(VALU_DEP_2)
	v_mov_b32_e32 v13, v12
	v_fma_f32 v5, 0xcf800000, v3, |v1|
	v_cvt_u32_f32_e32 v1, v3
	s_delay_alu instid0(VALU_DEP_2) | instskip(NEXT) | instid1(VALU_DEP_2)
	v_cvt_u32_f32_e32 v3, v5
	v_xor_b32_e32 v51, v1, v12
	s_delay_alu instid0(VALU_DEP_2) | instskip(NEXT) | instid1(VALU_DEP_1)
	v_xor_b32_e32 v50, v3, v12
	v_sub_nc_u64_e32 v[12:13], v[50:51], v[12:13]
.LBB31_3078:
	s_mov_b32 s8, 0
.LBB31_3079:
	s_delay_alu instid0(SALU_CYCLE_1)
	s_and_not1_b32 vcc_lo, exec_lo, s8
	s_cbranch_vccnz .LBB31_3081
; %bb.3080:
	global_load_u8 v1, v[48:49], off
	s_wait_loadcnt 0x0
	v_lshlrev_b32_e32 v3, 25, v1
	v_lshlrev_b16 v1, 8, v1
	s_delay_alu instid0(VALU_DEP_1) | instskip(SKIP_1) | instid1(VALU_DEP_2)
	v_and_or_b32 v7, 0x7f00, v1, 0.5
	v_bfe_i32 v1, v1, 0, 16
	v_add_f32_e32 v7, -0.5, v7
	v_lshrrev_b32_e32 v5, 4, v3
	v_cmp_gt_u32_e32 vcc_lo, 0x8000000, v3
	s_delay_alu instid0(VALU_DEP_2) | instskip(NEXT) | instid1(VALU_DEP_1)
	v_or_b32_e32 v5, 0x70000000, v5
	v_mul_f32_e32 v5, 0x7800000, v5
	s_delay_alu instid0(VALU_DEP_1) | instskip(NEXT) | instid1(VALU_DEP_1)
	v_cndmask_b32_e32 v3, v5, v7, vcc_lo
	v_and_or_b32 v1, 0x80000000, v1, v3
	s_delay_alu instid0(VALU_DEP_1) | instskip(NEXT) | instid1(VALU_DEP_1)
	v_trunc_f32_e32 v1, v1
	v_mul_f32_e64 v3, 0x2f800000, |v1|
	v_ashrrev_i32_e32 v12, 31, v1
	s_delay_alu instid0(VALU_DEP_2) | instskip(SKIP_1) | instid1(VALU_DEP_2)
	v_floor_f32_e32 v3, v3
	s_wait_xcnt 0x1
	v_mov_b32_e32 v13, v12
	s_delay_alu instid0(VALU_DEP_2) | instskip(SKIP_1) | instid1(VALU_DEP_2)
	v_fma_f32 v5, 0xcf800000, v3, |v1|
	v_cvt_u32_f32_e32 v1, v3
	v_cvt_u32_f32_e32 v3, v5
	s_delay_alu instid0(VALU_DEP_2) | instskip(NEXT) | instid1(VALU_DEP_2)
	v_xor_b32_e32 v51, v1, v12
	v_xor_b32_e32 v50, v3, v12
	s_delay_alu instid0(VALU_DEP_1)
	v_sub_nc_u64_e32 v[12:13], v[50:51], v[12:13]
.LBB31_3081:
	s_mov_b32 s8, 0
	s_mov_b32 s9, -1
.LBB31_3082:
	s_and_not1_b32 vcc_lo, exec_lo, s8
	s_mov_b32 s8, 0
	s_cbranch_vccnz .LBB31_3093
; %bb.3083:
	s_cmp_gt_i32 s0, 14
	s_cbranch_scc0 .LBB31_3086
; %bb.3084:
	s_cmp_eq_u32 s0, 15
	s_cbranch_scc0 .LBB31_3089
; %bb.3085:
	global_load_u16 v1, v[48:49], off
	s_mov_b32 s1, 0
	s_mov_b32 s9, -1
	s_wait_loadcnt 0x0
	v_lshlrev_b32_e32 v1, 16, v1
	s_delay_alu instid0(VALU_DEP_1) | instskip(NEXT) | instid1(VALU_DEP_1)
	v_trunc_f32_e32 v1, v1
	v_mul_f32_e64 v3, 0x2f800000, |v1|
	v_ashrrev_i32_e32 v12, 31, v1
	s_delay_alu instid0(VALU_DEP_2) | instskip(SKIP_1) | instid1(VALU_DEP_2)
	v_floor_f32_e32 v3, v3
	s_wait_xcnt 0x1
	v_mov_b32_e32 v13, v12
	s_delay_alu instid0(VALU_DEP_2) | instskip(SKIP_1) | instid1(VALU_DEP_2)
	v_fma_f32 v5, 0xcf800000, v3, |v1|
	v_cvt_u32_f32_e32 v1, v3
	v_cvt_u32_f32_e32 v3, v5
	s_delay_alu instid0(VALU_DEP_2) | instskip(NEXT) | instid1(VALU_DEP_2)
	v_xor_b32_e32 v51, v1, v12
	v_xor_b32_e32 v50, v3, v12
	s_delay_alu instid0(VALU_DEP_1)
	v_sub_nc_u64_e32 v[12:13], v[50:51], v[12:13]
	s_branch .LBB31_3091
.LBB31_3086:
	s_mov_b32 s8, -1
	s_branch .LBB31_3090
.LBB31_3087:
	s_and_not1_saveexec_b32 s8, s8
	s_cbranch_execz .LBB31_3068
.LBB31_3088:
	v_cmp_ne_u16_e32 vcc_lo, 0, v1
	s_and_not1_b32 s9, s9, exec_lo
	s_and_b32 s12, vcc_lo, exec_lo
	s_delay_alu instid0(SALU_CYCLE_1)
	s_or_b32 s9, s9, s12
	s_or_b32 exec_lo, exec_lo, s8
	v_mov_b64_e32 v[12:13], 0
	s_and_saveexec_b32 s8, s9
	s_cbranch_execnz .LBB31_3069
	s_branch .LBB31_3070
.LBB31_3089:
	s_mov_b32 s1, -1
.LBB31_3090:
                                        ; implicit-def: $vgpr12_vgpr13
.LBB31_3091:
	s_and_b32 vcc_lo, exec_lo, s8
	s_mov_b32 s8, 0
	s_cbranch_vccz .LBB31_3093
; %bb.3092:
	s_cmp_lg_u32 s0, 11
	s_mov_b32 s8, -1
	s_cselect_b32 s1, -1, 0
.LBB31_3093:
	s_delay_alu instid0(SALU_CYCLE_1)
	s_and_b32 vcc_lo, exec_lo, s1
	s_cbranch_vccnz .LBB31_3156
; %bb.3094:
	s_and_not1_b32 vcc_lo, exec_lo, s8
	s_cbranch_vccnz .LBB31_3096
.LBB31_3095:
	global_load_u8 v1, v[48:49], off
	s_mov_b32 s0, 0
	s_mov_b32 s9, -1
	s_wait_loadcnt 0x1
	s_wait_xcnt 0x1
	v_mov_b32_e32 v13, s0
	s_wait_loadcnt 0x0
	v_cmp_ne_u16_e32 vcc_lo, 0, v1
	v_cndmask_b32_e64 v12, 0, 1, vcc_lo
.LBB31_3096:
	s_branch .LBB31_3028
.LBB31_3097:
	s_and_b32 s0, 0xffff, s31
	s_delay_alu instid0(SALU_CYCLE_1)
	s_cmp_lt_i32 s0, 5
	s_cbranch_scc1 .LBB31_3102
; %bb.3098:
	s_cmp_lt_i32 s0, 8
	s_cbranch_scc1 .LBB31_3103
; %bb.3099:
	;; [unrolled: 3-line block ×3, first 2 shown]
	s_cmp_gt_i32 s0, 9
	s_cbranch_scc0 .LBB31_3105
; %bb.3101:
	s_wait_loadcnt 0x0
	global_load_b64 v[12:13], v[48:49], off
	s_mov_b32 s1, 0
	s_wait_loadcnt 0x0
	v_trunc_f64_e32 v[12:13], v[12:13]
	s_delay_alu instid0(VALU_DEP_1) | instskip(NEXT) | instid1(VALU_DEP_1)
	v_ldexp_f64 v[50:51], v[12:13], 0xffffffe0
	v_floor_f64_e32 v[50:51], v[50:51]
	s_delay_alu instid0(VALU_DEP_1) | instskip(SKIP_1) | instid1(VALU_DEP_2)
	v_fmamk_f64 v[52:53], v[50:51], 0xc1f00000, v[12:13]
	v_cvt_i32_f64_e32 v13, v[50:51]
	v_cvt_u32_f64_e32 v12, v[52:53]
	s_branch .LBB31_3106
.LBB31_3102:
                                        ; implicit-def: $vgpr12_vgpr13
	s_branch .LBB31_3124
.LBB31_3103:
	s_mov_b32 s1, -1
                                        ; implicit-def: $vgpr12_vgpr13
	s_branch .LBB31_3112
.LBB31_3104:
	s_mov_b32 s1, -1
                                        ; implicit-def: $vgpr12_vgpr13
	s_branch .LBB31_3109
.LBB31_3105:
	s_mov_b32 s1, -1
                                        ; implicit-def: $vgpr12_vgpr13
.LBB31_3106:
	s_delay_alu instid0(SALU_CYCLE_1)
	s_and_not1_b32 vcc_lo, exec_lo, s1
	s_cbranch_vccnz .LBB31_3108
; %bb.3107:
	global_load_b32 v1, v[48:49], off
	s_wait_loadcnt 0x0
	v_trunc_f32_e32 v1, v1
	s_delay_alu instid0(VALU_DEP_1) | instskip(SKIP_1) | instid1(VALU_DEP_2)
	v_mul_f32_e64 v3, 0x2f800000, |v1|
	v_ashrrev_i32_e32 v12, 31, v1
	v_floor_f32_e32 v3, v3
	s_delay_alu instid0(VALU_DEP_1) | instskip(SKIP_3) | instid1(VALU_DEP_3)
	v_fma_f32 v5, 0xcf800000, v3, |v1|
	v_cvt_u32_f32_e32 v1, v3
	s_wait_xcnt 0x1
	v_mov_b32_e32 v13, v12
	v_cvt_u32_f32_e32 v3, v5
	s_delay_alu instid0(VALU_DEP_3) | instskip(NEXT) | instid1(VALU_DEP_2)
	v_xor_b32_e32 v51, v1, v12
	v_xor_b32_e32 v50, v3, v12
	s_delay_alu instid0(VALU_DEP_1)
	v_sub_nc_u64_e32 v[12:13], v[50:51], v[12:13]
.LBB31_3108:
	s_mov_b32 s1, 0
.LBB31_3109:
	s_delay_alu instid0(SALU_CYCLE_1)
	s_and_not1_b32 vcc_lo, exec_lo, s1
	s_cbranch_vccnz .LBB31_3111
; %bb.3110:
	global_load_b32 v1, v[48:49], off
	s_wait_loadcnt 0x0
	v_cvt_f32_f16_e32 v1, v1
	s_delay_alu instid0(VALU_DEP_1) | instskip(SKIP_1) | instid1(VALU_DEP_1)
	v_cvt_i32_f32_e32 v12, v1
	s_wait_xcnt 0x1
	v_ashrrev_i32_e32 v13, 31, v12
.LBB31_3111:
	s_mov_b32 s1, 0
.LBB31_3112:
	s_delay_alu instid0(SALU_CYCLE_1)
	s_and_not1_b32 vcc_lo, exec_lo, s1
	s_cbranch_vccnz .LBB31_3123
; %bb.3113:
	s_cmp_lt_i32 s0, 6
	s_cbranch_scc1 .LBB31_3116
; %bb.3114:
	s_cmp_gt_i32 s0, 6
	s_cbranch_scc0 .LBB31_3117
; %bb.3115:
	s_wait_loadcnt 0x0
	global_load_b64 v[12:13], v[48:49], off
	s_mov_b32 s1, 0
	s_wait_loadcnt 0x0
	v_trunc_f64_e32 v[12:13], v[12:13]
	s_delay_alu instid0(VALU_DEP_1) | instskip(NEXT) | instid1(VALU_DEP_1)
	v_ldexp_f64 v[50:51], v[12:13], 0xffffffe0
	v_floor_f64_e32 v[50:51], v[50:51]
	s_delay_alu instid0(VALU_DEP_1) | instskip(SKIP_1) | instid1(VALU_DEP_2)
	v_fmamk_f64 v[52:53], v[50:51], 0xc1f00000, v[12:13]
	v_cvt_i32_f64_e32 v13, v[50:51]
	v_cvt_u32_f64_e32 v12, v[52:53]
	s_branch .LBB31_3118
.LBB31_3116:
	s_mov_b32 s1, -1
                                        ; implicit-def: $vgpr12_vgpr13
	s_branch .LBB31_3121
.LBB31_3117:
	s_mov_b32 s1, -1
                                        ; implicit-def: $vgpr12_vgpr13
.LBB31_3118:
	s_delay_alu instid0(SALU_CYCLE_1)
	s_and_not1_b32 vcc_lo, exec_lo, s1
	s_cbranch_vccnz .LBB31_3120
; %bb.3119:
	global_load_b32 v1, v[48:49], off
	s_wait_loadcnt 0x0
	v_trunc_f32_e32 v1, v1
	s_delay_alu instid0(VALU_DEP_1) | instskip(SKIP_1) | instid1(VALU_DEP_2)
	v_mul_f32_e64 v3, 0x2f800000, |v1|
	v_ashrrev_i32_e32 v12, 31, v1
	v_floor_f32_e32 v3, v3
	s_delay_alu instid0(VALU_DEP_1) | instskip(SKIP_3) | instid1(VALU_DEP_3)
	v_fma_f32 v5, 0xcf800000, v3, |v1|
	v_cvt_u32_f32_e32 v1, v3
	s_wait_xcnt 0x1
	v_mov_b32_e32 v13, v12
	v_cvt_u32_f32_e32 v3, v5
	s_delay_alu instid0(VALU_DEP_3) | instskip(NEXT) | instid1(VALU_DEP_2)
	v_xor_b32_e32 v51, v1, v12
	v_xor_b32_e32 v50, v3, v12
	s_delay_alu instid0(VALU_DEP_1)
	v_sub_nc_u64_e32 v[12:13], v[50:51], v[12:13]
.LBB31_3120:
	s_mov_b32 s1, 0
.LBB31_3121:
	s_delay_alu instid0(SALU_CYCLE_1)
	s_and_not1_b32 vcc_lo, exec_lo, s1
	s_cbranch_vccnz .LBB31_3123
; %bb.3122:
	global_load_u16 v1, v[48:49], off
	s_wait_loadcnt 0x0
	v_cvt_f32_f16_e32 v1, v1
	s_delay_alu instid0(VALU_DEP_1) | instskip(SKIP_1) | instid1(VALU_DEP_1)
	v_cvt_i32_f32_e32 v12, v1
	s_wait_xcnt 0x1
	v_ashrrev_i32_e32 v13, 31, v12
.LBB31_3123:
	s_cbranch_execnz .LBB31_3143
.LBB31_3124:
	s_cmp_lt_i32 s0, 2
	s_cbranch_scc1 .LBB31_3128
; %bb.3125:
	s_cmp_lt_i32 s0, 3
	s_cbranch_scc1 .LBB31_3129
; %bb.3126:
	s_cmp_gt_i32 s0, 3
	s_cbranch_scc0 .LBB31_3130
; %bb.3127:
	s_wait_loadcnt 0x0
	global_load_b64 v[12:13], v[48:49], off
	s_mov_b32 s1, 0
	s_branch .LBB31_3131
.LBB31_3128:
	s_mov_b32 s1, -1
                                        ; implicit-def: $vgpr12_vgpr13
	s_branch .LBB31_3137
.LBB31_3129:
	s_mov_b32 s1, -1
                                        ; implicit-def: $vgpr12_vgpr13
	s_branch .LBB31_3134
.LBB31_3130:
	s_mov_b32 s1, -1
                                        ; implicit-def: $vgpr12_vgpr13
.LBB31_3131:
	s_delay_alu instid0(SALU_CYCLE_1)
	s_and_not1_b32 vcc_lo, exec_lo, s1
	s_cbranch_vccnz .LBB31_3133
; %bb.3132:
	s_wait_loadcnt 0x0
	global_load_b32 v12, v[48:49], off
	s_wait_loadcnt 0x0
	s_wait_xcnt 0x1
	v_ashrrev_i32_e32 v13, 31, v12
.LBB31_3133:
	s_mov_b32 s1, 0
.LBB31_3134:
	s_delay_alu instid0(SALU_CYCLE_1)
	s_and_not1_b32 vcc_lo, exec_lo, s1
	s_cbranch_vccnz .LBB31_3136
; %bb.3135:
	global_load_u16 v1, v[48:49], off
	s_wait_loadcnt 0x0
	v_bfe_i32 v12, v1, 0, 16
	s_wait_xcnt 0x1
	s_delay_alu instid0(VALU_DEP_1)
	v_ashrrev_i32_e32 v13, 31, v12
.LBB31_3136:
	s_mov_b32 s1, 0
.LBB31_3137:
	s_delay_alu instid0(SALU_CYCLE_1)
	s_and_not1_b32 vcc_lo, exec_lo, s1
	s_cbranch_vccnz .LBB31_3143
; %bb.3138:
	s_cmp_gt_i32 s0, 0
	s_mov_b32 s0, 0
	s_cbranch_scc0 .LBB31_3140
; %bb.3139:
	global_load_i8 v1, v[48:49], off
	s_wait_loadcnt 0x0
	v_bfe_i32 v12, v1, 0, 16
	s_wait_xcnt 0x1
	s_delay_alu instid0(VALU_DEP_1)
	v_ashrrev_i32_e32 v13, 31, v12
	s_branch .LBB31_3141
.LBB31_3140:
	s_mov_b32 s0, -1
                                        ; implicit-def: $vgpr12_vgpr13
.LBB31_3141:
	s_delay_alu instid0(SALU_CYCLE_1)
	s_and_not1_b32 vcc_lo, exec_lo, s0
	s_cbranch_vccnz .LBB31_3143
; %bb.3142:
	global_load_u8 v1, v[48:49], off
	s_mov_b32 s0, 0
	s_wait_loadcnt 0x1
	s_wait_xcnt 0x1
	v_mov_b32_e32 v13, s0
	s_wait_loadcnt 0x0
	v_and_b32_e32 v12, 0xffff, v1
.LBB31_3143:
.LBB31_3144:
	v_mov_b32_e32 v47, 0
	s_load_b64 s[12:13], s[2:3], 0x260
	global_load_u8 v1, v47, s[2:3] offset:803
	s_wait_kmcnt 0x0
	v_add_nc_u64_e32 v[48:49], s[12:13], v[46:47]
	s_wait_loadcnt 0x0
	v_and_b32_e32 v3, 0xffff, v1
	v_readfirstlane_b32 s47, v1
	s_delay_alu instid0(VALU_DEP_2)
	v_cmp_gt_i32_e32 vcc_lo, 11, v3
	s_cbranch_vccnz .LBB31_3151
; %bb.3145:
	s_and_b32 s0, 0xffff, s47
	s_mov_b32 s8, 0
	s_cmp_gt_i32 s0, 25
	s_cbranch_scc0 .LBB31_3153
; %bb.3146:
	s_cmp_gt_i32 s0, 28
	s_cbranch_scc0 .LBB31_3154
; %bb.3147:
	;; [unrolled: 3-line block ×4, first 2 shown]
	s_cmp_eq_u32 s0, 46
	s_mov_b32 s14, 0
	s_cbranch_scc0 .LBB31_3158
; %bb.3150:
	global_load_b32 v1, v[48:49], off
	s_mov_b32 s1, 0
	s_mov_b32 s9, -1
	s_wait_loadcnt 0x0
	v_lshlrev_b32_e32 v1, 16, v1
	s_delay_alu instid0(VALU_DEP_1) | instskip(NEXT) | instid1(VALU_DEP_1)
	v_trunc_f32_e32 v1, v1
	v_mul_f32_e64 v3, 0x2f800000, |v1|
	v_ashrrev_i32_e32 v46, 31, v1
	s_delay_alu instid0(VALU_DEP_2) | instskip(SKIP_1) | instid1(VALU_DEP_2)
	v_floor_f32_e32 v3, v3
	s_wait_xcnt 0x1
	v_mov_b32_e32 v47, v46
	s_delay_alu instid0(VALU_DEP_2) | instskip(SKIP_1) | instid1(VALU_DEP_2)
	v_fma_f32 v5, 0xcf800000, v3, |v1|
	v_cvt_u32_f32_e32 v1, v3
	v_cvt_u32_f32_e32 v3, v5
	s_delay_alu instid0(VALU_DEP_2) | instskip(NEXT) | instid1(VALU_DEP_2)
	v_xor_b32_e32 v51, v1, v46
	v_xor_b32_e32 v50, v3, v46
	s_delay_alu instid0(VALU_DEP_1)
	v_sub_nc_u64_e32 v[46:47], v[50:51], v[46:47]
	s_branch .LBB31_3160
.LBB31_3151:
	s_mov_b32 s9, 0
                                        ; implicit-def: $vgpr46_vgpr47
	s_cbranch_execnz .LBB31_3222
.LBB31_3152:
	s_and_not1_b32 vcc_lo, exec_lo, s9
	s_cbranch_vccnz .LBB31_3532
	s_branch .LBB31_3270
.LBB31_3153:
	s_mov_b32 s14, -1
	s_mov_b32 s9, 0
	s_mov_b32 s1, 0
                                        ; implicit-def: $vgpr46_vgpr47
	s_branch .LBB31_3187
.LBB31_3154:
	s_mov_b32 s14, -1
	s_mov_b32 s9, 0
	s_mov_b32 s1, 0
                                        ; implicit-def: $vgpr46_vgpr47
	s_branch .LBB31_3170
.LBB31_3155:
	s_mov_b32 s14, -1
	s_mov_b32 s9, 0
	s_mov_b32 s1, 0
                                        ; implicit-def: $vgpr46_vgpr47
	s_branch .LBB31_3165
.LBB31_3156:
	s_or_b32 s33, s33, exec_lo
	s_trap 2
	s_cbranch_execz .LBB31_3095
	s_branch .LBB31_3096
.LBB31_3157:
	s_mov_b32 s14, -1
	s_mov_b32 s9, 0
	s_mov_b32 s1, 0
	s_branch .LBB31_3159
.LBB31_3158:
	s_mov_b32 s1, -1
	s_mov_b32 s9, 0
.LBB31_3159:
                                        ; implicit-def: $vgpr46_vgpr47
.LBB31_3160:
	s_and_b32 vcc_lo, exec_lo, s14
	s_cbranch_vccz .LBB31_3164
; %bb.3161:
	s_cmp_eq_u32 s0, 44
	s_cbranch_scc0 .LBB31_3163
; %bb.3162:
	global_load_u8 v1, v[48:49], off
	s_mov_b32 s1, 0
	s_mov_b32 s9, -1
	s_wait_loadcnt 0x0
	v_lshlrev_b32_e32 v3, 23, v1
	v_cmp_ne_u32_e32 vcc_lo, 0, v1
	s_delay_alu instid0(VALU_DEP_2) | instskip(NEXT) | instid1(VALU_DEP_1)
	v_trunc_f32_e32 v3, v3
	v_mul_f32_e64 v5, 0x2f800000, |v3|
	v_ashrrev_i32_e32 v46, 31, v3
	s_delay_alu instid0(VALU_DEP_2) | instskip(SKIP_1) | instid1(VALU_DEP_2)
	v_floor_f32_e32 v5, v5
	s_wait_xcnt 0x1
	v_mov_b32_e32 v47, v46
	s_delay_alu instid0(VALU_DEP_2) | instskip(SKIP_1) | instid1(VALU_DEP_2)
	v_fma_f32 v7, 0xcf800000, v5, |v3|
	v_cvt_u32_f32_e32 v3, v5
	v_cvt_u32_f32_e32 v5, v7
	s_delay_alu instid0(VALU_DEP_2) | instskip(NEXT) | instid1(VALU_DEP_2)
	v_xor_b32_e32 v51, v3, v46
	v_xor_b32_e32 v50, v5, v46
	s_delay_alu instid0(VALU_DEP_1) | instskip(NEXT) | instid1(VALU_DEP_1)
	v_sub_nc_u64_e32 v[46:47], v[50:51], v[46:47]
	v_dual_cndmask_b32 v47, 0, v47 :: v_dual_cndmask_b32 v46, 0, v46
	s_branch .LBB31_3164
.LBB31_3163:
	s_mov_b32 s1, -1
                                        ; implicit-def: $vgpr46_vgpr47
.LBB31_3164:
	s_mov_b32 s14, 0
.LBB31_3165:
	s_delay_alu instid0(SALU_CYCLE_1)
	s_and_b32 vcc_lo, exec_lo, s14
	s_cbranch_vccz .LBB31_3169
; %bb.3166:
	s_cmp_eq_u32 s0, 29
	s_cbranch_scc0 .LBB31_3168
; %bb.3167:
	global_load_b64 v[46:47], v[48:49], off
	s_mov_b32 s1, 0
	s_mov_b32 s9, -1
	s_branch .LBB31_3169
.LBB31_3168:
	s_mov_b32 s1, -1
                                        ; implicit-def: $vgpr46_vgpr47
.LBB31_3169:
	s_mov_b32 s14, 0
.LBB31_3170:
	s_delay_alu instid0(SALU_CYCLE_1)
	s_and_b32 vcc_lo, exec_lo, s14
	s_cbranch_vccz .LBB31_3186
; %bb.3171:
	s_cmp_lt_i32 s0, 27
	s_cbranch_scc1 .LBB31_3174
; %bb.3172:
	s_cmp_gt_i32 s0, 27
	s_cbranch_scc0 .LBB31_3175
; %bb.3173:
	s_wait_loadcnt 0x0
	global_load_b32 v46, v[48:49], off
	s_wait_xcnt 0x1
	v_mov_b32_e32 v47, 0
	s_mov_b32 s9, 0
	s_branch .LBB31_3176
.LBB31_3174:
	s_mov_b32 s9, -1
                                        ; implicit-def: $vgpr46_vgpr47
	s_branch .LBB31_3179
.LBB31_3175:
	s_mov_b32 s9, -1
                                        ; implicit-def: $vgpr46_vgpr47
.LBB31_3176:
	s_delay_alu instid0(SALU_CYCLE_1)
	s_and_not1_b32 vcc_lo, exec_lo, s9
	s_cbranch_vccnz .LBB31_3178
; %bb.3177:
	global_load_u16 v1, v[48:49], off
	s_mov_b32 s9, 0
	s_wait_loadcnt 0x1
	s_wait_xcnt 0x1
	v_mov_b32_e32 v47, s9
	s_wait_loadcnt 0x0
	v_and_b32_e32 v46, 0xffff, v1
.LBB31_3178:
	s_mov_b32 s9, 0
.LBB31_3179:
	s_delay_alu instid0(SALU_CYCLE_1)
	s_and_not1_b32 vcc_lo, exec_lo, s9
	s_cbranch_vccnz .LBB31_3185
; %bb.3180:
	global_load_u8 v1, v[48:49], off
	s_mov_b32 s14, 0
	s_mov_b32 s9, exec_lo
	s_wait_loadcnt 0x0
	v_cmpx_lt_i16_e32 0x7f, v1
	s_xor_b32 s9, exec_lo, s9
	s_cbranch_execz .LBB31_3197
; %bb.3181:
	v_cmp_ne_u16_e32 vcc_lo, 0x80, v1
	s_and_b32 s14, vcc_lo, exec_lo
	s_and_not1_saveexec_b32 s9, s9
	s_cbranch_execnz .LBB31_3198
.LBB31_3182:
	s_or_b32 exec_lo, exec_lo, s9
	v_mov_b64_e32 v[46:47], 0
	s_and_saveexec_b32 s9, s14
	s_cbranch_execz .LBB31_3184
.LBB31_3183:
	v_and_b32_e32 v3, 0xffff, v1
	s_delay_alu instid0(VALU_DEP_1) | instskip(SKIP_1) | instid1(VALU_DEP_2)
	v_dual_lshlrev_b32 v1, 24, v1 :: v_dual_bitop2_b32 v5, 7, v3 bitop3:0x40
	v_bfe_u32 v15, v3, 3, 4
	v_and_b32_e32 v1, 0x80000000, v1
	s_delay_alu instid0(VALU_DEP_3) | instskip(NEXT) | instid1(VALU_DEP_3)
	v_clz_i32_u32_e32 v7, v5
	v_cmp_eq_u32_e32 vcc_lo, 0, v15
	s_delay_alu instid0(VALU_DEP_2) | instskip(NEXT) | instid1(VALU_DEP_1)
	v_min_u32_e32 v7, 32, v7
	v_subrev_nc_u32_e32 v11, 28, v7
	v_sub_nc_u32_e32 v7, 29, v7
	s_delay_alu instid0(VALU_DEP_2) | instskip(NEXT) | instid1(VALU_DEP_2)
	v_lshlrev_b32_e32 v3, v11, v3
	v_cndmask_b32_e32 v7, v15, v7, vcc_lo
	s_delay_alu instid0(VALU_DEP_2) | instskip(NEXT) | instid1(VALU_DEP_1)
	v_and_b32_e32 v3, 7, v3
	v_cndmask_b32_e32 v3, v5, v3, vcc_lo
	s_delay_alu instid0(VALU_DEP_3) | instskip(NEXT) | instid1(VALU_DEP_2)
	v_lshl_add_u32 v5, v7, 23, 0x3b800000
	v_lshlrev_b32_e32 v3, 20, v3
	s_delay_alu instid0(VALU_DEP_1) | instskip(NEXT) | instid1(VALU_DEP_1)
	v_or3_b32 v1, v1, v5, v3
	v_trunc_f32_e32 v1, v1
	s_delay_alu instid0(VALU_DEP_1) | instskip(SKIP_1) | instid1(VALU_DEP_2)
	v_mul_f32_e64 v3, 0x2f800000, |v1|
	v_ashrrev_i32_e32 v46, 31, v1
	v_floor_f32_e32 v3, v3
	s_delay_alu instid0(VALU_DEP_2) | instskip(NEXT) | instid1(VALU_DEP_2)
	v_mov_b32_e32 v47, v46
	v_fma_f32 v5, 0xcf800000, v3, |v1|
	v_cvt_u32_f32_e32 v1, v3
	s_delay_alu instid0(VALU_DEP_2) | instskip(NEXT) | instid1(VALU_DEP_2)
	v_cvt_u32_f32_e32 v3, v5
	v_xor_b32_e32 v51, v1, v46
	s_delay_alu instid0(VALU_DEP_2) | instskip(NEXT) | instid1(VALU_DEP_1)
	v_xor_b32_e32 v50, v3, v46
	v_sub_nc_u64_e32 v[46:47], v[50:51], v[46:47]
.LBB31_3184:
	s_or_b32 exec_lo, exec_lo, s9
.LBB31_3185:
	s_mov_b32 s9, -1
.LBB31_3186:
	s_mov_b32 s14, 0
.LBB31_3187:
	s_delay_alu instid0(SALU_CYCLE_1)
	s_and_b32 vcc_lo, exec_lo, s14
	s_cbranch_vccz .LBB31_3218
; %bb.3188:
	s_cmp_gt_i32 s0, 22
	s_cbranch_scc0 .LBB31_3196
; %bb.3189:
	s_cmp_lt_i32 s0, 24
	s_cbranch_scc1 .LBB31_3199
; %bb.3190:
	s_cmp_gt_i32 s0, 24
	s_cbranch_scc0 .LBB31_3200
; %bb.3191:
	global_load_u8 v1, v[48:49], off
	s_mov_b32 s9, 0
	s_mov_b32 s8, exec_lo
	s_wait_loadcnt 0x0
	v_cmpx_lt_i16_e32 0x7f, v1
	s_xor_b32 s8, exec_lo, s8
	s_cbranch_execz .LBB31_3212
; %bb.3192:
	v_cmp_ne_u16_e32 vcc_lo, 0x80, v1
	s_and_b32 s9, vcc_lo, exec_lo
	s_and_not1_saveexec_b32 s8, s8
	s_cbranch_execnz .LBB31_3213
.LBB31_3193:
	s_or_b32 exec_lo, exec_lo, s8
	v_mov_b64_e32 v[46:47], 0
	s_and_saveexec_b32 s8, s9
	s_cbranch_execz .LBB31_3195
.LBB31_3194:
	v_and_b32_e32 v3, 0xffff, v1
	s_delay_alu instid0(VALU_DEP_1) | instskip(SKIP_1) | instid1(VALU_DEP_2)
	v_dual_lshlrev_b32 v1, 24, v1 :: v_dual_bitop2_b32 v5, 3, v3 bitop3:0x40
	v_bfe_u32 v15, v3, 2, 5
	v_and_b32_e32 v1, 0x80000000, v1
	s_delay_alu instid0(VALU_DEP_3) | instskip(NEXT) | instid1(VALU_DEP_3)
	v_clz_i32_u32_e32 v7, v5
	v_cmp_eq_u32_e32 vcc_lo, 0, v15
	s_delay_alu instid0(VALU_DEP_2) | instskip(NEXT) | instid1(VALU_DEP_1)
	v_min_u32_e32 v7, 32, v7
	v_subrev_nc_u32_e32 v11, 29, v7
	v_sub_nc_u32_e32 v7, 30, v7
	s_delay_alu instid0(VALU_DEP_2) | instskip(NEXT) | instid1(VALU_DEP_2)
	v_lshlrev_b32_e32 v3, v11, v3
	v_cndmask_b32_e32 v7, v15, v7, vcc_lo
	s_delay_alu instid0(VALU_DEP_2) | instskip(NEXT) | instid1(VALU_DEP_1)
	v_and_b32_e32 v3, 3, v3
	v_cndmask_b32_e32 v3, v5, v3, vcc_lo
	s_delay_alu instid0(VALU_DEP_3) | instskip(NEXT) | instid1(VALU_DEP_2)
	v_lshl_add_u32 v5, v7, 23, 0x37800000
	v_lshlrev_b32_e32 v3, 21, v3
	s_delay_alu instid0(VALU_DEP_1) | instskip(NEXT) | instid1(VALU_DEP_1)
	v_or3_b32 v1, v1, v5, v3
	v_trunc_f32_e32 v1, v1
	s_delay_alu instid0(VALU_DEP_1) | instskip(SKIP_1) | instid1(VALU_DEP_2)
	v_mul_f32_e64 v3, 0x2f800000, |v1|
	v_ashrrev_i32_e32 v46, 31, v1
	v_floor_f32_e32 v3, v3
	s_delay_alu instid0(VALU_DEP_2) | instskip(NEXT) | instid1(VALU_DEP_2)
	v_mov_b32_e32 v47, v46
	v_fma_f32 v5, 0xcf800000, v3, |v1|
	v_cvt_u32_f32_e32 v1, v3
	s_delay_alu instid0(VALU_DEP_2) | instskip(NEXT) | instid1(VALU_DEP_2)
	v_cvt_u32_f32_e32 v3, v5
	v_xor_b32_e32 v51, v1, v46
	s_delay_alu instid0(VALU_DEP_2) | instskip(NEXT) | instid1(VALU_DEP_1)
	v_xor_b32_e32 v50, v3, v46
	v_sub_nc_u64_e32 v[46:47], v[50:51], v[46:47]
.LBB31_3195:
	s_or_b32 exec_lo, exec_lo, s8
	s_mov_b32 s8, 0
	s_branch .LBB31_3201
.LBB31_3196:
	s_mov_b32 s8, -1
                                        ; implicit-def: $vgpr46_vgpr47
	s_branch .LBB31_3207
.LBB31_3197:
	s_and_not1_saveexec_b32 s9, s9
	s_cbranch_execz .LBB31_3182
.LBB31_3198:
	v_cmp_ne_u16_e32 vcc_lo, 0, v1
	s_and_not1_b32 s14, s14, exec_lo
	s_and_b32 s15, vcc_lo, exec_lo
	s_delay_alu instid0(SALU_CYCLE_1)
	s_or_b32 s14, s14, s15
	s_or_b32 exec_lo, exec_lo, s9
	v_mov_b64_e32 v[46:47], 0
	s_and_saveexec_b32 s9, s14
	s_cbranch_execnz .LBB31_3183
	s_branch .LBB31_3184
.LBB31_3199:
	s_mov_b32 s8, -1
                                        ; implicit-def: $vgpr46_vgpr47
	s_branch .LBB31_3204
.LBB31_3200:
	s_mov_b32 s8, -1
                                        ; implicit-def: $vgpr46_vgpr47
.LBB31_3201:
	s_delay_alu instid0(SALU_CYCLE_1)
	s_and_b32 vcc_lo, exec_lo, s8
	s_cbranch_vccz .LBB31_3203
; %bb.3202:
	global_load_u8 v1, v[48:49], off
	s_wait_loadcnt 0x0
	v_lshlrev_b32_e32 v1, 24, v1
	s_delay_alu instid0(VALU_DEP_1) | instskip(NEXT) | instid1(VALU_DEP_1)
	v_and_b32_e32 v3, 0x7f000000, v1
	v_clz_i32_u32_e32 v5, v3
	v_add_nc_u32_e32 v11, 0x1000000, v3
	v_cmp_ne_u32_e32 vcc_lo, 0, v3
	s_delay_alu instid0(VALU_DEP_3) | instskip(NEXT) | instid1(VALU_DEP_1)
	v_min_u32_e32 v5, 32, v5
	v_sub_nc_u32_e64 v5, v5, 4 clamp
	s_delay_alu instid0(VALU_DEP_1) | instskip(NEXT) | instid1(VALU_DEP_1)
	v_dual_lshlrev_b32 v7, v5, v3 :: v_dual_lshlrev_b32 v5, 23, v5
	v_lshrrev_b32_e32 v7, 4, v7
	s_delay_alu instid0(VALU_DEP_1) | instskip(NEXT) | instid1(VALU_DEP_1)
	v_dual_sub_nc_u32 v5, v7, v5 :: v_dual_ashrrev_i32 v7, 8, v11
	v_add_nc_u32_e32 v5, 0x3c000000, v5
	s_delay_alu instid0(VALU_DEP_1) | instskip(NEXT) | instid1(VALU_DEP_1)
	v_and_or_b32 v5, 0x7f800000, v7, v5
	v_cndmask_b32_e32 v3, 0, v5, vcc_lo
	s_delay_alu instid0(VALU_DEP_1) | instskip(NEXT) | instid1(VALU_DEP_1)
	v_and_or_b32 v1, 0x80000000, v1, v3
	v_trunc_f32_e32 v1, v1
	s_delay_alu instid0(VALU_DEP_1) | instskip(SKIP_1) | instid1(VALU_DEP_2)
	v_mul_f32_e64 v3, 0x2f800000, |v1|
	v_ashrrev_i32_e32 v46, 31, v1
	v_floor_f32_e32 v3, v3
	s_wait_xcnt 0x1
	s_delay_alu instid0(VALU_DEP_2) | instskip(NEXT) | instid1(VALU_DEP_2)
	v_mov_b32_e32 v47, v46
	v_fma_f32 v5, 0xcf800000, v3, |v1|
	v_cvt_u32_f32_e32 v1, v3
	s_delay_alu instid0(VALU_DEP_2) | instskip(NEXT) | instid1(VALU_DEP_2)
	v_cvt_u32_f32_e32 v3, v5
	v_xor_b32_e32 v51, v1, v46
	s_delay_alu instid0(VALU_DEP_2) | instskip(NEXT) | instid1(VALU_DEP_1)
	v_xor_b32_e32 v50, v3, v46
	v_sub_nc_u64_e32 v[46:47], v[50:51], v[46:47]
.LBB31_3203:
	s_mov_b32 s8, 0
.LBB31_3204:
	s_delay_alu instid0(SALU_CYCLE_1)
	s_and_not1_b32 vcc_lo, exec_lo, s8
	s_cbranch_vccnz .LBB31_3206
; %bb.3205:
	global_load_u8 v1, v[48:49], off
	s_wait_loadcnt 0x0
	v_lshlrev_b32_e32 v3, 25, v1
	v_lshlrev_b16 v1, 8, v1
	s_delay_alu instid0(VALU_DEP_1) | instskip(SKIP_1) | instid1(VALU_DEP_2)
	v_and_or_b32 v7, 0x7f00, v1, 0.5
	v_bfe_i32 v1, v1, 0, 16
	v_add_f32_e32 v7, -0.5, v7
	v_lshrrev_b32_e32 v5, 4, v3
	v_cmp_gt_u32_e32 vcc_lo, 0x8000000, v3
	s_delay_alu instid0(VALU_DEP_2) | instskip(NEXT) | instid1(VALU_DEP_1)
	v_or_b32_e32 v5, 0x70000000, v5
	v_mul_f32_e32 v5, 0x7800000, v5
	s_delay_alu instid0(VALU_DEP_1) | instskip(NEXT) | instid1(VALU_DEP_1)
	v_cndmask_b32_e32 v3, v5, v7, vcc_lo
	v_and_or_b32 v1, 0x80000000, v1, v3
	s_delay_alu instid0(VALU_DEP_1) | instskip(NEXT) | instid1(VALU_DEP_1)
	v_trunc_f32_e32 v1, v1
	v_mul_f32_e64 v3, 0x2f800000, |v1|
	v_ashrrev_i32_e32 v46, 31, v1
	s_delay_alu instid0(VALU_DEP_2) | instskip(SKIP_1) | instid1(VALU_DEP_2)
	v_floor_f32_e32 v3, v3
	s_wait_xcnt 0x1
	v_mov_b32_e32 v47, v46
	s_delay_alu instid0(VALU_DEP_2) | instskip(SKIP_1) | instid1(VALU_DEP_2)
	v_fma_f32 v5, 0xcf800000, v3, |v1|
	v_cvt_u32_f32_e32 v1, v3
	v_cvt_u32_f32_e32 v3, v5
	s_delay_alu instid0(VALU_DEP_2) | instskip(NEXT) | instid1(VALU_DEP_2)
	v_xor_b32_e32 v51, v1, v46
	v_xor_b32_e32 v50, v3, v46
	s_delay_alu instid0(VALU_DEP_1)
	v_sub_nc_u64_e32 v[46:47], v[50:51], v[46:47]
.LBB31_3206:
	s_mov_b32 s8, 0
	s_mov_b32 s9, -1
.LBB31_3207:
	s_and_not1_b32 vcc_lo, exec_lo, s8
	s_mov_b32 s8, 0
	s_cbranch_vccnz .LBB31_3218
; %bb.3208:
	s_cmp_gt_i32 s0, 14
	s_cbranch_scc0 .LBB31_3211
; %bb.3209:
	s_cmp_eq_u32 s0, 15
	s_cbranch_scc0 .LBB31_3214
; %bb.3210:
	global_load_u16 v1, v[48:49], off
	s_mov_b32 s1, 0
	s_mov_b32 s9, -1
	s_wait_loadcnt 0x0
	v_lshlrev_b32_e32 v1, 16, v1
	s_delay_alu instid0(VALU_DEP_1) | instskip(NEXT) | instid1(VALU_DEP_1)
	v_trunc_f32_e32 v1, v1
	v_mul_f32_e64 v3, 0x2f800000, |v1|
	v_ashrrev_i32_e32 v46, 31, v1
	s_delay_alu instid0(VALU_DEP_2) | instskip(SKIP_1) | instid1(VALU_DEP_2)
	v_floor_f32_e32 v3, v3
	s_wait_xcnt 0x1
	v_mov_b32_e32 v47, v46
	s_delay_alu instid0(VALU_DEP_2) | instskip(SKIP_1) | instid1(VALU_DEP_2)
	v_fma_f32 v5, 0xcf800000, v3, |v1|
	v_cvt_u32_f32_e32 v1, v3
	v_cvt_u32_f32_e32 v3, v5
	s_delay_alu instid0(VALU_DEP_2) | instskip(NEXT) | instid1(VALU_DEP_2)
	v_xor_b32_e32 v51, v1, v46
	v_xor_b32_e32 v50, v3, v46
	s_delay_alu instid0(VALU_DEP_1)
	v_sub_nc_u64_e32 v[46:47], v[50:51], v[46:47]
	s_branch .LBB31_3216
.LBB31_3211:
	s_mov_b32 s8, -1
	s_branch .LBB31_3215
.LBB31_3212:
	s_and_not1_saveexec_b32 s8, s8
	s_cbranch_execz .LBB31_3193
.LBB31_3213:
	v_cmp_ne_u16_e32 vcc_lo, 0, v1
	s_and_not1_b32 s9, s9, exec_lo
	s_and_b32 s14, vcc_lo, exec_lo
	s_delay_alu instid0(SALU_CYCLE_1)
	s_or_b32 s9, s9, s14
	s_or_b32 exec_lo, exec_lo, s8
	v_mov_b64_e32 v[46:47], 0
	s_and_saveexec_b32 s8, s9
	s_cbranch_execnz .LBB31_3194
	s_branch .LBB31_3195
.LBB31_3214:
	s_mov_b32 s1, -1
.LBB31_3215:
                                        ; implicit-def: $vgpr46_vgpr47
.LBB31_3216:
	s_and_b32 vcc_lo, exec_lo, s8
	s_mov_b32 s8, 0
	s_cbranch_vccz .LBB31_3218
; %bb.3217:
	s_cmp_lg_u32 s0, 11
	s_mov_b32 s8, -1
	s_cselect_b32 s1, -1, 0
.LBB31_3218:
	s_delay_alu instid0(SALU_CYCLE_1)
	s_and_b32 vcc_lo, exec_lo, s1
	s_cbranch_vccnz .LBB31_3281
; %bb.3219:
	s_and_not1_b32 vcc_lo, exec_lo, s8
	s_cbranch_vccnz .LBB31_3221
.LBB31_3220:
	global_load_u8 v1, v[48:49], off
	s_mov_b32 s0, 0
	s_mov_b32 s9, -1
	s_wait_loadcnt 0x1
	s_wait_xcnt 0x1
	v_mov_b32_e32 v47, s0
	s_wait_loadcnt 0x0
	v_cmp_ne_u16_e32 vcc_lo, 0, v1
	v_cndmask_b32_e64 v46, 0, 1, vcc_lo
.LBB31_3221:
	s_branch .LBB31_3152
.LBB31_3222:
	s_and_b32 s0, 0xffff, s47
	s_delay_alu instid0(SALU_CYCLE_1)
	s_cmp_lt_i32 s0, 5
	s_cbranch_scc1 .LBB31_3227
; %bb.3223:
	s_cmp_lt_i32 s0, 8
	s_cbranch_scc1 .LBB31_3228
; %bb.3224:
	;; [unrolled: 3-line block ×3, first 2 shown]
	s_cmp_gt_i32 s0, 9
	s_cbranch_scc0 .LBB31_3230
; %bb.3226:
	s_wait_loadcnt 0x0
	global_load_b64 v[46:47], v[48:49], off
	s_mov_b32 s1, 0
	s_wait_loadcnt 0x0
	v_trunc_f64_e32 v[46:47], v[46:47]
	s_delay_alu instid0(VALU_DEP_1) | instskip(NEXT) | instid1(VALU_DEP_1)
	v_ldexp_f64 v[50:51], v[46:47], 0xffffffe0
	v_floor_f64_e32 v[50:51], v[50:51]
	s_delay_alu instid0(VALU_DEP_1) | instskip(SKIP_1) | instid1(VALU_DEP_2)
	v_fmamk_f64 v[52:53], v[50:51], 0xc1f00000, v[46:47]
	v_cvt_i32_f64_e32 v47, v[50:51]
	v_cvt_u32_f64_e32 v46, v[52:53]
	s_branch .LBB31_3231
.LBB31_3227:
	s_mov_b32 s1, -1
                                        ; implicit-def: $vgpr46_vgpr47
	s_branch .LBB31_3249
.LBB31_3228:
	s_mov_b32 s1, -1
                                        ; implicit-def: $vgpr46_vgpr47
	s_branch .LBB31_3237
.LBB31_3229:
	s_mov_b32 s1, -1
                                        ; implicit-def: $vgpr46_vgpr47
	s_branch .LBB31_3234
.LBB31_3230:
	s_mov_b32 s1, -1
                                        ; implicit-def: $vgpr46_vgpr47
.LBB31_3231:
	s_delay_alu instid0(SALU_CYCLE_1)
	s_and_not1_b32 vcc_lo, exec_lo, s1
	s_cbranch_vccnz .LBB31_3233
; %bb.3232:
	global_load_b32 v1, v[48:49], off
	s_wait_loadcnt 0x0
	v_trunc_f32_e32 v1, v1
	s_delay_alu instid0(VALU_DEP_1) | instskip(SKIP_1) | instid1(VALU_DEP_2)
	v_mul_f32_e64 v3, 0x2f800000, |v1|
	v_ashrrev_i32_e32 v46, 31, v1
	v_floor_f32_e32 v3, v3
	s_delay_alu instid0(VALU_DEP_1) | instskip(SKIP_3) | instid1(VALU_DEP_3)
	v_fma_f32 v5, 0xcf800000, v3, |v1|
	v_cvt_u32_f32_e32 v1, v3
	s_wait_xcnt 0x1
	v_mov_b32_e32 v47, v46
	v_cvt_u32_f32_e32 v3, v5
	s_delay_alu instid0(VALU_DEP_3) | instskip(NEXT) | instid1(VALU_DEP_2)
	v_xor_b32_e32 v51, v1, v46
	v_xor_b32_e32 v50, v3, v46
	s_delay_alu instid0(VALU_DEP_1)
	v_sub_nc_u64_e32 v[46:47], v[50:51], v[46:47]
.LBB31_3233:
	s_mov_b32 s1, 0
.LBB31_3234:
	s_delay_alu instid0(SALU_CYCLE_1)
	s_and_not1_b32 vcc_lo, exec_lo, s1
	s_cbranch_vccnz .LBB31_3236
; %bb.3235:
	global_load_b32 v1, v[48:49], off
	s_wait_loadcnt 0x0
	v_cvt_f32_f16_e32 v1, v1
	s_delay_alu instid0(VALU_DEP_1) | instskip(SKIP_1) | instid1(VALU_DEP_1)
	v_cvt_i32_f32_e32 v46, v1
	s_wait_xcnt 0x1
	v_ashrrev_i32_e32 v47, 31, v46
.LBB31_3236:
	s_mov_b32 s1, 0
.LBB31_3237:
	s_delay_alu instid0(SALU_CYCLE_1)
	s_and_not1_b32 vcc_lo, exec_lo, s1
	s_cbranch_vccnz .LBB31_3248
; %bb.3238:
	s_cmp_lt_i32 s0, 6
	s_cbranch_scc1 .LBB31_3241
; %bb.3239:
	s_cmp_gt_i32 s0, 6
	s_cbranch_scc0 .LBB31_3242
; %bb.3240:
	s_wait_loadcnt 0x0
	global_load_b64 v[46:47], v[48:49], off
	s_mov_b32 s1, 0
	s_wait_loadcnt 0x0
	v_trunc_f64_e32 v[46:47], v[46:47]
	s_delay_alu instid0(VALU_DEP_1) | instskip(NEXT) | instid1(VALU_DEP_1)
	v_ldexp_f64 v[50:51], v[46:47], 0xffffffe0
	v_floor_f64_e32 v[50:51], v[50:51]
	s_delay_alu instid0(VALU_DEP_1) | instskip(SKIP_1) | instid1(VALU_DEP_2)
	v_fmamk_f64 v[52:53], v[50:51], 0xc1f00000, v[46:47]
	v_cvt_i32_f64_e32 v47, v[50:51]
	v_cvt_u32_f64_e32 v46, v[52:53]
	s_branch .LBB31_3243
.LBB31_3241:
	s_mov_b32 s1, -1
                                        ; implicit-def: $vgpr46_vgpr47
	s_branch .LBB31_3246
.LBB31_3242:
	s_mov_b32 s1, -1
                                        ; implicit-def: $vgpr46_vgpr47
.LBB31_3243:
	s_delay_alu instid0(SALU_CYCLE_1)
	s_and_not1_b32 vcc_lo, exec_lo, s1
	s_cbranch_vccnz .LBB31_3245
; %bb.3244:
	global_load_b32 v1, v[48:49], off
	s_wait_loadcnt 0x0
	v_trunc_f32_e32 v1, v1
	s_delay_alu instid0(VALU_DEP_1) | instskip(SKIP_1) | instid1(VALU_DEP_2)
	v_mul_f32_e64 v3, 0x2f800000, |v1|
	v_ashrrev_i32_e32 v46, 31, v1
	v_floor_f32_e32 v3, v3
	s_delay_alu instid0(VALU_DEP_1) | instskip(SKIP_3) | instid1(VALU_DEP_3)
	v_fma_f32 v5, 0xcf800000, v3, |v1|
	v_cvt_u32_f32_e32 v1, v3
	s_wait_xcnt 0x1
	v_mov_b32_e32 v47, v46
	v_cvt_u32_f32_e32 v3, v5
	s_delay_alu instid0(VALU_DEP_3) | instskip(NEXT) | instid1(VALU_DEP_2)
	v_xor_b32_e32 v51, v1, v46
	v_xor_b32_e32 v50, v3, v46
	s_delay_alu instid0(VALU_DEP_1)
	v_sub_nc_u64_e32 v[46:47], v[50:51], v[46:47]
.LBB31_3245:
	s_mov_b32 s1, 0
.LBB31_3246:
	s_delay_alu instid0(SALU_CYCLE_1)
	s_and_not1_b32 vcc_lo, exec_lo, s1
	s_cbranch_vccnz .LBB31_3248
; %bb.3247:
	global_load_u16 v1, v[48:49], off
	s_wait_loadcnt 0x0
	v_cvt_f32_f16_e32 v1, v1
	s_delay_alu instid0(VALU_DEP_1) | instskip(SKIP_1) | instid1(VALU_DEP_1)
	v_cvt_i32_f32_e32 v46, v1
	s_wait_xcnt 0x1
	v_ashrrev_i32_e32 v47, 31, v46
.LBB31_3248:
	s_mov_b32 s1, 0
.LBB31_3249:
	s_delay_alu instid0(SALU_CYCLE_1)
	s_and_not1_b32 vcc_lo, exec_lo, s1
	s_cbranch_vccnz .LBB31_3269
; %bb.3250:
	s_cmp_lt_i32 s0, 2
	s_cbranch_scc1 .LBB31_3254
; %bb.3251:
	s_cmp_lt_i32 s0, 3
	s_cbranch_scc1 .LBB31_3255
; %bb.3252:
	s_cmp_gt_i32 s0, 3
	s_cbranch_scc0 .LBB31_3256
; %bb.3253:
	s_wait_loadcnt 0x0
	global_load_b64 v[46:47], v[48:49], off
	s_mov_b32 s1, 0
	s_branch .LBB31_3257
.LBB31_3254:
	s_mov_b32 s1, -1
                                        ; implicit-def: $vgpr46_vgpr47
	s_branch .LBB31_3263
.LBB31_3255:
	s_mov_b32 s1, -1
                                        ; implicit-def: $vgpr46_vgpr47
	s_branch .LBB31_3260
.LBB31_3256:
	s_mov_b32 s1, -1
                                        ; implicit-def: $vgpr46_vgpr47
.LBB31_3257:
	s_delay_alu instid0(SALU_CYCLE_1)
	s_and_not1_b32 vcc_lo, exec_lo, s1
	s_cbranch_vccnz .LBB31_3259
; %bb.3258:
	s_wait_loadcnt 0x0
	global_load_b32 v46, v[48:49], off
	s_wait_loadcnt 0x0
	s_wait_xcnt 0x1
	v_ashrrev_i32_e32 v47, 31, v46
.LBB31_3259:
	s_mov_b32 s1, 0
.LBB31_3260:
	s_delay_alu instid0(SALU_CYCLE_1)
	s_and_not1_b32 vcc_lo, exec_lo, s1
	s_cbranch_vccnz .LBB31_3262
; %bb.3261:
	global_load_u16 v1, v[48:49], off
	s_wait_loadcnt 0x0
	v_bfe_i32 v46, v1, 0, 16
	s_wait_xcnt 0x1
	s_delay_alu instid0(VALU_DEP_1)
	v_ashrrev_i32_e32 v47, 31, v46
.LBB31_3262:
	s_mov_b32 s1, 0
.LBB31_3263:
	s_delay_alu instid0(SALU_CYCLE_1)
	s_and_not1_b32 vcc_lo, exec_lo, s1
	s_cbranch_vccnz .LBB31_3269
; %bb.3264:
	s_cmp_gt_i32 s0, 0
	s_mov_b32 s0, 0
	s_cbranch_scc0 .LBB31_3266
; %bb.3265:
	global_load_i8 v1, v[48:49], off
	s_wait_loadcnt 0x0
	v_bfe_i32 v46, v1, 0, 16
	s_wait_xcnt 0x1
	s_delay_alu instid0(VALU_DEP_1)
	v_ashrrev_i32_e32 v47, 31, v46
	s_branch .LBB31_3267
.LBB31_3266:
	s_mov_b32 s0, -1
                                        ; implicit-def: $vgpr46_vgpr47
.LBB31_3267:
	s_delay_alu instid0(SALU_CYCLE_1)
	s_and_not1_b32 vcc_lo, exec_lo, s0
	s_cbranch_vccnz .LBB31_3269
; %bb.3268:
	global_load_u8 v1, v[48:49], off
	s_mov_b32 s0, 0
	s_wait_loadcnt 0x1
	s_wait_xcnt 0x1
	v_mov_b32_e32 v47, s0
	s_wait_loadcnt 0x0
	v_and_b32_e32 v46, 0xffff, v1
.LBB31_3269:
.LBB31_3270:
	s_clause 0x1
	s_load_b64 s[14:15], s[2:3], 0x268
	s_load_b32 s0, s[2:3], 0x324
	v_mov_b32_e32 v45, 0
	s_wait_kmcnt 0x0
	s_delay_alu instid0(VALU_DEP_1) | instskip(SKIP_1) | instid1(SALU_CYCLE_1)
	v_add_nc_u64_e32 v[48:49], s[14:15], v[44:45]
	s_and_b32 s48, s0, 0xff
	s_cmp_lt_i32 s48, 11
	s_cbranch_scc1 .LBB31_3277
; %bb.3271:
	s_and_b32 s0, 0xffff, s48
	s_mov_b32 s8, 0
	s_cmp_gt_i32 s0, 25
	s_cbranch_scc0 .LBB31_3278
; %bb.3272:
	s_cmp_gt_i32 s0, 28
	s_cbranch_scc0 .LBB31_3279
; %bb.3273:
	;; [unrolled: 3-line block ×4, first 2 shown]
	s_cmp_eq_u32 s0, 46
	s_mov_b32 s16, 0
	s_cbranch_scc0 .LBB31_3283
; %bb.3276:
	global_load_b32 v1, v[48:49], off
	s_mov_b32 s1, 0
	s_mov_b32 s9, -1
	s_wait_loadcnt 0x0
	v_lshlrev_b32_e32 v1, 16, v1
	s_delay_alu instid0(VALU_DEP_1) | instskip(NEXT) | instid1(VALU_DEP_1)
	v_trunc_f32_e32 v1, v1
	v_mul_f32_e64 v3, 0x2f800000, |v1|
	v_ashrrev_i32_e32 v44, 31, v1
	s_delay_alu instid0(VALU_DEP_2) | instskip(NEXT) | instid1(VALU_DEP_2)
	v_floor_f32_e32 v3, v3
	v_mov_b32_e32 v45, v44
	s_delay_alu instid0(VALU_DEP_2) | instskip(SKIP_1) | instid1(VALU_DEP_2)
	v_fma_f32 v5, 0xcf800000, v3, |v1|
	v_cvt_u32_f32_e32 v1, v3
	v_cvt_u32_f32_e32 v3, v5
	s_delay_alu instid0(VALU_DEP_2) | instskip(NEXT) | instid1(VALU_DEP_2)
	v_xor_b32_e32 v51, v1, v44
	v_xor_b32_e32 v50, v3, v44
	s_delay_alu instid0(VALU_DEP_1)
	v_sub_nc_u64_e32 v[44:45], v[50:51], v[44:45]
	s_branch .LBB31_3285
.LBB31_3277:
	s_mov_b32 s0, -1
	s_mov_b32 s9, 0
                                        ; implicit-def: $vgpr44_vgpr45
	s_branch .LBB31_3347
.LBB31_3278:
	s_mov_b32 s16, -1
	s_mov_b32 s9, 0
	s_mov_b32 s1, 0
                                        ; implicit-def: $vgpr44_vgpr45
	s_branch .LBB31_3312
.LBB31_3279:
	s_mov_b32 s16, -1
	s_mov_b32 s9, 0
	s_mov_b32 s1, 0
                                        ; implicit-def: $vgpr44_vgpr45
	s_branch .LBB31_3295
.LBB31_3280:
	s_mov_b32 s16, -1
	s_mov_b32 s9, 0
	s_mov_b32 s1, 0
                                        ; implicit-def: $vgpr44_vgpr45
	s_branch .LBB31_3290
.LBB31_3281:
	s_or_b32 s33, s33, exec_lo
	s_trap 2
	s_cbranch_execz .LBB31_3220
	s_branch .LBB31_3221
.LBB31_3282:
	s_mov_b32 s16, -1
	s_mov_b32 s9, 0
	s_mov_b32 s1, 0
	s_branch .LBB31_3284
.LBB31_3283:
	s_mov_b32 s1, -1
	s_mov_b32 s9, 0
.LBB31_3284:
                                        ; implicit-def: $vgpr44_vgpr45
.LBB31_3285:
	s_and_b32 vcc_lo, exec_lo, s16
	s_cbranch_vccz .LBB31_3289
; %bb.3286:
	s_cmp_eq_u32 s0, 44
	s_cbranch_scc0 .LBB31_3288
; %bb.3287:
	global_load_u8 v1, v[48:49], off
	s_mov_b32 s1, 0
	s_mov_b32 s9, -1
	s_wait_loadcnt 0x0
	v_lshlrev_b32_e32 v3, 23, v1
	v_cmp_ne_u32_e32 vcc_lo, 0, v1
	s_delay_alu instid0(VALU_DEP_2) | instskip(NEXT) | instid1(VALU_DEP_1)
	v_trunc_f32_e32 v3, v3
	v_mul_f32_e64 v5, 0x2f800000, |v3|
	v_ashrrev_i32_e32 v44, 31, v3
	s_delay_alu instid0(VALU_DEP_2) | instskip(NEXT) | instid1(VALU_DEP_2)
	v_floor_f32_e32 v5, v5
	v_mov_b32_e32 v45, v44
	s_delay_alu instid0(VALU_DEP_2) | instskip(SKIP_1) | instid1(VALU_DEP_2)
	v_fma_f32 v7, 0xcf800000, v5, |v3|
	v_cvt_u32_f32_e32 v3, v5
	v_cvt_u32_f32_e32 v5, v7
	s_delay_alu instid0(VALU_DEP_2) | instskip(NEXT) | instid1(VALU_DEP_2)
	v_xor_b32_e32 v51, v3, v44
	v_xor_b32_e32 v50, v5, v44
	s_delay_alu instid0(VALU_DEP_1) | instskip(NEXT) | instid1(VALU_DEP_1)
	v_sub_nc_u64_e32 v[44:45], v[50:51], v[44:45]
	v_dual_cndmask_b32 v45, 0, v45 :: v_dual_cndmask_b32 v44, 0, v44
	s_branch .LBB31_3289
.LBB31_3288:
	s_mov_b32 s1, -1
                                        ; implicit-def: $vgpr44_vgpr45
.LBB31_3289:
	s_mov_b32 s16, 0
.LBB31_3290:
	s_delay_alu instid0(SALU_CYCLE_1)
	s_and_b32 vcc_lo, exec_lo, s16
	s_cbranch_vccz .LBB31_3294
; %bb.3291:
	s_cmp_eq_u32 s0, 29
	s_cbranch_scc0 .LBB31_3293
; %bb.3292:
	global_load_b64 v[44:45], v[48:49], off
	s_mov_b32 s1, 0
	s_mov_b32 s9, -1
	s_branch .LBB31_3294
.LBB31_3293:
	s_mov_b32 s1, -1
                                        ; implicit-def: $vgpr44_vgpr45
.LBB31_3294:
	s_mov_b32 s16, 0
.LBB31_3295:
	s_delay_alu instid0(SALU_CYCLE_1)
	s_and_b32 vcc_lo, exec_lo, s16
	s_cbranch_vccz .LBB31_3311
; %bb.3296:
	s_cmp_lt_i32 s0, 27
	s_cbranch_scc1 .LBB31_3299
; %bb.3297:
	s_cmp_gt_i32 s0, 27
	s_cbranch_scc0 .LBB31_3300
; %bb.3298:
	s_wait_loadcnt 0x0
	global_load_b32 v44, v[48:49], off
	v_mov_b32_e32 v45, 0
	s_mov_b32 s9, 0
	s_branch .LBB31_3301
.LBB31_3299:
	s_mov_b32 s9, -1
                                        ; implicit-def: $vgpr44_vgpr45
	s_branch .LBB31_3304
.LBB31_3300:
	s_mov_b32 s9, -1
                                        ; implicit-def: $vgpr44_vgpr45
.LBB31_3301:
	s_delay_alu instid0(SALU_CYCLE_1)
	s_and_not1_b32 vcc_lo, exec_lo, s9
	s_cbranch_vccnz .LBB31_3303
; %bb.3302:
	global_load_u16 v1, v[48:49], off
	s_mov_b32 s9, 0
	s_wait_loadcnt 0x1
	v_mov_b32_e32 v45, s9
	s_wait_loadcnt 0x0
	v_and_b32_e32 v44, 0xffff, v1
.LBB31_3303:
	s_mov_b32 s9, 0
.LBB31_3304:
	s_delay_alu instid0(SALU_CYCLE_1)
	s_and_not1_b32 vcc_lo, exec_lo, s9
	s_cbranch_vccnz .LBB31_3310
; %bb.3305:
	global_load_u8 v1, v[48:49], off
	s_mov_b32 s16, 0
	s_mov_b32 s9, exec_lo
	s_wait_loadcnt 0x0
	v_cmpx_lt_i16_e32 0x7f, v1
	s_xor_b32 s9, exec_lo, s9
	s_cbranch_execz .LBB31_3322
; %bb.3306:
	v_cmp_ne_u16_e32 vcc_lo, 0x80, v1
	s_and_b32 s16, vcc_lo, exec_lo
	s_and_not1_saveexec_b32 s9, s9
	s_cbranch_execnz .LBB31_3323
.LBB31_3307:
	s_or_b32 exec_lo, exec_lo, s9
	v_mov_b64_e32 v[44:45], 0
	s_and_saveexec_b32 s9, s16
	s_cbranch_execz .LBB31_3309
.LBB31_3308:
	v_and_b32_e32 v3, 0xffff, v1
	s_delay_alu instid0(VALU_DEP_1) | instskip(SKIP_1) | instid1(VALU_DEP_2)
	v_dual_lshlrev_b32 v1, 24, v1 :: v_dual_bitop2_b32 v5, 7, v3 bitop3:0x40
	v_bfe_u32 v15, v3, 3, 4
	v_and_b32_e32 v1, 0x80000000, v1
	s_delay_alu instid0(VALU_DEP_3) | instskip(NEXT) | instid1(VALU_DEP_3)
	v_clz_i32_u32_e32 v7, v5
	v_cmp_eq_u32_e32 vcc_lo, 0, v15
	s_delay_alu instid0(VALU_DEP_2) | instskip(NEXT) | instid1(VALU_DEP_1)
	v_min_u32_e32 v7, 32, v7
	v_subrev_nc_u32_e32 v11, 28, v7
	v_sub_nc_u32_e32 v7, 29, v7
	s_delay_alu instid0(VALU_DEP_2) | instskip(NEXT) | instid1(VALU_DEP_2)
	v_lshlrev_b32_e32 v3, v11, v3
	v_cndmask_b32_e32 v7, v15, v7, vcc_lo
	s_delay_alu instid0(VALU_DEP_2) | instskip(NEXT) | instid1(VALU_DEP_1)
	v_and_b32_e32 v3, 7, v3
	v_cndmask_b32_e32 v3, v5, v3, vcc_lo
	s_delay_alu instid0(VALU_DEP_3) | instskip(NEXT) | instid1(VALU_DEP_2)
	v_lshl_add_u32 v5, v7, 23, 0x3b800000
	v_lshlrev_b32_e32 v3, 20, v3
	s_delay_alu instid0(VALU_DEP_1) | instskip(NEXT) | instid1(VALU_DEP_1)
	v_or3_b32 v1, v1, v5, v3
	v_trunc_f32_e32 v1, v1
	s_delay_alu instid0(VALU_DEP_1) | instskip(SKIP_1) | instid1(VALU_DEP_2)
	v_mul_f32_e64 v3, 0x2f800000, |v1|
	v_ashrrev_i32_e32 v44, 31, v1
	v_floor_f32_e32 v3, v3
	s_delay_alu instid0(VALU_DEP_2) | instskip(NEXT) | instid1(VALU_DEP_2)
	v_mov_b32_e32 v45, v44
	v_fma_f32 v5, 0xcf800000, v3, |v1|
	v_cvt_u32_f32_e32 v1, v3
	s_delay_alu instid0(VALU_DEP_2) | instskip(NEXT) | instid1(VALU_DEP_2)
	v_cvt_u32_f32_e32 v3, v5
	v_xor_b32_e32 v51, v1, v44
	s_delay_alu instid0(VALU_DEP_2) | instskip(NEXT) | instid1(VALU_DEP_1)
	v_xor_b32_e32 v50, v3, v44
	v_sub_nc_u64_e32 v[44:45], v[50:51], v[44:45]
.LBB31_3309:
	s_or_b32 exec_lo, exec_lo, s9
.LBB31_3310:
	s_mov_b32 s9, -1
.LBB31_3311:
	s_mov_b32 s16, 0
.LBB31_3312:
	s_delay_alu instid0(SALU_CYCLE_1)
	s_and_b32 vcc_lo, exec_lo, s16
	s_cbranch_vccz .LBB31_3343
; %bb.3313:
	s_cmp_gt_i32 s0, 22
	s_cbranch_scc0 .LBB31_3321
; %bb.3314:
	s_cmp_lt_i32 s0, 24
	s_cbranch_scc1 .LBB31_3324
; %bb.3315:
	s_cmp_gt_i32 s0, 24
	s_cbranch_scc0 .LBB31_3325
; %bb.3316:
	global_load_u8 v1, v[48:49], off
	s_mov_b32 s9, 0
	s_mov_b32 s8, exec_lo
	s_wait_loadcnt 0x0
	v_cmpx_lt_i16_e32 0x7f, v1
	s_xor_b32 s8, exec_lo, s8
	s_cbranch_execz .LBB31_3337
; %bb.3317:
	v_cmp_ne_u16_e32 vcc_lo, 0x80, v1
	s_and_b32 s9, vcc_lo, exec_lo
	s_and_not1_saveexec_b32 s8, s8
	s_cbranch_execnz .LBB31_3338
.LBB31_3318:
	s_or_b32 exec_lo, exec_lo, s8
	v_mov_b64_e32 v[44:45], 0
	s_and_saveexec_b32 s8, s9
	s_cbranch_execz .LBB31_3320
.LBB31_3319:
	v_and_b32_e32 v3, 0xffff, v1
	s_delay_alu instid0(VALU_DEP_1) | instskip(SKIP_1) | instid1(VALU_DEP_2)
	v_dual_lshlrev_b32 v1, 24, v1 :: v_dual_bitop2_b32 v5, 3, v3 bitop3:0x40
	v_bfe_u32 v15, v3, 2, 5
	v_and_b32_e32 v1, 0x80000000, v1
	s_delay_alu instid0(VALU_DEP_3) | instskip(NEXT) | instid1(VALU_DEP_3)
	v_clz_i32_u32_e32 v7, v5
	v_cmp_eq_u32_e32 vcc_lo, 0, v15
	s_delay_alu instid0(VALU_DEP_2) | instskip(NEXT) | instid1(VALU_DEP_1)
	v_min_u32_e32 v7, 32, v7
	v_subrev_nc_u32_e32 v11, 29, v7
	v_sub_nc_u32_e32 v7, 30, v7
	s_delay_alu instid0(VALU_DEP_2) | instskip(NEXT) | instid1(VALU_DEP_2)
	v_lshlrev_b32_e32 v3, v11, v3
	v_cndmask_b32_e32 v7, v15, v7, vcc_lo
	s_delay_alu instid0(VALU_DEP_2) | instskip(NEXT) | instid1(VALU_DEP_1)
	v_and_b32_e32 v3, 3, v3
	v_cndmask_b32_e32 v3, v5, v3, vcc_lo
	s_delay_alu instid0(VALU_DEP_3) | instskip(NEXT) | instid1(VALU_DEP_2)
	v_lshl_add_u32 v5, v7, 23, 0x37800000
	v_lshlrev_b32_e32 v3, 21, v3
	s_delay_alu instid0(VALU_DEP_1) | instskip(NEXT) | instid1(VALU_DEP_1)
	v_or3_b32 v1, v1, v5, v3
	v_trunc_f32_e32 v1, v1
	s_delay_alu instid0(VALU_DEP_1) | instskip(SKIP_1) | instid1(VALU_DEP_2)
	v_mul_f32_e64 v3, 0x2f800000, |v1|
	v_ashrrev_i32_e32 v44, 31, v1
	v_floor_f32_e32 v3, v3
	s_delay_alu instid0(VALU_DEP_2) | instskip(NEXT) | instid1(VALU_DEP_2)
	v_mov_b32_e32 v45, v44
	v_fma_f32 v5, 0xcf800000, v3, |v1|
	v_cvt_u32_f32_e32 v1, v3
	s_delay_alu instid0(VALU_DEP_2) | instskip(NEXT) | instid1(VALU_DEP_2)
	v_cvt_u32_f32_e32 v3, v5
	v_xor_b32_e32 v51, v1, v44
	s_delay_alu instid0(VALU_DEP_2) | instskip(NEXT) | instid1(VALU_DEP_1)
	v_xor_b32_e32 v50, v3, v44
	v_sub_nc_u64_e32 v[44:45], v[50:51], v[44:45]
.LBB31_3320:
	s_or_b32 exec_lo, exec_lo, s8
	s_mov_b32 s8, 0
	s_branch .LBB31_3326
.LBB31_3321:
	s_mov_b32 s8, -1
                                        ; implicit-def: $vgpr44_vgpr45
	s_branch .LBB31_3332
.LBB31_3322:
	s_and_not1_saveexec_b32 s9, s9
	s_cbranch_execz .LBB31_3307
.LBB31_3323:
	v_cmp_ne_u16_e32 vcc_lo, 0, v1
	s_and_not1_b32 s16, s16, exec_lo
	s_and_b32 s17, vcc_lo, exec_lo
	s_delay_alu instid0(SALU_CYCLE_1)
	s_or_b32 s16, s16, s17
	s_or_b32 exec_lo, exec_lo, s9
	v_mov_b64_e32 v[44:45], 0
	s_and_saveexec_b32 s9, s16
	s_cbranch_execnz .LBB31_3308
	s_branch .LBB31_3309
.LBB31_3324:
	s_mov_b32 s8, -1
                                        ; implicit-def: $vgpr44_vgpr45
	s_branch .LBB31_3329
.LBB31_3325:
	s_mov_b32 s8, -1
                                        ; implicit-def: $vgpr44_vgpr45
.LBB31_3326:
	s_delay_alu instid0(SALU_CYCLE_1)
	s_and_b32 vcc_lo, exec_lo, s8
	s_cbranch_vccz .LBB31_3328
; %bb.3327:
	global_load_u8 v1, v[48:49], off
	s_wait_loadcnt 0x0
	v_lshlrev_b32_e32 v1, 24, v1
	s_delay_alu instid0(VALU_DEP_1) | instskip(NEXT) | instid1(VALU_DEP_1)
	v_and_b32_e32 v3, 0x7f000000, v1
	v_clz_i32_u32_e32 v5, v3
	v_add_nc_u32_e32 v11, 0x1000000, v3
	v_cmp_ne_u32_e32 vcc_lo, 0, v3
	s_delay_alu instid0(VALU_DEP_3) | instskip(NEXT) | instid1(VALU_DEP_1)
	v_min_u32_e32 v5, 32, v5
	v_sub_nc_u32_e64 v5, v5, 4 clamp
	s_delay_alu instid0(VALU_DEP_1) | instskip(NEXT) | instid1(VALU_DEP_1)
	v_dual_lshlrev_b32 v7, v5, v3 :: v_dual_lshlrev_b32 v5, 23, v5
	v_lshrrev_b32_e32 v7, 4, v7
	s_delay_alu instid0(VALU_DEP_1) | instskip(NEXT) | instid1(VALU_DEP_1)
	v_dual_sub_nc_u32 v5, v7, v5 :: v_dual_ashrrev_i32 v7, 8, v11
	v_add_nc_u32_e32 v5, 0x3c000000, v5
	s_delay_alu instid0(VALU_DEP_1) | instskip(NEXT) | instid1(VALU_DEP_1)
	v_and_or_b32 v5, 0x7f800000, v7, v5
	v_cndmask_b32_e32 v3, 0, v5, vcc_lo
	s_delay_alu instid0(VALU_DEP_1) | instskip(NEXT) | instid1(VALU_DEP_1)
	v_and_or_b32 v1, 0x80000000, v1, v3
	v_trunc_f32_e32 v1, v1
	s_delay_alu instid0(VALU_DEP_1) | instskip(SKIP_1) | instid1(VALU_DEP_2)
	v_mul_f32_e64 v3, 0x2f800000, |v1|
	v_ashrrev_i32_e32 v44, 31, v1
	v_floor_f32_e32 v3, v3
	s_delay_alu instid0(VALU_DEP_2) | instskip(NEXT) | instid1(VALU_DEP_2)
	v_mov_b32_e32 v45, v44
	v_fma_f32 v5, 0xcf800000, v3, |v1|
	v_cvt_u32_f32_e32 v1, v3
	s_delay_alu instid0(VALU_DEP_2) | instskip(NEXT) | instid1(VALU_DEP_2)
	v_cvt_u32_f32_e32 v3, v5
	v_xor_b32_e32 v51, v1, v44
	s_delay_alu instid0(VALU_DEP_2) | instskip(NEXT) | instid1(VALU_DEP_1)
	v_xor_b32_e32 v50, v3, v44
	v_sub_nc_u64_e32 v[44:45], v[50:51], v[44:45]
.LBB31_3328:
	s_mov_b32 s8, 0
.LBB31_3329:
	s_delay_alu instid0(SALU_CYCLE_1)
	s_and_not1_b32 vcc_lo, exec_lo, s8
	s_cbranch_vccnz .LBB31_3331
; %bb.3330:
	global_load_u8 v1, v[48:49], off
	s_wait_loadcnt 0x0
	v_lshlrev_b32_e32 v3, 25, v1
	v_lshlrev_b16 v1, 8, v1
	s_delay_alu instid0(VALU_DEP_1) | instskip(SKIP_1) | instid1(VALU_DEP_2)
	v_and_or_b32 v7, 0x7f00, v1, 0.5
	v_bfe_i32 v1, v1, 0, 16
	v_add_f32_e32 v7, -0.5, v7
	v_lshrrev_b32_e32 v5, 4, v3
	v_cmp_gt_u32_e32 vcc_lo, 0x8000000, v3
	s_delay_alu instid0(VALU_DEP_2) | instskip(NEXT) | instid1(VALU_DEP_1)
	v_or_b32_e32 v5, 0x70000000, v5
	v_mul_f32_e32 v5, 0x7800000, v5
	s_delay_alu instid0(VALU_DEP_1) | instskip(NEXT) | instid1(VALU_DEP_1)
	v_cndmask_b32_e32 v3, v5, v7, vcc_lo
	v_and_or_b32 v1, 0x80000000, v1, v3
	s_delay_alu instid0(VALU_DEP_1) | instskip(NEXT) | instid1(VALU_DEP_1)
	v_trunc_f32_e32 v1, v1
	v_mul_f32_e64 v3, 0x2f800000, |v1|
	v_ashrrev_i32_e32 v44, 31, v1
	s_delay_alu instid0(VALU_DEP_2) | instskip(NEXT) | instid1(VALU_DEP_2)
	v_floor_f32_e32 v3, v3
	v_mov_b32_e32 v45, v44
	s_delay_alu instid0(VALU_DEP_2) | instskip(SKIP_1) | instid1(VALU_DEP_2)
	v_fma_f32 v5, 0xcf800000, v3, |v1|
	v_cvt_u32_f32_e32 v1, v3
	v_cvt_u32_f32_e32 v3, v5
	s_delay_alu instid0(VALU_DEP_2) | instskip(NEXT) | instid1(VALU_DEP_2)
	v_xor_b32_e32 v51, v1, v44
	v_xor_b32_e32 v50, v3, v44
	s_delay_alu instid0(VALU_DEP_1)
	v_sub_nc_u64_e32 v[44:45], v[50:51], v[44:45]
.LBB31_3331:
	s_mov_b32 s8, 0
	s_mov_b32 s9, -1
.LBB31_3332:
	s_and_not1_b32 vcc_lo, exec_lo, s8
	s_mov_b32 s8, 0
	s_cbranch_vccnz .LBB31_3343
; %bb.3333:
	s_cmp_gt_i32 s0, 14
	s_cbranch_scc0 .LBB31_3336
; %bb.3334:
	s_cmp_eq_u32 s0, 15
	s_cbranch_scc0 .LBB31_3339
; %bb.3335:
	global_load_u16 v1, v[48:49], off
	s_mov_b32 s1, 0
	s_mov_b32 s9, -1
	s_wait_loadcnt 0x0
	v_lshlrev_b32_e32 v1, 16, v1
	s_delay_alu instid0(VALU_DEP_1) | instskip(NEXT) | instid1(VALU_DEP_1)
	v_trunc_f32_e32 v1, v1
	v_mul_f32_e64 v3, 0x2f800000, |v1|
	v_ashrrev_i32_e32 v44, 31, v1
	s_delay_alu instid0(VALU_DEP_2) | instskip(NEXT) | instid1(VALU_DEP_2)
	v_floor_f32_e32 v3, v3
	v_mov_b32_e32 v45, v44
	s_delay_alu instid0(VALU_DEP_2) | instskip(SKIP_1) | instid1(VALU_DEP_2)
	v_fma_f32 v5, 0xcf800000, v3, |v1|
	v_cvt_u32_f32_e32 v1, v3
	v_cvt_u32_f32_e32 v3, v5
	s_delay_alu instid0(VALU_DEP_2) | instskip(NEXT) | instid1(VALU_DEP_2)
	v_xor_b32_e32 v51, v1, v44
	v_xor_b32_e32 v50, v3, v44
	s_delay_alu instid0(VALU_DEP_1)
	v_sub_nc_u64_e32 v[44:45], v[50:51], v[44:45]
	s_branch .LBB31_3341
.LBB31_3336:
	s_mov_b32 s8, -1
	s_branch .LBB31_3340
.LBB31_3337:
	s_and_not1_saveexec_b32 s8, s8
	s_cbranch_execz .LBB31_3318
.LBB31_3338:
	v_cmp_ne_u16_e32 vcc_lo, 0, v1
	s_and_not1_b32 s9, s9, exec_lo
	s_and_b32 s16, vcc_lo, exec_lo
	s_delay_alu instid0(SALU_CYCLE_1)
	s_or_b32 s9, s9, s16
	s_or_b32 exec_lo, exec_lo, s8
	v_mov_b64_e32 v[44:45], 0
	s_and_saveexec_b32 s8, s9
	s_cbranch_execnz .LBB31_3319
	s_branch .LBB31_3320
.LBB31_3339:
	s_mov_b32 s1, -1
.LBB31_3340:
                                        ; implicit-def: $vgpr44_vgpr45
.LBB31_3341:
	s_and_b32 vcc_lo, exec_lo, s8
	s_mov_b32 s8, 0
	s_cbranch_vccz .LBB31_3343
; %bb.3342:
	s_cmp_lg_u32 s0, 11
	s_mov_b32 s8, -1
	s_cselect_b32 s1, -1, 0
.LBB31_3343:
	s_delay_alu instid0(SALU_CYCLE_1)
	s_and_b32 vcc_lo, exec_lo, s1
	s_cbranch_vccnz .LBB31_3408
; %bb.3344:
	s_and_not1_b32 vcc_lo, exec_lo, s8
	s_cbranch_vccnz .LBB31_3346
.LBB31_3345:
	global_load_u8 v1, v[48:49], off
	s_mov_b32 s0, 0
	s_mov_b32 s9, -1
	s_wait_loadcnt 0x1
	v_mov_b32_e32 v45, s0
	s_wait_loadcnt 0x0
	v_cmp_ne_u16_e32 vcc_lo, 0, v1
	v_cndmask_b32_e64 v44, 0, 1, vcc_lo
.LBB31_3346:
	s_mov_b32 s0, 0
.LBB31_3347:
	s_delay_alu instid0(SALU_CYCLE_1)
	s_and_b32 vcc_lo, exec_lo, s0
	s_cbranch_vccz .LBB31_3396
; %bb.3348:
	s_and_b32 s0, 0xffff, s48
	s_delay_alu instid0(SALU_CYCLE_1)
	s_cmp_lt_i32 s0, 5
	s_cbranch_scc1 .LBB31_3353
; %bb.3349:
	s_cmp_lt_i32 s0, 8
	s_cbranch_scc1 .LBB31_3354
; %bb.3350:
	;; [unrolled: 3-line block ×3, first 2 shown]
	s_cmp_gt_i32 s0, 9
	s_cbranch_scc0 .LBB31_3356
; %bb.3352:
	s_wait_loadcnt 0x0
	global_load_b64 v[44:45], v[48:49], off
	s_mov_b32 s1, 0
	s_wait_loadcnt 0x0
	v_trunc_f64_e32 v[44:45], v[44:45]
	s_delay_alu instid0(VALU_DEP_1) | instskip(NEXT) | instid1(VALU_DEP_1)
	v_ldexp_f64 v[50:51], v[44:45], 0xffffffe0
	v_floor_f64_e32 v[50:51], v[50:51]
	s_delay_alu instid0(VALU_DEP_1) | instskip(SKIP_1) | instid1(VALU_DEP_2)
	v_fmamk_f64 v[52:53], v[50:51], 0xc1f00000, v[44:45]
	v_cvt_i32_f64_e32 v45, v[50:51]
	v_cvt_u32_f64_e32 v44, v[52:53]
	s_branch .LBB31_3357
.LBB31_3353:
	s_mov_b32 s1, -1
                                        ; implicit-def: $vgpr44_vgpr45
	s_branch .LBB31_3375
.LBB31_3354:
	s_mov_b32 s1, -1
                                        ; implicit-def: $vgpr44_vgpr45
	s_branch .LBB31_3363
.LBB31_3355:
	s_mov_b32 s1, -1
                                        ; implicit-def: $vgpr44_vgpr45
	s_branch .LBB31_3360
.LBB31_3356:
	s_mov_b32 s1, -1
                                        ; implicit-def: $vgpr44_vgpr45
.LBB31_3357:
	s_delay_alu instid0(SALU_CYCLE_1)
	s_and_not1_b32 vcc_lo, exec_lo, s1
	s_cbranch_vccnz .LBB31_3359
; %bb.3358:
	global_load_b32 v1, v[48:49], off
	s_wait_loadcnt 0x0
	v_trunc_f32_e32 v1, v1
	s_delay_alu instid0(VALU_DEP_1) | instskip(SKIP_1) | instid1(VALU_DEP_2)
	v_mul_f32_e64 v3, 0x2f800000, |v1|
	v_ashrrev_i32_e32 v44, 31, v1
	v_floor_f32_e32 v3, v3
	s_delay_alu instid0(VALU_DEP_1) | instskip(SKIP_1) | instid1(VALU_DEP_4)
	v_fma_f32 v5, 0xcf800000, v3, |v1|
	v_cvt_u32_f32_e32 v1, v3
	v_mov_b32_e32 v45, v44
	s_delay_alu instid0(VALU_DEP_3) | instskip(NEXT) | instid1(VALU_DEP_3)
	v_cvt_u32_f32_e32 v3, v5
	v_xor_b32_e32 v51, v1, v44
	s_delay_alu instid0(VALU_DEP_2) | instskip(NEXT) | instid1(VALU_DEP_1)
	v_xor_b32_e32 v50, v3, v44
	v_sub_nc_u64_e32 v[44:45], v[50:51], v[44:45]
.LBB31_3359:
	s_mov_b32 s1, 0
.LBB31_3360:
	s_delay_alu instid0(SALU_CYCLE_1)
	s_and_not1_b32 vcc_lo, exec_lo, s1
	s_cbranch_vccnz .LBB31_3362
; %bb.3361:
	global_load_b32 v1, v[48:49], off
	s_wait_loadcnt 0x0
	v_cvt_f32_f16_e32 v1, v1
	s_delay_alu instid0(VALU_DEP_1) | instskip(NEXT) | instid1(VALU_DEP_1)
	v_cvt_i32_f32_e32 v44, v1
	v_ashrrev_i32_e32 v45, 31, v44
.LBB31_3362:
	s_mov_b32 s1, 0
.LBB31_3363:
	s_delay_alu instid0(SALU_CYCLE_1)
	s_and_not1_b32 vcc_lo, exec_lo, s1
	s_cbranch_vccnz .LBB31_3374
; %bb.3364:
	s_cmp_lt_i32 s0, 6
	s_cbranch_scc1 .LBB31_3367
; %bb.3365:
	s_cmp_gt_i32 s0, 6
	s_cbranch_scc0 .LBB31_3368
; %bb.3366:
	s_wait_loadcnt 0x0
	global_load_b64 v[44:45], v[48:49], off
	s_mov_b32 s1, 0
	s_wait_loadcnt 0x0
	v_trunc_f64_e32 v[44:45], v[44:45]
	s_delay_alu instid0(VALU_DEP_1) | instskip(NEXT) | instid1(VALU_DEP_1)
	v_ldexp_f64 v[50:51], v[44:45], 0xffffffe0
	v_floor_f64_e32 v[50:51], v[50:51]
	s_delay_alu instid0(VALU_DEP_1) | instskip(SKIP_1) | instid1(VALU_DEP_2)
	v_fmamk_f64 v[52:53], v[50:51], 0xc1f00000, v[44:45]
	v_cvt_i32_f64_e32 v45, v[50:51]
	v_cvt_u32_f64_e32 v44, v[52:53]
	s_branch .LBB31_3369
.LBB31_3367:
	s_mov_b32 s1, -1
                                        ; implicit-def: $vgpr44_vgpr45
	s_branch .LBB31_3372
.LBB31_3368:
	s_mov_b32 s1, -1
                                        ; implicit-def: $vgpr44_vgpr45
.LBB31_3369:
	s_delay_alu instid0(SALU_CYCLE_1)
	s_and_not1_b32 vcc_lo, exec_lo, s1
	s_cbranch_vccnz .LBB31_3371
; %bb.3370:
	global_load_b32 v1, v[48:49], off
	s_wait_loadcnt 0x0
	v_trunc_f32_e32 v1, v1
	s_delay_alu instid0(VALU_DEP_1) | instskip(SKIP_1) | instid1(VALU_DEP_2)
	v_mul_f32_e64 v3, 0x2f800000, |v1|
	v_ashrrev_i32_e32 v44, 31, v1
	v_floor_f32_e32 v3, v3
	s_delay_alu instid0(VALU_DEP_1) | instskip(SKIP_1) | instid1(VALU_DEP_4)
	v_fma_f32 v5, 0xcf800000, v3, |v1|
	v_cvt_u32_f32_e32 v1, v3
	v_mov_b32_e32 v45, v44
	s_delay_alu instid0(VALU_DEP_3) | instskip(NEXT) | instid1(VALU_DEP_3)
	v_cvt_u32_f32_e32 v3, v5
	v_xor_b32_e32 v51, v1, v44
	s_delay_alu instid0(VALU_DEP_2) | instskip(NEXT) | instid1(VALU_DEP_1)
	v_xor_b32_e32 v50, v3, v44
	v_sub_nc_u64_e32 v[44:45], v[50:51], v[44:45]
.LBB31_3371:
	s_mov_b32 s1, 0
.LBB31_3372:
	s_delay_alu instid0(SALU_CYCLE_1)
	s_and_not1_b32 vcc_lo, exec_lo, s1
	s_cbranch_vccnz .LBB31_3374
; %bb.3373:
	global_load_u16 v1, v[48:49], off
	s_wait_loadcnt 0x0
	v_cvt_f32_f16_e32 v1, v1
	s_delay_alu instid0(VALU_DEP_1) | instskip(NEXT) | instid1(VALU_DEP_1)
	v_cvt_i32_f32_e32 v44, v1
	v_ashrrev_i32_e32 v45, 31, v44
.LBB31_3374:
	s_mov_b32 s1, 0
.LBB31_3375:
	s_delay_alu instid0(SALU_CYCLE_1)
	s_and_not1_b32 vcc_lo, exec_lo, s1
	s_cbranch_vccnz .LBB31_3395
; %bb.3376:
	s_cmp_lt_i32 s0, 2
	s_cbranch_scc1 .LBB31_3380
; %bb.3377:
	s_cmp_lt_i32 s0, 3
	s_cbranch_scc1 .LBB31_3381
; %bb.3378:
	s_cmp_gt_i32 s0, 3
	s_cbranch_scc0 .LBB31_3382
; %bb.3379:
	s_wait_loadcnt 0x0
	global_load_b64 v[44:45], v[48:49], off
	s_mov_b32 s1, 0
	s_branch .LBB31_3383
.LBB31_3380:
	s_mov_b32 s1, -1
                                        ; implicit-def: $vgpr44_vgpr45
	s_branch .LBB31_3389
.LBB31_3381:
	s_mov_b32 s1, -1
                                        ; implicit-def: $vgpr44_vgpr45
	s_branch .LBB31_3386
.LBB31_3382:
	s_mov_b32 s1, -1
                                        ; implicit-def: $vgpr44_vgpr45
.LBB31_3383:
	s_delay_alu instid0(SALU_CYCLE_1)
	s_and_not1_b32 vcc_lo, exec_lo, s1
	s_cbranch_vccnz .LBB31_3385
; %bb.3384:
	s_wait_loadcnt 0x0
	global_load_b32 v44, v[48:49], off
	s_wait_loadcnt 0x0
	v_ashrrev_i32_e32 v45, 31, v44
.LBB31_3385:
	s_mov_b32 s1, 0
.LBB31_3386:
	s_delay_alu instid0(SALU_CYCLE_1)
	s_and_not1_b32 vcc_lo, exec_lo, s1
	s_cbranch_vccnz .LBB31_3388
; %bb.3387:
	global_load_u16 v1, v[48:49], off
	s_wait_loadcnt 0x0
	v_bfe_i32 v44, v1, 0, 16
	s_delay_alu instid0(VALU_DEP_1)
	v_ashrrev_i32_e32 v45, 31, v44
.LBB31_3388:
	s_mov_b32 s1, 0
.LBB31_3389:
	s_delay_alu instid0(SALU_CYCLE_1)
	s_and_not1_b32 vcc_lo, exec_lo, s1
	s_cbranch_vccnz .LBB31_3395
; %bb.3390:
	s_cmp_gt_i32 s0, 0
	s_mov_b32 s0, 0
	s_cbranch_scc0 .LBB31_3392
; %bb.3391:
	global_load_i8 v1, v[48:49], off
	s_wait_loadcnt 0x0
	v_bfe_i32 v44, v1, 0, 16
	s_delay_alu instid0(VALU_DEP_1)
	v_ashrrev_i32_e32 v45, 31, v44
	s_branch .LBB31_3393
.LBB31_3392:
	s_mov_b32 s0, -1
                                        ; implicit-def: $vgpr44_vgpr45
.LBB31_3393:
	s_delay_alu instid0(SALU_CYCLE_1)
	s_and_not1_b32 vcc_lo, exec_lo, s0
	s_cbranch_vccnz .LBB31_3395
; %bb.3394:
	global_load_u8 v1, v[48:49], off
	s_mov_b32 s0, 0
	s_wait_loadcnt 0x1
	v_mov_b32_e32 v45, s0
	s_wait_loadcnt 0x0
	v_and_b32_e32 v44, 0xffff, v1
.LBB31_3395:
	s_mov_b32 s9, -1
.LBB31_3396:
	s_delay_alu instid0(SALU_CYCLE_1)
	s_and_not1_b32 vcc_lo, exec_lo, s9
	s_cbranch_vccnz .LBB31_3532
; %bb.3397:
	v_mov_b32_e32 v43, 0
	s_load_b64 s[16:17], s[2:3], 0x270
	global_load_u8 v1, v43, s[2:3] offset:805
	s_wait_kmcnt 0x0
	v_add_nc_u64_e32 v[42:43], s[16:17], v[42:43]
	s_wait_loadcnt 0x0
	v_and_b32_e32 v3, 0xffff, v1
	v_readfirstlane_b32 s49, v1
	s_delay_alu instid0(VALU_DEP_2)
	v_cmp_gt_i32_e32 vcc_lo, 11, v3
	s_cbranch_vccnz .LBB31_3404
; %bb.3398:
	s_and_b32 s0, 0xffff, s49
	s_mov_b32 s8, 0
	s_cmp_gt_i32 s0, 25
	s_cbranch_scc0 .LBB31_3405
; %bb.3399:
	s_cmp_gt_i32 s0, 28
	s_cbranch_scc0 .LBB31_3406
; %bb.3400:
	;; [unrolled: 3-line block ×4, first 2 shown]
	s_cmp_eq_u32 s0, 46
	s_mov_b32 s18, 0
	s_cbranch_scc0 .LBB31_3410
; %bb.3403:
	global_load_b32 v1, v[42:43], off
	s_mov_b32 s1, 0
	s_mov_b32 s9, -1
	s_wait_loadcnt 0x0
	v_lshlrev_b32_e32 v1, 16, v1
	s_delay_alu instid0(VALU_DEP_1) | instskip(NEXT) | instid1(VALU_DEP_1)
	v_trunc_f32_e32 v1, v1
	v_mul_f32_e64 v3, 0x2f800000, |v1|
	v_ashrrev_i32_e32 v48, 31, v1
	s_delay_alu instid0(VALU_DEP_2) | instskip(NEXT) | instid1(VALU_DEP_2)
	v_floor_f32_e32 v3, v3
	v_mov_b32_e32 v49, v48
	s_delay_alu instid0(VALU_DEP_2) | instskip(SKIP_1) | instid1(VALU_DEP_2)
	v_fma_f32 v5, 0xcf800000, v3, |v1|
	v_cvt_u32_f32_e32 v1, v3
	v_cvt_u32_f32_e32 v3, v5
	s_delay_alu instid0(VALU_DEP_2) | instskip(NEXT) | instid1(VALU_DEP_2)
	v_xor_b32_e32 v51, v1, v48
	v_xor_b32_e32 v50, v3, v48
	s_delay_alu instid0(VALU_DEP_1)
	v_sub_nc_u64_e32 v[48:49], v[50:51], v[48:49]
	s_branch .LBB31_3412
.LBB31_3404:
	s_mov_b32 s0, -1
	s_mov_b32 s9, 0
                                        ; implicit-def: $vgpr48_vgpr49
	s_branch .LBB31_3474
.LBB31_3405:
	s_mov_b32 s18, -1
	s_mov_b32 s9, 0
	s_mov_b32 s1, 0
                                        ; implicit-def: $vgpr48_vgpr49
	s_branch .LBB31_3439
.LBB31_3406:
	s_mov_b32 s18, -1
	s_mov_b32 s9, 0
	s_mov_b32 s1, 0
                                        ; implicit-def: $vgpr48_vgpr49
	s_branch .LBB31_3422
.LBB31_3407:
	s_mov_b32 s18, -1
	s_mov_b32 s9, 0
	s_mov_b32 s1, 0
                                        ; implicit-def: $vgpr48_vgpr49
	s_branch .LBB31_3417
.LBB31_3408:
	s_or_b32 s33, s33, exec_lo
	s_trap 2
	s_cbranch_execz .LBB31_3345
	s_branch .LBB31_3346
.LBB31_3409:
	s_mov_b32 s18, -1
	s_mov_b32 s9, 0
	s_mov_b32 s1, 0
	s_branch .LBB31_3411
.LBB31_3410:
	s_mov_b32 s1, -1
	s_mov_b32 s9, 0
.LBB31_3411:
                                        ; implicit-def: $vgpr48_vgpr49
.LBB31_3412:
	s_and_b32 vcc_lo, exec_lo, s18
	s_cbranch_vccz .LBB31_3416
; %bb.3413:
	s_cmp_eq_u32 s0, 44
	s_cbranch_scc0 .LBB31_3415
; %bb.3414:
	global_load_u8 v1, v[42:43], off
	s_mov_b32 s1, 0
	s_mov_b32 s9, -1
	s_wait_loadcnt 0x0
	v_lshlrev_b32_e32 v3, 23, v1
	v_cmp_ne_u32_e32 vcc_lo, 0, v1
	s_delay_alu instid0(VALU_DEP_2) | instskip(NEXT) | instid1(VALU_DEP_1)
	v_trunc_f32_e32 v3, v3
	v_mul_f32_e64 v5, 0x2f800000, |v3|
	v_ashrrev_i32_e32 v48, 31, v3
	s_delay_alu instid0(VALU_DEP_2) | instskip(NEXT) | instid1(VALU_DEP_2)
	v_floor_f32_e32 v5, v5
	v_mov_b32_e32 v49, v48
	s_delay_alu instid0(VALU_DEP_2) | instskip(SKIP_1) | instid1(VALU_DEP_2)
	v_fma_f32 v7, 0xcf800000, v5, |v3|
	v_cvt_u32_f32_e32 v3, v5
	v_cvt_u32_f32_e32 v5, v7
	s_delay_alu instid0(VALU_DEP_2) | instskip(NEXT) | instid1(VALU_DEP_2)
	v_xor_b32_e32 v51, v3, v48
	v_xor_b32_e32 v50, v5, v48
	s_delay_alu instid0(VALU_DEP_1) | instskip(NEXT) | instid1(VALU_DEP_1)
	v_sub_nc_u64_e32 v[48:49], v[50:51], v[48:49]
	v_dual_cndmask_b32 v49, 0, v49 :: v_dual_cndmask_b32 v48, 0, v48
	s_branch .LBB31_3416
.LBB31_3415:
	s_mov_b32 s1, -1
                                        ; implicit-def: $vgpr48_vgpr49
.LBB31_3416:
	s_mov_b32 s18, 0
.LBB31_3417:
	s_delay_alu instid0(SALU_CYCLE_1)
	s_and_b32 vcc_lo, exec_lo, s18
	s_cbranch_vccz .LBB31_3421
; %bb.3418:
	s_cmp_eq_u32 s0, 29
	s_cbranch_scc0 .LBB31_3420
; %bb.3419:
	global_load_b64 v[48:49], v[42:43], off
	s_mov_b32 s1, 0
	s_mov_b32 s9, -1
	s_branch .LBB31_3421
.LBB31_3420:
	s_mov_b32 s1, -1
                                        ; implicit-def: $vgpr48_vgpr49
.LBB31_3421:
	s_mov_b32 s18, 0
.LBB31_3422:
	s_delay_alu instid0(SALU_CYCLE_1)
	s_and_b32 vcc_lo, exec_lo, s18
	s_cbranch_vccz .LBB31_3438
; %bb.3423:
	s_cmp_lt_i32 s0, 27
	s_cbranch_scc1 .LBB31_3426
; %bb.3424:
	s_cmp_gt_i32 s0, 27
	s_cbranch_scc0 .LBB31_3427
; %bb.3425:
	s_wait_loadcnt 0x0
	global_load_b32 v48, v[42:43], off
	v_mov_b32_e32 v49, 0
	s_mov_b32 s9, 0
	s_branch .LBB31_3428
.LBB31_3426:
	s_mov_b32 s9, -1
                                        ; implicit-def: $vgpr48_vgpr49
	s_branch .LBB31_3431
.LBB31_3427:
	s_mov_b32 s9, -1
                                        ; implicit-def: $vgpr48_vgpr49
.LBB31_3428:
	s_delay_alu instid0(SALU_CYCLE_1)
	s_and_not1_b32 vcc_lo, exec_lo, s9
	s_cbranch_vccnz .LBB31_3430
; %bb.3429:
	global_load_u16 v1, v[42:43], off
	s_mov_b32 s9, 0
	s_wait_loadcnt 0x1
	v_mov_b32_e32 v49, s9
	s_wait_loadcnt 0x0
	v_and_b32_e32 v48, 0xffff, v1
.LBB31_3430:
	s_mov_b32 s9, 0
.LBB31_3431:
	s_delay_alu instid0(SALU_CYCLE_1)
	s_and_not1_b32 vcc_lo, exec_lo, s9
	s_cbranch_vccnz .LBB31_3437
; %bb.3432:
	global_load_u8 v1, v[42:43], off
	s_mov_b32 s18, 0
	s_mov_b32 s9, exec_lo
	s_wait_loadcnt 0x0
	v_cmpx_lt_i16_e32 0x7f, v1
	s_xor_b32 s9, exec_lo, s9
	s_cbranch_execz .LBB31_3449
; %bb.3433:
	v_cmp_ne_u16_e32 vcc_lo, 0x80, v1
	s_and_b32 s18, vcc_lo, exec_lo
	s_and_not1_saveexec_b32 s9, s9
	s_cbranch_execnz .LBB31_3450
.LBB31_3434:
	s_or_b32 exec_lo, exec_lo, s9
	v_mov_b64_e32 v[48:49], 0
	s_and_saveexec_b32 s9, s18
	s_cbranch_execz .LBB31_3436
.LBB31_3435:
	v_and_b32_e32 v3, 0xffff, v1
	s_delay_alu instid0(VALU_DEP_1) | instskip(SKIP_1) | instid1(VALU_DEP_2)
	v_dual_lshlrev_b32 v1, 24, v1 :: v_dual_bitop2_b32 v5, 7, v3 bitop3:0x40
	v_bfe_u32 v15, v3, 3, 4
	v_and_b32_e32 v1, 0x80000000, v1
	s_delay_alu instid0(VALU_DEP_3) | instskip(NEXT) | instid1(VALU_DEP_3)
	v_clz_i32_u32_e32 v7, v5
	v_cmp_eq_u32_e32 vcc_lo, 0, v15
	s_delay_alu instid0(VALU_DEP_2) | instskip(NEXT) | instid1(VALU_DEP_1)
	v_min_u32_e32 v7, 32, v7
	v_subrev_nc_u32_e32 v11, 28, v7
	v_sub_nc_u32_e32 v7, 29, v7
	s_delay_alu instid0(VALU_DEP_2) | instskip(NEXT) | instid1(VALU_DEP_2)
	v_lshlrev_b32_e32 v3, v11, v3
	v_cndmask_b32_e32 v7, v15, v7, vcc_lo
	s_delay_alu instid0(VALU_DEP_2) | instskip(NEXT) | instid1(VALU_DEP_1)
	v_and_b32_e32 v3, 7, v3
	v_cndmask_b32_e32 v3, v5, v3, vcc_lo
	s_delay_alu instid0(VALU_DEP_3) | instskip(NEXT) | instid1(VALU_DEP_2)
	v_lshl_add_u32 v5, v7, 23, 0x3b800000
	v_lshlrev_b32_e32 v3, 20, v3
	s_delay_alu instid0(VALU_DEP_1) | instskip(NEXT) | instid1(VALU_DEP_1)
	v_or3_b32 v1, v1, v5, v3
	v_trunc_f32_e32 v1, v1
	s_delay_alu instid0(VALU_DEP_1) | instskip(SKIP_1) | instid1(VALU_DEP_2)
	v_mul_f32_e64 v3, 0x2f800000, |v1|
	v_ashrrev_i32_e32 v48, 31, v1
	v_floor_f32_e32 v3, v3
	s_delay_alu instid0(VALU_DEP_2) | instskip(NEXT) | instid1(VALU_DEP_2)
	v_mov_b32_e32 v49, v48
	v_fma_f32 v5, 0xcf800000, v3, |v1|
	v_cvt_u32_f32_e32 v1, v3
	s_delay_alu instid0(VALU_DEP_2) | instskip(NEXT) | instid1(VALU_DEP_2)
	v_cvt_u32_f32_e32 v3, v5
	v_xor_b32_e32 v51, v1, v48
	s_delay_alu instid0(VALU_DEP_2) | instskip(NEXT) | instid1(VALU_DEP_1)
	v_xor_b32_e32 v50, v3, v48
	v_sub_nc_u64_e32 v[48:49], v[50:51], v[48:49]
.LBB31_3436:
	s_or_b32 exec_lo, exec_lo, s9
.LBB31_3437:
	s_mov_b32 s9, -1
.LBB31_3438:
	s_mov_b32 s18, 0
.LBB31_3439:
	s_delay_alu instid0(SALU_CYCLE_1)
	s_and_b32 vcc_lo, exec_lo, s18
	s_cbranch_vccz .LBB31_3470
; %bb.3440:
	s_cmp_gt_i32 s0, 22
	s_cbranch_scc0 .LBB31_3448
; %bb.3441:
	s_cmp_lt_i32 s0, 24
	s_cbranch_scc1 .LBB31_3451
; %bb.3442:
	s_cmp_gt_i32 s0, 24
	s_cbranch_scc0 .LBB31_3452
; %bb.3443:
	global_load_u8 v1, v[42:43], off
	s_mov_b32 s9, 0
	s_mov_b32 s8, exec_lo
	s_wait_loadcnt 0x0
	v_cmpx_lt_i16_e32 0x7f, v1
	s_xor_b32 s8, exec_lo, s8
	s_cbranch_execz .LBB31_3464
; %bb.3444:
	v_cmp_ne_u16_e32 vcc_lo, 0x80, v1
	s_and_b32 s9, vcc_lo, exec_lo
	s_and_not1_saveexec_b32 s8, s8
	s_cbranch_execnz .LBB31_3465
.LBB31_3445:
	s_or_b32 exec_lo, exec_lo, s8
	v_mov_b64_e32 v[48:49], 0
	s_and_saveexec_b32 s8, s9
	s_cbranch_execz .LBB31_3447
.LBB31_3446:
	v_and_b32_e32 v3, 0xffff, v1
	s_delay_alu instid0(VALU_DEP_1) | instskip(SKIP_1) | instid1(VALU_DEP_2)
	v_dual_lshlrev_b32 v1, 24, v1 :: v_dual_bitop2_b32 v5, 3, v3 bitop3:0x40
	v_bfe_u32 v15, v3, 2, 5
	v_and_b32_e32 v1, 0x80000000, v1
	s_delay_alu instid0(VALU_DEP_3) | instskip(NEXT) | instid1(VALU_DEP_3)
	v_clz_i32_u32_e32 v7, v5
	v_cmp_eq_u32_e32 vcc_lo, 0, v15
	s_delay_alu instid0(VALU_DEP_2) | instskip(NEXT) | instid1(VALU_DEP_1)
	v_min_u32_e32 v7, 32, v7
	v_subrev_nc_u32_e32 v11, 29, v7
	v_sub_nc_u32_e32 v7, 30, v7
	s_delay_alu instid0(VALU_DEP_2) | instskip(NEXT) | instid1(VALU_DEP_2)
	v_lshlrev_b32_e32 v3, v11, v3
	v_cndmask_b32_e32 v7, v15, v7, vcc_lo
	s_delay_alu instid0(VALU_DEP_2) | instskip(NEXT) | instid1(VALU_DEP_1)
	v_and_b32_e32 v3, 3, v3
	v_cndmask_b32_e32 v3, v5, v3, vcc_lo
	s_delay_alu instid0(VALU_DEP_3) | instskip(NEXT) | instid1(VALU_DEP_2)
	v_lshl_add_u32 v5, v7, 23, 0x37800000
	v_lshlrev_b32_e32 v3, 21, v3
	s_delay_alu instid0(VALU_DEP_1) | instskip(NEXT) | instid1(VALU_DEP_1)
	v_or3_b32 v1, v1, v5, v3
	v_trunc_f32_e32 v1, v1
	s_delay_alu instid0(VALU_DEP_1) | instskip(SKIP_1) | instid1(VALU_DEP_2)
	v_mul_f32_e64 v3, 0x2f800000, |v1|
	v_ashrrev_i32_e32 v48, 31, v1
	v_floor_f32_e32 v3, v3
	s_delay_alu instid0(VALU_DEP_2) | instskip(NEXT) | instid1(VALU_DEP_2)
	v_mov_b32_e32 v49, v48
	v_fma_f32 v5, 0xcf800000, v3, |v1|
	v_cvt_u32_f32_e32 v1, v3
	s_delay_alu instid0(VALU_DEP_2) | instskip(NEXT) | instid1(VALU_DEP_2)
	v_cvt_u32_f32_e32 v3, v5
	v_xor_b32_e32 v51, v1, v48
	s_delay_alu instid0(VALU_DEP_2) | instskip(NEXT) | instid1(VALU_DEP_1)
	v_xor_b32_e32 v50, v3, v48
	v_sub_nc_u64_e32 v[48:49], v[50:51], v[48:49]
.LBB31_3447:
	s_or_b32 exec_lo, exec_lo, s8
	s_mov_b32 s8, 0
	s_branch .LBB31_3453
.LBB31_3448:
	s_mov_b32 s8, -1
                                        ; implicit-def: $vgpr48_vgpr49
	s_branch .LBB31_3459
.LBB31_3449:
	s_and_not1_saveexec_b32 s9, s9
	s_cbranch_execz .LBB31_3434
.LBB31_3450:
	v_cmp_ne_u16_e32 vcc_lo, 0, v1
	s_and_not1_b32 s18, s18, exec_lo
	s_and_b32 s19, vcc_lo, exec_lo
	s_delay_alu instid0(SALU_CYCLE_1)
	s_or_b32 s18, s18, s19
	s_or_b32 exec_lo, exec_lo, s9
	v_mov_b64_e32 v[48:49], 0
	s_and_saveexec_b32 s9, s18
	s_cbranch_execnz .LBB31_3435
	s_branch .LBB31_3436
.LBB31_3451:
	s_mov_b32 s8, -1
                                        ; implicit-def: $vgpr48_vgpr49
	s_branch .LBB31_3456
.LBB31_3452:
	s_mov_b32 s8, -1
                                        ; implicit-def: $vgpr48_vgpr49
.LBB31_3453:
	s_delay_alu instid0(SALU_CYCLE_1)
	s_and_b32 vcc_lo, exec_lo, s8
	s_cbranch_vccz .LBB31_3455
; %bb.3454:
	global_load_u8 v1, v[42:43], off
	s_wait_loadcnt 0x0
	v_lshlrev_b32_e32 v1, 24, v1
	s_delay_alu instid0(VALU_DEP_1) | instskip(NEXT) | instid1(VALU_DEP_1)
	v_and_b32_e32 v3, 0x7f000000, v1
	v_clz_i32_u32_e32 v5, v3
	v_add_nc_u32_e32 v11, 0x1000000, v3
	v_cmp_ne_u32_e32 vcc_lo, 0, v3
	s_delay_alu instid0(VALU_DEP_3) | instskip(NEXT) | instid1(VALU_DEP_1)
	v_min_u32_e32 v5, 32, v5
	v_sub_nc_u32_e64 v5, v5, 4 clamp
	s_delay_alu instid0(VALU_DEP_1) | instskip(NEXT) | instid1(VALU_DEP_1)
	v_dual_lshlrev_b32 v7, v5, v3 :: v_dual_lshlrev_b32 v5, 23, v5
	v_lshrrev_b32_e32 v7, 4, v7
	s_delay_alu instid0(VALU_DEP_1) | instskip(NEXT) | instid1(VALU_DEP_1)
	v_dual_sub_nc_u32 v5, v7, v5 :: v_dual_ashrrev_i32 v7, 8, v11
	v_add_nc_u32_e32 v5, 0x3c000000, v5
	s_delay_alu instid0(VALU_DEP_1) | instskip(NEXT) | instid1(VALU_DEP_1)
	v_and_or_b32 v5, 0x7f800000, v7, v5
	v_cndmask_b32_e32 v3, 0, v5, vcc_lo
	s_delay_alu instid0(VALU_DEP_1) | instskip(NEXT) | instid1(VALU_DEP_1)
	v_and_or_b32 v1, 0x80000000, v1, v3
	v_trunc_f32_e32 v1, v1
	s_delay_alu instid0(VALU_DEP_1) | instskip(SKIP_1) | instid1(VALU_DEP_2)
	v_mul_f32_e64 v3, 0x2f800000, |v1|
	v_ashrrev_i32_e32 v48, 31, v1
	v_floor_f32_e32 v3, v3
	s_delay_alu instid0(VALU_DEP_2) | instskip(NEXT) | instid1(VALU_DEP_2)
	v_mov_b32_e32 v49, v48
	v_fma_f32 v5, 0xcf800000, v3, |v1|
	v_cvt_u32_f32_e32 v1, v3
	s_delay_alu instid0(VALU_DEP_2) | instskip(NEXT) | instid1(VALU_DEP_2)
	v_cvt_u32_f32_e32 v3, v5
	v_xor_b32_e32 v51, v1, v48
	s_delay_alu instid0(VALU_DEP_2) | instskip(NEXT) | instid1(VALU_DEP_1)
	v_xor_b32_e32 v50, v3, v48
	v_sub_nc_u64_e32 v[48:49], v[50:51], v[48:49]
.LBB31_3455:
	s_mov_b32 s8, 0
.LBB31_3456:
	s_delay_alu instid0(SALU_CYCLE_1)
	s_and_not1_b32 vcc_lo, exec_lo, s8
	s_cbranch_vccnz .LBB31_3458
; %bb.3457:
	global_load_u8 v1, v[42:43], off
	s_wait_loadcnt 0x0
	v_lshlrev_b32_e32 v3, 25, v1
	v_lshlrev_b16 v1, 8, v1
	s_delay_alu instid0(VALU_DEP_1) | instskip(SKIP_1) | instid1(VALU_DEP_2)
	v_and_or_b32 v7, 0x7f00, v1, 0.5
	v_bfe_i32 v1, v1, 0, 16
	v_add_f32_e32 v7, -0.5, v7
	v_lshrrev_b32_e32 v5, 4, v3
	v_cmp_gt_u32_e32 vcc_lo, 0x8000000, v3
	s_delay_alu instid0(VALU_DEP_2) | instskip(NEXT) | instid1(VALU_DEP_1)
	v_or_b32_e32 v5, 0x70000000, v5
	v_mul_f32_e32 v5, 0x7800000, v5
	s_delay_alu instid0(VALU_DEP_1) | instskip(NEXT) | instid1(VALU_DEP_1)
	v_cndmask_b32_e32 v3, v5, v7, vcc_lo
	v_and_or_b32 v1, 0x80000000, v1, v3
	s_delay_alu instid0(VALU_DEP_1) | instskip(NEXT) | instid1(VALU_DEP_1)
	v_trunc_f32_e32 v1, v1
	v_mul_f32_e64 v3, 0x2f800000, |v1|
	v_ashrrev_i32_e32 v48, 31, v1
	s_delay_alu instid0(VALU_DEP_2) | instskip(NEXT) | instid1(VALU_DEP_2)
	v_floor_f32_e32 v3, v3
	v_mov_b32_e32 v49, v48
	s_delay_alu instid0(VALU_DEP_2) | instskip(SKIP_1) | instid1(VALU_DEP_2)
	v_fma_f32 v5, 0xcf800000, v3, |v1|
	v_cvt_u32_f32_e32 v1, v3
	v_cvt_u32_f32_e32 v3, v5
	s_delay_alu instid0(VALU_DEP_2) | instskip(NEXT) | instid1(VALU_DEP_2)
	v_xor_b32_e32 v51, v1, v48
	v_xor_b32_e32 v50, v3, v48
	s_delay_alu instid0(VALU_DEP_1)
	v_sub_nc_u64_e32 v[48:49], v[50:51], v[48:49]
.LBB31_3458:
	s_mov_b32 s8, 0
	s_mov_b32 s9, -1
.LBB31_3459:
	s_and_not1_b32 vcc_lo, exec_lo, s8
	s_mov_b32 s8, 0
	s_cbranch_vccnz .LBB31_3470
; %bb.3460:
	s_cmp_gt_i32 s0, 14
	s_cbranch_scc0 .LBB31_3463
; %bb.3461:
	s_cmp_eq_u32 s0, 15
	s_cbranch_scc0 .LBB31_3466
; %bb.3462:
	global_load_u16 v1, v[42:43], off
	s_mov_b32 s1, 0
	s_mov_b32 s9, -1
	s_wait_loadcnt 0x0
	v_lshlrev_b32_e32 v1, 16, v1
	s_delay_alu instid0(VALU_DEP_1) | instskip(NEXT) | instid1(VALU_DEP_1)
	v_trunc_f32_e32 v1, v1
	v_mul_f32_e64 v3, 0x2f800000, |v1|
	v_ashrrev_i32_e32 v48, 31, v1
	s_delay_alu instid0(VALU_DEP_2) | instskip(NEXT) | instid1(VALU_DEP_2)
	v_floor_f32_e32 v3, v3
	v_mov_b32_e32 v49, v48
	s_delay_alu instid0(VALU_DEP_2) | instskip(SKIP_1) | instid1(VALU_DEP_2)
	v_fma_f32 v5, 0xcf800000, v3, |v1|
	v_cvt_u32_f32_e32 v1, v3
	v_cvt_u32_f32_e32 v3, v5
	s_delay_alu instid0(VALU_DEP_2) | instskip(NEXT) | instid1(VALU_DEP_2)
	v_xor_b32_e32 v51, v1, v48
	v_xor_b32_e32 v50, v3, v48
	s_delay_alu instid0(VALU_DEP_1)
	v_sub_nc_u64_e32 v[48:49], v[50:51], v[48:49]
	s_branch .LBB31_3468
.LBB31_3463:
	s_mov_b32 s8, -1
	s_branch .LBB31_3467
.LBB31_3464:
	s_and_not1_saveexec_b32 s8, s8
	s_cbranch_execz .LBB31_3445
.LBB31_3465:
	v_cmp_ne_u16_e32 vcc_lo, 0, v1
	s_and_not1_b32 s9, s9, exec_lo
	s_and_b32 s18, vcc_lo, exec_lo
	s_delay_alu instid0(SALU_CYCLE_1)
	s_or_b32 s9, s9, s18
	s_or_b32 exec_lo, exec_lo, s8
	v_mov_b64_e32 v[48:49], 0
	s_and_saveexec_b32 s8, s9
	s_cbranch_execnz .LBB31_3446
	s_branch .LBB31_3447
.LBB31_3466:
	s_mov_b32 s1, -1
.LBB31_3467:
                                        ; implicit-def: $vgpr48_vgpr49
.LBB31_3468:
	s_and_b32 vcc_lo, exec_lo, s8
	s_mov_b32 s8, 0
	s_cbranch_vccz .LBB31_3470
; %bb.3469:
	s_cmp_lg_u32 s0, 11
	s_mov_b32 s8, -1
	s_cselect_b32 s1, -1, 0
.LBB31_3470:
	s_delay_alu instid0(SALU_CYCLE_1)
	s_and_b32 vcc_lo, exec_lo, s1
	s_cbranch_vccnz .LBB31_3597
; %bb.3471:
	s_and_not1_b32 vcc_lo, exec_lo, s8
	s_cbranch_vccnz .LBB31_3473
.LBB31_3472:
	global_load_u8 v1, v[42:43], off
	s_mov_b32 s0, 0
	s_mov_b32 s9, -1
	s_wait_loadcnt 0x1
	v_mov_b32_e32 v49, s0
	s_wait_loadcnt 0x0
	v_cmp_ne_u16_e32 vcc_lo, 0, v1
	v_cndmask_b32_e64 v48, 0, 1, vcc_lo
.LBB31_3473:
	s_mov_b32 s0, 0
.LBB31_3474:
	s_delay_alu instid0(SALU_CYCLE_1)
	s_and_b32 vcc_lo, exec_lo, s0
	s_cbranch_vccz .LBB31_3523
; %bb.3475:
	s_and_b32 s0, 0xffff, s49
	s_delay_alu instid0(SALU_CYCLE_1)
	s_cmp_lt_i32 s0, 5
	s_cbranch_scc1 .LBB31_3480
; %bb.3476:
	s_cmp_lt_i32 s0, 8
	s_cbranch_scc1 .LBB31_3481
; %bb.3477:
	;; [unrolled: 3-line block ×3, first 2 shown]
	s_cmp_gt_i32 s0, 9
	s_cbranch_scc0 .LBB31_3483
; %bb.3479:
	s_wait_loadcnt 0x0
	global_load_b64 v[48:49], v[42:43], off
	s_mov_b32 s1, 0
	s_wait_loadcnt 0x0
	v_trunc_f64_e32 v[48:49], v[48:49]
	s_delay_alu instid0(VALU_DEP_1) | instskip(NEXT) | instid1(VALU_DEP_1)
	v_ldexp_f64 v[50:51], v[48:49], 0xffffffe0
	v_floor_f64_e32 v[50:51], v[50:51]
	s_delay_alu instid0(VALU_DEP_1) | instskip(SKIP_1) | instid1(VALU_DEP_2)
	v_fmamk_f64 v[52:53], v[50:51], 0xc1f00000, v[48:49]
	v_cvt_i32_f64_e32 v49, v[50:51]
	v_cvt_u32_f64_e32 v48, v[52:53]
	s_branch .LBB31_3484
.LBB31_3480:
	s_mov_b32 s1, -1
                                        ; implicit-def: $vgpr48_vgpr49
	s_branch .LBB31_3502
.LBB31_3481:
	s_mov_b32 s1, -1
                                        ; implicit-def: $vgpr48_vgpr49
	s_branch .LBB31_3490
.LBB31_3482:
	s_mov_b32 s1, -1
                                        ; implicit-def: $vgpr48_vgpr49
	s_branch .LBB31_3487
.LBB31_3483:
	s_mov_b32 s1, -1
                                        ; implicit-def: $vgpr48_vgpr49
.LBB31_3484:
	s_delay_alu instid0(SALU_CYCLE_1)
	s_and_not1_b32 vcc_lo, exec_lo, s1
	s_cbranch_vccnz .LBB31_3486
; %bb.3485:
	global_load_b32 v1, v[42:43], off
	s_wait_loadcnt 0x0
	v_trunc_f32_e32 v1, v1
	s_delay_alu instid0(VALU_DEP_1) | instskip(SKIP_1) | instid1(VALU_DEP_2)
	v_mul_f32_e64 v3, 0x2f800000, |v1|
	v_ashrrev_i32_e32 v48, 31, v1
	v_floor_f32_e32 v3, v3
	s_delay_alu instid0(VALU_DEP_1) | instskip(SKIP_1) | instid1(VALU_DEP_4)
	v_fma_f32 v5, 0xcf800000, v3, |v1|
	v_cvt_u32_f32_e32 v1, v3
	v_mov_b32_e32 v49, v48
	s_delay_alu instid0(VALU_DEP_3) | instskip(NEXT) | instid1(VALU_DEP_3)
	v_cvt_u32_f32_e32 v3, v5
	v_xor_b32_e32 v51, v1, v48
	s_delay_alu instid0(VALU_DEP_2) | instskip(NEXT) | instid1(VALU_DEP_1)
	v_xor_b32_e32 v50, v3, v48
	v_sub_nc_u64_e32 v[48:49], v[50:51], v[48:49]
.LBB31_3486:
	s_mov_b32 s1, 0
.LBB31_3487:
	s_delay_alu instid0(SALU_CYCLE_1)
	s_and_not1_b32 vcc_lo, exec_lo, s1
	s_cbranch_vccnz .LBB31_3489
; %bb.3488:
	global_load_b32 v1, v[42:43], off
	s_wait_loadcnt 0x0
	v_cvt_f32_f16_e32 v1, v1
	s_delay_alu instid0(VALU_DEP_1) | instskip(NEXT) | instid1(VALU_DEP_1)
	v_cvt_i32_f32_e32 v48, v1
	v_ashrrev_i32_e32 v49, 31, v48
.LBB31_3489:
	s_mov_b32 s1, 0
.LBB31_3490:
	s_delay_alu instid0(SALU_CYCLE_1)
	s_and_not1_b32 vcc_lo, exec_lo, s1
	s_cbranch_vccnz .LBB31_3501
; %bb.3491:
	s_cmp_lt_i32 s0, 6
	s_cbranch_scc1 .LBB31_3494
; %bb.3492:
	s_cmp_gt_i32 s0, 6
	s_cbranch_scc0 .LBB31_3495
; %bb.3493:
	s_wait_loadcnt 0x0
	global_load_b64 v[48:49], v[42:43], off
	s_mov_b32 s1, 0
	s_wait_loadcnt 0x0
	v_trunc_f64_e32 v[48:49], v[48:49]
	s_delay_alu instid0(VALU_DEP_1) | instskip(NEXT) | instid1(VALU_DEP_1)
	v_ldexp_f64 v[50:51], v[48:49], 0xffffffe0
	v_floor_f64_e32 v[50:51], v[50:51]
	s_delay_alu instid0(VALU_DEP_1) | instskip(SKIP_1) | instid1(VALU_DEP_2)
	v_fmamk_f64 v[52:53], v[50:51], 0xc1f00000, v[48:49]
	v_cvt_i32_f64_e32 v49, v[50:51]
	v_cvt_u32_f64_e32 v48, v[52:53]
	s_branch .LBB31_3496
.LBB31_3494:
	s_mov_b32 s1, -1
                                        ; implicit-def: $vgpr48_vgpr49
	s_branch .LBB31_3499
.LBB31_3495:
	s_mov_b32 s1, -1
                                        ; implicit-def: $vgpr48_vgpr49
.LBB31_3496:
	s_delay_alu instid0(SALU_CYCLE_1)
	s_and_not1_b32 vcc_lo, exec_lo, s1
	s_cbranch_vccnz .LBB31_3498
; %bb.3497:
	global_load_b32 v1, v[42:43], off
	s_wait_loadcnt 0x0
	v_trunc_f32_e32 v1, v1
	s_delay_alu instid0(VALU_DEP_1) | instskip(SKIP_1) | instid1(VALU_DEP_2)
	v_mul_f32_e64 v3, 0x2f800000, |v1|
	v_ashrrev_i32_e32 v48, 31, v1
	v_floor_f32_e32 v3, v3
	s_delay_alu instid0(VALU_DEP_1) | instskip(SKIP_1) | instid1(VALU_DEP_4)
	v_fma_f32 v5, 0xcf800000, v3, |v1|
	v_cvt_u32_f32_e32 v1, v3
	v_mov_b32_e32 v49, v48
	s_delay_alu instid0(VALU_DEP_3) | instskip(NEXT) | instid1(VALU_DEP_3)
	v_cvt_u32_f32_e32 v3, v5
	v_xor_b32_e32 v51, v1, v48
	s_delay_alu instid0(VALU_DEP_2) | instskip(NEXT) | instid1(VALU_DEP_1)
	v_xor_b32_e32 v50, v3, v48
	v_sub_nc_u64_e32 v[48:49], v[50:51], v[48:49]
.LBB31_3498:
	s_mov_b32 s1, 0
.LBB31_3499:
	s_delay_alu instid0(SALU_CYCLE_1)
	s_and_not1_b32 vcc_lo, exec_lo, s1
	s_cbranch_vccnz .LBB31_3501
; %bb.3500:
	global_load_u16 v1, v[42:43], off
	s_wait_loadcnt 0x0
	v_cvt_f32_f16_e32 v1, v1
	s_delay_alu instid0(VALU_DEP_1) | instskip(NEXT) | instid1(VALU_DEP_1)
	v_cvt_i32_f32_e32 v48, v1
	v_ashrrev_i32_e32 v49, 31, v48
.LBB31_3501:
	s_mov_b32 s1, 0
.LBB31_3502:
	s_delay_alu instid0(SALU_CYCLE_1)
	s_and_not1_b32 vcc_lo, exec_lo, s1
	s_cbranch_vccnz .LBB31_3522
; %bb.3503:
	s_cmp_lt_i32 s0, 2
	s_cbranch_scc1 .LBB31_3507
; %bb.3504:
	s_cmp_lt_i32 s0, 3
	s_cbranch_scc1 .LBB31_3508
; %bb.3505:
	s_cmp_gt_i32 s0, 3
	s_cbranch_scc0 .LBB31_3509
; %bb.3506:
	s_wait_loadcnt 0x0
	global_load_b64 v[48:49], v[42:43], off
	s_mov_b32 s1, 0
	s_branch .LBB31_3510
.LBB31_3507:
	s_mov_b32 s1, -1
                                        ; implicit-def: $vgpr48_vgpr49
	s_branch .LBB31_3516
.LBB31_3508:
	s_mov_b32 s1, -1
                                        ; implicit-def: $vgpr48_vgpr49
	s_branch .LBB31_3513
.LBB31_3509:
	s_mov_b32 s1, -1
                                        ; implicit-def: $vgpr48_vgpr49
.LBB31_3510:
	s_delay_alu instid0(SALU_CYCLE_1)
	s_and_not1_b32 vcc_lo, exec_lo, s1
	s_cbranch_vccnz .LBB31_3512
; %bb.3511:
	s_wait_loadcnt 0x0
	global_load_b32 v48, v[42:43], off
	s_wait_loadcnt 0x0
	v_ashrrev_i32_e32 v49, 31, v48
.LBB31_3512:
	s_mov_b32 s1, 0
.LBB31_3513:
	s_delay_alu instid0(SALU_CYCLE_1)
	s_and_not1_b32 vcc_lo, exec_lo, s1
	s_cbranch_vccnz .LBB31_3515
; %bb.3514:
	global_load_u16 v1, v[42:43], off
	s_wait_loadcnt 0x0
	v_bfe_i32 v48, v1, 0, 16
	s_delay_alu instid0(VALU_DEP_1)
	v_ashrrev_i32_e32 v49, 31, v48
.LBB31_3515:
	s_mov_b32 s1, 0
.LBB31_3516:
	s_delay_alu instid0(SALU_CYCLE_1)
	s_and_not1_b32 vcc_lo, exec_lo, s1
	s_cbranch_vccnz .LBB31_3522
; %bb.3517:
	s_cmp_gt_i32 s0, 0
	s_mov_b32 s0, 0
	s_cbranch_scc0 .LBB31_3519
; %bb.3518:
	global_load_i8 v1, v[42:43], off
	s_wait_loadcnt 0x0
	v_bfe_i32 v48, v1, 0, 16
	s_delay_alu instid0(VALU_DEP_1)
	v_ashrrev_i32_e32 v49, 31, v48
	s_branch .LBB31_3520
.LBB31_3519:
	s_mov_b32 s0, -1
                                        ; implicit-def: $vgpr48_vgpr49
.LBB31_3520:
	s_delay_alu instid0(SALU_CYCLE_1)
	s_and_not1_b32 vcc_lo, exec_lo, s0
	s_cbranch_vccnz .LBB31_3522
; %bb.3521:
	global_load_u8 v1, v[42:43], off
	s_mov_b32 s0, 0
	s_wait_loadcnt 0x1
	v_mov_b32_e32 v49, s0
	s_wait_loadcnt 0x0
	v_and_b32_e32 v48, 0xffff, v1
.LBB31_3522:
	s_mov_b32 s9, -1
.LBB31_3523:
	s_delay_alu instid0(SALU_CYCLE_1)
	s_and_not1_b32 vcc_lo, exec_lo, s9
	s_cbranch_vccnz .LBB31_3532
; %bb.3524:
	s_load_b64 s[0:1], s[2:3], 0x278
	s_get_pc_i64 s[8:9]
	s_add_nc_u64 s[8:9], s[8:9], .str.1@rel64+4
	s_delay_alu instid0(SALU_CYCLE_1) | instskip(SKIP_3) | instid1(SALU_CYCLE_1)
	s_cmp_eq_u64 s[8:9], 0
	s_wait_kmcnt 0x0
	v_cmp_ne_u64_e32 vcc_lo, s[0:1], v[8:9]
	s_cselect_b32 s0, -1, 0
	s_or_b32 s0, s0, vcc_lo
	s_delay_alu instid0(SALU_CYCLE_1) | instskip(NEXT) | instid1(SALU_CYCLE_1)
	s_and_saveexec_b32 s1, s0
	s_xor_b32 s0, exec_lo, s1
	s_cbranch_execnz .LBB31_3908
.LBB31_3525:
	s_or_saveexec_b32 s36, s0
	s_mov_b32 s1, 0
	s_mov_b32 s8, 0
                                        ; implicit-def: $vgpr42_vgpr43
                                        ; implicit-def: $sgpr0
	s_xor_b32 exec_lo, exec_lo, s36
	s_cbranch_execz .LBB31_4422
; %bb.3526:
	s_load_b64 s[0:1], s[2:3], 0x288
	s_get_pc_i64 s[8:9]
	s_add_nc_u64 s[8:9], s[8:9], .str.2@rel64+4
	s_mov_b32 s37, s33
	s_cmp_eq_u64 s[8:9], 0
	s_wait_kmcnt 0x0
	v_cmp_ne_u64_e32 vcc_lo, s[0:1], v[12:13]
	s_cselect_b32 s0, -1, 0
	s_delay_alu instid0(SALU_CYCLE_1) | instskip(NEXT) | instid1(SALU_CYCLE_1)
	s_or_b32 s0, s0, vcc_lo
	s_and_saveexec_b32 s1, s0
	s_delay_alu instid0(SALU_CYCLE_1)
	s_xor_b32 s0, exec_lo, s1
	s_cbranch_execnz .LBB31_4037
.LBB31_3527:
	s_or_saveexec_b32 s38, s0
	s_mov_b32 s1, 0
	s_mov_b32 s8, 0
                                        ; implicit-def: $vgpr42_vgpr43
                                        ; implicit-def: $sgpr0
	s_xor_b32 exec_lo, exec_lo, s38
	s_cbranch_execz .LBB31_4421
; %bb.3528:
	s_load_b64 s[18:19], s[2:3], 0x280
	v_sub_nc_u64_e32 v[42:43], v[44:45], v[46:47]
	s_get_pc_i64 s[8:9]
	s_add_nc_u64 s[8:9], s[8:9], .str.3@rel64+4
	s_mov_b32 s39, s37
	s_delay_alu instid0(VALU_DEP_1)
	v_cmp_gt_i64_e32 vcc_lo, v[8:9], v[42:43]
	s_wait_kmcnt 0x0
	v_cmp_lt_i64_e64 s0, s[18:19], v[42:43]
	s_or_b32 s0, vcc_lo, s0
	s_cmp_eq_u64 s[8:9], 0
	s_cselect_b32 s1, -1, 0
	s_delay_alu instid0(SALU_CYCLE_1) | instskip(NEXT) | instid1(SALU_CYCLE_1)
	s_or_b32 s0, s1, s0
	s_and_saveexec_b32 s1, s0
	s_delay_alu instid0(SALU_CYCLE_1)
	s_xor_b32 s0, exec_lo, s1
	s_cbranch_execnz .LBB31_4166
.LBB31_3529:
	s_or_saveexec_b32 s40, s0
	s_mov_b32 s1, 0
	s_mov_b32 s8, 0
                                        ; implicit-def: $vgpr42_vgpr43
                                        ; implicit-def: $sgpr0
	s_xor_b32 exec_lo, exec_lo, s40
	s_cbranch_execz .LBB31_4420
; %bb.3530:
	s_load_b32 s44, s[2:3], 0x290
	v_cmp_lt_i64_e32 vcc_lo, 0, v[12:13]
	v_mov_b64_e32 v[42:43], 0
	s_wait_kmcnt 0x0
	s_add_co_i32 s8, s44, -1
	s_delay_alu instid0(SALU_CYCLE_1) | instskip(SKIP_1) | instid1(SALU_CYCLE_1)
	s_cmp_gt_i32 s8, -1
	s_cselect_b32 s0, -1, 0
	s_and_b32 s46, vcc_lo, s0
	s_delay_alu instid0(SALU_CYCLE_1)
	s_and_saveexec_b32 s41, s46
	s_cbranch_execz .LBB31_3582
; %bb.3531:
	s_wait_loadcnt 0x0
	v_mul_u64_e32 v[50:51], v[48:49], v[12:13]
	s_mov_b32 s9, s1
	v_mov_b64_e32 v[42:43], 0
	s_lshl_b64 s[22:23], s[8:9], 3
	v_mov_b32_e32 v48, 0
	s_add_nc_u64 s[22:23], s[2:3], s[22:23]
	s_mov_b64 s[20:21], 0xffffffff
	s_add_nc_u64 s[22:23], s[22:23], 0x298
	s_mov_b32 s9, s44
	s_branch .LBB31_3578
.LBB31_3532:
	s_mov_b32 s1, 0
	s_mov_b32 s8, 0
                                        ; implicit-def: $vgpr42_vgpr43
                                        ; implicit-def: $sgpr0
.LBB31_3533:
	s_wait_xcnt 0x0
	s_and_not1_b32 s2, s34, exec_lo
	s_and_b32 s3, s33, exec_lo
	s_and_b32 s4, s8, exec_lo
	;; [unrolled: 1-line block ×3, first 2 shown]
	s_or_b32 s34, s2, s3
.LBB31_3534:
	s_or_b32 exec_lo, exec_lo, s35
	s_and_saveexec_b32 s1, s34
	s_cbranch_execz .LBB31_3537
; %bb.3535:
	; divergent unreachable
	s_or_b32 exec_lo, exec_lo, s1
	s_and_saveexec_b32 s1, s67
	s_delay_alu instid0(SALU_CYCLE_1)
	s_xor_b32 s1, exec_lo, s1
	s_cbranch_execnz .LBB31_3538
.LBB31_3536:
	s_or_b32 exec_lo, exec_lo, s1
	s_and_saveexec_b32 s1, s4
	s_cbranch_execnz .LBB31_3539
	s_branch .LBB31_3576
.LBB31_3537:
	s_or_b32 exec_lo, exec_lo, s1
	s_and_saveexec_b32 s1, s67
	s_delay_alu instid0(SALU_CYCLE_1)
	s_xor_b32 s1, exec_lo, s1
	s_cbranch_execz .LBB31_3536
.LBB31_3538:
	s_wait_loadcnt 0x0
	v_mov_b32_e32 v0, 0
	global_store_b8 v[42:43], v0, off
	s_wait_xcnt 0x0
	s_or_b32 exec_lo, exec_lo, s1
	s_and_saveexec_b32 s1, s4
	s_cbranch_execz .LBB31_3576
.LBB31_3539:
	s_sext_i32_i16 s2, s0
	s_mov_b32 s1, -1
	s_cmp_lt_i32 s2, 5
	s_cbranch_scc1 .LBB31_3560
; %bb.3540:
	s_cmp_lt_i32 s2, 8
	s_cbranch_scc1 .LBB31_3550
; %bb.3541:
	;; [unrolled: 3-line block ×3, first 2 shown]
	s_cmp_gt_i32 s2, 9
	s_cbranch_scc0 .LBB31_3544
; %bb.3543:
	s_wait_loadcnt 0x0
	v_mov_b32_e32 v0, 0
	s_mov_b32 s1, 0
	s_delay_alu instid0(VALU_DEP_1)
	v_dual_mov_b32 v1, v0 :: v_dual_mov_b32 v2, v0
	v_mov_b32_e32 v3, v0
	global_store_b128 v[42:43], v[0:3], off
.LBB31_3544:
	s_and_not1_b32 vcc_lo, exec_lo, s1
	s_cbranch_vccnz .LBB31_3546
; %bb.3545:
	s_wait_loadcnt 0x0
	v_mov_b64_e32 v[0:1], 0
	global_store_b64 v[42:43], v[0:1], off
.LBB31_3546:
	s_mov_b32 s1, 0
.LBB31_3547:
	s_delay_alu instid0(SALU_CYCLE_1)
	s_and_not1_b32 vcc_lo, exec_lo, s1
	s_cbranch_vccnz .LBB31_3549
; %bb.3548:
	s_wait_loadcnt 0x0
	v_mov_b32_e32 v0, 0
	global_store_b32 v[42:43], v0, off
.LBB31_3549:
	s_mov_b32 s1, 0
.LBB31_3550:
	s_delay_alu instid0(SALU_CYCLE_1)
	s_and_not1_b32 vcc_lo, exec_lo, s1
	s_cbranch_vccnz .LBB31_3559
; %bb.3551:
	s_sext_i32_i16 s2, s0
	s_mov_b32 s1, -1
	s_cmp_lt_i32 s2, 6
	s_cbranch_scc1 .LBB31_3557
; %bb.3552:
	s_cmp_gt_i32 s2, 6
	s_cbranch_scc0 .LBB31_3554
; %bb.3553:
	s_wait_loadcnt 0x0
	v_mov_b64_e32 v[0:1], 0
	s_mov_b32 s1, 0
	global_store_b64 v[42:43], v[0:1], off
.LBB31_3554:
	s_and_not1_b32 vcc_lo, exec_lo, s1
	s_cbranch_vccnz .LBB31_3556
; %bb.3555:
	s_wait_loadcnt 0x0
	v_mov_b32_e32 v0, 0
	global_store_b32 v[42:43], v0, off
.LBB31_3556:
	s_mov_b32 s1, 0
.LBB31_3557:
	s_delay_alu instid0(SALU_CYCLE_1)
	s_and_not1_b32 vcc_lo, exec_lo, s1
	s_cbranch_vccnz .LBB31_3559
; %bb.3558:
	s_wait_loadcnt 0x0
	v_mov_b32_e32 v0, 0
	global_store_b16 v[42:43], v0, off
.LBB31_3559:
	s_mov_b32 s1, 0
.LBB31_3560:
	s_delay_alu instid0(SALU_CYCLE_1)
	s_and_not1_b32 vcc_lo, exec_lo, s1
	s_cbranch_vccnz .LBB31_3576
; %bb.3561:
	s_sext_i32_i16 s2, s0
	s_mov_b32 s1, -1
	s_cmp_lt_i32 s2, 2
	s_cbranch_scc1 .LBB31_3571
; %bb.3562:
	s_cmp_lt_i32 s2, 3
	s_cbranch_scc1 .LBB31_3568
; %bb.3563:
	s_cmp_gt_i32 s2, 3
	s_cbranch_scc0 .LBB31_3565
; %bb.3564:
	s_wait_loadcnt 0x0
	v_mov_b64_e32 v[0:1], 0
	s_mov_b32 s1, 0
	global_store_b64 v[42:43], v[0:1], off
.LBB31_3565:
	s_and_not1_b32 vcc_lo, exec_lo, s1
	s_cbranch_vccnz .LBB31_3567
; %bb.3566:
	s_wait_loadcnt 0x0
	v_mov_b32_e32 v0, 0
	global_store_b32 v[42:43], v0, off
.LBB31_3567:
	s_mov_b32 s1, 0
.LBB31_3568:
	s_delay_alu instid0(SALU_CYCLE_1)
	s_and_not1_b32 vcc_lo, exec_lo, s1
	s_cbranch_vccnz .LBB31_3570
; %bb.3569:
	s_wait_loadcnt 0x0
	v_mov_b32_e32 v0, 0
	global_store_b16 v[42:43], v0, off
.LBB31_3570:
	s_mov_b32 s1, 0
.LBB31_3571:
	s_delay_alu instid0(SALU_CYCLE_1)
	s_and_not1_b32 vcc_lo, exec_lo, s1
	s_cbranch_vccnz .LBB31_3576
; %bb.3572:
	s_sext_i32_i16 s0, s0
	s_delay_alu instid0(SALU_CYCLE_1)
	s_cmp_gt_i32 s0, 0
	s_mov_b32 s0, -1
	s_cbranch_scc0 .LBB31_3574
; %bb.3573:
	s_wait_loadcnt 0x0
	v_mov_b32_e32 v0, 0
	s_mov_b32 s0, 0
	global_store_b8 v[42:43], v0, off
.LBB31_3574:
	s_and_not1_b32 vcc_lo, exec_lo, s0
	s_cbranch_vccnz .LBB31_3576
; %bb.3575:
	s_wait_loadcnt 0x0
	v_mov_b32_e32 v0, 0
	global_store_b8 v[42:43], v0, off
	s_sendmsg sendmsg(MSG_DEALLOC_VGPRS)
	s_endpgm
.LBB31_3576:
	s_sendmsg sendmsg(MSG_DEALLOC_VGPRS)
	s_endpgm
.LBB31_3577:                            ;   in Loop: Header=BB31_3578 Depth=1
	s_or_b32 exec_lo, exec_lo, s0
	s_delay_alu instid0(VALU_DEP_1)
	v_mul_u64_e32 v[54:55], s[24:25], v[52:53]
	s_load_b64 s[24:25], s[22:23], 0x40
	s_add_co_i32 s9, s9, -1
	s_wait_xcnt 0x0
	s_add_nc_u64 s[22:23], s[22:23], -8
	s_cmp_eq_u32 s9, 0
	s_delay_alu instid0(VALU_DEP_1) | instskip(SKIP_1) | instid1(VALU_DEP_1)
	v_sub_nc_u64_e32 v[50:51], v[50:51], v[54:55]
	s_wait_kmcnt 0x0
	v_mad_nc_u64_u32 v[42:43], v50, s24, v[42:43]
	s_delay_alu instid0(VALU_DEP_1) | instskip(NEXT) | instid1(VALU_DEP_1)
	v_mad_u32 v1, v51, s24, v43
	v_mad_u32 v43, v50, s25, v1
	v_mov_b64_e32 v[50:51], v[52:53]
	s_cbranch_scc1 .LBB31_3582
.LBB31_3578:                            ; =>This Inner Loop Header: Depth=1
	s_load_b64 s[24:25], s[22:23], 0x0
                                        ; implicit-def: $vgpr52_vgpr53
	s_mov_b32 s0, exec_lo
	s_wait_kmcnt 0x0
	s_delay_alu instid0(VALU_DEP_1) | instskip(NEXT) | instid1(VALU_DEP_1)
	v_or_b32_e32 v49, s25, v51
	v_cmpx_ne_u64_e32 0, v[48:49]
	s_xor_b32 s42, exec_lo, s0
	s_cbranch_execz .LBB31_3580
; %bb.3579:                             ;   in Loop: Header=BB31_3578 Depth=1
	s_ashr_i32 s26, s25, 31
	v_dual_mov_b32 v57, v48 :: v_dual_ashrrev_i32 v52, 31, v51
	s_mov_b32 s27, s26
	v_mov_b32_e32 v65, v48
	s_add_nc_u64 s[28:29], s[24:25], s[26:27]
	s_delay_alu instid0(VALU_DEP_2) | instskip(SKIP_1) | instid1(SALU_CYCLE_1)
	v_mov_b32_e32 v53, v52
	s_xor_b64 s[28:29], s[28:29], s[26:27]
	s_cvt_f32_u32 s0, s28
	s_cvt_f32_u32 s27, s29
	s_sub_nc_u64 s[52:53], 0, s[28:29]
	v_add_nc_u64_e32 v[54:55], v[50:51], v[52:53]
	v_mov_b32_e32 v61, v48
	s_fmamk_f32 s0, s27, 0x4f800000, s0
	s_delay_alu instid0(SALU_CYCLE_3) | instskip(NEXT) | instid1(VALU_DEP_2)
	v_s_rcp_f32 s0, s0
	v_xor_b32_e32 v56, v54, v52
	s_delay_alu instid0(VALU_DEP_3) | instskip(SKIP_1) | instid1(TRANS32_DEP_1)
	v_xor_b32_e32 v60, v55, v52
	v_xor_b32_e32 v52, s26, v52
	s_mul_f32 s0, s0, 0x5f7ffffc
	s_delay_alu instid0(VALU_DEP_1) | instskip(NEXT) | instid1(SALU_CYCLE_2)
	v_mov_b32_e32 v53, v52
	s_mul_f32 s27, s0, 0x2f800000
	s_delay_alu instid0(SALU_CYCLE_3) | instskip(NEXT) | instid1(SALU_CYCLE_3)
	s_trunc_f32 s27, s27
	s_fmamk_f32 s0, s27, 0xcf800000, s0
	s_cvt_u32_f32 s51, s27
	s_delay_alu instid0(SALU_CYCLE_2) | instskip(NEXT) | instid1(SALU_CYCLE_3)
	s_cvt_u32_f32 s50, s0
	s_mul_u64 s[54:55], s[52:53], s[50:51]
	s_delay_alu instid0(SALU_CYCLE_1)
	s_mul_hi_u32 s57, s50, s55
	s_mul_i32 s56, s50, s55
	s_mul_hi_u32 s0, s50, s54
	s_mul_i32 s43, s51, s54
	s_add_nc_u64 s[56:57], s[0:1], s[56:57]
	s_mul_hi_u32 s27, s51, s54
	s_mul_hi_u32 s45, s51, s55
	s_add_co_u32 s0, s56, s43
	s_add_co_ci_u32 s0, s57, s27
	s_mul_i32 s54, s51, s55
	s_add_co_ci_u32 s55, s45, 0
	s_delay_alu instid0(SALU_CYCLE_1) | instskip(NEXT) | instid1(SALU_CYCLE_1)
	s_add_nc_u64 s[54:55], s[0:1], s[54:55]
	s_add_co_u32 s50, s50, s54
	s_cselect_b32 s0, -1, 0
	s_delay_alu instid0(SALU_CYCLE_1) | instskip(SKIP_1) | instid1(SALU_CYCLE_1)
	s_cmp_lg_u32 s0, 0
	s_add_co_ci_u32 s51, s51, s55
	s_mul_u64 s[52:53], s[52:53], s[50:51]
	s_delay_alu instid0(SALU_CYCLE_1)
	s_mul_hi_u32 s55, s50, s53
	s_mul_i32 s54, s50, s53
	s_mul_hi_u32 s0, s50, s52
	s_mul_i32 s43, s51, s52
	s_add_nc_u64 s[54:55], s[0:1], s[54:55]
	s_mul_hi_u32 s27, s51, s52
	s_mul_hi_u32 s45, s51, s53
	s_add_co_u32 s0, s54, s43
	s_add_co_ci_u32 s0, s55, s27
	s_mul_i32 s52, s51, s53
	s_add_co_ci_u32 s53, s45, 0
	s_delay_alu instid0(SALU_CYCLE_1) | instskip(NEXT) | instid1(SALU_CYCLE_1)
	s_add_nc_u64 s[52:53], s[0:1], s[52:53]
	s_add_co_u32 s50, s50, s52
	s_cselect_b32 s0, -1, 0
	v_mul_hi_u32 v64, v56, s50
	s_cmp_lg_u32 s0, 0
	s_add_co_ci_u32 s0, s51, s53
	s_and_b64 s[52:53], s[50:51], s[20:21]
	v_mul_u64_e32 v[58:59], s[0:1], v[56:57]
	v_mul_u64_e32 v[54:55], s[52:53], v[60:61]
	;; [unrolled: 1-line block ×3, first 2 shown]
	s_delay_alu instid0(VALU_DEP_3) | instskip(NEXT) | instid1(VALU_DEP_1)
	v_add_nc_u64_e32 v[58:59], v[64:65], v[58:59]
	v_add_co_u32 v1, vcc_lo, v58, v54
	s_delay_alu instid0(VALU_DEP_2) | instskip(NEXT) | instid1(VALU_DEP_4)
	v_add_co_ci_u32_e32 v64, vcc_lo, v59, v55, vcc_lo
	v_add_co_ci_u32_e32 v63, vcc_lo, 0, v63, vcc_lo
	s_delay_alu instid0(VALU_DEP_1) | instskip(NEXT) | instid1(VALU_DEP_1)
	v_add_nc_u64_e32 v[54:55], v[64:65], v[62:63]
	v_mul_u64_e32 v[58:59], s[28:29], v[54:55]
	s_delay_alu instid0(VALU_DEP_1) | instskip(SKIP_1) | instid1(VALU_DEP_3)
	v_sub_co_u32 v3, vcc_lo, v56, v58
	v_add_nc_u64_e32 v[56:57], 2, v[54:55]
	v_sub_nc_u32_e32 v1, v60, v59
	v_sub_co_ci_u32_e64 v7, null, v60, v59, vcc_lo
	s_delay_alu instid0(VALU_DEP_4) | instskip(NEXT) | instid1(VALU_DEP_3)
	v_sub_co_u32 v5, s0, v3, s28
	v_subrev_co_ci_u32_e64 v1, null, s29, v1, vcc_lo
	v_add_nc_u64_e32 v[58:59], 1, v[54:55]
	s_delay_alu instid0(VALU_DEP_3) | instskip(NEXT) | instid1(VALU_DEP_3)
	v_cmp_le_u32_e32 vcc_lo, s28, v5
	v_subrev_co_ci_u32_e64 v1, null, 0, v1, s0
	v_cndmask_b32_e64 v5, 0, -1, vcc_lo
	s_delay_alu instid0(VALU_DEP_2)
	v_cmp_le_u32_e32 vcc_lo, s29, v1
	v_cndmask_b32_e64 v11, 0, -1, vcc_lo
	v_cmp_le_u32_e32 vcc_lo, s28, v3
	v_cndmask_b32_e64 v3, 0, -1, vcc_lo
	;; [unrolled: 2-line block ×3, first 2 shown]
	v_cmp_eq_u32_e32 vcc_lo, s29, v1
	v_cndmask_b32_e32 v1, v11, v5, vcc_lo
	v_cmp_eq_u32_e32 vcc_lo, s29, v7
	s_delay_alu instid0(VALU_DEP_4) | instskip(NEXT) | instid1(VALU_DEP_3)
	v_cndmask_b32_e32 v3, v15, v3, vcc_lo
	v_cmp_ne_u32_e32 vcc_lo, 0, v1
	s_delay_alu instid0(VALU_DEP_2) | instskip(SKIP_1) | instid1(VALU_DEP_1)
	v_cmp_ne_u32_e64 s0, 0, v3
	v_dual_cndmask_b32 v3, v58, v56, vcc_lo :: v_dual_cndmask_b32 v1, v59, v57, vcc_lo
	v_dual_cndmask_b32 v3, v54, v3, s0 :: v_dual_cndmask_b32 v1, v55, v1, s0
	s_delay_alu instid0(VALU_DEP_1) | instskip(NEXT) | instid1(VALU_DEP_2)
	v_xor_b32_e32 v54, v3, v52
	v_xor_b32_e32 v55, v1, v52
	s_delay_alu instid0(VALU_DEP_1)
	v_sub_nc_u64_e32 v[52:53], v[54:55], v[52:53]
.LBB31_3580:                            ;   in Loop: Header=BB31_3578 Depth=1
	s_and_not1_saveexec_b32 s0, s42
	s_cbranch_execz .LBB31_3577
; %bb.3581:                             ;   in Loop: Header=BB31_3578 Depth=1
	v_cvt_f32_u32_e32 v1, s24
	s_sub_co_i32 s26, 0, s24
	v_mov_b32_e32 v53, v48
	s_delay_alu instid0(VALU_DEP_2) | instskip(SKIP_1) | instid1(TRANS32_DEP_1)
	v_rcp_iflag_f32_e32 v1, v1
	v_nop
	v_mul_f32_e32 v1, 0x4f7ffffe, v1
	s_delay_alu instid0(VALU_DEP_1) | instskip(NEXT) | instid1(VALU_DEP_1)
	v_cvt_u32_f32_e32 v1, v1
	v_mul_lo_u32 v3, s26, v1
	s_delay_alu instid0(VALU_DEP_1) | instskip(NEXT) | instid1(VALU_DEP_1)
	v_mul_hi_u32 v3, v1, v3
	v_add_nc_u32_e32 v1, v1, v3
	s_delay_alu instid0(VALU_DEP_1) | instskip(NEXT) | instid1(VALU_DEP_1)
	v_mul_hi_u32 v1, v50, v1
	v_mul_lo_u32 v3, v1, s24
	s_delay_alu instid0(VALU_DEP_1) | instskip(NEXT) | instid1(VALU_DEP_1)
	v_sub_nc_u32_e32 v3, v50, v3
	v_subrev_nc_u32_e32 v7, s24, v3
	v_cmp_le_u32_e32 vcc_lo, s24, v3
	s_delay_alu instid0(VALU_DEP_2) | instskip(NEXT) | instid1(VALU_DEP_1)
	v_dual_add_nc_u32 v5, 1, v1 :: v_dual_cndmask_b32 v3, v3, v7, vcc_lo
	v_cndmask_b32_e32 v1, v1, v5, vcc_lo
	s_delay_alu instid0(VALU_DEP_2) | instskip(NEXT) | instid1(VALU_DEP_2)
	v_cmp_le_u32_e32 vcc_lo, s24, v3
	v_add_nc_u32_e32 v5, 1, v1
	s_delay_alu instid0(VALU_DEP_1)
	v_cndmask_b32_e32 v52, v1, v5, vcc_lo
	s_branch .LBB31_3577
.LBB31_3582:
	s_or_b32 exec_lo, exec_lo, s41
	s_load_b64 s[20:21], s[2:3], 0x318
	s_get_pc_i64 s[0:1]
	s_add_nc_u64 s[0:1], s[0:1], .str.4@rel64+4
	s_mov_b32 s22, -1
	s_cmp_lg_u64 s[0:1], 0
	s_mov_b32 s41, s39
	s_cselect_b32 s45, -1, 0
	s_mov_b32 s0, exec_lo
	v_cmpx_gt_i64_e64 v[44:45], v[46:47]
	s_cbranch_execz .LBB31_3589
; %bb.3583:
	v_lshlrev_b64_e32 v[42:43], 3, v[42:43]
	s_mov_b32 s9, 0
	s_xor_b32 s22, s45, -1
                                        ; implicit-def: $sgpr1
                                        ; implicit-def: $sgpr24
                                        ; implicit-def: $sgpr23
	s_delay_alu instid0(VALU_DEP_1) | instskip(SKIP_3) | instid1(VALU_DEP_2)
	v_lshl_add_u64 v[46:47], v[46:47], 3, v[42:43]
	s_wait_loadcnt 0x0
	s_wait_kmcnt 0x0
	v_add_nc_u64_e32 v[48:49], s[20:21], v[42:43]
	v_add_nc_u64_e32 v[46:47], s[20:21], v[46:47]
	s_delay_alu instid0(VALU_DEP_2) | instskip(NEXT) | instid1(VALU_DEP_2)
	v_lshl_add_u64 v[44:45], v[44:45], 3, v[48:49]
	v_add_nc_u64_e32 v[42:43], 8, v[46:47]
	s_branch .LBB31_3585
.LBB31_3584:                            ;   in Loop: Header=BB31_3585 Depth=1
	s_or_b32 exec_lo, exec_lo, s25
	s_xor_b32 s25, s23, -1
	s_and_b32 s26, exec_lo, s24
	s_delay_alu instid0(SALU_CYCLE_1) | instskip(SKIP_2) | instid1(SALU_CYCLE_1)
	s_or_b32 s9, s26, s9
	s_and_not1_b32 s1, s1, exec_lo
	s_and_b32 s25, s25, exec_lo
	s_or_b32 s1, s1, s25
	s_and_not1_b32 exec_lo, exec_lo, s9
	s_cbranch_execz .LBB31_3587
.LBB31_3585:                            ; =>This Inner Loop Header: Depth=1
	s_or_b32 s23, s23, exec_lo
	s_or_b32 s24, s24, exec_lo
	s_mov_b32 s25, exec_lo
	s_delay_alu instid0(VALU_DEP_1)
	v_cmpx_lt_u64_e64 v[42:43], v[44:45]
	s_cbranch_execz .LBB31_3584
; %bb.3586:                             ;   in Loop: Header=BB31_3585 Depth=1
	global_load_b128 v[46:49], v[42:43], off offset:-8
	s_wait_xcnt 0x0
	v_add_nc_u64_e32 v[42:43], 8, v[42:43]
	s_and_not1_b32 s24, s24, exec_lo
	s_and_not1_b32 s23, s23, exec_lo
	s_wait_loadcnt 0x0
	v_cmp_ge_i64_e32 vcc_lo, v[46:47], v[48:49]
	s_or_b32 s26, s22, vcc_lo
	s_delay_alu instid0(SALU_CYCLE_1) | instskip(NEXT) | instid1(SALU_CYCLE_1)
	s_and_b32 s26, s26, exec_lo
	s_or_b32 s24, s24, s26
	s_branch .LBB31_3584
.LBB31_3587:
	s_or_b32 exec_lo, exec_lo, s9
	s_mov_b32 s9, -1
	s_mov_b32 s22, s39
	s_and_saveexec_b32 s23, s1
	s_delay_alu instid0(SALU_CYCLE_1)
	s_xor_b32 s1, exec_lo, s23
	s_cbranch_execnz .LBB31_3693
.LBB31_3588:
	s_or_b32 exec_lo, exec_lo, s1
	s_delay_alu instid0(SALU_CYCLE_1) | instskip(SKIP_1) | instid1(SALU_CYCLE_1)
	s_and_not1_b32 s1, s39, exec_lo
	s_and_b32 s22, s22, exec_lo
	s_or_b32 s41, s1, s22
	s_or_not1_b32 s22, s9, exec_lo
.LBB31_3589:
	s_or_b32 exec_lo, exec_lo, s0
	s_mov_b32 s1, 0
	s_mov_b32 s9, 0
                                        ; implicit-def: $vgpr42_vgpr43
                                        ; implicit-def: $sgpr0
	s_and_saveexec_b32 s42, s22
	s_cbranch_execz .LBB31_4419
; %bb.3590:
	v_mov_b32_e32 v41, 0
	s_and_b32 s55, 0xffff, s30
	s_delay_alu instid0(SALU_CYCLE_1) | instskip(NEXT) | instid1(VALU_DEP_1)
	s_cmp_lt_i32 s55, 11
	v_add_nc_u64_e32 v[42:43], s[6:7], v[40:41]
	s_cbranch_scc1 .LBB31_3598
; %bb.3591:
	s_cmp_gt_i32 s55, 25
	s_cbranch_scc0 .LBB31_3600
; %bb.3592:
	s_cmp_gt_i32 s55, 28
	s_cbranch_scc0 .LBB31_3602
	;; [unrolled: 3-line block ×4, first 2 shown]
; %bb.3595:
	s_cmp_eq_u32 s55, 46
	s_mov_b32 s22, 0
	s_cbranch_scc0 .LBB31_3781
; %bb.3596:
	global_load_b32 v1, v[42:43], off
	s_mov_b32 s0, 0
	s_mov_b32 s9, -1
	s_wait_loadcnt 0x0
	v_lshlrev_b32_e32 v1, 16, v1
	s_delay_alu instid0(VALU_DEP_1) | instskip(NEXT) | instid1(VALU_DEP_1)
	v_trunc_f32_e32 v1, v1
	v_mul_f32_e64 v3, 0x2f800000, |v1|
	v_ashrrev_i32_e32 v40, 31, v1
	s_delay_alu instid0(VALU_DEP_2) | instskip(NEXT) | instid1(VALU_DEP_2)
	v_floor_f32_e32 v3, v3
	v_mov_b32_e32 v41, v40
	s_delay_alu instid0(VALU_DEP_2) | instskip(SKIP_1) | instid1(VALU_DEP_2)
	v_fma_f32 v5, 0xcf800000, v3, |v1|
	v_cvt_u32_f32_e32 v1, v3
	v_cvt_u32_f32_e32 v3, v5
	s_delay_alu instid0(VALU_DEP_2) | instskip(NEXT) | instid1(VALU_DEP_2)
	v_xor_b32_e32 v45, v1, v40
	v_xor_b32_e32 v44, v3, v40
	s_delay_alu instid0(VALU_DEP_1)
	v_sub_nc_u64_e32 v[40:41], v[44:45], v[40:41]
	s_branch .LBB31_3783
.LBB31_3597:
	s_or_b32 s33, s33, exec_lo
	s_trap 2
	s_cbranch_execz .LBB31_3472
	s_branch .LBB31_3473
.LBB31_3598:
	s_mov_b32 s0, -1
	s_mov_b32 s43, s41
                                        ; implicit-def: $vgpr40_vgpr41
	s_branch .LBB31_3845
.LBB31_3599:
	s_mov_b32 s55, -1
	s_mov_b32 s56, 0
	s_mov_b32 s43, s40
	s_branch .LBB31_3735
.LBB31_3600:
	s_mov_b32 s22, -1
	s_mov_b32 s0, 0
                                        ; implicit-def: $vgpr40_vgpr41
	s_branch .LBB31_3810
.LBB31_3601:
	s_mov_b32 s57, -1
	s_mov_b32 s56, 0
	s_mov_b32 s43, s40
	s_branch .LBB31_3715
.LBB31_3602:
	s_mov_b32 s22, -1
	s_mov_b32 s0, 0
                                        ; implicit-def: $vgpr40_vgpr41
	s_branch .LBB31_3793
.LBB31_3603:
	s_mov_b32 s57, -1
	s_mov_b32 s56, 0
	s_mov_b32 s43, s40
	s_branch .LBB31_3704
.LBB31_3604:
	s_mov_b32 s22, -1
	s_mov_b32 s0, 0
                                        ; implicit-def: $vgpr40_vgpr41
	s_branch .LBB31_3788
.LBB31_3605:
	s_mov_b32 s56, -1
	s_mov_b32 s55, 0
	s_mov_b32 s42, s64
.LBB31_3606:
	s_and_b32 vcc_lo, exec_lo, s56
	s_cbranch_vccz .LBB31_3609
; %bb.3607:
	s_cmp_eq_u32 s54, 44
	s_mov_b32 s42, -1
	s_cbranch_scc0 .LBB31_3609
; %bb.3608:
	s_wait_xcnt 0x0
	v_mov_b32_e32 v1, 0
	s_mov_b32 s55, -1
	s_mov_b32 s42, 0
	global_store_b8 v[2:3], v1, off
.LBB31_3609:
	s_mov_b32 s56, 0
.LBB31_3610:
	s_delay_alu instid0(SALU_CYCLE_1)
	s_and_b32 vcc_lo, exec_lo, s56
	s_cbranch_vccz .LBB31_3613
; %bb.3611:
	s_cmp_eq_u32 s54, 29
	s_mov_b32 s42, -1
	s_cbranch_scc0 .LBB31_3613
; %bb.3612:
	v_mov_b64_e32 v[4:5], 0
	s_mov_b32 s55, -1
	s_mov_b32 s42, 0
	global_store_b64 v[2:3], v[4:5], off
.LBB31_3613:
	s_mov_b64 s[74:75], s[6:7]
	s_mov_b32 s56, 0
	s_mov_b64 s[72:73], s[4:5]
.LBB31_3614:
	s_and_b32 vcc_lo, exec_lo, s56
	s_cbranch_vccz .LBB31_3624
; %bb.3615:
	s_cmp_lt_i32 s54, 27
	s_mov_b32 s55, -1
	s_cbranch_scc1 .LBB31_3621
; %bb.3616:
	s_mov_b64 s[4:5], s[72:73]
	s_mov_b64 s[6:7], s[74:75]
	s_cmp_gt_i32 s54, 27
	s_cbranch_scc0 .LBB31_3618
; %bb.3617:
	s_wait_xcnt 0x0
	v_mov_b32_e32 v1, 0
	s_mov_b32 s55, 0
	global_store_b32 v[2:3], v1, off
.LBB31_3618:
	s_and_not1_b32 vcc_lo, exec_lo, s55
	s_cbranch_vccnz .LBB31_3620
; %bb.3619:
	s_wait_xcnt 0x0
	v_mov_b32_e32 v1, 0
	global_store_b16 v[2:3], v1, off
.LBB31_3620:
	s_mov_b64 s[74:75], s[6:7]
	s_mov_b32 s55, 0
	s_mov_b64 s[72:73], s[4:5]
.LBB31_3621:
	s_and_not1_b32 vcc_lo, exec_lo, s55
	s_cbranch_vccnz .LBB31_3623
; %bb.3622:
	s_wait_xcnt 0x0
	v_mov_b32_e32 v1, 0
	global_store_b8 v[2:3], v1, off
.LBB31_3623:
	s_mov_b32 s55, -1
.LBB31_3624:
	s_mov_b32 s56, 0
.LBB31_3625:
	s_delay_alu instid0(SALU_CYCLE_1)
	s_and_b32 vcc_lo, exec_lo, s56
	s_cbranch_vccz .LBB31_3645
; %bb.3626:
	s_cmp_gt_i32 s54, 22
	s_mov_b32 s56, -1
	s_cbranch_scc0 .LBB31_3636
; %bb.3627:
	s_cmp_lt_i32 s54, 24
	s_mov_b32 s55, -1
	s_cbranch_scc1 .LBB31_3633
; %bb.3628:
	s_mov_b64 s[4:5], s[72:73]
	s_mov_b64 s[6:7], s[74:75]
	s_cmp_gt_i32 s54, 24
	s_cbranch_scc0 .LBB31_3630
; %bb.3629:
	s_wait_xcnt 0x0
	v_mov_b32_e32 v1, 0
	s_mov_b32 s55, 0
	global_store_b8 v[2:3], v1, off
.LBB31_3630:
	s_and_not1_b32 vcc_lo, exec_lo, s55
	s_cbranch_vccnz .LBB31_3632
; %bb.3631:
	s_wait_xcnt 0x0
	v_mov_b32_e32 v1, 0
	global_store_b8 v[2:3], v1, off
.LBB31_3632:
	s_mov_b64 s[74:75], s[6:7]
	s_mov_b32 s55, 0
	s_mov_b64 s[72:73], s[4:5]
.LBB31_3633:
	s_and_not1_b32 vcc_lo, exec_lo, s55
	s_cbranch_vccnz .LBB31_3635
; %bb.3634:
	s_wait_xcnt 0x0
	v_mov_b32_e32 v1, 0
	global_store_b8 v[2:3], v1, off
.LBB31_3635:
	s_mov_b32 s56, 0
	s_mov_b32 s55, -1
.LBB31_3636:
	s_and_not1_b32 vcc_lo, exec_lo, s56
	s_cbranch_vccnz .LBB31_3645
; %bb.3637:
	s_mov_b64 s[4:5], s[72:73]
	s_mov_b64 s[6:7], s[74:75]
	s_cmp_gt_i32 s54, 14
	s_mov_b32 s56, -1
	s_cbranch_scc0 .LBB31_3641
; %bb.3638:
	s_cmp_eq_u32 s54, 15
	s_mov_b32 s42, -1
	s_cbranch_scc0 .LBB31_3640
; %bb.3639:
	s_wait_xcnt 0x0
	v_mov_b32_e32 v1, 0
	s_mov_b32 s55, -1
	s_mov_b32 s42, 0
	global_store_b16 v[2:3], v1, off
.LBB31_3640:
	s_mov_b32 s56, 0
.LBB31_3641:
	s_delay_alu instid0(SALU_CYCLE_1)
	s_and_b32 vcc_lo, exec_lo, s56
	s_cbranch_vccz .LBB31_3644
; %bb.3642:
	s_cmp_eq_u32 s54, 11
	s_mov_b32 s42, -1
	s_cbranch_scc0 .LBB31_3644
; %bb.3643:
	s_wait_xcnt 0x0
	v_mov_b32_e32 v1, 0
	s_mov_b32 s55, -1
	s_mov_b32 s42, 0
	global_store_b8 v[2:3], v1, off
.LBB31_3644:
	s_mov_b64 s[74:75], s[6:7]
	s_mov_b64 s[72:73], s[4:5]
.LBB31_3645:
	s_mov_b32 s54, 0
.LBB31_3646:
	s_delay_alu instid0(SALU_CYCLE_1)
	s_and_b32 vcc_lo, exec_lo, s54
	s_cbranch_vccz .LBB31_3685
; %bb.3647:
	s_and_b32 s43, 0xffff, s43
	s_mov_b32 s54, -1
	s_cmp_lt_i32 s43, 5
	s_cbranch_scc1 .LBB31_3668
; %bb.3648:
	s_cmp_lt_i32 s43, 8
	s_cbranch_scc1 .LBB31_3658
; %bb.3649:
	;; [unrolled: 3-line block ×3, first 2 shown]
	s_mov_b64 s[4:5], s[72:73]
	s_mov_b64 s[6:7], s[74:75]
	s_cmp_gt_i32 s43, 9
	s_cbranch_scc0 .LBB31_3652
; %bb.3651:
	s_wait_xcnt 0x0
	v_mov_b32_e32 v4, 0
	s_mov_b32 s54, 0
	s_delay_alu instid0(VALU_DEP_1)
	v_dual_mov_b32 v5, v4 :: v_dual_mov_b32 v6, v4
	v_mov_b32_e32 v7, v4
	global_store_b128 v[2:3], v[4:7], off
.LBB31_3652:
	s_and_not1_b32 vcc_lo, exec_lo, s54
	s_cbranch_vccnz .LBB31_3654
; %bb.3653:
	s_wait_xcnt 0x0
	v_mov_b64_e32 v[4:5], 0
	global_store_b64 v[2:3], v[4:5], off
.LBB31_3654:
	s_mov_b64 s[74:75], s[6:7]
	s_mov_b32 s54, 0
	s_mov_b64 s[72:73], s[4:5]
.LBB31_3655:
	s_and_not1_b32 vcc_lo, exec_lo, s54
	s_cbranch_vccnz .LBB31_3657
; %bb.3656:
	s_wait_xcnt 0x0
	v_mov_b32_e32 v1, 0
	global_store_b32 v[2:3], v1, off
.LBB31_3657:
	s_mov_b32 s54, 0
.LBB31_3658:
	s_delay_alu instid0(SALU_CYCLE_1)
	s_and_not1_b32 vcc_lo, exec_lo, s54
	s_cbranch_vccnz .LBB31_3667
; %bb.3659:
	s_cmp_lt_i32 s43, 6
	s_mov_b32 s54, -1
	s_cbranch_scc1 .LBB31_3665
; %bb.3660:
	s_mov_b64 s[4:5], s[72:73]
	s_mov_b64 s[6:7], s[74:75]
	s_cmp_gt_i32 s43, 6
	s_cbranch_scc0 .LBB31_3662
; %bb.3661:
	s_wait_xcnt 0x0
	v_mov_b64_e32 v[4:5], 0
	s_mov_b32 s54, 0
	global_store_b64 v[2:3], v[4:5], off
.LBB31_3662:
	s_and_not1_b32 vcc_lo, exec_lo, s54
	s_cbranch_vccnz .LBB31_3664
; %bb.3663:
	s_wait_xcnt 0x0
	v_mov_b32_e32 v1, 0
	global_store_b32 v[2:3], v1, off
.LBB31_3664:
	s_mov_b64 s[74:75], s[6:7]
	s_mov_b32 s54, 0
	s_mov_b64 s[72:73], s[4:5]
.LBB31_3665:
	s_and_not1_b32 vcc_lo, exec_lo, s54
	s_cbranch_vccnz .LBB31_3667
; %bb.3666:
	s_wait_xcnt 0x0
	v_mov_b32_e32 v1, 0
	global_store_b16 v[2:3], v1, off
.LBB31_3667:
	s_mov_b32 s54, 0
.LBB31_3668:
	s_delay_alu instid0(SALU_CYCLE_1)
	s_and_not1_b32 vcc_lo, exec_lo, s54
	s_cbranch_vccnz .LBB31_3684
; %bb.3669:
	s_cmp_lt_i32 s43, 2
	s_mov_b32 s54, -1
	s_cbranch_scc1 .LBB31_3679
; %bb.3670:
	s_cmp_lt_i32 s43, 3
	s_cbranch_scc1 .LBB31_3676
; %bb.3671:
	s_mov_b64 s[4:5], s[72:73]
	s_mov_b64 s[6:7], s[74:75]
	s_cmp_gt_i32 s43, 3
	s_cbranch_scc0 .LBB31_3673
; %bb.3672:
	s_wait_xcnt 0x0
	v_mov_b64_e32 v[4:5], 0
	s_mov_b32 s54, 0
	global_store_b64 v[2:3], v[4:5], off
.LBB31_3673:
	s_and_not1_b32 vcc_lo, exec_lo, s54
	s_cbranch_vccnz .LBB31_3675
; %bb.3674:
	s_wait_xcnt 0x0
	v_mov_b32_e32 v1, 0
	global_store_b32 v[2:3], v1, off
.LBB31_3675:
	s_mov_b64 s[74:75], s[6:7]
	s_mov_b32 s54, 0
	s_mov_b64 s[72:73], s[4:5]
.LBB31_3676:
	s_and_not1_b32 vcc_lo, exec_lo, s54
	s_cbranch_vccnz .LBB31_3678
; %bb.3677:
	s_wait_xcnt 0x0
	v_mov_b32_e32 v1, 0
	global_store_b16 v[2:3], v1, off
.LBB31_3678:
	s_mov_b32 s54, 0
.LBB31_3679:
	s_delay_alu instid0(SALU_CYCLE_1)
	s_and_not1_b32 vcc_lo, exec_lo, s54
	s_cbranch_vccnz .LBB31_3684
; %bb.3680:
	s_cmp_gt_i32 s43, 0
	s_mov_b32 s43, -1
	s_cbranch_scc0 .LBB31_3682
; %bb.3681:
	s_wait_xcnt 0x0
	v_mov_b32_e32 v1, 0
	s_mov_b32 s43, 0
	global_store_b8 v[2:3], v1, off
.LBB31_3682:
	s_and_not1_b32 vcc_lo, exec_lo, s43
	s_cbranch_vccnz .LBB31_3684
; %bb.3683:
	s_wait_xcnt 0x0
	v_mov_b32_e32 v1, 0
	global_store_b8 v[2:3], v1, off
.LBB31_3684:
	s_mov_b32 s55, -1
.LBB31_3685:
	s_delay_alu instid0(SALU_CYCLE_1)
	s_and_not1_b32 vcc_lo, exec_lo, s55
	s_cbranch_vccnz .LBB31_3687
; %bb.3686:
	v_add_nc_u32_e32 v0, 0x80, v0
	s_mov_b32 s43, -1
	s_branch .LBB31_3688
.LBB31_3687:
	s_mov_b32 s43, 0
                                        ; implicit-def: $vgpr0
.LBB31_3688:
	s_and_not1_b32 s20, s64, exec_lo
	s_and_b32 s21, s42, exec_lo
	s_and_not1_b32 s0, s0, exec_lo
	s_or_b32 s42, s20, s21
	s_and_b32 s43, s43, exec_lo
.LBB31_3689:
	s_wait_xcnt 0x0
	s_or_b32 exec_lo, exec_lo, s35
	s_delay_alu instid0(SALU_CYCLE_1)
	s_and_not1_b32 s20, s64, exec_lo
	s_and_b32 s21, s42, exec_lo
	s_and_not1_b32 s22, s65, exec_lo
	s_and_b32 s0, s0, exec_lo
	s_or_b32 s54, s20, s21
	s_or_b32 s0, s22, s0
	s_xor_b32 s42, exec_lo, -1
	s_and_b32 s35, s43, exec_lo
.LBB31_3690:
	s_or_b32 exec_lo, exec_lo, s41
	s_delay_alu instid0(SALU_CYCLE_1)
	s_and_not1_b32 s20, s64, exec_lo
	s_and_b32 s21, s54, exec_lo
	s_and_b32 s0, s0, exec_lo
	s_or_b32 s43, s20, s21
	s_and_not1_b32 s20, s65, exec_lo
	s_and_not1_b32 s21, s39, exec_lo
	s_and_b32 s22, s42, exec_lo
	s_or_b32 s54, s20, s0
	s_or_b32 s42, s21, s22
	s_xor_b32 s41, exec_lo, -1
	s_and_b32 s0, s35, exec_lo
.LBB31_3691:
	s_or_b32 exec_lo, exec_lo, s40
	s_delay_alu instid0(SALU_CYCLE_1)
	s_and_not1_b32 s20, s64, exec_lo
	s_and_b32 s21, s43, exec_lo
	s_and_not1_b32 s22, s65, exec_lo
	s_and_b32 s23, s54, exec_lo
	s_or_b32 s35, s20, s21
	s_or_b32 s40, s22, s23
	s_and_not1_b32 s20, s39, exec_lo
	s_and_b32 s21, s42, exec_lo
	s_and_not1_b32 s22, s80, exec_lo
	s_and_b32 s23, s41, exec_lo
	s_or_b32 s41, s20, s21
	s_or_b32 s43, s22, s23
	s_xor_b32 s42, exec_lo, -1
	s_and_b32 s0, s0, exec_lo
	s_or_b32 exec_lo, exec_lo, s93
	s_branch .LBB31_1325
.LBB31_3692:
	s_mov_b32 s57, -1
	s_mov_b32 s56, 0
	s_mov_b32 s43, s40
	s_branch .LBB31_3700
.LBB31_3693:
	s_or_b32 s22, s39, exec_lo
	s_xor_b32 s9, exec_lo, -1
	s_trap 2
	s_branch .LBB31_3588
.LBB31_3694:
	s_mov_b32 s22, -1
	s_mov_b32 s0, 0
	s_branch .LBB31_3782
.LBB31_3695:
	s_mov_b32 s57, -1
	s_mov_b32 s56, 0
	s_mov_b32 s43, s40
.LBB31_3696:
	s_and_b32 vcc_lo, exec_lo, s57
	s_cbranch_vccz .LBB31_3699
; %bb.3697:
	s_cmp_eq_u32 s55, 44
	s_mov_b32 s43, -1
	s_cbranch_scc0 .LBB31_3699
; %bb.3698:
	s_wait_xcnt 0x0
	v_mov_b32_e32 v1, 0
	s_mov_b32 s56, -1
	s_mov_b32 s43, 0
	global_store_b8 v[2:3], v1, off
.LBB31_3699:
	s_mov_b32 s57, 0
.LBB31_3700:
	s_delay_alu instid0(SALU_CYCLE_1)
	s_and_b32 vcc_lo, exec_lo, s57
	s_cbranch_vccz .LBB31_3703
; %bb.3701:
	s_cmp_eq_u32 s55, 29
	s_mov_b32 s43, -1
	s_cbranch_scc0 .LBB31_3703
; %bb.3702:
	v_mov_b64_e32 v[4:5], 0
	s_mov_b32 s56, -1
	s_mov_b32 s43, 0
	s_mov_b32 s57, 0
	global_store_b64 v[2:3], v[4:5], off
	s_branch .LBB31_3704
.LBB31_3703:
	s_mov_b32 s57, 0
.LBB31_3704:
	s_delay_alu instid0(SALU_CYCLE_1)
	s_and_b32 vcc_lo, exec_lo, s57
	s_cbranch_vccz .LBB31_3714
; %bb.3705:
	s_cmp_lt_i32 s55, 27
	s_mov_b32 s56, -1
	s_cbranch_scc1 .LBB31_3711
; %bb.3706:
	s_cmp_gt_i32 s55, 27
	s_cbranch_scc0 .LBB31_3708
; %bb.3707:
	s_wait_xcnt 0x0
	v_mov_b32_e32 v1, 0
	s_mov_b32 s56, 0
	global_store_b32 v[2:3], v1, off
.LBB31_3708:
	s_and_not1_b32 vcc_lo, exec_lo, s56
	s_cbranch_vccnz .LBB31_3710
; %bb.3709:
	s_wait_xcnt 0x0
	v_mov_b32_e32 v1, 0
	global_store_b16 v[2:3], v1, off
.LBB31_3710:
	s_mov_b32 s56, 0
.LBB31_3711:
	s_delay_alu instid0(SALU_CYCLE_1)
	s_and_not1_b32 vcc_lo, exec_lo, s56
	s_cbranch_vccnz .LBB31_3713
; %bb.3712:
	s_wait_xcnt 0x0
	v_mov_b32_e32 v1, 0
	global_store_b8 v[2:3], v1, off
.LBB31_3713:
	s_mov_b32 s56, -1
.LBB31_3714:
	s_mov_b32 s57, 0
.LBB31_3715:
	s_delay_alu instid0(SALU_CYCLE_1)
	s_and_b32 vcc_lo, exec_lo, s57
	s_cbranch_vccz .LBB31_3734
; %bb.3716:
	s_cmp_gt_i32 s55, 22
	s_mov_b32 s57, -1
	s_cbranch_scc0 .LBB31_3726
; %bb.3717:
	s_cmp_lt_i32 s55, 24
	s_mov_b32 s56, -1
	s_cbranch_scc1 .LBB31_3723
; %bb.3718:
	s_cmp_gt_i32 s55, 24
	s_cbranch_scc0 .LBB31_3720
; %bb.3719:
	s_wait_xcnt 0x0
	v_mov_b32_e32 v1, 0
	s_mov_b32 s56, 0
	global_store_b8 v[2:3], v1, off
.LBB31_3720:
	s_and_not1_b32 vcc_lo, exec_lo, s56
	s_cbranch_vccnz .LBB31_3722
; %bb.3721:
	s_wait_xcnt 0x0
	v_mov_b32_e32 v1, 0
	global_store_b8 v[2:3], v1, off
.LBB31_3722:
	s_mov_b32 s56, 0
.LBB31_3723:
	s_delay_alu instid0(SALU_CYCLE_1)
	s_and_not1_b32 vcc_lo, exec_lo, s56
	s_cbranch_vccnz .LBB31_3725
; %bb.3724:
	s_wait_xcnt 0x0
	v_mov_b32_e32 v1, 0
	global_store_b8 v[2:3], v1, off
.LBB31_3725:
	s_mov_b32 s57, 0
	s_mov_b32 s56, -1
.LBB31_3726:
	s_and_not1_b32 vcc_lo, exec_lo, s57
	s_cbranch_vccnz .LBB31_3734
; %bb.3727:
	s_cmp_gt_i32 s55, 14
	s_mov_b32 s57, -1
	s_cbranch_scc0 .LBB31_3731
; %bb.3728:
	s_cmp_eq_u32 s55, 15
	s_mov_b32 s43, -1
	s_cbranch_scc0 .LBB31_3730
; %bb.3729:
	s_wait_xcnt 0x0
	v_mov_b32_e32 v1, 0
	s_mov_b32 s56, -1
	s_mov_b32 s43, 0
	global_store_b16 v[2:3], v1, off
.LBB31_3730:
	s_mov_b32 s57, 0
.LBB31_3731:
	s_delay_alu instid0(SALU_CYCLE_1)
	s_and_b32 vcc_lo, exec_lo, s57
	s_cbranch_vccz .LBB31_3734
; %bb.3732:
	s_cmp_eq_u32 s55, 11
	s_mov_b32 s43, -1
	s_cbranch_scc0 .LBB31_3734
; %bb.3733:
	s_wait_xcnt 0x0
	v_mov_b32_e32 v1, 0
	s_mov_b32 s56, -1
	s_mov_b32 s43, 0
	global_store_b8 v[2:3], v1, off
.LBB31_3734:
	s_mov_b32 s55, 0
.LBB31_3735:
	s_delay_alu instid0(SALU_CYCLE_1)
	s_and_b32 vcc_lo, exec_lo, s55
	s_cbranch_vccz .LBB31_3774
; %bb.3736:
	s_and_b32 s54, 0xffff, s54
	s_mov_b32 s55, -1
	s_cmp_lt_i32 s54, 5
	s_cbranch_scc1 .LBB31_3757
; %bb.3737:
	s_cmp_lt_i32 s54, 8
	s_cbranch_scc1 .LBB31_3747
; %bb.3738:
	;; [unrolled: 3-line block ×3, first 2 shown]
	s_cmp_gt_i32 s54, 9
	s_cbranch_scc0 .LBB31_3741
; %bb.3740:
	s_wait_xcnt 0x0
	v_mov_b32_e32 v4, 0
	s_mov_b32 s55, 0
	s_delay_alu instid0(VALU_DEP_1)
	v_dual_mov_b32 v5, v4 :: v_dual_mov_b32 v6, v4
	v_mov_b32_e32 v7, v4
	global_store_b128 v[2:3], v[4:7], off
.LBB31_3741:
	s_and_not1_b32 vcc_lo, exec_lo, s55
	s_cbranch_vccnz .LBB31_3743
; %bb.3742:
	s_wait_xcnt 0x0
	v_mov_b64_e32 v[4:5], 0
	global_store_b64 v[2:3], v[4:5], off
.LBB31_3743:
	s_mov_b32 s55, 0
.LBB31_3744:
	s_delay_alu instid0(SALU_CYCLE_1)
	s_and_not1_b32 vcc_lo, exec_lo, s55
	s_cbranch_vccnz .LBB31_3746
; %bb.3745:
	s_wait_xcnt 0x0
	v_mov_b32_e32 v1, 0
	global_store_b32 v[2:3], v1, off
.LBB31_3746:
	s_mov_b32 s55, 0
.LBB31_3747:
	s_delay_alu instid0(SALU_CYCLE_1)
	s_and_not1_b32 vcc_lo, exec_lo, s55
	s_cbranch_vccnz .LBB31_3756
; %bb.3748:
	s_cmp_lt_i32 s54, 6
	s_mov_b32 s55, -1
	s_cbranch_scc1 .LBB31_3754
; %bb.3749:
	s_cmp_gt_i32 s54, 6
	s_cbranch_scc0 .LBB31_3751
; %bb.3750:
	s_wait_xcnt 0x0
	v_mov_b64_e32 v[4:5], 0
	s_mov_b32 s55, 0
	global_store_b64 v[2:3], v[4:5], off
.LBB31_3751:
	s_and_not1_b32 vcc_lo, exec_lo, s55
	s_cbranch_vccnz .LBB31_3753
; %bb.3752:
	s_wait_xcnt 0x0
	v_mov_b32_e32 v1, 0
	global_store_b32 v[2:3], v1, off
.LBB31_3753:
	s_mov_b32 s55, 0
.LBB31_3754:
	s_delay_alu instid0(SALU_CYCLE_1)
	s_and_not1_b32 vcc_lo, exec_lo, s55
	s_cbranch_vccnz .LBB31_3756
; %bb.3755:
	s_wait_xcnt 0x0
	v_mov_b32_e32 v1, 0
	global_store_b16 v[2:3], v1, off
.LBB31_3756:
	s_mov_b32 s55, 0
.LBB31_3757:
	s_delay_alu instid0(SALU_CYCLE_1)
	s_and_not1_b32 vcc_lo, exec_lo, s55
	s_cbranch_vccnz .LBB31_3773
; %bb.3758:
	s_cmp_lt_i32 s54, 2
	s_mov_b32 s55, -1
	s_cbranch_scc1 .LBB31_3768
; %bb.3759:
	s_cmp_lt_i32 s54, 3
	s_cbranch_scc1 .LBB31_3765
; %bb.3760:
	s_cmp_gt_i32 s54, 3
	s_cbranch_scc0 .LBB31_3762
; %bb.3761:
	s_wait_xcnt 0x0
	v_mov_b64_e32 v[4:5], 0
	s_mov_b32 s55, 0
	global_store_b64 v[2:3], v[4:5], off
.LBB31_3762:
	s_and_not1_b32 vcc_lo, exec_lo, s55
	s_cbranch_vccnz .LBB31_3764
; %bb.3763:
	s_wait_xcnt 0x0
	v_mov_b32_e32 v1, 0
	global_store_b32 v[2:3], v1, off
.LBB31_3764:
	s_mov_b32 s55, 0
.LBB31_3765:
	s_delay_alu instid0(SALU_CYCLE_1)
	s_and_not1_b32 vcc_lo, exec_lo, s55
	s_cbranch_vccnz .LBB31_3767
; %bb.3766:
	s_wait_xcnt 0x0
	v_mov_b32_e32 v1, 0
	global_store_b16 v[2:3], v1, off
.LBB31_3767:
	s_mov_b32 s55, 0
.LBB31_3768:
	s_delay_alu instid0(SALU_CYCLE_1)
	s_and_not1_b32 vcc_lo, exec_lo, s55
	s_cbranch_vccnz .LBB31_3773
; %bb.3769:
	s_cmp_gt_i32 s54, 0
	s_mov_b32 s54, -1
	s_cbranch_scc0 .LBB31_3771
; %bb.3770:
	s_wait_xcnt 0x0
	v_mov_b32_e32 v1, 0
	s_mov_b32 s54, 0
	global_store_b8 v[2:3], v1, off
.LBB31_3771:
	s_and_not1_b32 vcc_lo, exec_lo, s54
	s_cbranch_vccnz .LBB31_3773
; %bb.3772:
	s_wait_xcnt 0x0
	v_mov_b32_e32 v1, 0
	global_store_b8 v[2:3], v1, off
.LBB31_3773:
	s_mov_b32 s56, -1
.LBB31_3774:
	s_delay_alu instid0(SALU_CYCLE_1)
	s_and_not1_b32 vcc_lo, exec_lo, s56
	s_cbranch_vccnz .LBB31_3776
; %bb.3775:
	v_add_nc_u32_e32 v0, 0x80, v0
	s_mov_b32 s54, -1
	s_branch .LBB31_3777
.LBB31_3776:
	s_mov_b32 s54, 0
                                        ; implicit-def: $vgpr0
.LBB31_3777:
	s_and_not1_b32 s21, s40, exec_lo
	s_and_b32 s22, s43, exec_lo
	s_and_not1_b32 s0, s0, exec_lo
	s_or_b32 s43, s21, s22
	s_and_b32 s54, s54, exec_lo
.LBB31_3778:
	s_wait_xcnt 0x0
	s_or_b32 exec_lo, exec_lo, s35
	s_delay_alu instid0(SALU_CYCLE_1)
	s_and_not1_b32 s21, s40, exec_lo
	s_and_b32 s22, s43, exec_lo
	s_and_not1_b32 s23, s96, exec_lo
	s_and_b32 s0, s0, exec_lo
	s_or_b32 s55, s21, s22
	s_or_b32 s0, s23, s0
	s_xor_b32 s43, exec_lo, -1
	s_and_b32 s35, s54, exec_lo
.LBB31_3779:
	s_or_b32 exec_lo, exec_lo, s42
	s_delay_alu instid0(SALU_CYCLE_1)
	s_and_not1_b32 s21, s40, exec_lo
	s_and_b32 s22, s55, exec_lo
	s_and_b32 s0, s0, exec_lo
	s_or_b32 s54, s21, s22
	s_and_not1_b32 s21, s96, exec_lo
	s_and_not1_b32 s22, s79, exec_lo
	s_and_b32 s23, s43, exec_lo
	s_or_b32 s55, s21, s0
	s_or_b32 s43, s22, s23
	s_xor_b32 s42, exec_lo, -1
	s_and_b32 s0, s35, exec_lo
.LBB31_3780:
	s_or_b32 exec_lo, exec_lo, s41
	s_delay_alu instid0(SALU_CYCLE_1)
	s_and_not1_b32 s21, s40, exec_lo
	s_and_b32 s22, s54, exec_lo
	s_and_not1_b32 s23, s96, exec_lo
	s_and_b32 s24, s55, exec_lo
	s_or_b32 s35, s21, s22
	s_or_b32 s41, s23, s24
	s_and_not1_b32 s21, s79, exec_lo
	s_and_b32 s22, s43, exec_lo
	s_and_not1_b32 s23, s93, exec_lo
	s_and_b32 s24, s42, exec_lo
	s_or_b32 s42, s21, s22
	s_or_b32 s54, s23, s24
	s_xor_b32 s43, exec_lo, -1
	s_and_b32 s0, s0, exec_lo
	s_or_b32 exec_lo, exec_lo, s95
	s_branch .LBB31_2086
.LBB31_3781:
	s_mov_b32 s0, -1
.LBB31_3782:
                                        ; implicit-def: $vgpr40_vgpr41
.LBB31_3783:
	s_and_b32 vcc_lo, exec_lo, s22
	s_cbranch_vccz .LBB31_3787
; %bb.3784:
	s_cmp_eq_u32 s55, 44
	s_cbranch_scc0 .LBB31_3786
; %bb.3785:
	global_load_u8 v1, v[42:43], off
	s_mov_b32 s0, 0
	s_mov_b32 s9, -1
	s_wait_loadcnt 0x0
	v_lshlrev_b32_e32 v3, 23, v1
	v_cmp_ne_u32_e32 vcc_lo, 0, v1
	s_delay_alu instid0(VALU_DEP_2) | instskip(NEXT) | instid1(VALU_DEP_1)
	v_trunc_f32_e32 v3, v3
	v_mul_f32_e64 v5, 0x2f800000, |v3|
	v_ashrrev_i32_e32 v40, 31, v3
	s_delay_alu instid0(VALU_DEP_2) | instskip(NEXT) | instid1(VALU_DEP_2)
	v_floor_f32_e32 v5, v5
	v_mov_b32_e32 v41, v40
	s_delay_alu instid0(VALU_DEP_2) | instskip(SKIP_1) | instid1(VALU_DEP_2)
	v_fma_f32 v7, 0xcf800000, v5, |v3|
	v_cvt_u32_f32_e32 v3, v5
	v_cvt_u32_f32_e32 v5, v7
	s_delay_alu instid0(VALU_DEP_2) | instskip(NEXT) | instid1(VALU_DEP_2)
	v_xor_b32_e32 v45, v3, v40
	v_xor_b32_e32 v44, v5, v40
	s_delay_alu instid0(VALU_DEP_1) | instskip(NEXT) | instid1(VALU_DEP_1)
	v_sub_nc_u64_e32 v[40:41], v[44:45], v[40:41]
	v_dual_cndmask_b32 v41, 0, v41 :: v_dual_cndmask_b32 v40, 0, v40
	s_branch .LBB31_3787
.LBB31_3786:
	s_mov_b32 s0, -1
                                        ; implicit-def: $vgpr40_vgpr41
.LBB31_3787:
	s_mov_b32 s22, 0
.LBB31_3788:
	s_delay_alu instid0(SALU_CYCLE_1)
	s_and_b32 vcc_lo, exec_lo, s22
	s_cbranch_vccz .LBB31_3792
; %bb.3789:
	s_cmp_eq_u32 s55, 29
	s_cbranch_scc0 .LBB31_3791
; %bb.3790:
	global_load_b64 v[40:41], v[42:43], off
	s_mov_b32 s0, 0
	s_mov_b32 s9, -1
	s_branch .LBB31_3792
.LBB31_3791:
	s_mov_b32 s0, -1
                                        ; implicit-def: $vgpr40_vgpr41
.LBB31_3792:
	s_mov_b32 s22, 0
.LBB31_3793:
	s_delay_alu instid0(SALU_CYCLE_1)
	s_and_b32 vcc_lo, exec_lo, s22
	s_cbranch_vccz .LBB31_3809
; %bb.3794:
	s_cmp_lt_i32 s55, 27
	s_cbranch_scc1 .LBB31_3797
; %bb.3795:
	s_cmp_gt_i32 s55, 27
	s_cbranch_scc0 .LBB31_3798
; %bb.3796:
	s_wait_loadcnt 0x0
	global_load_b32 v40, v[42:43], off
	v_mov_b32_e32 v41, 0
	s_mov_b32 s9, 0
	s_branch .LBB31_3799
.LBB31_3797:
	s_mov_b32 s9, -1
                                        ; implicit-def: $vgpr40_vgpr41
	s_branch .LBB31_3802
.LBB31_3798:
	s_mov_b32 s9, -1
                                        ; implicit-def: $vgpr40_vgpr41
.LBB31_3799:
	s_delay_alu instid0(SALU_CYCLE_1)
	s_and_not1_b32 vcc_lo, exec_lo, s9
	s_cbranch_vccnz .LBB31_3801
; %bb.3800:
	global_load_u16 v1, v[42:43], off
	s_mov_b32 s9, 0
	s_wait_loadcnt 0x1
	v_mov_b32_e32 v41, s9
	s_wait_loadcnt 0x0
	v_and_b32_e32 v40, 0xffff, v1
.LBB31_3801:
	s_mov_b32 s9, 0
.LBB31_3802:
	s_delay_alu instid0(SALU_CYCLE_1)
	s_and_not1_b32 vcc_lo, exec_lo, s9
	s_cbranch_vccnz .LBB31_3808
; %bb.3803:
	global_load_u8 v1, v[42:43], off
	s_mov_b32 s22, 0
	s_mov_b32 s9, exec_lo
	s_wait_loadcnt 0x0
	v_cmpx_lt_i16_e32 0x7f, v1
	s_xor_b32 s9, exec_lo, s9
	s_cbranch_execz .LBB31_3820
; %bb.3804:
	v_cmp_ne_u16_e32 vcc_lo, 0x80, v1
	s_and_b32 s22, vcc_lo, exec_lo
	s_and_not1_saveexec_b32 s9, s9
	s_cbranch_execnz .LBB31_3821
.LBB31_3805:
	s_or_b32 exec_lo, exec_lo, s9
	v_mov_b64_e32 v[40:41], 0
	s_and_saveexec_b32 s9, s22
	s_cbranch_execz .LBB31_3807
.LBB31_3806:
	v_and_b32_e32 v3, 0xffff, v1
	s_delay_alu instid0(VALU_DEP_1) | instskip(SKIP_1) | instid1(VALU_DEP_2)
	v_dual_lshlrev_b32 v1, 24, v1 :: v_dual_bitop2_b32 v5, 7, v3 bitop3:0x40
	v_bfe_u32 v15, v3, 3, 4
	v_and_b32_e32 v1, 0x80000000, v1
	s_delay_alu instid0(VALU_DEP_3) | instskip(NEXT) | instid1(VALU_DEP_3)
	v_clz_i32_u32_e32 v7, v5
	v_cmp_eq_u32_e32 vcc_lo, 0, v15
	s_delay_alu instid0(VALU_DEP_2) | instskip(NEXT) | instid1(VALU_DEP_1)
	v_min_u32_e32 v7, 32, v7
	v_subrev_nc_u32_e32 v11, 28, v7
	v_sub_nc_u32_e32 v7, 29, v7
	s_delay_alu instid0(VALU_DEP_2) | instskip(NEXT) | instid1(VALU_DEP_2)
	v_lshlrev_b32_e32 v3, v11, v3
	v_cndmask_b32_e32 v7, v15, v7, vcc_lo
	s_delay_alu instid0(VALU_DEP_2) | instskip(NEXT) | instid1(VALU_DEP_1)
	v_and_b32_e32 v3, 7, v3
	v_cndmask_b32_e32 v3, v5, v3, vcc_lo
	s_delay_alu instid0(VALU_DEP_3) | instskip(NEXT) | instid1(VALU_DEP_2)
	v_lshl_add_u32 v5, v7, 23, 0x3b800000
	v_lshlrev_b32_e32 v3, 20, v3
	s_delay_alu instid0(VALU_DEP_1) | instskip(NEXT) | instid1(VALU_DEP_1)
	v_or3_b32 v1, v1, v5, v3
	v_trunc_f32_e32 v1, v1
	s_delay_alu instid0(VALU_DEP_1) | instskip(SKIP_1) | instid1(VALU_DEP_2)
	v_mul_f32_e64 v3, 0x2f800000, |v1|
	v_ashrrev_i32_e32 v40, 31, v1
	v_floor_f32_e32 v3, v3
	s_delay_alu instid0(VALU_DEP_2) | instskip(NEXT) | instid1(VALU_DEP_2)
	v_mov_b32_e32 v41, v40
	v_fma_f32 v5, 0xcf800000, v3, |v1|
	v_cvt_u32_f32_e32 v1, v3
	s_delay_alu instid0(VALU_DEP_2) | instskip(NEXT) | instid1(VALU_DEP_2)
	v_cvt_u32_f32_e32 v3, v5
	v_xor_b32_e32 v45, v1, v40
	s_delay_alu instid0(VALU_DEP_2) | instskip(NEXT) | instid1(VALU_DEP_1)
	v_xor_b32_e32 v44, v3, v40
	v_sub_nc_u64_e32 v[40:41], v[44:45], v[40:41]
.LBB31_3807:
	s_or_b32 exec_lo, exec_lo, s9
.LBB31_3808:
	s_mov_b32 s9, -1
.LBB31_3809:
	s_mov_b32 s22, 0
.LBB31_3810:
	s_delay_alu instid0(SALU_CYCLE_1)
	s_and_b32 vcc_lo, exec_lo, s22
	s_cbranch_vccz .LBB31_3841
; %bb.3811:
	s_cmp_gt_i32 s55, 22
	s_cbranch_scc0 .LBB31_3819
; %bb.3812:
	s_cmp_lt_i32 s55, 24
	s_cbranch_scc1 .LBB31_3822
; %bb.3813:
	s_cmp_gt_i32 s55, 24
	s_cbranch_scc0 .LBB31_3823
; %bb.3814:
	global_load_u8 v1, v[42:43], off
	s_mov_b32 s9, 0
	s_mov_b32 s1, exec_lo
	s_wait_loadcnt 0x0
	v_cmpx_lt_i16_e32 0x7f, v1
	s_xor_b32 s1, exec_lo, s1
	s_cbranch_execz .LBB31_3835
; %bb.3815:
	v_cmp_ne_u16_e32 vcc_lo, 0x80, v1
	s_and_b32 s9, vcc_lo, exec_lo
	s_and_not1_saveexec_b32 s1, s1
	s_cbranch_execnz .LBB31_3836
.LBB31_3816:
	s_or_b32 exec_lo, exec_lo, s1
	v_mov_b64_e32 v[40:41], 0
	s_and_saveexec_b32 s1, s9
	s_cbranch_execz .LBB31_3818
.LBB31_3817:
	v_and_b32_e32 v3, 0xffff, v1
	s_delay_alu instid0(VALU_DEP_1) | instskip(SKIP_1) | instid1(VALU_DEP_2)
	v_dual_lshlrev_b32 v1, 24, v1 :: v_dual_bitop2_b32 v5, 3, v3 bitop3:0x40
	v_bfe_u32 v15, v3, 2, 5
	v_and_b32_e32 v1, 0x80000000, v1
	s_delay_alu instid0(VALU_DEP_3) | instskip(NEXT) | instid1(VALU_DEP_3)
	v_clz_i32_u32_e32 v7, v5
	v_cmp_eq_u32_e32 vcc_lo, 0, v15
	s_delay_alu instid0(VALU_DEP_2) | instskip(NEXT) | instid1(VALU_DEP_1)
	v_min_u32_e32 v7, 32, v7
	v_subrev_nc_u32_e32 v11, 29, v7
	v_sub_nc_u32_e32 v7, 30, v7
	s_delay_alu instid0(VALU_DEP_2) | instskip(NEXT) | instid1(VALU_DEP_2)
	v_lshlrev_b32_e32 v3, v11, v3
	v_cndmask_b32_e32 v7, v15, v7, vcc_lo
	s_delay_alu instid0(VALU_DEP_2) | instskip(NEXT) | instid1(VALU_DEP_1)
	v_and_b32_e32 v3, 3, v3
	v_cndmask_b32_e32 v3, v5, v3, vcc_lo
	s_delay_alu instid0(VALU_DEP_3) | instskip(NEXT) | instid1(VALU_DEP_2)
	v_lshl_add_u32 v5, v7, 23, 0x37800000
	v_lshlrev_b32_e32 v3, 21, v3
	s_delay_alu instid0(VALU_DEP_1) | instskip(NEXT) | instid1(VALU_DEP_1)
	v_or3_b32 v1, v1, v5, v3
	v_trunc_f32_e32 v1, v1
	s_delay_alu instid0(VALU_DEP_1) | instskip(SKIP_1) | instid1(VALU_DEP_2)
	v_mul_f32_e64 v3, 0x2f800000, |v1|
	v_ashrrev_i32_e32 v40, 31, v1
	v_floor_f32_e32 v3, v3
	s_delay_alu instid0(VALU_DEP_2) | instskip(NEXT) | instid1(VALU_DEP_2)
	v_mov_b32_e32 v41, v40
	v_fma_f32 v5, 0xcf800000, v3, |v1|
	v_cvt_u32_f32_e32 v1, v3
	s_delay_alu instid0(VALU_DEP_2) | instskip(NEXT) | instid1(VALU_DEP_2)
	v_cvt_u32_f32_e32 v3, v5
	v_xor_b32_e32 v45, v1, v40
	s_delay_alu instid0(VALU_DEP_2) | instskip(NEXT) | instid1(VALU_DEP_1)
	v_xor_b32_e32 v44, v3, v40
	v_sub_nc_u64_e32 v[40:41], v[44:45], v[40:41]
.LBB31_3818:
	s_or_b32 exec_lo, exec_lo, s1
	s_mov_b32 s1, 0
	s_branch .LBB31_3824
.LBB31_3819:
	s_mov_b32 s1, -1
                                        ; implicit-def: $vgpr40_vgpr41
	s_branch .LBB31_3830
.LBB31_3820:
	s_and_not1_saveexec_b32 s9, s9
	s_cbranch_execz .LBB31_3805
.LBB31_3821:
	v_cmp_ne_u16_e32 vcc_lo, 0, v1
	s_and_not1_b32 s22, s22, exec_lo
	s_and_b32 s23, vcc_lo, exec_lo
	s_delay_alu instid0(SALU_CYCLE_1)
	s_or_b32 s22, s22, s23
	s_or_b32 exec_lo, exec_lo, s9
	v_mov_b64_e32 v[40:41], 0
	s_and_saveexec_b32 s9, s22
	s_cbranch_execnz .LBB31_3806
	s_branch .LBB31_3807
.LBB31_3822:
	s_mov_b32 s1, -1
                                        ; implicit-def: $vgpr40_vgpr41
	s_branch .LBB31_3827
.LBB31_3823:
	s_mov_b32 s1, -1
                                        ; implicit-def: $vgpr40_vgpr41
.LBB31_3824:
	s_delay_alu instid0(SALU_CYCLE_1)
	s_and_b32 vcc_lo, exec_lo, s1
	s_cbranch_vccz .LBB31_3826
; %bb.3825:
	global_load_u8 v1, v[42:43], off
	s_wait_loadcnt 0x0
	v_lshlrev_b32_e32 v1, 24, v1
	s_delay_alu instid0(VALU_DEP_1) | instskip(NEXT) | instid1(VALU_DEP_1)
	v_and_b32_e32 v3, 0x7f000000, v1
	v_clz_i32_u32_e32 v5, v3
	v_add_nc_u32_e32 v11, 0x1000000, v3
	v_cmp_ne_u32_e32 vcc_lo, 0, v3
	s_delay_alu instid0(VALU_DEP_3) | instskip(NEXT) | instid1(VALU_DEP_1)
	v_min_u32_e32 v5, 32, v5
	v_sub_nc_u32_e64 v5, v5, 4 clamp
	s_delay_alu instid0(VALU_DEP_1) | instskip(NEXT) | instid1(VALU_DEP_1)
	v_dual_lshlrev_b32 v7, v5, v3 :: v_dual_lshlrev_b32 v5, 23, v5
	v_lshrrev_b32_e32 v7, 4, v7
	s_delay_alu instid0(VALU_DEP_1) | instskip(NEXT) | instid1(VALU_DEP_1)
	v_dual_sub_nc_u32 v5, v7, v5 :: v_dual_ashrrev_i32 v7, 8, v11
	v_add_nc_u32_e32 v5, 0x3c000000, v5
	s_delay_alu instid0(VALU_DEP_1) | instskip(NEXT) | instid1(VALU_DEP_1)
	v_and_or_b32 v5, 0x7f800000, v7, v5
	v_cndmask_b32_e32 v3, 0, v5, vcc_lo
	s_delay_alu instid0(VALU_DEP_1) | instskip(NEXT) | instid1(VALU_DEP_1)
	v_and_or_b32 v1, 0x80000000, v1, v3
	v_trunc_f32_e32 v1, v1
	s_delay_alu instid0(VALU_DEP_1) | instskip(SKIP_1) | instid1(VALU_DEP_2)
	v_mul_f32_e64 v3, 0x2f800000, |v1|
	v_ashrrev_i32_e32 v40, 31, v1
	v_floor_f32_e32 v3, v3
	s_delay_alu instid0(VALU_DEP_2) | instskip(NEXT) | instid1(VALU_DEP_2)
	v_mov_b32_e32 v41, v40
	v_fma_f32 v5, 0xcf800000, v3, |v1|
	v_cvt_u32_f32_e32 v1, v3
	s_delay_alu instid0(VALU_DEP_2) | instskip(NEXT) | instid1(VALU_DEP_2)
	v_cvt_u32_f32_e32 v3, v5
	v_xor_b32_e32 v45, v1, v40
	s_delay_alu instid0(VALU_DEP_2) | instskip(NEXT) | instid1(VALU_DEP_1)
	v_xor_b32_e32 v44, v3, v40
	v_sub_nc_u64_e32 v[40:41], v[44:45], v[40:41]
.LBB31_3826:
	s_mov_b32 s1, 0
.LBB31_3827:
	s_delay_alu instid0(SALU_CYCLE_1)
	s_and_not1_b32 vcc_lo, exec_lo, s1
	s_cbranch_vccnz .LBB31_3829
; %bb.3828:
	global_load_u8 v1, v[42:43], off
	s_wait_loadcnt 0x0
	v_lshlrev_b32_e32 v3, 25, v1
	v_lshlrev_b16 v1, 8, v1
	s_delay_alu instid0(VALU_DEP_1) | instskip(SKIP_1) | instid1(VALU_DEP_2)
	v_and_or_b32 v7, 0x7f00, v1, 0.5
	v_bfe_i32 v1, v1, 0, 16
	v_add_f32_e32 v7, -0.5, v7
	v_lshrrev_b32_e32 v5, 4, v3
	v_cmp_gt_u32_e32 vcc_lo, 0x8000000, v3
	s_delay_alu instid0(VALU_DEP_2) | instskip(NEXT) | instid1(VALU_DEP_1)
	v_or_b32_e32 v5, 0x70000000, v5
	v_mul_f32_e32 v5, 0x7800000, v5
	s_delay_alu instid0(VALU_DEP_1) | instskip(NEXT) | instid1(VALU_DEP_1)
	v_cndmask_b32_e32 v3, v5, v7, vcc_lo
	v_and_or_b32 v1, 0x80000000, v1, v3
	s_delay_alu instid0(VALU_DEP_1) | instskip(NEXT) | instid1(VALU_DEP_1)
	v_trunc_f32_e32 v1, v1
	v_mul_f32_e64 v3, 0x2f800000, |v1|
	v_ashrrev_i32_e32 v40, 31, v1
	s_delay_alu instid0(VALU_DEP_2) | instskip(NEXT) | instid1(VALU_DEP_2)
	v_floor_f32_e32 v3, v3
	v_mov_b32_e32 v41, v40
	s_delay_alu instid0(VALU_DEP_2) | instskip(SKIP_1) | instid1(VALU_DEP_2)
	v_fma_f32 v5, 0xcf800000, v3, |v1|
	v_cvt_u32_f32_e32 v1, v3
	v_cvt_u32_f32_e32 v3, v5
	s_delay_alu instid0(VALU_DEP_2) | instskip(NEXT) | instid1(VALU_DEP_2)
	v_xor_b32_e32 v45, v1, v40
	v_xor_b32_e32 v44, v3, v40
	s_delay_alu instid0(VALU_DEP_1)
	v_sub_nc_u64_e32 v[40:41], v[44:45], v[40:41]
.LBB31_3829:
	s_mov_b32 s1, 0
	s_mov_b32 s9, -1
.LBB31_3830:
	s_and_not1_b32 vcc_lo, exec_lo, s1
	s_mov_b32 s1, 0
	s_cbranch_vccnz .LBB31_3841
; %bb.3831:
	s_cmp_gt_i32 s55, 14
	s_cbranch_scc0 .LBB31_3834
; %bb.3832:
	s_cmp_eq_u32 s55, 15
	s_cbranch_scc0 .LBB31_3837
; %bb.3833:
	global_load_u16 v1, v[42:43], off
	s_mov_b32 s0, 0
	s_mov_b32 s9, -1
	s_wait_loadcnt 0x0
	v_lshlrev_b32_e32 v1, 16, v1
	s_delay_alu instid0(VALU_DEP_1) | instskip(NEXT) | instid1(VALU_DEP_1)
	v_trunc_f32_e32 v1, v1
	v_mul_f32_e64 v3, 0x2f800000, |v1|
	v_ashrrev_i32_e32 v40, 31, v1
	s_delay_alu instid0(VALU_DEP_2) | instskip(NEXT) | instid1(VALU_DEP_2)
	v_floor_f32_e32 v3, v3
	v_mov_b32_e32 v41, v40
	s_delay_alu instid0(VALU_DEP_2) | instskip(SKIP_1) | instid1(VALU_DEP_2)
	v_fma_f32 v5, 0xcf800000, v3, |v1|
	v_cvt_u32_f32_e32 v1, v3
	v_cvt_u32_f32_e32 v3, v5
	s_delay_alu instid0(VALU_DEP_2) | instskip(NEXT) | instid1(VALU_DEP_2)
	v_xor_b32_e32 v45, v1, v40
	v_xor_b32_e32 v44, v3, v40
	s_delay_alu instid0(VALU_DEP_1)
	v_sub_nc_u64_e32 v[40:41], v[44:45], v[40:41]
	s_branch .LBB31_3839
.LBB31_3834:
	s_mov_b32 s1, -1
	s_branch .LBB31_3838
.LBB31_3835:
	s_and_not1_saveexec_b32 s1, s1
	s_cbranch_execz .LBB31_3816
.LBB31_3836:
	v_cmp_ne_u16_e32 vcc_lo, 0, v1
	s_and_not1_b32 s9, s9, exec_lo
	s_and_b32 s22, vcc_lo, exec_lo
	s_delay_alu instid0(SALU_CYCLE_1)
	s_or_b32 s9, s9, s22
	s_or_b32 exec_lo, exec_lo, s1
	v_mov_b64_e32 v[40:41], 0
	s_and_saveexec_b32 s1, s9
	s_cbranch_execnz .LBB31_3817
	s_branch .LBB31_3818
.LBB31_3837:
	s_mov_b32 s0, -1
.LBB31_3838:
                                        ; implicit-def: $vgpr40_vgpr41
.LBB31_3839:
	s_and_b32 vcc_lo, exec_lo, s1
	s_mov_b32 s1, 0
	s_cbranch_vccz .LBB31_3841
; %bb.3840:
	s_cmp_lg_u32 s55, 11
	s_mov_b32 s1, -1
	s_cselect_b32 s0, -1, 0
.LBB31_3841:
	s_delay_alu instid0(SALU_CYCLE_1)
	s_and_b32 vcc_lo, exec_lo, s0
	s_mov_b32 s43, s41
	s_cbranch_vccnz .LBB31_3906
; %bb.3842:
	s_and_not1_b32 vcc_lo, exec_lo, s1
	s_cbranch_vccnz .LBB31_3844
.LBB31_3843:
	global_load_u8 v1, v[42:43], off
	s_mov_b32 s0, 0
	s_mov_b32 s9, -1
	s_wait_loadcnt 0x1
	v_mov_b32_e32 v41, s0
	s_wait_loadcnt 0x0
	v_cmp_ne_u16_e32 vcc_lo, 0, v1
	v_cndmask_b32_e64 v40, 0, 1, vcc_lo
.LBB31_3844:
	s_mov_b32 s0, 0
.LBB31_3845:
	s_delay_alu instid0(SALU_CYCLE_1)
	s_and_b32 vcc_lo, exec_lo, s0
	s_cbranch_vccz .LBB31_3894
; %bb.3846:
	s_cmp_lt_i32 s55, 5
	s_cbranch_scc1 .LBB31_3851
; %bb.3847:
	s_cmp_lt_i32 s55, 8
	s_cbranch_scc1 .LBB31_3852
	;; [unrolled: 3-line block ×3, first 2 shown]
; %bb.3849:
	s_cmp_gt_i32 s55, 9
	s_cbranch_scc0 .LBB31_3854
; %bb.3850:
	s_wait_loadcnt 0x0
	global_load_b64 v[40:41], v[42:43], off
	s_mov_b32 s0, 0
	s_wait_loadcnt 0x0
	v_trunc_f64_e32 v[40:41], v[40:41]
	s_delay_alu instid0(VALU_DEP_1) | instskip(NEXT) | instid1(VALU_DEP_1)
	v_ldexp_f64 v[44:45], v[40:41], 0xffffffe0
	v_floor_f64_e32 v[44:45], v[44:45]
	s_delay_alu instid0(VALU_DEP_1) | instskip(SKIP_1) | instid1(VALU_DEP_2)
	v_fmamk_f64 v[46:47], v[44:45], 0xc1f00000, v[40:41]
	v_cvt_i32_f64_e32 v41, v[44:45]
	v_cvt_u32_f64_e32 v40, v[46:47]
	s_branch .LBB31_3855
.LBB31_3851:
	s_mov_b32 s0, -1
                                        ; implicit-def: $vgpr40_vgpr41
	s_branch .LBB31_3873
.LBB31_3852:
	s_mov_b32 s0, -1
                                        ; implicit-def: $vgpr40_vgpr41
	s_branch .LBB31_3861
.LBB31_3853:
	s_mov_b32 s0, -1
                                        ; implicit-def: $vgpr40_vgpr41
	s_branch .LBB31_3858
.LBB31_3854:
	s_mov_b32 s0, -1
                                        ; implicit-def: $vgpr40_vgpr41
.LBB31_3855:
	s_delay_alu instid0(SALU_CYCLE_1)
	s_and_not1_b32 vcc_lo, exec_lo, s0
	s_cbranch_vccnz .LBB31_3857
; %bb.3856:
	global_load_b32 v1, v[42:43], off
	s_wait_loadcnt 0x0
	v_trunc_f32_e32 v1, v1
	s_delay_alu instid0(VALU_DEP_1) | instskip(SKIP_1) | instid1(VALU_DEP_2)
	v_mul_f32_e64 v3, 0x2f800000, |v1|
	v_ashrrev_i32_e32 v40, 31, v1
	v_floor_f32_e32 v3, v3
	s_delay_alu instid0(VALU_DEP_1) | instskip(SKIP_1) | instid1(VALU_DEP_4)
	v_fma_f32 v5, 0xcf800000, v3, |v1|
	v_cvt_u32_f32_e32 v1, v3
	v_mov_b32_e32 v41, v40
	s_delay_alu instid0(VALU_DEP_3) | instskip(NEXT) | instid1(VALU_DEP_3)
	v_cvt_u32_f32_e32 v3, v5
	v_xor_b32_e32 v45, v1, v40
	s_delay_alu instid0(VALU_DEP_2) | instskip(NEXT) | instid1(VALU_DEP_1)
	v_xor_b32_e32 v44, v3, v40
	v_sub_nc_u64_e32 v[40:41], v[44:45], v[40:41]
.LBB31_3857:
	s_mov_b32 s0, 0
.LBB31_3858:
	s_delay_alu instid0(SALU_CYCLE_1)
	s_and_not1_b32 vcc_lo, exec_lo, s0
	s_cbranch_vccnz .LBB31_3860
; %bb.3859:
	global_load_b32 v1, v[42:43], off
	s_wait_loadcnt 0x0
	v_cvt_f32_f16_e32 v1, v1
	s_delay_alu instid0(VALU_DEP_1) | instskip(NEXT) | instid1(VALU_DEP_1)
	v_cvt_i32_f32_e32 v40, v1
	v_ashrrev_i32_e32 v41, 31, v40
.LBB31_3860:
	s_mov_b32 s0, 0
.LBB31_3861:
	s_delay_alu instid0(SALU_CYCLE_1)
	s_and_not1_b32 vcc_lo, exec_lo, s0
	s_cbranch_vccnz .LBB31_3872
; %bb.3862:
	s_cmp_lt_i32 s55, 6
	s_cbranch_scc1 .LBB31_3865
; %bb.3863:
	s_cmp_gt_i32 s55, 6
	s_cbranch_scc0 .LBB31_3866
; %bb.3864:
	s_wait_loadcnt 0x0
	global_load_b64 v[40:41], v[42:43], off
	s_mov_b32 s0, 0
	s_wait_loadcnt 0x0
	v_trunc_f64_e32 v[40:41], v[40:41]
	s_delay_alu instid0(VALU_DEP_1) | instskip(NEXT) | instid1(VALU_DEP_1)
	v_ldexp_f64 v[44:45], v[40:41], 0xffffffe0
	v_floor_f64_e32 v[44:45], v[44:45]
	s_delay_alu instid0(VALU_DEP_1) | instskip(SKIP_1) | instid1(VALU_DEP_2)
	v_fmamk_f64 v[46:47], v[44:45], 0xc1f00000, v[40:41]
	v_cvt_i32_f64_e32 v41, v[44:45]
	v_cvt_u32_f64_e32 v40, v[46:47]
	s_branch .LBB31_3867
.LBB31_3865:
	s_mov_b32 s0, -1
                                        ; implicit-def: $vgpr40_vgpr41
	s_branch .LBB31_3870
.LBB31_3866:
	s_mov_b32 s0, -1
                                        ; implicit-def: $vgpr40_vgpr41
.LBB31_3867:
	s_delay_alu instid0(SALU_CYCLE_1)
	s_and_not1_b32 vcc_lo, exec_lo, s0
	s_cbranch_vccnz .LBB31_3869
; %bb.3868:
	global_load_b32 v1, v[42:43], off
	s_wait_loadcnt 0x0
	v_trunc_f32_e32 v1, v1
	s_delay_alu instid0(VALU_DEP_1) | instskip(SKIP_1) | instid1(VALU_DEP_2)
	v_mul_f32_e64 v3, 0x2f800000, |v1|
	v_ashrrev_i32_e32 v40, 31, v1
	v_floor_f32_e32 v3, v3
	s_delay_alu instid0(VALU_DEP_1) | instskip(SKIP_1) | instid1(VALU_DEP_4)
	v_fma_f32 v5, 0xcf800000, v3, |v1|
	v_cvt_u32_f32_e32 v1, v3
	v_mov_b32_e32 v41, v40
	s_delay_alu instid0(VALU_DEP_3) | instskip(NEXT) | instid1(VALU_DEP_3)
	v_cvt_u32_f32_e32 v3, v5
	v_xor_b32_e32 v45, v1, v40
	s_delay_alu instid0(VALU_DEP_2) | instskip(NEXT) | instid1(VALU_DEP_1)
	v_xor_b32_e32 v44, v3, v40
	v_sub_nc_u64_e32 v[40:41], v[44:45], v[40:41]
.LBB31_3869:
	s_mov_b32 s0, 0
.LBB31_3870:
	s_delay_alu instid0(SALU_CYCLE_1)
	s_and_not1_b32 vcc_lo, exec_lo, s0
	s_cbranch_vccnz .LBB31_3872
; %bb.3871:
	global_load_u16 v1, v[42:43], off
	s_wait_loadcnt 0x0
	v_cvt_f32_f16_e32 v1, v1
	s_delay_alu instid0(VALU_DEP_1) | instskip(NEXT) | instid1(VALU_DEP_1)
	v_cvt_i32_f32_e32 v40, v1
	v_ashrrev_i32_e32 v41, 31, v40
.LBB31_3872:
	s_mov_b32 s0, 0
.LBB31_3873:
	s_delay_alu instid0(SALU_CYCLE_1)
	s_and_not1_b32 vcc_lo, exec_lo, s0
	s_cbranch_vccnz .LBB31_3893
; %bb.3874:
	s_cmp_lt_i32 s55, 2
	s_cbranch_scc1 .LBB31_3878
; %bb.3875:
	s_cmp_lt_i32 s55, 3
	s_cbranch_scc1 .LBB31_3879
; %bb.3876:
	s_cmp_gt_i32 s55, 3
	s_cbranch_scc0 .LBB31_3880
; %bb.3877:
	s_wait_loadcnt 0x0
	global_load_b64 v[40:41], v[42:43], off
	s_mov_b32 s0, 0
	s_branch .LBB31_3881
.LBB31_3878:
	s_mov_b32 s0, -1
                                        ; implicit-def: $vgpr40_vgpr41
	s_branch .LBB31_3887
.LBB31_3879:
	s_mov_b32 s0, -1
                                        ; implicit-def: $vgpr40_vgpr41
	s_branch .LBB31_3884
.LBB31_3880:
	s_mov_b32 s0, -1
                                        ; implicit-def: $vgpr40_vgpr41
.LBB31_3881:
	s_delay_alu instid0(SALU_CYCLE_1)
	s_and_not1_b32 vcc_lo, exec_lo, s0
	s_cbranch_vccnz .LBB31_3883
; %bb.3882:
	s_wait_loadcnt 0x0
	global_load_b32 v40, v[42:43], off
	s_wait_loadcnt 0x0
	v_ashrrev_i32_e32 v41, 31, v40
.LBB31_3883:
	s_mov_b32 s0, 0
.LBB31_3884:
	s_delay_alu instid0(SALU_CYCLE_1)
	s_and_not1_b32 vcc_lo, exec_lo, s0
	s_cbranch_vccnz .LBB31_3886
; %bb.3885:
	global_load_u16 v1, v[42:43], off
	s_wait_loadcnt 0x0
	v_bfe_i32 v40, v1, 0, 16
	s_delay_alu instid0(VALU_DEP_1)
	v_ashrrev_i32_e32 v41, 31, v40
.LBB31_3886:
	s_mov_b32 s0, 0
.LBB31_3887:
	s_delay_alu instid0(SALU_CYCLE_1)
	s_and_not1_b32 vcc_lo, exec_lo, s0
	s_cbranch_vccnz .LBB31_3893
; %bb.3888:
	s_cmp_gt_i32 s55, 0
	s_mov_b32 s0, 0
	s_cbranch_scc0 .LBB31_3890
; %bb.3889:
	global_load_i8 v1, v[42:43], off
	s_wait_loadcnt 0x0
	v_bfe_i32 v40, v1, 0, 16
	s_delay_alu instid0(VALU_DEP_1)
	v_ashrrev_i32_e32 v41, 31, v40
	s_branch .LBB31_3891
.LBB31_3890:
	s_mov_b32 s0, -1
                                        ; implicit-def: $vgpr40_vgpr41
.LBB31_3891:
	s_delay_alu instid0(SALU_CYCLE_1)
	s_and_not1_b32 vcc_lo, exec_lo, s0
	s_cbranch_vccnz .LBB31_3893
; %bb.3892:
	global_load_u8 v1, v[42:43], off
	s_mov_b32 s0, 0
	s_wait_loadcnt 0x1
	v_mov_b32_e32 v41, s0
	s_wait_loadcnt 0x0
	v_and_b32_e32 v40, 0xffff, v1
.LBB31_3893:
	s_mov_b32 s9, -1
.LBB31_3894:
	s_delay_alu instid0(SALU_CYCLE_1)
	s_and_not1_b32 vcc_lo, exec_lo, s9
	s_cbranch_vccnz .LBB31_4417
; %bb.3895:
	v_mov_b32_e32 v39, 0
	s_and_b32 s56, 0xffff, s31
	s_delay_alu instid0(SALU_CYCLE_1) | instskip(SKIP_1) | instid1(VALU_DEP_1)
	s_cmp_lt_i32 s56, 11
	s_wait_xcnt 0x0
	v_add_nc_u64_e32 v[42:43], s[10:11], v[38:39]
	s_cbranch_scc1 .LBB31_3902
; %bb.3896:
	s_cmp_gt_i32 s56, 25
	s_mov_b32 s1, 0
	s_cbranch_scc0 .LBB31_3903
; %bb.3897:
	s_cmp_gt_i32 s56, 28
	s_cbranch_scc0 .LBB31_3904
; %bb.3898:
	s_cmp_gt_i32 s56, 43
	;; [unrolled: 3-line block ×3, first 2 shown]
	s_cbranch_scc0 .LBB31_3907
; %bb.3900:
	s_cmp_eq_u32 s56, 46
	s_mov_b32 s22, 0
	s_cbranch_scc0 .LBB31_3909
; %bb.3901:
	global_load_b32 v1, v[42:43], off
	s_mov_b32 s0, 0
	s_mov_b32 s9, -1
	s_wait_loadcnt 0x0
	v_lshlrev_b32_e32 v1, 16, v1
	s_delay_alu instid0(VALU_DEP_1) | instskip(NEXT) | instid1(VALU_DEP_1)
	v_trunc_f32_e32 v1, v1
	v_mul_f32_e64 v3, 0x2f800000, |v1|
	v_ashrrev_i32_e32 v38, 31, v1
	s_delay_alu instid0(VALU_DEP_2) | instskip(NEXT) | instid1(VALU_DEP_2)
	v_floor_f32_e32 v3, v3
	v_mov_b32_e32 v39, v38
	s_delay_alu instid0(VALU_DEP_2) | instskip(SKIP_1) | instid1(VALU_DEP_2)
	v_fma_f32 v5, 0xcf800000, v3, |v1|
	v_cvt_u32_f32_e32 v1, v3
	v_cvt_u32_f32_e32 v3, v5
	s_delay_alu instid0(VALU_DEP_2) | instskip(NEXT) | instid1(VALU_DEP_2)
	v_xor_b32_e32 v45, v1, v38
	v_xor_b32_e32 v44, v3, v38
	s_delay_alu instid0(VALU_DEP_1)
	v_sub_nc_u64_e32 v[38:39], v[44:45], v[38:39]
	s_branch .LBB31_3911
.LBB31_3902:
	s_mov_b32 s0, -1
	s_mov_b32 s9, 0
                                        ; implicit-def: $vgpr38_vgpr39
	s_branch .LBB31_3973
.LBB31_3903:
	s_mov_b32 s22, -1
	s_mov_b32 s9, 0
	s_mov_b32 s0, 0
                                        ; implicit-def: $vgpr38_vgpr39
	s_branch .LBB31_3938
.LBB31_3904:
	s_mov_b32 s22, -1
	s_mov_b32 s9, 0
	s_mov_b32 s0, 0
                                        ; implicit-def: $vgpr38_vgpr39
	s_branch .LBB31_3921
.LBB31_3905:
	s_mov_b32 s22, -1
	s_mov_b32 s9, 0
	s_mov_b32 s0, 0
                                        ; implicit-def: $vgpr38_vgpr39
	s_branch .LBB31_3916
.LBB31_3906:
	s_or_b32 s43, s41, exec_lo
	s_trap 2
	s_cbranch_execz .LBB31_3843
	s_branch .LBB31_3844
.LBB31_3907:
	s_mov_b32 s22, -1
	s_mov_b32 s9, 0
	s_mov_b32 s0, 0
	s_branch .LBB31_3910
.LBB31_3908:
	s_or_b32 s33, s33, exec_lo
	s_trap 2
                                        ; implicit-def: $vgpr6
                                        ; implicit-def: $vgpr34
                                        ; implicit-def: $vgpr32
                                        ; implicit-def: $vgpr38
                                        ; implicit-def: $vgpr36
                                        ; implicit-def: $vgpr4
                                        ; implicit-def: $vgpr40
                                        ; implicit-def: $vgpr24
                                        ; implicit-def: $vgpr22
                                        ; implicit-def: $vgpr28
                                        ; implicit-def: $vgpr26
                                        ; implicit-def: $vgpr2
                                        ; implicit-def: $vgpr30
                                        ; implicit-def: $vgpr14
                                        ; implicit-def: $vgpr10
                                        ; implicit-def: $vgpr18
                                        ; implicit-def: $vgpr16
                                        ; implicit-def: $vgpr0
                                        ; implicit-def: $vgpr20
                                        ; implicit-def: $vgpr8_vgpr9
                                        ; implicit-def: $vgpr12_vgpr13
                                        ; implicit-def: $vgpr46_vgpr47
                                        ; implicit-def: $vgpr44_vgpr45
                                        ; implicit-def: $vgpr48_vgpr49
	s_branch .LBB31_3525
.LBB31_3909:
	s_mov_b32 s0, -1
	s_mov_b32 s9, 0
.LBB31_3910:
                                        ; implicit-def: $vgpr38_vgpr39
.LBB31_3911:
	s_and_b32 vcc_lo, exec_lo, s22
	s_cbranch_vccz .LBB31_3915
; %bb.3912:
	s_cmp_eq_u32 s56, 44
	s_cbranch_scc0 .LBB31_3914
; %bb.3913:
	global_load_u8 v1, v[42:43], off
	s_mov_b32 s0, 0
	s_mov_b32 s9, -1
	s_wait_loadcnt 0x0
	v_lshlrev_b32_e32 v3, 23, v1
	v_cmp_ne_u32_e32 vcc_lo, 0, v1
	s_delay_alu instid0(VALU_DEP_2) | instskip(NEXT) | instid1(VALU_DEP_1)
	v_trunc_f32_e32 v3, v3
	v_mul_f32_e64 v5, 0x2f800000, |v3|
	v_ashrrev_i32_e32 v38, 31, v3
	s_delay_alu instid0(VALU_DEP_2) | instskip(NEXT) | instid1(VALU_DEP_2)
	v_floor_f32_e32 v5, v5
	v_mov_b32_e32 v39, v38
	s_delay_alu instid0(VALU_DEP_2) | instskip(SKIP_1) | instid1(VALU_DEP_2)
	v_fma_f32 v7, 0xcf800000, v5, |v3|
	v_cvt_u32_f32_e32 v3, v5
	v_cvt_u32_f32_e32 v5, v7
	s_delay_alu instid0(VALU_DEP_2) | instskip(NEXT) | instid1(VALU_DEP_2)
	v_xor_b32_e32 v45, v3, v38
	v_xor_b32_e32 v44, v5, v38
	s_delay_alu instid0(VALU_DEP_1) | instskip(NEXT) | instid1(VALU_DEP_1)
	v_sub_nc_u64_e32 v[38:39], v[44:45], v[38:39]
	v_dual_cndmask_b32 v39, 0, v39 :: v_dual_cndmask_b32 v38, 0, v38
	s_branch .LBB31_3915
.LBB31_3914:
	s_mov_b32 s0, -1
                                        ; implicit-def: $vgpr38_vgpr39
.LBB31_3915:
	s_mov_b32 s22, 0
.LBB31_3916:
	s_delay_alu instid0(SALU_CYCLE_1)
	s_and_b32 vcc_lo, exec_lo, s22
	s_cbranch_vccz .LBB31_3920
; %bb.3917:
	s_cmp_eq_u32 s56, 29
	s_cbranch_scc0 .LBB31_3919
; %bb.3918:
	global_load_b64 v[38:39], v[42:43], off
	s_mov_b32 s0, 0
	s_mov_b32 s9, -1
	s_branch .LBB31_3920
.LBB31_3919:
	s_mov_b32 s0, -1
                                        ; implicit-def: $vgpr38_vgpr39
.LBB31_3920:
	s_mov_b32 s22, 0
.LBB31_3921:
	s_delay_alu instid0(SALU_CYCLE_1)
	s_and_b32 vcc_lo, exec_lo, s22
	s_cbranch_vccz .LBB31_3937
; %bb.3922:
	s_cmp_lt_i32 s56, 27
	s_cbranch_scc1 .LBB31_3925
; %bb.3923:
	s_cmp_gt_i32 s56, 27
	s_cbranch_scc0 .LBB31_3926
; %bb.3924:
	s_wait_loadcnt 0x0
	global_load_b32 v38, v[42:43], off
	v_mov_b32_e32 v39, 0
	s_mov_b32 s9, 0
	s_branch .LBB31_3927
.LBB31_3925:
	s_mov_b32 s9, -1
                                        ; implicit-def: $vgpr38_vgpr39
	s_branch .LBB31_3930
.LBB31_3926:
	s_mov_b32 s9, -1
                                        ; implicit-def: $vgpr38_vgpr39
.LBB31_3927:
	s_delay_alu instid0(SALU_CYCLE_1)
	s_and_not1_b32 vcc_lo, exec_lo, s9
	s_cbranch_vccnz .LBB31_3929
; %bb.3928:
	global_load_u16 v1, v[42:43], off
	s_mov_b32 s9, 0
	s_wait_loadcnt 0x1
	v_mov_b32_e32 v39, s9
	s_wait_loadcnt 0x0
	v_and_b32_e32 v38, 0xffff, v1
.LBB31_3929:
	s_mov_b32 s9, 0
.LBB31_3930:
	s_delay_alu instid0(SALU_CYCLE_1)
	s_and_not1_b32 vcc_lo, exec_lo, s9
	s_cbranch_vccnz .LBB31_3936
; %bb.3931:
	global_load_u8 v1, v[42:43], off
	s_mov_b32 s22, 0
	s_mov_b32 s9, exec_lo
	s_wait_loadcnt 0x0
	v_cmpx_lt_i16_e32 0x7f, v1
	s_xor_b32 s9, exec_lo, s9
	s_cbranch_execz .LBB31_3948
; %bb.3932:
	v_cmp_ne_u16_e32 vcc_lo, 0x80, v1
	s_and_b32 s22, vcc_lo, exec_lo
	s_and_not1_saveexec_b32 s9, s9
	s_cbranch_execnz .LBB31_3949
.LBB31_3933:
	s_or_b32 exec_lo, exec_lo, s9
	v_mov_b64_e32 v[38:39], 0
	s_and_saveexec_b32 s9, s22
	s_cbranch_execz .LBB31_3935
.LBB31_3934:
	v_and_b32_e32 v3, 0xffff, v1
	s_delay_alu instid0(VALU_DEP_1) | instskip(SKIP_1) | instid1(VALU_DEP_2)
	v_dual_lshlrev_b32 v1, 24, v1 :: v_dual_bitop2_b32 v5, 7, v3 bitop3:0x40
	v_bfe_u32 v15, v3, 3, 4
	v_and_b32_e32 v1, 0x80000000, v1
	s_delay_alu instid0(VALU_DEP_3) | instskip(NEXT) | instid1(VALU_DEP_3)
	v_clz_i32_u32_e32 v7, v5
	v_cmp_eq_u32_e32 vcc_lo, 0, v15
	s_delay_alu instid0(VALU_DEP_2) | instskip(NEXT) | instid1(VALU_DEP_1)
	v_min_u32_e32 v7, 32, v7
	v_subrev_nc_u32_e32 v11, 28, v7
	v_sub_nc_u32_e32 v7, 29, v7
	s_delay_alu instid0(VALU_DEP_2) | instskip(NEXT) | instid1(VALU_DEP_2)
	v_lshlrev_b32_e32 v3, v11, v3
	v_cndmask_b32_e32 v7, v15, v7, vcc_lo
	s_delay_alu instid0(VALU_DEP_2) | instskip(NEXT) | instid1(VALU_DEP_1)
	v_and_b32_e32 v3, 7, v3
	v_cndmask_b32_e32 v3, v5, v3, vcc_lo
	s_delay_alu instid0(VALU_DEP_3) | instskip(NEXT) | instid1(VALU_DEP_2)
	v_lshl_add_u32 v5, v7, 23, 0x3b800000
	v_lshlrev_b32_e32 v3, 20, v3
	s_delay_alu instid0(VALU_DEP_1) | instskip(NEXT) | instid1(VALU_DEP_1)
	v_or3_b32 v1, v1, v5, v3
	v_trunc_f32_e32 v1, v1
	s_delay_alu instid0(VALU_DEP_1) | instskip(SKIP_1) | instid1(VALU_DEP_2)
	v_mul_f32_e64 v3, 0x2f800000, |v1|
	v_ashrrev_i32_e32 v38, 31, v1
	v_floor_f32_e32 v3, v3
	s_delay_alu instid0(VALU_DEP_2) | instskip(NEXT) | instid1(VALU_DEP_2)
	v_mov_b32_e32 v39, v38
	v_fma_f32 v5, 0xcf800000, v3, |v1|
	v_cvt_u32_f32_e32 v1, v3
	s_delay_alu instid0(VALU_DEP_2) | instskip(NEXT) | instid1(VALU_DEP_2)
	v_cvt_u32_f32_e32 v3, v5
	v_xor_b32_e32 v45, v1, v38
	s_delay_alu instid0(VALU_DEP_2) | instskip(NEXT) | instid1(VALU_DEP_1)
	v_xor_b32_e32 v44, v3, v38
	v_sub_nc_u64_e32 v[38:39], v[44:45], v[38:39]
.LBB31_3935:
	s_or_b32 exec_lo, exec_lo, s9
.LBB31_3936:
	s_mov_b32 s9, -1
.LBB31_3937:
	s_mov_b32 s22, 0
.LBB31_3938:
	s_delay_alu instid0(SALU_CYCLE_1)
	s_and_b32 vcc_lo, exec_lo, s22
	s_cbranch_vccz .LBB31_3969
; %bb.3939:
	s_cmp_gt_i32 s56, 22
	s_cbranch_scc0 .LBB31_3947
; %bb.3940:
	s_cmp_lt_i32 s56, 24
	s_cbranch_scc1 .LBB31_3950
; %bb.3941:
	s_cmp_gt_i32 s56, 24
	s_cbranch_scc0 .LBB31_3951
; %bb.3942:
	global_load_u8 v1, v[42:43], off
	s_mov_b32 s9, 0
	s_mov_b32 s1, exec_lo
	s_wait_loadcnt 0x0
	v_cmpx_lt_i16_e32 0x7f, v1
	s_xor_b32 s1, exec_lo, s1
	s_cbranch_execz .LBB31_3963
; %bb.3943:
	v_cmp_ne_u16_e32 vcc_lo, 0x80, v1
	s_and_b32 s9, vcc_lo, exec_lo
	s_and_not1_saveexec_b32 s1, s1
	s_cbranch_execnz .LBB31_3964
.LBB31_3944:
	s_or_b32 exec_lo, exec_lo, s1
	v_mov_b64_e32 v[38:39], 0
	s_and_saveexec_b32 s1, s9
	s_cbranch_execz .LBB31_3946
.LBB31_3945:
	v_and_b32_e32 v3, 0xffff, v1
	s_delay_alu instid0(VALU_DEP_1) | instskip(SKIP_1) | instid1(VALU_DEP_2)
	v_dual_lshlrev_b32 v1, 24, v1 :: v_dual_bitop2_b32 v5, 3, v3 bitop3:0x40
	v_bfe_u32 v15, v3, 2, 5
	v_and_b32_e32 v1, 0x80000000, v1
	s_delay_alu instid0(VALU_DEP_3) | instskip(NEXT) | instid1(VALU_DEP_3)
	v_clz_i32_u32_e32 v7, v5
	v_cmp_eq_u32_e32 vcc_lo, 0, v15
	s_delay_alu instid0(VALU_DEP_2) | instskip(NEXT) | instid1(VALU_DEP_1)
	v_min_u32_e32 v7, 32, v7
	v_subrev_nc_u32_e32 v11, 29, v7
	v_sub_nc_u32_e32 v7, 30, v7
	s_delay_alu instid0(VALU_DEP_2) | instskip(NEXT) | instid1(VALU_DEP_2)
	v_lshlrev_b32_e32 v3, v11, v3
	v_cndmask_b32_e32 v7, v15, v7, vcc_lo
	s_delay_alu instid0(VALU_DEP_2) | instskip(NEXT) | instid1(VALU_DEP_1)
	v_and_b32_e32 v3, 3, v3
	v_cndmask_b32_e32 v3, v5, v3, vcc_lo
	s_delay_alu instid0(VALU_DEP_3) | instskip(NEXT) | instid1(VALU_DEP_2)
	v_lshl_add_u32 v5, v7, 23, 0x37800000
	v_lshlrev_b32_e32 v3, 21, v3
	s_delay_alu instid0(VALU_DEP_1) | instskip(NEXT) | instid1(VALU_DEP_1)
	v_or3_b32 v1, v1, v5, v3
	v_trunc_f32_e32 v1, v1
	s_delay_alu instid0(VALU_DEP_1) | instskip(SKIP_1) | instid1(VALU_DEP_2)
	v_mul_f32_e64 v3, 0x2f800000, |v1|
	v_ashrrev_i32_e32 v38, 31, v1
	v_floor_f32_e32 v3, v3
	s_delay_alu instid0(VALU_DEP_2) | instskip(NEXT) | instid1(VALU_DEP_2)
	v_mov_b32_e32 v39, v38
	v_fma_f32 v5, 0xcf800000, v3, |v1|
	v_cvt_u32_f32_e32 v1, v3
	s_delay_alu instid0(VALU_DEP_2) | instskip(NEXT) | instid1(VALU_DEP_2)
	v_cvt_u32_f32_e32 v3, v5
	v_xor_b32_e32 v45, v1, v38
	s_delay_alu instid0(VALU_DEP_2) | instskip(NEXT) | instid1(VALU_DEP_1)
	v_xor_b32_e32 v44, v3, v38
	v_sub_nc_u64_e32 v[38:39], v[44:45], v[38:39]
.LBB31_3946:
	s_or_b32 exec_lo, exec_lo, s1
	s_mov_b32 s1, 0
	s_branch .LBB31_3952
.LBB31_3947:
	s_mov_b32 s1, -1
                                        ; implicit-def: $vgpr38_vgpr39
	s_branch .LBB31_3958
.LBB31_3948:
	s_and_not1_saveexec_b32 s9, s9
	s_cbranch_execz .LBB31_3933
.LBB31_3949:
	v_cmp_ne_u16_e32 vcc_lo, 0, v1
	s_and_not1_b32 s22, s22, exec_lo
	s_and_b32 s23, vcc_lo, exec_lo
	s_delay_alu instid0(SALU_CYCLE_1)
	s_or_b32 s22, s22, s23
	s_or_b32 exec_lo, exec_lo, s9
	v_mov_b64_e32 v[38:39], 0
	s_and_saveexec_b32 s9, s22
	s_cbranch_execnz .LBB31_3934
	s_branch .LBB31_3935
.LBB31_3950:
	s_mov_b32 s1, -1
                                        ; implicit-def: $vgpr38_vgpr39
	s_branch .LBB31_3955
.LBB31_3951:
	s_mov_b32 s1, -1
                                        ; implicit-def: $vgpr38_vgpr39
.LBB31_3952:
	s_delay_alu instid0(SALU_CYCLE_1)
	s_and_b32 vcc_lo, exec_lo, s1
	s_cbranch_vccz .LBB31_3954
; %bb.3953:
	global_load_u8 v1, v[42:43], off
	s_wait_loadcnt 0x0
	v_lshlrev_b32_e32 v1, 24, v1
	s_delay_alu instid0(VALU_DEP_1) | instskip(NEXT) | instid1(VALU_DEP_1)
	v_and_b32_e32 v3, 0x7f000000, v1
	v_clz_i32_u32_e32 v5, v3
	v_add_nc_u32_e32 v11, 0x1000000, v3
	v_cmp_ne_u32_e32 vcc_lo, 0, v3
	s_delay_alu instid0(VALU_DEP_3) | instskip(NEXT) | instid1(VALU_DEP_1)
	v_min_u32_e32 v5, 32, v5
	v_sub_nc_u32_e64 v5, v5, 4 clamp
	s_delay_alu instid0(VALU_DEP_1) | instskip(NEXT) | instid1(VALU_DEP_1)
	v_dual_lshlrev_b32 v7, v5, v3 :: v_dual_lshlrev_b32 v5, 23, v5
	v_lshrrev_b32_e32 v7, 4, v7
	s_delay_alu instid0(VALU_DEP_1) | instskip(NEXT) | instid1(VALU_DEP_1)
	v_dual_sub_nc_u32 v5, v7, v5 :: v_dual_ashrrev_i32 v7, 8, v11
	v_add_nc_u32_e32 v5, 0x3c000000, v5
	s_delay_alu instid0(VALU_DEP_1) | instskip(NEXT) | instid1(VALU_DEP_1)
	v_and_or_b32 v5, 0x7f800000, v7, v5
	v_cndmask_b32_e32 v3, 0, v5, vcc_lo
	s_delay_alu instid0(VALU_DEP_1) | instskip(NEXT) | instid1(VALU_DEP_1)
	v_and_or_b32 v1, 0x80000000, v1, v3
	v_trunc_f32_e32 v1, v1
	s_delay_alu instid0(VALU_DEP_1) | instskip(SKIP_1) | instid1(VALU_DEP_2)
	v_mul_f32_e64 v3, 0x2f800000, |v1|
	v_ashrrev_i32_e32 v38, 31, v1
	v_floor_f32_e32 v3, v3
	s_delay_alu instid0(VALU_DEP_2) | instskip(NEXT) | instid1(VALU_DEP_2)
	v_mov_b32_e32 v39, v38
	v_fma_f32 v5, 0xcf800000, v3, |v1|
	v_cvt_u32_f32_e32 v1, v3
	s_delay_alu instid0(VALU_DEP_2) | instskip(NEXT) | instid1(VALU_DEP_2)
	v_cvt_u32_f32_e32 v3, v5
	v_xor_b32_e32 v45, v1, v38
	s_delay_alu instid0(VALU_DEP_2) | instskip(NEXT) | instid1(VALU_DEP_1)
	v_xor_b32_e32 v44, v3, v38
	v_sub_nc_u64_e32 v[38:39], v[44:45], v[38:39]
.LBB31_3954:
	s_mov_b32 s1, 0
.LBB31_3955:
	s_delay_alu instid0(SALU_CYCLE_1)
	s_and_not1_b32 vcc_lo, exec_lo, s1
	s_cbranch_vccnz .LBB31_3957
; %bb.3956:
	global_load_u8 v1, v[42:43], off
	s_wait_loadcnt 0x0
	v_lshlrev_b32_e32 v3, 25, v1
	v_lshlrev_b16 v1, 8, v1
	s_delay_alu instid0(VALU_DEP_1) | instskip(SKIP_1) | instid1(VALU_DEP_2)
	v_and_or_b32 v7, 0x7f00, v1, 0.5
	v_bfe_i32 v1, v1, 0, 16
	v_add_f32_e32 v7, -0.5, v7
	v_lshrrev_b32_e32 v5, 4, v3
	v_cmp_gt_u32_e32 vcc_lo, 0x8000000, v3
	s_delay_alu instid0(VALU_DEP_2) | instskip(NEXT) | instid1(VALU_DEP_1)
	v_or_b32_e32 v5, 0x70000000, v5
	v_mul_f32_e32 v5, 0x7800000, v5
	s_delay_alu instid0(VALU_DEP_1) | instskip(NEXT) | instid1(VALU_DEP_1)
	v_cndmask_b32_e32 v3, v5, v7, vcc_lo
	v_and_or_b32 v1, 0x80000000, v1, v3
	s_delay_alu instid0(VALU_DEP_1) | instskip(NEXT) | instid1(VALU_DEP_1)
	v_trunc_f32_e32 v1, v1
	v_mul_f32_e64 v3, 0x2f800000, |v1|
	v_ashrrev_i32_e32 v38, 31, v1
	s_delay_alu instid0(VALU_DEP_2) | instskip(NEXT) | instid1(VALU_DEP_2)
	v_floor_f32_e32 v3, v3
	v_mov_b32_e32 v39, v38
	s_delay_alu instid0(VALU_DEP_2) | instskip(SKIP_1) | instid1(VALU_DEP_2)
	v_fma_f32 v5, 0xcf800000, v3, |v1|
	v_cvt_u32_f32_e32 v1, v3
	v_cvt_u32_f32_e32 v3, v5
	s_delay_alu instid0(VALU_DEP_2) | instskip(NEXT) | instid1(VALU_DEP_2)
	v_xor_b32_e32 v45, v1, v38
	v_xor_b32_e32 v44, v3, v38
	s_delay_alu instid0(VALU_DEP_1)
	v_sub_nc_u64_e32 v[38:39], v[44:45], v[38:39]
.LBB31_3957:
	s_mov_b32 s1, 0
	s_mov_b32 s9, -1
.LBB31_3958:
	s_and_not1_b32 vcc_lo, exec_lo, s1
	s_mov_b32 s1, 0
	s_cbranch_vccnz .LBB31_3969
; %bb.3959:
	s_cmp_gt_i32 s56, 14
	s_cbranch_scc0 .LBB31_3962
; %bb.3960:
	s_cmp_eq_u32 s56, 15
	s_cbranch_scc0 .LBB31_3965
; %bb.3961:
	global_load_u16 v1, v[42:43], off
	s_mov_b32 s0, 0
	s_mov_b32 s9, -1
	s_wait_loadcnt 0x0
	v_lshlrev_b32_e32 v1, 16, v1
	s_delay_alu instid0(VALU_DEP_1) | instskip(NEXT) | instid1(VALU_DEP_1)
	v_trunc_f32_e32 v1, v1
	v_mul_f32_e64 v3, 0x2f800000, |v1|
	v_ashrrev_i32_e32 v38, 31, v1
	s_delay_alu instid0(VALU_DEP_2) | instskip(NEXT) | instid1(VALU_DEP_2)
	v_floor_f32_e32 v3, v3
	v_mov_b32_e32 v39, v38
	s_delay_alu instid0(VALU_DEP_2) | instskip(SKIP_1) | instid1(VALU_DEP_2)
	v_fma_f32 v5, 0xcf800000, v3, |v1|
	v_cvt_u32_f32_e32 v1, v3
	v_cvt_u32_f32_e32 v3, v5
	s_delay_alu instid0(VALU_DEP_2) | instskip(NEXT) | instid1(VALU_DEP_2)
	v_xor_b32_e32 v45, v1, v38
	v_xor_b32_e32 v44, v3, v38
	s_delay_alu instid0(VALU_DEP_1)
	v_sub_nc_u64_e32 v[38:39], v[44:45], v[38:39]
	s_branch .LBB31_3967
.LBB31_3962:
	s_mov_b32 s1, -1
	s_branch .LBB31_3966
.LBB31_3963:
	s_and_not1_saveexec_b32 s1, s1
	s_cbranch_execz .LBB31_3944
.LBB31_3964:
	v_cmp_ne_u16_e32 vcc_lo, 0, v1
	s_and_not1_b32 s9, s9, exec_lo
	s_and_b32 s22, vcc_lo, exec_lo
	s_delay_alu instid0(SALU_CYCLE_1)
	s_or_b32 s9, s9, s22
	s_or_b32 exec_lo, exec_lo, s1
	v_mov_b64_e32 v[38:39], 0
	s_and_saveexec_b32 s1, s9
	s_cbranch_execnz .LBB31_3945
	s_branch .LBB31_3946
.LBB31_3965:
	s_mov_b32 s0, -1
.LBB31_3966:
                                        ; implicit-def: $vgpr38_vgpr39
.LBB31_3967:
	s_and_b32 vcc_lo, exec_lo, s1
	s_mov_b32 s1, 0
	s_cbranch_vccz .LBB31_3969
; %bb.3968:
	s_cmp_lg_u32 s56, 11
	s_mov_b32 s1, -1
	s_cselect_b32 s0, -1, 0
.LBB31_3969:
	s_delay_alu instid0(SALU_CYCLE_1)
	s_and_b32 vcc_lo, exec_lo, s0
	s_cbranch_vccnz .LBB31_4034
; %bb.3970:
	s_and_not1_b32 vcc_lo, exec_lo, s1
	s_cbranch_vccnz .LBB31_3972
.LBB31_3971:
	global_load_u8 v1, v[42:43], off
	s_mov_b32 s0, 0
	s_mov_b32 s9, -1
	s_wait_loadcnt 0x1
	v_mov_b32_e32 v39, s0
	s_wait_loadcnt 0x0
	v_cmp_ne_u16_e32 vcc_lo, 0, v1
	v_cndmask_b32_e64 v38, 0, 1, vcc_lo
.LBB31_3972:
	s_mov_b32 s0, 0
.LBB31_3973:
	s_delay_alu instid0(SALU_CYCLE_1)
	s_and_b32 vcc_lo, exec_lo, s0
	s_cbranch_vccz .LBB31_4022
; %bb.3974:
	s_cmp_lt_i32 s56, 5
	s_cbranch_scc1 .LBB31_3979
; %bb.3975:
	s_cmp_lt_i32 s56, 8
	s_cbranch_scc1 .LBB31_3980
	;; [unrolled: 3-line block ×3, first 2 shown]
; %bb.3977:
	s_cmp_gt_i32 s56, 9
	s_cbranch_scc0 .LBB31_3982
; %bb.3978:
	s_wait_loadcnt 0x0
	global_load_b64 v[38:39], v[42:43], off
	s_mov_b32 s0, 0
	s_wait_loadcnt 0x0
	v_trunc_f64_e32 v[38:39], v[38:39]
	s_delay_alu instid0(VALU_DEP_1) | instskip(NEXT) | instid1(VALU_DEP_1)
	v_ldexp_f64 v[44:45], v[38:39], 0xffffffe0
	v_floor_f64_e32 v[44:45], v[44:45]
	s_delay_alu instid0(VALU_DEP_1) | instskip(SKIP_1) | instid1(VALU_DEP_2)
	v_fmamk_f64 v[46:47], v[44:45], 0xc1f00000, v[38:39]
	v_cvt_i32_f64_e32 v39, v[44:45]
	v_cvt_u32_f64_e32 v38, v[46:47]
	s_branch .LBB31_3983
.LBB31_3979:
	s_mov_b32 s0, -1
                                        ; implicit-def: $vgpr38_vgpr39
	s_branch .LBB31_4001
.LBB31_3980:
	s_mov_b32 s0, -1
                                        ; implicit-def: $vgpr38_vgpr39
	s_branch .LBB31_3989
.LBB31_3981:
	s_mov_b32 s0, -1
                                        ; implicit-def: $vgpr38_vgpr39
	s_branch .LBB31_3986
.LBB31_3982:
	s_mov_b32 s0, -1
                                        ; implicit-def: $vgpr38_vgpr39
.LBB31_3983:
	s_delay_alu instid0(SALU_CYCLE_1)
	s_and_not1_b32 vcc_lo, exec_lo, s0
	s_cbranch_vccnz .LBB31_3985
; %bb.3984:
	global_load_b32 v1, v[42:43], off
	s_wait_loadcnt 0x0
	v_trunc_f32_e32 v1, v1
	s_delay_alu instid0(VALU_DEP_1) | instskip(SKIP_1) | instid1(VALU_DEP_2)
	v_mul_f32_e64 v3, 0x2f800000, |v1|
	v_ashrrev_i32_e32 v38, 31, v1
	v_floor_f32_e32 v3, v3
	s_delay_alu instid0(VALU_DEP_1) | instskip(SKIP_1) | instid1(VALU_DEP_4)
	v_fma_f32 v5, 0xcf800000, v3, |v1|
	v_cvt_u32_f32_e32 v1, v3
	v_mov_b32_e32 v39, v38
	s_delay_alu instid0(VALU_DEP_3) | instskip(NEXT) | instid1(VALU_DEP_3)
	v_cvt_u32_f32_e32 v3, v5
	v_xor_b32_e32 v45, v1, v38
	s_delay_alu instid0(VALU_DEP_2) | instskip(NEXT) | instid1(VALU_DEP_1)
	v_xor_b32_e32 v44, v3, v38
	v_sub_nc_u64_e32 v[38:39], v[44:45], v[38:39]
.LBB31_3985:
	s_mov_b32 s0, 0
.LBB31_3986:
	s_delay_alu instid0(SALU_CYCLE_1)
	s_and_not1_b32 vcc_lo, exec_lo, s0
	s_cbranch_vccnz .LBB31_3988
; %bb.3987:
	global_load_b32 v1, v[42:43], off
	s_wait_loadcnt 0x0
	v_cvt_f32_f16_e32 v1, v1
	s_delay_alu instid0(VALU_DEP_1) | instskip(NEXT) | instid1(VALU_DEP_1)
	v_cvt_i32_f32_e32 v38, v1
	v_ashrrev_i32_e32 v39, 31, v38
.LBB31_3988:
	s_mov_b32 s0, 0
.LBB31_3989:
	s_delay_alu instid0(SALU_CYCLE_1)
	s_and_not1_b32 vcc_lo, exec_lo, s0
	s_cbranch_vccnz .LBB31_4000
; %bb.3990:
	s_cmp_lt_i32 s56, 6
	s_cbranch_scc1 .LBB31_3993
; %bb.3991:
	s_cmp_gt_i32 s56, 6
	s_cbranch_scc0 .LBB31_3994
; %bb.3992:
	s_wait_loadcnt 0x0
	global_load_b64 v[38:39], v[42:43], off
	s_mov_b32 s0, 0
	s_wait_loadcnt 0x0
	v_trunc_f64_e32 v[38:39], v[38:39]
	s_delay_alu instid0(VALU_DEP_1) | instskip(NEXT) | instid1(VALU_DEP_1)
	v_ldexp_f64 v[44:45], v[38:39], 0xffffffe0
	v_floor_f64_e32 v[44:45], v[44:45]
	s_delay_alu instid0(VALU_DEP_1) | instskip(SKIP_1) | instid1(VALU_DEP_2)
	v_fmamk_f64 v[46:47], v[44:45], 0xc1f00000, v[38:39]
	v_cvt_i32_f64_e32 v39, v[44:45]
	v_cvt_u32_f64_e32 v38, v[46:47]
	s_branch .LBB31_3995
.LBB31_3993:
	s_mov_b32 s0, -1
                                        ; implicit-def: $vgpr38_vgpr39
	s_branch .LBB31_3998
.LBB31_3994:
	s_mov_b32 s0, -1
                                        ; implicit-def: $vgpr38_vgpr39
.LBB31_3995:
	s_delay_alu instid0(SALU_CYCLE_1)
	s_and_not1_b32 vcc_lo, exec_lo, s0
	s_cbranch_vccnz .LBB31_3997
; %bb.3996:
	global_load_b32 v1, v[42:43], off
	s_wait_loadcnt 0x0
	v_trunc_f32_e32 v1, v1
	s_delay_alu instid0(VALU_DEP_1) | instskip(SKIP_1) | instid1(VALU_DEP_2)
	v_mul_f32_e64 v3, 0x2f800000, |v1|
	v_ashrrev_i32_e32 v38, 31, v1
	v_floor_f32_e32 v3, v3
	s_delay_alu instid0(VALU_DEP_1) | instskip(SKIP_1) | instid1(VALU_DEP_4)
	v_fma_f32 v5, 0xcf800000, v3, |v1|
	v_cvt_u32_f32_e32 v1, v3
	v_mov_b32_e32 v39, v38
	s_delay_alu instid0(VALU_DEP_3) | instskip(NEXT) | instid1(VALU_DEP_3)
	v_cvt_u32_f32_e32 v3, v5
	v_xor_b32_e32 v45, v1, v38
	s_delay_alu instid0(VALU_DEP_2) | instskip(NEXT) | instid1(VALU_DEP_1)
	v_xor_b32_e32 v44, v3, v38
	v_sub_nc_u64_e32 v[38:39], v[44:45], v[38:39]
.LBB31_3997:
	s_mov_b32 s0, 0
.LBB31_3998:
	s_delay_alu instid0(SALU_CYCLE_1)
	s_and_not1_b32 vcc_lo, exec_lo, s0
	s_cbranch_vccnz .LBB31_4000
; %bb.3999:
	global_load_u16 v1, v[42:43], off
	s_wait_loadcnt 0x0
	v_cvt_f32_f16_e32 v1, v1
	s_delay_alu instid0(VALU_DEP_1) | instskip(NEXT) | instid1(VALU_DEP_1)
	v_cvt_i32_f32_e32 v38, v1
	v_ashrrev_i32_e32 v39, 31, v38
.LBB31_4000:
	s_mov_b32 s0, 0
.LBB31_4001:
	s_delay_alu instid0(SALU_CYCLE_1)
	s_and_not1_b32 vcc_lo, exec_lo, s0
	s_cbranch_vccnz .LBB31_4021
; %bb.4002:
	s_cmp_lt_i32 s56, 2
	s_cbranch_scc1 .LBB31_4006
; %bb.4003:
	s_cmp_lt_i32 s56, 3
	s_cbranch_scc1 .LBB31_4007
; %bb.4004:
	s_cmp_gt_i32 s56, 3
	s_cbranch_scc0 .LBB31_4008
; %bb.4005:
	s_wait_loadcnt 0x0
	global_load_b64 v[38:39], v[42:43], off
	s_mov_b32 s0, 0
	s_branch .LBB31_4009
.LBB31_4006:
	s_mov_b32 s0, -1
                                        ; implicit-def: $vgpr38_vgpr39
	s_branch .LBB31_4015
.LBB31_4007:
	s_mov_b32 s0, -1
                                        ; implicit-def: $vgpr38_vgpr39
	s_branch .LBB31_4012
.LBB31_4008:
	s_mov_b32 s0, -1
                                        ; implicit-def: $vgpr38_vgpr39
.LBB31_4009:
	s_delay_alu instid0(SALU_CYCLE_1)
	s_and_not1_b32 vcc_lo, exec_lo, s0
	s_cbranch_vccnz .LBB31_4011
; %bb.4010:
	s_wait_loadcnt 0x0
	global_load_b32 v38, v[42:43], off
	s_wait_loadcnt 0x0
	v_ashrrev_i32_e32 v39, 31, v38
.LBB31_4011:
	s_mov_b32 s0, 0
.LBB31_4012:
	s_delay_alu instid0(SALU_CYCLE_1)
	s_and_not1_b32 vcc_lo, exec_lo, s0
	s_cbranch_vccnz .LBB31_4014
; %bb.4013:
	global_load_u16 v1, v[42:43], off
	s_wait_loadcnt 0x0
	v_bfe_i32 v38, v1, 0, 16
	s_delay_alu instid0(VALU_DEP_1)
	v_ashrrev_i32_e32 v39, 31, v38
.LBB31_4014:
	s_mov_b32 s0, 0
.LBB31_4015:
	s_delay_alu instid0(SALU_CYCLE_1)
	s_and_not1_b32 vcc_lo, exec_lo, s0
	s_cbranch_vccnz .LBB31_4021
; %bb.4016:
	s_cmp_gt_i32 s56, 0
	s_mov_b32 s0, 0
	s_cbranch_scc0 .LBB31_4018
; %bb.4017:
	global_load_i8 v1, v[42:43], off
	s_wait_loadcnt 0x0
	v_bfe_i32 v38, v1, 0, 16
	s_delay_alu instid0(VALU_DEP_1)
	v_ashrrev_i32_e32 v39, 31, v38
	s_branch .LBB31_4019
.LBB31_4018:
	s_mov_b32 s0, -1
                                        ; implicit-def: $vgpr38_vgpr39
.LBB31_4019:
	s_delay_alu instid0(SALU_CYCLE_1)
	s_and_not1_b32 vcc_lo, exec_lo, s0
	s_cbranch_vccnz .LBB31_4021
; %bb.4020:
	global_load_u8 v1, v[42:43], off
	s_mov_b32 s0, 0
	s_wait_loadcnt 0x1
	v_mov_b32_e32 v39, s0
	s_wait_loadcnt 0x0
	v_and_b32_e32 v38, 0xffff, v1
.LBB31_4021:
	s_mov_b32 s9, -1
.LBB31_4022:
	s_delay_alu instid0(SALU_CYCLE_1)
	s_and_not1_b32 vcc_lo, exec_lo, s9
	s_cbranch_vccnz .LBB31_4417
; %bb.4023:
	v_mov_b32_e32 v37, 0
	s_and_b32 s57, 0xffff, s47
	s_delay_alu instid0(SALU_CYCLE_1) | instskip(SKIP_1) | instid1(VALU_DEP_1)
	s_cmp_lt_i32 s57, 11
	s_wait_xcnt 0x0
	v_add_nc_u64_e32 v[42:43], s[12:13], v[36:37]
	s_cbranch_scc1 .LBB31_4030
; %bb.4024:
	s_cmp_gt_i32 s57, 25
	s_mov_b32 s1, 0
	s_cbranch_scc0 .LBB31_4031
; %bb.4025:
	s_cmp_gt_i32 s57, 28
	s_cbranch_scc0 .LBB31_4032
; %bb.4026:
	s_cmp_gt_i32 s57, 43
	;; [unrolled: 3-line block ×3, first 2 shown]
	s_cbranch_scc0 .LBB31_4035
; %bb.4028:
	s_cmp_eq_u32 s57, 46
	s_mov_b32 s22, 0
	s_cbranch_scc0 .LBB31_4038
; %bb.4029:
	global_load_b32 v1, v[42:43], off
	s_mov_b32 s0, 0
	s_mov_b32 s9, -1
	s_wait_loadcnt 0x0
	v_lshlrev_b32_e32 v1, 16, v1
	s_delay_alu instid0(VALU_DEP_1) | instskip(NEXT) | instid1(VALU_DEP_1)
	v_trunc_f32_e32 v1, v1
	v_mul_f32_e64 v3, 0x2f800000, |v1|
	v_ashrrev_i32_e32 v36, 31, v1
	s_delay_alu instid0(VALU_DEP_2) | instskip(NEXT) | instid1(VALU_DEP_2)
	v_floor_f32_e32 v3, v3
	v_mov_b32_e32 v37, v36
	s_delay_alu instid0(VALU_DEP_2) | instskip(SKIP_1) | instid1(VALU_DEP_2)
	v_fma_f32 v5, 0xcf800000, v3, |v1|
	v_cvt_u32_f32_e32 v1, v3
	v_cvt_u32_f32_e32 v3, v5
	s_delay_alu instid0(VALU_DEP_2) | instskip(NEXT) | instid1(VALU_DEP_2)
	v_xor_b32_e32 v45, v1, v36
	v_xor_b32_e32 v44, v3, v36
	s_delay_alu instid0(VALU_DEP_1)
	v_sub_nc_u64_e32 v[36:37], v[44:45], v[36:37]
	s_branch .LBB31_4040
.LBB31_4030:
	s_mov_b32 s0, -1
	s_mov_b32 s9, 0
                                        ; implicit-def: $vgpr36_vgpr37
	s_branch .LBB31_4102
.LBB31_4031:
	s_mov_b32 s22, -1
	s_mov_b32 s9, 0
	s_mov_b32 s0, 0
                                        ; implicit-def: $vgpr36_vgpr37
	s_branch .LBB31_4067
.LBB31_4032:
	s_mov_b32 s22, -1
	s_mov_b32 s9, 0
	s_mov_b32 s0, 0
                                        ; implicit-def: $vgpr36_vgpr37
	s_branch .LBB31_4050
.LBB31_4033:
	s_mov_b32 s22, -1
	s_mov_b32 s9, 0
	s_mov_b32 s0, 0
                                        ; implicit-def: $vgpr36_vgpr37
	s_branch .LBB31_4045
.LBB31_4034:
	s_or_b32 s43, s43, exec_lo
	s_trap 2
	s_cbranch_execz .LBB31_3971
	s_branch .LBB31_3972
.LBB31_4035:
	s_mov_b32 s22, -1
	s_mov_b32 s9, 0
	s_mov_b32 s0, 0
	s_branch .LBB31_4039
.LBB31_4036:
	s_or_b32 exec_lo, exec_lo, s39
	s_branch .LBB31_650
.LBB31_4037:
	s_or_b32 s37, s33, exec_lo
	s_trap 2
                                        ; implicit-def: $vgpr6
                                        ; implicit-def: $vgpr34
                                        ; implicit-def: $vgpr32
                                        ; implicit-def: $vgpr38
                                        ; implicit-def: $vgpr36
                                        ; implicit-def: $vgpr4
                                        ; implicit-def: $vgpr40
                                        ; implicit-def: $vgpr24
                                        ; implicit-def: $vgpr22
                                        ; implicit-def: $vgpr28
                                        ; implicit-def: $vgpr26
                                        ; implicit-def: $vgpr2
                                        ; implicit-def: $vgpr30
                                        ; implicit-def: $vgpr14
                                        ; implicit-def: $vgpr10
                                        ; implicit-def: $vgpr18
                                        ; implicit-def: $vgpr16
                                        ; implicit-def: $vgpr0
                                        ; implicit-def: $vgpr20
                                        ; implicit-def: $vgpr8_vgpr9
                                        ; implicit-def: $vgpr12_vgpr13
                                        ; implicit-def: $vgpr46_vgpr47
                                        ; implicit-def: $vgpr44_vgpr45
                                        ; implicit-def: $vgpr48_vgpr49
	s_branch .LBB31_3527
.LBB31_4038:
	s_mov_b32 s0, -1
	s_mov_b32 s9, 0
.LBB31_4039:
                                        ; implicit-def: $vgpr36_vgpr37
.LBB31_4040:
	s_and_b32 vcc_lo, exec_lo, s22
	s_cbranch_vccz .LBB31_4044
; %bb.4041:
	s_cmp_eq_u32 s57, 44
	s_cbranch_scc0 .LBB31_4043
; %bb.4042:
	global_load_u8 v1, v[42:43], off
	s_mov_b32 s0, 0
	s_mov_b32 s9, -1
	s_wait_loadcnt 0x0
	v_lshlrev_b32_e32 v3, 23, v1
	v_cmp_ne_u32_e32 vcc_lo, 0, v1
	s_delay_alu instid0(VALU_DEP_2) | instskip(NEXT) | instid1(VALU_DEP_1)
	v_trunc_f32_e32 v3, v3
	v_mul_f32_e64 v5, 0x2f800000, |v3|
	v_ashrrev_i32_e32 v36, 31, v3
	s_delay_alu instid0(VALU_DEP_2) | instskip(NEXT) | instid1(VALU_DEP_2)
	v_floor_f32_e32 v5, v5
	v_mov_b32_e32 v37, v36
	s_delay_alu instid0(VALU_DEP_2) | instskip(SKIP_1) | instid1(VALU_DEP_2)
	v_fma_f32 v7, 0xcf800000, v5, |v3|
	v_cvt_u32_f32_e32 v3, v5
	v_cvt_u32_f32_e32 v5, v7
	s_delay_alu instid0(VALU_DEP_2) | instskip(NEXT) | instid1(VALU_DEP_2)
	v_xor_b32_e32 v45, v3, v36
	v_xor_b32_e32 v44, v5, v36
	s_delay_alu instid0(VALU_DEP_1) | instskip(NEXT) | instid1(VALU_DEP_1)
	v_sub_nc_u64_e32 v[36:37], v[44:45], v[36:37]
	v_dual_cndmask_b32 v37, 0, v37 :: v_dual_cndmask_b32 v36, 0, v36
	s_branch .LBB31_4044
.LBB31_4043:
	s_mov_b32 s0, -1
                                        ; implicit-def: $vgpr36_vgpr37
.LBB31_4044:
	s_mov_b32 s22, 0
.LBB31_4045:
	s_delay_alu instid0(SALU_CYCLE_1)
	s_and_b32 vcc_lo, exec_lo, s22
	s_cbranch_vccz .LBB31_4049
; %bb.4046:
	s_cmp_eq_u32 s57, 29
	s_cbranch_scc0 .LBB31_4048
; %bb.4047:
	global_load_b64 v[36:37], v[42:43], off
	s_mov_b32 s0, 0
	s_mov_b32 s9, -1
	s_branch .LBB31_4049
.LBB31_4048:
	s_mov_b32 s0, -1
                                        ; implicit-def: $vgpr36_vgpr37
.LBB31_4049:
	s_mov_b32 s22, 0
.LBB31_4050:
	s_delay_alu instid0(SALU_CYCLE_1)
	s_and_b32 vcc_lo, exec_lo, s22
	s_cbranch_vccz .LBB31_4066
; %bb.4051:
	s_cmp_lt_i32 s57, 27
	s_cbranch_scc1 .LBB31_4054
; %bb.4052:
	s_cmp_gt_i32 s57, 27
	s_cbranch_scc0 .LBB31_4055
; %bb.4053:
	s_wait_loadcnt 0x0
	global_load_b32 v36, v[42:43], off
	v_mov_b32_e32 v37, 0
	s_mov_b32 s9, 0
	s_branch .LBB31_4056
.LBB31_4054:
	s_mov_b32 s9, -1
                                        ; implicit-def: $vgpr36_vgpr37
	s_branch .LBB31_4059
.LBB31_4055:
	s_mov_b32 s9, -1
                                        ; implicit-def: $vgpr36_vgpr37
.LBB31_4056:
	s_delay_alu instid0(SALU_CYCLE_1)
	s_and_not1_b32 vcc_lo, exec_lo, s9
	s_cbranch_vccnz .LBB31_4058
; %bb.4057:
	global_load_u16 v1, v[42:43], off
	s_mov_b32 s9, 0
	s_wait_loadcnt 0x1
	v_mov_b32_e32 v37, s9
	s_wait_loadcnt 0x0
	v_and_b32_e32 v36, 0xffff, v1
.LBB31_4058:
	s_mov_b32 s9, 0
.LBB31_4059:
	s_delay_alu instid0(SALU_CYCLE_1)
	s_and_not1_b32 vcc_lo, exec_lo, s9
	s_cbranch_vccnz .LBB31_4065
; %bb.4060:
	global_load_u8 v1, v[42:43], off
	s_mov_b32 s22, 0
	s_mov_b32 s9, exec_lo
	s_wait_loadcnt 0x0
	v_cmpx_lt_i16_e32 0x7f, v1
	s_xor_b32 s9, exec_lo, s9
	s_cbranch_execz .LBB31_4077
; %bb.4061:
	v_cmp_ne_u16_e32 vcc_lo, 0x80, v1
	s_and_b32 s22, vcc_lo, exec_lo
	s_and_not1_saveexec_b32 s9, s9
	s_cbranch_execnz .LBB31_4078
.LBB31_4062:
	s_or_b32 exec_lo, exec_lo, s9
	v_mov_b64_e32 v[36:37], 0
	s_and_saveexec_b32 s9, s22
	s_cbranch_execz .LBB31_4064
.LBB31_4063:
	v_and_b32_e32 v3, 0xffff, v1
	s_delay_alu instid0(VALU_DEP_1) | instskip(SKIP_1) | instid1(VALU_DEP_2)
	v_dual_lshlrev_b32 v1, 24, v1 :: v_dual_bitop2_b32 v5, 7, v3 bitop3:0x40
	v_bfe_u32 v15, v3, 3, 4
	v_and_b32_e32 v1, 0x80000000, v1
	s_delay_alu instid0(VALU_DEP_3) | instskip(NEXT) | instid1(VALU_DEP_3)
	v_clz_i32_u32_e32 v7, v5
	v_cmp_eq_u32_e32 vcc_lo, 0, v15
	s_delay_alu instid0(VALU_DEP_2) | instskip(NEXT) | instid1(VALU_DEP_1)
	v_min_u32_e32 v7, 32, v7
	v_subrev_nc_u32_e32 v11, 28, v7
	v_sub_nc_u32_e32 v7, 29, v7
	s_delay_alu instid0(VALU_DEP_2) | instskip(NEXT) | instid1(VALU_DEP_2)
	v_lshlrev_b32_e32 v3, v11, v3
	v_cndmask_b32_e32 v7, v15, v7, vcc_lo
	s_delay_alu instid0(VALU_DEP_2) | instskip(NEXT) | instid1(VALU_DEP_1)
	v_and_b32_e32 v3, 7, v3
	v_cndmask_b32_e32 v3, v5, v3, vcc_lo
	s_delay_alu instid0(VALU_DEP_3) | instskip(NEXT) | instid1(VALU_DEP_2)
	v_lshl_add_u32 v5, v7, 23, 0x3b800000
	v_lshlrev_b32_e32 v3, 20, v3
	s_delay_alu instid0(VALU_DEP_1) | instskip(NEXT) | instid1(VALU_DEP_1)
	v_or3_b32 v1, v1, v5, v3
	v_trunc_f32_e32 v1, v1
	s_delay_alu instid0(VALU_DEP_1) | instskip(SKIP_1) | instid1(VALU_DEP_2)
	v_mul_f32_e64 v3, 0x2f800000, |v1|
	v_ashrrev_i32_e32 v36, 31, v1
	v_floor_f32_e32 v3, v3
	s_delay_alu instid0(VALU_DEP_2) | instskip(NEXT) | instid1(VALU_DEP_2)
	v_mov_b32_e32 v37, v36
	v_fma_f32 v5, 0xcf800000, v3, |v1|
	v_cvt_u32_f32_e32 v1, v3
	s_delay_alu instid0(VALU_DEP_2) | instskip(NEXT) | instid1(VALU_DEP_2)
	v_cvt_u32_f32_e32 v3, v5
	v_xor_b32_e32 v45, v1, v36
	s_delay_alu instid0(VALU_DEP_2) | instskip(NEXT) | instid1(VALU_DEP_1)
	v_xor_b32_e32 v44, v3, v36
	v_sub_nc_u64_e32 v[36:37], v[44:45], v[36:37]
.LBB31_4064:
	s_or_b32 exec_lo, exec_lo, s9
.LBB31_4065:
	s_mov_b32 s9, -1
.LBB31_4066:
	s_mov_b32 s22, 0
.LBB31_4067:
	s_delay_alu instid0(SALU_CYCLE_1)
	s_and_b32 vcc_lo, exec_lo, s22
	s_cbranch_vccz .LBB31_4098
; %bb.4068:
	s_cmp_gt_i32 s57, 22
	s_cbranch_scc0 .LBB31_4076
; %bb.4069:
	s_cmp_lt_i32 s57, 24
	s_cbranch_scc1 .LBB31_4079
; %bb.4070:
	s_cmp_gt_i32 s57, 24
	s_cbranch_scc0 .LBB31_4080
; %bb.4071:
	global_load_u8 v1, v[42:43], off
	s_mov_b32 s9, 0
	s_mov_b32 s1, exec_lo
	s_wait_loadcnt 0x0
	v_cmpx_lt_i16_e32 0x7f, v1
	s_xor_b32 s1, exec_lo, s1
	s_cbranch_execz .LBB31_4092
; %bb.4072:
	v_cmp_ne_u16_e32 vcc_lo, 0x80, v1
	s_and_b32 s9, vcc_lo, exec_lo
	s_and_not1_saveexec_b32 s1, s1
	s_cbranch_execnz .LBB31_4093
.LBB31_4073:
	s_or_b32 exec_lo, exec_lo, s1
	v_mov_b64_e32 v[36:37], 0
	s_and_saveexec_b32 s1, s9
	s_cbranch_execz .LBB31_4075
.LBB31_4074:
	v_and_b32_e32 v3, 0xffff, v1
	s_delay_alu instid0(VALU_DEP_1) | instskip(SKIP_1) | instid1(VALU_DEP_2)
	v_dual_lshlrev_b32 v1, 24, v1 :: v_dual_bitop2_b32 v5, 3, v3 bitop3:0x40
	v_bfe_u32 v15, v3, 2, 5
	v_and_b32_e32 v1, 0x80000000, v1
	s_delay_alu instid0(VALU_DEP_3) | instskip(NEXT) | instid1(VALU_DEP_3)
	v_clz_i32_u32_e32 v7, v5
	v_cmp_eq_u32_e32 vcc_lo, 0, v15
	s_delay_alu instid0(VALU_DEP_2) | instskip(NEXT) | instid1(VALU_DEP_1)
	v_min_u32_e32 v7, 32, v7
	v_subrev_nc_u32_e32 v11, 29, v7
	v_sub_nc_u32_e32 v7, 30, v7
	s_delay_alu instid0(VALU_DEP_2) | instskip(NEXT) | instid1(VALU_DEP_2)
	v_lshlrev_b32_e32 v3, v11, v3
	v_cndmask_b32_e32 v7, v15, v7, vcc_lo
	s_delay_alu instid0(VALU_DEP_2) | instskip(NEXT) | instid1(VALU_DEP_1)
	v_and_b32_e32 v3, 3, v3
	v_cndmask_b32_e32 v3, v5, v3, vcc_lo
	s_delay_alu instid0(VALU_DEP_3) | instskip(NEXT) | instid1(VALU_DEP_2)
	v_lshl_add_u32 v5, v7, 23, 0x37800000
	v_lshlrev_b32_e32 v3, 21, v3
	s_delay_alu instid0(VALU_DEP_1) | instskip(NEXT) | instid1(VALU_DEP_1)
	v_or3_b32 v1, v1, v5, v3
	v_trunc_f32_e32 v1, v1
	s_delay_alu instid0(VALU_DEP_1) | instskip(SKIP_1) | instid1(VALU_DEP_2)
	v_mul_f32_e64 v3, 0x2f800000, |v1|
	v_ashrrev_i32_e32 v36, 31, v1
	v_floor_f32_e32 v3, v3
	s_delay_alu instid0(VALU_DEP_2) | instskip(NEXT) | instid1(VALU_DEP_2)
	v_mov_b32_e32 v37, v36
	v_fma_f32 v5, 0xcf800000, v3, |v1|
	v_cvt_u32_f32_e32 v1, v3
	s_delay_alu instid0(VALU_DEP_2) | instskip(NEXT) | instid1(VALU_DEP_2)
	v_cvt_u32_f32_e32 v3, v5
	v_xor_b32_e32 v45, v1, v36
	s_delay_alu instid0(VALU_DEP_2) | instskip(NEXT) | instid1(VALU_DEP_1)
	v_xor_b32_e32 v44, v3, v36
	v_sub_nc_u64_e32 v[36:37], v[44:45], v[36:37]
.LBB31_4075:
	s_or_b32 exec_lo, exec_lo, s1
	s_mov_b32 s1, 0
	s_branch .LBB31_4081
.LBB31_4076:
	s_mov_b32 s1, -1
                                        ; implicit-def: $vgpr36_vgpr37
	s_branch .LBB31_4087
.LBB31_4077:
	s_and_not1_saveexec_b32 s9, s9
	s_cbranch_execz .LBB31_4062
.LBB31_4078:
	v_cmp_ne_u16_e32 vcc_lo, 0, v1
	s_and_not1_b32 s22, s22, exec_lo
	s_and_b32 s23, vcc_lo, exec_lo
	s_delay_alu instid0(SALU_CYCLE_1)
	s_or_b32 s22, s22, s23
	s_or_b32 exec_lo, exec_lo, s9
	v_mov_b64_e32 v[36:37], 0
	s_and_saveexec_b32 s9, s22
	s_cbranch_execnz .LBB31_4063
	s_branch .LBB31_4064
.LBB31_4079:
	s_mov_b32 s1, -1
                                        ; implicit-def: $vgpr36_vgpr37
	s_branch .LBB31_4084
.LBB31_4080:
	s_mov_b32 s1, -1
                                        ; implicit-def: $vgpr36_vgpr37
.LBB31_4081:
	s_delay_alu instid0(SALU_CYCLE_1)
	s_and_b32 vcc_lo, exec_lo, s1
	s_cbranch_vccz .LBB31_4083
; %bb.4082:
	global_load_u8 v1, v[42:43], off
	s_wait_loadcnt 0x0
	v_lshlrev_b32_e32 v1, 24, v1
	s_delay_alu instid0(VALU_DEP_1) | instskip(NEXT) | instid1(VALU_DEP_1)
	v_and_b32_e32 v3, 0x7f000000, v1
	v_clz_i32_u32_e32 v5, v3
	v_add_nc_u32_e32 v11, 0x1000000, v3
	v_cmp_ne_u32_e32 vcc_lo, 0, v3
	s_delay_alu instid0(VALU_DEP_3) | instskip(NEXT) | instid1(VALU_DEP_1)
	v_min_u32_e32 v5, 32, v5
	v_sub_nc_u32_e64 v5, v5, 4 clamp
	s_delay_alu instid0(VALU_DEP_1) | instskip(NEXT) | instid1(VALU_DEP_1)
	v_dual_lshlrev_b32 v7, v5, v3 :: v_dual_lshlrev_b32 v5, 23, v5
	v_lshrrev_b32_e32 v7, 4, v7
	s_delay_alu instid0(VALU_DEP_1) | instskip(NEXT) | instid1(VALU_DEP_1)
	v_dual_sub_nc_u32 v5, v7, v5 :: v_dual_ashrrev_i32 v7, 8, v11
	v_add_nc_u32_e32 v5, 0x3c000000, v5
	s_delay_alu instid0(VALU_DEP_1) | instskip(NEXT) | instid1(VALU_DEP_1)
	v_and_or_b32 v5, 0x7f800000, v7, v5
	v_cndmask_b32_e32 v3, 0, v5, vcc_lo
	s_delay_alu instid0(VALU_DEP_1) | instskip(NEXT) | instid1(VALU_DEP_1)
	v_and_or_b32 v1, 0x80000000, v1, v3
	v_trunc_f32_e32 v1, v1
	s_delay_alu instid0(VALU_DEP_1) | instskip(SKIP_1) | instid1(VALU_DEP_2)
	v_mul_f32_e64 v3, 0x2f800000, |v1|
	v_ashrrev_i32_e32 v36, 31, v1
	v_floor_f32_e32 v3, v3
	s_delay_alu instid0(VALU_DEP_2) | instskip(NEXT) | instid1(VALU_DEP_2)
	v_mov_b32_e32 v37, v36
	v_fma_f32 v5, 0xcf800000, v3, |v1|
	v_cvt_u32_f32_e32 v1, v3
	s_delay_alu instid0(VALU_DEP_2) | instskip(NEXT) | instid1(VALU_DEP_2)
	v_cvt_u32_f32_e32 v3, v5
	v_xor_b32_e32 v45, v1, v36
	s_delay_alu instid0(VALU_DEP_2) | instskip(NEXT) | instid1(VALU_DEP_1)
	v_xor_b32_e32 v44, v3, v36
	v_sub_nc_u64_e32 v[36:37], v[44:45], v[36:37]
.LBB31_4083:
	s_mov_b32 s1, 0
.LBB31_4084:
	s_delay_alu instid0(SALU_CYCLE_1)
	s_and_not1_b32 vcc_lo, exec_lo, s1
	s_cbranch_vccnz .LBB31_4086
; %bb.4085:
	global_load_u8 v1, v[42:43], off
	s_wait_loadcnt 0x0
	v_lshlrev_b32_e32 v3, 25, v1
	v_lshlrev_b16 v1, 8, v1
	s_delay_alu instid0(VALU_DEP_1) | instskip(SKIP_1) | instid1(VALU_DEP_2)
	v_and_or_b32 v7, 0x7f00, v1, 0.5
	v_bfe_i32 v1, v1, 0, 16
	v_add_f32_e32 v7, -0.5, v7
	v_lshrrev_b32_e32 v5, 4, v3
	v_cmp_gt_u32_e32 vcc_lo, 0x8000000, v3
	s_delay_alu instid0(VALU_DEP_2) | instskip(NEXT) | instid1(VALU_DEP_1)
	v_or_b32_e32 v5, 0x70000000, v5
	v_mul_f32_e32 v5, 0x7800000, v5
	s_delay_alu instid0(VALU_DEP_1) | instskip(NEXT) | instid1(VALU_DEP_1)
	v_cndmask_b32_e32 v3, v5, v7, vcc_lo
	v_and_or_b32 v1, 0x80000000, v1, v3
	s_delay_alu instid0(VALU_DEP_1) | instskip(NEXT) | instid1(VALU_DEP_1)
	v_trunc_f32_e32 v1, v1
	v_mul_f32_e64 v3, 0x2f800000, |v1|
	v_ashrrev_i32_e32 v36, 31, v1
	s_delay_alu instid0(VALU_DEP_2) | instskip(NEXT) | instid1(VALU_DEP_2)
	v_floor_f32_e32 v3, v3
	v_mov_b32_e32 v37, v36
	s_delay_alu instid0(VALU_DEP_2) | instskip(SKIP_1) | instid1(VALU_DEP_2)
	v_fma_f32 v5, 0xcf800000, v3, |v1|
	v_cvt_u32_f32_e32 v1, v3
	v_cvt_u32_f32_e32 v3, v5
	s_delay_alu instid0(VALU_DEP_2) | instskip(NEXT) | instid1(VALU_DEP_2)
	v_xor_b32_e32 v45, v1, v36
	v_xor_b32_e32 v44, v3, v36
	s_delay_alu instid0(VALU_DEP_1)
	v_sub_nc_u64_e32 v[36:37], v[44:45], v[36:37]
.LBB31_4086:
	s_mov_b32 s1, 0
	s_mov_b32 s9, -1
.LBB31_4087:
	s_and_not1_b32 vcc_lo, exec_lo, s1
	s_mov_b32 s1, 0
	s_cbranch_vccnz .LBB31_4098
; %bb.4088:
	s_cmp_gt_i32 s57, 14
	s_cbranch_scc0 .LBB31_4091
; %bb.4089:
	s_cmp_eq_u32 s57, 15
	s_cbranch_scc0 .LBB31_4094
; %bb.4090:
	global_load_u16 v1, v[42:43], off
	s_mov_b32 s0, 0
	s_mov_b32 s9, -1
	s_wait_loadcnt 0x0
	v_lshlrev_b32_e32 v1, 16, v1
	s_delay_alu instid0(VALU_DEP_1) | instskip(NEXT) | instid1(VALU_DEP_1)
	v_trunc_f32_e32 v1, v1
	v_mul_f32_e64 v3, 0x2f800000, |v1|
	v_ashrrev_i32_e32 v36, 31, v1
	s_delay_alu instid0(VALU_DEP_2) | instskip(NEXT) | instid1(VALU_DEP_2)
	v_floor_f32_e32 v3, v3
	v_mov_b32_e32 v37, v36
	s_delay_alu instid0(VALU_DEP_2) | instskip(SKIP_1) | instid1(VALU_DEP_2)
	v_fma_f32 v5, 0xcf800000, v3, |v1|
	v_cvt_u32_f32_e32 v1, v3
	v_cvt_u32_f32_e32 v3, v5
	s_delay_alu instid0(VALU_DEP_2) | instskip(NEXT) | instid1(VALU_DEP_2)
	v_xor_b32_e32 v45, v1, v36
	v_xor_b32_e32 v44, v3, v36
	s_delay_alu instid0(VALU_DEP_1)
	v_sub_nc_u64_e32 v[36:37], v[44:45], v[36:37]
	s_branch .LBB31_4096
.LBB31_4091:
	s_mov_b32 s1, -1
	s_branch .LBB31_4095
.LBB31_4092:
	s_and_not1_saveexec_b32 s1, s1
	s_cbranch_execz .LBB31_4073
.LBB31_4093:
	v_cmp_ne_u16_e32 vcc_lo, 0, v1
	s_and_not1_b32 s9, s9, exec_lo
	s_and_b32 s22, vcc_lo, exec_lo
	s_delay_alu instid0(SALU_CYCLE_1)
	s_or_b32 s9, s9, s22
	s_or_b32 exec_lo, exec_lo, s1
	v_mov_b64_e32 v[36:37], 0
	s_and_saveexec_b32 s1, s9
	s_cbranch_execnz .LBB31_4074
	s_branch .LBB31_4075
.LBB31_4094:
	s_mov_b32 s0, -1
.LBB31_4095:
                                        ; implicit-def: $vgpr36_vgpr37
.LBB31_4096:
	s_and_b32 vcc_lo, exec_lo, s1
	s_mov_b32 s1, 0
	s_cbranch_vccz .LBB31_4098
; %bb.4097:
	s_cmp_lg_u32 s57, 11
	s_mov_b32 s1, -1
	s_cselect_b32 s0, -1, 0
.LBB31_4098:
	s_delay_alu instid0(SALU_CYCLE_1)
	s_and_b32 vcc_lo, exec_lo, s0
	s_cbranch_vccnz .LBB31_4163
; %bb.4099:
	s_and_not1_b32 vcc_lo, exec_lo, s1
	s_cbranch_vccnz .LBB31_4101
.LBB31_4100:
	global_load_u8 v1, v[42:43], off
	s_mov_b32 s0, 0
	s_mov_b32 s9, -1
	s_wait_loadcnt 0x1
	v_mov_b32_e32 v37, s0
	s_wait_loadcnt 0x0
	v_cmp_ne_u16_e32 vcc_lo, 0, v1
	v_cndmask_b32_e64 v36, 0, 1, vcc_lo
.LBB31_4101:
	s_mov_b32 s0, 0
.LBB31_4102:
	s_delay_alu instid0(SALU_CYCLE_1)
	s_and_b32 vcc_lo, exec_lo, s0
	s_cbranch_vccz .LBB31_4151
; %bb.4103:
	s_cmp_lt_i32 s57, 5
	s_cbranch_scc1 .LBB31_4108
; %bb.4104:
	s_cmp_lt_i32 s57, 8
	s_cbranch_scc1 .LBB31_4109
; %bb.4105:
	s_cmp_lt_i32 s57, 9
	s_cbranch_scc1 .LBB31_4110
; %bb.4106:
	s_cmp_gt_i32 s57, 9
	s_cbranch_scc0 .LBB31_4111
; %bb.4107:
	s_wait_loadcnt 0x0
	global_load_b64 v[36:37], v[42:43], off
	s_mov_b32 s0, 0
	s_wait_loadcnt 0x0
	v_trunc_f64_e32 v[36:37], v[36:37]
	s_delay_alu instid0(VALU_DEP_1) | instskip(NEXT) | instid1(VALU_DEP_1)
	v_ldexp_f64 v[44:45], v[36:37], 0xffffffe0
	v_floor_f64_e32 v[44:45], v[44:45]
	s_delay_alu instid0(VALU_DEP_1) | instskip(SKIP_1) | instid1(VALU_DEP_2)
	v_fmamk_f64 v[46:47], v[44:45], 0xc1f00000, v[36:37]
	v_cvt_i32_f64_e32 v37, v[44:45]
	v_cvt_u32_f64_e32 v36, v[46:47]
	s_branch .LBB31_4112
.LBB31_4108:
	s_mov_b32 s0, -1
                                        ; implicit-def: $vgpr36_vgpr37
	s_branch .LBB31_4130
.LBB31_4109:
	s_mov_b32 s0, -1
                                        ; implicit-def: $vgpr36_vgpr37
	s_branch .LBB31_4118
.LBB31_4110:
	s_mov_b32 s0, -1
                                        ; implicit-def: $vgpr36_vgpr37
	s_branch .LBB31_4115
.LBB31_4111:
	s_mov_b32 s0, -1
                                        ; implicit-def: $vgpr36_vgpr37
.LBB31_4112:
	s_delay_alu instid0(SALU_CYCLE_1)
	s_and_not1_b32 vcc_lo, exec_lo, s0
	s_cbranch_vccnz .LBB31_4114
; %bb.4113:
	global_load_b32 v1, v[42:43], off
	s_wait_loadcnt 0x0
	v_trunc_f32_e32 v1, v1
	s_delay_alu instid0(VALU_DEP_1) | instskip(SKIP_1) | instid1(VALU_DEP_2)
	v_mul_f32_e64 v3, 0x2f800000, |v1|
	v_ashrrev_i32_e32 v36, 31, v1
	v_floor_f32_e32 v3, v3
	s_delay_alu instid0(VALU_DEP_1) | instskip(SKIP_1) | instid1(VALU_DEP_4)
	v_fma_f32 v5, 0xcf800000, v3, |v1|
	v_cvt_u32_f32_e32 v1, v3
	v_mov_b32_e32 v37, v36
	s_delay_alu instid0(VALU_DEP_3) | instskip(NEXT) | instid1(VALU_DEP_3)
	v_cvt_u32_f32_e32 v3, v5
	v_xor_b32_e32 v45, v1, v36
	s_delay_alu instid0(VALU_DEP_2) | instskip(NEXT) | instid1(VALU_DEP_1)
	v_xor_b32_e32 v44, v3, v36
	v_sub_nc_u64_e32 v[36:37], v[44:45], v[36:37]
.LBB31_4114:
	s_mov_b32 s0, 0
.LBB31_4115:
	s_delay_alu instid0(SALU_CYCLE_1)
	s_and_not1_b32 vcc_lo, exec_lo, s0
	s_cbranch_vccnz .LBB31_4117
; %bb.4116:
	global_load_b32 v1, v[42:43], off
	s_wait_loadcnt 0x0
	v_cvt_f32_f16_e32 v1, v1
	s_delay_alu instid0(VALU_DEP_1) | instskip(NEXT) | instid1(VALU_DEP_1)
	v_cvt_i32_f32_e32 v36, v1
	v_ashrrev_i32_e32 v37, 31, v36
.LBB31_4117:
	s_mov_b32 s0, 0
.LBB31_4118:
	s_delay_alu instid0(SALU_CYCLE_1)
	s_and_not1_b32 vcc_lo, exec_lo, s0
	s_cbranch_vccnz .LBB31_4129
; %bb.4119:
	s_cmp_lt_i32 s57, 6
	s_cbranch_scc1 .LBB31_4122
; %bb.4120:
	s_cmp_gt_i32 s57, 6
	s_cbranch_scc0 .LBB31_4123
; %bb.4121:
	s_wait_loadcnt 0x0
	global_load_b64 v[36:37], v[42:43], off
	s_mov_b32 s0, 0
	s_wait_loadcnt 0x0
	v_trunc_f64_e32 v[36:37], v[36:37]
	s_delay_alu instid0(VALU_DEP_1) | instskip(NEXT) | instid1(VALU_DEP_1)
	v_ldexp_f64 v[44:45], v[36:37], 0xffffffe0
	v_floor_f64_e32 v[44:45], v[44:45]
	s_delay_alu instid0(VALU_DEP_1) | instskip(SKIP_1) | instid1(VALU_DEP_2)
	v_fmamk_f64 v[46:47], v[44:45], 0xc1f00000, v[36:37]
	v_cvt_i32_f64_e32 v37, v[44:45]
	v_cvt_u32_f64_e32 v36, v[46:47]
	s_branch .LBB31_4124
.LBB31_4122:
	s_mov_b32 s0, -1
                                        ; implicit-def: $vgpr36_vgpr37
	s_branch .LBB31_4127
.LBB31_4123:
	s_mov_b32 s0, -1
                                        ; implicit-def: $vgpr36_vgpr37
.LBB31_4124:
	s_delay_alu instid0(SALU_CYCLE_1)
	s_and_not1_b32 vcc_lo, exec_lo, s0
	s_cbranch_vccnz .LBB31_4126
; %bb.4125:
	global_load_b32 v1, v[42:43], off
	s_wait_loadcnt 0x0
	v_trunc_f32_e32 v1, v1
	s_delay_alu instid0(VALU_DEP_1) | instskip(SKIP_1) | instid1(VALU_DEP_2)
	v_mul_f32_e64 v3, 0x2f800000, |v1|
	v_ashrrev_i32_e32 v36, 31, v1
	v_floor_f32_e32 v3, v3
	s_delay_alu instid0(VALU_DEP_1) | instskip(SKIP_1) | instid1(VALU_DEP_4)
	v_fma_f32 v5, 0xcf800000, v3, |v1|
	v_cvt_u32_f32_e32 v1, v3
	v_mov_b32_e32 v37, v36
	s_delay_alu instid0(VALU_DEP_3) | instskip(NEXT) | instid1(VALU_DEP_3)
	v_cvt_u32_f32_e32 v3, v5
	v_xor_b32_e32 v45, v1, v36
	s_delay_alu instid0(VALU_DEP_2) | instskip(NEXT) | instid1(VALU_DEP_1)
	v_xor_b32_e32 v44, v3, v36
	v_sub_nc_u64_e32 v[36:37], v[44:45], v[36:37]
.LBB31_4126:
	s_mov_b32 s0, 0
.LBB31_4127:
	s_delay_alu instid0(SALU_CYCLE_1)
	s_and_not1_b32 vcc_lo, exec_lo, s0
	s_cbranch_vccnz .LBB31_4129
; %bb.4128:
	global_load_u16 v1, v[42:43], off
	s_wait_loadcnt 0x0
	v_cvt_f32_f16_e32 v1, v1
	s_delay_alu instid0(VALU_DEP_1) | instskip(NEXT) | instid1(VALU_DEP_1)
	v_cvt_i32_f32_e32 v36, v1
	v_ashrrev_i32_e32 v37, 31, v36
.LBB31_4129:
	s_mov_b32 s0, 0
.LBB31_4130:
	s_delay_alu instid0(SALU_CYCLE_1)
	s_and_not1_b32 vcc_lo, exec_lo, s0
	s_cbranch_vccnz .LBB31_4150
; %bb.4131:
	s_cmp_lt_i32 s57, 2
	s_cbranch_scc1 .LBB31_4135
; %bb.4132:
	s_cmp_lt_i32 s57, 3
	s_cbranch_scc1 .LBB31_4136
; %bb.4133:
	s_cmp_gt_i32 s57, 3
	s_cbranch_scc0 .LBB31_4137
; %bb.4134:
	s_wait_loadcnt 0x0
	global_load_b64 v[36:37], v[42:43], off
	s_mov_b32 s0, 0
	s_branch .LBB31_4138
.LBB31_4135:
	s_mov_b32 s0, -1
                                        ; implicit-def: $vgpr36_vgpr37
	s_branch .LBB31_4144
.LBB31_4136:
	s_mov_b32 s0, -1
                                        ; implicit-def: $vgpr36_vgpr37
	s_branch .LBB31_4141
.LBB31_4137:
	s_mov_b32 s0, -1
                                        ; implicit-def: $vgpr36_vgpr37
.LBB31_4138:
	s_delay_alu instid0(SALU_CYCLE_1)
	s_and_not1_b32 vcc_lo, exec_lo, s0
	s_cbranch_vccnz .LBB31_4140
; %bb.4139:
	s_wait_loadcnt 0x0
	global_load_b32 v36, v[42:43], off
	s_wait_loadcnt 0x0
	v_ashrrev_i32_e32 v37, 31, v36
.LBB31_4140:
	s_mov_b32 s0, 0
.LBB31_4141:
	s_delay_alu instid0(SALU_CYCLE_1)
	s_and_not1_b32 vcc_lo, exec_lo, s0
	s_cbranch_vccnz .LBB31_4143
; %bb.4142:
	global_load_u16 v1, v[42:43], off
	s_wait_loadcnt 0x0
	v_bfe_i32 v36, v1, 0, 16
	s_delay_alu instid0(VALU_DEP_1)
	v_ashrrev_i32_e32 v37, 31, v36
.LBB31_4143:
	s_mov_b32 s0, 0
.LBB31_4144:
	s_delay_alu instid0(SALU_CYCLE_1)
	s_and_not1_b32 vcc_lo, exec_lo, s0
	s_cbranch_vccnz .LBB31_4150
; %bb.4145:
	s_cmp_gt_i32 s57, 0
	s_mov_b32 s0, 0
	s_cbranch_scc0 .LBB31_4147
; %bb.4146:
	global_load_i8 v1, v[42:43], off
	s_wait_loadcnt 0x0
	v_bfe_i32 v36, v1, 0, 16
	s_delay_alu instid0(VALU_DEP_1)
	v_ashrrev_i32_e32 v37, 31, v36
	s_branch .LBB31_4148
.LBB31_4147:
	s_mov_b32 s0, -1
                                        ; implicit-def: $vgpr36_vgpr37
.LBB31_4148:
	s_delay_alu instid0(SALU_CYCLE_1)
	s_and_not1_b32 vcc_lo, exec_lo, s0
	s_cbranch_vccnz .LBB31_4150
; %bb.4149:
	global_load_u8 v1, v[42:43], off
	s_mov_b32 s0, 0
	s_wait_loadcnt 0x1
	v_mov_b32_e32 v37, s0
	s_wait_loadcnt 0x0
	v_and_b32_e32 v36, 0xffff, v1
.LBB31_4150:
	s_mov_b32 s9, -1
.LBB31_4151:
	s_delay_alu instid0(SALU_CYCLE_1)
	s_and_not1_b32 vcc_lo, exec_lo, s9
	s_cbranch_vccnz .LBB31_4417
; %bb.4152:
	v_mov_b32_e32 v35, 0
	s_and_b32 s58, 0xffff, s48
	s_delay_alu instid0(SALU_CYCLE_1) | instskip(SKIP_1) | instid1(VALU_DEP_1)
	s_cmp_lt_i32 s58, 11
	s_wait_xcnt 0x0
	v_add_nc_u64_e32 v[42:43], s[14:15], v[34:35]
	s_cbranch_scc1 .LBB31_4159
; %bb.4153:
	s_cmp_gt_i32 s58, 25
	s_mov_b32 s1, 0
	s_cbranch_scc0 .LBB31_4160
; %bb.4154:
	s_cmp_gt_i32 s58, 28
	s_cbranch_scc0 .LBB31_4161
; %bb.4155:
	s_cmp_gt_i32 s58, 43
	;; [unrolled: 3-line block ×3, first 2 shown]
	s_cbranch_scc0 .LBB31_4164
; %bb.4157:
	s_cmp_eq_u32 s58, 46
	s_mov_b32 s22, 0
	s_cbranch_scc0 .LBB31_4167
; %bb.4158:
	global_load_b32 v1, v[42:43], off
	s_mov_b32 s0, 0
	s_mov_b32 s9, -1
	s_wait_loadcnt 0x0
	v_lshlrev_b32_e32 v1, 16, v1
	s_delay_alu instid0(VALU_DEP_1) | instskip(NEXT) | instid1(VALU_DEP_1)
	v_trunc_f32_e32 v1, v1
	v_mul_f32_e64 v3, 0x2f800000, |v1|
	v_ashrrev_i32_e32 v34, 31, v1
	s_delay_alu instid0(VALU_DEP_2) | instskip(NEXT) | instid1(VALU_DEP_2)
	v_floor_f32_e32 v3, v3
	v_mov_b32_e32 v35, v34
	s_delay_alu instid0(VALU_DEP_2) | instskip(SKIP_1) | instid1(VALU_DEP_2)
	v_fma_f32 v5, 0xcf800000, v3, |v1|
	v_cvt_u32_f32_e32 v1, v3
	v_cvt_u32_f32_e32 v3, v5
	s_delay_alu instid0(VALU_DEP_2) | instskip(NEXT) | instid1(VALU_DEP_2)
	v_xor_b32_e32 v45, v1, v34
	v_xor_b32_e32 v44, v3, v34
	s_delay_alu instid0(VALU_DEP_1)
	v_sub_nc_u64_e32 v[34:35], v[44:45], v[34:35]
	s_branch .LBB31_4169
.LBB31_4159:
	s_mov_b32 s0, -1
	s_mov_b32 s9, 0
                                        ; implicit-def: $vgpr34_vgpr35
	s_branch .LBB31_4231
.LBB31_4160:
	s_mov_b32 s22, -1
	s_mov_b32 s9, 0
	s_mov_b32 s0, 0
                                        ; implicit-def: $vgpr34_vgpr35
	s_branch .LBB31_4196
.LBB31_4161:
	s_mov_b32 s22, -1
	s_mov_b32 s9, 0
	s_mov_b32 s0, 0
                                        ; implicit-def: $vgpr34_vgpr35
	s_branch .LBB31_4179
.LBB31_4162:
	s_mov_b32 s22, -1
	s_mov_b32 s9, 0
	s_mov_b32 s0, 0
                                        ; implicit-def: $vgpr34_vgpr35
	s_branch .LBB31_4174
.LBB31_4163:
	s_or_b32 s43, s43, exec_lo
	s_trap 2
	s_cbranch_execz .LBB31_4100
	s_branch .LBB31_4101
.LBB31_4164:
	s_mov_b32 s22, -1
	s_mov_b32 s9, 0
	s_mov_b32 s0, 0
	s_branch .LBB31_4168
.LBB31_4165:
	s_or_b32 exec_lo, exec_lo, s93
	s_branch .LBB31_1325
.LBB31_4166:
	s_or_b32 s39, s37, exec_lo
	s_trap 2
                                        ; implicit-def: $vgpr6
                                        ; implicit-def: $vgpr34
                                        ; implicit-def: $vgpr32
                                        ; implicit-def: $vgpr38
                                        ; implicit-def: $vgpr36
                                        ; implicit-def: $vgpr4
                                        ; implicit-def: $vgpr40
                                        ; implicit-def: $vgpr24
                                        ; implicit-def: $vgpr22
                                        ; implicit-def: $vgpr28
                                        ; implicit-def: $vgpr26
                                        ; implicit-def: $vgpr2
                                        ; implicit-def: $vgpr30
                                        ; implicit-def: $vgpr14
                                        ; implicit-def: $vgpr10
                                        ; implicit-def: $vgpr18
                                        ; implicit-def: $vgpr16
                                        ; implicit-def: $vgpr0
                                        ; implicit-def: $vgpr20
                                        ; implicit-def: $vgpr8_vgpr9
                                        ; implicit-def: $vgpr12_vgpr13
                                        ; implicit-def: $vgpr46_vgpr47
                                        ; implicit-def: $vgpr44_vgpr45
                                        ; implicit-def: $vgpr48_vgpr49
	s_branch .LBB31_3529
.LBB31_4167:
	s_mov_b32 s0, -1
	s_mov_b32 s9, 0
.LBB31_4168:
                                        ; implicit-def: $vgpr34_vgpr35
.LBB31_4169:
	s_and_b32 vcc_lo, exec_lo, s22
	s_cbranch_vccz .LBB31_4173
; %bb.4170:
	s_cmp_eq_u32 s58, 44
	s_cbranch_scc0 .LBB31_4172
; %bb.4171:
	global_load_u8 v1, v[42:43], off
	s_mov_b32 s0, 0
	s_mov_b32 s9, -1
	s_wait_loadcnt 0x0
	v_lshlrev_b32_e32 v3, 23, v1
	v_cmp_ne_u32_e32 vcc_lo, 0, v1
	s_delay_alu instid0(VALU_DEP_2) | instskip(NEXT) | instid1(VALU_DEP_1)
	v_trunc_f32_e32 v3, v3
	v_mul_f32_e64 v5, 0x2f800000, |v3|
	v_ashrrev_i32_e32 v34, 31, v3
	s_delay_alu instid0(VALU_DEP_2) | instskip(NEXT) | instid1(VALU_DEP_2)
	v_floor_f32_e32 v5, v5
	v_mov_b32_e32 v35, v34
	s_delay_alu instid0(VALU_DEP_2) | instskip(SKIP_1) | instid1(VALU_DEP_2)
	v_fma_f32 v7, 0xcf800000, v5, |v3|
	v_cvt_u32_f32_e32 v3, v5
	v_cvt_u32_f32_e32 v5, v7
	s_delay_alu instid0(VALU_DEP_2) | instskip(NEXT) | instid1(VALU_DEP_2)
	v_xor_b32_e32 v45, v3, v34
	v_xor_b32_e32 v44, v5, v34
	s_delay_alu instid0(VALU_DEP_1) | instskip(NEXT) | instid1(VALU_DEP_1)
	v_sub_nc_u64_e32 v[34:35], v[44:45], v[34:35]
	v_dual_cndmask_b32 v35, 0, v35 :: v_dual_cndmask_b32 v34, 0, v34
	s_branch .LBB31_4173
.LBB31_4172:
	s_mov_b32 s0, -1
                                        ; implicit-def: $vgpr34_vgpr35
.LBB31_4173:
	s_mov_b32 s22, 0
.LBB31_4174:
	s_delay_alu instid0(SALU_CYCLE_1)
	s_and_b32 vcc_lo, exec_lo, s22
	s_cbranch_vccz .LBB31_4178
; %bb.4175:
	s_cmp_eq_u32 s58, 29
	s_cbranch_scc0 .LBB31_4177
; %bb.4176:
	global_load_b64 v[34:35], v[42:43], off
	s_mov_b32 s0, 0
	s_mov_b32 s9, -1
	s_branch .LBB31_4178
.LBB31_4177:
	s_mov_b32 s0, -1
                                        ; implicit-def: $vgpr34_vgpr35
.LBB31_4178:
	s_mov_b32 s22, 0
.LBB31_4179:
	s_delay_alu instid0(SALU_CYCLE_1)
	s_and_b32 vcc_lo, exec_lo, s22
	s_cbranch_vccz .LBB31_4195
; %bb.4180:
	s_cmp_lt_i32 s58, 27
	s_cbranch_scc1 .LBB31_4183
; %bb.4181:
	s_cmp_gt_i32 s58, 27
	s_cbranch_scc0 .LBB31_4184
; %bb.4182:
	s_wait_loadcnt 0x0
	global_load_b32 v34, v[42:43], off
	v_mov_b32_e32 v35, 0
	s_mov_b32 s9, 0
	s_branch .LBB31_4185
.LBB31_4183:
	s_mov_b32 s9, -1
                                        ; implicit-def: $vgpr34_vgpr35
	s_branch .LBB31_4188
.LBB31_4184:
	s_mov_b32 s9, -1
                                        ; implicit-def: $vgpr34_vgpr35
.LBB31_4185:
	s_delay_alu instid0(SALU_CYCLE_1)
	s_and_not1_b32 vcc_lo, exec_lo, s9
	s_cbranch_vccnz .LBB31_4187
; %bb.4186:
	global_load_u16 v1, v[42:43], off
	s_mov_b32 s9, 0
	s_wait_loadcnt 0x1
	v_mov_b32_e32 v35, s9
	s_wait_loadcnt 0x0
	v_and_b32_e32 v34, 0xffff, v1
.LBB31_4187:
	s_mov_b32 s9, 0
.LBB31_4188:
	s_delay_alu instid0(SALU_CYCLE_1)
	s_and_not1_b32 vcc_lo, exec_lo, s9
	s_cbranch_vccnz .LBB31_4194
; %bb.4189:
	global_load_u8 v1, v[42:43], off
	s_mov_b32 s22, 0
	s_mov_b32 s9, exec_lo
	s_wait_loadcnt 0x0
	v_cmpx_lt_i16_e32 0x7f, v1
	s_xor_b32 s9, exec_lo, s9
	s_cbranch_execz .LBB31_4206
; %bb.4190:
	v_cmp_ne_u16_e32 vcc_lo, 0x80, v1
	s_and_b32 s22, vcc_lo, exec_lo
	s_and_not1_saveexec_b32 s9, s9
	s_cbranch_execnz .LBB31_4207
.LBB31_4191:
	s_or_b32 exec_lo, exec_lo, s9
	v_mov_b64_e32 v[34:35], 0
	s_and_saveexec_b32 s9, s22
	s_cbranch_execz .LBB31_4193
.LBB31_4192:
	v_and_b32_e32 v3, 0xffff, v1
	s_delay_alu instid0(VALU_DEP_1) | instskip(SKIP_1) | instid1(VALU_DEP_2)
	v_dual_lshlrev_b32 v1, 24, v1 :: v_dual_bitop2_b32 v5, 7, v3 bitop3:0x40
	v_bfe_u32 v15, v3, 3, 4
	v_and_b32_e32 v1, 0x80000000, v1
	s_delay_alu instid0(VALU_DEP_3) | instskip(NEXT) | instid1(VALU_DEP_3)
	v_clz_i32_u32_e32 v7, v5
	v_cmp_eq_u32_e32 vcc_lo, 0, v15
	s_delay_alu instid0(VALU_DEP_2) | instskip(NEXT) | instid1(VALU_DEP_1)
	v_min_u32_e32 v7, 32, v7
	v_subrev_nc_u32_e32 v11, 28, v7
	v_sub_nc_u32_e32 v7, 29, v7
	s_delay_alu instid0(VALU_DEP_2) | instskip(NEXT) | instid1(VALU_DEP_2)
	v_lshlrev_b32_e32 v3, v11, v3
	v_cndmask_b32_e32 v7, v15, v7, vcc_lo
	s_delay_alu instid0(VALU_DEP_2) | instskip(NEXT) | instid1(VALU_DEP_1)
	v_and_b32_e32 v3, 7, v3
	v_cndmask_b32_e32 v3, v5, v3, vcc_lo
	s_delay_alu instid0(VALU_DEP_3) | instskip(NEXT) | instid1(VALU_DEP_2)
	v_lshl_add_u32 v5, v7, 23, 0x3b800000
	v_lshlrev_b32_e32 v3, 20, v3
	s_delay_alu instid0(VALU_DEP_1) | instskip(NEXT) | instid1(VALU_DEP_1)
	v_or3_b32 v1, v1, v5, v3
	v_trunc_f32_e32 v1, v1
	s_delay_alu instid0(VALU_DEP_1) | instskip(SKIP_1) | instid1(VALU_DEP_2)
	v_mul_f32_e64 v3, 0x2f800000, |v1|
	v_ashrrev_i32_e32 v34, 31, v1
	v_floor_f32_e32 v3, v3
	s_delay_alu instid0(VALU_DEP_2) | instskip(NEXT) | instid1(VALU_DEP_2)
	v_mov_b32_e32 v35, v34
	v_fma_f32 v5, 0xcf800000, v3, |v1|
	v_cvt_u32_f32_e32 v1, v3
	s_delay_alu instid0(VALU_DEP_2) | instskip(NEXT) | instid1(VALU_DEP_2)
	v_cvt_u32_f32_e32 v3, v5
	v_xor_b32_e32 v45, v1, v34
	s_delay_alu instid0(VALU_DEP_2) | instskip(NEXT) | instid1(VALU_DEP_1)
	v_xor_b32_e32 v44, v3, v34
	v_sub_nc_u64_e32 v[34:35], v[44:45], v[34:35]
.LBB31_4193:
	s_or_b32 exec_lo, exec_lo, s9
.LBB31_4194:
	s_mov_b32 s9, -1
.LBB31_4195:
	s_mov_b32 s22, 0
.LBB31_4196:
	s_delay_alu instid0(SALU_CYCLE_1)
	s_and_b32 vcc_lo, exec_lo, s22
	s_cbranch_vccz .LBB31_4227
; %bb.4197:
	s_cmp_gt_i32 s58, 22
	s_cbranch_scc0 .LBB31_4205
; %bb.4198:
	s_cmp_lt_i32 s58, 24
	s_cbranch_scc1 .LBB31_4208
; %bb.4199:
	s_cmp_gt_i32 s58, 24
	s_cbranch_scc0 .LBB31_4209
; %bb.4200:
	global_load_u8 v1, v[42:43], off
	s_mov_b32 s9, 0
	s_mov_b32 s1, exec_lo
	s_wait_loadcnt 0x0
	v_cmpx_lt_i16_e32 0x7f, v1
	s_xor_b32 s1, exec_lo, s1
	s_cbranch_execz .LBB31_4221
; %bb.4201:
	v_cmp_ne_u16_e32 vcc_lo, 0x80, v1
	s_and_b32 s9, vcc_lo, exec_lo
	s_and_not1_saveexec_b32 s1, s1
	s_cbranch_execnz .LBB31_4222
.LBB31_4202:
	s_or_b32 exec_lo, exec_lo, s1
	v_mov_b64_e32 v[34:35], 0
	s_and_saveexec_b32 s1, s9
	s_cbranch_execz .LBB31_4204
.LBB31_4203:
	v_and_b32_e32 v3, 0xffff, v1
	s_delay_alu instid0(VALU_DEP_1) | instskip(SKIP_1) | instid1(VALU_DEP_2)
	v_dual_lshlrev_b32 v1, 24, v1 :: v_dual_bitop2_b32 v5, 3, v3 bitop3:0x40
	v_bfe_u32 v15, v3, 2, 5
	v_and_b32_e32 v1, 0x80000000, v1
	s_delay_alu instid0(VALU_DEP_3) | instskip(NEXT) | instid1(VALU_DEP_3)
	v_clz_i32_u32_e32 v7, v5
	v_cmp_eq_u32_e32 vcc_lo, 0, v15
	s_delay_alu instid0(VALU_DEP_2) | instskip(NEXT) | instid1(VALU_DEP_1)
	v_min_u32_e32 v7, 32, v7
	v_subrev_nc_u32_e32 v11, 29, v7
	v_sub_nc_u32_e32 v7, 30, v7
	s_delay_alu instid0(VALU_DEP_2) | instskip(NEXT) | instid1(VALU_DEP_2)
	v_lshlrev_b32_e32 v3, v11, v3
	v_cndmask_b32_e32 v7, v15, v7, vcc_lo
	s_delay_alu instid0(VALU_DEP_2) | instskip(NEXT) | instid1(VALU_DEP_1)
	v_and_b32_e32 v3, 3, v3
	v_cndmask_b32_e32 v3, v5, v3, vcc_lo
	s_delay_alu instid0(VALU_DEP_3) | instskip(NEXT) | instid1(VALU_DEP_2)
	v_lshl_add_u32 v5, v7, 23, 0x37800000
	v_lshlrev_b32_e32 v3, 21, v3
	s_delay_alu instid0(VALU_DEP_1) | instskip(NEXT) | instid1(VALU_DEP_1)
	v_or3_b32 v1, v1, v5, v3
	v_trunc_f32_e32 v1, v1
	s_delay_alu instid0(VALU_DEP_1) | instskip(SKIP_1) | instid1(VALU_DEP_2)
	v_mul_f32_e64 v3, 0x2f800000, |v1|
	v_ashrrev_i32_e32 v34, 31, v1
	v_floor_f32_e32 v3, v3
	s_delay_alu instid0(VALU_DEP_2) | instskip(NEXT) | instid1(VALU_DEP_2)
	v_mov_b32_e32 v35, v34
	v_fma_f32 v5, 0xcf800000, v3, |v1|
	v_cvt_u32_f32_e32 v1, v3
	s_delay_alu instid0(VALU_DEP_2) | instskip(NEXT) | instid1(VALU_DEP_2)
	v_cvt_u32_f32_e32 v3, v5
	v_xor_b32_e32 v45, v1, v34
	s_delay_alu instid0(VALU_DEP_2) | instskip(NEXT) | instid1(VALU_DEP_1)
	v_xor_b32_e32 v44, v3, v34
	v_sub_nc_u64_e32 v[34:35], v[44:45], v[34:35]
.LBB31_4204:
	s_or_b32 exec_lo, exec_lo, s1
	s_mov_b32 s1, 0
	s_branch .LBB31_4210
.LBB31_4205:
	s_mov_b32 s1, -1
                                        ; implicit-def: $vgpr34_vgpr35
	s_branch .LBB31_4216
.LBB31_4206:
	s_and_not1_saveexec_b32 s9, s9
	s_cbranch_execz .LBB31_4191
.LBB31_4207:
	v_cmp_ne_u16_e32 vcc_lo, 0, v1
	s_and_not1_b32 s22, s22, exec_lo
	s_and_b32 s23, vcc_lo, exec_lo
	s_delay_alu instid0(SALU_CYCLE_1)
	s_or_b32 s22, s22, s23
	s_or_b32 exec_lo, exec_lo, s9
	v_mov_b64_e32 v[34:35], 0
	s_and_saveexec_b32 s9, s22
	s_cbranch_execnz .LBB31_4192
	s_branch .LBB31_4193
.LBB31_4208:
	s_mov_b32 s1, -1
                                        ; implicit-def: $vgpr34_vgpr35
	s_branch .LBB31_4213
.LBB31_4209:
	s_mov_b32 s1, -1
                                        ; implicit-def: $vgpr34_vgpr35
.LBB31_4210:
	s_delay_alu instid0(SALU_CYCLE_1)
	s_and_b32 vcc_lo, exec_lo, s1
	s_cbranch_vccz .LBB31_4212
; %bb.4211:
	global_load_u8 v1, v[42:43], off
	s_wait_loadcnt 0x0
	v_lshlrev_b32_e32 v1, 24, v1
	s_delay_alu instid0(VALU_DEP_1) | instskip(NEXT) | instid1(VALU_DEP_1)
	v_and_b32_e32 v3, 0x7f000000, v1
	v_clz_i32_u32_e32 v5, v3
	v_add_nc_u32_e32 v11, 0x1000000, v3
	v_cmp_ne_u32_e32 vcc_lo, 0, v3
	s_delay_alu instid0(VALU_DEP_3) | instskip(NEXT) | instid1(VALU_DEP_1)
	v_min_u32_e32 v5, 32, v5
	v_sub_nc_u32_e64 v5, v5, 4 clamp
	s_delay_alu instid0(VALU_DEP_1) | instskip(NEXT) | instid1(VALU_DEP_1)
	v_dual_lshlrev_b32 v7, v5, v3 :: v_dual_lshlrev_b32 v5, 23, v5
	v_lshrrev_b32_e32 v7, 4, v7
	s_delay_alu instid0(VALU_DEP_1) | instskip(NEXT) | instid1(VALU_DEP_1)
	v_dual_sub_nc_u32 v5, v7, v5 :: v_dual_ashrrev_i32 v7, 8, v11
	v_add_nc_u32_e32 v5, 0x3c000000, v5
	s_delay_alu instid0(VALU_DEP_1) | instskip(NEXT) | instid1(VALU_DEP_1)
	v_and_or_b32 v5, 0x7f800000, v7, v5
	v_cndmask_b32_e32 v3, 0, v5, vcc_lo
	s_delay_alu instid0(VALU_DEP_1) | instskip(NEXT) | instid1(VALU_DEP_1)
	v_and_or_b32 v1, 0x80000000, v1, v3
	v_trunc_f32_e32 v1, v1
	s_delay_alu instid0(VALU_DEP_1) | instskip(SKIP_1) | instid1(VALU_DEP_2)
	v_mul_f32_e64 v3, 0x2f800000, |v1|
	v_ashrrev_i32_e32 v34, 31, v1
	v_floor_f32_e32 v3, v3
	s_delay_alu instid0(VALU_DEP_2) | instskip(NEXT) | instid1(VALU_DEP_2)
	v_mov_b32_e32 v35, v34
	v_fma_f32 v5, 0xcf800000, v3, |v1|
	v_cvt_u32_f32_e32 v1, v3
	s_delay_alu instid0(VALU_DEP_2) | instskip(NEXT) | instid1(VALU_DEP_2)
	v_cvt_u32_f32_e32 v3, v5
	v_xor_b32_e32 v45, v1, v34
	s_delay_alu instid0(VALU_DEP_2) | instskip(NEXT) | instid1(VALU_DEP_1)
	v_xor_b32_e32 v44, v3, v34
	v_sub_nc_u64_e32 v[34:35], v[44:45], v[34:35]
.LBB31_4212:
	s_mov_b32 s1, 0
.LBB31_4213:
	s_delay_alu instid0(SALU_CYCLE_1)
	s_and_not1_b32 vcc_lo, exec_lo, s1
	s_cbranch_vccnz .LBB31_4215
; %bb.4214:
	global_load_u8 v1, v[42:43], off
	s_wait_loadcnt 0x0
	v_lshlrev_b32_e32 v3, 25, v1
	v_lshlrev_b16 v1, 8, v1
	s_delay_alu instid0(VALU_DEP_1) | instskip(SKIP_1) | instid1(VALU_DEP_2)
	v_and_or_b32 v7, 0x7f00, v1, 0.5
	v_bfe_i32 v1, v1, 0, 16
	v_add_f32_e32 v7, -0.5, v7
	v_lshrrev_b32_e32 v5, 4, v3
	v_cmp_gt_u32_e32 vcc_lo, 0x8000000, v3
	s_delay_alu instid0(VALU_DEP_2) | instskip(NEXT) | instid1(VALU_DEP_1)
	v_or_b32_e32 v5, 0x70000000, v5
	v_mul_f32_e32 v5, 0x7800000, v5
	s_delay_alu instid0(VALU_DEP_1) | instskip(NEXT) | instid1(VALU_DEP_1)
	v_cndmask_b32_e32 v3, v5, v7, vcc_lo
	v_and_or_b32 v1, 0x80000000, v1, v3
	s_delay_alu instid0(VALU_DEP_1) | instskip(NEXT) | instid1(VALU_DEP_1)
	v_trunc_f32_e32 v1, v1
	v_mul_f32_e64 v3, 0x2f800000, |v1|
	v_ashrrev_i32_e32 v34, 31, v1
	s_delay_alu instid0(VALU_DEP_2) | instskip(NEXT) | instid1(VALU_DEP_2)
	v_floor_f32_e32 v3, v3
	v_mov_b32_e32 v35, v34
	s_delay_alu instid0(VALU_DEP_2) | instskip(SKIP_1) | instid1(VALU_DEP_2)
	v_fma_f32 v5, 0xcf800000, v3, |v1|
	v_cvt_u32_f32_e32 v1, v3
	v_cvt_u32_f32_e32 v3, v5
	s_delay_alu instid0(VALU_DEP_2) | instskip(NEXT) | instid1(VALU_DEP_2)
	v_xor_b32_e32 v45, v1, v34
	v_xor_b32_e32 v44, v3, v34
	s_delay_alu instid0(VALU_DEP_1)
	v_sub_nc_u64_e32 v[34:35], v[44:45], v[34:35]
.LBB31_4215:
	s_mov_b32 s1, 0
	s_mov_b32 s9, -1
.LBB31_4216:
	s_and_not1_b32 vcc_lo, exec_lo, s1
	s_mov_b32 s1, 0
	s_cbranch_vccnz .LBB31_4227
; %bb.4217:
	s_cmp_gt_i32 s58, 14
	s_cbranch_scc0 .LBB31_4220
; %bb.4218:
	s_cmp_eq_u32 s58, 15
	s_cbranch_scc0 .LBB31_4223
; %bb.4219:
	global_load_u16 v1, v[42:43], off
	s_mov_b32 s0, 0
	s_mov_b32 s9, -1
	s_wait_loadcnt 0x0
	v_lshlrev_b32_e32 v1, 16, v1
	s_delay_alu instid0(VALU_DEP_1) | instskip(NEXT) | instid1(VALU_DEP_1)
	v_trunc_f32_e32 v1, v1
	v_mul_f32_e64 v3, 0x2f800000, |v1|
	v_ashrrev_i32_e32 v34, 31, v1
	s_delay_alu instid0(VALU_DEP_2) | instskip(NEXT) | instid1(VALU_DEP_2)
	v_floor_f32_e32 v3, v3
	v_mov_b32_e32 v35, v34
	s_delay_alu instid0(VALU_DEP_2) | instskip(SKIP_1) | instid1(VALU_DEP_2)
	v_fma_f32 v5, 0xcf800000, v3, |v1|
	v_cvt_u32_f32_e32 v1, v3
	v_cvt_u32_f32_e32 v3, v5
	s_delay_alu instid0(VALU_DEP_2) | instskip(NEXT) | instid1(VALU_DEP_2)
	v_xor_b32_e32 v45, v1, v34
	v_xor_b32_e32 v44, v3, v34
	s_delay_alu instid0(VALU_DEP_1)
	v_sub_nc_u64_e32 v[34:35], v[44:45], v[34:35]
	s_branch .LBB31_4225
.LBB31_4220:
	s_mov_b32 s1, -1
	s_branch .LBB31_4224
.LBB31_4221:
	s_and_not1_saveexec_b32 s1, s1
	s_cbranch_execz .LBB31_4202
.LBB31_4222:
	v_cmp_ne_u16_e32 vcc_lo, 0, v1
	s_and_not1_b32 s9, s9, exec_lo
	s_and_b32 s22, vcc_lo, exec_lo
	s_delay_alu instid0(SALU_CYCLE_1)
	s_or_b32 s9, s9, s22
	s_or_b32 exec_lo, exec_lo, s1
	v_mov_b64_e32 v[34:35], 0
	s_and_saveexec_b32 s1, s9
	s_cbranch_execnz .LBB31_4203
	s_branch .LBB31_4204
.LBB31_4223:
	s_mov_b32 s0, -1
.LBB31_4224:
                                        ; implicit-def: $vgpr34_vgpr35
.LBB31_4225:
	s_and_b32 vcc_lo, exec_lo, s1
	s_mov_b32 s1, 0
	s_cbranch_vccz .LBB31_4227
; %bb.4226:
	s_cmp_lg_u32 s58, 11
	s_mov_b32 s1, -1
	s_cselect_b32 s0, -1, 0
.LBB31_4227:
	s_delay_alu instid0(SALU_CYCLE_1)
	s_and_b32 vcc_lo, exec_lo, s0
	s_cbranch_vccnz .LBB31_4292
; %bb.4228:
	s_and_not1_b32 vcc_lo, exec_lo, s1
	s_cbranch_vccnz .LBB31_4230
.LBB31_4229:
	global_load_u8 v1, v[42:43], off
	s_mov_b32 s0, 0
	s_mov_b32 s9, -1
	s_wait_loadcnt 0x1
	v_mov_b32_e32 v35, s0
	s_wait_loadcnt 0x0
	v_cmp_ne_u16_e32 vcc_lo, 0, v1
	v_cndmask_b32_e64 v34, 0, 1, vcc_lo
.LBB31_4230:
	s_mov_b32 s0, 0
.LBB31_4231:
	s_delay_alu instid0(SALU_CYCLE_1)
	s_and_b32 vcc_lo, exec_lo, s0
	s_cbranch_vccz .LBB31_4280
; %bb.4232:
	s_cmp_lt_i32 s58, 5
	s_cbranch_scc1 .LBB31_4237
; %bb.4233:
	s_cmp_lt_i32 s58, 8
	s_cbranch_scc1 .LBB31_4238
	;; [unrolled: 3-line block ×3, first 2 shown]
; %bb.4235:
	s_cmp_gt_i32 s58, 9
	s_cbranch_scc0 .LBB31_4240
; %bb.4236:
	s_wait_loadcnt 0x0
	global_load_b64 v[34:35], v[42:43], off
	s_mov_b32 s0, 0
	s_wait_loadcnt 0x0
	v_trunc_f64_e32 v[34:35], v[34:35]
	s_delay_alu instid0(VALU_DEP_1) | instskip(NEXT) | instid1(VALU_DEP_1)
	v_ldexp_f64 v[44:45], v[34:35], 0xffffffe0
	v_floor_f64_e32 v[44:45], v[44:45]
	s_delay_alu instid0(VALU_DEP_1) | instskip(SKIP_1) | instid1(VALU_DEP_2)
	v_fmamk_f64 v[46:47], v[44:45], 0xc1f00000, v[34:35]
	v_cvt_i32_f64_e32 v35, v[44:45]
	v_cvt_u32_f64_e32 v34, v[46:47]
	s_branch .LBB31_4241
.LBB31_4237:
	s_mov_b32 s0, -1
                                        ; implicit-def: $vgpr34_vgpr35
	s_branch .LBB31_4259
.LBB31_4238:
	s_mov_b32 s0, -1
                                        ; implicit-def: $vgpr34_vgpr35
	s_branch .LBB31_4247
.LBB31_4239:
	s_mov_b32 s0, -1
                                        ; implicit-def: $vgpr34_vgpr35
	s_branch .LBB31_4244
.LBB31_4240:
	s_mov_b32 s0, -1
                                        ; implicit-def: $vgpr34_vgpr35
.LBB31_4241:
	s_delay_alu instid0(SALU_CYCLE_1)
	s_and_not1_b32 vcc_lo, exec_lo, s0
	s_cbranch_vccnz .LBB31_4243
; %bb.4242:
	global_load_b32 v1, v[42:43], off
	s_wait_loadcnt 0x0
	v_trunc_f32_e32 v1, v1
	s_delay_alu instid0(VALU_DEP_1) | instskip(SKIP_1) | instid1(VALU_DEP_2)
	v_mul_f32_e64 v3, 0x2f800000, |v1|
	v_ashrrev_i32_e32 v34, 31, v1
	v_floor_f32_e32 v3, v3
	s_delay_alu instid0(VALU_DEP_1) | instskip(SKIP_1) | instid1(VALU_DEP_4)
	v_fma_f32 v5, 0xcf800000, v3, |v1|
	v_cvt_u32_f32_e32 v1, v3
	v_mov_b32_e32 v35, v34
	s_delay_alu instid0(VALU_DEP_3) | instskip(NEXT) | instid1(VALU_DEP_3)
	v_cvt_u32_f32_e32 v3, v5
	v_xor_b32_e32 v45, v1, v34
	s_delay_alu instid0(VALU_DEP_2) | instskip(NEXT) | instid1(VALU_DEP_1)
	v_xor_b32_e32 v44, v3, v34
	v_sub_nc_u64_e32 v[34:35], v[44:45], v[34:35]
.LBB31_4243:
	s_mov_b32 s0, 0
.LBB31_4244:
	s_delay_alu instid0(SALU_CYCLE_1)
	s_and_not1_b32 vcc_lo, exec_lo, s0
	s_cbranch_vccnz .LBB31_4246
; %bb.4245:
	global_load_b32 v1, v[42:43], off
	s_wait_loadcnt 0x0
	v_cvt_f32_f16_e32 v1, v1
	s_delay_alu instid0(VALU_DEP_1) | instskip(NEXT) | instid1(VALU_DEP_1)
	v_cvt_i32_f32_e32 v34, v1
	v_ashrrev_i32_e32 v35, 31, v34
.LBB31_4246:
	s_mov_b32 s0, 0
.LBB31_4247:
	s_delay_alu instid0(SALU_CYCLE_1)
	s_and_not1_b32 vcc_lo, exec_lo, s0
	s_cbranch_vccnz .LBB31_4258
; %bb.4248:
	s_cmp_lt_i32 s58, 6
	s_cbranch_scc1 .LBB31_4251
; %bb.4249:
	s_cmp_gt_i32 s58, 6
	s_cbranch_scc0 .LBB31_4252
; %bb.4250:
	s_wait_loadcnt 0x0
	global_load_b64 v[34:35], v[42:43], off
	s_mov_b32 s0, 0
	s_wait_loadcnt 0x0
	v_trunc_f64_e32 v[34:35], v[34:35]
	s_delay_alu instid0(VALU_DEP_1) | instskip(NEXT) | instid1(VALU_DEP_1)
	v_ldexp_f64 v[44:45], v[34:35], 0xffffffe0
	v_floor_f64_e32 v[44:45], v[44:45]
	s_delay_alu instid0(VALU_DEP_1) | instskip(SKIP_1) | instid1(VALU_DEP_2)
	v_fmamk_f64 v[46:47], v[44:45], 0xc1f00000, v[34:35]
	v_cvt_i32_f64_e32 v35, v[44:45]
	v_cvt_u32_f64_e32 v34, v[46:47]
	s_branch .LBB31_4253
.LBB31_4251:
	s_mov_b32 s0, -1
                                        ; implicit-def: $vgpr34_vgpr35
	s_branch .LBB31_4256
.LBB31_4252:
	s_mov_b32 s0, -1
                                        ; implicit-def: $vgpr34_vgpr35
.LBB31_4253:
	s_delay_alu instid0(SALU_CYCLE_1)
	s_and_not1_b32 vcc_lo, exec_lo, s0
	s_cbranch_vccnz .LBB31_4255
; %bb.4254:
	global_load_b32 v1, v[42:43], off
	s_wait_loadcnt 0x0
	v_trunc_f32_e32 v1, v1
	s_delay_alu instid0(VALU_DEP_1) | instskip(SKIP_1) | instid1(VALU_DEP_2)
	v_mul_f32_e64 v3, 0x2f800000, |v1|
	v_ashrrev_i32_e32 v34, 31, v1
	v_floor_f32_e32 v3, v3
	s_delay_alu instid0(VALU_DEP_1) | instskip(SKIP_1) | instid1(VALU_DEP_4)
	v_fma_f32 v5, 0xcf800000, v3, |v1|
	v_cvt_u32_f32_e32 v1, v3
	v_mov_b32_e32 v35, v34
	s_delay_alu instid0(VALU_DEP_3) | instskip(NEXT) | instid1(VALU_DEP_3)
	v_cvt_u32_f32_e32 v3, v5
	v_xor_b32_e32 v45, v1, v34
	s_delay_alu instid0(VALU_DEP_2) | instskip(NEXT) | instid1(VALU_DEP_1)
	v_xor_b32_e32 v44, v3, v34
	v_sub_nc_u64_e32 v[34:35], v[44:45], v[34:35]
.LBB31_4255:
	s_mov_b32 s0, 0
.LBB31_4256:
	s_delay_alu instid0(SALU_CYCLE_1)
	s_and_not1_b32 vcc_lo, exec_lo, s0
	s_cbranch_vccnz .LBB31_4258
; %bb.4257:
	global_load_u16 v1, v[42:43], off
	s_wait_loadcnt 0x0
	v_cvt_f32_f16_e32 v1, v1
	s_delay_alu instid0(VALU_DEP_1) | instskip(NEXT) | instid1(VALU_DEP_1)
	v_cvt_i32_f32_e32 v34, v1
	v_ashrrev_i32_e32 v35, 31, v34
.LBB31_4258:
	s_mov_b32 s0, 0
.LBB31_4259:
	s_delay_alu instid0(SALU_CYCLE_1)
	s_and_not1_b32 vcc_lo, exec_lo, s0
	s_cbranch_vccnz .LBB31_4279
; %bb.4260:
	s_cmp_lt_i32 s58, 2
	s_cbranch_scc1 .LBB31_4264
; %bb.4261:
	s_cmp_lt_i32 s58, 3
	s_cbranch_scc1 .LBB31_4265
; %bb.4262:
	s_cmp_gt_i32 s58, 3
	s_cbranch_scc0 .LBB31_4266
; %bb.4263:
	s_wait_loadcnt 0x0
	global_load_b64 v[34:35], v[42:43], off
	s_mov_b32 s0, 0
	s_branch .LBB31_4267
.LBB31_4264:
	s_mov_b32 s0, -1
                                        ; implicit-def: $vgpr34_vgpr35
	s_branch .LBB31_4273
.LBB31_4265:
	s_mov_b32 s0, -1
                                        ; implicit-def: $vgpr34_vgpr35
	s_branch .LBB31_4270
.LBB31_4266:
	s_mov_b32 s0, -1
                                        ; implicit-def: $vgpr34_vgpr35
.LBB31_4267:
	s_delay_alu instid0(SALU_CYCLE_1)
	s_and_not1_b32 vcc_lo, exec_lo, s0
	s_cbranch_vccnz .LBB31_4269
; %bb.4268:
	s_wait_loadcnt 0x0
	global_load_b32 v34, v[42:43], off
	s_wait_loadcnt 0x0
	v_ashrrev_i32_e32 v35, 31, v34
.LBB31_4269:
	s_mov_b32 s0, 0
.LBB31_4270:
	s_delay_alu instid0(SALU_CYCLE_1)
	s_and_not1_b32 vcc_lo, exec_lo, s0
	s_cbranch_vccnz .LBB31_4272
; %bb.4271:
	global_load_u16 v1, v[42:43], off
	s_wait_loadcnt 0x0
	v_bfe_i32 v34, v1, 0, 16
	s_delay_alu instid0(VALU_DEP_1)
	v_ashrrev_i32_e32 v35, 31, v34
.LBB31_4272:
	s_mov_b32 s0, 0
.LBB31_4273:
	s_delay_alu instid0(SALU_CYCLE_1)
	s_and_not1_b32 vcc_lo, exec_lo, s0
	s_cbranch_vccnz .LBB31_4279
; %bb.4274:
	s_cmp_gt_i32 s58, 0
	s_mov_b32 s0, 0
	s_cbranch_scc0 .LBB31_4276
; %bb.4275:
	global_load_i8 v1, v[42:43], off
	s_wait_loadcnt 0x0
	v_bfe_i32 v34, v1, 0, 16
	s_delay_alu instid0(VALU_DEP_1)
	v_ashrrev_i32_e32 v35, 31, v34
	s_branch .LBB31_4277
.LBB31_4276:
	s_mov_b32 s0, -1
                                        ; implicit-def: $vgpr34_vgpr35
.LBB31_4277:
	s_delay_alu instid0(SALU_CYCLE_1)
	s_and_not1_b32 vcc_lo, exec_lo, s0
	s_cbranch_vccnz .LBB31_4279
; %bb.4278:
	global_load_u8 v1, v[42:43], off
	s_mov_b32 s0, 0
	s_wait_loadcnt 0x1
	v_mov_b32_e32 v35, s0
	s_wait_loadcnt 0x0
	v_and_b32_e32 v34, 0xffff, v1
.LBB31_4279:
	s_mov_b32 s9, -1
.LBB31_4280:
	s_delay_alu instid0(SALU_CYCLE_1)
	s_and_not1_b32 vcc_lo, exec_lo, s9
	s_cbranch_vccnz .LBB31_4417
; %bb.4281:
	v_mov_b32_e32 v33, 0
	s_and_b32 s59, 0xffff, s49
	s_delay_alu instid0(SALU_CYCLE_1) | instskip(NEXT) | instid1(VALU_DEP_1)
	s_cmp_lt_i32 s59, 11
	v_add_nc_u64_e32 v[32:33], s[16:17], v[32:33]
	s_cbranch_scc1 .LBB31_4288
; %bb.4282:
	s_cmp_gt_i32 s59, 25
	s_mov_b32 s1, 0
	s_cbranch_scc0 .LBB31_4289
; %bb.4283:
	s_cmp_gt_i32 s59, 28
	s_cbranch_scc0 .LBB31_4290
; %bb.4284:
	s_cmp_gt_i32 s59, 43
	;; [unrolled: 3-line block ×3, first 2 shown]
	s_cbranch_scc0 .LBB31_4293
; %bb.4286:
	s_cmp_eq_u32 s59, 46
	s_mov_b32 s22, 0
	s_cbranch_scc0 .LBB31_4295
; %bb.4287:
	global_load_b32 v1, v[32:33], off
	s_mov_b32 s0, 0
	s_mov_b32 s9, -1
	s_wait_loadcnt 0x0
	v_lshlrev_b32_e32 v1, 16, v1
	s_delay_alu instid0(VALU_DEP_1) | instskip(NEXT) | instid1(VALU_DEP_1)
	v_trunc_f32_e32 v1, v1
	v_mul_f32_e64 v3, 0x2f800000, |v1|
	s_wait_xcnt 0x1
	v_ashrrev_i32_e32 v42, 31, v1
	s_delay_alu instid0(VALU_DEP_2) | instskip(NEXT) | instid1(VALU_DEP_2)
	v_floor_f32_e32 v3, v3
	v_mov_b32_e32 v43, v42
	s_delay_alu instid0(VALU_DEP_2) | instskip(SKIP_1) | instid1(VALU_DEP_2)
	v_fma_f32 v5, 0xcf800000, v3, |v1|
	v_cvt_u32_f32_e32 v1, v3
	v_cvt_u32_f32_e32 v3, v5
	s_delay_alu instid0(VALU_DEP_2) | instskip(NEXT) | instid1(VALU_DEP_2)
	v_xor_b32_e32 v45, v1, v42
	v_xor_b32_e32 v44, v3, v42
	s_delay_alu instid0(VALU_DEP_1)
	v_sub_nc_u64_e32 v[44:45], v[44:45], v[42:43]
	s_branch .LBB31_4297
.LBB31_4288:
	s_mov_b32 s0, -1
	s_mov_b32 s9, 0
                                        ; implicit-def: $vgpr44_vgpr45
	s_branch .LBB31_4359
.LBB31_4289:
	s_mov_b32 s22, -1
	s_mov_b32 s9, 0
	s_mov_b32 s0, 0
                                        ; implicit-def: $vgpr44_vgpr45
	s_branch .LBB31_4324
.LBB31_4290:
	s_mov_b32 s22, -1
	s_mov_b32 s9, 0
	s_mov_b32 s0, 0
                                        ; implicit-def: $vgpr44_vgpr45
	s_branch .LBB31_4307
.LBB31_4291:
	s_mov_b32 s22, -1
	s_mov_b32 s9, 0
	s_mov_b32 s0, 0
                                        ; implicit-def: $vgpr44_vgpr45
	s_branch .LBB31_4302
.LBB31_4292:
	s_or_b32 s43, s43, exec_lo
	s_trap 2
	s_cbranch_execz .LBB31_4229
	s_branch .LBB31_4230
.LBB31_4293:
	s_mov_b32 s22, -1
	s_mov_b32 s9, 0
	s_mov_b32 s0, 0
	s_branch .LBB31_4296
.LBB31_4294:
	s_or_b32 exec_lo, exec_lo, s95
	s_branch .LBB31_2086
.LBB31_4295:
	s_mov_b32 s0, -1
	s_mov_b32 s9, 0
.LBB31_4296:
                                        ; implicit-def: $vgpr44_vgpr45
.LBB31_4297:
	s_and_b32 vcc_lo, exec_lo, s22
	s_cbranch_vccz .LBB31_4301
; %bb.4298:
	s_cmp_eq_u32 s59, 44
	s_cbranch_scc0 .LBB31_4300
; %bb.4299:
	global_load_u8 v1, v[32:33], off
	s_mov_b32 s0, 0
	s_mov_b32 s9, -1
	s_wait_loadcnt 0x0
	v_lshlrev_b32_e32 v3, 23, v1
	v_cmp_ne_u32_e32 vcc_lo, 0, v1
	s_delay_alu instid0(VALU_DEP_2) | instskip(NEXT) | instid1(VALU_DEP_1)
	v_trunc_f32_e32 v3, v3
	v_mul_f32_e64 v5, 0x2f800000, |v3|
	s_wait_xcnt 0x1
	v_ashrrev_i32_e32 v42, 31, v3
	s_delay_alu instid0(VALU_DEP_2) | instskip(NEXT) | instid1(VALU_DEP_2)
	v_floor_f32_e32 v5, v5
	v_mov_b32_e32 v43, v42
	s_delay_alu instid0(VALU_DEP_2) | instskip(SKIP_1) | instid1(VALU_DEP_2)
	v_fma_f32 v7, 0xcf800000, v5, |v3|
	v_cvt_u32_f32_e32 v3, v5
	v_cvt_u32_f32_e32 v5, v7
	s_delay_alu instid0(VALU_DEP_2) | instskip(NEXT) | instid1(VALU_DEP_2)
	v_xor_b32_e32 v45, v3, v42
	v_xor_b32_e32 v44, v5, v42
	s_delay_alu instid0(VALU_DEP_1) | instskip(NEXT) | instid1(VALU_DEP_1)
	v_sub_nc_u64_e32 v[42:43], v[44:45], v[42:43]
	v_dual_cndmask_b32 v45, 0, v43 :: v_dual_cndmask_b32 v44, 0, v42
	s_branch .LBB31_4301
.LBB31_4300:
	s_mov_b32 s0, -1
                                        ; implicit-def: $vgpr44_vgpr45
.LBB31_4301:
	s_mov_b32 s22, 0
.LBB31_4302:
	s_delay_alu instid0(SALU_CYCLE_1)
	s_and_b32 vcc_lo, exec_lo, s22
	s_cbranch_vccz .LBB31_4306
; %bb.4303:
	s_cmp_eq_u32 s59, 29
	s_cbranch_scc0 .LBB31_4305
; %bb.4304:
	global_load_b64 v[44:45], v[32:33], off
	s_mov_b32 s0, 0
	s_mov_b32 s9, -1
	s_branch .LBB31_4306
.LBB31_4305:
	s_mov_b32 s0, -1
                                        ; implicit-def: $vgpr44_vgpr45
.LBB31_4306:
	s_mov_b32 s22, 0
.LBB31_4307:
	s_delay_alu instid0(SALU_CYCLE_1)
	s_and_b32 vcc_lo, exec_lo, s22
	s_cbranch_vccz .LBB31_4323
; %bb.4308:
	s_cmp_lt_i32 s59, 27
	s_cbranch_scc1 .LBB31_4311
; %bb.4309:
	s_cmp_gt_i32 s59, 27
	s_cbranch_scc0 .LBB31_4312
; %bb.4310:
	s_wait_loadcnt 0x0
	global_load_b32 v44, v[32:33], off
	v_mov_b32_e32 v45, 0
	s_mov_b32 s9, 0
	s_branch .LBB31_4313
.LBB31_4311:
	s_mov_b32 s9, -1
                                        ; implicit-def: $vgpr44_vgpr45
	s_branch .LBB31_4316
.LBB31_4312:
	s_mov_b32 s9, -1
                                        ; implicit-def: $vgpr44_vgpr45
.LBB31_4313:
	s_delay_alu instid0(SALU_CYCLE_1)
	s_and_not1_b32 vcc_lo, exec_lo, s9
	s_cbranch_vccnz .LBB31_4315
; %bb.4314:
	global_load_u16 v1, v[32:33], off
	s_mov_b32 s9, 0
	s_wait_loadcnt 0x1
	v_mov_b32_e32 v45, s9
	s_wait_loadcnt 0x0
	v_and_b32_e32 v44, 0xffff, v1
.LBB31_4315:
	s_mov_b32 s9, 0
.LBB31_4316:
	s_delay_alu instid0(SALU_CYCLE_1)
	s_and_not1_b32 vcc_lo, exec_lo, s9
	s_cbranch_vccnz .LBB31_4322
; %bb.4317:
	global_load_u8 v1, v[32:33], off
	s_mov_b32 s22, 0
	s_mov_b32 s9, exec_lo
	s_wait_loadcnt 0x0
	v_cmpx_lt_i16_e32 0x7f, v1
	s_xor_b32 s9, exec_lo, s9
	s_cbranch_execz .LBB31_4334
; %bb.4318:
	v_cmp_ne_u16_e32 vcc_lo, 0x80, v1
	s_and_b32 s22, vcc_lo, exec_lo
	s_and_not1_saveexec_b32 s9, s9
	s_cbranch_execnz .LBB31_4335
.LBB31_4319:
	s_or_b32 exec_lo, exec_lo, s9
	v_mov_b64_e32 v[44:45], 0
	s_and_saveexec_b32 s9, s22
	s_cbranch_execz .LBB31_4321
.LBB31_4320:
	v_and_b32_e32 v3, 0xffff, v1
	s_delay_alu instid0(VALU_DEP_1) | instskip(SKIP_1) | instid1(VALU_DEP_2)
	v_dual_lshlrev_b32 v1, 24, v1 :: v_dual_bitop2_b32 v5, 7, v3 bitop3:0x40
	v_bfe_u32 v15, v3, 3, 4
	v_and_b32_e32 v1, 0x80000000, v1
	s_delay_alu instid0(VALU_DEP_3) | instskip(NEXT) | instid1(VALU_DEP_3)
	v_clz_i32_u32_e32 v7, v5
	v_cmp_eq_u32_e32 vcc_lo, 0, v15
	s_delay_alu instid0(VALU_DEP_2) | instskip(NEXT) | instid1(VALU_DEP_1)
	v_min_u32_e32 v7, 32, v7
	v_subrev_nc_u32_e32 v11, 28, v7
	v_sub_nc_u32_e32 v7, 29, v7
	s_delay_alu instid0(VALU_DEP_2) | instskip(NEXT) | instid1(VALU_DEP_2)
	v_lshlrev_b32_e32 v3, v11, v3
	v_cndmask_b32_e32 v7, v15, v7, vcc_lo
	s_delay_alu instid0(VALU_DEP_2) | instskip(NEXT) | instid1(VALU_DEP_1)
	v_and_b32_e32 v3, 7, v3
	v_cndmask_b32_e32 v3, v5, v3, vcc_lo
	s_delay_alu instid0(VALU_DEP_3) | instskip(NEXT) | instid1(VALU_DEP_2)
	v_lshl_add_u32 v5, v7, 23, 0x3b800000
	v_lshlrev_b32_e32 v3, 20, v3
	s_delay_alu instid0(VALU_DEP_1) | instskip(NEXT) | instid1(VALU_DEP_1)
	v_or3_b32 v1, v1, v5, v3
	v_trunc_f32_e32 v1, v1
	s_delay_alu instid0(VALU_DEP_1) | instskip(SKIP_1) | instid1(VALU_DEP_2)
	v_mul_f32_e64 v3, 0x2f800000, |v1|
	v_ashrrev_i32_e32 v42, 31, v1
	v_floor_f32_e32 v3, v3
	s_delay_alu instid0(VALU_DEP_2) | instskip(NEXT) | instid1(VALU_DEP_2)
	v_mov_b32_e32 v43, v42
	v_fma_f32 v5, 0xcf800000, v3, |v1|
	v_cvt_u32_f32_e32 v1, v3
	s_delay_alu instid0(VALU_DEP_2) | instskip(NEXT) | instid1(VALU_DEP_2)
	v_cvt_u32_f32_e32 v3, v5
	v_xor_b32_e32 v45, v1, v42
	s_delay_alu instid0(VALU_DEP_2) | instskip(NEXT) | instid1(VALU_DEP_1)
	v_xor_b32_e32 v44, v3, v42
	v_sub_nc_u64_e32 v[44:45], v[44:45], v[42:43]
.LBB31_4321:
	s_or_b32 exec_lo, exec_lo, s9
.LBB31_4322:
	s_mov_b32 s9, -1
.LBB31_4323:
	s_mov_b32 s22, 0
.LBB31_4324:
	s_delay_alu instid0(SALU_CYCLE_1)
	s_and_b32 vcc_lo, exec_lo, s22
	s_cbranch_vccz .LBB31_4355
; %bb.4325:
	s_cmp_gt_i32 s59, 22
	s_cbranch_scc0 .LBB31_4333
; %bb.4326:
	s_cmp_lt_i32 s59, 24
	s_cbranch_scc1 .LBB31_4336
; %bb.4327:
	s_cmp_gt_i32 s59, 24
	s_cbranch_scc0 .LBB31_4337
; %bb.4328:
	global_load_u8 v1, v[32:33], off
	s_mov_b32 s9, 0
	s_mov_b32 s1, exec_lo
	s_wait_loadcnt 0x0
	v_cmpx_lt_i16_e32 0x7f, v1
	s_xor_b32 s1, exec_lo, s1
	s_cbranch_execz .LBB31_4349
; %bb.4329:
	v_cmp_ne_u16_e32 vcc_lo, 0x80, v1
	s_and_b32 s9, vcc_lo, exec_lo
	s_and_not1_saveexec_b32 s1, s1
	s_cbranch_execnz .LBB31_4350
.LBB31_4330:
	s_or_b32 exec_lo, exec_lo, s1
	v_mov_b64_e32 v[44:45], 0
	s_and_saveexec_b32 s1, s9
	s_cbranch_execz .LBB31_4332
.LBB31_4331:
	v_and_b32_e32 v3, 0xffff, v1
	s_delay_alu instid0(VALU_DEP_1) | instskip(SKIP_1) | instid1(VALU_DEP_2)
	v_dual_lshlrev_b32 v1, 24, v1 :: v_dual_bitop2_b32 v5, 3, v3 bitop3:0x40
	v_bfe_u32 v15, v3, 2, 5
	v_and_b32_e32 v1, 0x80000000, v1
	s_delay_alu instid0(VALU_DEP_3) | instskip(NEXT) | instid1(VALU_DEP_3)
	v_clz_i32_u32_e32 v7, v5
	v_cmp_eq_u32_e32 vcc_lo, 0, v15
	s_delay_alu instid0(VALU_DEP_2) | instskip(NEXT) | instid1(VALU_DEP_1)
	v_min_u32_e32 v7, 32, v7
	v_subrev_nc_u32_e32 v11, 29, v7
	v_sub_nc_u32_e32 v7, 30, v7
	s_delay_alu instid0(VALU_DEP_2) | instskip(NEXT) | instid1(VALU_DEP_2)
	v_lshlrev_b32_e32 v3, v11, v3
	v_cndmask_b32_e32 v7, v15, v7, vcc_lo
	s_delay_alu instid0(VALU_DEP_2) | instskip(NEXT) | instid1(VALU_DEP_1)
	v_and_b32_e32 v3, 3, v3
	v_cndmask_b32_e32 v3, v5, v3, vcc_lo
	s_delay_alu instid0(VALU_DEP_3) | instskip(NEXT) | instid1(VALU_DEP_2)
	v_lshl_add_u32 v5, v7, 23, 0x37800000
	v_lshlrev_b32_e32 v3, 21, v3
	s_delay_alu instid0(VALU_DEP_1) | instskip(NEXT) | instid1(VALU_DEP_1)
	v_or3_b32 v1, v1, v5, v3
	v_trunc_f32_e32 v1, v1
	s_delay_alu instid0(VALU_DEP_1) | instskip(SKIP_1) | instid1(VALU_DEP_2)
	v_mul_f32_e64 v3, 0x2f800000, |v1|
	v_ashrrev_i32_e32 v42, 31, v1
	v_floor_f32_e32 v3, v3
	s_delay_alu instid0(VALU_DEP_2) | instskip(NEXT) | instid1(VALU_DEP_2)
	v_mov_b32_e32 v43, v42
	v_fma_f32 v5, 0xcf800000, v3, |v1|
	v_cvt_u32_f32_e32 v1, v3
	s_delay_alu instid0(VALU_DEP_2) | instskip(NEXT) | instid1(VALU_DEP_2)
	v_cvt_u32_f32_e32 v3, v5
	v_xor_b32_e32 v45, v1, v42
	s_delay_alu instid0(VALU_DEP_2) | instskip(NEXT) | instid1(VALU_DEP_1)
	v_xor_b32_e32 v44, v3, v42
	v_sub_nc_u64_e32 v[44:45], v[44:45], v[42:43]
.LBB31_4332:
	s_or_b32 exec_lo, exec_lo, s1
	s_mov_b32 s1, 0
	s_branch .LBB31_4338
.LBB31_4333:
	s_mov_b32 s1, -1
                                        ; implicit-def: $vgpr44_vgpr45
	s_branch .LBB31_4344
.LBB31_4334:
	s_and_not1_saveexec_b32 s9, s9
	s_cbranch_execz .LBB31_4319
.LBB31_4335:
	v_cmp_ne_u16_e32 vcc_lo, 0, v1
	s_and_not1_b32 s22, s22, exec_lo
	s_and_b32 s23, vcc_lo, exec_lo
	s_delay_alu instid0(SALU_CYCLE_1)
	s_or_b32 s22, s22, s23
	s_or_b32 exec_lo, exec_lo, s9
	v_mov_b64_e32 v[44:45], 0
	s_and_saveexec_b32 s9, s22
	s_cbranch_execnz .LBB31_4320
	s_branch .LBB31_4321
.LBB31_4336:
	s_mov_b32 s1, -1
                                        ; implicit-def: $vgpr44_vgpr45
	s_branch .LBB31_4341
.LBB31_4337:
	s_mov_b32 s1, -1
                                        ; implicit-def: $vgpr44_vgpr45
.LBB31_4338:
	s_delay_alu instid0(SALU_CYCLE_1)
	s_and_b32 vcc_lo, exec_lo, s1
	s_cbranch_vccz .LBB31_4340
; %bb.4339:
	global_load_u8 v1, v[32:33], off
	s_wait_loadcnt 0x0
	v_lshlrev_b32_e32 v1, 24, v1
	s_delay_alu instid0(VALU_DEP_1) | instskip(NEXT) | instid1(VALU_DEP_1)
	v_and_b32_e32 v3, 0x7f000000, v1
	v_clz_i32_u32_e32 v5, v3
	v_add_nc_u32_e32 v11, 0x1000000, v3
	v_cmp_ne_u32_e32 vcc_lo, 0, v3
	s_delay_alu instid0(VALU_DEP_3) | instskip(NEXT) | instid1(VALU_DEP_1)
	v_min_u32_e32 v5, 32, v5
	v_sub_nc_u32_e64 v5, v5, 4 clamp
	s_delay_alu instid0(VALU_DEP_1) | instskip(NEXT) | instid1(VALU_DEP_1)
	v_dual_lshlrev_b32 v7, v5, v3 :: v_dual_lshlrev_b32 v5, 23, v5
	v_lshrrev_b32_e32 v7, 4, v7
	s_delay_alu instid0(VALU_DEP_1) | instskip(NEXT) | instid1(VALU_DEP_1)
	v_dual_sub_nc_u32 v5, v7, v5 :: v_dual_ashrrev_i32 v7, 8, v11
	v_add_nc_u32_e32 v5, 0x3c000000, v5
	s_delay_alu instid0(VALU_DEP_1) | instskip(NEXT) | instid1(VALU_DEP_1)
	v_and_or_b32 v5, 0x7f800000, v7, v5
	v_cndmask_b32_e32 v3, 0, v5, vcc_lo
	s_delay_alu instid0(VALU_DEP_1) | instskip(NEXT) | instid1(VALU_DEP_1)
	v_and_or_b32 v1, 0x80000000, v1, v3
	v_trunc_f32_e32 v1, v1
	s_delay_alu instid0(VALU_DEP_1) | instskip(SKIP_2) | instid1(VALU_DEP_2)
	v_mul_f32_e64 v3, 0x2f800000, |v1|
	s_wait_xcnt 0x1
	v_ashrrev_i32_e32 v42, 31, v1
	v_floor_f32_e32 v3, v3
	s_delay_alu instid0(VALU_DEP_2) | instskip(NEXT) | instid1(VALU_DEP_2)
	v_mov_b32_e32 v43, v42
	v_fma_f32 v5, 0xcf800000, v3, |v1|
	v_cvt_u32_f32_e32 v1, v3
	s_delay_alu instid0(VALU_DEP_2) | instskip(NEXT) | instid1(VALU_DEP_2)
	v_cvt_u32_f32_e32 v3, v5
	v_xor_b32_e32 v45, v1, v42
	s_delay_alu instid0(VALU_DEP_2) | instskip(NEXT) | instid1(VALU_DEP_1)
	v_xor_b32_e32 v44, v3, v42
	v_sub_nc_u64_e32 v[44:45], v[44:45], v[42:43]
.LBB31_4340:
	s_mov_b32 s1, 0
.LBB31_4341:
	s_delay_alu instid0(SALU_CYCLE_1)
	s_and_not1_b32 vcc_lo, exec_lo, s1
	s_cbranch_vccnz .LBB31_4343
; %bb.4342:
	global_load_u8 v1, v[32:33], off
	s_wait_loadcnt 0x0
	v_lshlrev_b32_e32 v3, 25, v1
	v_lshlrev_b16 v1, 8, v1
	s_delay_alu instid0(VALU_DEP_1) | instskip(SKIP_1) | instid1(VALU_DEP_2)
	v_and_or_b32 v7, 0x7f00, v1, 0.5
	v_bfe_i32 v1, v1, 0, 16
	v_add_f32_e32 v7, -0.5, v7
	v_lshrrev_b32_e32 v5, 4, v3
	v_cmp_gt_u32_e32 vcc_lo, 0x8000000, v3
	s_delay_alu instid0(VALU_DEP_2) | instskip(NEXT) | instid1(VALU_DEP_1)
	v_or_b32_e32 v5, 0x70000000, v5
	v_mul_f32_e32 v5, 0x7800000, v5
	s_delay_alu instid0(VALU_DEP_1) | instskip(NEXT) | instid1(VALU_DEP_1)
	v_cndmask_b32_e32 v3, v5, v7, vcc_lo
	v_and_or_b32 v1, 0x80000000, v1, v3
	s_delay_alu instid0(VALU_DEP_1) | instskip(NEXT) | instid1(VALU_DEP_1)
	v_trunc_f32_e32 v1, v1
	v_mul_f32_e64 v3, 0x2f800000, |v1|
	s_wait_xcnt 0x1
	v_ashrrev_i32_e32 v42, 31, v1
	s_delay_alu instid0(VALU_DEP_2) | instskip(NEXT) | instid1(VALU_DEP_2)
	v_floor_f32_e32 v3, v3
	v_mov_b32_e32 v43, v42
	s_delay_alu instid0(VALU_DEP_2) | instskip(SKIP_1) | instid1(VALU_DEP_2)
	v_fma_f32 v5, 0xcf800000, v3, |v1|
	v_cvt_u32_f32_e32 v1, v3
	v_cvt_u32_f32_e32 v3, v5
	s_delay_alu instid0(VALU_DEP_2) | instskip(NEXT) | instid1(VALU_DEP_2)
	v_xor_b32_e32 v45, v1, v42
	v_xor_b32_e32 v44, v3, v42
	s_delay_alu instid0(VALU_DEP_1)
	v_sub_nc_u64_e32 v[44:45], v[44:45], v[42:43]
.LBB31_4343:
	s_mov_b32 s1, 0
	s_mov_b32 s9, -1
.LBB31_4344:
	s_and_not1_b32 vcc_lo, exec_lo, s1
	s_mov_b32 s1, 0
	s_cbranch_vccnz .LBB31_4355
; %bb.4345:
	s_cmp_gt_i32 s59, 14
	s_cbranch_scc0 .LBB31_4348
; %bb.4346:
	s_cmp_eq_u32 s59, 15
	s_cbranch_scc0 .LBB31_4351
; %bb.4347:
	global_load_u16 v1, v[32:33], off
	s_mov_b32 s0, 0
	s_mov_b32 s9, -1
	s_wait_loadcnt 0x0
	v_lshlrev_b32_e32 v1, 16, v1
	s_delay_alu instid0(VALU_DEP_1) | instskip(NEXT) | instid1(VALU_DEP_1)
	v_trunc_f32_e32 v1, v1
	v_mul_f32_e64 v3, 0x2f800000, |v1|
	s_wait_xcnt 0x1
	v_ashrrev_i32_e32 v42, 31, v1
	s_delay_alu instid0(VALU_DEP_2) | instskip(NEXT) | instid1(VALU_DEP_2)
	v_floor_f32_e32 v3, v3
	v_mov_b32_e32 v43, v42
	s_delay_alu instid0(VALU_DEP_2) | instskip(SKIP_1) | instid1(VALU_DEP_2)
	v_fma_f32 v5, 0xcf800000, v3, |v1|
	v_cvt_u32_f32_e32 v1, v3
	v_cvt_u32_f32_e32 v3, v5
	s_delay_alu instid0(VALU_DEP_2) | instskip(NEXT) | instid1(VALU_DEP_2)
	v_xor_b32_e32 v45, v1, v42
	v_xor_b32_e32 v44, v3, v42
	s_delay_alu instid0(VALU_DEP_1)
	v_sub_nc_u64_e32 v[44:45], v[44:45], v[42:43]
	s_branch .LBB31_4353
.LBB31_4348:
	s_mov_b32 s1, -1
	s_branch .LBB31_4352
.LBB31_4349:
	s_and_not1_saveexec_b32 s1, s1
	s_cbranch_execz .LBB31_4330
.LBB31_4350:
	v_cmp_ne_u16_e32 vcc_lo, 0, v1
	s_and_not1_b32 s9, s9, exec_lo
	s_and_b32 s22, vcc_lo, exec_lo
	s_delay_alu instid0(SALU_CYCLE_1)
	s_or_b32 s9, s9, s22
	s_or_b32 exec_lo, exec_lo, s1
	v_mov_b64_e32 v[44:45], 0
	s_and_saveexec_b32 s1, s9
	s_cbranch_execnz .LBB31_4331
	s_branch .LBB31_4332
.LBB31_4351:
	s_mov_b32 s0, -1
.LBB31_4352:
                                        ; implicit-def: $vgpr44_vgpr45
.LBB31_4353:
	s_and_b32 vcc_lo, exec_lo, s1
	s_mov_b32 s1, 0
	s_cbranch_vccz .LBB31_4355
; %bb.4354:
	s_cmp_lg_u32 s59, 11
	s_mov_b32 s1, -1
	s_cselect_b32 s0, -1, 0
.LBB31_4355:
	s_delay_alu instid0(SALU_CYCLE_1)
	s_and_b32 vcc_lo, exec_lo, s0
	s_cbranch_vccnz .LBB31_4443
; %bb.4356:
	s_and_not1_b32 vcc_lo, exec_lo, s1
	s_cbranch_vccnz .LBB31_4358
.LBB31_4357:
	global_load_u8 v1, v[32:33], off
	s_mov_b32 s0, 0
	s_mov_b32 s9, -1
	s_wait_loadcnt 0x1
	v_mov_b32_e32 v45, s0
	s_wait_loadcnt 0x0
	v_cmp_ne_u16_e32 vcc_lo, 0, v1
	v_cndmask_b32_e64 v44, 0, 1, vcc_lo
.LBB31_4358:
	s_mov_b32 s0, 0
.LBB31_4359:
	s_delay_alu instid0(SALU_CYCLE_1)
	s_and_b32 vcc_lo, exec_lo, s0
	s_cbranch_vccz .LBB31_4408
; %bb.4360:
	s_cmp_lt_i32 s59, 5
	s_cbranch_scc1 .LBB31_4365
; %bb.4361:
	s_cmp_lt_i32 s59, 8
	s_cbranch_scc1 .LBB31_4366
	;; [unrolled: 3-line block ×3, first 2 shown]
; %bb.4363:
	s_cmp_gt_i32 s59, 9
	s_cbranch_scc0 .LBB31_4368
; %bb.4364:
	global_load_b64 v[42:43], v[32:33], off
	s_mov_b32 s0, 0
	s_wait_loadcnt 0x0
	v_trunc_f64_e32 v[42:43], v[42:43]
	s_delay_alu instid0(VALU_DEP_1) | instskip(NEXT) | instid1(VALU_DEP_1)
	v_ldexp_f64 v[44:45], v[42:43], 0xffffffe0
	v_floor_f64_e32 v[44:45], v[44:45]
	s_delay_alu instid0(VALU_DEP_1) | instskip(SKIP_1) | instid1(VALU_DEP_2)
	v_fmamk_f64 v[42:43], v[44:45], 0xc1f00000, v[42:43]
	v_cvt_i32_f64_e32 v45, v[44:45]
	v_cvt_u32_f64_e32 v44, v[42:43]
	s_branch .LBB31_4369
.LBB31_4365:
	s_mov_b32 s0, -1
                                        ; implicit-def: $vgpr44_vgpr45
	s_branch .LBB31_4387
.LBB31_4366:
	s_mov_b32 s0, -1
                                        ; implicit-def: $vgpr44_vgpr45
	s_branch .LBB31_4375
.LBB31_4367:
	s_mov_b32 s0, -1
                                        ; implicit-def: $vgpr44_vgpr45
	s_branch .LBB31_4372
.LBB31_4368:
	s_mov_b32 s0, -1
                                        ; implicit-def: $vgpr44_vgpr45
.LBB31_4369:
	s_delay_alu instid0(SALU_CYCLE_1)
	s_and_not1_b32 vcc_lo, exec_lo, s0
	s_cbranch_vccnz .LBB31_4371
; %bb.4370:
	global_load_b32 v1, v[32:33], off
	s_wait_loadcnt 0x0
	v_trunc_f32_e32 v1, v1
	s_delay_alu instid0(VALU_DEP_1) | instskip(SKIP_2) | instid1(VALU_DEP_2)
	v_mul_f32_e64 v3, 0x2f800000, |v1|
	s_wait_xcnt 0x1
	v_ashrrev_i32_e32 v42, 31, v1
	v_floor_f32_e32 v3, v3
	s_delay_alu instid0(VALU_DEP_1) | instskip(SKIP_1) | instid1(VALU_DEP_4)
	v_fma_f32 v5, 0xcf800000, v3, |v1|
	v_cvt_u32_f32_e32 v1, v3
	v_mov_b32_e32 v43, v42
	s_delay_alu instid0(VALU_DEP_3) | instskip(NEXT) | instid1(VALU_DEP_3)
	v_cvt_u32_f32_e32 v3, v5
	v_xor_b32_e32 v45, v1, v42
	s_delay_alu instid0(VALU_DEP_2) | instskip(NEXT) | instid1(VALU_DEP_1)
	v_xor_b32_e32 v44, v3, v42
	v_sub_nc_u64_e32 v[44:45], v[44:45], v[42:43]
.LBB31_4371:
	s_mov_b32 s0, 0
.LBB31_4372:
	s_delay_alu instid0(SALU_CYCLE_1)
	s_and_not1_b32 vcc_lo, exec_lo, s0
	s_cbranch_vccnz .LBB31_4374
; %bb.4373:
	global_load_b32 v1, v[32:33], off
	s_wait_loadcnt 0x0
	v_cvt_f32_f16_e32 v1, v1
	s_delay_alu instid0(VALU_DEP_1) | instskip(NEXT) | instid1(VALU_DEP_1)
	v_cvt_i32_f32_e32 v44, v1
	v_ashrrev_i32_e32 v45, 31, v44
.LBB31_4374:
	s_mov_b32 s0, 0
.LBB31_4375:
	s_delay_alu instid0(SALU_CYCLE_1)
	s_and_not1_b32 vcc_lo, exec_lo, s0
	s_cbranch_vccnz .LBB31_4386
; %bb.4376:
	s_cmp_lt_i32 s59, 6
	s_cbranch_scc1 .LBB31_4379
; %bb.4377:
	s_cmp_gt_i32 s59, 6
	s_cbranch_scc0 .LBB31_4380
; %bb.4378:
	global_load_b64 v[42:43], v[32:33], off
	s_mov_b32 s0, 0
	s_wait_loadcnt 0x0
	v_trunc_f64_e32 v[42:43], v[42:43]
	s_delay_alu instid0(VALU_DEP_1) | instskip(NEXT) | instid1(VALU_DEP_1)
	v_ldexp_f64 v[44:45], v[42:43], 0xffffffe0
	v_floor_f64_e32 v[44:45], v[44:45]
	s_delay_alu instid0(VALU_DEP_1) | instskip(SKIP_1) | instid1(VALU_DEP_2)
	v_fmamk_f64 v[42:43], v[44:45], 0xc1f00000, v[42:43]
	v_cvt_i32_f64_e32 v45, v[44:45]
	v_cvt_u32_f64_e32 v44, v[42:43]
	s_branch .LBB31_4381
.LBB31_4379:
	s_mov_b32 s0, -1
                                        ; implicit-def: $vgpr44_vgpr45
	s_branch .LBB31_4384
.LBB31_4380:
	s_mov_b32 s0, -1
                                        ; implicit-def: $vgpr44_vgpr45
.LBB31_4381:
	s_delay_alu instid0(SALU_CYCLE_1)
	s_and_not1_b32 vcc_lo, exec_lo, s0
	s_cbranch_vccnz .LBB31_4383
; %bb.4382:
	global_load_b32 v1, v[32:33], off
	s_wait_loadcnt 0x0
	v_trunc_f32_e32 v1, v1
	s_delay_alu instid0(VALU_DEP_1) | instskip(SKIP_2) | instid1(VALU_DEP_2)
	v_mul_f32_e64 v3, 0x2f800000, |v1|
	s_wait_xcnt 0x1
	v_ashrrev_i32_e32 v42, 31, v1
	v_floor_f32_e32 v3, v3
	s_delay_alu instid0(VALU_DEP_1) | instskip(SKIP_1) | instid1(VALU_DEP_4)
	v_fma_f32 v5, 0xcf800000, v3, |v1|
	v_cvt_u32_f32_e32 v1, v3
	v_mov_b32_e32 v43, v42
	s_delay_alu instid0(VALU_DEP_3) | instskip(NEXT) | instid1(VALU_DEP_3)
	v_cvt_u32_f32_e32 v3, v5
	v_xor_b32_e32 v45, v1, v42
	s_delay_alu instid0(VALU_DEP_2) | instskip(NEXT) | instid1(VALU_DEP_1)
	v_xor_b32_e32 v44, v3, v42
	v_sub_nc_u64_e32 v[44:45], v[44:45], v[42:43]
.LBB31_4383:
	s_mov_b32 s0, 0
.LBB31_4384:
	s_delay_alu instid0(SALU_CYCLE_1)
	s_and_not1_b32 vcc_lo, exec_lo, s0
	s_cbranch_vccnz .LBB31_4386
; %bb.4385:
	global_load_u16 v1, v[32:33], off
	s_wait_loadcnt 0x0
	v_cvt_f32_f16_e32 v1, v1
	s_delay_alu instid0(VALU_DEP_1) | instskip(NEXT) | instid1(VALU_DEP_1)
	v_cvt_i32_f32_e32 v44, v1
	v_ashrrev_i32_e32 v45, 31, v44
.LBB31_4386:
	s_mov_b32 s0, 0
.LBB31_4387:
	s_delay_alu instid0(SALU_CYCLE_1)
	s_and_not1_b32 vcc_lo, exec_lo, s0
	s_cbranch_vccnz .LBB31_4407
; %bb.4388:
	s_cmp_lt_i32 s59, 2
	s_cbranch_scc1 .LBB31_4392
; %bb.4389:
	s_cmp_lt_i32 s59, 3
	s_cbranch_scc1 .LBB31_4393
; %bb.4390:
	s_cmp_gt_i32 s59, 3
	s_cbranch_scc0 .LBB31_4394
; %bb.4391:
	s_wait_loadcnt 0x0
	global_load_b64 v[44:45], v[32:33], off
	s_mov_b32 s0, 0
	s_branch .LBB31_4395
.LBB31_4392:
	s_mov_b32 s0, -1
                                        ; implicit-def: $vgpr44_vgpr45
	s_branch .LBB31_4401
.LBB31_4393:
	s_mov_b32 s0, -1
                                        ; implicit-def: $vgpr44_vgpr45
	s_branch .LBB31_4398
.LBB31_4394:
	s_mov_b32 s0, -1
                                        ; implicit-def: $vgpr44_vgpr45
.LBB31_4395:
	s_delay_alu instid0(SALU_CYCLE_1)
	s_and_not1_b32 vcc_lo, exec_lo, s0
	s_cbranch_vccnz .LBB31_4397
; %bb.4396:
	s_wait_loadcnt 0x0
	global_load_b32 v44, v[32:33], off
	s_wait_loadcnt 0x0
	v_ashrrev_i32_e32 v45, 31, v44
.LBB31_4397:
	s_mov_b32 s0, 0
.LBB31_4398:
	s_delay_alu instid0(SALU_CYCLE_1)
	s_and_not1_b32 vcc_lo, exec_lo, s0
	s_cbranch_vccnz .LBB31_4400
; %bb.4399:
	global_load_u16 v1, v[32:33], off
	s_wait_loadcnt 0x0
	v_bfe_i32 v44, v1, 0, 16
	s_delay_alu instid0(VALU_DEP_1)
	v_ashrrev_i32_e32 v45, 31, v44
.LBB31_4400:
	s_mov_b32 s0, 0
.LBB31_4401:
	s_delay_alu instid0(SALU_CYCLE_1)
	s_and_not1_b32 vcc_lo, exec_lo, s0
	s_cbranch_vccnz .LBB31_4407
; %bb.4402:
	s_cmp_gt_i32 s59, 0
	s_mov_b32 s0, 0
	s_cbranch_scc0 .LBB31_4404
; %bb.4403:
	global_load_i8 v1, v[32:33], off
	s_wait_loadcnt 0x0
	v_bfe_i32 v44, v1, 0, 16
	s_delay_alu instid0(VALU_DEP_1)
	v_ashrrev_i32_e32 v45, 31, v44
	s_branch .LBB31_4405
.LBB31_4404:
	s_mov_b32 s0, -1
                                        ; implicit-def: $vgpr44_vgpr45
.LBB31_4405:
	s_delay_alu instid0(SALU_CYCLE_1)
	s_and_not1_b32 vcc_lo, exec_lo, s0
	s_cbranch_vccnz .LBB31_4407
; %bb.4406:
	global_load_u8 v1, v[32:33], off
	s_mov_b32 s0, 0
	s_wait_loadcnt 0x1
	v_mov_b32_e32 v45, s0
	s_wait_loadcnt 0x0
	v_and_b32_e32 v44, 0xffff, v1
.LBB31_4407:
	s_mov_b32 s9, -1
.LBB31_4408:
	s_delay_alu instid0(SALU_CYCLE_1)
	s_and_not1_b32 vcc_lo, exec_lo, s9
	s_cbranch_vccnz .LBB31_4417
; %bb.4409:
	s_mov_b32 s0, exec_lo
	s_wait_loadcnt 0x0
	v_cmpx_ne_u64_e64 v[40:41], v[8:9]
	s_xor_b32 s0, exec_lo, s0
	s_cbranch_execnz .LBB31_4577
.LBB31_4410:
	s_or_saveexec_b32 s47, s0
	s_mov_b32 s1, 0
	s_mov_b32 s9, 0
                                        ; implicit-def: $vgpr42_vgpr43
                                        ; implicit-def: $sgpr0
	s_xor_b32 exec_lo, exec_lo, s47
	s_cbranch_execz .LBB31_5088
; %bb.4411:
	s_mov_b32 s48, s43
	s_mov_b32 s0, exec_lo
	v_cmpx_ne_u64_e64 v[38:39], v[12:13]
	s_xor_b32 s0, exec_lo, s0
	s_cbranch_execnz .LBB31_4705
; %bb.4412:
	s_or_saveexec_b32 s49, s0
                                        ; implicit-def: $vgpr42_vgpr43
                                        ; implicit-def: $sgpr0
	s_delay_alu instid0(SALU_CYCLE_1)
	s_xor_b32 exec_lo, exec_lo, s49
	s_cbranch_execz .LBB31_5087
.LBB31_4413:
	v_sub_nc_u64_e32 v[32:33], v[34:35], v[36:37]
	s_mov_b32 s50, s48
	s_delay_alu instid0(VALU_DEP_1) | instskip(SKIP_2) | instid1(SALU_CYCLE_1)
	v_cmp_gt_i64_e32 vcc_lo, v[8:9], v[32:33]
	v_cmp_lt_i64_e64 s0, s[18:19], v[32:33]
	s_or_b32 s0, vcc_lo, s0
	s_and_saveexec_b32 s1, s0
	s_delay_alu instid0(SALU_CYCLE_1)
	s_xor_b32 s0, exec_lo, s1
	s_cbranch_execnz .LBB31_4833
; %bb.4414:
	s_or_saveexec_b32 s51, s0
	s_mov_b32 s1, 0
                                        ; implicit-def: $vgpr42_vgpr43
                                        ; implicit-def: $sgpr0
	s_xor_b32 exec_lo, exec_lo, s51
	s_cbranch_execz .LBB31_5086
.LBB31_4415:
	v_mov_b64_e32 v[32:33], 0
	s_and_saveexec_b32 s52, s46
	s_cbranch_execz .LBB31_4428
; %bb.4416:
	v_mul_u64_e32 v[40:41], v[44:45], v[12:13]
	s_mov_b32 s9, s1
	v_mov_b64_e32 v[32:33], 0
	s_lshl_b64 s[24:25], s[8:9], 3
	v_mov_b32_e32 v38, 0
	s_add_nc_u64 s[24:25], s[2:3], s[24:25]
	s_mov_b64 s[22:23], 0xffffffff
	s_add_nc_u64 s[24:25], s[24:25], 0x298
	s_mov_b32 s9, s44
	s_branch .LBB31_4424
.LBB31_4417:
	s_mov_b32 s1, 0
	s_mov_b32 s9, 0
                                        ; implicit-def: $vgpr42_vgpr43
                                        ; implicit-def: $sgpr0
.LBB31_4418:
	s_wait_xcnt 0x0
	s_and_not1_b32 s2, s41, exec_lo
	s_and_b32 s3, s43, exec_lo
	s_and_b32 s9, s9, exec_lo
	;; [unrolled: 1-line block ×3, first 2 shown]
	s_or_b32 s41, s2, s3
.LBB31_4419:
	s_or_b32 exec_lo, exec_lo, s42
	s_wait_xcnt 0x0
	s_and_not1_b32 s2, s39, exec_lo
	s_and_b32 s3, s41, exec_lo
	s_and_b32 s8, s9, exec_lo
	;; [unrolled: 1-line block ×3, first 2 shown]
	s_or_b32 s39, s2, s3
.LBB31_4420:
	s_or_b32 exec_lo, exec_lo, s40
	s_delay_alu instid0(SALU_CYCLE_1)
	s_and_not1_b32 s2, s37, exec_lo
	s_and_b32 s3, s39, exec_lo
	s_and_b32 s8, s8, exec_lo
	s_and_b32 s1, s1, exec_lo
	s_or_b32 s37, s2, s3
.LBB31_4421:
	s_or_b32 exec_lo, exec_lo, s38
	s_delay_alu instid0(SALU_CYCLE_1)
	s_and_not1_b32 s2, s33, exec_lo
	s_and_b32 s3, s37, exec_lo
	s_and_b32 s8, s8, exec_lo
	s_and_b32 s1, s1, exec_lo
	s_or_b32 s33, s2, s3
.LBB31_4422:
	s_or_b32 exec_lo, exec_lo, s36
	s_branch .LBB31_3533
.LBB31_4423:                            ;   in Loop: Header=BB31_4424 Depth=1
	s_or_b32 exec_lo, exec_lo, s0
	s_delay_alu instid0(VALU_DEP_1)
	v_mul_u64_e32 v[44:45], s[26:27], v[42:43]
	s_load_b64 s[26:27], s[24:25], 0x40
	s_add_co_i32 s9, s9, -1
	s_wait_xcnt 0x0
	s_add_nc_u64 s[24:25], s[24:25], -8
	s_cmp_eq_u32 s9, 0
	s_delay_alu instid0(VALU_DEP_1) | instskip(SKIP_1) | instid1(VALU_DEP_1)
	v_sub_nc_u64_e32 v[40:41], v[40:41], v[44:45]
	s_wait_kmcnt 0x0
	v_mad_nc_u64_u32 v[32:33], v40, s26, v[32:33]
	s_delay_alu instid0(VALU_DEP_1) | instskip(NEXT) | instid1(VALU_DEP_1)
	v_mad_u32 v1, v41, s26, v33
	v_mad_u32 v33, v40, s27, v1
	v_mov_b64_e32 v[40:41], v[42:43]
	s_cbranch_scc1 .LBB31_4428
.LBB31_4424:                            ; =>This Inner Loop Header: Depth=1
	s_load_b64 s[26:27], s[24:25], 0x0
                                        ; implicit-def: $vgpr42_vgpr43
	s_mov_b32 s0, exec_lo
	s_wait_kmcnt 0x0
	s_delay_alu instid0(VALU_DEP_1) | instskip(NEXT) | instid1(VALU_DEP_1)
	v_or_b32_e32 v39, s27, v41
	v_cmpx_ne_u64_e32 0, v[38:39]
	s_xor_b32 s53, exec_lo, s0
	s_cbranch_execz .LBB31_4426
; %bb.4425:                             ;   in Loop: Header=BB31_4424 Depth=1
	s_ashr_i32 s28, s27, 31
	v_dual_mov_b32 v47, v38 :: v_dual_ashrrev_i32 v42, 31, v41
	s_mov_b32 s29, s28
	v_mov_b32_e32 v55, v38
	s_add_nc_u64 s[30:31], s[26:27], s[28:29]
	s_delay_alu instid0(VALU_DEP_2) | instskip(SKIP_1) | instid1(SALU_CYCLE_1)
	v_mov_b32_e32 v43, v42
	s_xor_b64 s[30:31], s[30:31], s[28:29]
	s_cvt_f32_u32 s0, s30
	s_cvt_f32_u32 s29, s31
	s_sub_nc_u64 s[62:63], 0, s[30:31]
	v_add_nc_u64_e32 v[44:45], v[40:41], v[42:43]
	v_mov_b32_e32 v51, v38
	s_fmamk_f32 s0, s29, 0x4f800000, s0
	s_delay_alu instid0(SALU_CYCLE_3) | instskip(NEXT) | instid1(VALU_DEP_2)
	v_s_rcp_f32 s0, s0
	v_xor_b32_e32 v46, v44, v42
	s_delay_alu instid0(VALU_DEP_3) | instskip(NEXT) | instid1(TRANS32_DEP_1)
	v_xor_b32_e32 v50, v45, v42
	s_mul_f32 s0, s0, 0x5f7ffffc
	s_delay_alu instid0(SALU_CYCLE_3) | instskip(NEXT) | instid1(SALU_CYCLE_3)
	s_mul_f32 s29, s0, 0x2f800000
	s_trunc_f32 s29, s29
	s_delay_alu instid0(SALU_CYCLE_3) | instskip(SKIP_1) | instid1(SALU_CYCLE_2)
	s_fmamk_f32 s0, s29, 0xcf800000, s0
	s_cvt_u32_f32 s61, s29
	s_cvt_u32_f32 s60, s0
	s_delay_alu instid0(SALU_CYCLE_3) | instskip(NEXT) | instid1(SALU_CYCLE_1)
	s_mul_u64 s[64:65], s[62:63], s[60:61]
	s_mul_hi_u32 s67, s60, s65
	s_mul_i32 s66, s60, s65
	s_mul_hi_u32 s0, s60, s64
	s_mul_i32 s54, s61, s64
	s_add_nc_u64 s[66:67], s[0:1], s[66:67]
	s_mul_hi_u32 s29, s61, s64
	s_mul_hi_u32 s68, s61, s65
	s_add_co_u32 s0, s66, s54
	s_add_co_ci_u32 s0, s67, s29
	s_mul_i32 s64, s61, s65
	s_add_co_ci_u32 s65, s68, 0
	s_delay_alu instid0(SALU_CYCLE_1) | instskip(NEXT) | instid1(SALU_CYCLE_1)
	s_add_nc_u64 s[64:65], s[0:1], s[64:65]
	s_add_co_u32 s60, s60, s64
	s_cselect_b32 s0, -1, 0
	s_delay_alu instid0(SALU_CYCLE_1) | instskip(SKIP_1) | instid1(SALU_CYCLE_1)
	s_cmp_lg_u32 s0, 0
	s_add_co_ci_u32 s61, s61, s65
	s_mul_u64 s[62:63], s[62:63], s[60:61]
	s_delay_alu instid0(SALU_CYCLE_1)
	s_mul_hi_u32 s65, s60, s63
	s_mul_i32 s64, s60, s63
	s_mul_hi_u32 s0, s60, s62
	s_mul_i32 s54, s61, s62
	s_add_nc_u64 s[64:65], s[0:1], s[64:65]
	s_mul_hi_u32 s29, s61, s62
	s_mul_hi_u32 s66, s61, s63
	s_add_co_u32 s0, s64, s54
	s_add_co_ci_u32 s0, s65, s29
	s_mul_i32 s62, s61, s63
	s_add_co_ci_u32 s63, s66, 0
	s_delay_alu instid0(SALU_CYCLE_1) | instskip(NEXT) | instid1(SALU_CYCLE_1)
	s_add_nc_u64 s[62:63], s[0:1], s[62:63]
	s_add_co_u32 s54, s60, s62
	s_cselect_b32 s0, -1, 0
	v_mul_hi_u32 v54, v46, s54
	s_cmp_lg_u32 s0, 0
	s_add_co_ci_u32 s0, s61, s63
	s_and_b64 s[60:61], s[54:55], s[22:23]
	v_mul_u64_e32 v[48:49], s[0:1], v[46:47]
	v_mul_u64_e32 v[44:45], s[60:61], v[50:51]
	;; [unrolled: 1-line block ×3, first 2 shown]
	s_delay_alu instid0(VALU_DEP_3) | instskip(NEXT) | instid1(VALU_DEP_1)
	v_add_nc_u64_e32 v[48:49], v[54:55], v[48:49]
	v_add_co_u32 v1, vcc_lo, v48, v44
	s_delay_alu instid0(VALU_DEP_2) | instskip(NEXT) | instid1(VALU_DEP_4)
	v_add_co_ci_u32_e32 v54, vcc_lo, v49, v45, vcc_lo
	v_add_co_ci_u32_e32 v53, vcc_lo, 0, v53, vcc_lo
	s_delay_alu instid0(VALU_DEP_1) | instskip(NEXT) | instid1(VALU_DEP_1)
	v_add_nc_u64_e32 v[44:45], v[54:55], v[52:53]
	v_mul_u64_e32 v[48:49], s[30:31], v[44:45]
	s_delay_alu instid0(VALU_DEP_1) | instskip(NEXT) | instid1(VALU_DEP_2)
	v_sub_nc_u32_e32 v1, v50, v49
	v_sub_co_u32 v3, vcc_lo, v46, v48
	s_delay_alu instid0(VALU_DEP_1) | instskip(NEXT) | instid1(VALU_DEP_3)
	v_sub_co_ci_u32_e64 v7, null, v50, v49, vcc_lo
	v_subrev_co_ci_u32_e64 v1, null, s31, v1, vcc_lo
	s_delay_alu instid0(VALU_DEP_3) | instskip(SKIP_1) | instid1(VALU_DEP_3)
	v_sub_co_u32 v5, s0, v3, s30
	v_add_nc_u64_e32 v[46:47], 2, v[44:45]
	v_subrev_co_ci_u32_e64 v1, null, 0, v1, s0
	s_delay_alu instid0(VALU_DEP_3) | instskip(SKIP_2) | instid1(VALU_DEP_4)
	v_cmp_le_u32_e32 vcc_lo, s30, v5
	v_add_nc_u64_e32 v[48:49], 1, v[44:45]
	v_cndmask_b32_e64 v5, 0, -1, vcc_lo
	v_cmp_le_u32_e32 vcc_lo, s31, v1
	v_cndmask_b32_e64 v11, 0, -1, vcc_lo
	v_cmp_le_u32_e32 vcc_lo, s30, v3
	;; [unrolled: 2-line block ×3, first 2 shown]
	v_cndmask_b32_e64 v15, 0, -1, vcc_lo
	v_cmp_eq_u32_e32 vcc_lo, s31, v1
	v_cndmask_b32_e32 v1, v11, v5, vcc_lo
	v_cmp_eq_u32_e32 vcc_lo, s31, v7
	s_delay_alu instid0(VALU_DEP_4) | instskip(NEXT) | instid1(VALU_DEP_3)
	v_cndmask_b32_e32 v3, v15, v3, vcc_lo
	v_cmp_ne_u32_e32 vcc_lo, 0, v1
	s_delay_alu instid0(VALU_DEP_2) | instskip(SKIP_1) | instid1(VALU_DEP_1)
	v_cmp_ne_u32_e64 s0, 0, v3
	v_dual_cndmask_b32 v1, v49, v47, vcc_lo :: v_dual_cndmask_b32 v3, v48, v46, vcc_lo
	v_dual_cndmask_b32 v1, v45, v1, s0 :: v_dual_bitop2_b32 v42, s28, v42 bitop3:0x14
	s_delay_alu instid0(VALU_DEP_1) | instskip(NEXT) | instid1(VALU_DEP_2)
	v_dual_cndmask_b32 v3, v44, v3, s0 :: v_dual_mov_b32 v43, v42
	v_xor_b32_e32 v45, v1, v42
	s_delay_alu instid0(VALU_DEP_2) | instskip(NEXT) | instid1(VALU_DEP_1)
	v_xor_b32_e32 v44, v3, v42
	v_sub_nc_u64_e32 v[42:43], v[44:45], v[42:43]
.LBB31_4426:                            ;   in Loop: Header=BB31_4424 Depth=1
	s_and_not1_saveexec_b32 s0, s53
	s_cbranch_execz .LBB31_4423
; %bb.4427:                             ;   in Loop: Header=BB31_4424 Depth=1
	v_cvt_f32_u32_e32 v1, s26
	s_sub_co_i32 s28, 0, s26
	v_mov_b32_e32 v43, v38
	s_delay_alu instid0(VALU_DEP_2) | instskip(SKIP_1) | instid1(TRANS32_DEP_1)
	v_rcp_iflag_f32_e32 v1, v1
	v_nop
	v_mul_f32_e32 v1, 0x4f7ffffe, v1
	s_delay_alu instid0(VALU_DEP_1) | instskip(NEXT) | instid1(VALU_DEP_1)
	v_cvt_u32_f32_e32 v1, v1
	v_mul_lo_u32 v3, s28, v1
	s_delay_alu instid0(VALU_DEP_1) | instskip(NEXT) | instid1(VALU_DEP_1)
	v_mul_hi_u32 v3, v1, v3
	v_add_nc_u32_e32 v1, v1, v3
	s_delay_alu instid0(VALU_DEP_1) | instskip(NEXT) | instid1(VALU_DEP_1)
	v_mul_hi_u32 v1, v40, v1
	v_mul_lo_u32 v3, v1, s26
	s_delay_alu instid0(VALU_DEP_1) | instskip(NEXT) | instid1(VALU_DEP_1)
	v_sub_nc_u32_e32 v3, v40, v3
	v_subrev_nc_u32_e32 v7, s26, v3
	v_cmp_le_u32_e32 vcc_lo, s26, v3
	s_delay_alu instid0(VALU_DEP_2) | instskip(NEXT) | instid1(VALU_DEP_1)
	v_dual_add_nc_u32 v5, 1, v1 :: v_dual_cndmask_b32 v3, v3, v7, vcc_lo
	v_cndmask_b32_e32 v1, v1, v5, vcc_lo
	s_delay_alu instid0(VALU_DEP_2) | instskip(NEXT) | instid1(VALU_DEP_2)
	v_cmp_le_u32_e32 vcc_lo, s26, v3
	v_add_nc_u32_e32 v5, 1, v1
	s_delay_alu instid0(VALU_DEP_1)
	v_cndmask_b32_e32 v42, v1, v5, vcc_lo
	s_branch .LBB31_4423
.LBB31_4428:
	s_or_b32 exec_lo, exec_lo, s52
	s_mov_b32 s22, -1
	s_mov_b32 s52, s50
	s_mov_b32 s0, exec_lo
	v_cmpx_gt_i64_e64 v[34:35], v[36:37]
	s_cbranch_execz .LBB31_4435
; %bb.4429:
	s_delay_alu instid0(VALU_DEP_2) | instskip(SKIP_2) | instid1(VALU_DEP_1)
	v_lshlrev_b64_e32 v[32:33], 3, v[32:33]
	s_mov_b32 s9, 0
	s_xor_b32 s22, s45, -1
                                        ; implicit-def: $sgpr1
                                        ; implicit-def: $sgpr24
                                        ; implicit-def: $sgpr23
	v_lshl_add_u64 v[36:37], v[36:37], 3, v[32:33]
	s_wait_kmcnt 0x0
	v_add_nc_u64_e32 v[38:39], s[20:21], v[32:33]
	s_delay_alu instid0(VALU_DEP_2) | instskip(NEXT) | instid1(VALU_DEP_2)
	v_add_nc_u64_e32 v[36:37], s[20:21], v[36:37]
	v_lshl_add_u64 v[34:35], v[34:35], 3, v[38:39]
	s_delay_alu instid0(VALU_DEP_2)
	v_add_nc_u64_e32 v[32:33], 8, v[36:37]
	s_branch .LBB31_4431
.LBB31_4430:                            ;   in Loop: Header=BB31_4431 Depth=1
	s_or_b32 exec_lo, exec_lo, s25
	s_xor_b32 s25, s23, -1
	s_and_b32 s26, exec_lo, s24
	s_delay_alu instid0(SALU_CYCLE_1) | instskip(SKIP_2) | instid1(SALU_CYCLE_1)
	s_or_b32 s9, s26, s9
	s_and_not1_b32 s1, s1, exec_lo
	s_and_b32 s25, s25, exec_lo
	s_or_b32 s1, s1, s25
	s_and_not1_b32 exec_lo, exec_lo, s9
	s_cbranch_execz .LBB31_4433
.LBB31_4431:                            ; =>This Inner Loop Header: Depth=1
	s_or_b32 s23, s23, exec_lo
	s_or_b32 s24, s24, exec_lo
	s_mov_b32 s25, exec_lo
	s_delay_alu instid0(VALU_DEP_1)
	v_cmpx_lt_u64_e64 v[32:33], v[34:35]
	s_cbranch_execz .LBB31_4430
; %bb.4432:                             ;   in Loop: Header=BB31_4431 Depth=1
	global_load_b128 v[36:39], v[32:33], off offset:-8
	s_wait_xcnt 0x0
	v_add_nc_u64_e32 v[32:33], 8, v[32:33]
	s_and_not1_b32 s24, s24, exec_lo
	s_and_not1_b32 s23, s23, exec_lo
	s_wait_loadcnt 0x0
	v_cmp_ge_i64_e32 vcc_lo, v[36:37], v[38:39]
	s_or_b32 s26, s22, vcc_lo
	s_delay_alu instid0(SALU_CYCLE_1) | instskip(NEXT) | instid1(SALU_CYCLE_1)
	s_and_b32 s26, s26, exec_lo
	s_or_b32 s24, s24, s26
	s_branch .LBB31_4430
.LBB31_4433:
	s_or_b32 exec_lo, exec_lo, s9
	s_mov_b32 s9, -1
	s_mov_b32 s22, s50
	s_and_saveexec_b32 s23, s1
	s_delay_alu instid0(SALU_CYCLE_1)
	s_xor_b32 s1, exec_lo, s23
	s_cbranch_execnz .LBB31_4448
.LBB31_4434:
	s_or_b32 exec_lo, exec_lo, s1
	s_delay_alu instid0(SALU_CYCLE_1) | instskip(SKIP_1) | instid1(SALU_CYCLE_1)
	s_and_not1_b32 s1, s50, exec_lo
	s_and_b32 s22, s22, exec_lo
	s_or_b32 s52, s1, s22
	s_or_not1_b32 s22, s9, exec_lo
.LBB31_4435:
	s_or_b32 exec_lo, exec_lo, s0
	s_mov_b32 s1, 0
	s_mov_b32 s9, 0
                                        ; implicit-def: $vgpr42_vgpr43
                                        ; implicit-def: $sgpr0
	s_and_saveexec_b32 s53, s22
	s_cbranch_execz .LBB31_5085
; %bb.4436:
	v_mov_b32_e32 v31, 0
	s_cmp_lt_i32 s55, 11
	s_delay_alu instid0(VALU_DEP_1)
	v_add_nc_u64_e32 v[32:33], s[6:7], v[30:31]
	s_cbranch_scc1 .LBB31_4444
; %bb.4437:
	s_cmp_gt_i32 s55, 25
	s_cbranch_scc0 .LBB31_4445
; %bb.4438:
	s_cmp_gt_i32 s55, 28
	s_cbranch_scc0 .LBB31_4446
	;; [unrolled: 3-line block ×4, first 2 shown]
; %bb.4441:
	s_cmp_eq_u32 s55, 46
	s_mov_b32 s22, 0
	s_cbranch_scc0 .LBB31_4450
; %bb.4442:
	global_load_b32 v1, v[32:33], off
	s_mov_b32 s0, 0
	s_mov_b32 s9, -1
	s_wait_loadcnt 0x0
	v_lshlrev_b32_e32 v1, 16, v1
	s_delay_alu instid0(VALU_DEP_1) | instskip(NEXT) | instid1(VALU_DEP_1)
	v_trunc_f32_e32 v1, v1
	v_mul_f32_e64 v3, 0x2f800000, |v1|
	v_ashrrev_i32_e32 v30, 31, v1
	s_delay_alu instid0(VALU_DEP_2) | instskip(NEXT) | instid1(VALU_DEP_2)
	v_floor_f32_e32 v3, v3
	v_mov_b32_e32 v31, v30
	s_delay_alu instid0(VALU_DEP_2) | instskip(SKIP_1) | instid1(VALU_DEP_2)
	v_fma_f32 v5, 0xcf800000, v3, |v1|
	v_cvt_u32_f32_e32 v1, v3
	v_cvt_u32_f32_e32 v3, v5
	s_delay_alu instid0(VALU_DEP_2) | instskip(NEXT) | instid1(VALU_DEP_2)
	v_xor_b32_e32 v35, v1, v30
	v_xor_b32_e32 v34, v3, v30
	s_delay_alu instid0(VALU_DEP_1)
	v_sub_nc_u64_e32 v[30:31], v[34:35], v[30:31]
	s_branch .LBB31_4452
.LBB31_4443:
	s_or_b32 s43, s43, exec_lo
	s_trap 2
	s_cbranch_execz .LBB31_4357
	s_branch .LBB31_4358
.LBB31_4444:
	s_mov_b32 s0, -1
	s_mov_b32 s54, s52
                                        ; implicit-def: $vgpr30_vgpr31
	s_branch .LBB31_4514
.LBB31_4445:
	s_mov_b32 s22, -1
	s_mov_b32 s0, 0
                                        ; implicit-def: $vgpr30_vgpr31
	s_branch .LBB31_4479
.LBB31_4446:
	s_mov_b32 s22, -1
	s_mov_b32 s0, 0
                                        ; implicit-def: $vgpr30_vgpr31
	s_branch .LBB31_4462
.LBB31_4447:
	s_mov_b32 s22, -1
	s_mov_b32 s0, 0
                                        ; implicit-def: $vgpr30_vgpr31
	s_branch .LBB31_4457
.LBB31_4448:
	s_or_b32 s22, s50, exec_lo
	s_xor_b32 s9, exec_lo, -1
	s_trap 2
	s_branch .LBB31_4434
.LBB31_4449:
	s_mov_b32 s22, -1
	s_mov_b32 s0, 0
	s_branch .LBB31_4451
.LBB31_4450:
	s_mov_b32 s0, -1
.LBB31_4451:
                                        ; implicit-def: $vgpr30_vgpr31
.LBB31_4452:
	s_and_b32 vcc_lo, exec_lo, s22
	s_cbranch_vccz .LBB31_4456
; %bb.4453:
	s_cmp_eq_u32 s55, 44
	s_cbranch_scc0 .LBB31_4455
; %bb.4454:
	global_load_u8 v1, v[32:33], off
	s_mov_b32 s0, 0
	s_mov_b32 s9, -1
	s_wait_loadcnt 0x0
	v_lshlrev_b32_e32 v3, 23, v1
	v_cmp_ne_u32_e32 vcc_lo, 0, v1
	s_delay_alu instid0(VALU_DEP_2) | instskip(NEXT) | instid1(VALU_DEP_1)
	v_trunc_f32_e32 v3, v3
	v_mul_f32_e64 v5, 0x2f800000, |v3|
	v_ashrrev_i32_e32 v30, 31, v3
	s_delay_alu instid0(VALU_DEP_2) | instskip(NEXT) | instid1(VALU_DEP_2)
	v_floor_f32_e32 v5, v5
	v_mov_b32_e32 v31, v30
	s_delay_alu instid0(VALU_DEP_2) | instskip(SKIP_1) | instid1(VALU_DEP_2)
	v_fma_f32 v7, 0xcf800000, v5, |v3|
	v_cvt_u32_f32_e32 v3, v5
	v_cvt_u32_f32_e32 v5, v7
	s_delay_alu instid0(VALU_DEP_2) | instskip(NEXT) | instid1(VALU_DEP_2)
	v_xor_b32_e32 v35, v3, v30
	v_xor_b32_e32 v34, v5, v30
	s_delay_alu instid0(VALU_DEP_1) | instskip(NEXT) | instid1(VALU_DEP_1)
	v_sub_nc_u64_e32 v[30:31], v[34:35], v[30:31]
	v_dual_cndmask_b32 v31, 0, v31 :: v_dual_cndmask_b32 v30, 0, v30
	s_branch .LBB31_4456
.LBB31_4455:
	s_mov_b32 s0, -1
                                        ; implicit-def: $vgpr30_vgpr31
.LBB31_4456:
	s_mov_b32 s22, 0
.LBB31_4457:
	s_delay_alu instid0(SALU_CYCLE_1)
	s_and_b32 vcc_lo, exec_lo, s22
	s_cbranch_vccz .LBB31_4461
; %bb.4458:
	s_cmp_eq_u32 s55, 29
	s_cbranch_scc0 .LBB31_4460
; %bb.4459:
	global_load_b64 v[30:31], v[32:33], off
	s_mov_b32 s0, 0
	s_mov_b32 s9, -1
	s_branch .LBB31_4461
.LBB31_4460:
	s_mov_b32 s0, -1
                                        ; implicit-def: $vgpr30_vgpr31
.LBB31_4461:
	s_mov_b32 s22, 0
.LBB31_4462:
	s_delay_alu instid0(SALU_CYCLE_1)
	s_and_b32 vcc_lo, exec_lo, s22
	s_cbranch_vccz .LBB31_4478
; %bb.4463:
	s_cmp_lt_i32 s55, 27
	s_cbranch_scc1 .LBB31_4466
; %bb.4464:
	s_cmp_gt_i32 s55, 27
	s_cbranch_scc0 .LBB31_4467
; %bb.4465:
	s_wait_loadcnt 0x0
	global_load_b32 v30, v[32:33], off
	v_mov_b32_e32 v31, 0
	s_mov_b32 s9, 0
	s_branch .LBB31_4468
.LBB31_4466:
	s_mov_b32 s9, -1
                                        ; implicit-def: $vgpr30_vgpr31
	s_branch .LBB31_4471
.LBB31_4467:
	s_mov_b32 s9, -1
                                        ; implicit-def: $vgpr30_vgpr31
.LBB31_4468:
	s_delay_alu instid0(SALU_CYCLE_1)
	s_and_not1_b32 vcc_lo, exec_lo, s9
	s_cbranch_vccnz .LBB31_4470
; %bb.4469:
	global_load_u16 v1, v[32:33], off
	s_mov_b32 s9, 0
	s_wait_loadcnt 0x1
	v_mov_b32_e32 v31, s9
	s_wait_loadcnt 0x0
	v_and_b32_e32 v30, 0xffff, v1
.LBB31_4470:
	s_mov_b32 s9, 0
.LBB31_4471:
	s_delay_alu instid0(SALU_CYCLE_1)
	s_and_not1_b32 vcc_lo, exec_lo, s9
	s_cbranch_vccnz .LBB31_4477
; %bb.4472:
	global_load_u8 v1, v[32:33], off
	s_mov_b32 s22, 0
	s_mov_b32 s9, exec_lo
	s_wait_loadcnt 0x0
	v_cmpx_lt_i16_e32 0x7f, v1
	s_xor_b32 s9, exec_lo, s9
	s_cbranch_execz .LBB31_4489
; %bb.4473:
	v_cmp_ne_u16_e32 vcc_lo, 0x80, v1
	s_and_b32 s22, vcc_lo, exec_lo
	s_and_not1_saveexec_b32 s9, s9
	s_cbranch_execnz .LBB31_4490
.LBB31_4474:
	s_or_b32 exec_lo, exec_lo, s9
	v_mov_b64_e32 v[30:31], 0
	s_and_saveexec_b32 s9, s22
	s_cbranch_execz .LBB31_4476
.LBB31_4475:
	v_and_b32_e32 v3, 0xffff, v1
	s_delay_alu instid0(VALU_DEP_1) | instskip(SKIP_1) | instid1(VALU_DEP_2)
	v_dual_lshlrev_b32 v1, 24, v1 :: v_dual_bitop2_b32 v5, 7, v3 bitop3:0x40
	v_bfe_u32 v15, v3, 3, 4
	v_and_b32_e32 v1, 0x80000000, v1
	s_delay_alu instid0(VALU_DEP_3) | instskip(NEXT) | instid1(VALU_DEP_3)
	v_clz_i32_u32_e32 v7, v5
	v_cmp_eq_u32_e32 vcc_lo, 0, v15
	s_delay_alu instid0(VALU_DEP_2) | instskip(NEXT) | instid1(VALU_DEP_1)
	v_min_u32_e32 v7, 32, v7
	v_subrev_nc_u32_e32 v11, 28, v7
	v_sub_nc_u32_e32 v7, 29, v7
	s_delay_alu instid0(VALU_DEP_2) | instskip(NEXT) | instid1(VALU_DEP_2)
	v_lshlrev_b32_e32 v3, v11, v3
	v_cndmask_b32_e32 v7, v15, v7, vcc_lo
	s_delay_alu instid0(VALU_DEP_2) | instskip(NEXT) | instid1(VALU_DEP_1)
	v_and_b32_e32 v3, 7, v3
	v_cndmask_b32_e32 v3, v5, v3, vcc_lo
	s_delay_alu instid0(VALU_DEP_3) | instskip(NEXT) | instid1(VALU_DEP_2)
	v_lshl_add_u32 v5, v7, 23, 0x3b800000
	v_lshlrev_b32_e32 v3, 20, v3
	s_delay_alu instid0(VALU_DEP_1) | instskip(NEXT) | instid1(VALU_DEP_1)
	v_or3_b32 v1, v1, v5, v3
	v_trunc_f32_e32 v1, v1
	s_delay_alu instid0(VALU_DEP_1) | instskip(SKIP_1) | instid1(VALU_DEP_2)
	v_mul_f32_e64 v3, 0x2f800000, |v1|
	v_ashrrev_i32_e32 v30, 31, v1
	v_floor_f32_e32 v3, v3
	s_delay_alu instid0(VALU_DEP_2) | instskip(NEXT) | instid1(VALU_DEP_2)
	v_mov_b32_e32 v31, v30
	v_fma_f32 v5, 0xcf800000, v3, |v1|
	v_cvt_u32_f32_e32 v1, v3
	s_delay_alu instid0(VALU_DEP_2) | instskip(NEXT) | instid1(VALU_DEP_2)
	v_cvt_u32_f32_e32 v3, v5
	v_xor_b32_e32 v35, v1, v30
	s_delay_alu instid0(VALU_DEP_2) | instskip(NEXT) | instid1(VALU_DEP_1)
	v_xor_b32_e32 v34, v3, v30
	v_sub_nc_u64_e32 v[30:31], v[34:35], v[30:31]
.LBB31_4476:
	s_or_b32 exec_lo, exec_lo, s9
.LBB31_4477:
	s_mov_b32 s9, -1
.LBB31_4478:
	s_mov_b32 s22, 0
.LBB31_4479:
	s_delay_alu instid0(SALU_CYCLE_1)
	s_and_b32 vcc_lo, exec_lo, s22
	s_cbranch_vccz .LBB31_4510
; %bb.4480:
	s_cmp_gt_i32 s55, 22
	s_cbranch_scc0 .LBB31_4488
; %bb.4481:
	s_cmp_lt_i32 s55, 24
	s_cbranch_scc1 .LBB31_4491
; %bb.4482:
	s_cmp_gt_i32 s55, 24
	s_cbranch_scc0 .LBB31_4492
; %bb.4483:
	global_load_u8 v1, v[32:33], off
	s_mov_b32 s9, 0
	s_mov_b32 s1, exec_lo
	s_wait_loadcnt 0x0
	v_cmpx_lt_i16_e32 0x7f, v1
	s_xor_b32 s1, exec_lo, s1
	s_cbranch_execz .LBB31_4504
; %bb.4484:
	v_cmp_ne_u16_e32 vcc_lo, 0x80, v1
	s_and_b32 s9, vcc_lo, exec_lo
	s_and_not1_saveexec_b32 s1, s1
	s_cbranch_execnz .LBB31_4505
.LBB31_4485:
	s_or_b32 exec_lo, exec_lo, s1
	v_mov_b64_e32 v[30:31], 0
	s_and_saveexec_b32 s1, s9
	s_cbranch_execz .LBB31_4487
.LBB31_4486:
	v_and_b32_e32 v3, 0xffff, v1
	s_delay_alu instid0(VALU_DEP_1) | instskip(SKIP_1) | instid1(VALU_DEP_2)
	v_dual_lshlrev_b32 v1, 24, v1 :: v_dual_bitop2_b32 v5, 3, v3 bitop3:0x40
	v_bfe_u32 v15, v3, 2, 5
	v_and_b32_e32 v1, 0x80000000, v1
	s_delay_alu instid0(VALU_DEP_3) | instskip(NEXT) | instid1(VALU_DEP_3)
	v_clz_i32_u32_e32 v7, v5
	v_cmp_eq_u32_e32 vcc_lo, 0, v15
	s_delay_alu instid0(VALU_DEP_2) | instskip(NEXT) | instid1(VALU_DEP_1)
	v_min_u32_e32 v7, 32, v7
	v_subrev_nc_u32_e32 v11, 29, v7
	v_sub_nc_u32_e32 v7, 30, v7
	s_delay_alu instid0(VALU_DEP_2) | instskip(NEXT) | instid1(VALU_DEP_2)
	v_lshlrev_b32_e32 v3, v11, v3
	v_cndmask_b32_e32 v7, v15, v7, vcc_lo
	s_delay_alu instid0(VALU_DEP_2) | instskip(NEXT) | instid1(VALU_DEP_1)
	v_and_b32_e32 v3, 3, v3
	v_cndmask_b32_e32 v3, v5, v3, vcc_lo
	s_delay_alu instid0(VALU_DEP_3) | instskip(NEXT) | instid1(VALU_DEP_2)
	v_lshl_add_u32 v5, v7, 23, 0x37800000
	v_lshlrev_b32_e32 v3, 21, v3
	s_delay_alu instid0(VALU_DEP_1) | instskip(NEXT) | instid1(VALU_DEP_1)
	v_or3_b32 v1, v1, v5, v3
	v_trunc_f32_e32 v1, v1
	s_delay_alu instid0(VALU_DEP_1) | instskip(SKIP_1) | instid1(VALU_DEP_2)
	v_mul_f32_e64 v3, 0x2f800000, |v1|
	v_ashrrev_i32_e32 v30, 31, v1
	v_floor_f32_e32 v3, v3
	s_delay_alu instid0(VALU_DEP_2) | instskip(NEXT) | instid1(VALU_DEP_2)
	v_mov_b32_e32 v31, v30
	v_fma_f32 v5, 0xcf800000, v3, |v1|
	v_cvt_u32_f32_e32 v1, v3
	s_delay_alu instid0(VALU_DEP_2) | instskip(NEXT) | instid1(VALU_DEP_2)
	v_cvt_u32_f32_e32 v3, v5
	v_xor_b32_e32 v35, v1, v30
	s_delay_alu instid0(VALU_DEP_2) | instskip(NEXT) | instid1(VALU_DEP_1)
	v_xor_b32_e32 v34, v3, v30
	v_sub_nc_u64_e32 v[30:31], v[34:35], v[30:31]
.LBB31_4487:
	s_or_b32 exec_lo, exec_lo, s1
	s_mov_b32 s1, 0
	s_branch .LBB31_4493
.LBB31_4488:
	s_mov_b32 s1, -1
                                        ; implicit-def: $vgpr30_vgpr31
	s_branch .LBB31_4499
.LBB31_4489:
	s_and_not1_saveexec_b32 s9, s9
	s_cbranch_execz .LBB31_4474
.LBB31_4490:
	v_cmp_ne_u16_e32 vcc_lo, 0, v1
	s_and_not1_b32 s22, s22, exec_lo
	s_and_b32 s23, vcc_lo, exec_lo
	s_delay_alu instid0(SALU_CYCLE_1)
	s_or_b32 s22, s22, s23
	s_or_b32 exec_lo, exec_lo, s9
	v_mov_b64_e32 v[30:31], 0
	s_and_saveexec_b32 s9, s22
	s_cbranch_execnz .LBB31_4475
	s_branch .LBB31_4476
.LBB31_4491:
	s_mov_b32 s1, -1
                                        ; implicit-def: $vgpr30_vgpr31
	s_branch .LBB31_4496
.LBB31_4492:
	s_mov_b32 s1, -1
                                        ; implicit-def: $vgpr30_vgpr31
.LBB31_4493:
	s_delay_alu instid0(SALU_CYCLE_1)
	s_and_b32 vcc_lo, exec_lo, s1
	s_cbranch_vccz .LBB31_4495
; %bb.4494:
	global_load_u8 v1, v[32:33], off
	s_wait_loadcnt 0x0
	v_lshlrev_b32_e32 v1, 24, v1
	s_delay_alu instid0(VALU_DEP_1) | instskip(NEXT) | instid1(VALU_DEP_1)
	v_and_b32_e32 v3, 0x7f000000, v1
	v_clz_i32_u32_e32 v5, v3
	v_add_nc_u32_e32 v11, 0x1000000, v3
	v_cmp_ne_u32_e32 vcc_lo, 0, v3
	s_delay_alu instid0(VALU_DEP_3) | instskip(NEXT) | instid1(VALU_DEP_1)
	v_min_u32_e32 v5, 32, v5
	v_sub_nc_u32_e64 v5, v5, 4 clamp
	s_delay_alu instid0(VALU_DEP_1) | instskip(NEXT) | instid1(VALU_DEP_1)
	v_dual_lshlrev_b32 v7, v5, v3 :: v_dual_lshlrev_b32 v5, 23, v5
	v_lshrrev_b32_e32 v7, 4, v7
	s_delay_alu instid0(VALU_DEP_1) | instskip(NEXT) | instid1(VALU_DEP_1)
	v_dual_sub_nc_u32 v5, v7, v5 :: v_dual_ashrrev_i32 v7, 8, v11
	v_add_nc_u32_e32 v5, 0x3c000000, v5
	s_delay_alu instid0(VALU_DEP_1) | instskip(NEXT) | instid1(VALU_DEP_1)
	v_and_or_b32 v5, 0x7f800000, v7, v5
	v_cndmask_b32_e32 v3, 0, v5, vcc_lo
	s_delay_alu instid0(VALU_DEP_1) | instskip(NEXT) | instid1(VALU_DEP_1)
	v_and_or_b32 v1, 0x80000000, v1, v3
	v_trunc_f32_e32 v1, v1
	s_delay_alu instid0(VALU_DEP_1) | instskip(SKIP_1) | instid1(VALU_DEP_2)
	v_mul_f32_e64 v3, 0x2f800000, |v1|
	v_ashrrev_i32_e32 v30, 31, v1
	v_floor_f32_e32 v3, v3
	s_delay_alu instid0(VALU_DEP_2) | instskip(NEXT) | instid1(VALU_DEP_2)
	v_mov_b32_e32 v31, v30
	v_fma_f32 v5, 0xcf800000, v3, |v1|
	v_cvt_u32_f32_e32 v1, v3
	s_delay_alu instid0(VALU_DEP_2) | instskip(NEXT) | instid1(VALU_DEP_2)
	v_cvt_u32_f32_e32 v3, v5
	v_xor_b32_e32 v35, v1, v30
	s_delay_alu instid0(VALU_DEP_2) | instskip(NEXT) | instid1(VALU_DEP_1)
	v_xor_b32_e32 v34, v3, v30
	v_sub_nc_u64_e32 v[30:31], v[34:35], v[30:31]
.LBB31_4495:
	s_mov_b32 s1, 0
.LBB31_4496:
	s_delay_alu instid0(SALU_CYCLE_1)
	s_and_not1_b32 vcc_lo, exec_lo, s1
	s_cbranch_vccnz .LBB31_4498
; %bb.4497:
	global_load_u8 v1, v[32:33], off
	s_wait_loadcnt 0x0
	v_lshlrev_b32_e32 v3, 25, v1
	v_lshlrev_b16 v1, 8, v1
	s_delay_alu instid0(VALU_DEP_1) | instskip(SKIP_1) | instid1(VALU_DEP_2)
	v_and_or_b32 v7, 0x7f00, v1, 0.5
	v_bfe_i32 v1, v1, 0, 16
	v_add_f32_e32 v7, -0.5, v7
	v_lshrrev_b32_e32 v5, 4, v3
	v_cmp_gt_u32_e32 vcc_lo, 0x8000000, v3
	s_delay_alu instid0(VALU_DEP_2) | instskip(NEXT) | instid1(VALU_DEP_1)
	v_or_b32_e32 v5, 0x70000000, v5
	v_mul_f32_e32 v5, 0x7800000, v5
	s_delay_alu instid0(VALU_DEP_1) | instskip(NEXT) | instid1(VALU_DEP_1)
	v_cndmask_b32_e32 v3, v5, v7, vcc_lo
	v_and_or_b32 v1, 0x80000000, v1, v3
	s_delay_alu instid0(VALU_DEP_1) | instskip(NEXT) | instid1(VALU_DEP_1)
	v_trunc_f32_e32 v1, v1
	v_mul_f32_e64 v3, 0x2f800000, |v1|
	v_ashrrev_i32_e32 v30, 31, v1
	s_delay_alu instid0(VALU_DEP_2) | instskip(NEXT) | instid1(VALU_DEP_2)
	v_floor_f32_e32 v3, v3
	v_mov_b32_e32 v31, v30
	s_delay_alu instid0(VALU_DEP_2) | instskip(SKIP_1) | instid1(VALU_DEP_2)
	v_fma_f32 v5, 0xcf800000, v3, |v1|
	v_cvt_u32_f32_e32 v1, v3
	v_cvt_u32_f32_e32 v3, v5
	s_delay_alu instid0(VALU_DEP_2) | instskip(NEXT) | instid1(VALU_DEP_2)
	v_xor_b32_e32 v35, v1, v30
	v_xor_b32_e32 v34, v3, v30
	s_delay_alu instid0(VALU_DEP_1)
	v_sub_nc_u64_e32 v[30:31], v[34:35], v[30:31]
.LBB31_4498:
	s_mov_b32 s1, 0
	s_mov_b32 s9, -1
.LBB31_4499:
	s_and_not1_b32 vcc_lo, exec_lo, s1
	s_mov_b32 s1, 0
	s_cbranch_vccnz .LBB31_4510
; %bb.4500:
	s_cmp_gt_i32 s55, 14
	s_cbranch_scc0 .LBB31_4503
; %bb.4501:
	s_cmp_eq_u32 s55, 15
	s_cbranch_scc0 .LBB31_4506
; %bb.4502:
	global_load_u16 v1, v[32:33], off
	s_mov_b32 s0, 0
	s_mov_b32 s9, -1
	s_wait_loadcnt 0x0
	v_lshlrev_b32_e32 v1, 16, v1
	s_delay_alu instid0(VALU_DEP_1) | instskip(NEXT) | instid1(VALU_DEP_1)
	v_trunc_f32_e32 v1, v1
	v_mul_f32_e64 v3, 0x2f800000, |v1|
	v_ashrrev_i32_e32 v30, 31, v1
	s_delay_alu instid0(VALU_DEP_2) | instskip(NEXT) | instid1(VALU_DEP_2)
	v_floor_f32_e32 v3, v3
	v_mov_b32_e32 v31, v30
	s_delay_alu instid0(VALU_DEP_2) | instskip(SKIP_1) | instid1(VALU_DEP_2)
	v_fma_f32 v5, 0xcf800000, v3, |v1|
	v_cvt_u32_f32_e32 v1, v3
	v_cvt_u32_f32_e32 v3, v5
	s_delay_alu instid0(VALU_DEP_2) | instskip(NEXT) | instid1(VALU_DEP_2)
	v_xor_b32_e32 v35, v1, v30
	v_xor_b32_e32 v34, v3, v30
	s_delay_alu instid0(VALU_DEP_1)
	v_sub_nc_u64_e32 v[30:31], v[34:35], v[30:31]
	s_branch .LBB31_4508
.LBB31_4503:
	s_mov_b32 s1, -1
	s_branch .LBB31_4507
.LBB31_4504:
	s_and_not1_saveexec_b32 s1, s1
	s_cbranch_execz .LBB31_4485
.LBB31_4505:
	v_cmp_ne_u16_e32 vcc_lo, 0, v1
	s_and_not1_b32 s9, s9, exec_lo
	s_and_b32 s22, vcc_lo, exec_lo
	s_delay_alu instid0(SALU_CYCLE_1)
	s_or_b32 s9, s9, s22
	s_or_b32 exec_lo, exec_lo, s1
	v_mov_b64_e32 v[30:31], 0
	s_and_saveexec_b32 s1, s9
	s_cbranch_execnz .LBB31_4486
	s_branch .LBB31_4487
.LBB31_4506:
	s_mov_b32 s0, -1
.LBB31_4507:
                                        ; implicit-def: $vgpr30_vgpr31
.LBB31_4508:
	s_and_b32 vcc_lo, exec_lo, s1
	s_mov_b32 s1, 0
	s_cbranch_vccz .LBB31_4510
; %bb.4509:
	s_cmp_lg_u32 s55, 11
	s_mov_b32 s1, -1
	s_cselect_b32 s0, -1, 0
.LBB31_4510:
	s_delay_alu instid0(SALU_CYCLE_1)
	s_and_b32 vcc_lo, exec_lo, s0
	s_mov_b32 s54, s52
	s_cbranch_vccnz .LBB31_4575
; %bb.4511:
	s_and_not1_b32 vcc_lo, exec_lo, s1
	s_cbranch_vccnz .LBB31_4513
.LBB31_4512:
	global_load_u8 v1, v[32:33], off
	s_mov_b32 s0, 0
	s_mov_b32 s9, -1
	s_wait_loadcnt 0x1
	v_mov_b32_e32 v31, s0
	s_wait_loadcnt 0x0
	v_cmp_ne_u16_e32 vcc_lo, 0, v1
	v_cndmask_b32_e64 v30, 0, 1, vcc_lo
.LBB31_4513:
	s_mov_b32 s0, 0
.LBB31_4514:
	s_delay_alu instid0(SALU_CYCLE_1)
	s_and_b32 vcc_lo, exec_lo, s0
	s_cbranch_vccz .LBB31_4563
; %bb.4515:
	s_cmp_lt_i32 s55, 5
	s_cbranch_scc1 .LBB31_4520
; %bb.4516:
	s_cmp_lt_i32 s55, 8
	s_cbranch_scc1 .LBB31_4521
	;; [unrolled: 3-line block ×3, first 2 shown]
; %bb.4518:
	s_cmp_gt_i32 s55, 9
	s_cbranch_scc0 .LBB31_4523
; %bb.4519:
	s_wait_loadcnt 0x0
	global_load_b64 v[30:31], v[32:33], off
	s_mov_b32 s0, 0
	s_wait_loadcnt 0x0
	v_trunc_f64_e32 v[30:31], v[30:31]
	s_delay_alu instid0(VALU_DEP_1) | instskip(NEXT) | instid1(VALU_DEP_1)
	v_ldexp_f64 v[34:35], v[30:31], 0xffffffe0
	v_floor_f64_e32 v[34:35], v[34:35]
	s_delay_alu instid0(VALU_DEP_1) | instskip(SKIP_1) | instid1(VALU_DEP_2)
	v_fmamk_f64 v[36:37], v[34:35], 0xc1f00000, v[30:31]
	v_cvt_i32_f64_e32 v31, v[34:35]
	v_cvt_u32_f64_e32 v30, v[36:37]
	s_branch .LBB31_4524
.LBB31_4520:
	s_mov_b32 s0, -1
                                        ; implicit-def: $vgpr30_vgpr31
	s_branch .LBB31_4542
.LBB31_4521:
	s_mov_b32 s0, -1
                                        ; implicit-def: $vgpr30_vgpr31
	s_branch .LBB31_4530
.LBB31_4522:
	s_mov_b32 s0, -1
                                        ; implicit-def: $vgpr30_vgpr31
	s_branch .LBB31_4527
.LBB31_4523:
	s_mov_b32 s0, -1
                                        ; implicit-def: $vgpr30_vgpr31
.LBB31_4524:
	s_delay_alu instid0(SALU_CYCLE_1)
	s_and_not1_b32 vcc_lo, exec_lo, s0
	s_cbranch_vccnz .LBB31_4526
; %bb.4525:
	global_load_b32 v1, v[32:33], off
	s_wait_loadcnt 0x0
	v_trunc_f32_e32 v1, v1
	s_delay_alu instid0(VALU_DEP_1) | instskip(SKIP_1) | instid1(VALU_DEP_2)
	v_mul_f32_e64 v3, 0x2f800000, |v1|
	v_ashrrev_i32_e32 v30, 31, v1
	v_floor_f32_e32 v3, v3
	s_delay_alu instid0(VALU_DEP_1) | instskip(SKIP_1) | instid1(VALU_DEP_4)
	v_fma_f32 v5, 0xcf800000, v3, |v1|
	v_cvt_u32_f32_e32 v1, v3
	v_mov_b32_e32 v31, v30
	s_delay_alu instid0(VALU_DEP_3) | instskip(NEXT) | instid1(VALU_DEP_3)
	v_cvt_u32_f32_e32 v3, v5
	v_xor_b32_e32 v35, v1, v30
	s_delay_alu instid0(VALU_DEP_2) | instskip(NEXT) | instid1(VALU_DEP_1)
	v_xor_b32_e32 v34, v3, v30
	v_sub_nc_u64_e32 v[30:31], v[34:35], v[30:31]
.LBB31_4526:
	s_mov_b32 s0, 0
.LBB31_4527:
	s_delay_alu instid0(SALU_CYCLE_1)
	s_and_not1_b32 vcc_lo, exec_lo, s0
	s_cbranch_vccnz .LBB31_4529
; %bb.4528:
	global_load_b32 v1, v[32:33], off
	s_wait_loadcnt 0x0
	v_cvt_f32_f16_e32 v1, v1
	s_delay_alu instid0(VALU_DEP_1) | instskip(NEXT) | instid1(VALU_DEP_1)
	v_cvt_i32_f32_e32 v30, v1
	v_ashrrev_i32_e32 v31, 31, v30
.LBB31_4529:
	s_mov_b32 s0, 0
.LBB31_4530:
	s_delay_alu instid0(SALU_CYCLE_1)
	s_and_not1_b32 vcc_lo, exec_lo, s0
	s_cbranch_vccnz .LBB31_4541
; %bb.4531:
	s_cmp_lt_i32 s55, 6
	s_cbranch_scc1 .LBB31_4534
; %bb.4532:
	s_cmp_gt_i32 s55, 6
	s_cbranch_scc0 .LBB31_4535
; %bb.4533:
	s_wait_loadcnt 0x0
	global_load_b64 v[30:31], v[32:33], off
	s_mov_b32 s0, 0
	s_wait_loadcnt 0x0
	v_trunc_f64_e32 v[30:31], v[30:31]
	s_delay_alu instid0(VALU_DEP_1) | instskip(NEXT) | instid1(VALU_DEP_1)
	v_ldexp_f64 v[34:35], v[30:31], 0xffffffe0
	v_floor_f64_e32 v[34:35], v[34:35]
	s_delay_alu instid0(VALU_DEP_1) | instskip(SKIP_1) | instid1(VALU_DEP_2)
	v_fmamk_f64 v[36:37], v[34:35], 0xc1f00000, v[30:31]
	v_cvt_i32_f64_e32 v31, v[34:35]
	v_cvt_u32_f64_e32 v30, v[36:37]
	s_branch .LBB31_4536
.LBB31_4534:
	s_mov_b32 s0, -1
                                        ; implicit-def: $vgpr30_vgpr31
	s_branch .LBB31_4539
.LBB31_4535:
	s_mov_b32 s0, -1
                                        ; implicit-def: $vgpr30_vgpr31
.LBB31_4536:
	s_delay_alu instid0(SALU_CYCLE_1)
	s_and_not1_b32 vcc_lo, exec_lo, s0
	s_cbranch_vccnz .LBB31_4538
; %bb.4537:
	global_load_b32 v1, v[32:33], off
	s_wait_loadcnt 0x0
	v_trunc_f32_e32 v1, v1
	s_delay_alu instid0(VALU_DEP_1) | instskip(SKIP_1) | instid1(VALU_DEP_2)
	v_mul_f32_e64 v3, 0x2f800000, |v1|
	v_ashrrev_i32_e32 v30, 31, v1
	v_floor_f32_e32 v3, v3
	s_delay_alu instid0(VALU_DEP_1) | instskip(SKIP_1) | instid1(VALU_DEP_4)
	v_fma_f32 v5, 0xcf800000, v3, |v1|
	v_cvt_u32_f32_e32 v1, v3
	v_mov_b32_e32 v31, v30
	s_delay_alu instid0(VALU_DEP_3) | instskip(NEXT) | instid1(VALU_DEP_3)
	v_cvt_u32_f32_e32 v3, v5
	v_xor_b32_e32 v35, v1, v30
	s_delay_alu instid0(VALU_DEP_2) | instskip(NEXT) | instid1(VALU_DEP_1)
	v_xor_b32_e32 v34, v3, v30
	v_sub_nc_u64_e32 v[30:31], v[34:35], v[30:31]
.LBB31_4538:
	s_mov_b32 s0, 0
.LBB31_4539:
	s_delay_alu instid0(SALU_CYCLE_1)
	s_and_not1_b32 vcc_lo, exec_lo, s0
	s_cbranch_vccnz .LBB31_4541
; %bb.4540:
	global_load_u16 v1, v[32:33], off
	s_wait_loadcnt 0x0
	v_cvt_f32_f16_e32 v1, v1
	s_delay_alu instid0(VALU_DEP_1) | instskip(NEXT) | instid1(VALU_DEP_1)
	v_cvt_i32_f32_e32 v30, v1
	v_ashrrev_i32_e32 v31, 31, v30
.LBB31_4541:
	s_mov_b32 s0, 0
.LBB31_4542:
	s_delay_alu instid0(SALU_CYCLE_1)
	s_and_not1_b32 vcc_lo, exec_lo, s0
	s_cbranch_vccnz .LBB31_4562
; %bb.4543:
	s_cmp_lt_i32 s55, 2
	s_cbranch_scc1 .LBB31_4547
; %bb.4544:
	s_cmp_lt_i32 s55, 3
	s_cbranch_scc1 .LBB31_4548
; %bb.4545:
	s_cmp_gt_i32 s55, 3
	s_cbranch_scc0 .LBB31_4549
; %bb.4546:
	s_wait_loadcnt 0x0
	global_load_b64 v[30:31], v[32:33], off
	s_mov_b32 s0, 0
	s_branch .LBB31_4550
.LBB31_4547:
	s_mov_b32 s0, -1
                                        ; implicit-def: $vgpr30_vgpr31
	s_branch .LBB31_4556
.LBB31_4548:
	s_mov_b32 s0, -1
                                        ; implicit-def: $vgpr30_vgpr31
	s_branch .LBB31_4553
.LBB31_4549:
	s_mov_b32 s0, -1
                                        ; implicit-def: $vgpr30_vgpr31
.LBB31_4550:
	s_delay_alu instid0(SALU_CYCLE_1)
	s_and_not1_b32 vcc_lo, exec_lo, s0
	s_cbranch_vccnz .LBB31_4552
; %bb.4551:
	s_wait_loadcnt 0x0
	global_load_b32 v30, v[32:33], off
	s_wait_loadcnt 0x0
	v_ashrrev_i32_e32 v31, 31, v30
.LBB31_4552:
	s_mov_b32 s0, 0
.LBB31_4553:
	s_delay_alu instid0(SALU_CYCLE_1)
	s_and_not1_b32 vcc_lo, exec_lo, s0
	s_cbranch_vccnz .LBB31_4555
; %bb.4554:
	global_load_u16 v1, v[32:33], off
	s_wait_loadcnt 0x0
	v_bfe_i32 v30, v1, 0, 16
	s_delay_alu instid0(VALU_DEP_1)
	v_ashrrev_i32_e32 v31, 31, v30
.LBB31_4555:
	s_mov_b32 s0, 0
.LBB31_4556:
	s_delay_alu instid0(SALU_CYCLE_1)
	s_and_not1_b32 vcc_lo, exec_lo, s0
	s_cbranch_vccnz .LBB31_4562
; %bb.4557:
	s_cmp_gt_i32 s55, 0
	s_mov_b32 s0, 0
	s_cbranch_scc0 .LBB31_4559
; %bb.4558:
	global_load_i8 v1, v[32:33], off
	s_wait_loadcnt 0x0
	v_bfe_i32 v30, v1, 0, 16
	s_delay_alu instid0(VALU_DEP_1)
	v_ashrrev_i32_e32 v31, 31, v30
	s_branch .LBB31_4560
.LBB31_4559:
	s_mov_b32 s0, -1
                                        ; implicit-def: $vgpr30_vgpr31
.LBB31_4560:
	s_delay_alu instid0(SALU_CYCLE_1)
	s_and_not1_b32 vcc_lo, exec_lo, s0
	s_cbranch_vccnz .LBB31_4562
; %bb.4561:
	global_load_u8 v1, v[32:33], off
	s_mov_b32 s0, 0
	s_wait_loadcnt 0x1
	v_mov_b32_e32 v31, s0
	s_wait_loadcnt 0x0
	v_and_b32_e32 v30, 0xffff, v1
.LBB31_4562:
	s_mov_b32 s9, -1
.LBB31_4563:
	s_delay_alu instid0(SALU_CYCLE_1)
	s_and_not1_b32 vcc_lo, exec_lo, s9
	s_cbranch_vccnz .LBB31_5083
; %bb.4564:
	v_mov_b32_e32 v29, 0
	s_cmp_lt_i32 s56, 11
	s_wait_xcnt 0x0
	s_delay_alu instid0(VALU_DEP_1)
	v_add_nc_u64_e32 v[32:33], s[10:11], v[28:29]
	s_cbranch_scc1 .LBB31_4571
; %bb.4565:
	s_cmp_gt_i32 s56, 25
	s_mov_b32 s1, 0
	s_cbranch_scc0 .LBB31_4572
; %bb.4566:
	s_cmp_gt_i32 s56, 28
	s_cbranch_scc0 .LBB31_4573
; %bb.4567:
	s_cmp_gt_i32 s56, 43
	;; [unrolled: 3-line block ×3, first 2 shown]
	s_cbranch_scc0 .LBB31_4576
; %bb.4569:
	s_cmp_eq_u32 s56, 46
	s_mov_b32 s22, 0
	s_cbranch_scc0 .LBB31_4578
; %bb.4570:
	global_load_b32 v1, v[32:33], off
	s_mov_b32 s0, 0
	s_mov_b32 s9, -1
	s_wait_loadcnt 0x0
	v_lshlrev_b32_e32 v1, 16, v1
	s_delay_alu instid0(VALU_DEP_1) | instskip(NEXT) | instid1(VALU_DEP_1)
	v_trunc_f32_e32 v1, v1
	v_mul_f32_e64 v3, 0x2f800000, |v1|
	v_ashrrev_i32_e32 v28, 31, v1
	s_delay_alu instid0(VALU_DEP_2) | instskip(NEXT) | instid1(VALU_DEP_2)
	v_floor_f32_e32 v3, v3
	v_mov_b32_e32 v29, v28
	s_delay_alu instid0(VALU_DEP_2) | instskip(SKIP_1) | instid1(VALU_DEP_2)
	v_fma_f32 v5, 0xcf800000, v3, |v1|
	v_cvt_u32_f32_e32 v1, v3
	v_cvt_u32_f32_e32 v3, v5
	s_delay_alu instid0(VALU_DEP_2) | instskip(NEXT) | instid1(VALU_DEP_2)
	v_xor_b32_e32 v35, v1, v28
	v_xor_b32_e32 v34, v3, v28
	s_delay_alu instid0(VALU_DEP_1)
	v_sub_nc_u64_e32 v[28:29], v[34:35], v[28:29]
	s_branch .LBB31_4580
.LBB31_4571:
	s_mov_b32 s0, -1
	s_mov_b32 s9, 0
                                        ; implicit-def: $vgpr28_vgpr29
	s_branch .LBB31_4642
.LBB31_4572:
	s_mov_b32 s22, -1
	s_mov_b32 s9, 0
	s_mov_b32 s0, 0
                                        ; implicit-def: $vgpr28_vgpr29
	s_branch .LBB31_4607
.LBB31_4573:
	s_mov_b32 s22, -1
	s_mov_b32 s9, 0
	s_mov_b32 s0, 0
                                        ; implicit-def: $vgpr28_vgpr29
	s_branch .LBB31_4590
.LBB31_4574:
	s_mov_b32 s22, -1
	s_mov_b32 s9, 0
	s_mov_b32 s0, 0
                                        ; implicit-def: $vgpr28_vgpr29
	s_branch .LBB31_4585
.LBB31_4575:
	s_or_b32 s54, s52, exec_lo
	s_trap 2
	s_cbranch_execz .LBB31_4512
	s_branch .LBB31_4513
.LBB31_4576:
	s_mov_b32 s22, -1
	s_mov_b32 s9, 0
	s_mov_b32 s0, 0
	s_branch .LBB31_4579
.LBB31_4577:
	s_or_b32 s43, s43, exec_lo
	s_trap 2
                                        ; implicit-def: $vgpr38_vgpr39
                                        ; implicit-def: $vgpr36_vgpr37
                                        ; implicit-def: $vgpr34_vgpr35
                                        ; implicit-def: $vgpr44_vgpr45
                                        ; implicit-def: $vgpr6
                                        ; implicit-def: $vgpr4
                                        ; implicit-def: $vgpr24
                                        ; implicit-def: $vgpr22
                                        ; implicit-def: $vgpr28
                                        ; implicit-def: $vgpr26
                                        ; implicit-def: $vgpr2
                                        ; implicit-def: $vgpr30
                                        ; implicit-def: $vgpr14
                                        ; implicit-def: $vgpr10
                                        ; implicit-def: $vgpr18
                                        ; implicit-def: $vgpr16
                                        ; implicit-def: $vgpr0
                                        ; implicit-def: $vgpr20
                                        ; implicit-def: $vgpr8_vgpr9
                                        ; implicit-def: $vgpr12_vgpr13
	s_branch .LBB31_4410
.LBB31_4578:
	s_mov_b32 s0, -1
	s_mov_b32 s9, 0
.LBB31_4579:
                                        ; implicit-def: $vgpr28_vgpr29
.LBB31_4580:
	s_and_b32 vcc_lo, exec_lo, s22
	s_cbranch_vccz .LBB31_4584
; %bb.4581:
	s_cmp_eq_u32 s56, 44
	s_cbranch_scc0 .LBB31_4583
; %bb.4582:
	global_load_u8 v1, v[32:33], off
	s_mov_b32 s0, 0
	s_mov_b32 s9, -1
	s_wait_loadcnt 0x0
	v_lshlrev_b32_e32 v3, 23, v1
	v_cmp_ne_u32_e32 vcc_lo, 0, v1
	s_delay_alu instid0(VALU_DEP_2) | instskip(NEXT) | instid1(VALU_DEP_1)
	v_trunc_f32_e32 v3, v3
	v_mul_f32_e64 v5, 0x2f800000, |v3|
	v_ashrrev_i32_e32 v28, 31, v3
	s_delay_alu instid0(VALU_DEP_2) | instskip(NEXT) | instid1(VALU_DEP_2)
	v_floor_f32_e32 v5, v5
	v_mov_b32_e32 v29, v28
	s_delay_alu instid0(VALU_DEP_2) | instskip(SKIP_1) | instid1(VALU_DEP_2)
	v_fma_f32 v7, 0xcf800000, v5, |v3|
	v_cvt_u32_f32_e32 v3, v5
	v_cvt_u32_f32_e32 v5, v7
	s_delay_alu instid0(VALU_DEP_2) | instskip(NEXT) | instid1(VALU_DEP_2)
	v_xor_b32_e32 v35, v3, v28
	v_xor_b32_e32 v34, v5, v28
	s_delay_alu instid0(VALU_DEP_1) | instskip(NEXT) | instid1(VALU_DEP_1)
	v_sub_nc_u64_e32 v[28:29], v[34:35], v[28:29]
	v_dual_cndmask_b32 v29, 0, v29 :: v_dual_cndmask_b32 v28, 0, v28
	s_branch .LBB31_4584
.LBB31_4583:
	s_mov_b32 s0, -1
                                        ; implicit-def: $vgpr28_vgpr29
.LBB31_4584:
	s_mov_b32 s22, 0
.LBB31_4585:
	s_delay_alu instid0(SALU_CYCLE_1)
	s_and_b32 vcc_lo, exec_lo, s22
	s_cbranch_vccz .LBB31_4589
; %bb.4586:
	s_cmp_eq_u32 s56, 29
	s_cbranch_scc0 .LBB31_4588
; %bb.4587:
	global_load_b64 v[28:29], v[32:33], off
	s_mov_b32 s0, 0
	s_mov_b32 s9, -1
	s_branch .LBB31_4589
.LBB31_4588:
	s_mov_b32 s0, -1
                                        ; implicit-def: $vgpr28_vgpr29
.LBB31_4589:
	s_mov_b32 s22, 0
.LBB31_4590:
	s_delay_alu instid0(SALU_CYCLE_1)
	s_and_b32 vcc_lo, exec_lo, s22
	s_cbranch_vccz .LBB31_4606
; %bb.4591:
	s_cmp_lt_i32 s56, 27
	s_cbranch_scc1 .LBB31_4594
; %bb.4592:
	s_cmp_gt_i32 s56, 27
	s_cbranch_scc0 .LBB31_4595
; %bb.4593:
	s_wait_loadcnt 0x0
	global_load_b32 v28, v[32:33], off
	v_mov_b32_e32 v29, 0
	s_mov_b32 s9, 0
	s_branch .LBB31_4596
.LBB31_4594:
	s_mov_b32 s9, -1
                                        ; implicit-def: $vgpr28_vgpr29
	s_branch .LBB31_4599
.LBB31_4595:
	s_mov_b32 s9, -1
                                        ; implicit-def: $vgpr28_vgpr29
.LBB31_4596:
	s_delay_alu instid0(SALU_CYCLE_1)
	s_and_not1_b32 vcc_lo, exec_lo, s9
	s_cbranch_vccnz .LBB31_4598
; %bb.4597:
	global_load_u16 v1, v[32:33], off
	s_mov_b32 s9, 0
	s_wait_loadcnt 0x1
	v_mov_b32_e32 v29, s9
	s_wait_loadcnt 0x0
	v_and_b32_e32 v28, 0xffff, v1
.LBB31_4598:
	s_mov_b32 s9, 0
.LBB31_4599:
	s_delay_alu instid0(SALU_CYCLE_1)
	s_and_not1_b32 vcc_lo, exec_lo, s9
	s_cbranch_vccnz .LBB31_4605
; %bb.4600:
	global_load_u8 v1, v[32:33], off
	s_mov_b32 s22, 0
	s_mov_b32 s9, exec_lo
	s_wait_loadcnt 0x0
	v_cmpx_lt_i16_e32 0x7f, v1
	s_xor_b32 s9, exec_lo, s9
	s_cbranch_execz .LBB31_4617
; %bb.4601:
	v_cmp_ne_u16_e32 vcc_lo, 0x80, v1
	s_and_b32 s22, vcc_lo, exec_lo
	s_and_not1_saveexec_b32 s9, s9
	s_cbranch_execnz .LBB31_4618
.LBB31_4602:
	s_or_b32 exec_lo, exec_lo, s9
	v_mov_b64_e32 v[28:29], 0
	s_and_saveexec_b32 s9, s22
	s_cbranch_execz .LBB31_4604
.LBB31_4603:
	v_and_b32_e32 v3, 0xffff, v1
	s_delay_alu instid0(VALU_DEP_1) | instskip(SKIP_1) | instid1(VALU_DEP_2)
	v_dual_lshlrev_b32 v1, 24, v1 :: v_dual_bitop2_b32 v5, 7, v3 bitop3:0x40
	v_bfe_u32 v15, v3, 3, 4
	v_and_b32_e32 v1, 0x80000000, v1
	s_delay_alu instid0(VALU_DEP_3) | instskip(NEXT) | instid1(VALU_DEP_3)
	v_clz_i32_u32_e32 v7, v5
	v_cmp_eq_u32_e32 vcc_lo, 0, v15
	s_delay_alu instid0(VALU_DEP_2) | instskip(NEXT) | instid1(VALU_DEP_1)
	v_min_u32_e32 v7, 32, v7
	v_subrev_nc_u32_e32 v11, 28, v7
	v_sub_nc_u32_e32 v7, 29, v7
	s_delay_alu instid0(VALU_DEP_2) | instskip(NEXT) | instid1(VALU_DEP_2)
	v_lshlrev_b32_e32 v3, v11, v3
	v_cndmask_b32_e32 v7, v15, v7, vcc_lo
	s_delay_alu instid0(VALU_DEP_2) | instskip(NEXT) | instid1(VALU_DEP_1)
	v_and_b32_e32 v3, 7, v3
	v_cndmask_b32_e32 v3, v5, v3, vcc_lo
	s_delay_alu instid0(VALU_DEP_3) | instskip(NEXT) | instid1(VALU_DEP_2)
	v_lshl_add_u32 v5, v7, 23, 0x3b800000
	v_lshlrev_b32_e32 v3, 20, v3
	s_delay_alu instid0(VALU_DEP_1) | instskip(NEXT) | instid1(VALU_DEP_1)
	v_or3_b32 v1, v1, v5, v3
	v_trunc_f32_e32 v1, v1
	s_delay_alu instid0(VALU_DEP_1) | instskip(SKIP_1) | instid1(VALU_DEP_2)
	v_mul_f32_e64 v3, 0x2f800000, |v1|
	v_ashrrev_i32_e32 v28, 31, v1
	v_floor_f32_e32 v3, v3
	s_delay_alu instid0(VALU_DEP_2) | instskip(NEXT) | instid1(VALU_DEP_2)
	v_mov_b32_e32 v29, v28
	v_fma_f32 v5, 0xcf800000, v3, |v1|
	v_cvt_u32_f32_e32 v1, v3
	s_delay_alu instid0(VALU_DEP_2) | instskip(NEXT) | instid1(VALU_DEP_2)
	v_cvt_u32_f32_e32 v3, v5
	v_xor_b32_e32 v35, v1, v28
	s_delay_alu instid0(VALU_DEP_2) | instskip(NEXT) | instid1(VALU_DEP_1)
	v_xor_b32_e32 v34, v3, v28
	v_sub_nc_u64_e32 v[28:29], v[34:35], v[28:29]
.LBB31_4604:
	s_or_b32 exec_lo, exec_lo, s9
.LBB31_4605:
	s_mov_b32 s9, -1
.LBB31_4606:
	s_mov_b32 s22, 0
.LBB31_4607:
	s_delay_alu instid0(SALU_CYCLE_1)
	s_and_b32 vcc_lo, exec_lo, s22
	s_cbranch_vccz .LBB31_4638
; %bb.4608:
	s_cmp_gt_i32 s56, 22
	s_cbranch_scc0 .LBB31_4616
; %bb.4609:
	s_cmp_lt_i32 s56, 24
	s_cbranch_scc1 .LBB31_4619
; %bb.4610:
	s_cmp_gt_i32 s56, 24
	s_cbranch_scc0 .LBB31_4620
; %bb.4611:
	global_load_u8 v1, v[32:33], off
	s_mov_b32 s9, 0
	s_mov_b32 s1, exec_lo
	s_wait_loadcnt 0x0
	v_cmpx_lt_i16_e32 0x7f, v1
	s_xor_b32 s1, exec_lo, s1
	s_cbranch_execz .LBB31_4632
; %bb.4612:
	v_cmp_ne_u16_e32 vcc_lo, 0x80, v1
	s_and_b32 s9, vcc_lo, exec_lo
	s_and_not1_saveexec_b32 s1, s1
	s_cbranch_execnz .LBB31_4633
.LBB31_4613:
	s_or_b32 exec_lo, exec_lo, s1
	v_mov_b64_e32 v[28:29], 0
	s_and_saveexec_b32 s1, s9
	s_cbranch_execz .LBB31_4615
.LBB31_4614:
	v_and_b32_e32 v3, 0xffff, v1
	s_delay_alu instid0(VALU_DEP_1) | instskip(SKIP_1) | instid1(VALU_DEP_2)
	v_dual_lshlrev_b32 v1, 24, v1 :: v_dual_bitop2_b32 v5, 3, v3 bitop3:0x40
	v_bfe_u32 v15, v3, 2, 5
	v_and_b32_e32 v1, 0x80000000, v1
	s_delay_alu instid0(VALU_DEP_3) | instskip(NEXT) | instid1(VALU_DEP_3)
	v_clz_i32_u32_e32 v7, v5
	v_cmp_eq_u32_e32 vcc_lo, 0, v15
	s_delay_alu instid0(VALU_DEP_2) | instskip(NEXT) | instid1(VALU_DEP_1)
	v_min_u32_e32 v7, 32, v7
	v_subrev_nc_u32_e32 v11, 29, v7
	v_sub_nc_u32_e32 v7, 30, v7
	s_delay_alu instid0(VALU_DEP_2) | instskip(NEXT) | instid1(VALU_DEP_2)
	v_lshlrev_b32_e32 v3, v11, v3
	v_cndmask_b32_e32 v7, v15, v7, vcc_lo
	s_delay_alu instid0(VALU_DEP_2) | instskip(NEXT) | instid1(VALU_DEP_1)
	v_and_b32_e32 v3, 3, v3
	v_cndmask_b32_e32 v3, v5, v3, vcc_lo
	s_delay_alu instid0(VALU_DEP_3) | instskip(NEXT) | instid1(VALU_DEP_2)
	v_lshl_add_u32 v5, v7, 23, 0x37800000
	v_lshlrev_b32_e32 v3, 21, v3
	s_delay_alu instid0(VALU_DEP_1) | instskip(NEXT) | instid1(VALU_DEP_1)
	v_or3_b32 v1, v1, v5, v3
	v_trunc_f32_e32 v1, v1
	s_delay_alu instid0(VALU_DEP_1) | instskip(SKIP_1) | instid1(VALU_DEP_2)
	v_mul_f32_e64 v3, 0x2f800000, |v1|
	v_ashrrev_i32_e32 v28, 31, v1
	v_floor_f32_e32 v3, v3
	s_delay_alu instid0(VALU_DEP_2) | instskip(NEXT) | instid1(VALU_DEP_2)
	v_mov_b32_e32 v29, v28
	v_fma_f32 v5, 0xcf800000, v3, |v1|
	v_cvt_u32_f32_e32 v1, v3
	s_delay_alu instid0(VALU_DEP_2) | instskip(NEXT) | instid1(VALU_DEP_2)
	v_cvt_u32_f32_e32 v3, v5
	v_xor_b32_e32 v35, v1, v28
	s_delay_alu instid0(VALU_DEP_2) | instskip(NEXT) | instid1(VALU_DEP_1)
	v_xor_b32_e32 v34, v3, v28
	v_sub_nc_u64_e32 v[28:29], v[34:35], v[28:29]
.LBB31_4615:
	s_or_b32 exec_lo, exec_lo, s1
	s_mov_b32 s1, 0
	s_branch .LBB31_4621
.LBB31_4616:
	s_mov_b32 s1, -1
                                        ; implicit-def: $vgpr28_vgpr29
	s_branch .LBB31_4627
.LBB31_4617:
	s_and_not1_saveexec_b32 s9, s9
	s_cbranch_execz .LBB31_4602
.LBB31_4618:
	v_cmp_ne_u16_e32 vcc_lo, 0, v1
	s_and_not1_b32 s22, s22, exec_lo
	s_and_b32 s23, vcc_lo, exec_lo
	s_delay_alu instid0(SALU_CYCLE_1)
	s_or_b32 s22, s22, s23
	s_or_b32 exec_lo, exec_lo, s9
	v_mov_b64_e32 v[28:29], 0
	s_and_saveexec_b32 s9, s22
	s_cbranch_execnz .LBB31_4603
	s_branch .LBB31_4604
.LBB31_4619:
	s_mov_b32 s1, -1
                                        ; implicit-def: $vgpr28_vgpr29
	s_branch .LBB31_4624
.LBB31_4620:
	s_mov_b32 s1, -1
                                        ; implicit-def: $vgpr28_vgpr29
.LBB31_4621:
	s_delay_alu instid0(SALU_CYCLE_1)
	s_and_b32 vcc_lo, exec_lo, s1
	s_cbranch_vccz .LBB31_4623
; %bb.4622:
	global_load_u8 v1, v[32:33], off
	s_wait_loadcnt 0x0
	v_lshlrev_b32_e32 v1, 24, v1
	s_delay_alu instid0(VALU_DEP_1) | instskip(NEXT) | instid1(VALU_DEP_1)
	v_and_b32_e32 v3, 0x7f000000, v1
	v_clz_i32_u32_e32 v5, v3
	v_add_nc_u32_e32 v11, 0x1000000, v3
	v_cmp_ne_u32_e32 vcc_lo, 0, v3
	s_delay_alu instid0(VALU_DEP_3) | instskip(NEXT) | instid1(VALU_DEP_1)
	v_min_u32_e32 v5, 32, v5
	v_sub_nc_u32_e64 v5, v5, 4 clamp
	s_delay_alu instid0(VALU_DEP_1) | instskip(NEXT) | instid1(VALU_DEP_1)
	v_dual_lshlrev_b32 v7, v5, v3 :: v_dual_lshlrev_b32 v5, 23, v5
	v_lshrrev_b32_e32 v7, 4, v7
	s_delay_alu instid0(VALU_DEP_1) | instskip(NEXT) | instid1(VALU_DEP_1)
	v_dual_sub_nc_u32 v5, v7, v5 :: v_dual_ashrrev_i32 v7, 8, v11
	v_add_nc_u32_e32 v5, 0x3c000000, v5
	s_delay_alu instid0(VALU_DEP_1) | instskip(NEXT) | instid1(VALU_DEP_1)
	v_and_or_b32 v5, 0x7f800000, v7, v5
	v_cndmask_b32_e32 v3, 0, v5, vcc_lo
	s_delay_alu instid0(VALU_DEP_1) | instskip(NEXT) | instid1(VALU_DEP_1)
	v_and_or_b32 v1, 0x80000000, v1, v3
	v_trunc_f32_e32 v1, v1
	s_delay_alu instid0(VALU_DEP_1) | instskip(SKIP_1) | instid1(VALU_DEP_2)
	v_mul_f32_e64 v3, 0x2f800000, |v1|
	v_ashrrev_i32_e32 v28, 31, v1
	v_floor_f32_e32 v3, v3
	s_delay_alu instid0(VALU_DEP_2) | instskip(NEXT) | instid1(VALU_DEP_2)
	v_mov_b32_e32 v29, v28
	v_fma_f32 v5, 0xcf800000, v3, |v1|
	v_cvt_u32_f32_e32 v1, v3
	s_delay_alu instid0(VALU_DEP_2) | instskip(NEXT) | instid1(VALU_DEP_2)
	v_cvt_u32_f32_e32 v3, v5
	v_xor_b32_e32 v35, v1, v28
	s_delay_alu instid0(VALU_DEP_2) | instskip(NEXT) | instid1(VALU_DEP_1)
	v_xor_b32_e32 v34, v3, v28
	v_sub_nc_u64_e32 v[28:29], v[34:35], v[28:29]
.LBB31_4623:
	s_mov_b32 s1, 0
.LBB31_4624:
	s_delay_alu instid0(SALU_CYCLE_1)
	s_and_not1_b32 vcc_lo, exec_lo, s1
	s_cbranch_vccnz .LBB31_4626
; %bb.4625:
	global_load_u8 v1, v[32:33], off
	s_wait_loadcnt 0x0
	v_lshlrev_b32_e32 v3, 25, v1
	v_lshlrev_b16 v1, 8, v1
	s_delay_alu instid0(VALU_DEP_1) | instskip(SKIP_1) | instid1(VALU_DEP_2)
	v_and_or_b32 v7, 0x7f00, v1, 0.5
	v_bfe_i32 v1, v1, 0, 16
	v_add_f32_e32 v7, -0.5, v7
	v_lshrrev_b32_e32 v5, 4, v3
	v_cmp_gt_u32_e32 vcc_lo, 0x8000000, v3
	s_delay_alu instid0(VALU_DEP_2) | instskip(NEXT) | instid1(VALU_DEP_1)
	v_or_b32_e32 v5, 0x70000000, v5
	v_mul_f32_e32 v5, 0x7800000, v5
	s_delay_alu instid0(VALU_DEP_1) | instskip(NEXT) | instid1(VALU_DEP_1)
	v_cndmask_b32_e32 v3, v5, v7, vcc_lo
	v_and_or_b32 v1, 0x80000000, v1, v3
	s_delay_alu instid0(VALU_DEP_1) | instskip(NEXT) | instid1(VALU_DEP_1)
	v_trunc_f32_e32 v1, v1
	v_mul_f32_e64 v3, 0x2f800000, |v1|
	v_ashrrev_i32_e32 v28, 31, v1
	s_delay_alu instid0(VALU_DEP_2) | instskip(NEXT) | instid1(VALU_DEP_2)
	v_floor_f32_e32 v3, v3
	v_mov_b32_e32 v29, v28
	s_delay_alu instid0(VALU_DEP_2) | instskip(SKIP_1) | instid1(VALU_DEP_2)
	v_fma_f32 v5, 0xcf800000, v3, |v1|
	v_cvt_u32_f32_e32 v1, v3
	v_cvt_u32_f32_e32 v3, v5
	s_delay_alu instid0(VALU_DEP_2) | instskip(NEXT) | instid1(VALU_DEP_2)
	v_xor_b32_e32 v35, v1, v28
	v_xor_b32_e32 v34, v3, v28
	s_delay_alu instid0(VALU_DEP_1)
	v_sub_nc_u64_e32 v[28:29], v[34:35], v[28:29]
.LBB31_4626:
	s_mov_b32 s1, 0
	s_mov_b32 s9, -1
.LBB31_4627:
	s_and_not1_b32 vcc_lo, exec_lo, s1
	s_mov_b32 s1, 0
	s_cbranch_vccnz .LBB31_4638
; %bb.4628:
	s_cmp_gt_i32 s56, 14
	s_cbranch_scc0 .LBB31_4631
; %bb.4629:
	s_cmp_eq_u32 s56, 15
	s_cbranch_scc0 .LBB31_4634
; %bb.4630:
	global_load_u16 v1, v[32:33], off
	s_mov_b32 s0, 0
	s_mov_b32 s9, -1
	s_wait_loadcnt 0x0
	v_lshlrev_b32_e32 v1, 16, v1
	s_delay_alu instid0(VALU_DEP_1) | instskip(NEXT) | instid1(VALU_DEP_1)
	v_trunc_f32_e32 v1, v1
	v_mul_f32_e64 v3, 0x2f800000, |v1|
	v_ashrrev_i32_e32 v28, 31, v1
	s_delay_alu instid0(VALU_DEP_2) | instskip(NEXT) | instid1(VALU_DEP_2)
	v_floor_f32_e32 v3, v3
	v_mov_b32_e32 v29, v28
	s_delay_alu instid0(VALU_DEP_2) | instskip(SKIP_1) | instid1(VALU_DEP_2)
	v_fma_f32 v5, 0xcf800000, v3, |v1|
	v_cvt_u32_f32_e32 v1, v3
	v_cvt_u32_f32_e32 v3, v5
	s_delay_alu instid0(VALU_DEP_2) | instskip(NEXT) | instid1(VALU_DEP_2)
	v_xor_b32_e32 v35, v1, v28
	v_xor_b32_e32 v34, v3, v28
	s_delay_alu instid0(VALU_DEP_1)
	v_sub_nc_u64_e32 v[28:29], v[34:35], v[28:29]
	s_branch .LBB31_4636
.LBB31_4631:
	s_mov_b32 s1, -1
	s_branch .LBB31_4635
.LBB31_4632:
	s_and_not1_saveexec_b32 s1, s1
	s_cbranch_execz .LBB31_4613
.LBB31_4633:
	v_cmp_ne_u16_e32 vcc_lo, 0, v1
	s_and_not1_b32 s9, s9, exec_lo
	s_and_b32 s22, vcc_lo, exec_lo
	s_delay_alu instid0(SALU_CYCLE_1)
	s_or_b32 s9, s9, s22
	s_or_b32 exec_lo, exec_lo, s1
	v_mov_b64_e32 v[28:29], 0
	s_and_saveexec_b32 s1, s9
	s_cbranch_execnz .LBB31_4614
	s_branch .LBB31_4615
.LBB31_4634:
	s_mov_b32 s0, -1
.LBB31_4635:
                                        ; implicit-def: $vgpr28_vgpr29
.LBB31_4636:
	s_and_b32 vcc_lo, exec_lo, s1
	s_mov_b32 s1, 0
	s_cbranch_vccz .LBB31_4638
; %bb.4637:
	s_cmp_lg_u32 s56, 11
	s_mov_b32 s1, -1
	s_cselect_b32 s0, -1, 0
.LBB31_4638:
	s_delay_alu instid0(SALU_CYCLE_1)
	s_and_b32 vcc_lo, exec_lo, s0
	s_cbranch_vccnz .LBB31_4703
; %bb.4639:
	s_and_not1_b32 vcc_lo, exec_lo, s1
	s_cbranch_vccnz .LBB31_4641
.LBB31_4640:
	global_load_u8 v1, v[32:33], off
	s_mov_b32 s0, 0
	s_mov_b32 s9, -1
	s_wait_loadcnt 0x1
	v_mov_b32_e32 v29, s0
	s_wait_loadcnt 0x0
	v_cmp_ne_u16_e32 vcc_lo, 0, v1
	v_cndmask_b32_e64 v28, 0, 1, vcc_lo
.LBB31_4641:
	s_mov_b32 s0, 0
.LBB31_4642:
	s_delay_alu instid0(SALU_CYCLE_1)
	s_and_b32 vcc_lo, exec_lo, s0
	s_cbranch_vccz .LBB31_4691
; %bb.4643:
	s_cmp_lt_i32 s56, 5
	s_cbranch_scc1 .LBB31_4648
; %bb.4644:
	s_cmp_lt_i32 s56, 8
	s_cbranch_scc1 .LBB31_4649
	;; [unrolled: 3-line block ×3, first 2 shown]
; %bb.4646:
	s_cmp_gt_i32 s56, 9
	s_cbranch_scc0 .LBB31_4651
; %bb.4647:
	s_wait_loadcnt 0x0
	global_load_b64 v[28:29], v[32:33], off
	s_mov_b32 s0, 0
	s_wait_loadcnt 0x0
	v_trunc_f64_e32 v[28:29], v[28:29]
	s_delay_alu instid0(VALU_DEP_1) | instskip(NEXT) | instid1(VALU_DEP_1)
	v_ldexp_f64 v[34:35], v[28:29], 0xffffffe0
	v_floor_f64_e32 v[34:35], v[34:35]
	s_delay_alu instid0(VALU_DEP_1) | instskip(SKIP_1) | instid1(VALU_DEP_2)
	v_fmamk_f64 v[36:37], v[34:35], 0xc1f00000, v[28:29]
	v_cvt_i32_f64_e32 v29, v[34:35]
	v_cvt_u32_f64_e32 v28, v[36:37]
	s_branch .LBB31_4652
.LBB31_4648:
	s_mov_b32 s0, -1
                                        ; implicit-def: $vgpr28_vgpr29
	s_branch .LBB31_4670
.LBB31_4649:
	s_mov_b32 s0, -1
                                        ; implicit-def: $vgpr28_vgpr29
	s_branch .LBB31_4658
.LBB31_4650:
	s_mov_b32 s0, -1
                                        ; implicit-def: $vgpr28_vgpr29
	s_branch .LBB31_4655
.LBB31_4651:
	s_mov_b32 s0, -1
                                        ; implicit-def: $vgpr28_vgpr29
.LBB31_4652:
	s_delay_alu instid0(SALU_CYCLE_1)
	s_and_not1_b32 vcc_lo, exec_lo, s0
	s_cbranch_vccnz .LBB31_4654
; %bb.4653:
	global_load_b32 v1, v[32:33], off
	s_wait_loadcnt 0x0
	v_trunc_f32_e32 v1, v1
	s_delay_alu instid0(VALU_DEP_1) | instskip(SKIP_1) | instid1(VALU_DEP_2)
	v_mul_f32_e64 v3, 0x2f800000, |v1|
	v_ashrrev_i32_e32 v28, 31, v1
	v_floor_f32_e32 v3, v3
	s_delay_alu instid0(VALU_DEP_1) | instskip(SKIP_1) | instid1(VALU_DEP_4)
	v_fma_f32 v5, 0xcf800000, v3, |v1|
	v_cvt_u32_f32_e32 v1, v3
	v_mov_b32_e32 v29, v28
	s_delay_alu instid0(VALU_DEP_3) | instskip(NEXT) | instid1(VALU_DEP_3)
	v_cvt_u32_f32_e32 v3, v5
	v_xor_b32_e32 v35, v1, v28
	s_delay_alu instid0(VALU_DEP_2) | instskip(NEXT) | instid1(VALU_DEP_1)
	v_xor_b32_e32 v34, v3, v28
	v_sub_nc_u64_e32 v[28:29], v[34:35], v[28:29]
.LBB31_4654:
	s_mov_b32 s0, 0
.LBB31_4655:
	s_delay_alu instid0(SALU_CYCLE_1)
	s_and_not1_b32 vcc_lo, exec_lo, s0
	s_cbranch_vccnz .LBB31_4657
; %bb.4656:
	global_load_b32 v1, v[32:33], off
	s_wait_loadcnt 0x0
	v_cvt_f32_f16_e32 v1, v1
	s_delay_alu instid0(VALU_DEP_1) | instskip(NEXT) | instid1(VALU_DEP_1)
	v_cvt_i32_f32_e32 v28, v1
	v_ashrrev_i32_e32 v29, 31, v28
.LBB31_4657:
	s_mov_b32 s0, 0
.LBB31_4658:
	s_delay_alu instid0(SALU_CYCLE_1)
	s_and_not1_b32 vcc_lo, exec_lo, s0
	s_cbranch_vccnz .LBB31_4669
; %bb.4659:
	s_cmp_lt_i32 s56, 6
	s_cbranch_scc1 .LBB31_4662
; %bb.4660:
	s_cmp_gt_i32 s56, 6
	s_cbranch_scc0 .LBB31_4663
; %bb.4661:
	s_wait_loadcnt 0x0
	global_load_b64 v[28:29], v[32:33], off
	s_mov_b32 s0, 0
	s_wait_loadcnt 0x0
	v_trunc_f64_e32 v[28:29], v[28:29]
	s_delay_alu instid0(VALU_DEP_1) | instskip(NEXT) | instid1(VALU_DEP_1)
	v_ldexp_f64 v[34:35], v[28:29], 0xffffffe0
	v_floor_f64_e32 v[34:35], v[34:35]
	s_delay_alu instid0(VALU_DEP_1) | instskip(SKIP_1) | instid1(VALU_DEP_2)
	v_fmamk_f64 v[36:37], v[34:35], 0xc1f00000, v[28:29]
	v_cvt_i32_f64_e32 v29, v[34:35]
	v_cvt_u32_f64_e32 v28, v[36:37]
	s_branch .LBB31_4664
.LBB31_4662:
	s_mov_b32 s0, -1
                                        ; implicit-def: $vgpr28_vgpr29
	s_branch .LBB31_4667
.LBB31_4663:
	s_mov_b32 s0, -1
                                        ; implicit-def: $vgpr28_vgpr29
.LBB31_4664:
	s_delay_alu instid0(SALU_CYCLE_1)
	s_and_not1_b32 vcc_lo, exec_lo, s0
	s_cbranch_vccnz .LBB31_4666
; %bb.4665:
	global_load_b32 v1, v[32:33], off
	s_wait_loadcnt 0x0
	v_trunc_f32_e32 v1, v1
	s_delay_alu instid0(VALU_DEP_1) | instskip(SKIP_1) | instid1(VALU_DEP_2)
	v_mul_f32_e64 v3, 0x2f800000, |v1|
	v_ashrrev_i32_e32 v28, 31, v1
	v_floor_f32_e32 v3, v3
	s_delay_alu instid0(VALU_DEP_1) | instskip(SKIP_1) | instid1(VALU_DEP_4)
	v_fma_f32 v5, 0xcf800000, v3, |v1|
	v_cvt_u32_f32_e32 v1, v3
	v_mov_b32_e32 v29, v28
	s_delay_alu instid0(VALU_DEP_3) | instskip(NEXT) | instid1(VALU_DEP_3)
	v_cvt_u32_f32_e32 v3, v5
	v_xor_b32_e32 v35, v1, v28
	s_delay_alu instid0(VALU_DEP_2) | instskip(NEXT) | instid1(VALU_DEP_1)
	v_xor_b32_e32 v34, v3, v28
	v_sub_nc_u64_e32 v[28:29], v[34:35], v[28:29]
.LBB31_4666:
	s_mov_b32 s0, 0
.LBB31_4667:
	s_delay_alu instid0(SALU_CYCLE_1)
	s_and_not1_b32 vcc_lo, exec_lo, s0
	s_cbranch_vccnz .LBB31_4669
; %bb.4668:
	global_load_u16 v1, v[32:33], off
	s_wait_loadcnt 0x0
	v_cvt_f32_f16_e32 v1, v1
	s_delay_alu instid0(VALU_DEP_1) | instskip(NEXT) | instid1(VALU_DEP_1)
	v_cvt_i32_f32_e32 v28, v1
	v_ashrrev_i32_e32 v29, 31, v28
.LBB31_4669:
	s_mov_b32 s0, 0
.LBB31_4670:
	s_delay_alu instid0(SALU_CYCLE_1)
	s_and_not1_b32 vcc_lo, exec_lo, s0
	s_cbranch_vccnz .LBB31_4690
; %bb.4671:
	s_cmp_lt_i32 s56, 2
	s_cbranch_scc1 .LBB31_4675
; %bb.4672:
	s_cmp_lt_i32 s56, 3
	s_cbranch_scc1 .LBB31_4676
; %bb.4673:
	s_cmp_gt_i32 s56, 3
	s_cbranch_scc0 .LBB31_4677
; %bb.4674:
	s_wait_loadcnt 0x0
	global_load_b64 v[28:29], v[32:33], off
	s_mov_b32 s0, 0
	s_branch .LBB31_4678
.LBB31_4675:
	s_mov_b32 s0, -1
                                        ; implicit-def: $vgpr28_vgpr29
	s_branch .LBB31_4684
.LBB31_4676:
	s_mov_b32 s0, -1
                                        ; implicit-def: $vgpr28_vgpr29
	s_branch .LBB31_4681
.LBB31_4677:
	s_mov_b32 s0, -1
                                        ; implicit-def: $vgpr28_vgpr29
.LBB31_4678:
	s_delay_alu instid0(SALU_CYCLE_1)
	s_and_not1_b32 vcc_lo, exec_lo, s0
	s_cbranch_vccnz .LBB31_4680
; %bb.4679:
	s_wait_loadcnt 0x0
	global_load_b32 v28, v[32:33], off
	s_wait_loadcnt 0x0
	v_ashrrev_i32_e32 v29, 31, v28
.LBB31_4680:
	s_mov_b32 s0, 0
.LBB31_4681:
	s_delay_alu instid0(SALU_CYCLE_1)
	s_and_not1_b32 vcc_lo, exec_lo, s0
	s_cbranch_vccnz .LBB31_4683
; %bb.4682:
	global_load_u16 v1, v[32:33], off
	s_wait_loadcnt 0x0
	v_bfe_i32 v28, v1, 0, 16
	s_delay_alu instid0(VALU_DEP_1)
	v_ashrrev_i32_e32 v29, 31, v28
.LBB31_4683:
	s_mov_b32 s0, 0
.LBB31_4684:
	s_delay_alu instid0(SALU_CYCLE_1)
	s_and_not1_b32 vcc_lo, exec_lo, s0
	s_cbranch_vccnz .LBB31_4690
; %bb.4685:
	s_cmp_gt_i32 s56, 0
	s_mov_b32 s0, 0
	s_cbranch_scc0 .LBB31_4687
; %bb.4686:
	global_load_i8 v1, v[32:33], off
	s_wait_loadcnt 0x0
	v_bfe_i32 v28, v1, 0, 16
	s_delay_alu instid0(VALU_DEP_1)
	v_ashrrev_i32_e32 v29, 31, v28
	s_branch .LBB31_4688
.LBB31_4687:
	s_mov_b32 s0, -1
                                        ; implicit-def: $vgpr28_vgpr29
.LBB31_4688:
	s_delay_alu instid0(SALU_CYCLE_1)
	s_and_not1_b32 vcc_lo, exec_lo, s0
	s_cbranch_vccnz .LBB31_4690
; %bb.4689:
	global_load_u8 v1, v[32:33], off
	s_mov_b32 s0, 0
	s_wait_loadcnt 0x1
	v_mov_b32_e32 v29, s0
	s_wait_loadcnt 0x0
	v_and_b32_e32 v28, 0xffff, v1
.LBB31_4690:
	s_mov_b32 s9, -1
.LBB31_4691:
	s_delay_alu instid0(SALU_CYCLE_1)
	s_and_not1_b32 vcc_lo, exec_lo, s9
	s_cbranch_vccnz .LBB31_5083
; %bb.4692:
	v_mov_b32_e32 v27, 0
	s_cmp_lt_i32 s57, 11
	s_wait_xcnt 0x0
	s_delay_alu instid0(VALU_DEP_1)
	v_add_nc_u64_e32 v[32:33], s[12:13], v[26:27]
	s_cbranch_scc1 .LBB31_4699
; %bb.4693:
	s_cmp_gt_i32 s57, 25
	s_mov_b32 s1, 0
	s_cbranch_scc0 .LBB31_4700
; %bb.4694:
	s_cmp_gt_i32 s57, 28
	s_cbranch_scc0 .LBB31_4701
; %bb.4695:
	s_cmp_gt_i32 s57, 43
	s_cbranch_scc0 .LBB31_4702
; %bb.4696:
	s_cmp_gt_i32 s57, 45
	s_cbranch_scc0 .LBB31_4704
; %bb.4697:
	s_cmp_eq_u32 s57, 46
	s_mov_b32 s22, 0
	s_cbranch_scc0 .LBB31_4706
; %bb.4698:
	global_load_b32 v1, v[32:33], off
	s_mov_b32 s0, 0
	s_mov_b32 s9, -1
	s_wait_loadcnt 0x0
	v_lshlrev_b32_e32 v1, 16, v1
	s_delay_alu instid0(VALU_DEP_1) | instskip(NEXT) | instid1(VALU_DEP_1)
	v_trunc_f32_e32 v1, v1
	v_mul_f32_e64 v3, 0x2f800000, |v1|
	v_ashrrev_i32_e32 v26, 31, v1
	s_delay_alu instid0(VALU_DEP_2) | instskip(NEXT) | instid1(VALU_DEP_2)
	v_floor_f32_e32 v3, v3
	v_mov_b32_e32 v27, v26
	s_delay_alu instid0(VALU_DEP_2) | instskip(SKIP_1) | instid1(VALU_DEP_2)
	v_fma_f32 v5, 0xcf800000, v3, |v1|
	v_cvt_u32_f32_e32 v1, v3
	v_cvt_u32_f32_e32 v3, v5
	s_delay_alu instid0(VALU_DEP_2) | instskip(NEXT) | instid1(VALU_DEP_2)
	v_xor_b32_e32 v35, v1, v26
	v_xor_b32_e32 v34, v3, v26
	s_delay_alu instid0(VALU_DEP_1)
	v_sub_nc_u64_e32 v[26:27], v[34:35], v[26:27]
	s_branch .LBB31_4708
.LBB31_4699:
	s_mov_b32 s0, -1
	s_mov_b32 s9, 0
                                        ; implicit-def: $vgpr26_vgpr27
	s_branch .LBB31_4770
.LBB31_4700:
	s_mov_b32 s22, -1
	s_mov_b32 s9, 0
	s_mov_b32 s0, 0
                                        ; implicit-def: $vgpr26_vgpr27
	s_branch .LBB31_4735
.LBB31_4701:
	s_mov_b32 s22, -1
	s_mov_b32 s9, 0
	s_mov_b32 s0, 0
                                        ; implicit-def: $vgpr26_vgpr27
	s_branch .LBB31_4718
.LBB31_4702:
	s_mov_b32 s22, -1
	s_mov_b32 s9, 0
	s_mov_b32 s0, 0
                                        ; implicit-def: $vgpr26_vgpr27
	s_branch .LBB31_4713
.LBB31_4703:
	s_or_b32 s54, s54, exec_lo
	s_trap 2
	s_cbranch_execz .LBB31_4640
	s_branch .LBB31_4641
.LBB31_4704:
	s_mov_b32 s22, -1
	s_mov_b32 s9, 0
	s_mov_b32 s0, 0
	s_branch .LBB31_4707
.LBB31_4705:
	s_or_b32 s48, s43, exec_lo
	s_trap 2
                                        ; implicit-def: $vgpr36_vgpr37
                                        ; implicit-def: $vgpr34_vgpr35
                                        ; implicit-def: $vgpr44_vgpr45
                                        ; implicit-def: $vgpr6
                                        ; implicit-def: $vgpr4
                                        ; implicit-def: $vgpr24
                                        ; implicit-def: $vgpr22
                                        ; implicit-def: $vgpr28
                                        ; implicit-def: $vgpr26
                                        ; implicit-def: $vgpr2
                                        ; implicit-def: $vgpr30
                                        ; implicit-def: $vgpr14
                                        ; implicit-def: $vgpr10
                                        ; implicit-def: $vgpr18
                                        ; implicit-def: $vgpr16
                                        ; implicit-def: $vgpr0
                                        ; implicit-def: $vgpr20
                                        ; implicit-def: $vgpr8_vgpr9
                                        ; implicit-def: $vgpr12_vgpr13
	s_or_saveexec_b32 s49, s0
                                        ; implicit-def: $vgpr42_vgpr43
                                        ; implicit-def: $sgpr0
	s_delay_alu instid0(SALU_CYCLE_1)
	s_xor_b32 exec_lo, exec_lo, s49
	s_cbranch_execz .LBB31_5087
	s_branch .LBB31_4413
.LBB31_4706:
	s_mov_b32 s0, -1
	s_mov_b32 s9, 0
.LBB31_4707:
                                        ; implicit-def: $vgpr26_vgpr27
.LBB31_4708:
	s_and_b32 vcc_lo, exec_lo, s22
	s_cbranch_vccz .LBB31_4712
; %bb.4709:
	s_cmp_eq_u32 s57, 44
	s_cbranch_scc0 .LBB31_4711
; %bb.4710:
	global_load_u8 v1, v[32:33], off
	s_mov_b32 s0, 0
	s_mov_b32 s9, -1
	s_wait_loadcnt 0x0
	v_lshlrev_b32_e32 v3, 23, v1
	v_cmp_ne_u32_e32 vcc_lo, 0, v1
	s_delay_alu instid0(VALU_DEP_2) | instskip(NEXT) | instid1(VALU_DEP_1)
	v_trunc_f32_e32 v3, v3
	v_mul_f32_e64 v5, 0x2f800000, |v3|
	v_ashrrev_i32_e32 v26, 31, v3
	s_delay_alu instid0(VALU_DEP_2) | instskip(NEXT) | instid1(VALU_DEP_2)
	v_floor_f32_e32 v5, v5
	v_mov_b32_e32 v27, v26
	s_delay_alu instid0(VALU_DEP_2) | instskip(SKIP_1) | instid1(VALU_DEP_2)
	v_fma_f32 v7, 0xcf800000, v5, |v3|
	v_cvt_u32_f32_e32 v3, v5
	v_cvt_u32_f32_e32 v5, v7
	s_delay_alu instid0(VALU_DEP_2) | instskip(NEXT) | instid1(VALU_DEP_2)
	v_xor_b32_e32 v35, v3, v26
	v_xor_b32_e32 v34, v5, v26
	s_delay_alu instid0(VALU_DEP_1) | instskip(NEXT) | instid1(VALU_DEP_1)
	v_sub_nc_u64_e32 v[26:27], v[34:35], v[26:27]
	v_dual_cndmask_b32 v27, 0, v27 :: v_dual_cndmask_b32 v26, 0, v26
	s_branch .LBB31_4712
.LBB31_4711:
	s_mov_b32 s0, -1
                                        ; implicit-def: $vgpr26_vgpr27
.LBB31_4712:
	s_mov_b32 s22, 0
.LBB31_4713:
	s_delay_alu instid0(SALU_CYCLE_1)
	s_and_b32 vcc_lo, exec_lo, s22
	s_cbranch_vccz .LBB31_4717
; %bb.4714:
	s_cmp_eq_u32 s57, 29
	s_cbranch_scc0 .LBB31_4716
; %bb.4715:
	global_load_b64 v[26:27], v[32:33], off
	s_mov_b32 s0, 0
	s_mov_b32 s9, -1
	s_branch .LBB31_4717
.LBB31_4716:
	s_mov_b32 s0, -1
                                        ; implicit-def: $vgpr26_vgpr27
.LBB31_4717:
	s_mov_b32 s22, 0
.LBB31_4718:
	s_delay_alu instid0(SALU_CYCLE_1)
	s_and_b32 vcc_lo, exec_lo, s22
	s_cbranch_vccz .LBB31_4734
; %bb.4719:
	s_cmp_lt_i32 s57, 27
	s_cbranch_scc1 .LBB31_4722
; %bb.4720:
	s_cmp_gt_i32 s57, 27
	s_cbranch_scc0 .LBB31_4723
; %bb.4721:
	s_wait_loadcnt 0x0
	global_load_b32 v26, v[32:33], off
	v_mov_b32_e32 v27, 0
	s_mov_b32 s9, 0
	s_branch .LBB31_4724
.LBB31_4722:
	s_mov_b32 s9, -1
                                        ; implicit-def: $vgpr26_vgpr27
	s_branch .LBB31_4727
.LBB31_4723:
	s_mov_b32 s9, -1
                                        ; implicit-def: $vgpr26_vgpr27
.LBB31_4724:
	s_delay_alu instid0(SALU_CYCLE_1)
	s_and_not1_b32 vcc_lo, exec_lo, s9
	s_cbranch_vccnz .LBB31_4726
; %bb.4725:
	global_load_u16 v1, v[32:33], off
	s_mov_b32 s9, 0
	s_wait_loadcnt 0x1
	v_mov_b32_e32 v27, s9
	s_wait_loadcnt 0x0
	v_and_b32_e32 v26, 0xffff, v1
.LBB31_4726:
	s_mov_b32 s9, 0
.LBB31_4727:
	s_delay_alu instid0(SALU_CYCLE_1)
	s_and_not1_b32 vcc_lo, exec_lo, s9
	s_cbranch_vccnz .LBB31_4733
; %bb.4728:
	global_load_u8 v1, v[32:33], off
	s_mov_b32 s22, 0
	s_mov_b32 s9, exec_lo
	s_wait_loadcnt 0x0
	v_cmpx_lt_i16_e32 0x7f, v1
	s_xor_b32 s9, exec_lo, s9
	s_cbranch_execz .LBB31_4745
; %bb.4729:
	v_cmp_ne_u16_e32 vcc_lo, 0x80, v1
	s_and_b32 s22, vcc_lo, exec_lo
	s_and_not1_saveexec_b32 s9, s9
	s_cbranch_execnz .LBB31_4746
.LBB31_4730:
	s_or_b32 exec_lo, exec_lo, s9
	v_mov_b64_e32 v[26:27], 0
	s_and_saveexec_b32 s9, s22
	s_cbranch_execz .LBB31_4732
.LBB31_4731:
	v_and_b32_e32 v3, 0xffff, v1
	s_delay_alu instid0(VALU_DEP_1) | instskip(SKIP_1) | instid1(VALU_DEP_2)
	v_dual_lshlrev_b32 v1, 24, v1 :: v_dual_bitop2_b32 v5, 7, v3 bitop3:0x40
	v_bfe_u32 v15, v3, 3, 4
	v_and_b32_e32 v1, 0x80000000, v1
	s_delay_alu instid0(VALU_DEP_3) | instskip(NEXT) | instid1(VALU_DEP_3)
	v_clz_i32_u32_e32 v7, v5
	v_cmp_eq_u32_e32 vcc_lo, 0, v15
	s_delay_alu instid0(VALU_DEP_2) | instskip(NEXT) | instid1(VALU_DEP_1)
	v_min_u32_e32 v7, 32, v7
	v_subrev_nc_u32_e32 v11, 28, v7
	v_sub_nc_u32_e32 v7, 29, v7
	s_delay_alu instid0(VALU_DEP_2) | instskip(NEXT) | instid1(VALU_DEP_2)
	v_lshlrev_b32_e32 v3, v11, v3
	v_cndmask_b32_e32 v7, v15, v7, vcc_lo
	s_delay_alu instid0(VALU_DEP_2) | instskip(NEXT) | instid1(VALU_DEP_1)
	v_and_b32_e32 v3, 7, v3
	v_cndmask_b32_e32 v3, v5, v3, vcc_lo
	s_delay_alu instid0(VALU_DEP_3) | instskip(NEXT) | instid1(VALU_DEP_2)
	v_lshl_add_u32 v5, v7, 23, 0x3b800000
	v_lshlrev_b32_e32 v3, 20, v3
	s_delay_alu instid0(VALU_DEP_1) | instskip(NEXT) | instid1(VALU_DEP_1)
	v_or3_b32 v1, v1, v5, v3
	v_trunc_f32_e32 v1, v1
	s_delay_alu instid0(VALU_DEP_1) | instskip(SKIP_1) | instid1(VALU_DEP_2)
	v_mul_f32_e64 v3, 0x2f800000, |v1|
	v_ashrrev_i32_e32 v26, 31, v1
	v_floor_f32_e32 v3, v3
	s_delay_alu instid0(VALU_DEP_2) | instskip(NEXT) | instid1(VALU_DEP_2)
	v_mov_b32_e32 v27, v26
	v_fma_f32 v5, 0xcf800000, v3, |v1|
	v_cvt_u32_f32_e32 v1, v3
	s_delay_alu instid0(VALU_DEP_2) | instskip(NEXT) | instid1(VALU_DEP_2)
	v_cvt_u32_f32_e32 v3, v5
	v_xor_b32_e32 v35, v1, v26
	s_delay_alu instid0(VALU_DEP_2) | instskip(NEXT) | instid1(VALU_DEP_1)
	v_xor_b32_e32 v34, v3, v26
	v_sub_nc_u64_e32 v[26:27], v[34:35], v[26:27]
.LBB31_4732:
	s_or_b32 exec_lo, exec_lo, s9
.LBB31_4733:
	s_mov_b32 s9, -1
.LBB31_4734:
	s_mov_b32 s22, 0
.LBB31_4735:
	s_delay_alu instid0(SALU_CYCLE_1)
	s_and_b32 vcc_lo, exec_lo, s22
	s_cbranch_vccz .LBB31_4766
; %bb.4736:
	s_cmp_gt_i32 s57, 22
	s_cbranch_scc0 .LBB31_4744
; %bb.4737:
	s_cmp_lt_i32 s57, 24
	s_cbranch_scc1 .LBB31_4747
; %bb.4738:
	s_cmp_gt_i32 s57, 24
	s_cbranch_scc0 .LBB31_4748
; %bb.4739:
	global_load_u8 v1, v[32:33], off
	s_mov_b32 s9, 0
	s_mov_b32 s1, exec_lo
	s_wait_loadcnt 0x0
	v_cmpx_lt_i16_e32 0x7f, v1
	s_xor_b32 s1, exec_lo, s1
	s_cbranch_execz .LBB31_4760
; %bb.4740:
	v_cmp_ne_u16_e32 vcc_lo, 0x80, v1
	s_and_b32 s9, vcc_lo, exec_lo
	s_and_not1_saveexec_b32 s1, s1
	s_cbranch_execnz .LBB31_4761
.LBB31_4741:
	s_or_b32 exec_lo, exec_lo, s1
	v_mov_b64_e32 v[26:27], 0
	s_and_saveexec_b32 s1, s9
	s_cbranch_execz .LBB31_4743
.LBB31_4742:
	v_and_b32_e32 v3, 0xffff, v1
	s_delay_alu instid0(VALU_DEP_1) | instskip(SKIP_1) | instid1(VALU_DEP_2)
	v_dual_lshlrev_b32 v1, 24, v1 :: v_dual_bitop2_b32 v5, 3, v3 bitop3:0x40
	v_bfe_u32 v15, v3, 2, 5
	v_and_b32_e32 v1, 0x80000000, v1
	s_delay_alu instid0(VALU_DEP_3) | instskip(NEXT) | instid1(VALU_DEP_3)
	v_clz_i32_u32_e32 v7, v5
	v_cmp_eq_u32_e32 vcc_lo, 0, v15
	s_delay_alu instid0(VALU_DEP_2) | instskip(NEXT) | instid1(VALU_DEP_1)
	v_min_u32_e32 v7, 32, v7
	v_subrev_nc_u32_e32 v11, 29, v7
	v_sub_nc_u32_e32 v7, 30, v7
	s_delay_alu instid0(VALU_DEP_2) | instskip(NEXT) | instid1(VALU_DEP_2)
	v_lshlrev_b32_e32 v3, v11, v3
	v_cndmask_b32_e32 v7, v15, v7, vcc_lo
	s_delay_alu instid0(VALU_DEP_2) | instskip(NEXT) | instid1(VALU_DEP_1)
	v_and_b32_e32 v3, 3, v3
	v_cndmask_b32_e32 v3, v5, v3, vcc_lo
	s_delay_alu instid0(VALU_DEP_3) | instskip(NEXT) | instid1(VALU_DEP_2)
	v_lshl_add_u32 v5, v7, 23, 0x37800000
	v_lshlrev_b32_e32 v3, 21, v3
	s_delay_alu instid0(VALU_DEP_1) | instskip(NEXT) | instid1(VALU_DEP_1)
	v_or3_b32 v1, v1, v5, v3
	v_trunc_f32_e32 v1, v1
	s_delay_alu instid0(VALU_DEP_1) | instskip(SKIP_1) | instid1(VALU_DEP_2)
	v_mul_f32_e64 v3, 0x2f800000, |v1|
	v_ashrrev_i32_e32 v26, 31, v1
	v_floor_f32_e32 v3, v3
	s_delay_alu instid0(VALU_DEP_2) | instskip(NEXT) | instid1(VALU_DEP_2)
	v_mov_b32_e32 v27, v26
	v_fma_f32 v5, 0xcf800000, v3, |v1|
	v_cvt_u32_f32_e32 v1, v3
	s_delay_alu instid0(VALU_DEP_2) | instskip(NEXT) | instid1(VALU_DEP_2)
	v_cvt_u32_f32_e32 v3, v5
	v_xor_b32_e32 v35, v1, v26
	s_delay_alu instid0(VALU_DEP_2) | instskip(NEXT) | instid1(VALU_DEP_1)
	v_xor_b32_e32 v34, v3, v26
	v_sub_nc_u64_e32 v[26:27], v[34:35], v[26:27]
.LBB31_4743:
	s_or_b32 exec_lo, exec_lo, s1
	s_mov_b32 s1, 0
	s_branch .LBB31_4749
.LBB31_4744:
	s_mov_b32 s1, -1
                                        ; implicit-def: $vgpr26_vgpr27
	s_branch .LBB31_4755
.LBB31_4745:
	s_and_not1_saveexec_b32 s9, s9
	s_cbranch_execz .LBB31_4730
.LBB31_4746:
	v_cmp_ne_u16_e32 vcc_lo, 0, v1
	s_and_not1_b32 s22, s22, exec_lo
	s_and_b32 s23, vcc_lo, exec_lo
	s_delay_alu instid0(SALU_CYCLE_1)
	s_or_b32 s22, s22, s23
	s_or_b32 exec_lo, exec_lo, s9
	v_mov_b64_e32 v[26:27], 0
	s_and_saveexec_b32 s9, s22
	s_cbranch_execnz .LBB31_4731
	s_branch .LBB31_4732
.LBB31_4747:
	s_mov_b32 s1, -1
                                        ; implicit-def: $vgpr26_vgpr27
	s_branch .LBB31_4752
.LBB31_4748:
	s_mov_b32 s1, -1
                                        ; implicit-def: $vgpr26_vgpr27
.LBB31_4749:
	s_delay_alu instid0(SALU_CYCLE_1)
	s_and_b32 vcc_lo, exec_lo, s1
	s_cbranch_vccz .LBB31_4751
; %bb.4750:
	global_load_u8 v1, v[32:33], off
	s_wait_loadcnt 0x0
	v_lshlrev_b32_e32 v1, 24, v1
	s_delay_alu instid0(VALU_DEP_1) | instskip(NEXT) | instid1(VALU_DEP_1)
	v_and_b32_e32 v3, 0x7f000000, v1
	v_clz_i32_u32_e32 v5, v3
	v_add_nc_u32_e32 v11, 0x1000000, v3
	v_cmp_ne_u32_e32 vcc_lo, 0, v3
	s_delay_alu instid0(VALU_DEP_3) | instskip(NEXT) | instid1(VALU_DEP_1)
	v_min_u32_e32 v5, 32, v5
	v_sub_nc_u32_e64 v5, v5, 4 clamp
	s_delay_alu instid0(VALU_DEP_1) | instskip(NEXT) | instid1(VALU_DEP_1)
	v_dual_lshlrev_b32 v7, v5, v3 :: v_dual_lshlrev_b32 v5, 23, v5
	v_lshrrev_b32_e32 v7, 4, v7
	s_delay_alu instid0(VALU_DEP_1) | instskip(NEXT) | instid1(VALU_DEP_1)
	v_dual_sub_nc_u32 v5, v7, v5 :: v_dual_ashrrev_i32 v7, 8, v11
	v_add_nc_u32_e32 v5, 0x3c000000, v5
	s_delay_alu instid0(VALU_DEP_1) | instskip(NEXT) | instid1(VALU_DEP_1)
	v_and_or_b32 v5, 0x7f800000, v7, v5
	v_cndmask_b32_e32 v3, 0, v5, vcc_lo
	s_delay_alu instid0(VALU_DEP_1) | instskip(NEXT) | instid1(VALU_DEP_1)
	v_and_or_b32 v1, 0x80000000, v1, v3
	v_trunc_f32_e32 v1, v1
	s_delay_alu instid0(VALU_DEP_1) | instskip(SKIP_1) | instid1(VALU_DEP_2)
	v_mul_f32_e64 v3, 0x2f800000, |v1|
	v_ashrrev_i32_e32 v26, 31, v1
	v_floor_f32_e32 v3, v3
	s_delay_alu instid0(VALU_DEP_2) | instskip(NEXT) | instid1(VALU_DEP_2)
	v_mov_b32_e32 v27, v26
	v_fma_f32 v5, 0xcf800000, v3, |v1|
	v_cvt_u32_f32_e32 v1, v3
	s_delay_alu instid0(VALU_DEP_2) | instskip(NEXT) | instid1(VALU_DEP_2)
	v_cvt_u32_f32_e32 v3, v5
	v_xor_b32_e32 v35, v1, v26
	s_delay_alu instid0(VALU_DEP_2) | instskip(NEXT) | instid1(VALU_DEP_1)
	v_xor_b32_e32 v34, v3, v26
	v_sub_nc_u64_e32 v[26:27], v[34:35], v[26:27]
.LBB31_4751:
	s_mov_b32 s1, 0
.LBB31_4752:
	s_delay_alu instid0(SALU_CYCLE_1)
	s_and_not1_b32 vcc_lo, exec_lo, s1
	s_cbranch_vccnz .LBB31_4754
; %bb.4753:
	global_load_u8 v1, v[32:33], off
	s_wait_loadcnt 0x0
	v_lshlrev_b32_e32 v3, 25, v1
	v_lshlrev_b16 v1, 8, v1
	s_delay_alu instid0(VALU_DEP_1) | instskip(SKIP_1) | instid1(VALU_DEP_2)
	v_and_or_b32 v7, 0x7f00, v1, 0.5
	v_bfe_i32 v1, v1, 0, 16
	v_add_f32_e32 v7, -0.5, v7
	v_lshrrev_b32_e32 v5, 4, v3
	v_cmp_gt_u32_e32 vcc_lo, 0x8000000, v3
	s_delay_alu instid0(VALU_DEP_2) | instskip(NEXT) | instid1(VALU_DEP_1)
	v_or_b32_e32 v5, 0x70000000, v5
	v_mul_f32_e32 v5, 0x7800000, v5
	s_delay_alu instid0(VALU_DEP_1) | instskip(NEXT) | instid1(VALU_DEP_1)
	v_cndmask_b32_e32 v3, v5, v7, vcc_lo
	v_and_or_b32 v1, 0x80000000, v1, v3
	s_delay_alu instid0(VALU_DEP_1) | instskip(NEXT) | instid1(VALU_DEP_1)
	v_trunc_f32_e32 v1, v1
	v_mul_f32_e64 v3, 0x2f800000, |v1|
	v_ashrrev_i32_e32 v26, 31, v1
	s_delay_alu instid0(VALU_DEP_2) | instskip(NEXT) | instid1(VALU_DEP_2)
	v_floor_f32_e32 v3, v3
	v_mov_b32_e32 v27, v26
	s_delay_alu instid0(VALU_DEP_2) | instskip(SKIP_1) | instid1(VALU_DEP_2)
	v_fma_f32 v5, 0xcf800000, v3, |v1|
	v_cvt_u32_f32_e32 v1, v3
	v_cvt_u32_f32_e32 v3, v5
	s_delay_alu instid0(VALU_DEP_2) | instskip(NEXT) | instid1(VALU_DEP_2)
	v_xor_b32_e32 v35, v1, v26
	v_xor_b32_e32 v34, v3, v26
	s_delay_alu instid0(VALU_DEP_1)
	v_sub_nc_u64_e32 v[26:27], v[34:35], v[26:27]
.LBB31_4754:
	s_mov_b32 s1, 0
	s_mov_b32 s9, -1
.LBB31_4755:
	s_and_not1_b32 vcc_lo, exec_lo, s1
	s_mov_b32 s1, 0
	s_cbranch_vccnz .LBB31_4766
; %bb.4756:
	s_cmp_gt_i32 s57, 14
	s_cbranch_scc0 .LBB31_4759
; %bb.4757:
	s_cmp_eq_u32 s57, 15
	s_cbranch_scc0 .LBB31_4762
; %bb.4758:
	global_load_u16 v1, v[32:33], off
	s_mov_b32 s0, 0
	s_mov_b32 s9, -1
	s_wait_loadcnt 0x0
	v_lshlrev_b32_e32 v1, 16, v1
	s_delay_alu instid0(VALU_DEP_1) | instskip(NEXT) | instid1(VALU_DEP_1)
	v_trunc_f32_e32 v1, v1
	v_mul_f32_e64 v3, 0x2f800000, |v1|
	v_ashrrev_i32_e32 v26, 31, v1
	s_delay_alu instid0(VALU_DEP_2) | instskip(NEXT) | instid1(VALU_DEP_2)
	v_floor_f32_e32 v3, v3
	v_mov_b32_e32 v27, v26
	s_delay_alu instid0(VALU_DEP_2) | instskip(SKIP_1) | instid1(VALU_DEP_2)
	v_fma_f32 v5, 0xcf800000, v3, |v1|
	v_cvt_u32_f32_e32 v1, v3
	v_cvt_u32_f32_e32 v3, v5
	s_delay_alu instid0(VALU_DEP_2) | instskip(NEXT) | instid1(VALU_DEP_2)
	v_xor_b32_e32 v35, v1, v26
	v_xor_b32_e32 v34, v3, v26
	s_delay_alu instid0(VALU_DEP_1)
	v_sub_nc_u64_e32 v[26:27], v[34:35], v[26:27]
	s_branch .LBB31_4764
.LBB31_4759:
	s_mov_b32 s1, -1
	s_branch .LBB31_4763
.LBB31_4760:
	s_and_not1_saveexec_b32 s1, s1
	s_cbranch_execz .LBB31_4741
.LBB31_4761:
	v_cmp_ne_u16_e32 vcc_lo, 0, v1
	s_and_not1_b32 s9, s9, exec_lo
	s_and_b32 s22, vcc_lo, exec_lo
	s_delay_alu instid0(SALU_CYCLE_1)
	s_or_b32 s9, s9, s22
	s_or_b32 exec_lo, exec_lo, s1
	v_mov_b64_e32 v[26:27], 0
	s_and_saveexec_b32 s1, s9
	s_cbranch_execnz .LBB31_4742
	s_branch .LBB31_4743
.LBB31_4762:
	s_mov_b32 s0, -1
.LBB31_4763:
                                        ; implicit-def: $vgpr26_vgpr27
.LBB31_4764:
	s_and_b32 vcc_lo, exec_lo, s1
	s_mov_b32 s1, 0
	s_cbranch_vccz .LBB31_4766
; %bb.4765:
	s_cmp_lg_u32 s57, 11
	s_mov_b32 s1, -1
	s_cselect_b32 s0, -1, 0
.LBB31_4766:
	s_delay_alu instid0(SALU_CYCLE_1)
	s_and_b32 vcc_lo, exec_lo, s0
	s_cbranch_vccnz .LBB31_4831
; %bb.4767:
	s_and_not1_b32 vcc_lo, exec_lo, s1
	s_cbranch_vccnz .LBB31_4769
.LBB31_4768:
	global_load_u8 v1, v[32:33], off
	s_mov_b32 s0, 0
	s_mov_b32 s9, -1
	s_wait_loadcnt 0x1
	v_mov_b32_e32 v27, s0
	s_wait_loadcnt 0x0
	v_cmp_ne_u16_e32 vcc_lo, 0, v1
	v_cndmask_b32_e64 v26, 0, 1, vcc_lo
.LBB31_4769:
	s_mov_b32 s0, 0
.LBB31_4770:
	s_delay_alu instid0(SALU_CYCLE_1)
	s_and_b32 vcc_lo, exec_lo, s0
	s_cbranch_vccz .LBB31_4819
; %bb.4771:
	s_cmp_lt_i32 s57, 5
	s_cbranch_scc1 .LBB31_4776
; %bb.4772:
	s_cmp_lt_i32 s57, 8
	s_cbranch_scc1 .LBB31_4777
	;; [unrolled: 3-line block ×3, first 2 shown]
; %bb.4774:
	s_cmp_gt_i32 s57, 9
	s_cbranch_scc0 .LBB31_4779
; %bb.4775:
	s_wait_loadcnt 0x0
	global_load_b64 v[26:27], v[32:33], off
	s_mov_b32 s0, 0
	s_wait_loadcnt 0x0
	v_trunc_f64_e32 v[26:27], v[26:27]
	s_delay_alu instid0(VALU_DEP_1) | instskip(NEXT) | instid1(VALU_DEP_1)
	v_ldexp_f64 v[34:35], v[26:27], 0xffffffe0
	v_floor_f64_e32 v[34:35], v[34:35]
	s_delay_alu instid0(VALU_DEP_1) | instskip(SKIP_1) | instid1(VALU_DEP_2)
	v_fmamk_f64 v[36:37], v[34:35], 0xc1f00000, v[26:27]
	v_cvt_i32_f64_e32 v27, v[34:35]
	v_cvt_u32_f64_e32 v26, v[36:37]
	s_branch .LBB31_4780
.LBB31_4776:
	s_mov_b32 s0, -1
                                        ; implicit-def: $vgpr26_vgpr27
	s_branch .LBB31_4798
.LBB31_4777:
	s_mov_b32 s0, -1
                                        ; implicit-def: $vgpr26_vgpr27
	s_branch .LBB31_4786
.LBB31_4778:
	s_mov_b32 s0, -1
                                        ; implicit-def: $vgpr26_vgpr27
	s_branch .LBB31_4783
.LBB31_4779:
	s_mov_b32 s0, -1
                                        ; implicit-def: $vgpr26_vgpr27
.LBB31_4780:
	s_delay_alu instid0(SALU_CYCLE_1)
	s_and_not1_b32 vcc_lo, exec_lo, s0
	s_cbranch_vccnz .LBB31_4782
; %bb.4781:
	global_load_b32 v1, v[32:33], off
	s_wait_loadcnt 0x0
	v_trunc_f32_e32 v1, v1
	s_delay_alu instid0(VALU_DEP_1) | instskip(SKIP_1) | instid1(VALU_DEP_2)
	v_mul_f32_e64 v3, 0x2f800000, |v1|
	v_ashrrev_i32_e32 v26, 31, v1
	v_floor_f32_e32 v3, v3
	s_delay_alu instid0(VALU_DEP_1) | instskip(SKIP_1) | instid1(VALU_DEP_4)
	v_fma_f32 v5, 0xcf800000, v3, |v1|
	v_cvt_u32_f32_e32 v1, v3
	v_mov_b32_e32 v27, v26
	s_delay_alu instid0(VALU_DEP_3) | instskip(NEXT) | instid1(VALU_DEP_3)
	v_cvt_u32_f32_e32 v3, v5
	v_xor_b32_e32 v35, v1, v26
	s_delay_alu instid0(VALU_DEP_2) | instskip(NEXT) | instid1(VALU_DEP_1)
	v_xor_b32_e32 v34, v3, v26
	v_sub_nc_u64_e32 v[26:27], v[34:35], v[26:27]
.LBB31_4782:
	s_mov_b32 s0, 0
.LBB31_4783:
	s_delay_alu instid0(SALU_CYCLE_1)
	s_and_not1_b32 vcc_lo, exec_lo, s0
	s_cbranch_vccnz .LBB31_4785
; %bb.4784:
	global_load_b32 v1, v[32:33], off
	s_wait_loadcnt 0x0
	v_cvt_f32_f16_e32 v1, v1
	s_delay_alu instid0(VALU_DEP_1) | instskip(NEXT) | instid1(VALU_DEP_1)
	v_cvt_i32_f32_e32 v26, v1
	v_ashrrev_i32_e32 v27, 31, v26
.LBB31_4785:
	s_mov_b32 s0, 0
.LBB31_4786:
	s_delay_alu instid0(SALU_CYCLE_1)
	s_and_not1_b32 vcc_lo, exec_lo, s0
	s_cbranch_vccnz .LBB31_4797
; %bb.4787:
	s_cmp_lt_i32 s57, 6
	s_cbranch_scc1 .LBB31_4790
; %bb.4788:
	s_cmp_gt_i32 s57, 6
	s_cbranch_scc0 .LBB31_4791
; %bb.4789:
	s_wait_loadcnt 0x0
	global_load_b64 v[26:27], v[32:33], off
	s_mov_b32 s0, 0
	s_wait_loadcnt 0x0
	v_trunc_f64_e32 v[26:27], v[26:27]
	s_delay_alu instid0(VALU_DEP_1) | instskip(NEXT) | instid1(VALU_DEP_1)
	v_ldexp_f64 v[34:35], v[26:27], 0xffffffe0
	v_floor_f64_e32 v[34:35], v[34:35]
	s_delay_alu instid0(VALU_DEP_1) | instskip(SKIP_1) | instid1(VALU_DEP_2)
	v_fmamk_f64 v[36:37], v[34:35], 0xc1f00000, v[26:27]
	v_cvt_i32_f64_e32 v27, v[34:35]
	v_cvt_u32_f64_e32 v26, v[36:37]
	s_branch .LBB31_4792
.LBB31_4790:
	s_mov_b32 s0, -1
                                        ; implicit-def: $vgpr26_vgpr27
	s_branch .LBB31_4795
.LBB31_4791:
	s_mov_b32 s0, -1
                                        ; implicit-def: $vgpr26_vgpr27
.LBB31_4792:
	s_delay_alu instid0(SALU_CYCLE_1)
	s_and_not1_b32 vcc_lo, exec_lo, s0
	s_cbranch_vccnz .LBB31_4794
; %bb.4793:
	global_load_b32 v1, v[32:33], off
	s_wait_loadcnt 0x0
	v_trunc_f32_e32 v1, v1
	s_delay_alu instid0(VALU_DEP_1) | instskip(SKIP_1) | instid1(VALU_DEP_2)
	v_mul_f32_e64 v3, 0x2f800000, |v1|
	v_ashrrev_i32_e32 v26, 31, v1
	v_floor_f32_e32 v3, v3
	s_delay_alu instid0(VALU_DEP_1) | instskip(SKIP_1) | instid1(VALU_DEP_4)
	v_fma_f32 v5, 0xcf800000, v3, |v1|
	v_cvt_u32_f32_e32 v1, v3
	v_mov_b32_e32 v27, v26
	s_delay_alu instid0(VALU_DEP_3) | instskip(NEXT) | instid1(VALU_DEP_3)
	v_cvt_u32_f32_e32 v3, v5
	v_xor_b32_e32 v35, v1, v26
	s_delay_alu instid0(VALU_DEP_2) | instskip(NEXT) | instid1(VALU_DEP_1)
	v_xor_b32_e32 v34, v3, v26
	v_sub_nc_u64_e32 v[26:27], v[34:35], v[26:27]
.LBB31_4794:
	s_mov_b32 s0, 0
.LBB31_4795:
	s_delay_alu instid0(SALU_CYCLE_1)
	s_and_not1_b32 vcc_lo, exec_lo, s0
	s_cbranch_vccnz .LBB31_4797
; %bb.4796:
	global_load_u16 v1, v[32:33], off
	s_wait_loadcnt 0x0
	v_cvt_f32_f16_e32 v1, v1
	s_delay_alu instid0(VALU_DEP_1) | instskip(NEXT) | instid1(VALU_DEP_1)
	v_cvt_i32_f32_e32 v26, v1
	v_ashrrev_i32_e32 v27, 31, v26
.LBB31_4797:
	s_mov_b32 s0, 0
.LBB31_4798:
	s_delay_alu instid0(SALU_CYCLE_1)
	s_and_not1_b32 vcc_lo, exec_lo, s0
	s_cbranch_vccnz .LBB31_4818
; %bb.4799:
	s_cmp_lt_i32 s57, 2
	s_cbranch_scc1 .LBB31_4803
; %bb.4800:
	s_cmp_lt_i32 s57, 3
	s_cbranch_scc1 .LBB31_4804
; %bb.4801:
	s_cmp_gt_i32 s57, 3
	s_cbranch_scc0 .LBB31_4805
; %bb.4802:
	s_wait_loadcnt 0x0
	global_load_b64 v[26:27], v[32:33], off
	s_mov_b32 s0, 0
	s_branch .LBB31_4806
.LBB31_4803:
	s_mov_b32 s0, -1
                                        ; implicit-def: $vgpr26_vgpr27
	s_branch .LBB31_4812
.LBB31_4804:
	s_mov_b32 s0, -1
                                        ; implicit-def: $vgpr26_vgpr27
	s_branch .LBB31_4809
.LBB31_4805:
	s_mov_b32 s0, -1
                                        ; implicit-def: $vgpr26_vgpr27
.LBB31_4806:
	s_delay_alu instid0(SALU_CYCLE_1)
	s_and_not1_b32 vcc_lo, exec_lo, s0
	s_cbranch_vccnz .LBB31_4808
; %bb.4807:
	s_wait_loadcnt 0x0
	global_load_b32 v26, v[32:33], off
	s_wait_loadcnt 0x0
	v_ashrrev_i32_e32 v27, 31, v26
.LBB31_4808:
	s_mov_b32 s0, 0
.LBB31_4809:
	s_delay_alu instid0(SALU_CYCLE_1)
	s_and_not1_b32 vcc_lo, exec_lo, s0
	s_cbranch_vccnz .LBB31_4811
; %bb.4810:
	global_load_u16 v1, v[32:33], off
	s_wait_loadcnt 0x0
	v_bfe_i32 v26, v1, 0, 16
	s_delay_alu instid0(VALU_DEP_1)
	v_ashrrev_i32_e32 v27, 31, v26
.LBB31_4811:
	s_mov_b32 s0, 0
.LBB31_4812:
	s_delay_alu instid0(SALU_CYCLE_1)
	s_and_not1_b32 vcc_lo, exec_lo, s0
	s_cbranch_vccnz .LBB31_4818
; %bb.4813:
	s_cmp_gt_i32 s57, 0
	s_mov_b32 s0, 0
	s_cbranch_scc0 .LBB31_4815
; %bb.4814:
	global_load_i8 v1, v[32:33], off
	s_wait_loadcnt 0x0
	v_bfe_i32 v26, v1, 0, 16
	s_delay_alu instid0(VALU_DEP_1)
	v_ashrrev_i32_e32 v27, 31, v26
	s_branch .LBB31_4816
.LBB31_4815:
	s_mov_b32 s0, -1
                                        ; implicit-def: $vgpr26_vgpr27
.LBB31_4816:
	s_delay_alu instid0(SALU_CYCLE_1)
	s_and_not1_b32 vcc_lo, exec_lo, s0
	s_cbranch_vccnz .LBB31_4818
; %bb.4817:
	global_load_u8 v1, v[32:33], off
	s_mov_b32 s0, 0
	s_wait_loadcnt 0x1
	v_mov_b32_e32 v27, s0
	s_wait_loadcnt 0x0
	v_and_b32_e32 v26, 0xffff, v1
.LBB31_4818:
	s_mov_b32 s9, -1
.LBB31_4819:
	s_delay_alu instid0(SALU_CYCLE_1)
	s_and_not1_b32 vcc_lo, exec_lo, s9
	s_cbranch_vccnz .LBB31_5083
; %bb.4820:
	v_mov_b32_e32 v25, 0
	s_cmp_lt_i32 s58, 11
	s_wait_xcnt 0x0
	s_delay_alu instid0(VALU_DEP_1)
	v_add_nc_u64_e32 v[32:33], s[14:15], v[24:25]
	s_cbranch_scc1 .LBB31_4827
; %bb.4821:
	s_cmp_gt_i32 s58, 25
	s_mov_b32 s1, 0
	s_cbranch_scc0 .LBB31_4828
; %bb.4822:
	s_cmp_gt_i32 s58, 28
	s_cbranch_scc0 .LBB31_4829
; %bb.4823:
	s_cmp_gt_i32 s58, 43
	;; [unrolled: 3-line block ×3, first 2 shown]
	s_cbranch_scc0 .LBB31_4832
; %bb.4825:
	s_cmp_eq_u32 s58, 46
	s_mov_b32 s22, 0
	s_cbranch_scc0 .LBB31_4834
; %bb.4826:
	global_load_b32 v1, v[32:33], off
	s_mov_b32 s0, 0
	s_mov_b32 s9, -1
	s_wait_loadcnt 0x0
	v_lshlrev_b32_e32 v1, 16, v1
	s_delay_alu instid0(VALU_DEP_1) | instskip(NEXT) | instid1(VALU_DEP_1)
	v_trunc_f32_e32 v1, v1
	v_mul_f32_e64 v3, 0x2f800000, |v1|
	v_ashrrev_i32_e32 v24, 31, v1
	s_delay_alu instid0(VALU_DEP_2) | instskip(NEXT) | instid1(VALU_DEP_2)
	v_floor_f32_e32 v3, v3
	v_mov_b32_e32 v25, v24
	s_delay_alu instid0(VALU_DEP_2) | instskip(SKIP_1) | instid1(VALU_DEP_2)
	v_fma_f32 v5, 0xcf800000, v3, |v1|
	v_cvt_u32_f32_e32 v1, v3
	v_cvt_u32_f32_e32 v3, v5
	s_delay_alu instid0(VALU_DEP_2) | instskip(NEXT) | instid1(VALU_DEP_2)
	v_xor_b32_e32 v35, v1, v24
	v_xor_b32_e32 v34, v3, v24
	s_delay_alu instid0(VALU_DEP_1)
	v_sub_nc_u64_e32 v[24:25], v[34:35], v[24:25]
	s_branch .LBB31_4836
.LBB31_4827:
	s_mov_b32 s0, -1
	s_mov_b32 s9, 0
                                        ; implicit-def: $vgpr24_vgpr25
	s_branch .LBB31_4898
.LBB31_4828:
	s_mov_b32 s22, -1
	s_mov_b32 s9, 0
	s_mov_b32 s0, 0
                                        ; implicit-def: $vgpr24_vgpr25
	s_branch .LBB31_4863
.LBB31_4829:
	s_mov_b32 s22, -1
	s_mov_b32 s9, 0
	s_mov_b32 s0, 0
                                        ; implicit-def: $vgpr24_vgpr25
	s_branch .LBB31_4846
.LBB31_4830:
	s_mov_b32 s22, -1
	s_mov_b32 s9, 0
	s_mov_b32 s0, 0
                                        ; implicit-def: $vgpr24_vgpr25
	s_branch .LBB31_4841
.LBB31_4831:
	s_or_b32 s54, s54, exec_lo
	s_trap 2
	s_cbranch_execz .LBB31_4768
	s_branch .LBB31_4769
.LBB31_4832:
	s_mov_b32 s22, -1
	s_mov_b32 s9, 0
	s_mov_b32 s0, 0
	s_branch .LBB31_4835
.LBB31_4833:
	s_or_b32 s50, s48, exec_lo
	s_trap 2
                                        ; implicit-def: $vgpr36_vgpr37
                                        ; implicit-def: $vgpr34_vgpr35
                                        ; implicit-def: $vgpr44_vgpr45
                                        ; implicit-def: $vgpr6
                                        ; implicit-def: $vgpr4
                                        ; implicit-def: $vgpr24
                                        ; implicit-def: $vgpr22
                                        ; implicit-def: $vgpr28
                                        ; implicit-def: $vgpr26
                                        ; implicit-def: $vgpr2
                                        ; implicit-def: $vgpr30
                                        ; implicit-def: $vgpr14
                                        ; implicit-def: $vgpr10
                                        ; implicit-def: $vgpr18
                                        ; implicit-def: $vgpr16
                                        ; implicit-def: $vgpr0
                                        ; implicit-def: $vgpr20
                                        ; implicit-def: $vgpr8_vgpr9
                                        ; implicit-def: $vgpr12_vgpr13
	s_or_saveexec_b32 s51, s0
	s_mov_b32 s1, 0
                                        ; implicit-def: $vgpr42_vgpr43
                                        ; implicit-def: $sgpr0
	s_xor_b32 exec_lo, exec_lo, s51
	s_cbranch_execz .LBB31_5086
	s_branch .LBB31_4415
.LBB31_4834:
	s_mov_b32 s0, -1
	s_mov_b32 s9, 0
.LBB31_4835:
                                        ; implicit-def: $vgpr24_vgpr25
.LBB31_4836:
	s_and_b32 vcc_lo, exec_lo, s22
	s_cbranch_vccz .LBB31_4840
; %bb.4837:
	s_cmp_eq_u32 s58, 44
	s_cbranch_scc0 .LBB31_4839
; %bb.4838:
	global_load_u8 v1, v[32:33], off
	s_mov_b32 s0, 0
	s_mov_b32 s9, -1
	s_wait_loadcnt 0x0
	v_lshlrev_b32_e32 v3, 23, v1
	v_cmp_ne_u32_e32 vcc_lo, 0, v1
	s_delay_alu instid0(VALU_DEP_2) | instskip(NEXT) | instid1(VALU_DEP_1)
	v_trunc_f32_e32 v3, v3
	v_mul_f32_e64 v5, 0x2f800000, |v3|
	v_ashrrev_i32_e32 v24, 31, v3
	s_delay_alu instid0(VALU_DEP_2) | instskip(NEXT) | instid1(VALU_DEP_2)
	v_floor_f32_e32 v5, v5
	v_mov_b32_e32 v25, v24
	s_delay_alu instid0(VALU_DEP_2) | instskip(SKIP_1) | instid1(VALU_DEP_2)
	v_fma_f32 v7, 0xcf800000, v5, |v3|
	v_cvt_u32_f32_e32 v3, v5
	v_cvt_u32_f32_e32 v5, v7
	s_delay_alu instid0(VALU_DEP_2) | instskip(NEXT) | instid1(VALU_DEP_2)
	v_xor_b32_e32 v35, v3, v24
	v_xor_b32_e32 v34, v5, v24
	s_delay_alu instid0(VALU_DEP_1) | instskip(NEXT) | instid1(VALU_DEP_1)
	v_sub_nc_u64_e32 v[24:25], v[34:35], v[24:25]
	v_dual_cndmask_b32 v25, 0, v25 :: v_dual_cndmask_b32 v24, 0, v24
	s_branch .LBB31_4840
.LBB31_4839:
	s_mov_b32 s0, -1
                                        ; implicit-def: $vgpr24_vgpr25
.LBB31_4840:
	s_mov_b32 s22, 0
.LBB31_4841:
	s_delay_alu instid0(SALU_CYCLE_1)
	s_and_b32 vcc_lo, exec_lo, s22
	s_cbranch_vccz .LBB31_4845
; %bb.4842:
	s_cmp_eq_u32 s58, 29
	s_cbranch_scc0 .LBB31_4844
; %bb.4843:
	global_load_b64 v[24:25], v[32:33], off
	s_mov_b32 s0, 0
	s_mov_b32 s9, -1
	s_branch .LBB31_4845
.LBB31_4844:
	s_mov_b32 s0, -1
                                        ; implicit-def: $vgpr24_vgpr25
.LBB31_4845:
	s_mov_b32 s22, 0
.LBB31_4846:
	s_delay_alu instid0(SALU_CYCLE_1)
	s_and_b32 vcc_lo, exec_lo, s22
	s_cbranch_vccz .LBB31_4862
; %bb.4847:
	s_cmp_lt_i32 s58, 27
	s_cbranch_scc1 .LBB31_4850
; %bb.4848:
	s_cmp_gt_i32 s58, 27
	s_cbranch_scc0 .LBB31_4851
; %bb.4849:
	s_wait_loadcnt 0x0
	global_load_b32 v24, v[32:33], off
	v_mov_b32_e32 v25, 0
	s_mov_b32 s9, 0
	s_branch .LBB31_4852
.LBB31_4850:
	s_mov_b32 s9, -1
                                        ; implicit-def: $vgpr24_vgpr25
	s_branch .LBB31_4855
.LBB31_4851:
	s_mov_b32 s9, -1
                                        ; implicit-def: $vgpr24_vgpr25
.LBB31_4852:
	s_delay_alu instid0(SALU_CYCLE_1)
	s_and_not1_b32 vcc_lo, exec_lo, s9
	s_cbranch_vccnz .LBB31_4854
; %bb.4853:
	global_load_u16 v1, v[32:33], off
	s_mov_b32 s9, 0
	s_wait_loadcnt 0x1
	v_mov_b32_e32 v25, s9
	s_wait_loadcnt 0x0
	v_and_b32_e32 v24, 0xffff, v1
.LBB31_4854:
	s_mov_b32 s9, 0
.LBB31_4855:
	s_delay_alu instid0(SALU_CYCLE_1)
	s_and_not1_b32 vcc_lo, exec_lo, s9
	s_cbranch_vccnz .LBB31_4861
; %bb.4856:
	global_load_u8 v1, v[32:33], off
	s_mov_b32 s22, 0
	s_mov_b32 s9, exec_lo
	s_wait_loadcnt 0x0
	v_cmpx_lt_i16_e32 0x7f, v1
	s_xor_b32 s9, exec_lo, s9
	s_cbranch_execz .LBB31_4873
; %bb.4857:
	v_cmp_ne_u16_e32 vcc_lo, 0x80, v1
	s_and_b32 s22, vcc_lo, exec_lo
	s_and_not1_saveexec_b32 s9, s9
	s_cbranch_execnz .LBB31_4874
.LBB31_4858:
	s_or_b32 exec_lo, exec_lo, s9
	v_mov_b64_e32 v[24:25], 0
	s_and_saveexec_b32 s9, s22
	s_cbranch_execz .LBB31_4860
.LBB31_4859:
	v_and_b32_e32 v3, 0xffff, v1
	s_delay_alu instid0(VALU_DEP_1) | instskip(SKIP_1) | instid1(VALU_DEP_2)
	v_dual_lshlrev_b32 v1, 24, v1 :: v_dual_bitop2_b32 v5, 7, v3 bitop3:0x40
	v_bfe_u32 v15, v3, 3, 4
	v_and_b32_e32 v1, 0x80000000, v1
	s_delay_alu instid0(VALU_DEP_3) | instskip(NEXT) | instid1(VALU_DEP_3)
	v_clz_i32_u32_e32 v7, v5
	v_cmp_eq_u32_e32 vcc_lo, 0, v15
	s_delay_alu instid0(VALU_DEP_2) | instskip(NEXT) | instid1(VALU_DEP_1)
	v_min_u32_e32 v7, 32, v7
	v_subrev_nc_u32_e32 v11, 28, v7
	v_sub_nc_u32_e32 v7, 29, v7
	s_delay_alu instid0(VALU_DEP_2) | instskip(NEXT) | instid1(VALU_DEP_2)
	v_lshlrev_b32_e32 v3, v11, v3
	v_cndmask_b32_e32 v7, v15, v7, vcc_lo
	s_delay_alu instid0(VALU_DEP_2) | instskip(NEXT) | instid1(VALU_DEP_1)
	v_and_b32_e32 v3, 7, v3
	v_cndmask_b32_e32 v3, v5, v3, vcc_lo
	s_delay_alu instid0(VALU_DEP_3) | instskip(NEXT) | instid1(VALU_DEP_2)
	v_lshl_add_u32 v5, v7, 23, 0x3b800000
	v_lshlrev_b32_e32 v3, 20, v3
	s_delay_alu instid0(VALU_DEP_1) | instskip(NEXT) | instid1(VALU_DEP_1)
	v_or3_b32 v1, v1, v5, v3
	v_trunc_f32_e32 v1, v1
	s_delay_alu instid0(VALU_DEP_1) | instskip(SKIP_1) | instid1(VALU_DEP_2)
	v_mul_f32_e64 v3, 0x2f800000, |v1|
	v_ashrrev_i32_e32 v24, 31, v1
	v_floor_f32_e32 v3, v3
	s_delay_alu instid0(VALU_DEP_2) | instskip(NEXT) | instid1(VALU_DEP_2)
	v_mov_b32_e32 v25, v24
	v_fma_f32 v5, 0xcf800000, v3, |v1|
	v_cvt_u32_f32_e32 v1, v3
	s_delay_alu instid0(VALU_DEP_2) | instskip(NEXT) | instid1(VALU_DEP_2)
	v_cvt_u32_f32_e32 v3, v5
	v_xor_b32_e32 v35, v1, v24
	s_delay_alu instid0(VALU_DEP_2) | instskip(NEXT) | instid1(VALU_DEP_1)
	v_xor_b32_e32 v34, v3, v24
	v_sub_nc_u64_e32 v[24:25], v[34:35], v[24:25]
.LBB31_4860:
	s_or_b32 exec_lo, exec_lo, s9
.LBB31_4861:
	s_mov_b32 s9, -1
.LBB31_4862:
	s_mov_b32 s22, 0
.LBB31_4863:
	s_delay_alu instid0(SALU_CYCLE_1)
	s_and_b32 vcc_lo, exec_lo, s22
	s_cbranch_vccz .LBB31_4894
; %bb.4864:
	s_cmp_gt_i32 s58, 22
	s_cbranch_scc0 .LBB31_4872
; %bb.4865:
	s_cmp_lt_i32 s58, 24
	s_cbranch_scc1 .LBB31_4875
; %bb.4866:
	s_cmp_gt_i32 s58, 24
	s_cbranch_scc0 .LBB31_4876
; %bb.4867:
	global_load_u8 v1, v[32:33], off
	s_mov_b32 s9, 0
	s_mov_b32 s1, exec_lo
	s_wait_loadcnt 0x0
	v_cmpx_lt_i16_e32 0x7f, v1
	s_xor_b32 s1, exec_lo, s1
	s_cbranch_execz .LBB31_4888
; %bb.4868:
	v_cmp_ne_u16_e32 vcc_lo, 0x80, v1
	s_and_b32 s9, vcc_lo, exec_lo
	s_and_not1_saveexec_b32 s1, s1
	s_cbranch_execnz .LBB31_4889
.LBB31_4869:
	s_or_b32 exec_lo, exec_lo, s1
	v_mov_b64_e32 v[24:25], 0
	s_and_saveexec_b32 s1, s9
	s_cbranch_execz .LBB31_4871
.LBB31_4870:
	v_and_b32_e32 v3, 0xffff, v1
	s_delay_alu instid0(VALU_DEP_1) | instskip(SKIP_1) | instid1(VALU_DEP_2)
	v_dual_lshlrev_b32 v1, 24, v1 :: v_dual_bitop2_b32 v5, 3, v3 bitop3:0x40
	v_bfe_u32 v15, v3, 2, 5
	v_and_b32_e32 v1, 0x80000000, v1
	s_delay_alu instid0(VALU_DEP_3) | instskip(NEXT) | instid1(VALU_DEP_3)
	v_clz_i32_u32_e32 v7, v5
	v_cmp_eq_u32_e32 vcc_lo, 0, v15
	s_delay_alu instid0(VALU_DEP_2) | instskip(NEXT) | instid1(VALU_DEP_1)
	v_min_u32_e32 v7, 32, v7
	v_subrev_nc_u32_e32 v11, 29, v7
	v_sub_nc_u32_e32 v7, 30, v7
	s_delay_alu instid0(VALU_DEP_2) | instskip(NEXT) | instid1(VALU_DEP_2)
	v_lshlrev_b32_e32 v3, v11, v3
	v_cndmask_b32_e32 v7, v15, v7, vcc_lo
	s_delay_alu instid0(VALU_DEP_2) | instskip(NEXT) | instid1(VALU_DEP_1)
	v_and_b32_e32 v3, 3, v3
	v_cndmask_b32_e32 v3, v5, v3, vcc_lo
	s_delay_alu instid0(VALU_DEP_3) | instskip(NEXT) | instid1(VALU_DEP_2)
	v_lshl_add_u32 v5, v7, 23, 0x37800000
	v_lshlrev_b32_e32 v3, 21, v3
	s_delay_alu instid0(VALU_DEP_1) | instskip(NEXT) | instid1(VALU_DEP_1)
	v_or3_b32 v1, v1, v5, v3
	v_trunc_f32_e32 v1, v1
	s_delay_alu instid0(VALU_DEP_1) | instskip(SKIP_1) | instid1(VALU_DEP_2)
	v_mul_f32_e64 v3, 0x2f800000, |v1|
	v_ashrrev_i32_e32 v24, 31, v1
	v_floor_f32_e32 v3, v3
	s_delay_alu instid0(VALU_DEP_2) | instskip(NEXT) | instid1(VALU_DEP_2)
	v_mov_b32_e32 v25, v24
	v_fma_f32 v5, 0xcf800000, v3, |v1|
	v_cvt_u32_f32_e32 v1, v3
	s_delay_alu instid0(VALU_DEP_2) | instskip(NEXT) | instid1(VALU_DEP_2)
	v_cvt_u32_f32_e32 v3, v5
	v_xor_b32_e32 v35, v1, v24
	s_delay_alu instid0(VALU_DEP_2) | instskip(NEXT) | instid1(VALU_DEP_1)
	v_xor_b32_e32 v34, v3, v24
	v_sub_nc_u64_e32 v[24:25], v[34:35], v[24:25]
.LBB31_4871:
	s_or_b32 exec_lo, exec_lo, s1
	s_mov_b32 s1, 0
	s_branch .LBB31_4877
.LBB31_4872:
	s_mov_b32 s1, -1
                                        ; implicit-def: $vgpr24_vgpr25
	s_branch .LBB31_4883
.LBB31_4873:
	s_and_not1_saveexec_b32 s9, s9
	s_cbranch_execz .LBB31_4858
.LBB31_4874:
	v_cmp_ne_u16_e32 vcc_lo, 0, v1
	s_and_not1_b32 s22, s22, exec_lo
	s_and_b32 s23, vcc_lo, exec_lo
	s_delay_alu instid0(SALU_CYCLE_1)
	s_or_b32 s22, s22, s23
	s_or_b32 exec_lo, exec_lo, s9
	v_mov_b64_e32 v[24:25], 0
	s_and_saveexec_b32 s9, s22
	s_cbranch_execnz .LBB31_4859
	s_branch .LBB31_4860
.LBB31_4875:
	s_mov_b32 s1, -1
                                        ; implicit-def: $vgpr24_vgpr25
	s_branch .LBB31_4880
.LBB31_4876:
	s_mov_b32 s1, -1
                                        ; implicit-def: $vgpr24_vgpr25
.LBB31_4877:
	s_delay_alu instid0(SALU_CYCLE_1)
	s_and_b32 vcc_lo, exec_lo, s1
	s_cbranch_vccz .LBB31_4879
; %bb.4878:
	global_load_u8 v1, v[32:33], off
	s_wait_loadcnt 0x0
	v_lshlrev_b32_e32 v1, 24, v1
	s_delay_alu instid0(VALU_DEP_1) | instskip(NEXT) | instid1(VALU_DEP_1)
	v_and_b32_e32 v3, 0x7f000000, v1
	v_clz_i32_u32_e32 v5, v3
	v_add_nc_u32_e32 v11, 0x1000000, v3
	v_cmp_ne_u32_e32 vcc_lo, 0, v3
	s_delay_alu instid0(VALU_DEP_3) | instskip(NEXT) | instid1(VALU_DEP_1)
	v_min_u32_e32 v5, 32, v5
	v_sub_nc_u32_e64 v5, v5, 4 clamp
	s_delay_alu instid0(VALU_DEP_1) | instskip(NEXT) | instid1(VALU_DEP_1)
	v_dual_lshlrev_b32 v7, v5, v3 :: v_dual_lshlrev_b32 v5, 23, v5
	v_lshrrev_b32_e32 v7, 4, v7
	s_delay_alu instid0(VALU_DEP_1) | instskip(NEXT) | instid1(VALU_DEP_1)
	v_dual_sub_nc_u32 v5, v7, v5 :: v_dual_ashrrev_i32 v7, 8, v11
	v_add_nc_u32_e32 v5, 0x3c000000, v5
	s_delay_alu instid0(VALU_DEP_1) | instskip(NEXT) | instid1(VALU_DEP_1)
	v_and_or_b32 v5, 0x7f800000, v7, v5
	v_cndmask_b32_e32 v3, 0, v5, vcc_lo
	s_delay_alu instid0(VALU_DEP_1) | instskip(NEXT) | instid1(VALU_DEP_1)
	v_and_or_b32 v1, 0x80000000, v1, v3
	v_trunc_f32_e32 v1, v1
	s_delay_alu instid0(VALU_DEP_1) | instskip(SKIP_1) | instid1(VALU_DEP_2)
	v_mul_f32_e64 v3, 0x2f800000, |v1|
	v_ashrrev_i32_e32 v24, 31, v1
	v_floor_f32_e32 v3, v3
	s_delay_alu instid0(VALU_DEP_2) | instskip(NEXT) | instid1(VALU_DEP_2)
	v_mov_b32_e32 v25, v24
	v_fma_f32 v5, 0xcf800000, v3, |v1|
	v_cvt_u32_f32_e32 v1, v3
	s_delay_alu instid0(VALU_DEP_2) | instskip(NEXT) | instid1(VALU_DEP_2)
	v_cvt_u32_f32_e32 v3, v5
	v_xor_b32_e32 v35, v1, v24
	s_delay_alu instid0(VALU_DEP_2) | instskip(NEXT) | instid1(VALU_DEP_1)
	v_xor_b32_e32 v34, v3, v24
	v_sub_nc_u64_e32 v[24:25], v[34:35], v[24:25]
.LBB31_4879:
	s_mov_b32 s1, 0
.LBB31_4880:
	s_delay_alu instid0(SALU_CYCLE_1)
	s_and_not1_b32 vcc_lo, exec_lo, s1
	s_cbranch_vccnz .LBB31_4882
; %bb.4881:
	global_load_u8 v1, v[32:33], off
	s_wait_loadcnt 0x0
	v_lshlrev_b32_e32 v3, 25, v1
	v_lshlrev_b16 v1, 8, v1
	s_delay_alu instid0(VALU_DEP_1) | instskip(SKIP_1) | instid1(VALU_DEP_2)
	v_and_or_b32 v7, 0x7f00, v1, 0.5
	v_bfe_i32 v1, v1, 0, 16
	v_add_f32_e32 v7, -0.5, v7
	v_lshrrev_b32_e32 v5, 4, v3
	v_cmp_gt_u32_e32 vcc_lo, 0x8000000, v3
	s_delay_alu instid0(VALU_DEP_2) | instskip(NEXT) | instid1(VALU_DEP_1)
	v_or_b32_e32 v5, 0x70000000, v5
	v_mul_f32_e32 v5, 0x7800000, v5
	s_delay_alu instid0(VALU_DEP_1) | instskip(NEXT) | instid1(VALU_DEP_1)
	v_cndmask_b32_e32 v3, v5, v7, vcc_lo
	v_and_or_b32 v1, 0x80000000, v1, v3
	s_delay_alu instid0(VALU_DEP_1) | instskip(NEXT) | instid1(VALU_DEP_1)
	v_trunc_f32_e32 v1, v1
	v_mul_f32_e64 v3, 0x2f800000, |v1|
	v_ashrrev_i32_e32 v24, 31, v1
	s_delay_alu instid0(VALU_DEP_2) | instskip(NEXT) | instid1(VALU_DEP_2)
	v_floor_f32_e32 v3, v3
	v_mov_b32_e32 v25, v24
	s_delay_alu instid0(VALU_DEP_2) | instskip(SKIP_1) | instid1(VALU_DEP_2)
	v_fma_f32 v5, 0xcf800000, v3, |v1|
	v_cvt_u32_f32_e32 v1, v3
	v_cvt_u32_f32_e32 v3, v5
	s_delay_alu instid0(VALU_DEP_2) | instskip(NEXT) | instid1(VALU_DEP_2)
	v_xor_b32_e32 v35, v1, v24
	v_xor_b32_e32 v34, v3, v24
	s_delay_alu instid0(VALU_DEP_1)
	v_sub_nc_u64_e32 v[24:25], v[34:35], v[24:25]
.LBB31_4882:
	s_mov_b32 s1, 0
	s_mov_b32 s9, -1
.LBB31_4883:
	s_and_not1_b32 vcc_lo, exec_lo, s1
	s_mov_b32 s1, 0
	s_cbranch_vccnz .LBB31_4894
; %bb.4884:
	s_cmp_gt_i32 s58, 14
	s_cbranch_scc0 .LBB31_4887
; %bb.4885:
	s_cmp_eq_u32 s58, 15
	s_cbranch_scc0 .LBB31_4890
; %bb.4886:
	global_load_u16 v1, v[32:33], off
	s_mov_b32 s0, 0
	s_mov_b32 s9, -1
	s_wait_loadcnt 0x0
	v_lshlrev_b32_e32 v1, 16, v1
	s_delay_alu instid0(VALU_DEP_1) | instskip(NEXT) | instid1(VALU_DEP_1)
	v_trunc_f32_e32 v1, v1
	v_mul_f32_e64 v3, 0x2f800000, |v1|
	v_ashrrev_i32_e32 v24, 31, v1
	s_delay_alu instid0(VALU_DEP_2) | instskip(NEXT) | instid1(VALU_DEP_2)
	v_floor_f32_e32 v3, v3
	v_mov_b32_e32 v25, v24
	s_delay_alu instid0(VALU_DEP_2) | instskip(SKIP_1) | instid1(VALU_DEP_2)
	v_fma_f32 v5, 0xcf800000, v3, |v1|
	v_cvt_u32_f32_e32 v1, v3
	v_cvt_u32_f32_e32 v3, v5
	s_delay_alu instid0(VALU_DEP_2) | instskip(NEXT) | instid1(VALU_DEP_2)
	v_xor_b32_e32 v35, v1, v24
	v_xor_b32_e32 v34, v3, v24
	s_delay_alu instid0(VALU_DEP_1)
	v_sub_nc_u64_e32 v[24:25], v[34:35], v[24:25]
	s_branch .LBB31_4892
.LBB31_4887:
	s_mov_b32 s1, -1
	s_branch .LBB31_4891
.LBB31_4888:
	s_and_not1_saveexec_b32 s1, s1
	s_cbranch_execz .LBB31_4869
.LBB31_4889:
	v_cmp_ne_u16_e32 vcc_lo, 0, v1
	s_and_not1_b32 s9, s9, exec_lo
	s_and_b32 s22, vcc_lo, exec_lo
	s_delay_alu instid0(SALU_CYCLE_1)
	s_or_b32 s9, s9, s22
	s_or_b32 exec_lo, exec_lo, s1
	v_mov_b64_e32 v[24:25], 0
	s_and_saveexec_b32 s1, s9
	s_cbranch_execnz .LBB31_4870
	s_branch .LBB31_4871
.LBB31_4890:
	s_mov_b32 s0, -1
.LBB31_4891:
                                        ; implicit-def: $vgpr24_vgpr25
.LBB31_4892:
	s_and_b32 vcc_lo, exec_lo, s1
	s_mov_b32 s1, 0
	s_cbranch_vccz .LBB31_4894
; %bb.4893:
	s_cmp_lg_u32 s58, 11
	s_mov_b32 s1, -1
	s_cselect_b32 s0, -1, 0
.LBB31_4894:
	s_delay_alu instid0(SALU_CYCLE_1)
	s_and_b32 vcc_lo, exec_lo, s0
	s_cbranch_vccnz .LBB31_4959
; %bb.4895:
	s_and_not1_b32 vcc_lo, exec_lo, s1
	s_cbranch_vccnz .LBB31_4897
.LBB31_4896:
	global_load_u8 v1, v[32:33], off
	s_mov_b32 s0, 0
	s_mov_b32 s9, -1
	s_wait_loadcnt 0x1
	v_mov_b32_e32 v25, s0
	s_wait_loadcnt 0x0
	v_cmp_ne_u16_e32 vcc_lo, 0, v1
	v_cndmask_b32_e64 v24, 0, 1, vcc_lo
.LBB31_4897:
	s_mov_b32 s0, 0
.LBB31_4898:
	s_delay_alu instid0(SALU_CYCLE_1)
	s_and_b32 vcc_lo, exec_lo, s0
	s_cbranch_vccz .LBB31_4947
; %bb.4899:
	s_cmp_lt_i32 s58, 5
	s_cbranch_scc1 .LBB31_4904
; %bb.4900:
	s_cmp_lt_i32 s58, 8
	s_cbranch_scc1 .LBB31_4905
	;; [unrolled: 3-line block ×3, first 2 shown]
; %bb.4902:
	s_cmp_gt_i32 s58, 9
	s_cbranch_scc0 .LBB31_4907
; %bb.4903:
	s_wait_loadcnt 0x0
	global_load_b64 v[24:25], v[32:33], off
	s_mov_b32 s0, 0
	s_wait_loadcnt 0x0
	v_trunc_f64_e32 v[24:25], v[24:25]
	s_delay_alu instid0(VALU_DEP_1) | instskip(NEXT) | instid1(VALU_DEP_1)
	v_ldexp_f64 v[34:35], v[24:25], 0xffffffe0
	v_floor_f64_e32 v[34:35], v[34:35]
	s_delay_alu instid0(VALU_DEP_1) | instskip(SKIP_1) | instid1(VALU_DEP_2)
	v_fmamk_f64 v[36:37], v[34:35], 0xc1f00000, v[24:25]
	v_cvt_i32_f64_e32 v25, v[34:35]
	v_cvt_u32_f64_e32 v24, v[36:37]
	s_branch .LBB31_4908
.LBB31_4904:
	s_mov_b32 s0, -1
                                        ; implicit-def: $vgpr24_vgpr25
	s_branch .LBB31_4926
.LBB31_4905:
	s_mov_b32 s0, -1
                                        ; implicit-def: $vgpr24_vgpr25
	s_branch .LBB31_4914
.LBB31_4906:
	s_mov_b32 s0, -1
                                        ; implicit-def: $vgpr24_vgpr25
	s_branch .LBB31_4911
.LBB31_4907:
	s_mov_b32 s0, -1
                                        ; implicit-def: $vgpr24_vgpr25
.LBB31_4908:
	s_delay_alu instid0(SALU_CYCLE_1)
	s_and_not1_b32 vcc_lo, exec_lo, s0
	s_cbranch_vccnz .LBB31_4910
; %bb.4909:
	global_load_b32 v1, v[32:33], off
	s_wait_loadcnt 0x0
	v_trunc_f32_e32 v1, v1
	s_delay_alu instid0(VALU_DEP_1) | instskip(SKIP_1) | instid1(VALU_DEP_2)
	v_mul_f32_e64 v3, 0x2f800000, |v1|
	v_ashrrev_i32_e32 v24, 31, v1
	v_floor_f32_e32 v3, v3
	s_delay_alu instid0(VALU_DEP_1) | instskip(SKIP_1) | instid1(VALU_DEP_4)
	v_fma_f32 v5, 0xcf800000, v3, |v1|
	v_cvt_u32_f32_e32 v1, v3
	v_mov_b32_e32 v25, v24
	s_delay_alu instid0(VALU_DEP_3) | instskip(NEXT) | instid1(VALU_DEP_3)
	v_cvt_u32_f32_e32 v3, v5
	v_xor_b32_e32 v35, v1, v24
	s_delay_alu instid0(VALU_DEP_2) | instskip(NEXT) | instid1(VALU_DEP_1)
	v_xor_b32_e32 v34, v3, v24
	v_sub_nc_u64_e32 v[24:25], v[34:35], v[24:25]
.LBB31_4910:
	s_mov_b32 s0, 0
.LBB31_4911:
	s_delay_alu instid0(SALU_CYCLE_1)
	s_and_not1_b32 vcc_lo, exec_lo, s0
	s_cbranch_vccnz .LBB31_4913
; %bb.4912:
	global_load_b32 v1, v[32:33], off
	s_wait_loadcnt 0x0
	v_cvt_f32_f16_e32 v1, v1
	s_delay_alu instid0(VALU_DEP_1) | instskip(NEXT) | instid1(VALU_DEP_1)
	v_cvt_i32_f32_e32 v24, v1
	v_ashrrev_i32_e32 v25, 31, v24
.LBB31_4913:
	s_mov_b32 s0, 0
.LBB31_4914:
	s_delay_alu instid0(SALU_CYCLE_1)
	s_and_not1_b32 vcc_lo, exec_lo, s0
	s_cbranch_vccnz .LBB31_4925
; %bb.4915:
	s_cmp_lt_i32 s58, 6
	s_cbranch_scc1 .LBB31_4918
; %bb.4916:
	s_cmp_gt_i32 s58, 6
	s_cbranch_scc0 .LBB31_4919
; %bb.4917:
	s_wait_loadcnt 0x0
	global_load_b64 v[24:25], v[32:33], off
	s_mov_b32 s0, 0
	s_wait_loadcnt 0x0
	v_trunc_f64_e32 v[24:25], v[24:25]
	s_delay_alu instid0(VALU_DEP_1) | instskip(NEXT) | instid1(VALU_DEP_1)
	v_ldexp_f64 v[34:35], v[24:25], 0xffffffe0
	v_floor_f64_e32 v[34:35], v[34:35]
	s_delay_alu instid0(VALU_DEP_1) | instskip(SKIP_1) | instid1(VALU_DEP_2)
	v_fmamk_f64 v[36:37], v[34:35], 0xc1f00000, v[24:25]
	v_cvt_i32_f64_e32 v25, v[34:35]
	v_cvt_u32_f64_e32 v24, v[36:37]
	s_branch .LBB31_4920
.LBB31_4918:
	s_mov_b32 s0, -1
                                        ; implicit-def: $vgpr24_vgpr25
	s_branch .LBB31_4923
.LBB31_4919:
	s_mov_b32 s0, -1
                                        ; implicit-def: $vgpr24_vgpr25
.LBB31_4920:
	s_delay_alu instid0(SALU_CYCLE_1)
	s_and_not1_b32 vcc_lo, exec_lo, s0
	s_cbranch_vccnz .LBB31_4922
; %bb.4921:
	global_load_b32 v1, v[32:33], off
	s_wait_loadcnt 0x0
	v_trunc_f32_e32 v1, v1
	s_delay_alu instid0(VALU_DEP_1) | instskip(SKIP_1) | instid1(VALU_DEP_2)
	v_mul_f32_e64 v3, 0x2f800000, |v1|
	v_ashrrev_i32_e32 v24, 31, v1
	v_floor_f32_e32 v3, v3
	s_delay_alu instid0(VALU_DEP_1) | instskip(SKIP_1) | instid1(VALU_DEP_4)
	v_fma_f32 v5, 0xcf800000, v3, |v1|
	v_cvt_u32_f32_e32 v1, v3
	v_mov_b32_e32 v25, v24
	s_delay_alu instid0(VALU_DEP_3) | instskip(NEXT) | instid1(VALU_DEP_3)
	v_cvt_u32_f32_e32 v3, v5
	v_xor_b32_e32 v35, v1, v24
	s_delay_alu instid0(VALU_DEP_2) | instskip(NEXT) | instid1(VALU_DEP_1)
	v_xor_b32_e32 v34, v3, v24
	v_sub_nc_u64_e32 v[24:25], v[34:35], v[24:25]
.LBB31_4922:
	s_mov_b32 s0, 0
.LBB31_4923:
	s_delay_alu instid0(SALU_CYCLE_1)
	s_and_not1_b32 vcc_lo, exec_lo, s0
	s_cbranch_vccnz .LBB31_4925
; %bb.4924:
	global_load_u16 v1, v[32:33], off
	s_wait_loadcnt 0x0
	v_cvt_f32_f16_e32 v1, v1
	s_delay_alu instid0(VALU_DEP_1) | instskip(NEXT) | instid1(VALU_DEP_1)
	v_cvt_i32_f32_e32 v24, v1
	v_ashrrev_i32_e32 v25, 31, v24
.LBB31_4925:
	s_mov_b32 s0, 0
.LBB31_4926:
	s_delay_alu instid0(SALU_CYCLE_1)
	s_and_not1_b32 vcc_lo, exec_lo, s0
	s_cbranch_vccnz .LBB31_4946
; %bb.4927:
	s_cmp_lt_i32 s58, 2
	s_cbranch_scc1 .LBB31_4931
; %bb.4928:
	s_cmp_lt_i32 s58, 3
	s_cbranch_scc1 .LBB31_4932
; %bb.4929:
	s_cmp_gt_i32 s58, 3
	s_cbranch_scc0 .LBB31_4933
; %bb.4930:
	s_wait_loadcnt 0x0
	global_load_b64 v[24:25], v[32:33], off
	s_mov_b32 s0, 0
	s_branch .LBB31_4934
.LBB31_4931:
	s_mov_b32 s0, -1
                                        ; implicit-def: $vgpr24_vgpr25
	s_branch .LBB31_4940
.LBB31_4932:
	s_mov_b32 s0, -1
                                        ; implicit-def: $vgpr24_vgpr25
	s_branch .LBB31_4937
.LBB31_4933:
	s_mov_b32 s0, -1
                                        ; implicit-def: $vgpr24_vgpr25
.LBB31_4934:
	s_delay_alu instid0(SALU_CYCLE_1)
	s_and_not1_b32 vcc_lo, exec_lo, s0
	s_cbranch_vccnz .LBB31_4936
; %bb.4935:
	s_wait_loadcnt 0x0
	global_load_b32 v24, v[32:33], off
	s_wait_loadcnt 0x0
	v_ashrrev_i32_e32 v25, 31, v24
.LBB31_4936:
	s_mov_b32 s0, 0
.LBB31_4937:
	s_delay_alu instid0(SALU_CYCLE_1)
	s_and_not1_b32 vcc_lo, exec_lo, s0
	s_cbranch_vccnz .LBB31_4939
; %bb.4938:
	global_load_u16 v1, v[32:33], off
	s_wait_loadcnt 0x0
	v_bfe_i32 v24, v1, 0, 16
	s_delay_alu instid0(VALU_DEP_1)
	v_ashrrev_i32_e32 v25, 31, v24
.LBB31_4939:
	s_mov_b32 s0, 0
.LBB31_4940:
	s_delay_alu instid0(SALU_CYCLE_1)
	s_and_not1_b32 vcc_lo, exec_lo, s0
	s_cbranch_vccnz .LBB31_4946
; %bb.4941:
	s_cmp_gt_i32 s58, 0
	s_mov_b32 s0, 0
	s_cbranch_scc0 .LBB31_4943
; %bb.4942:
	global_load_i8 v1, v[32:33], off
	s_wait_loadcnt 0x0
	v_bfe_i32 v24, v1, 0, 16
	s_delay_alu instid0(VALU_DEP_1)
	v_ashrrev_i32_e32 v25, 31, v24
	s_branch .LBB31_4944
.LBB31_4943:
	s_mov_b32 s0, -1
                                        ; implicit-def: $vgpr24_vgpr25
.LBB31_4944:
	s_delay_alu instid0(SALU_CYCLE_1)
	s_and_not1_b32 vcc_lo, exec_lo, s0
	s_cbranch_vccnz .LBB31_4946
; %bb.4945:
	global_load_u8 v1, v[32:33], off
	s_mov_b32 s0, 0
	s_wait_loadcnt 0x1
	v_mov_b32_e32 v25, s0
	s_wait_loadcnt 0x0
	v_and_b32_e32 v24, 0xffff, v1
.LBB31_4946:
	s_mov_b32 s9, -1
.LBB31_4947:
	s_delay_alu instid0(SALU_CYCLE_1)
	s_and_not1_b32 vcc_lo, exec_lo, s9
	s_cbranch_vccnz .LBB31_5083
; %bb.4948:
	v_mov_b32_e32 v23, 0
	s_cmp_lt_i32 s59, 11
	s_delay_alu instid0(VALU_DEP_1)
	v_add_nc_u64_e32 v[22:23], s[16:17], v[22:23]
	s_cbranch_scc1 .LBB31_4955
; %bb.4949:
	s_cmp_gt_i32 s59, 25
	s_mov_b32 s1, 0
	s_cbranch_scc0 .LBB31_4956
; %bb.4950:
	s_cmp_gt_i32 s59, 28
	s_cbranch_scc0 .LBB31_4957
; %bb.4951:
	s_cmp_gt_i32 s59, 43
	;; [unrolled: 3-line block ×3, first 2 shown]
	s_cbranch_scc0 .LBB31_4960
; %bb.4953:
	s_cmp_eq_u32 s59, 46
	s_mov_b32 s22, 0
	s_cbranch_scc0 .LBB31_4961
; %bb.4954:
	global_load_b32 v1, v[22:23], off
	s_mov_b32 s0, 0
	s_mov_b32 s9, -1
	s_wait_loadcnt 0x0
	v_lshlrev_b32_e32 v1, 16, v1
	s_delay_alu instid0(VALU_DEP_1) | instskip(NEXT) | instid1(VALU_DEP_1)
	v_trunc_f32_e32 v1, v1
	v_mul_f32_e64 v3, 0x2f800000, |v1|
	s_wait_xcnt 0x1
	v_ashrrev_i32_e32 v32, 31, v1
	s_delay_alu instid0(VALU_DEP_2) | instskip(NEXT) | instid1(VALU_DEP_2)
	v_floor_f32_e32 v3, v3
	v_mov_b32_e32 v33, v32
	s_delay_alu instid0(VALU_DEP_2) | instskip(SKIP_1) | instid1(VALU_DEP_2)
	v_fma_f32 v5, 0xcf800000, v3, |v1|
	v_cvt_u32_f32_e32 v1, v3
	v_cvt_u32_f32_e32 v3, v5
	s_delay_alu instid0(VALU_DEP_2) | instskip(NEXT) | instid1(VALU_DEP_2)
	v_xor_b32_e32 v35, v1, v32
	v_xor_b32_e32 v34, v3, v32
	s_delay_alu instid0(VALU_DEP_1)
	v_sub_nc_u64_e32 v[32:33], v[34:35], v[32:33]
	s_branch .LBB31_4963
.LBB31_4955:
	s_mov_b32 s0, -1
	s_mov_b32 s9, 0
                                        ; implicit-def: $vgpr32_vgpr33
	s_branch .LBB31_5025
.LBB31_4956:
	s_mov_b32 s22, -1
	s_mov_b32 s9, 0
	s_mov_b32 s0, 0
                                        ; implicit-def: $vgpr32_vgpr33
	s_branch .LBB31_4990
.LBB31_4957:
	s_mov_b32 s22, -1
	s_mov_b32 s9, 0
	s_mov_b32 s0, 0
                                        ; implicit-def: $vgpr32_vgpr33
	s_branch .LBB31_4973
.LBB31_4958:
	s_mov_b32 s22, -1
	s_mov_b32 s9, 0
	s_mov_b32 s0, 0
                                        ; implicit-def: $vgpr32_vgpr33
	s_branch .LBB31_4968
.LBB31_4959:
	s_or_b32 s54, s54, exec_lo
	s_trap 2
	s_cbranch_execz .LBB31_4896
	s_branch .LBB31_4897
.LBB31_4960:
	s_mov_b32 s22, -1
	s_mov_b32 s9, 0
	s_mov_b32 s0, 0
	s_branch .LBB31_4962
.LBB31_4961:
	s_mov_b32 s0, -1
	s_mov_b32 s9, 0
.LBB31_4962:
                                        ; implicit-def: $vgpr32_vgpr33
.LBB31_4963:
	s_and_b32 vcc_lo, exec_lo, s22
	s_cbranch_vccz .LBB31_4967
; %bb.4964:
	s_cmp_eq_u32 s59, 44
	s_cbranch_scc0 .LBB31_4966
; %bb.4965:
	global_load_u8 v1, v[22:23], off
	s_mov_b32 s0, 0
	s_mov_b32 s9, -1
	s_wait_loadcnt 0x0
	v_lshlrev_b32_e32 v3, 23, v1
	v_cmp_ne_u32_e32 vcc_lo, 0, v1
	s_delay_alu instid0(VALU_DEP_2) | instskip(NEXT) | instid1(VALU_DEP_1)
	v_trunc_f32_e32 v3, v3
	v_mul_f32_e64 v5, 0x2f800000, |v3|
	s_wait_xcnt 0x1
	v_ashrrev_i32_e32 v32, 31, v3
	s_delay_alu instid0(VALU_DEP_2) | instskip(NEXT) | instid1(VALU_DEP_2)
	v_floor_f32_e32 v5, v5
	v_mov_b32_e32 v33, v32
	s_delay_alu instid0(VALU_DEP_2) | instskip(SKIP_1) | instid1(VALU_DEP_2)
	v_fma_f32 v7, 0xcf800000, v5, |v3|
	v_cvt_u32_f32_e32 v3, v5
	v_cvt_u32_f32_e32 v5, v7
	s_delay_alu instid0(VALU_DEP_2) | instskip(NEXT) | instid1(VALU_DEP_2)
	v_xor_b32_e32 v35, v3, v32
	v_xor_b32_e32 v34, v5, v32
	s_delay_alu instid0(VALU_DEP_1) | instskip(NEXT) | instid1(VALU_DEP_1)
	v_sub_nc_u64_e32 v[32:33], v[34:35], v[32:33]
	v_dual_cndmask_b32 v33, 0, v33 :: v_dual_cndmask_b32 v32, 0, v32
	s_branch .LBB31_4967
.LBB31_4966:
	s_mov_b32 s0, -1
                                        ; implicit-def: $vgpr32_vgpr33
.LBB31_4967:
	s_mov_b32 s22, 0
.LBB31_4968:
	s_delay_alu instid0(SALU_CYCLE_1)
	s_and_b32 vcc_lo, exec_lo, s22
	s_cbranch_vccz .LBB31_4972
; %bb.4969:
	s_cmp_eq_u32 s59, 29
	s_cbranch_scc0 .LBB31_4971
; %bb.4970:
	global_load_b64 v[32:33], v[22:23], off
	s_mov_b32 s0, 0
	s_mov_b32 s9, -1
	s_branch .LBB31_4972
.LBB31_4971:
	s_mov_b32 s0, -1
                                        ; implicit-def: $vgpr32_vgpr33
.LBB31_4972:
	s_mov_b32 s22, 0
.LBB31_4973:
	s_delay_alu instid0(SALU_CYCLE_1)
	s_and_b32 vcc_lo, exec_lo, s22
	s_cbranch_vccz .LBB31_4989
; %bb.4974:
	s_cmp_lt_i32 s59, 27
	s_cbranch_scc1 .LBB31_4977
; %bb.4975:
	s_cmp_gt_i32 s59, 27
	s_cbranch_scc0 .LBB31_4978
; %bb.4976:
	s_wait_loadcnt 0x0
	global_load_b32 v32, v[22:23], off
	v_mov_b32_e32 v33, 0
	s_mov_b32 s9, 0
	s_branch .LBB31_4979
.LBB31_4977:
	s_mov_b32 s9, -1
                                        ; implicit-def: $vgpr32_vgpr33
	s_branch .LBB31_4982
.LBB31_4978:
	s_mov_b32 s9, -1
                                        ; implicit-def: $vgpr32_vgpr33
.LBB31_4979:
	s_delay_alu instid0(SALU_CYCLE_1)
	s_and_not1_b32 vcc_lo, exec_lo, s9
	s_cbranch_vccnz .LBB31_4981
; %bb.4980:
	global_load_u16 v1, v[22:23], off
	s_mov_b32 s9, 0
	s_wait_loadcnt 0x1
	s_wait_xcnt 0x1
	v_mov_b32_e32 v33, s9
	s_wait_loadcnt 0x0
	v_and_b32_e32 v32, 0xffff, v1
.LBB31_4981:
	s_mov_b32 s9, 0
.LBB31_4982:
	s_delay_alu instid0(SALU_CYCLE_1)
	s_and_not1_b32 vcc_lo, exec_lo, s9
	s_cbranch_vccnz .LBB31_4988
; %bb.4983:
	global_load_u8 v1, v[22:23], off
	s_mov_b32 s22, 0
	s_mov_b32 s9, exec_lo
	s_wait_loadcnt 0x0
	v_cmpx_lt_i16_e32 0x7f, v1
	s_xor_b32 s9, exec_lo, s9
	s_cbranch_execz .LBB31_5000
; %bb.4984:
	v_cmp_ne_u16_e32 vcc_lo, 0x80, v1
	s_and_b32 s22, vcc_lo, exec_lo
	s_and_not1_saveexec_b32 s9, s9
	s_cbranch_execnz .LBB31_5001
.LBB31_4985:
	s_or_b32 exec_lo, exec_lo, s9
	v_mov_b64_e32 v[32:33], 0
	s_and_saveexec_b32 s9, s22
	s_cbranch_execz .LBB31_4987
.LBB31_4986:
	v_and_b32_e32 v3, 0xffff, v1
	s_delay_alu instid0(VALU_DEP_1) | instskip(SKIP_1) | instid1(VALU_DEP_2)
	v_dual_lshlrev_b32 v1, 24, v1 :: v_dual_bitop2_b32 v5, 7, v3 bitop3:0x40
	v_bfe_u32 v15, v3, 3, 4
	v_and_b32_e32 v1, 0x80000000, v1
	s_delay_alu instid0(VALU_DEP_3) | instskip(NEXT) | instid1(VALU_DEP_3)
	v_clz_i32_u32_e32 v7, v5
	v_cmp_eq_u32_e32 vcc_lo, 0, v15
	s_delay_alu instid0(VALU_DEP_2) | instskip(NEXT) | instid1(VALU_DEP_1)
	v_min_u32_e32 v7, 32, v7
	v_subrev_nc_u32_e32 v11, 28, v7
	v_sub_nc_u32_e32 v7, 29, v7
	s_delay_alu instid0(VALU_DEP_2) | instskip(NEXT) | instid1(VALU_DEP_2)
	v_lshlrev_b32_e32 v3, v11, v3
	v_cndmask_b32_e32 v7, v15, v7, vcc_lo
	s_delay_alu instid0(VALU_DEP_2) | instskip(NEXT) | instid1(VALU_DEP_1)
	v_and_b32_e32 v3, 7, v3
	v_cndmask_b32_e32 v3, v5, v3, vcc_lo
	s_delay_alu instid0(VALU_DEP_3) | instskip(NEXT) | instid1(VALU_DEP_2)
	v_lshl_add_u32 v5, v7, 23, 0x3b800000
	v_lshlrev_b32_e32 v3, 20, v3
	s_delay_alu instid0(VALU_DEP_1) | instskip(NEXT) | instid1(VALU_DEP_1)
	v_or3_b32 v1, v1, v5, v3
	v_trunc_f32_e32 v1, v1
	s_delay_alu instid0(VALU_DEP_1) | instskip(SKIP_1) | instid1(VALU_DEP_2)
	v_mul_f32_e64 v3, 0x2f800000, |v1|
	v_ashrrev_i32_e32 v32, 31, v1
	v_floor_f32_e32 v3, v3
	s_delay_alu instid0(VALU_DEP_2) | instskip(NEXT) | instid1(VALU_DEP_2)
	v_mov_b32_e32 v33, v32
	v_fma_f32 v5, 0xcf800000, v3, |v1|
	v_cvt_u32_f32_e32 v1, v3
	s_delay_alu instid0(VALU_DEP_2) | instskip(NEXT) | instid1(VALU_DEP_2)
	v_cvt_u32_f32_e32 v3, v5
	v_xor_b32_e32 v35, v1, v32
	s_delay_alu instid0(VALU_DEP_2) | instskip(NEXT) | instid1(VALU_DEP_1)
	v_xor_b32_e32 v34, v3, v32
	v_sub_nc_u64_e32 v[32:33], v[34:35], v[32:33]
.LBB31_4987:
	s_or_b32 exec_lo, exec_lo, s9
.LBB31_4988:
	s_mov_b32 s9, -1
.LBB31_4989:
	s_mov_b32 s22, 0
.LBB31_4990:
	s_delay_alu instid0(SALU_CYCLE_1)
	s_and_b32 vcc_lo, exec_lo, s22
	s_cbranch_vccz .LBB31_5021
; %bb.4991:
	s_cmp_gt_i32 s59, 22
	s_cbranch_scc0 .LBB31_4999
; %bb.4992:
	s_cmp_lt_i32 s59, 24
	s_cbranch_scc1 .LBB31_5002
; %bb.4993:
	s_cmp_gt_i32 s59, 24
	s_cbranch_scc0 .LBB31_5003
; %bb.4994:
	global_load_u8 v1, v[22:23], off
	s_mov_b32 s9, 0
	s_mov_b32 s1, exec_lo
	s_wait_loadcnt 0x0
	v_cmpx_lt_i16_e32 0x7f, v1
	s_xor_b32 s1, exec_lo, s1
	s_cbranch_execz .LBB31_5015
; %bb.4995:
	v_cmp_ne_u16_e32 vcc_lo, 0x80, v1
	s_and_b32 s9, vcc_lo, exec_lo
	s_and_not1_saveexec_b32 s1, s1
	s_cbranch_execnz .LBB31_5016
.LBB31_4996:
	s_or_b32 exec_lo, exec_lo, s1
	v_mov_b64_e32 v[32:33], 0
	s_and_saveexec_b32 s1, s9
	s_cbranch_execz .LBB31_4998
.LBB31_4997:
	v_and_b32_e32 v3, 0xffff, v1
	s_delay_alu instid0(VALU_DEP_1) | instskip(SKIP_1) | instid1(VALU_DEP_2)
	v_dual_lshlrev_b32 v1, 24, v1 :: v_dual_bitop2_b32 v5, 3, v3 bitop3:0x40
	v_bfe_u32 v15, v3, 2, 5
	v_and_b32_e32 v1, 0x80000000, v1
	s_delay_alu instid0(VALU_DEP_3) | instskip(NEXT) | instid1(VALU_DEP_3)
	v_clz_i32_u32_e32 v7, v5
	v_cmp_eq_u32_e32 vcc_lo, 0, v15
	s_delay_alu instid0(VALU_DEP_2) | instskip(NEXT) | instid1(VALU_DEP_1)
	v_min_u32_e32 v7, 32, v7
	v_subrev_nc_u32_e32 v11, 29, v7
	v_sub_nc_u32_e32 v7, 30, v7
	s_delay_alu instid0(VALU_DEP_2) | instskip(NEXT) | instid1(VALU_DEP_2)
	v_lshlrev_b32_e32 v3, v11, v3
	v_cndmask_b32_e32 v7, v15, v7, vcc_lo
	s_delay_alu instid0(VALU_DEP_2) | instskip(NEXT) | instid1(VALU_DEP_1)
	v_and_b32_e32 v3, 3, v3
	v_cndmask_b32_e32 v3, v5, v3, vcc_lo
	s_delay_alu instid0(VALU_DEP_3) | instskip(NEXT) | instid1(VALU_DEP_2)
	v_lshl_add_u32 v5, v7, 23, 0x37800000
	v_lshlrev_b32_e32 v3, 21, v3
	s_delay_alu instid0(VALU_DEP_1) | instskip(NEXT) | instid1(VALU_DEP_1)
	v_or3_b32 v1, v1, v5, v3
	v_trunc_f32_e32 v1, v1
	s_delay_alu instid0(VALU_DEP_1) | instskip(SKIP_1) | instid1(VALU_DEP_2)
	v_mul_f32_e64 v3, 0x2f800000, |v1|
	v_ashrrev_i32_e32 v32, 31, v1
	v_floor_f32_e32 v3, v3
	s_delay_alu instid0(VALU_DEP_2) | instskip(NEXT) | instid1(VALU_DEP_2)
	v_mov_b32_e32 v33, v32
	v_fma_f32 v5, 0xcf800000, v3, |v1|
	v_cvt_u32_f32_e32 v1, v3
	s_delay_alu instid0(VALU_DEP_2) | instskip(NEXT) | instid1(VALU_DEP_2)
	v_cvt_u32_f32_e32 v3, v5
	v_xor_b32_e32 v35, v1, v32
	s_delay_alu instid0(VALU_DEP_2) | instskip(NEXT) | instid1(VALU_DEP_1)
	v_xor_b32_e32 v34, v3, v32
	v_sub_nc_u64_e32 v[32:33], v[34:35], v[32:33]
.LBB31_4998:
	s_or_b32 exec_lo, exec_lo, s1
	s_mov_b32 s1, 0
	s_branch .LBB31_5004
.LBB31_4999:
	s_mov_b32 s1, -1
                                        ; implicit-def: $vgpr32_vgpr33
	s_branch .LBB31_5010
.LBB31_5000:
	s_and_not1_saveexec_b32 s9, s9
	s_cbranch_execz .LBB31_4985
.LBB31_5001:
	v_cmp_ne_u16_e32 vcc_lo, 0, v1
	s_and_not1_b32 s22, s22, exec_lo
	s_and_b32 s23, vcc_lo, exec_lo
	s_delay_alu instid0(SALU_CYCLE_1)
	s_or_b32 s22, s22, s23
	s_or_b32 exec_lo, exec_lo, s9
	v_mov_b64_e32 v[32:33], 0
	s_and_saveexec_b32 s9, s22
	s_cbranch_execnz .LBB31_4986
	s_branch .LBB31_4987
.LBB31_5002:
	s_mov_b32 s1, -1
                                        ; implicit-def: $vgpr32_vgpr33
	s_branch .LBB31_5007
.LBB31_5003:
	s_mov_b32 s1, -1
                                        ; implicit-def: $vgpr32_vgpr33
.LBB31_5004:
	s_delay_alu instid0(SALU_CYCLE_1)
	s_and_b32 vcc_lo, exec_lo, s1
	s_cbranch_vccz .LBB31_5006
; %bb.5005:
	global_load_u8 v1, v[22:23], off
	s_wait_loadcnt 0x0
	v_lshlrev_b32_e32 v1, 24, v1
	s_delay_alu instid0(VALU_DEP_1) | instskip(NEXT) | instid1(VALU_DEP_1)
	v_and_b32_e32 v3, 0x7f000000, v1
	v_clz_i32_u32_e32 v5, v3
	v_add_nc_u32_e32 v11, 0x1000000, v3
	v_cmp_ne_u32_e32 vcc_lo, 0, v3
	s_delay_alu instid0(VALU_DEP_3) | instskip(NEXT) | instid1(VALU_DEP_1)
	v_min_u32_e32 v5, 32, v5
	v_sub_nc_u32_e64 v5, v5, 4 clamp
	s_delay_alu instid0(VALU_DEP_1) | instskip(NEXT) | instid1(VALU_DEP_1)
	v_dual_lshlrev_b32 v7, v5, v3 :: v_dual_lshlrev_b32 v5, 23, v5
	v_lshrrev_b32_e32 v7, 4, v7
	s_delay_alu instid0(VALU_DEP_1) | instskip(NEXT) | instid1(VALU_DEP_1)
	v_dual_sub_nc_u32 v5, v7, v5 :: v_dual_ashrrev_i32 v7, 8, v11
	v_add_nc_u32_e32 v5, 0x3c000000, v5
	s_delay_alu instid0(VALU_DEP_1) | instskip(NEXT) | instid1(VALU_DEP_1)
	v_and_or_b32 v5, 0x7f800000, v7, v5
	v_cndmask_b32_e32 v3, 0, v5, vcc_lo
	s_delay_alu instid0(VALU_DEP_1) | instskip(NEXT) | instid1(VALU_DEP_1)
	v_and_or_b32 v1, 0x80000000, v1, v3
	v_trunc_f32_e32 v1, v1
	s_delay_alu instid0(VALU_DEP_1) | instskip(SKIP_2) | instid1(VALU_DEP_2)
	v_mul_f32_e64 v3, 0x2f800000, |v1|
	s_wait_xcnt 0x1
	v_ashrrev_i32_e32 v32, 31, v1
	v_floor_f32_e32 v3, v3
	s_delay_alu instid0(VALU_DEP_2) | instskip(NEXT) | instid1(VALU_DEP_2)
	v_mov_b32_e32 v33, v32
	v_fma_f32 v5, 0xcf800000, v3, |v1|
	v_cvt_u32_f32_e32 v1, v3
	s_delay_alu instid0(VALU_DEP_2) | instskip(NEXT) | instid1(VALU_DEP_2)
	v_cvt_u32_f32_e32 v3, v5
	v_xor_b32_e32 v35, v1, v32
	s_delay_alu instid0(VALU_DEP_2) | instskip(NEXT) | instid1(VALU_DEP_1)
	v_xor_b32_e32 v34, v3, v32
	v_sub_nc_u64_e32 v[32:33], v[34:35], v[32:33]
.LBB31_5006:
	s_mov_b32 s1, 0
.LBB31_5007:
	s_delay_alu instid0(SALU_CYCLE_1)
	s_and_not1_b32 vcc_lo, exec_lo, s1
	s_cbranch_vccnz .LBB31_5009
; %bb.5008:
	global_load_u8 v1, v[22:23], off
	s_wait_loadcnt 0x0
	v_lshlrev_b32_e32 v3, 25, v1
	v_lshlrev_b16 v1, 8, v1
	s_delay_alu instid0(VALU_DEP_1) | instskip(SKIP_1) | instid1(VALU_DEP_2)
	v_and_or_b32 v7, 0x7f00, v1, 0.5
	v_bfe_i32 v1, v1, 0, 16
	v_add_f32_e32 v7, -0.5, v7
	v_lshrrev_b32_e32 v5, 4, v3
	v_cmp_gt_u32_e32 vcc_lo, 0x8000000, v3
	s_delay_alu instid0(VALU_DEP_2) | instskip(NEXT) | instid1(VALU_DEP_1)
	v_or_b32_e32 v5, 0x70000000, v5
	v_mul_f32_e32 v5, 0x7800000, v5
	s_delay_alu instid0(VALU_DEP_1) | instskip(NEXT) | instid1(VALU_DEP_1)
	v_cndmask_b32_e32 v3, v5, v7, vcc_lo
	v_and_or_b32 v1, 0x80000000, v1, v3
	s_delay_alu instid0(VALU_DEP_1) | instskip(NEXT) | instid1(VALU_DEP_1)
	v_trunc_f32_e32 v1, v1
	v_mul_f32_e64 v3, 0x2f800000, |v1|
	s_wait_xcnt 0x1
	v_ashrrev_i32_e32 v32, 31, v1
	s_delay_alu instid0(VALU_DEP_2) | instskip(NEXT) | instid1(VALU_DEP_2)
	v_floor_f32_e32 v3, v3
	v_mov_b32_e32 v33, v32
	s_delay_alu instid0(VALU_DEP_2) | instskip(SKIP_1) | instid1(VALU_DEP_2)
	v_fma_f32 v5, 0xcf800000, v3, |v1|
	v_cvt_u32_f32_e32 v1, v3
	v_cvt_u32_f32_e32 v3, v5
	s_delay_alu instid0(VALU_DEP_2) | instskip(NEXT) | instid1(VALU_DEP_2)
	v_xor_b32_e32 v35, v1, v32
	v_xor_b32_e32 v34, v3, v32
	s_delay_alu instid0(VALU_DEP_1)
	v_sub_nc_u64_e32 v[32:33], v[34:35], v[32:33]
.LBB31_5009:
	s_mov_b32 s1, 0
	s_mov_b32 s9, -1
.LBB31_5010:
	s_and_not1_b32 vcc_lo, exec_lo, s1
	s_mov_b32 s1, 0
	s_cbranch_vccnz .LBB31_5021
; %bb.5011:
	s_cmp_gt_i32 s59, 14
	s_cbranch_scc0 .LBB31_5014
; %bb.5012:
	s_cmp_eq_u32 s59, 15
	s_cbranch_scc0 .LBB31_5017
; %bb.5013:
	global_load_u16 v1, v[22:23], off
	s_mov_b32 s0, 0
	s_mov_b32 s9, -1
	s_wait_loadcnt 0x0
	v_lshlrev_b32_e32 v1, 16, v1
	s_delay_alu instid0(VALU_DEP_1) | instskip(NEXT) | instid1(VALU_DEP_1)
	v_trunc_f32_e32 v1, v1
	v_mul_f32_e64 v3, 0x2f800000, |v1|
	s_wait_xcnt 0x1
	v_ashrrev_i32_e32 v32, 31, v1
	s_delay_alu instid0(VALU_DEP_2) | instskip(NEXT) | instid1(VALU_DEP_2)
	v_floor_f32_e32 v3, v3
	v_mov_b32_e32 v33, v32
	s_delay_alu instid0(VALU_DEP_2) | instskip(SKIP_1) | instid1(VALU_DEP_2)
	v_fma_f32 v5, 0xcf800000, v3, |v1|
	v_cvt_u32_f32_e32 v1, v3
	v_cvt_u32_f32_e32 v3, v5
	s_delay_alu instid0(VALU_DEP_2) | instskip(NEXT) | instid1(VALU_DEP_2)
	v_xor_b32_e32 v35, v1, v32
	v_xor_b32_e32 v34, v3, v32
	s_delay_alu instid0(VALU_DEP_1)
	v_sub_nc_u64_e32 v[32:33], v[34:35], v[32:33]
	s_branch .LBB31_5019
.LBB31_5014:
	s_mov_b32 s1, -1
	s_branch .LBB31_5018
.LBB31_5015:
	s_and_not1_saveexec_b32 s1, s1
	s_cbranch_execz .LBB31_4996
.LBB31_5016:
	v_cmp_ne_u16_e32 vcc_lo, 0, v1
	s_and_not1_b32 s9, s9, exec_lo
	s_and_b32 s22, vcc_lo, exec_lo
	s_delay_alu instid0(SALU_CYCLE_1)
	s_or_b32 s9, s9, s22
	s_or_b32 exec_lo, exec_lo, s1
	v_mov_b64_e32 v[32:33], 0
	s_and_saveexec_b32 s1, s9
	s_cbranch_execnz .LBB31_4997
	s_branch .LBB31_4998
.LBB31_5017:
	s_mov_b32 s0, -1
.LBB31_5018:
                                        ; implicit-def: $vgpr32_vgpr33
.LBB31_5019:
	s_and_b32 vcc_lo, exec_lo, s1
	s_mov_b32 s1, 0
	s_cbranch_vccz .LBB31_5021
; %bb.5020:
	s_cmp_lg_u32 s59, 11
	s_mov_b32 s1, -1
	s_cselect_b32 s0, -1, 0
.LBB31_5021:
	s_delay_alu instid0(SALU_CYCLE_1)
	s_and_b32 vcc_lo, exec_lo, s0
	s_cbranch_vccnz .LBB31_5109
; %bb.5022:
	s_and_not1_b32 vcc_lo, exec_lo, s1
	s_cbranch_vccnz .LBB31_5024
.LBB31_5023:
	global_load_u8 v1, v[22:23], off
	s_mov_b32 s0, 0
	s_mov_b32 s9, -1
	s_wait_loadcnt 0x1
	s_wait_xcnt 0x1
	v_mov_b32_e32 v33, s0
	s_wait_loadcnt 0x0
	v_cmp_ne_u16_e32 vcc_lo, 0, v1
	v_cndmask_b32_e64 v32, 0, 1, vcc_lo
.LBB31_5024:
	s_mov_b32 s0, 0
.LBB31_5025:
	s_delay_alu instid0(SALU_CYCLE_1)
	s_and_b32 vcc_lo, exec_lo, s0
	s_cbranch_vccz .LBB31_5074
; %bb.5026:
	s_cmp_lt_i32 s59, 5
	s_cbranch_scc1 .LBB31_5031
; %bb.5027:
	s_cmp_lt_i32 s59, 8
	s_cbranch_scc1 .LBB31_5032
	;; [unrolled: 3-line block ×3, first 2 shown]
; %bb.5029:
	s_cmp_gt_i32 s59, 9
	s_cbranch_scc0 .LBB31_5034
; %bb.5030:
	s_wait_loadcnt 0x0
	global_load_b64 v[32:33], v[22:23], off
	s_mov_b32 s0, 0
	s_wait_loadcnt 0x0
	v_trunc_f64_e32 v[32:33], v[32:33]
	s_delay_alu instid0(VALU_DEP_1) | instskip(NEXT) | instid1(VALU_DEP_1)
	v_ldexp_f64 v[34:35], v[32:33], 0xffffffe0
	v_floor_f64_e32 v[34:35], v[34:35]
	s_delay_alu instid0(VALU_DEP_1) | instskip(SKIP_1) | instid1(VALU_DEP_2)
	v_fmamk_f64 v[36:37], v[34:35], 0xc1f00000, v[32:33]
	v_cvt_i32_f64_e32 v33, v[34:35]
	v_cvt_u32_f64_e32 v32, v[36:37]
	s_branch .LBB31_5035
.LBB31_5031:
	s_mov_b32 s0, -1
                                        ; implicit-def: $vgpr32_vgpr33
	s_branch .LBB31_5053
.LBB31_5032:
	s_mov_b32 s0, -1
                                        ; implicit-def: $vgpr32_vgpr33
	s_branch .LBB31_5041
.LBB31_5033:
	s_mov_b32 s0, -1
                                        ; implicit-def: $vgpr32_vgpr33
	s_branch .LBB31_5038
.LBB31_5034:
	s_mov_b32 s0, -1
                                        ; implicit-def: $vgpr32_vgpr33
.LBB31_5035:
	s_delay_alu instid0(SALU_CYCLE_1)
	s_and_not1_b32 vcc_lo, exec_lo, s0
	s_cbranch_vccnz .LBB31_5037
; %bb.5036:
	global_load_b32 v1, v[22:23], off
	s_wait_loadcnt 0x0
	v_trunc_f32_e32 v1, v1
	s_delay_alu instid0(VALU_DEP_1) | instskip(SKIP_2) | instid1(VALU_DEP_2)
	v_mul_f32_e64 v3, 0x2f800000, |v1|
	s_wait_xcnt 0x1
	v_ashrrev_i32_e32 v32, 31, v1
	v_floor_f32_e32 v3, v3
	s_delay_alu instid0(VALU_DEP_1) | instskip(SKIP_1) | instid1(VALU_DEP_4)
	v_fma_f32 v5, 0xcf800000, v3, |v1|
	v_cvt_u32_f32_e32 v1, v3
	v_mov_b32_e32 v33, v32
	s_delay_alu instid0(VALU_DEP_3) | instskip(NEXT) | instid1(VALU_DEP_3)
	v_cvt_u32_f32_e32 v3, v5
	v_xor_b32_e32 v35, v1, v32
	s_delay_alu instid0(VALU_DEP_2) | instskip(NEXT) | instid1(VALU_DEP_1)
	v_xor_b32_e32 v34, v3, v32
	v_sub_nc_u64_e32 v[32:33], v[34:35], v[32:33]
.LBB31_5037:
	s_mov_b32 s0, 0
.LBB31_5038:
	s_delay_alu instid0(SALU_CYCLE_1)
	s_and_not1_b32 vcc_lo, exec_lo, s0
	s_cbranch_vccnz .LBB31_5040
; %bb.5039:
	global_load_b32 v1, v[22:23], off
	s_wait_loadcnt 0x0
	v_cvt_f32_f16_e32 v1, v1
	s_wait_xcnt 0x1
	s_delay_alu instid0(VALU_DEP_1) | instskip(NEXT) | instid1(VALU_DEP_1)
	v_cvt_i32_f32_e32 v32, v1
	v_ashrrev_i32_e32 v33, 31, v32
.LBB31_5040:
	s_mov_b32 s0, 0
.LBB31_5041:
	s_delay_alu instid0(SALU_CYCLE_1)
	s_and_not1_b32 vcc_lo, exec_lo, s0
	s_cbranch_vccnz .LBB31_5052
; %bb.5042:
	s_cmp_lt_i32 s59, 6
	s_cbranch_scc1 .LBB31_5045
; %bb.5043:
	s_cmp_gt_i32 s59, 6
	s_cbranch_scc0 .LBB31_5046
; %bb.5044:
	s_wait_loadcnt 0x0
	global_load_b64 v[32:33], v[22:23], off
	s_mov_b32 s0, 0
	s_wait_loadcnt 0x0
	v_trunc_f64_e32 v[32:33], v[32:33]
	s_delay_alu instid0(VALU_DEP_1) | instskip(NEXT) | instid1(VALU_DEP_1)
	v_ldexp_f64 v[34:35], v[32:33], 0xffffffe0
	v_floor_f64_e32 v[34:35], v[34:35]
	s_delay_alu instid0(VALU_DEP_1) | instskip(SKIP_1) | instid1(VALU_DEP_2)
	v_fmamk_f64 v[36:37], v[34:35], 0xc1f00000, v[32:33]
	v_cvt_i32_f64_e32 v33, v[34:35]
	v_cvt_u32_f64_e32 v32, v[36:37]
	s_branch .LBB31_5047
.LBB31_5045:
	s_mov_b32 s0, -1
                                        ; implicit-def: $vgpr32_vgpr33
	s_branch .LBB31_5050
.LBB31_5046:
	s_mov_b32 s0, -1
                                        ; implicit-def: $vgpr32_vgpr33
.LBB31_5047:
	s_delay_alu instid0(SALU_CYCLE_1)
	s_and_not1_b32 vcc_lo, exec_lo, s0
	s_cbranch_vccnz .LBB31_5049
; %bb.5048:
	global_load_b32 v1, v[22:23], off
	s_wait_loadcnt 0x0
	v_trunc_f32_e32 v1, v1
	s_delay_alu instid0(VALU_DEP_1) | instskip(SKIP_2) | instid1(VALU_DEP_2)
	v_mul_f32_e64 v3, 0x2f800000, |v1|
	s_wait_xcnt 0x1
	v_ashrrev_i32_e32 v32, 31, v1
	v_floor_f32_e32 v3, v3
	s_delay_alu instid0(VALU_DEP_1) | instskip(SKIP_1) | instid1(VALU_DEP_4)
	v_fma_f32 v5, 0xcf800000, v3, |v1|
	v_cvt_u32_f32_e32 v1, v3
	v_mov_b32_e32 v33, v32
	s_delay_alu instid0(VALU_DEP_3) | instskip(NEXT) | instid1(VALU_DEP_3)
	v_cvt_u32_f32_e32 v3, v5
	v_xor_b32_e32 v35, v1, v32
	s_delay_alu instid0(VALU_DEP_2) | instskip(NEXT) | instid1(VALU_DEP_1)
	v_xor_b32_e32 v34, v3, v32
	v_sub_nc_u64_e32 v[32:33], v[34:35], v[32:33]
.LBB31_5049:
	s_mov_b32 s0, 0
.LBB31_5050:
	s_delay_alu instid0(SALU_CYCLE_1)
	s_and_not1_b32 vcc_lo, exec_lo, s0
	s_cbranch_vccnz .LBB31_5052
; %bb.5051:
	global_load_u16 v1, v[22:23], off
	s_wait_loadcnt 0x0
	v_cvt_f32_f16_e32 v1, v1
	s_wait_xcnt 0x1
	s_delay_alu instid0(VALU_DEP_1) | instskip(NEXT) | instid1(VALU_DEP_1)
	v_cvt_i32_f32_e32 v32, v1
	v_ashrrev_i32_e32 v33, 31, v32
.LBB31_5052:
	s_mov_b32 s0, 0
.LBB31_5053:
	s_delay_alu instid0(SALU_CYCLE_1)
	s_and_not1_b32 vcc_lo, exec_lo, s0
	s_cbranch_vccnz .LBB31_5073
; %bb.5054:
	s_cmp_lt_i32 s59, 2
	s_cbranch_scc1 .LBB31_5058
; %bb.5055:
	s_cmp_lt_i32 s59, 3
	s_cbranch_scc1 .LBB31_5059
; %bb.5056:
	s_cmp_gt_i32 s59, 3
	s_cbranch_scc0 .LBB31_5060
; %bb.5057:
	s_wait_loadcnt 0x0
	global_load_b64 v[32:33], v[22:23], off
	s_mov_b32 s0, 0
	s_branch .LBB31_5061
.LBB31_5058:
	s_mov_b32 s0, -1
                                        ; implicit-def: $vgpr32_vgpr33
	s_branch .LBB31_5067
.LBB31_5059:
	s_mov_b32 s0, -1
                                        ; implicit-def: $vgpr32_vgpr33
	s_branch .LBB31_5064
.LBB31_5060:
	s_mov_b32 s0, -1
                                        ; implicit-def: $vgpr32_vgpr33
.LBB31_5061:
	s_delay_alu instid0(SALU_CYCLE_1)
	s_and_not1_b32 vcc_lo, exec_lo, s0
	s_cbranch_vccnz .LBB31_5063
; %bb.5062:
	s_wait_loadcnt 0x0
	global_load_b32 v32, v[22:23], off
	s_wait_loadcnt 0x0
	v_ashrrev_i32_e32 v33, 31, v32
.LBB31_5063:
	s_mov_b32 s0, 0
.LBB31_5064:
	s_delay_alu instid0(SALU_CYCLE_1)
	s_and_not1_b32 vcc_lo, exec_lo, s0
	s_cbranch_vccnz .LBB31_5066
; %bb.5065:
	global_load_u16 v1, v[22:23], off
	s_wait_loadcnt 0x0
	s_wait_xcnt 0x1
	v_bfe_i32 v32, v1, 0, 16
	s_delay_alu instid0(VALU_DEP_1)
	v_ashrrev_i32_e32 v33, 31, v32
.LBB31_5066:
	s_mov_b32 s0, 0
.LBB31_5067:
	s_delay_alu instid0(SALU_CYCLE_1)
	s_and_not1_b32 vcc_lo, exec_lo, s0
	s_cbranch_vccnz .LBB31_5073
; %bb.5068:
	s_cmp_gt_i32 s59, 0
	s_mov_b32 s0, 0
	s_cbranch_scc0 .LBB31_5070
; %bb.5069:
	global_load_i8 v1, v[22:23], off
	s_wait_loadcnt 0x0
	s_wait_xcnt 0x1
	v_bfe_i32 v32, v1, 0, 16
	s_delay_alu instid0(VALU_DEP_1)
	v_ashrrev_i32_e32 v33, 31, v32
	s_branch .LBB31_5071
.LBB31_5070:
	s_mov_b32 s0, -1
                                        ; implicit-def: $vgpr32_vgpr33
.LBB31_5071:
	s_delay_alu instid0(SALU_CYCLE_1)
	s_and_not1_b32 vcc_lo, exec_lo, s0
	s_cbranch_vccnz .LBB31_5073
; %bb.5072:
	global_load_u8 v1, v[22:23], off
	s_mov_b32 s0, 0
	s_wait_loadcnt 0x1
	s_wait_xcnt 0x1
	v_mov_b32_e32 v33, s0
	s_wait_loadcnt 0x0
	v_and_b32_e32 v32, 0xffff, v1
.LBB31_5073:
	s_mov_b32 s9, -1
.LBB31_5074:
	s_delay_alu instid0(SALU_CYCLE_1)
	s_and_not1_b32 vcc_lo, exec_lo, s9
	s_cbranch_vccnz .LBB31_5083
; %bb.5075:
	s_mov_b32 s0, exec_lo
	s_wait_loadcnt 0x0
	v_cmpx_ne_u64_e64 v[30:31], v[8:9]
	s_xor_b32 s0, exec_lo, s0
	s_cbranch_execnz .LBB31_5243
.LBB31_5076:
	s_or_saveexec_b32 s60, s0
	s_mov_b32 s1, 0
	s_mov_b32 s9, 0
                                        ; implicit-def: $vgpr42_vgpr43
                                        ; implicit-def: $sgpr0
	s_xor_b32 exec_lo, exec_lo, s60
	s_cbranch_execz .LBB31_5754
; %bb.5077:
	s_mov_b32 s61, s54
	s_mov_b32 s0, exec_lo
	v_cmpx_ne_u64_e64 v[28:29], v[12:13]
	s_xor_b32 s0, exec_lo, s0
	s_cbranch_execnz .LBB31_5371
; %bb.5078:
	s_or_saveexec_b32 s62, s0
                                        ; implicit-def: $vgpr42_vgpr43
                                        ; implicit-def: $sgpr0
	s_delay_alu instid0(SALU_CYCLE_1)
	s_xor_b32 exec_lo, exec_lo, s62
	s_cbranch_execz .LBB31_5753
.LBB31_5079:
	v_sub_nc_u64_e32 v[22:23], v[24:25], v[26:27]
	s_mov_b32 s63, s61
	s_delay_alu instid0(VALU_DEP_1) | instskip(SKIP_2) | instid1(SALU_CYCLE_1)
	v_cmp_gt_i64_e32 vcc_lo, v[8:9], v[22:23]
	v_cmp_lt_i64_e64 s0, s[18:19], v[22:23]
	s_or_b32 s0, vcc_lo, s0
	s_and_saveexec_b32 s1, s0
	s_delay_alu instid0(SALU_CYCLE_1)
	s_xor_b32 s0, exec_lo, s1
	s_cbranch_execnz .LBB31_5499
.LBB31_5080:
	s_or_saveexec_b32 s64, s0
	s_mov_b32 s1, 0
	s_mov_b32 s22, 0
                                        ; implicit-def: $vgpr42_vgpr43
                                        ; implicit-def: $sgpr0
	s_xor_b32 exec_lo, exec_lo, s64
	s_cbranch_execz .LBB31_5752
; %bb.5081:
	v_mov_b64_e32 v[22:23], 0
	s_and_saveexec_b32 s65, s46
	s_cbranch_execz .LBB31_5094
; %bb.5082:
	v_mul_u64_e32 v[30:31], v[32:33], v[12:13]
	s_mov_b32 s9, s1
	v_mov_b64_e32 v[22:23], 0
	s_lshl_b64 s[24:25], s[8:9], 3
	v_mov_b32_e32 v28, 0
	s_add_nc_u64 s[24:25], s[2:3], s[24:25]
	s_mov_b64 s[22:23], 0xffffffff
	s_add_nc_u64 s[24:25], s[24:25], 0x298
	s_mov_b32 s9, s44
	s_branch .LBB31_5090
.LBB31_5083:
	s_mov_b32 s1, 0
	s_mov_b32 s9, 0
                                        ; implicit-def: $vgpr42_vgpr43
                                        ; implicit-def: $sgpr0
.LBB31_5084:
	s_and_not1_b32 s2, s52, exec_lo
	s_and_b32 s3, s54, exec_lo
	s_and_b32 s9, s9, exec_lo
	;; [unrolled: 1-line block ×3, first 2 shown]
	s_or_b32 s52, s2, s3
.LBB31_5085:
	s_wait_xcnt 0x0
	s_or_b32 exec_lo, exec_lo, s53
	s_delay_alu instid0(SALU_CYCLE_1)
	s_and_not1_b32 s2, s50, exec_lo
	s_and_b32 s3, s52, exec_lo
	s_and_b32 s9, s9, exec_lo
	;; [unrolled: 1-line block ×3, first 2 shown]
	s_or_b32 s50, s2, s3
.LBB31_5086:
	s_or_b32 exec_lo, exec_lo, s51
	s_delay_alu instid0(SALU_CYCLE_1)
	s_and_not1_b32 s2, s48, exec_lo
	s_and_b32 s3, s50, exec_lo
	s_and_b32 s9, s9, exec_lo
	s_and_b32 s1, s1, exec_lo
	s_or_b32 s48, s2, s3
.LBB31_5087:
	s_or_b32 exec_lo, exec_lo, s49
	s_delay_alu instid0(SALU_CYCLE_1)
	s_and_not1_b32 s2, s43, exec_lo
	s_and_b32 s3, s48, exec_lo
	s_and_b32 s9, s9, exec_lo
	;; [unrolled: 1-line block ×3, first 2 shown]
	s_or_b32 s43, s2, s3
.LBB31_5088:
	s_or_b32 exec_lo, exec_lo, s47
	s_branch .LBB31_4418
.LBB31_5089:                            ;   in Loop: Header=BB31_5090 Depth=1
	s_or_b32 exec_lo, exec_lo, s0
	s_delay_alu instid0(VALU_DEP_1)
	v_mul_u64_e32 v[34:35], s[26:27], v[32:33]
	s_load_b64 s[26:27], s[24:25], 0x40
	s_add_co_i32 s9, s9, -1
	s_wait_xcnt 0x0
	s_add_nc_u64 s[24:25], s[24:25], -8
	s_cmp_eq_u32 s9, 0
	s_delay_alu instid0(VALU_DEP_1) | instskip(SKIP_1) | instid1(VALU_DEP_1)
	v_sub_nc_u64_e32 v[30:31], v[30:31], v[34:35]
	s_wait_kmcnt 0x0
	v_mad_nc_u64_u32 v[22:23], v30, s26, v[22:23]
	s_delay_alu instid0(VALU_DEP_1) | instskip(NEXT) | instid1(VALU_DEP_1)
	v_mad_u32 v1, v31, s26, v23
	v_mad_u32 v23, v30, s27, v1
	v_mov_b64_e32 v[30:31], v[32:33]
	s_cbranch_scc1 .LBB31_5094
.LBB31_5090:                            ; =>This Inner Loop Header: Depth=1
	s_load_b64 s[26:27], s[24:25], 0x0
                                        ; implicit-def: $vgpr32_vgpr33
	s_mov_b32 s0, exec_lo
	s_wait_kmcnt 0x0
	s_delay_alu instid0(VALU_DEP_1) | instskip(NEXT) | instid1(VALU_DEP_1)
	v_or_b32_e32 v29, s27, v31
	v_cmpx_ne_u64_e32 0, v[28:29]
	s_xor_b32 s66, exec_lo, s0
	s_cbranch_execz .LBB31_5092
; %bb.5091:                             ;   in Loop: Header=BB31_5090 Depth=1
	s_ashr_i32 s28, s27, 31
	v_dual_mov_b32 v37, v28 :: v_dual_ashrrev_i32 v32, 31, v31
	s_mov_b32 s29, s28
	v_mov_b32_e32 v45, v28
	s_add_nc_u64 s[30:31], s[26:27], s[28:29]
	s_delay_alu instid0(VALU_DEP_2) | instskip(SKIP_1) | instid1(SALU_CYCLE_1)
	v_mov_b32_e32 v33, v32
	s_xor_b64 s[30:31], s[30:31], s[28:29]
	s_cvt_f32_u32 s0, s30
	s_cvt_f32_u32 s29, s31
	s_sub_nc_u64 s[70:71], 0, s[30:31]
	v_add_nc_u64_e32 v[34:35], v[30:31], v[32:33]
	v_mov_b32_e32 v41, v28
	s_fmamk_f32 s0, s29, 0x4f800000, s0
	s_delay_alu instid0(SALU_CYCLE_3) | instskip(NEXT) | instid1(VALU_DEP_2)
	v_s_rcp_f32 s0, s0
	v_xor_b32_e32 v36, v34, v32
	s_delay_alu instid0(VALU_DEP_3) | instskip(SKIP_1) | instid1(TRANS32_DEP_1)
	v_xor_b32_e32 v40, v35, v32
	v_xor_b32_e32 v32, s28, v32
	s_mul_f32 s0, s0, 0x5f7ffffc
	s_delay_alu instid0(VALU_DEP_1) | instskip(NEXT) | instid1(SALU_CYCLE_2)
	v_mov_b32_e32 v33, v32
	s_mul_f32 s29, s0, 0x2f800000
	s_delay_alu instid0(SALU_CYCLE_3) | instskip(NEXT) | instid1(SALU_CYCLE_3)
	s_trunc_f32 s29, s29
	s_fmamk_f32 s0, s29, 0xcf800000, s0
	s_cvt_u32_f32 s69, s29
	s_delay_alu instid0(SALU_CYCLE_2) | instskip(NEXT) | instid1(SALU_CYCLE_3)
	s_cvt_u32_f32 s68, s0
	s_mul_u64 s[72:73], s[70:71], s[68:69]
	s_delay_alu instid0(SALU_CYCLE_1)
	s_mul_hi_u32 s75, s68, s73
	s_mul_i32 s74, s68, s73
	s_mul_hi_u32 s0, s68, s72
	s_mul_i32 s67, s69, s72
	s_add_nc_u64 s[74:75], s[0:1], s[74:75]
	s_mul_hi_u32 s29, s69, s72
	s_mul_hi_u32 s76, s69, s73
	s_add_co_u32 s0, s74, s67
	s_add_co_ci_u32 s0, s75, s29
	s_mul_i32 s72, s69, s73
	s_add_co_ci_u32 s73, s76, 0
	s_delay_alu instid0(SALU_CYCLE_1) | instskip(NEXT) | instid1(SALU_CYCLE_1)
	s_add_nc_u64 s[72:73], s[0:1], s[72:73]
	s_add_co_u32 s68, s68, s72
	s_cselect_b32 s0, -1, 0
	s_delay_alu instid0(SALU_CYCLE_1) | instskip(SKIP_1) | instid1(SALU_CYCLE_1)
	s_cmp_lg_u32 s0, 0
	s_add_co_ci_u32 s69, s69, s73
	s_mul_u64 s[70:71], s[70:71], s[68:69]
	s_delay_alu instid0(SALU_CYCLE_1)
	s_mul_hi_u32 s73, s68, s71
	s_mul_i32 s72, s68, s71
	s_mul_hi_u32 s0, s68, s70
	s_mul_i32 s67, s69, s70
	s_add_nc_u64 s[72:73], s[0:1], s[72:73]
	s_mul_hi_u32 s29, s69, s70
	s_mul_hi_u32 s74, s69, s71
	s_add_co_u32 s0, s72, s67
	s_add_co_ci_u32 s0, s73, s29
	s_mul_i32 s70, s69, s71
	s_add_co_ci_u32 s71, s74, 0
	s_delay_alu instid0(SALU_CYCLE_1) | instskip(NEXT) | instid1(SALU_CYCLE_1)
	s_add_nc_u64 s[70:71], s[0:1], s[70:71]
	s_add_co_u32 s68, s68, s70
	s_cselect_b32 s0, -1, 0
	v_mul_hi_u32 v44, v36, s68
	s_cmp_lg_u32 s0, 0
	s_add_co_ci_u32 s0, s69, s71
	s_and_b64 s[70:71], s[68:69], s[22:23]
	v_mul_u64_e32 v[38:39], s[0:1], v[36:37]
	v_mul_u64_e32 v[34:35], s[70:71], v[40:41]
	;; [unrolled: 1-line block ×3, first 2 shown]
	s_delay_alu instid0(VALU_DEP_3) | instskip(NEXT) | instid1(VALU_DEP_1)
	v_add_nc_u64_e32 v[38:39], v[44:45], v[38:39]
	v_add_co_u32 v1, vcc_lo, v38, v34
	s_delay_alu instid0(VALU_DEP_2) | instskip(NEXT) | instid1(VALU_DEP_4)
	v_add_co_ci_u32_e32 v44, vcc_lo, v39, v35, vcc_lo
	v_add_co_ci_u32_e32 v43, vcc_lo, 0, v43, vcc_lo
	s_delay_alu instid0(VALU_DEP_1) | instskip(NEXT) | instid1(VALU_DEP_1)
	v_add_nc_u64_e32 v[34:35], v[44:45], v[42:43]
	v_mul_u64_e32 v[38:39], s[30:31], v[34:35]
	s_delay_alu instid0(VALU_DEP_1) | instskip(SKIP_1) | instid1(VALU_DEP_3)
	v_sub_co_u32 v3, vcc_lo, v36, v38
	v_add_nc_u64_e32 v[36:37], 2, v[34:35]
	v_sub_nc_u32_e32 v1, v40, v39
	v_sub_co_ci_u32_e64 v7, null, v40, v39, vcc_lo
	s_delay_alu instid0(VALU_DEP_4) | instskip(NEXT) | instid1(VALU_DEP_3)
	v_sub_co_u32 v5, s0, v3, s30
	v_subrev_co_ci_u32_e64 v1, null, s31, v1, vcc_lo
	v_add_nc_u64_e32 v[38:39], 1, v[34:35]
	s_delay_alu instid0(VALU_DEP_3) | instskip(NEXT) | instid1(VALU_DEP_3)
	v_cmp_le_u32_e32 vcc_lo, s30, v5
	v_subrev_co_ci_u32_e64 v1, null, 0, v1, s0
	v_cndmask_b32_e64 v5, 0, -1, vcc_lo
	s_delay_alu instid0(VALU_DEP_2)
	v_cmp_le_u32_e32 vcc_lo, s31, v1
	v_cndmask_b32_e64 v11, 0, -1, vcc_lo
	v_cmp_le_u32_e32 vcc_lo, s30, v3
	v_cndmask_b32_e64 v3, 0, -1, vcc_lo
	;; [unrolled: 2-line block ×3, first 2 shown]
	v_cmp_eq_u32_e32 vcc_lo, s31, v1
	v_cndmask_b32_e32 v1, v11, v5, vcc_lo
	v_cmp_eq_u32_e32 vcc_lo, s31, v7
	s_delay_alu instid0(VALU_DEP_4) | instskip(NEXT) | instid1(VALU_DEP_3)
	v_cndmask_b32_e32 v3, v15, v3, vcc_lo
	v_cmp_ne_u32_e32 vcc_lo, 0, v1
	s_delay_alu instid0(VALU_DEP_2) | instskip(SKIP_1) | instid1(VALU_DEP_1)
	v_cmp_ne_u32_e64 s0, 0, v3
	v_dual_cndmask_b32 v3, v38, v36, vcc_lo :: v_dual_cndmask_b32 v1, v39, v37, vcc_lo
	v_dual_cndmask_b32 v3, v34, v3, s0 :: v_dual_cndmask_b32 v1, v35, v1, s0
	s_delay_alu instid0(VALU_DEP_1) | instskip(NEXT) | instid1(VALU_DEP_2)
	v_xor_b32_e32 v34, v3, v32
	v_xor_b32_e32 v35, v1, v32
	s_delay_alu instid0(VALU_DEP_1)
	v_sub_nc_u64_e32 v[32:33], v[34:35], v[32:33]
.LBB31_5092:                            ;   in Loop: Header=BB31_5090 Depth=1
	s_and_not1_saveexec_b32 s0, s66
	s_cbranch_execz .LBB31_5089
; %bb.5093:                             ;   in Loop: Header=BB31_5090 Depth=1
	v_cvt_f32_u32_e32 v1, s26
	s_sub_co_i32 s28, 0, s26
	v_mov_b32_e32 v33, v28
	s_delay_alu instid0(VALU_DEP_2) | instskip(SKIP_1) | instid1(TRANS32_DEP_1)
	v_rcp_iflag_f32_e32 v1, v1
	v_nop
	v_mul_f32_e32 v1, 0x4f7ffffe, v1
	s_delay_alu instid0(VALU_DEP_1) | instskip(NEXT) | instid1(VALU_DEP_1)
	v_cvt_u32_f32_e32 v1, v1
	v_mul_lo_u32 v3, s28, v1
	s_delay_alu instid0(VALU_DEP_1) | instskip(NEXT) | instid1(VALU_DEP_1)
	v_mul_hi_u32 v3, v1, v3
	v_add_nc_u32_e32 v1, v1, v3
	s_delay_alu instid0(VALU_DEP_1) | instskip(NEXT) | instid1(VALU_DEP_1)
	v_mul_hi_u32 v1, v30, v1
	v_mul_lo_u32 v3, v1, s26
	s_delay_alu instid0(VALU_DEP_1) | instskip(NEXT) | instid1(VALU_DEP_1)
	v_sub_nc_u32_e32 v3, v30, v3
	v_subrev_nc_u32_e32 v7, s26, v3
	v_cmp_le_u32_e32 vcc_lo, s26, v3
	s_delay_alu instid0(VALU_DEP_2) | instskip(NEXT) | instid1(VALU_DEP_1)
	v_dual_add_nc_u32 v5, 1, v1 :: v_dual_cndmask_b32 v3, v3, v7, vcc_lo
	v_cndmask_b32_e32 v1, v1, v5, vcc_lo
	s_delay_alu instid0(VALU_DEP_2) | instskip(NEXT) | instid1(VALU_DEP_2)
	v_cmp_le_u32_e32 vcc_lo, s26, v3
	v_add_nc_u32_e32 v5, 1, v1
	s_delay_alu instid0(VALU_DEP_1)
	v_cndmask_b32_e32 v32, v1, v5, vcc_lo
	s_branch .LBB31_5089
.LBB31_5094:
	s_or_b32 exec_lo, exec_lo, s65
	s_mov_b32 s23, -1
	s_mov_b32 s1, s63
	s_mov_b32 s0, exec_lo
	v_cmpx_gt_i64_e64 v[24:25], v[26:27]
	s_cbranch_execz .LBB31_5101
; %bb.5095:
	s_delay_alu instid0(VALU_DEP_2) | instskip(SKIP_2) | instid1(VALU_DEP_1)
	v_lshlrev_b64_e32 v[22:23], 3, v[22:23]
	s_mov_b32 s9, 0
	s_xor_b32 s22, s45, -1
                                        ; implicit-def: $sgpr1
                                        ; implicit-def: $sgpr24
                                        ; implicit-def: $sgpr23
	v_lshl_add_u64 v[26:27], v[26:27], 3, v[22:23]
	s_wait_kmcnt 0x0
	v_add_nc_u64_e32 v[28:29], s[20:21], v[22:23]
	s_delay_alu instid0(VALU_DEP_2) | instskip(NEXT) | instid1(VALU_DEP_2)
	v_add_nc_u64_e32 v[26:27], s[20:21], v[26:27]
	v_lshl_add_u64 v[24:25], v[24:25], 3, v[28:29]
	s_delay_alu instid0(VALU_DEP_2)
	v_add_nc_u64_e32 v[22:23], 8, v[26:27]
	s_branch .LBB31_5097
.LBB31_5096:                            ;   in Loop: Header=BB31_5097 Depth=1
	s_or_b32 exec_lo, exec_lo, s25
	s_xor_b32 s25, s23, -1
	s_and_b32 s26, exec_lo, s24
	s_delay_alu instid0(SALU_CYCLE_1) | instskip(SKIP_2) | instid1(SALU_CYCLE_1)
	s_or_b32 s9, s26, s9
	s_and_not1_b32 s1, s1, exec_lo
	s_and_b32 s25, s25, exec_lo
	s_or_b32 s1, s1, s25
	s_and_not1_b32 exec_lo, exec_lo, s9
	s_cbranch_execz .LBB31_5099
.LBB31_5097:                            ; =>This Inner Loop Header: Depth=1
	s_or_b32 s23, s23, exec_lo
	s_or_b32 s24, s24, exec_lo
	s_mov_b32 s25, exec_lo
	s_delay_alu instid0(VALU_DEP_1)
	v_cmpx_lt_u64_e64 v[22:23], v[24:25]
	s_cbranch_execz .LBB31_5096
; %bb.5098:                             ;   in Loop: Header=BB31_5097 Depth=1
	global_load_b128 v[26:29], v[22:23], off offset:-8
	s_wait_xcnt 0x0
	v_add_nc_u64_e32 v[22:23], 8, v[22:23]
	s_and_not1_b32 s24, s24, exec_lo
	s_and_not1_b32 s23, s23, exec_lo
	s_wait_loadcnt 0x0
	v_cmp_ge_i64_e32 vcc_lo, v[26:27], v[28:29]
	s_or_b32 s26, s22, vcc_lo
	s_delay_alu instid0(SALU_CYCLE_1) | instskip(NEXT) | instid1(SALU_CYCLE_1)
	s_and_b32 s26, s26, exec_lo
	s_or_b32 s24, s24, s26
	s_branch .LBB31_5096
.LBB31_5099:
	s_or_b32 exec_lo, exec_lo, s9
	s_mov_b32 s9, -1
	s_mov_b32 s22, s63
	s_and_saveexec_b32 s23, s1
	s_delay_alu instid0(SALU_CYCLE_1)
	s_xor_b32 s1, exec_lo, s23
	s_cbranch_execnz .LBB31_5114
.LBB31_5100:
	s_or_b32 exec_lo, exec_lo, s1
	s_delay_alu instid0(SALU_CYCLE_1)
	s_and_not1_b32 s1, s63, exec_lo
	s_and_b32 s22, s22, exec_lo
	s_or_not1_b32 s23, s9, exec_lo
	s_or_b32 s1, s1, s22
.LBB31_5101:
	s_or_b32 exec_lo, exec_lo, s0
	s_mov_b32 s9, 0
	s_mov_b32 s24, 0
                                        ; implicit-def: $vgpr42_vgpr43
                                        ; implicit-def: $sgpr0
	s_and_saveexec_b32 s22, s23
	s_cbranch_execz .LBB31_5751
; %bb.5102:
	v_mov_b32_e32 v21, 0
	s_cmp_lt_i32 s55, 11
	s_delay_alu instid0(VALU_DEP_1)
	v_add_nc_u64_e32 v[22:23], s[6:7], v[20:21]
	s_cbranch_scc1 .LBB31_5110
; %bb.5103:
	s_cmp_gt_i32 s55, 25
	s_mov_b32 s6, 0
	s_cbranch_scc0 .LBB31_5111
; %bb.5104:
	s_cmp_gt_i32 s55, 28
	s_cbranch_scc0 .LBB31_5112
; %bb.5105:
	s_cmp_gt_i32 s55, 43
	;; [unrolled: 3-line block ×3, first 2 shown]
	s_cbranch_scc0 .LBB31_5115
; %bb.5107:
	s_cmp_eq_u32 s55, 46
	s_cbranch_scc0 .LBB31_5116
; %bb.5108:
	global_load_b32 v1, v[22:23], off
	s_mov_b32 s0, 0
	s_mov_b32 s7, -1
	s_wait_loadcnt 0x0
	v_lshlrev_b32_e32 v1, 16, v1
	s_delay_alu instid0(VALU_DEP_1) | instskip(NEXT) | instid1(VALU_DEP_1)
	v_trunc_f32_e32 v1, v1
	v_mul_f32_e64 v3, 0x2f800000, |v1|
	v_ashrrev_i32_e32 v20, 31, v1
	s_delay_alu instid0(VALU_DEP_2) | instskip(NEXT) | instid1(VALU_DEP_2)
	v_floor_f32_e32 v3, v3
	v_mov_b32_e32 v21, v20
	s_delay_alu instid0(VALU_DEP_2) | instskip(SKIP_1) | instid1(VALU_DEP_2)
	v_fma_f32 v5, 0xcf800000, v3, |v1|
	v_cvt_u32_f32_e32 v1, v3
	v_cvt_u32_f32_e32 v3, v5
	s_delay_alu instid0(VALU_DEP_2) | instskip(NEXT) | instid1(VALU_DEP_2)
	v_xor_b32_e32 v25, v1, v20
	v_xor_b32_e32 v24, v3, v20
	s_delay_alu instid0(VALU_DEP_1)
	v_sub_nc_u64_e32 v[20:21], v[24:25], v[20:21]
	s_branch .LBB31_5118
.LBB31_5109:
	s_or_b32 s54, s54, exec_lo
	s_trap 2
	s_cbranch_execz .LBB31_5023
	s_branch .LBB31_5024
.LBB31_5110:
	s_mov_b32 s0, -1
	s_mov_b32 s7, 0
	s_mov_b32 s23, s1
                                        ; implicit-def: $vgpr20_vgpr21
	s_branch .LBB31_5180
.LBB31_5111:
	s_mov_b32 s9, -1
	s_mov_b32 s7, 0
	s_mov_b32 s0, 0
                                        ; implicit-def: $vgpr20_vgpr21
	s_branch .LBB31_5145
.LBB31_5112:
	s_mov_b32 s9, -1
	s_mov_b32 s7, 0
	s_mov_b32 s0, 0
                                        ; implicit-def: $vgpr20_vgpr21
	s_branch .LBB31_5128
.LBB31_5113:
	s_mov_b32 s9, -1
	s_mov_b32 s7, 0
	s_mov_b32 s0, 0
                                        ; implicit-def: $vgpr20_vgpr21
	s_branch .LBB31_5123
.LBB31_5114:
	s_or_b32 s22, s63, exec_lo
	s_xor_b32 s9, exec_lo, -1
	s_trap 2
	s_branch .LBB31_5100
.LBB31_5115:
	s_mov_b32 s9, -1
	s_mov_b32 s7, 0
	s_mov_b32 s0, 0
	s_branch .LBB31_5117
.LBB31_5116:
	s_mov_b32 s0, -1
	s_mov_b32 s7, 0
.LBB31_5117:
                                        ; implicit-def: $vgpr20_vgpr21
.LBB31_5118:
	s_and_b32 vcc_lo, exec_lo, s9
	s_cbranch_vccz .LBB31_5122
; %bb.5119:
	s_cmp_eq_u32 s55, 44
	s_cbranch_scc0 .LBB31_5121
; %bb.5120:
	global_load_u8 v1, v[22:23], off
	s_mov_b32 s0, 0
	s_mov_b32 s7, -1
	s_wait_loadcnt 0x0
	v_lshlrev_b32_e32 v3, 23, v1
	v_cmp_ne_u32_e32 vcc_lo, 0, v1
	s_delay_alu instid0(VALU_DEP_2) | instskip(NEXT) | instid1(VALU_DEP_1)
	v_trunc_f32_e32 v3, v3
	v_mul_f32_e64 v5, 0x2f800000, |v3|
	v_ashrrev_i32_e32 v20, 31, v3
	s_delay_alu instid0(VALU_DEP_2) | instskip(NEXT) | instid1(VALU_DEP_2)
	v_floor_f32_e32 v5, v5
	v_mov_b32_e32 v21, v20
	s_delay_alu instid0(VALU_DEP_2) | instskip(SKIP_1) | instid1(VALU_DEP_2)
	v_fma_f32 v7, 0xcf800000, v5, |v3|
	v_cvt_u32_f32_e32 v3, v5
	v_cvt_u32_f32_e32 v5, v7
	s_delay_alu instid0(VALU_DEP_2) | instskip(NEXT) | instid1(VALU_DEP_2)
	v_xor_b32_e32 v25, v3, v20
	v_xor_b32_e32 v24, v5, v20
	s_delay_alu instid0(VALU_DEP_1) | instskip(NEXT) | instid1(VALU_DEP_1)
	v_sub_nc_u64_e32 v[20:21], v[24:25], v[20:21]
	v_dual_cndmask_b32 v21, 0, v21 :: v_dual_cndmask_b32 v20, 0, v20
	s_branch .LBB31_5122
.LBB31_5121:
	s_mov_b32 s0, -1
                                        ; implicit-def: $vgpr20_vgpr21
.LBB31_5122:
	s_mov_b32 s9, 0
.LBB31_5123:
	s_delay_alu instid0(SALU_CYCLE_1)
	s_and_b32 vcc_lo, exec_lo, s9
	s_cbranch_vccz .LBB31_5127
; %bb.5124:
	s_cmp_eq_u32 s55, 29
	s_cbranch_scc0 .LBB31_5126
; %bb.5125:
	global_load_b64 v[20:21], v[22:23], off
	s_mov_b32 s0, 0
	s_mov_b32 s7, -1
	s_branch .LBB31_5127
.LBB31_5126:
	s_mov_b32 s0, -1
                                        ; implicit-def: $vgpr20_vgpr21
.LBB31_5127:
	s_mov_b32 s9, 0
.LBB31_5128:
	s_delay_alu instid0(SALU_CYCLE_1)
	s_and_b32 vcc_lo, exec_lo, s9
	s_cbranch_vccz .LBB31_5144
; %bb.5129:
	s_cmp_lt_i32 s55, 27
	s_cbranch_scc1 .LBB31_5132
; %bb.5130:
	s_cmp_gt_i32 s55, 27
	s_cbranch_scc0 .LBB31_5133
; %bb.5131:
	s_wait_loadcnt 0x0
	global_load_b32 v20, v[22:23], off
	v_mov_b32_e32 v21, 0
	s_mov_b32 s7, 0
	s_branch .LBB31_5134
.LBB31_5132:
	s_mov_b32 s7, -1
                                        ; implicit-def: $vgpr20_vgpr21
	s_branch .LBB31_5137
.LBB31_5133:
	s_mov_b32 s7, -1
                                        ; implicit-def: $vgpr20_vgpr21
.LBB31_5134:
	s_delay_alu instid0(SALU_CYCLE_1)
	s_and_not1_b32 vcc_lo, exec_lo, s7
	s_cbranch_vccnz .LBB31_5136
; %bb.5135:
	global_load_u16 v1, v[22:23], off
	s_mov_b32 s7, 0
	s_wait_loadcnt 0x1
	v_mov_b32_e32 v21, s7
	s_wait_loadcnt 0x0
	v_and_b32_e32 v20, 0xffff, v1
.LBB31_5136:
	s_mov_b32 s7, 0
.LBB31_5137:
	s_delay_alu instid0(SALU_CYCLE_1)
	s_and_not1_b32 vcc_lo, exec_lo, s7
	s_cbranch_vccnz .LBB31_5143
; %bb.5138:
	global_load_u8 v1, v[22:23], off
	s_mov_b32 s9, 0
	s_mov_b32 s7, exec_lo
	s_wait_loadcnt 0x0
	v_cmpx_lt_i16_e32 0x7f, v1
	s_xor_b32 s7, exec_lo, s7
	s_cbranch_execz .LBB31_5155
; %bb.5139:
	v_cmp_ne_u16_e32 vcc_lo, 0x80, v1
	s_and_b32 s9, vcc_lo, exec_lo
	s_and_not1_saveexec_b32 s7, s7
	s_cbranch_execnz .LBB31_5156
.LBB31_5140:
	s_or_b32 exec_lo, exec_lo, s7
	v_mov_b64_e32 v[20:21], 0
	s_and_saveexec_b32 s7, s9
	s_cbranch_execz .LBB31_5142
.LBB31_5141:
	v_and_b32_e32 v3, 0xffff, v1
	s_delay_alu instid0(VALU_DEP_1) | instskip(SKIP_1) | instid1(VALU_DEP_2)
	v_dual_lshlrev_b32 v1, 24, v1 :: v_dual_bitop2_b32 v5, 7, v3 bitop3:0x40
	v_bfe_u32 v15, v3, 3, 4
	v_and_b32_e32 v1, 0x80000000, v1
	s_delay_alu instid0(VALU_DEP_3) | instskip(NEXT) | instid1(VALU_DEP_3)
	v_clz_i32_u32_e32 v7, v5
	v_cmp_eq_u32_e32 vcc_lo, 0, v15
	s_delay_alu instid0(VALU_DEP_2) | instskip(NEXT) | instid1(VALU_DEP_1)
	v_min_u32_e32 v7, 32, v7
	v_subrev_nc_u32_e32 v11, 28, v7
	v_sub_nc_u32_e32 v7, 29, v7
	s_delay_alu instid0(VALU_DEP_2) | instskip(NEXT) | instid1(VALU_DEP_2)
	v_lshlrev_b32_e32 v3, v11, v3
	v_cndmask_b32_e32 v7, v15, v7, vcc_lo
	s_delay_alu instid0(VALU_DEP_2) | instskip(NEXT) | instid1(VALU_DEP_1)
	v_and_b32_e32 v3, 7, v3
	v_cndmask_b32_e32 v3, v5, v3, vcc_lo
	s_delay_alu instid0(VALU_DEP_3) | instskip(NEXT) | instid1(VALU_DEP_2)
	v_lshl_add_u32 v5, v7, 23, 0x3b800000
	v_lshlrev_b32_e32 v3, 20, v3
	s_delay_alu instid0(VALU_DEP_1) | instskip(NEXT) | instid1(VALU_DEP_1)
	v_or3_b32 v1, v1, v5, v3
	v_trunc_f32_e32 v1, v1
	s_delay_alu instid0(VALU_DEP_1) | instskip(SKIP_1) | instid1(VALU_DEP_2)
	v_mul_f32_e64 v3, 0x2f800000, |v1|
	v_ashrrev_i32_e32 v20, 31, v1
	v_floor_f32_e32 v3, v3
	s_delay_alu instid0(VALU_DEP_2) | instskip(NEXT) | instid1(VALU_DEP_2)
	v_mov_b32_e32 v21, v20
	v_fma_f32 v5, 0xcf800000, v3, |v1|
	v_cvt_u32_f32_e32 v1, v3
	s_delay_alu instid0(VALU_DEP_2) | instskip(NEXT) | instid1(VALU_DEP_2)
	v_cvt_u32_f32_e32 v3, v5
	v_xor_b32_e32 v25, v1, v20
	s_delay_alu instid0(VALU_DEP_2) | instskip(NEXT) | instid1(VALU_DEP_1)
	v_xor_b32_e32 v24, v3, v20
	v_sub_nc_u64_e32 v[20:21], v[24:25], v[20:21]
.LBB31_5142:
	s_or_b32 exec_lo, exec_lo, s7
.LBB31_5143:
	s_mov_b32 s7, -1
.LBB31_5144:
	s_mov_b32 s9, 0
.LBB31_5145:
	s_delay_alu instid0(SALU_CYCLE_1)
	s_and_b32 vcc_lo, exec_lo, s9
	s_cbranch_vccz .LBB31_5176
; %bb.5146:
	s_cmp_gt_i32 s55, 22
	s_cbranch_scc0 .LBB31_5154
; %bb.5147:
	s_cmp_lt_i32 s55, 24
	s_cbranch_scc1 .LBB31_5157
; %bb.5148:
	s_cmp_gt_i32 s55, 24
	s_cbranch_scc0 .LBB31_5158
; %bb.5149:
	global_load_u8 v1, v[22:23], off
	s_mov_b32 s7, 0
	s_mov_b32 s6, exec_lo
	s_wait_loadcnt 0x0
	v_cmpx_lt_i16_e32 0x7f, v1
	s_xor_b32 s6, exec_lo, s6
	s_cbranch_execz .LBB31_5170
; %bb.5150:
	v_cmp_ne_u16_e32 vcc_lo, 0x80, v1
	s_and_b32 s7, vcc_lo, exec_lo
	s_and_not1_saveexec_b32 s6, s6
	s_cbranch_execnz .LBB31_5171
.LBB31_5151:
	s_or_b32 exec_lo, exec_lo, s6
	v_mov_b64_e32 v[20:21], 0
	s_and_saveexec_b32 s6, s7
	s_cbranch_execz .LBB31_5153
.LBB31_5152:
	v_and_b32_e32 v3, 0xffff, v1
	s_delay_alu instid0(VALU_DEP_1) | instskip(SKIP_1) | instid1(VALU_DEP_2)
	v_dual_lshlrev_b32 v1, 24, v1 :: v_dual_bitop2_b32 v5, 3, v3 bitop3:0x40
	v_bfe_u32 v15, v3, 2, 5
	v_and_b32_e32 v1, 0x80000000, v1
	s_delay_alu instid0(VALU_DEP_3) | instskip(NEXT) | instid1(VALU_DEP_3)
	v_clz_i32_u32_e32 v7, v5
	v_cmp_eq_u32_e32 vcc_lo, 0, v15
	s_delay_alu instid0(VALU_DEP_2) | instskip(NEXT) | instid1(VALU_DEP_1)
	v_min_u32_e32 v7, 32, v7
	v_subrev_nc_u32_e32 v11, 29, v7
	v_sub_nc_u32_e32 v7, 30, v7
	s_delay_alu instid0(VALU_DEP_2) | instskip(NEXT) | instid1(VALU_DEP_2)
	v_lshlrev_b32_e32 v3, v11, v3
	v_cndmask_b32_e32 v7, v15, v7, vcc_lo
	s_delay_alu instid0(VALU_DEP_2) | instskip(NEXT) | instid1(VALU_DEP_1)
	v_and_b32_e32 v3, 3, v3
	v_cndmask_b32_e32 v3, v5, v3, vcc_lo
	s_delay_alu instid0(VALU_DEP_3) | instskip(NEXT) | instid1(VALU_DEP_2)
	v_lshl_add_u32 v5, v7, 23, 0x37800000
	v_lshlrev_b32_e32 v3, 21, v3
	s_delay_alu instid0(VALU_DEP_1) | instskip(NEXT) | instid1(VALU_DEP_1)
	v_or3_b32 v1, v1, v5, v3
	v_trunc_f32_e32 v1, v1
	s_delay_alu instid0(VALU_DEP_1) | instskip(SKIP_1) | instid1(VALU_DEP_2)
	v_mul_f32_e64 v3, 0x2f800000, |v1|
	v_ashrrev_i32_e32 v20, 31, v1
	v_floor_f32_e32 v3, v3
	s_delay_alu instid0(VALU_DEP_2) | instskip(NEXT) | instid1(VALU_DEP_2)
	v_mov_b32_e32 v21, v20
	v_fma_f32 v5, 0xcf800000, v3, |v1|
	v_cvt_u32_f32_e32 v1, v3
	s_delay_alu instid0(VALU_DEP_2) | instskip(NEXT) | instid1(VALU_DEP_2)
	v_cvt_u32_f32_e32 v3, v5
	v_xor_b32_e32 v25, v1, v20
	s_delay_alu instid0(VALU_DEP_2) | instskip(NEXT) | instid1(VALU_DEP_1)
	v_xor_b32_e32 v24, v3, v20
	v_sub_nc_u64_e32 v[20:21], v[24:25], v[20:21]
.LBB31_5153:
	s_or_b32 exec_lo, exec_lo, s6
	s_mov_b32 s6, 0
	s_branch .LBB31_5159
.LBB31_5154:
	s_mov_b32 s6, -1
                                        ; implicit-def: $vgpr20_vgpr21
	s_branch .LBB31_5165
.LBB31_5155:
	s_and_not1_saveexec_b32 s7, s7
	s_cbranch_execz .LBB31_5140
.LBB31_5156:
	v_cmp_ne_u16_e32 vcc_lo, 0, v1
	s_and_not1_b32 s9, s9, exec_lo
	s_and_b32 s23, vcc_lo, exec_lo
	s_delay_alu instid0(SALU_CYCLE_1)
	s_or_b32 s9, s9, s23
	s_or_b32 exec_lo, exec_lo, s7
	v_mov_b64_e32 v[20:21], 0
	s_and_saveexec_b32 s7, s9
	s_cbranch_execnz .LBB31_5141
	s_branch .LBB31_5142
.LBB31_5157:
	s_mov_b32 s6, -1
                                        ; implicit-def: $vgpr20_vgpr21
	s_branch .LBB31_5162
.LBB31_5158:
	s_mov_b32 s6, -1
                                        ; implicit-def: $vgpr20_vgpr21
.LBB31_5159:
	s_delay_alu instid0(SALU_CYCLE_1)
	s_and_b32 vcc_lo, exec_lo, s6
	s_cbranch_vccz .LBB31_5161
; %bb.5160:
	global_load_u8 v1, v[22:23], off
	s_wait_loadcnt 0x0
	v_lshlrev_b32_e32 v1, 24, v1
	s_delay_alu instid0(VALU_DEP_1) | instskip(NEXT) | instid1(VALU_DEP_1)
	v_and_b32_e32 v3, 0x7f000000, v1
	v_clz_i32_u32_e32 v5, v3
	v_add_nc_u32_e32 v11, 0x1000000, v3
	v_cmp_ne_u32_e32 vcc_lo, 0, v3
	s_delay_alu instid0(VALU_DEP_3) | instskip(NEXT) | instid1(VALU_DEP_1)
	v_min_u32_e32 v5, 32, v5
	v_sub_nc_u32_e64 v5, v5, 4 clamp
	s_delay_alu instid0(VALU_DEP_1) | instskip(NEXT) | instid1(VALU_DEP_1)
	v_dual_lshlrev_b32 v7, v5, v3 :: v_dual_lshlrev_b32 v5, 23, v5
	v_lshrrev_b32_e32 v7, 4, v7
	s_delay_alu instid0(VALU_DEP_1) | instskip(NEXT) | instid1(VALU_DEP_1)
	v_dual_sub_nc_u32 v5, v7, v5 :: v_dual_ashrrev_i32 v7, 8, v11
	v_add_nc_u32_e32 v5, 0x3c000000, v5
	s_delay_alu instid0(VALU_DEP_1) | instskip(NEXT) | instid1(VALU_DEP_1)
	v_and_or_b32 v5, 0x7f800000, v7, v5
	v_cndmask_b32_e32 v3, 0, v5, vcc_lo
	s_delay_alu instid0(VALU_DEP_1) | instskip(NEXT) | instid1(VALU_DEP_1)
	v_and_or_b32 v1, 0x80000000, v1, v3
	v_trunc_f32_e32 v1, v1
	s_delay_alu instid0(VALU_DEP_1) | instskip(SKIP_1) | instid1(VALU_DEP_2)
	v_mul_f32_e64 v3, 0x2f800000, |v1|
	v_ashrrev_i32_e32 v20, 31, v1
	v_floor_f32_e32 v3, v3
	s_delay_alu instid0(VALU_DEP_2) | instskip(NEXT) | instid1(VALU_DEP_2)
	v_mov_b32_e32 v21, v20
	v_fma_f32 v5, 0xcf800000, v3, |v1|
	v_cvt_u32_f32_e32 v1, v3
	s_delay_alu instid0(VALU_DEP_2) | instskip(NEXT) | instid1(VALU_DEP_2)
	v_cvt_u32_f32_e32 v3, v5
	v_xor_b32_e32 v25, v1, v20
	s_delay_alu instid0(VALU_DEP_2) | instskip(NEXT) | instid1(VALU_DEP_1)
	v_xor_b32_e32 v24, v3, v20
	v_sub_nc_u64_e32 v[20:21], v[24:25], v[20:21]
.LBB31_5161:
	s_mov_b32 s6, 0
.LBB31_5162:
	s_delay_alu instid0(SALU_CYCLE_1)
	s_and_not1_b32 vcc_lo, exec_lo, s6
	s_cbranch_vccnz .LBB31_5164
; %bb.5163:
	global_load_u8 v1, v[22:23], off
	s_wait_loadcnt 0x0
	v_lshlrev_b32_e32 v3, 25, v1
	v_lshlrev_b16 v1, 8, v1
	s_delay_alu instid0(VALU_DEP_1) | instskip(SKIP_1) | instid1(VALU_DEP_2)
	v_and_or_b32 v7, 0x7f00, v1, 0.5
	v_bfe_i32 v1, v1, 0, 16
	v_add_f32_e32 v7, -0.5, v7
	v_lshrrev_b32_e32 v5, 4, v3
	v_cmp_gt_u32_e32 vcc_lo, 0x8000000, v3
	s_delay_alu instid0(VALU_DEP_2) | instskip(NEXT) | instid1(VALU_DEP_1)
	v_or_b32_e32 v5, 0x70000000, v5
	v_mul_f32_e32 v5, 0x7800000, v5
	s_delay_alu instid0(VALU_DEP_1) | instskip(NEXT) | instid1(VALU_DEP_1)
	v_cndmask_b32_e32 v3, v5, v7, vcc_lo
	v_and_or_b32 v1, 0x80000000, v1, v3
	s_delay_alu instid0(VALU_DEP_1) | instskip(NEXT) | instid1(VALU_DEP_1)
	v_trunc_f32_e32 v1, v1
	v_mul_f32_e64 v3, 0x2f800000, |v1|
	v_ashrrev_i32_e32 v20, 31, v1
	s_delay_alu instid0(VALU_DEP_2) | instskip(NEXT) | instid1(VALU_DEP_2)
	v_floor_f32_e32 v3, v3
	v_mov_b32_e32 v21, v20
	s_delay_alu instid0(VALU_DEP_2) | instskip(SKIP_1) | instid1(VALU_DEP_2)
	v_fma_f32 v5, 0xcf800000, v3, |v1|
	v_cvt_u32_f32_e32 v1, v3
	v_cvt_u32_f32_e32 v3, v5
	s_delay_alu instid0(VALU_DEP_2) | instskip(NEXT) | instid1(VALU_DEP_2)
	v_xor_b32_e32 v25, v1, v20
	v_xor_b32_e32 v24, v3, v20
	s_delay_alu instid0(VALU_DEP_1)
	v_sub_nc_u64_e32 v[20:21], v[24:25], v[20:21]
.LBB31_5164:
	s_mov_b32 s6, 0
	s_mov_b32 s7, -1
.LBB31_5165:
	s_and_not1_b32 vcc_lo, exec_lo, s6
	s_mov_b32 s6, 0
	s_cbranch_vccnz .LBB31_5176
; %bb.5166:
	s_cmp_gt_i32 s55, 14
	s_cbranch_scc0 .LBB31_5169
; %bb.5167:
	s_cmp_eq_u32 s55, 15
	s_cbranch_scc0 .LBB31_5172
; %bb.5168:
	global_load_u16 v1, v[22:23], off
	s_mov_b32 s0, 0
	s_mov_b32 s7, -1
	s_wait_loadcnt 0x0
	v_lshlrev_b32_e32 v1, 16, v1
	s_delay_alu instid0(VALU_DEP_1) | instskip(NEXT) | instid1(VALU_DEP_1)
	v_trunc_f32_e32 v1, v1
	v_mul_f32_e64 v3, 0x2f800000, |v1|
	v_ashrrev_i32_e32 v20, 31, v1
	s_delay_alu instid0(VALU_DEP_2) | instskip(NEXT) | instid1(VALU_DEP_2)
	v_floor_f32_e32 v3, v3
	v_mov_b32_e32 v21, v20
	s_delay_alu instid0(VALU_DEP_2) | instskip(SKIP_1) | instid1(VALU_DEP_2)
	v_fma_f32 v5, 0xcf800000, v3, |v1|
	v_cvt_u32_f32_e32 v1, v3
	v_cvt_u32_f32_e32 v3, v5
	s_delay_alu instid0(VALU_DEP_2) | instskip(NEXT) | instid1(VALU_DEP_2)
	v_xor_b32_e32 v25, v1, v20
	v_xor_b32_e32 v24, v3, v20
	s_delay_alu instid0(VALU_DEP_1)
	v_sub_nc_u64_e32 v[20:21], v[24:25], v[20:21]
	s_branch .LBB31_5174
.LBB31_5169:
	s_mov_b32 s6, -1
	s_branch .LBB31_5173
.LBB31_5170:
	s_and_not1_saveexec_b32 s6, s6
	s_cbranch_execz .LBB31_5151
.LBB31_5171:
	v_cmp_ne_u16_e32 vcc_lo, 0, v1
	s_and_not1_b32 s7, s7, exec_lo
	s_and_b32 s9, vcc_lo, exec_lo
	s_delay_alu instid0(SALU_CYCLE_1)
	s_or_b32 s7, s7, s9
	s_or_b32 exec_lo, exec_lo, s6
	v_mov_b64_e32 v[20:21], 0
	s_and_saveexec_b32 s6, s7
	s_cbranch_execnz .LBB31_5152
	s_branch .LBB31_5153
.LBB31_5172:
	s_mov_b32 s0, -1
.LBB31_5173:
                                        ; implicit-def: $vgpr20_vgpr21
.LBB31_5174:
	s_and_b32 vcc_lo, exec_lo, s6
	s_mov_b32 s6, 0
	s_cbranch_vccz .LBB31_5176
; %bb.5175:
	s_cmp_lg_u32 s55, 11
	s_mov_b32 s6, -1
	s_cselect_b32 s0, -1, 0
.LBB31_5176:
	s_delay_alu instid0(SALU_CYCLE_1)
	s_and_b32 vcc_lo, exec_lo, s0
	s_mov_b32 s23, s1
	s_cbranch_vccnz .LBB31_5241
; %bb.5177:
	s_and_not1_b32 vcc_lo, exec_lo, s6
	s_cbranch_vccnz .LBB31_5179
.LBB31_5178:
	global_load_u8 v1, v[22:23], off
	s_mov_b32 s0, 0
	s_mov_b32 s7, -1
	s_wait_loadcnt 0x1
	v_mov_b32_e32 v21, s0
	s_wait_loadcnt 0x0
	v_cmp_ne_u16_e32 vcc_lo, 0, v1
	v_cndmask_b32_e64 v20, 0, 1, vcc_lo
.LBB31_5179:
	s_mov_b32 s0, 0
.LBB31_5180:
	s_delay_alu instid0(SALU_CYCLE_1)
	s_and_b32 vcc_lo, exec_lo, s0
	s_cbranch_vccz .LBB31_5229
; %bb.5181:
	s_cmp_lt_i32 s55, 5
	s_cbranch_scc1 .LBB31_5186
; %bb.5182:
	s_cmp_lt_i32 s55, 8
	s_cbranch_scc1 .LBB31_5187
	;; [unrolled: 3-line block ×3, first 2 shown]
; %bb.5184:
	s_cmp_gt_i32 s55, 9
	s_cbranch_scc0 .LBB31_5189
; %bb.5185:
	s_wait_loadcnt 0x0
	global_load_b64 v[20:21], v[22:23], off
	s_mov_b32 s0, 0
	s_wait_loadcnt 0x0
	v_trunc_f64_e32 v[20:21], v[20:21]
	s_delay_alu instid0(VALU_DEP_1) | instskip(NEXT) | instid1(VALU_DEP_1)
	v_ldexp_f64 v[24:25], v[20:21], 0xffffffe0
	v_floor_f64_e32 v[24:25], v[24:25]
	s_delay_alu instid0(VALU_DEP_1) | instskip(SKIP_1) | instid1(VALU_DEP_2)
	v_fmamk_f64 v[26:27], v[24:25], 0xc1f00000, v[20:21]
	v_cvt_i32_f64_e32 v21, v[24:25]
	v_cvt_u32_f64_e32 v20, v[26:27]
	s_branch .LBB31_5190
.LBB31_5186:
	s_mov_b32 s0, -1
                                        ; implicit-def: $vgpr20_vgpr21
	s_branch .LBB31_5208
.LBB31_5187:
	s_mov_b32 s0, -1
                                        ; implicit-def: $vgpr20_vgpr21
	s_branch .LBB31_5196
.LBB31_5188:
	s_mov_b32 s0, -1
                                        ; implicit-def: $vgpr20_vgpr21
	s_branch .LBB31_5193
.LBB31_5189:
	s_mov_b32 s0, -1
                                        ; implicit-def: $vgpr20_vgpr21
.LBB31_5190:
	s_delay_alu instid0(SALU_CYCLE_1)
	s_and_not1_b32 vcc_lo, exec_lo, s0
	s_cbranch_vccnz .LBB31_5192
; %bb.5191:
	global_load_b32 v1, v[22:23], off
	s_wait_loadcnt 0x0
	v_trunc_f32_e32 v1, v1
	s_delay_alu instid0(VALU_DEP_1) | instskip(SKIP_1) | instid1(VALU_DEP_2)
	v_mul_f32_e64 v3, 0x2f800000, |v1|
	v_ashrrev_i32_e32 v20, 31, v1
	v_floor_f32_e32 v3, v3
	s_delay_alu instid0(VALU_DEP_1) | instskip(SKIP_1) | instid1(VALU_DEP_4)
	v_fma_f32 v5, 0xcf800000, v3, |v1|
	v_cvt_u32_f32_e32 v1, v3
	v_mov_b32_e32 v21, v20
	s_delay_alu instid0(VALU_DEP_3) | instskip(NEXT) | instid1(VALU_DEP_3)
	v_cvt_u32_f32_e32 v3, v5
	v_xor_b32_e32 v25, v1, v20
	s_delay_alu instid0(VALU_DEP_2) | instskip(NEXT) | instid1(VALU_DEP_1)
	v_xor_b32_e32 v24, v3, v20
	v_sub_nc_u64_e32 v[20:21], v[24:25], v[20:21]
.LBB31_5192:
	s_mov_b32 s0, 0
.LBB31_5193:
	s_delay_alu instid0(SALU_CYCLE_1)
	s_and_not1_b32 vcc_lo, exec_lo, s0
	s_cbranch_vccnz .LBB31_5195
; %bb.5194:
	global_load_b32 v1, v[22:23], off
	s_wait_loadcnt 0x0
	v_cvt_f32_f16_e32 v1, v1
	s_delay_alu instid0(VALU_DEP_1) | instskip(NEXT) | instid1(VALU_DEP_1)
	v_cvt_i32_f32_e32 v20, v1
	v_ashrrev_i32_e32 v21, 31, v20
.LBB31_5195:
	s_mov_b32 s0, 0
.LBB31_5196:
	s_delay_alu instid0(SALU_CYCLE_1)
	s_and_not1_b32 vcc_lo, exec_lo, s0
	s_cbranch_vccnz .LBB31_5207
; %bb.5197:
	s_cmp_lt_i32 s55, 6
	s_cbranch_scc1 .LBB31_5200
; %bb.5198:
	s_cmp_gt_i32 s55, 6
	s_cbranch_scc0 .LBB31_5201
; %bb.5199:
	s_wait_loadcnt 0x0
	global_load_b64 v[20:21], v[22:23], off
	s_mov_b32 s0, 0
	s_wait_loadcnt 0x0
	v_trunc_f64_e32 v[20:21], v[20:21]
	s_delay_alu instid0(VALU_DEP_1) | instskip(NEXT) | instid1(VALU_DEP_1)
	v_ldexp_f64 v[24:25], v[20:21], 0xffffffe0
	v_floor_f64_e32 v[24:25], v[24:25]
	s_delay_alu instid0(VALU_DEP_1) | instskip(SKIP_1) | instid1(VALU_DEP_2)
	v_fmamk_f64 v[26:27], v[24:25], 0xc1f00000, v[20:21]
	v_cvt_i32_f64_e32 v21, v[24:25]
	v_cvt_u32_f64_e32 v20, v[26:27]
	s_branch .LBB31_5202
.LBB31_5200:
	s_mov_b32 s0, -1
                                        ; implicit-def: $vgpr20_vgpr21
	s_branch .LBB31_5205
.LBB31_5201:
	s_mov_b32 s0, -1
                                        ; implicit-def: $vgpr20_vgpr21
.LBB31_5202:
	s_delay_alu instid0(SALU_CYCLE_1)
	s_and_not1_b32 vcc_lo, exec_lo, s0
	s_cbranch_vccnz .LBB31_5204
; %bb.5203:
	global_load_b32 v1, v[22:23], off
	s_wait_loadcnt 0x0
	v_trunc_f32_e32 v1, v1
	s_delay_alu instid0(VALU_DEP_1) | instskip(SKIP_1) | instid1(VALU_DEP_2)
	v_mul_f32_e64 v3, 0x2f800000, |v1|
	v_ashrrev_i32_e32 v20, 31, v1
	v_floor_f32_e32 v3, v3
	s_delay_alu instid0(VALU_DEP_1) | instskip(SKIP_1) | instid1(VALU_DEP_4)
	v_fma_f32 v5, 0xcf800000, v3, |v1|
	v_cvt_u32_f32_e32 v1, v3
	v_mov_b32_e32 v21, v20
	s_delay_alu instid0(VALU_DEP_3) | instskip(NEXT) | instid1(VALU_DEP_3)
	v_cvt_u32_f32_e32 v3, v5
	v_xor_b32_e32 v25, v1, v20
	s_delay_alu instid0(VALU_DEP_2) | instskip(NEXT) | instid1(VALU_DEP_1)
	v_xor_b32_e32 v24, v3, v20
	v_sub_nc_u64_e32 v[20:21], v[24:25], v[20:21]
.LBB31_5204:
	s_mov_b32 s0, 0
.LBB31_5205:
	s_delay_alu instid0(SALU_CYCLE_1)
	s_and_not1_b32 vcc_lo, exec_lo, s0
	s_cbranch_vccnz .LBB31_5207
; %bb.5206:
	global_load_u16 v1, v[22:23], off
	s_wait_loadcnt 0x0
	v_cvt_f32_f16_e32 v1, v1
	s_delay_alu instid0(VALU_DEP_1) | instskip(NEXT) | instid1(VALU_DEP_1)
	v_cvt_i32_f32_e32 v20, v1
	v_ashrrev_i32_e32 v21, 31, v20
.LBB31_5207:
	s_mov_b32 s0, 0
.LBB31_5208:
	s_delay_alu instid0(SALU_CYCLE_1)
	s_and_not1_b32 vcc_lo, exec_lo, s0
	s_cbranch_vccnz .LBB31_5228
; %bb.5209:
	s_cmp_lt_i32 s55, 2
	s_cbranch_scc1 .LBB31_5213
; %bb.5210:
	s_cmp_lt_i32 s55, 3
	s_cbranch_scc1 .LBB31_5214
; %bb.5211:
	s_cmp_gt_i32 s55, 3
	s_cbranch_scc0 .LBB31_5215
; %bb.5212:
	s_wait_loadcnt 0x0
	global_load_b64 v[20:21], v[22:23], off
	s_mov_b32 s0, 0
	s_branch .LBB31_5216
.LBB31_5213:
	s_mov_b32 s0, -1
                                        ; implicit-def: $vgpr20_vgpr21
	s_branch .LBB31_5222
.LBB31_5214:
	s_mov_b32 s0, -1
                                        ; implicit-def: $vgpr20_vgpr21
	s_branch .LBB31_5219
.LBB31_5215:
	s_mov_b32 s0, -1
                                        ; implicit-def: $vgpr20_vgpr21
.LBB31_5216:
	s_delay_alu instid0(SALU_CYCLE_1)
	s_and_not1_b32 vcc_lo, exec_lo, s0
	s_cbranch_vccnz .LBB31_5218
; %bb.5217:
	s_wait_loadcnt 0x0
	global_load_b32 v20, v[22:23], off
	s_wait_loadcnt 0x0
	v_ashrrev_i32_e32 v21, 31, v20
.LBB31_5218:
	s_mov_b32 s0, 0
.LBB31_5219:
	s_delay_alu instid0(SALU_CYCLE_1)
	s_and_not1_b32 vcc_lo, exec_lo, s0
	s_cbranch_vccnz .LBB31_5221
; %bb.5220:
	global_load_u16 v1, v[22:23], off
	s_wait_loadcnt 0x0
	v_bfe_i32 v20, v1, 0, 16
	s_delay_alu instid0(VALU_DEP_1)
	v_ashrrev_i32_e32 v21, 31, v20
.LBB31_5221:
	s_mov_b32 s0, 0
.LBB31_5222:
	s_delay_alu instid0(SALU_CYCLE_1)
	s_and_not1_b32 vcc_lo, exec_lo, s0
	s_cbranch_vccnz .LBB31_5228
; %bb.5223:
	s_cmp_gt_i32 s55, 0
	s_mov_b32 s0, 0
	s_cbranch_scc0 .LBB31_5225
; %bb.5224:
	global_load_i8 v1, v[22:23], off
	s_wait_loadcnt 0x0
	v_bfe_i32 v20, v1, 0, 16
	s_delay_alu instid0(VALU_DEP_1)
	v_ashrrev_i32_e32 v21, 31, v20
	s_branch .LBB31_5226
.LBB31_5225:
	s_mov_b32 s0, -1
                                        ; implicit-def: $vgpr20_vgpr21
.LBB31_5226:
	s_delay_alu instid0(SALU_CYCLE_1)
	s_and_not1_b32 vcc_lo, exec_lo, s0
	s_cbranch_vccnz .LBB31_5228
; %bb.5227:
	global_load_u8 v1, v[22:23], off
	s_mov_b32 s0, 0
	s_wait_loadcnt 0x1
	v_mov_b32_e32 v21, s0
	s_wait_loadcnt 0x0
	v_and_b32_e32 v20, 0xffff, v1
.LBB31_5228:
	s_mov_b32 s7, -1
.LBB31_5229:
	s_delay_alu instid0(SALU_CYCLE_1)
	s_and_not1_b32 vcc_lo, exec_lo, s7
	s_cbranch_vccnz .LBB31_5749
; %bb.5230:
	v_mov_b32_e32 v19, 0
	s_cmp_lt_i32 s56, 11
	s_wait_xcnt 0x0
	s_delay_alu instid0(VALU_DEP_1)
	v_add_nc_u64_e32 v[22:23], s[10:11], v[18:19]
	s_cbranch_scc1 .LBB31_5237
; %bb.5231:
	s_cmp_gt_i32 s56, 25
	s_mov_b32 s6, 0
	s_cbranch_scc0 .LBB31_5238
; %bb.5232:
	s_cmp_gt_i32 s56, 28
	s_cbranch_scc0 .LBB31_5239
; %bb.5233:
	s_cmp_gt_i32 s56, 43
	;; [unrolled: 3-line block ×3, first 2 shown]
	s_cbranch_scc0 .LBB31_5242
; %bb.5235:
	s_cmp_eq_u32 s56, 46
	s_mov_b32 s9, 0
	s_cbranch_scc0 .LBB31_5244
; %bb.5236:
	global_load_b32 v1, v[22:23], off
	s_mov_b32 s0, 0
	s_mov_b32 s7, -1
	s_wait_loadcnt 0x0
	v_lshlrev_b32_e32 v1, 16, v1
	s_delay_alu instid0(VALU_DEP_1) | instskip(NEXT) | instid1(VALU_DEP_1)
	v_trunc_f32_e32 v1, v1
	v_mul_f32_e64 v3, 0x2f800000, |v1|
	v_ashrrev_i32_e32 v18, 31, v1
	s_delay_alu instid0(VALU_DEP_2) | instskip(NEXT) | instid1(VALU_DEP_2)
	v_floor_f32_e32 v3, v3
	v_mov_b32_e32 v19, v18
	s_delay_alu instid0(VALU_DEP_2) | instskip(SKIP_1) | instid1(VALU_DEP_2)
	v_fma_f32 v5, 0xcf800000, v3, |v1|
	v_cvt_u32_f32_e32 v1, v3
	v_cvt_u32_f32_e32 v3, v5
	s_delay_alu instid0(VALU_DEP_2) | instskip(NEXT) | instid1(VALU_DEP_2)
	v_xor_b32_e32 v25, v1, v18
	v_xor_b32_e32 v24, v3, v18
	s_delay_alu instid0(VALU_DEP_1)
	v_sub_nc_u64_e32 v[18:19], v[24:25], v[18:19]
	s_branch .LBB31_5246
.LBB31_5237:
	s_mov_b32 s0, -1
	s_mov_b32 s7, 0
                                        ; implicit-def: $vgpr18_vgpr19
	s_branch .LBB31_5308
.LBB31_5238:
	s_mov_b32 s9, -1
	s_mov_b32 s7, 0
	s_mov_b32 s0, 0
                                        ; implicit-def: $vgpr18_vgpr19
	s_branch .LBB31_5273
.LBB31_5239:
	s_mov_b32 s9, -1
	s_mov_b32 s7, 0
	s_mov_b32 s0, 0
                                        ; implicit-def: $vgpr18_vgpr19
	s_branch .LBB31_5256
.LBB31_5240:
	s_mov_b32 s9, -1
	s_mov_b32 s7, 0
	s_mov_b32 s0, 0
                                        ; implicit-def: $vgpr18_vgpr19
	s_branch .LBB31_5251
.LBB31_5241:
	s_or_b32 s23, s1, exec_lo
	s_trap 2
	s_cbranch_execz .LBB31_5178
	s_branch .LBB31_5179
.LBB31_5242:
	s_mov_b32 s9, -1
	s_mov_b32 s7, 0
	s_mov_b32 s0, 0
	s_branch .LBB31_5245
.LBB31_5243:
	s_or_b32 s54, s54, exec_lo
	s_trap 2
                                        ; implicit-def: $vgpr28_vgpr29
                                        ; implicit-def: $vgpr26_vgpr27
                                        ; implicit-def: $vgpr24_vgpr25
                                        ; implicit-def: $vgpr32_vgpr33
                                        ; implicit-def: $vgpr6
                                        ; implicit-def: $vgpr4
                                        ; implicit-def: $vgpr2
                                        ; implicit-def: $vgpr14
                                        ; implicit-def: $vgpr10
                                        ; implicit-def: $vgpr18
                                        ; implicit-def: $vgpr16
                                        ; implicit-def: $vgpr0
                                        ; implicit-def: $vgpr20
                                        ; implicit-def: $vgpr8_vgpr9
                                        ; implicit-def: $vgpr12_vgpr13
	s_branch .LBB31_5076
.LBB31_5244:
	s_mov_b32 s0, -1
	s_mov_b32 s7, 0
.LBB31_5245:
                                        ; implicit-def: $vgpr18_vgpr19
.LBB31_5246:
	s_and_b32 vcc_lo, exec_lo, s9
	s_cbranch_vccz .LBB31_5250
; %bb.5247:
	s_cmp_eq_u32 s56, 44
	s_cbranch_scc0 .LBB31_5249
; %bb.5248:
	global_load_u8 v1, v[22:23], off
	s_mov_b32 s0, 0
	s_mov_b32 s7, -1
	s_wait_loadcnt 0x0
	v_lshlrev_b32_e32 v3, 23, v1
	v_cmp_ne_u32_e32 vcc_lo, 0, v1
	s_delay_alu instid0(VALU_DEP_2) | instskip(NEXT) | instid1(VALU_DEP_1)
	v_trunc_f32_e32 v3, v3
	v_mul_f32_e64 v5, 0x2f800000, |v3|
	v_ashrrev_i32_e32 v18, 31, v3
	s_delay_alu instid0(VALU_DEP_2) | instskip(NEXT) | instid1(VALU_DEP_2)
	v_floor_f32_e32 v5, v5
	v_mov_b32_e32 v19, v18
	s_delay_alu instid0(VALU_DEP_2) | instskip(SKIP_1) | instid1(VALU_DEP_2)
	v_fma_f32 v7, 0xcf800000, v5, |v3|
	v_cvt_u32_f32_e32 v3, v5
	v_cvt_u32_f32_e32 v5, v7
	s_delay_alu instid0(VALU_DEP_2) | instskip(NEXT) | instid1(VALU_DEP_2)
	v_xor_b32_e32 v25, v3, v18
	v_xor_b32_e32 v24, v5, v18
	s_delay_alu instid0(VALU_DEP_1) | instskip(NEXT) | instid1(VALU_DEP_1)
	v_sub_nc_u64_e32 v[18:19], v[24:25], v[18:19]
	v_dual_cndmask_b32 v19, 0, v19 :: v_dual_cndmask_b32 v18, 0, v18
	s_branch .LBB31_5250
.LBB31_5249:
	s_mov_b32 s0, -1
                                        ; implicit-def: $vgpr18_vgpr19
.LBB31_5250:
	s_mov_b32 s9, 0
.LBB31_5251:
	s_delay_alu instid0(SALU_CYCLE_1)
	s_and_b32 vcc_lo, exec_lo, s9
	s_cbranch_vccz .LBB31_5255
; %bb.5252:
	s_cmp_eq_u32 s56, 29
	s_cbranch_scc0 .LBB31_5254
; %bb.5253:
	global_load_b64 v[18:19], v[22:23], off
	s_mov_b32 s0, 0
	s_mov_b32 s7, -1
	s_branch .LBB31_5255
.LBB31_5254:
	s_mov_b32 s0, -1
                                        ; implicit-def: $vgpr18_vgpr19
.LBB31_5255:
	s_mov_b32 s9, 0
.LBB31_5256:
	s_delay_alu instid0(SALU_CYCLE_1)
	s_and_b32 vcc_lo, exec_lo, s9
	s_cbranch_vccz .LBB31_5272
; %bb.5257:
	s_cmp_lt_i32 s56, 27
	s_cbranch_scc1 .LBB31_5260
; %bb.5258:
	s_cmp_gt_i32 s56, 27
	s_cbranch_scc0 .LBB31_5261
; %bb.5259:
	s_wait_loadcnt 0x0
	global_load_b32 v18, v[22:23], off
	v_mov_b32_e32 v19, 0
	s_mov_b32 s7, 0
	s_branch .LBB31_5262
.LBB31_5260:
	s_mov_b32 s7, -1
                                        ; implicit-def: $vgpr18_vgpr19
	s_branch .LBB31_5265
.LBB31_5261:
	s_mov_b32 s7, -1
                                        ; implicit-def: $vgpr18_vgpr19
.LBB31_5262:
	s_delay_alu instid0(SALU_CYCLE_1)
	s_and_not1_b32 vcc_lo, exec_lo, s7
	s_cbranch_vccnz .LBB31_5264
; %bb.5263:
	global_load_u16 v1, v[22:23], off
	s_mov_b32 s7, 0
	s_wait_loadcnt 0x1
	v_mov_b32_e32 v19, s7
	s_wait_loadcnt 0x0
	v_and_b32_e32 v18, 0xffff, v1
.LBB31_5264:
	s_mov_b32 s7, 0
.LBB31_5265:
	s_delay_alu instid0(SALU_CYCLE_1)
	s_and_not1_b32 vcc_lo, exec_lo, s7
	s_cbranch_vccnz .LBB31_5271
; %bb.5266:
	global_load_u8 v1, v[22:23], off
	s_mov_b32 s9, 0
	s_mov_b32 s7, exec_lo
	s_wait_loadcnt 0x0
	v_cmpx_lt_i16_e32 0x7f, v1
	s_xor_b32 s7, exec_lo, s7
	s_cbranch_execz .LBB31_5283
; %bb.5267:
	v_cmp_ne_u16_e32 vcc_lo, 0x80, v1
	s_and_b32 s9, vcc_lo, exec_lo
	s_and_not1_saveexec_b32 s7, s7
	s_cbranch_execnz .LBB31_5284
.LBB31_5268:
	s_or_b32 exec_lo, exec_lo, s7
	v_mov_b64_e32 v[18:19], 0
	s_and_saveexec_b32 s7, s9
	s_cbranch_execz .LBB31_5270
.LBB31_5269:
	v_and_b32_e32 v3, 0xffff, v1
	s_delay_alu instid0(VALU_DEP_1) | instskip(SKIP_1) | instid1(VALU_DEP_2)
	v_dual_lshlrev_b32 v1, 24, v1 :: v_dual_bitop2_b32 v5, 7, v3 bitop3:0x40
	v_bfe_u32 v15, v3, 3, 4
	v_and_b32_e32 v1, 0x80000000, v1
	s_delay_alu instid0(VALU_DEP_3) | instskip(NEXT) | instid1(VALU_DEP_3)
	v_clz_i32_u32_e32 v7, v5
	v_cmp_eq_u32_e32 vcc_lo, 0, v15
	s_delay_alu instid0(VALU_DEP_2) | instskip(NEXT) | instid1(VALU_DEP_1)
	v_min_u32_e32 v7, 32, v7
	v_subrev_nc_u32_e32 v11, 28, v7
	v_sub_nc_u32_e32 v7, 29, v7
	s_delay_alu instid0(VALU_DEP_2) | instskip(NEXT) | instid1(VALU_DEP_2)
	v_lshlrev_b32_e32 v3, v11, v3
	v_cndmask_b32_e32 v7, v15, v7, vcc_lo
	s_delay_alu instid0(VALU_DEP_2) | instskip(NEXT) | instid1(VALU_DEP_1)
	v_and_b32_e32 v3, 7, v3
	v_cndmask_b32_e32 v3, v5, v3, vcc_lo
	s_delay_alu instid0(VALU_DEP_3) | instskip(NEXT) | instid1(VALU_DEP_2)
	v_lshl_add_u32 v5, v7, 23, 0x3b800000
	v_lshlrev_b32_e32 v3, 20, v3
	s_delay_alu instid0(VALU_DEP_1) | instskip(NEXT) | instid1(VALU_DEP_1)
	v_or3_b32 v1, v1, v5, v3
	v_trunc_f32_e32 v1, v1
	s_delay_alu instid0(VALU_DEP_1) | instskip(SKIP_1) | instid1(VALU_DEP_2)
	v_mul_f32_e64 v3, 0x2f800000, |v1|
	v_ashrrev_i32_e32 v18, 31, v1
	v_floor_f32_e32 v3, v3
	s_delay_alu instid0(VALU_DEP_2) | instskip(NEXT) | instid1(VALU_DEP_2)
	v_mov_b32_e32 v19, v18
	v_fma_f32 v5, 0xcf800000, v3, |v1|
	v_cvt_u32_f32_e32 v1, v3
	s_delay_alu instid0(VALU_DEP_2) | instskip(NEXT) | instid1(VALU_DEP_2)
	v_cvt_u32_f32_e32 v3, v5
	v_xor_b32_e32 v25, v1, v18
	s_delay_alu instid0(VALU_DEP_2) | instskip(NEXT) | instid1(VALU_DEP_1)
	v_xor_b32_e32 v24, v3, v18
	v_sub_nc_u64_e32 v[18:19], v[24:25], v[18:19]
.LBB31_5270:
	s_or_b32 exec_lo, exec_lo, s7
.LBB31_5271:
	s_mov_b32 s7, -1
.LBB31_5272:
	s_mov_b32 s9, 0
.LBB31_5273:
	s_delay_alu instid0(SALU_CYCLE_1)
	s_and_b32 vcc_lo, exec_lo, s9
	s_cbranch_vccz .LBB31_5304
; %bb.5274:
	s_cmp_gt_i32 s56, 22
	s_cbranch_scc0 .LBB31_5282
; %bb.5275:
	s_cmp_lt_i32 s56, 24
	s_cbranch_scc1 .LBB31_5285
; %bb.5276:
	s_cmp_gt_i32 s56, 24
	s_cbranch_scc0 .LBB31_5286
; %bb.5277:
	global_load_u8 v1, v[22:23], off
	s_mov_b32 s7, 0
	s_mov_b32 s6, exec_lo
	s_wait_loadcnt 0x0
	v_cmpx_lt_i16_e32 0x7f, v1
	s_xor_b32 s6, exec_lo, s6
	s_cbranch_execz .LBB31_5298
; %bb.5278:
	v_cmp_ne_u16_e32 vcc_lo, 0x80, v1
	s_and_b32 s7, vcc_lo, exec_lo
	s_and_not1_saveexec_b32 s6, s6
	s_cbranch_execnz .LBB31_5299
.LBB31_5279:
	s_or_b32 exec_lo, exec_lo, s6
	v_mov_b64_e32 v[18:19], 0
	s_and_saveexec_b32 s6, s7
	s_cbranch_execz .LBB31_5281
.LBB31_5280:
	v_and_b32_e32 v3, 0xffff, v1
	s_delay_alu instid0(VALU_DEP_1) | instskip(SKIP_1) | instid1(VALU_DEP_2)
	v_dual_lshlrev_b32 v1, 24, v1 :: v_dual_bitop2_b32 v5, 3, v3 bitop3:0x40
	v_bfe_u32 v15, v3, 2, 5
	v_and_b32_e32 v1, 0x80000000, v1
	s_delay_alu instid0(VALU_DEP_3) | instskip(NEXT) | instid1(VALU_DEP_3)
	v_clz_i32_u32_e32 v7, v5
	v_cmp_eq_u32_e32 vcc_lo, 0, v15
	s_delay_alu instid0(VALU_DEP_2) | instskip(NEXT) | instid1(VALU_DEP_1)
	v_min_u32_e32 v7, 32, v7
	v_subrev_nc_u32_e32 v11, 29, v7
	v_sub_nc_u32_e32 v7, 30, v7
	s_delay_alu instid0(VALU_DEP_2) | instskip(NEXT) | instid1(VALU_DEP_2)
	v_lshlrev_b32_e32 v3, v11, v3
	v_cndmask_b32_e32 v7, v15, v7, vcc_lo
	s_delay_alu instid0(VALU_DEP_2) | instskip(NEXT) | instid1(VALU_DEP_1)
	v_and_b32_e32 v3, 3, v3
	v_cndmask_b32_e32 v3, v5, v3, vcc_lo
	s_delay_alu instid0(VALU_DEP_3) | instskip(NEXT) | instid1(VALU_DEP_2)
	v_lshl_add_u32 v5, v7, 23, 0x37800000
	v_lshlrev_b32_e32 v3, 21, v3
	s_delay_alu instid0(VALU_DEP_1) | instskip(NEXT) | instid1(VALU_DEP_1)
	v_or3_b32 v1, v1, v5, v3
	v_trunc_f32_e32 v1, v1
	s_delay_alu instid0(VALU_DEP_1) | instskip(SKIP_1) | instid1(VALU_DEP_2)
	v_mul_f32_e64 v3, 0x2f800000, |v1|
	v_ashrrev_i32_e32 v18, 31, v1
	v_floor_f32_e32 v3, v3
	s_delay_alu instid0(VALU_DEP_2) | instskip(NEXT) | instid1(VALU_DEP_2)
	v_mov_b32_e32 v19, v18
	v_fma_f32 v5, 0xcf800000, v3, |v1|
	v_cvt_u32_f32_e32 v1, v3
	s_delay_alu instid0(VALU_DEP_2) | instskip(NEXT) | instid1(VALU_DEP_2)
	v_cvt_u32_f32_e32 v3, v5
	v_xor_b32_e32 v25, v1, v18
	s_delay_alu instid0(VALU_DEP_2) | instskip(NEXT) | instid1(VALU_DEP_1)
	v_xor_b32_e32 v24, v3, v18
	v_sub_nc_u64_e32 v[18:19], v[24:25], v[18:19]
.LBB31_5281:
	s_or_b32 exec_lo, exec_lo, s6
	s_mov_b32 s6, 0
	s_branch .LBB31_5287
.LBB31_5282:
	s_mov_b32 s6, -1
                                        ; implicit-def: $vgpr18_vgpr19
	s_branch .LBB31_5293
.LBB31_5283:
	s_and_not1_saveexec_b32 s7, s7
	s_cbranch_execz .LBB31_5268
.LBB31_5284:
	v_cmp_ne_u16_e32 vcc_lo, 0, v1
	s_and_not1_b32 s9, s9, exec_lo
	s_and_b32 s10, vcc_lo, exec_lo
	s_delay_alu instid0(SALU_CYCLE_1)
	s_or_b32 s9, s9, s10
	s_or_b32 exec_lo, exec_lo, s7
	v_mov_b64_e32 v[18:19], 0
	s_and_saveexec_b32 s7, s9
	s_cbranch_execnz .LBB31_5269
	s_branch .LBB31_5270
.LBB31_5285:
	s_mov_b32 s6, -1
                                        ; implicit-def: $vgpr18_vgpr19
	s_branch .LBB31_5290
.LBB31_5286:
	s_mov_b32 s6, -1
                                        ; implicit-def: $vgpr18_vgpr19
.LBB31_5287:
	s_delay_alu instid0(SALU_CYCLE_1)
	s_and_b32 vcc_lo, exec_lo, s6
	s_cbranch_vccz .LBB31_5289
; %bb.5288:
	global_load_u8 v1, v[22:23], off
	s_wait_loadcnt 0x0
	v_lshlrev_b32_e32 v1, 24, v1
	s_delay_alu instid0(VALU_DEP_1) | instskip(NEXT) | instid1(VALU_DEP_1)
	v_and_b32_e32 v3, 0x7f000000, v1
	v_clz_i32_u32_e32 v5, v3
	v_add_nc_u32_e32 v11, 0x1000000, v3
	v_cmp_ne_u32_e32 vcc_lo, 0, v3
	s_delay_alu instid0(VALU_DEP_3) | instskip(NEXT) | instid1(VALU_DEP_1)
	v_min_u32_e32 v5, 32, v5
	v_sub_nc_u32_e64 v5, v5, 4 clamp
	s_delay_alu instid0(VALU_DEP_1) | instskip(NEXT) | instid1(VALU_DEP_1)
	v_dual_lshlrev_b32 v7, v5, v3 :: v_dual_lshlrev_b32 v5, 23, v5
	v_lshrrev_b32_e32 v7, 4, v7
	s_delay_alu instid0(VALU_DEP_1) | instskip(NEXT) | instid1(VALU_DEP_1)
	v_dual_sub_nc_u32 v5, v7, v5 :: v_dual_ashrrev_i32 v7, 8, v11
	v_add_nc_u32_e32 v5, 0x3c000000, v5
	s_delay_alu instid0(VALU_DEP_1) | instskip(NEXT) | instid1(VALU_DEP_1)
	v_and_or_b32 v5, 0x7f800000, v7, v5
	v_cndmask_b32_e32 v3, 0, v5, vcc_lo
	s_delay_alu instid0(VALU_DEP_1) | instskip(NEXT) | instid1(VALU_DEP_1)
	v_and_or_b32 v1, 0x80000000, v1, v3
	v_trunc_f32_e32 v1, v1
	s_delay_alu instid0(VALU_DEP_1) | instskip(SKIP_1) | instid1(VALU_DEP_2)
	v_mul_f32_e64 v3, 0x2f800000, |v1|
	v_ashrrev_i32_e32 v18, 31, v1
	v_floor_f32_e32 v3, v3
	s_delay_alu instid0(VALU_DEP_2) | instskip(NEXT) | instid1(VALU_DEP_2)
	v_mov_b32_e32 v19, v18
	v_fma_f32 v5, 0xcf800000, v3, |v1|
	v_cvt_u32_f32_e32 v1, v3
	s_delay_alu instid0(VALU_DEP_2) | instskip(NEXT) | instid1(VALU_DEP_2)
	v_cvt_u32_f32_e32 v3, v5
	v_xor_b32_e32 v25, v1, v18
	s_delay_alu instid0(VALU_DEP_2) | instskip(NEXT) | instid1(VALU_DEP_1)
	v_xor_b32_e32 v24, v3, v18
	v_sub_nc_u64_e32 v[18:19], v[24:25], v[18:19]
.LBB31_5289:
	s_mov_b32 s6, 0
.LBB31_5290:
	s_delay_alu instid0(SALU_CYCLE_1)
	s_and_not1_b32 vcc_lo, exec_lo, s6
	s_cbranch_vccnz .LBB31_5292
; %bb.5291:
	global_load_u8 v1, v[22:23], off
	s_wait_loadcnt 0x0
	v_lshlrev_b32_e32 v3, 25, v1
	v_lshlrev_b16 v1, 8, v1
	s_delay_alu instid0(VALU_DEP_1) | instskip(SKIP_1) | instid1(VALU_DEP_2)
	v_and_or_b32 v7, 0x7f00, v1, 0.5
	v_bfe_i32 v1, v1, 0, 16
	v_add_f32_e32 v7, -0.5, v7
	v_lshrrev_b32_e32 v5, 4, v3
	v_cmp_gt_u32_e32 vcc_lo, 0x8000000, v3
	s_delay_alu instid0(VALU_DEP_2) | instskip(NEXT) | instid1(VALU_DEP_1)
	v_or_b32_e32 v5, 0x70000000, v5
	v_mul_f32_e32 v5, 0x7800000, v5
	s_delay_alu instid0(VALU_DEP_1) | instskip(NEXT) | instid1(VALU_DEP_1)
	v_cndmask_b32_e32 v3, v5, v7, vcc_lo
	v_and_or_b32 v1, 0x80000000, v1, v3
	s_delay_alu instid0(VALU_DEP_1) | instskip(NEXT) | instid1(VALU_DEP_1)
	v_trunc_f32_e32 v1, v1
	v_mul_f32_e64 v3, 0x2f800000, |v1|
	v_ashrrev_i32_e32 v18, 31, v1
	s_delay_alu instid0(VALU_DEP_2) | instskip(NEXT) | instid1(VALU_DEP_2)
	v_floor_f32_e32 v3, v3
	v_mov_b32_e32 v19, v18
	s_delay_alu instid0(VALU_DEP_2) | instskip(SKIP_1) | instid1(VALU_DEP_2)
	v_fma_f32 v5, 0xcf800000, v3, |v1|
	v_cvt_u32_f32_e32 v1, v3
	v_cvt_u32_f32_e32 v3, v5
	s_delay_alu instid0(VALU_DEP_2) | instskip(NEXT) | instid1(VALU_DEP_2)
	v_xor_b32_e32 v25, v1, v18
	v_xor_b32_e32 v24, v3, v18
	s_delay_alu instid0(VALU_DEP_1)
	v_sub_nc_u64_e32 v[18:19], v[24:25], v[18:19]
.LBB31_5292:
	s_mov_b32 s6, 0
	s_mov_b32 s7, -1
.LBB31_5293:
	s_and_not1_b32 vcc_lo, exec_lo, s6
	s_mov_b32 s6, 0
	s_cbranch_vccnz .LBB31_5304
; %bb.5294:
	s_cmp_gt_i32 s56, 14
	s_cbranch_scc0 .LBB31_5297
; %bb.5295:
	s_cmp_eq_u32 s56, 15
	s_cbranch_scc0 .LBB31_5300
; %bb.5296:
	global_load_u16 v1, v[22:23], off
	s_mov_b32 s0, 0
	s_mov_b32 s7, -1
	s_wait_loadcnt 0x0
	v_lshlrev_b32_e32 v1, 16, v1
	s_delay_alu instid0(VALU_DEP_1) | instskip(NEXT) | instid1(VALU_DEP_1)
	v_trunc_f32_e32 v1, v1
	v_mul_f32_e64 v3, 0x2f800000, |v1|
	v_ashrrev_i32_e32 v18, 31, v1
	s_delay_alu instid0(VALU_DEP_2) | instskip(NEXT) | instid1(VALU_DEP_2)
	v_floor_f32_e32 v3, v3
	v_mov_b32_e32 v19, v18
	s_delay_alu instid0(VALU_DEP_2) | instskip(SKIP_1) | instid1(VALU_DEP_2)
	v_fma_f32 v5, 0xcf800000, v3, |v1|
	v_cvt_u32_f32_e32 v1, v3
	v_cvt_u32_f32_e32 v3, v5
	s_delay_alu instid0(VALU_DEP_2) | instskip(NEXT) | instid1(VALU_DEP_2)
	v_xor_b32_e32 v25, v1, v18
	v_xor_b32_e32 v24, v3, v18
	s_delay_alu instid0(VALU_DEP_1)
	v_sub_nc_u64_e32 v[18:19], v[24:25], v[18:19]
	s_branch .LBB31_5302
.LBB31_5297:
	s_mov_b32 s6, -1
	s_branch .LBB31_5301
.LBB31_5298:
	s_and_not1_saveexec_b32 s6, s6
	s_cbranch_execz .LBB31_5279
.LBB31_5299:
	v_cmp_ne_u16_e32 vcc_lo, 0, v1
	s_and_not1_b32 s7, s7, exec_lo
	s_and_b32 s9, vcc_lo, exec_lo
	s_delay_alu instid0(SALU_CYCLE_1)
	s_or_b32 s7, s7, s9
	s_or_b32 exec_lo, exec_lo, s6
	v_mov_b64_e32 v[18:19], 0
	s_and_saveexec_b32 s6, s7
	s_cbranch_execnz .LBB31_5280
	s_branch .LBB31_5281
.LBB31_5300:
	s_mov_b32 s0, -1
.LBB31_5301:
                                        ; implicit-def: $vgpr18_vgpr19
.LBB31_5302:
	s_and_b32 vcc_lo, exec_lo, s6
	s_mov_b32 s6, 0
	s_cbranch_vccz .LBB31_5304
; %bb.5303:
	s_cmp_lg_u32 s56, 11
	s_mov_b32 s6, -1
	s_cselect_b32 s0, -1, 0
.LBB31_5304:
	s_delay_alu instid0(SALU_CYCLE_1)
	s_and_b32 vcc_lo, exec_lo, s0
	s_cbranch_vccnz .LBB31_5369
; %bb.5305:
	s_and_not1_b32 vcc_lo, exec_lo, s6
	s_cbranch_vccnz .LBB31_5307
.LBB31_5306:
	global_load_u8 v1, v[22:23], off
	s_mov_b32 s0, 0
	s_mov_b32 s7, -1
	s_wait_loadcnt 0x1
	v_mov_b32_e32 v19, s0
	s_wait_loadcnt 0x0
	v_cmp_ne_u16_e32 vcc_lo, 0, v1
	v_cndmask_b32_e64 v18, 0, 1, vcc_lo
.LBB31_5307:
	s_mov_b32 s0, 0
.LBB31_5308:
	s_delay_alu instid0(SALU_CYCLE_1)
	s_and_b32 vcc_lo, exec_lo, s0
	s_cbranch_vccz .LBB31_5357
; %bb.5309:
	s_cmp_lt_i32 s56, 5
	s_cbranch_scc1 .LBB31_5314
; %bb.5310:
	s_cmp_lt_i32 s56, 8
	s_cbranch_scc1 .LBB31_5315
	;; [unrolled: 3-line block ×3, first 2 shown]
; %bb.5312:
	s_cmp_gt_i32 s56, 9
	s_cbranch_scc0 .LBB31_5317
; %bb.5313:
	s_wait_loadcnt 0x0
	global_load_b64 v[18:19], v[22:23], off
	s_mov_b32 s0, 0
	s_wait_loadcnt 0x0
	v_trunc_f64_e32 v[18:19], v[18:19]
	s_delay_alu instid0(VALU_DEP_1) | instskip(NEXT) | instid1(VALU_DEP_1)
	v_ldexp_f64 v[24:25], v[18:19], 0xffffffe0
	v_floor_f64_e32 v[24:25], v[24:25]
	s_delay_alu instid0(VALU_DEP_1) | instskip(SKIP_1) | instid1(VALU_DEP_2)
	v_fmamk_f64 v[26:27], v[24:25], 0xc1f00000, v[18:19]
	v_cvt_i32_f64_e32 v19, v[24:25]
	v_cvt_u32_f64_e32 v18, v[26:27]
	s_branch .LBB31_5318
.LBB31_5314:
	s_mov_b32 s0, -1
                                        ; implicit-def: $vgpr18_vgpr19
	s_branch .LBB31_5336
.LBB31_5315:
	s_mov_b32 s0, -1
                                        ; implicit-def: $vgpr18_vgpr19
	s_branch .LBB31_5324
.LBB31_5316:
	s_mov_b32 s0, -1
                                        ; implicit-def: $vgpr18_vgpr19
	s_branch .LBB31_5321
.LBB31_5317:
	s_mov_b32 s0, -1
                                        ; implicit-def: $vgpr18_vgpr19
.LBB31_5318:
	s_delay_alu instid0(SALU_CYCLE_1)
	s_and_not1_b32 vcc_lo, exec_lo, s0
	s_cbranch_vccnz .LBB31_5320
; %bb.5319:
	global_load_b32 v1, v[22:23], off
	s_wait_loadcnt 0x0
	v_trunc_f32_e32 v1, v1
	s_delay_alu instid0(VALU_DEP_1) | instskip(SKIP_1) | instid1(VALU_DEP_2)
	v_mul_f32_e64 v3, 0x2f800000, |v1|
	v_ashrrev_i32_e32 v18, 31, v1
	v_floor_f32_e32 v3, v3
	s_delay_alu instid0(VALU_DEP_1) | instskip(SKIP_1) | instid1(VALU_DEP_4)
	v_fma_f32 v5, 0xcf800000, v3, |v1|
	v_cvt_u32_f32_e32 v1, v3
	v_mov_b32_e32 v19, v18
	s_delay_alu instid0(VALU_DEP_3) | instskip(NEXT) | instid1(VALU_DEP_3)
	v_cvt_u32_f32_e32 v3, v5
	v_xor_b32_e32 v25, v1, v18
	s_delay_alu instid0(VALU_DEP_2) | instskip(NEXT) | instid1(VALU_DEP_1)
	v_xor_b32_e32 v24, v3, v18
	v_sub_nc_u64_e32 v[18:19], v[24:25], v[18:19]
.LBB31_5320:
	s_mov_b32 s0, 0
.LBB31_5321:
	s_delay_alu instid0(SALU_CYCLE_1)
	s_and_not1_b32 vcc_lo, exec_lo, s0
	s_cbranch_vccnz .LBB31_5323
; %bb.5322:
	global_load_b32 v1, v[22:23], off
	s_wait_loadcnt 0x0
	v_cvt_f32_f16_e32 v1, v1
	s_delay_alu instid0(VALU_DEP_1) | instskip(NEXT) | instid1(VALU_DEP_1)
	v_cvt_i32_f32_e32 v18, v1
	v_ashrrev_i32_e32 v19, 31, v18
.LBB31_5323:
	s_mov_b32 s0, 0
.LBB31_5324:
	s_delay_alu instid0(SALU_CYCLE_1)
	s_and_not1_b32 vcc_lo, exec_lo, s0
	s_cbranch_vccnz .LBB31_5335
; %bb.5325:
	s_cmp_lt_i32 s56, 6
	s_cbranch_scc1 .LBB31_5328
; %bb.5326:
	s_cmp_gt_i32 s56, 6
	s_cbranch_scc0 .LBB31_5329
; %bb.5327:
	s_wait_loadcnt 0x0
	global_load_b64 v[18:19], v[22:23], off
	s_mov_b32 s0, 0
	s_wait_loadcnt 0x0
	v_trunc_f64_e32 v[18:19], v[18:19]
	s_delay_alu instid0(VALU_DEP_1) | instskip(NEXT) | instid1(VALU_DEP_1)
	v_ldexp_f64 v[24:25], v[18:19], 0xffffffe0
	v_floor_f64_e32 v[24:25], v[24:25]
	s_delay_alu instid0(VALU_DEP_1) | instskip(SKIP_1) | instid1(VALU_DEP_2)
	v_fmamk_f64 v[26:27], v[24:25], 0xc1f00000, v[18:19]
	v_cvt_i32_f64_e32 v19, v[24:25]
	v_cvt_u32_f64_e32 v18, v[26:27]
	s_branch .LBB31_5330
.LBB31_5328:
	s_mov_b32 s0, -1
                                        ; implicit-def: $vgpr18_vgpr19
	s_branch .LBB31_5333
.LBB31_5329:
	s_mov_b32 s0, -1
                                        ; implicit-def: $vgpr18_vgpr19
.LBB31_5330:
	s_delay_alu instid0(SALU_CYCLE_1)
	s_and_not1_b32 vcc_lo, exec_lo, s0
	s_cbranch_vccnz .LBB31_5332
; %bb.5331:
	global_load_b32 v1, v[22:23], off
	s_wait_loadcnt 0x0
	v_trunc_f32_e32 v1, v1
	s_delay_alu instid0(VALU_DEP_1) | instskip(SKIP_1) | instid1(VALU_DEP_2)
	v_mul_f32_e64 v3, 0x2f800000, |v1|
	v_ashrrev_i32_e32 v18, 31, v1
	v_floor_f32_e32 v3, v3
	s_delay_alu instid0(VALU_DEP_1) | instskip(SKIP_1) | instid1(VALU_DEP_4)
	v_fma_f32 v5, 0xcf800000, v3, |v1|
	v_cvt_u32_f32_e32 v1, v3
	v_mov_b32_e32 v19, v18
	s_delay_alu instid0(VALU_DEP_3) | instskip(NEXT) | instid1(VALU_DEP_3)
	v_cvt_u32_f32_e32 v3, v5
	v_xor_b32_e32 v25, v1, v18
	s_delay_alu instid0(VALU_DEP_2) | instskip(NEXT) | instid1(VALU_DEP_1)
	v_xor_b32_e32 v24, v3, v18
	v_sub_nc_u64_e32 v[18:19], v[24:25], v[18:19]
.LBB31_5332:
	s_mov_b32 s0, 0
.LBB31_5333:
	s_delay_alu instid0(SALU_CYCLE_1)
	s_and_not1_b32 vcc_lo, exec_lo, s0
	s_cbranch_vccnz .LBB31_5335
; %bb.5334:
	global_load_u16 v1, v[22:23], off
	s_wait_loadcnt 0x0
	v_cvt_f32_f16_e32 v1, v1
	s_delay_alu instid0(VALU_DEP_1) | instskip(NEXT) | instid1(VALU_DEP_1)
	v_cvt_i32_f32_e32 v18, v1
	v_ashrrev_i32_e32 v19, 31, v18
.LBB31_5335:
	s_mov_b32 s0, 0
.LBB31_5336:
	s_delay_alu instid0(SALU_CYCLE_1)
	s_and_not1_b32 vcc_lo, exec_lo, s0
	s_cbranch_vccnz .LBB31_5356
; %bb.5337:
	s_cmp_lt_i32 s56, 2
	s_cbranch_scc1 .LBB31_5341
; %bb.5338:
	s_cmp_lt_i32 s56, 3
	s_cbranch_scc1 .LBB31_5342
; %bb.5339:
	s_cmp_gt_i32 s56, 3
	s_cbranch_scc0 .LBB31_5343
; %bb.5340:
	s_wait_loadcnt 0x0
	global_load_b64 v[18:19], v[22:23], off
	s_mov_b32 s0, 0
	s_branch .LBB31_5344
.LBB31_5341:
	s_mov_b32 s0, -1
                                        ; implicit-def: $vgpr18_vgpr19
	s_branch .LBB31_5350
.LBB31_5342:
	s_mov_b32 s0, -1
                                        ; implicit-def: $vgpr18_vgpr19
	s_branch .LBB31_5347
.LBB31_5343:
	s_mov_b32 s0, -1
                                        ; implicit-def: $vgpr18_vgpr19
.LBB31_5344:
	s_delay_alu instid0(SALU_CYCLE_1)
	s_and_not1_b32 vcc_lo, exec_lo, s0
	s_cbranch_vccnz .LBB31_5346
; %bb.5345:
	s_wait_loadcnt 0x0
	global_load_b32 v18, v[22:23], off
	s_wait_loadcnt 0x0
	v_ashrrev_i32_e32 v19, 31, v18
.LBB31_5346:
	s_mov_b32 s0, 0
.LBB31_5347:
	s_delay_alu instid0(SALU_CYCLE_1)
	s_and_not1_b32 vcc_lo, exec_lo, s0
	s_cbranch_vccnz .LBB31_5349
; %bb.5348:
	global_load_u16 v1, v[22:23], off
	s_wait_loadcnt 0x0
	v_bfe_i32 v18, v1, 0, 16
	s_delay_alu instid0(VALU_DEP_1)
	v_ashrrev_i32_e32 v19, 31, v18
.LBB31_5349:
	s_mov_b32 s0, 0
.LBB31_5350:
	s_delay_alu instid0(SALU_CYCLE_1)
	s_and_not1_b32 vcc_lo, exec_lo, s0
	s_cbranch_vccnz .LBB31_5356
; %bb.5351:
	s_cmp_gt_i32 s56, 0
	s_mov_b32 s0, 0
	s_cbranch_scc0 .LBB31_5353
; %bb.5352:
	global_load_i8 v1, v[22:23], off
	s_wait_loadcnt 0x0
	v_bfe_i32 v18, v1, 0, 16
	s_delay_alu instid0(VALU_DEP_1)
	v_ashrrev_i32_e32 v19, 31, v18
	s_branch .LBB31_5354
.LBB31_5353:
	s_mov_b32 s0, -1
                                        ; implicit-def: $vgpr18_vgpr19
.LBB31_5354:
	s_delay_alu instid0(SALU_CYCLE_1)
	s_and_not1_b32 vcc_lo, exec_lo, s0
	s_cbranch_vccnz .LBB31_5356
; %bb.5355:
	global_load_u8 v1, v[22:23], off
	s_mov_b32 s0, 0
	s_wait_loadcnt 0x1
	v_mov_b32_e32 v19, s0
	s_wait_loadcnt 0x0
	v_and_b32_e32 v18, 0xffff, v1
.LBB31_5356:
	s_mov_b32 s7, -1
.LBB31_5357:
	s_delay_alu instid0(SALU_CYCLE_1)
	s_and_not1_b32 vcc_lo, exec_lo, s7
	s_cbranch_vccnz .LBB31_5749
; %bb.5358:
	v_mov_b32_e32 v17, 0
	s_cmp_lt_i32 s57, 11
	s_wait_xcnt 0x0
	s_delay_alu instid0(VALU_DEP_1)
	v_add_nc_u64_e32 v[22:23], s[12:13], v[16:17]
	s_cbranch_scc1 .LBB31_5365
; %bb.5359:
	s_cmp_gt_i32 s57, 25
	s_mov_b32 s6, 0
	s_cbranch_scc0 .LBB31_5366
; %bb.5360:
	s_cmp_gt_i32 s57, 28
	s_cbranch_scc0 .LBB31_5367
; %bb.5361:
	s_cmp_gt_i32 s57, 43
	s_cbranch_scc0 .LBB31_5368
; %bb.5362:
	s_cmp_gt_i32 s57, 45
	s_cbranch_scc0 .LBB31_5370
; %bb.5363:
	s_cmp_eq_u32 s57, 46
	s_mov_b32 s9, 0
	s_cbranch_scc0 .LBB31_5372
; %bb.5364:
	global_load_b32 v1, v[22:23], off
	s_mov_b32 s0, 0
	s_mov_b32 s7, -1
	s_wait_loadcnt 0x0
	v_lshlrev_b32_e32 v1, 16, v1
	s_delay_alu instid0(VALU_DEP_1) | instskip(NEXT) | instid1(VALU_DEP_1)
	v_trunc_f32_e32 v1, v1
	v_mul_f32_e64 v3, 0x2f800000, |v1|
	v_ashrrev_i32_e32 v16, 31, v1
	s_delay_alu instid0(VALU_DEP_2) | instskip(NEXT) | instid1(VALU_DEP_2)
	v_floor_f32_e32 v3, v3
	v_mov_b32_e32 v17, v16
	s_delay_alu instid0(VALU_DEP_2) | instskip(SKIP_1) | instid1(VALU_DEP_2)
	v_fma_f32 v5, 0xcf800000, v3, |v1|
	v_cvt_u32_f32_e32 v1, v3
	v_cvt_u32_f32_e32 v3, v5
	s_delay_alu instid0(VALU_DEP_2) | instskip(NEXT) | instid1(VALU_DEP_2)
	v_xor_b32_e32 v25, v1, v16
	v_xor_b32_e32 v24, v3, v16
	s_delay_alu instid0(VALU_DEP_1)
	v_sub_nc_u64_e32 v[16:17], v[24:25], v[16:17]
	s_branch .LBB31_5374
.LBB31_5365:
	s_mov_b32 s0, -1
	s_mov_b32 s7, 0
                                        ; implicit-def: $vgpr16_vgpr17
	s_branch .LBB31_5436
.LBB31_5366:
	s_mov_b32 s9, -1
	s_mov_b32 s7, 0
	s_mov_b32 s0, 0
                                        ; implicit-def: $vgpr16_vgpr17
	s_branch .LBB31_5401
.LBB31_5367:
	s_mov_b32 s9, -1
	s_mov_b32 s7, 0
	s_mov_b32 s0, 0
                                        ; implicit-def: $vgpr16_vgpr17
	s_branch .LBB31_5384
.LBB31_5368:
	s_mov_b32 s9, -1
	s_mov_b32 s7, 0
	s_mov_b32 s0, 0
                                        ; implicit-def: $vgpr16_vgpr17
	s_branch .LBB31_5379
.LBB31_5369:
	s_or_b32 s23, s23, exec_lo
	s_trap 2
	s_cbranch_execz .LBB31_5306
	s_branch .LBB31_5307
.LBB31_5370:
	s_mov_b32 s9, -1
	s_mov_b32 s7, 0
	s_mov_b32 s0, 0
	s_branch .LBB31_5373
.LBB31_5371:
	s_or_b32 s61, s54, exec_lo
	s_trap 2
                                        ; implicit-def: $vgpr26_vgpr27
                                        ; implicit-def: $vgpr24_vgpr25
                                        ; implicit-def: $vgpr32_vgpr33
                                        ; implicit-def: $vgpr6
                                        ; implicit-def: $vgpr4
                                        ; implicit-def: $vgpr2
                                        ; implicit-def: $vgpr14
                                        ; implicit-def: $vgpr10
                                        ; implicit-def: $vgpr18
                                        ; implicit-def: $vgpr16
                                        ; implicit-def: $vgpr0
                                        ; implicit-def: $vgpr20
                                        ; implicit-def: $vgpr8_vgpr9
                                        ; implicit-def: $vgpr12_vgpr13
	s_or_saveexec_b32 s62, s0
                                        ; implicit-def: $vgpr42_vgpr43
                                        ; implicit-def: $sgpr0
	s_delay_alu instid0(SALU_CYCLE_1)
	s_xor_b32 exec_lo, exec_lo, s62
	s_cbranch_execz .LBB31_5753
	s_branch .LBB31_5079
.LBB31_5372:
	s_mov_b32 s0, -1
	s_mov_b32 s7, 0
.LBB31_5373:
                                        ; implicit-def: $vgpr16_vgpr17
.LBB31_5374:
	s_and_b32 vcc_lo, exec_lo, s9
	s_cbranch_vccz .LBB31_5378
; %bb.5375:
	s_cmp_eq_u32 s57, 44
	s_cbranch_scc0 .LBB31_5377
; %bb.5376:
	global_load_u8 v1, v[22:23], off
	s_mov_b32 s0, 0
	s_mov_b32 s7, -1
	s_wait_loadcnt 0x0
	v_lshlrev_b32_e32 v3, 23, v1
	v_cmp_ne_u32_e32 vcc_lo, 0, v1
	s_delay_alu instid0(VALU_DEP_2) | instskip(NEXT) | instid1(VALU_DEP_1)
	v_trunc_f32_e32 v3, v3
	v_mul_f32_e64 v5, 0x2f800000, |v3|
	v_ashrrev_i32_e32 v16, 31, v3
	s_delay_alu instid0(VALU_DEP_2) | instskip(NEXT) | instid1(VALU_DEP_2)
	v_floor_f32_e32 v5, v5
	v_mov_b32_e32 v17, v16
	s_delay_alu instid0(VALU_DEP_2) | instskip(SKIP_1) | instid1(VALU_DEP_2)
	v_fma_f32 v7, 0xcf800000, v5, |v3|
	v_cvt_u32_f32_e32 v3, v5
	v_cvt_u32_f32_e32 v5, v7
	s_delay_alu instid0(VALU_DEP_2) | instskip(NEXT) | instid1(VALU_DEP_2)
	v_xor_b32_e32 v25, v3, v16
	v_xor_b32_e32 v24, v5, v16
	s_delay_alu instid0(VALU_DEP_1) | instskip(NEXT) | instid1(VALU_DEP_1)
	v_sub_nc_u64_e32 v[16:17], v[24:25], v[16:17]
	v_dual_cndmask_b32 v17, 0, v17 :: v_dual_cndmask_b32 v16, 0, v16
	s_branch .LBB31_5378
.LBB31_5377:
	s_mov_b32 s0, -1
                                        ; implicit-def: $vgpr16_vgpr17
.LBB31_5378:
	s_mov_b32 s9, 0
.LBB31_5379:
	s_delay_alu instid0(SALU_CYCLE_1)
	s_and_b32 vcc_lo, exec_lo, s9
	s_cbranch_vccz .LBB31_5383
; %bb.5380:
	s_cmp_eq_u32 s57, 29
	s_cbranch_scc0 .LBB31_5382
; %bb.5381:
	global_load_b64 v[16:17], v[22:23], off
	s_mov_b32 s0, 0
	s_mov_b32 s7, -1
	s_branch .LBB31_5383
.LBB31_5382:
	s_mov_b32 s0, -1
                                        ; implicit-def: $vgpr16_vgpr17
.LBB31_5383:
	s_mov_b32 s9, 0
.LBB31_5384:
	s_delay_alu instid0(SALU_CYCLE_1)
	s_and_b32 vcc_lo, exec_lo, s9
	s_cbranch_vccz .LBB31_5400
; %bb.5385:
	s_cmp_lt_i32 s57, 27
	s_cbranch_scc1 .LBB31_5388
; %bb.5386:
	s_cmp_gt_i32 s57, 27
	s_cbranch_scc0 .LBB31_5389
; %bb.5387:
	s_wait_loadcnt 0x0
	global_load_b32 v16, v[22:23], off
	v_mov_b32_e32 v17, 0
	s_mov_b32 s7, 0
	s_branch .LBB31_5390
.LBB31_5388:
	s_mov_b32 s7, -1
                                        ; implicit-def: $vgpr16_vgpr17
	s_branch .LBB31_5393
.LBB31_5389:
	s_mov_b32 s7, -1
                                        ; implicit-def: $vgpr16_vgpr17
.LBB31_5390:
	s_delay_alu instid0(SALU_CYCLE_1)
	s_and_not1_b32 vcc_lo, exec_lo, s7
	s_cbranch_vccnz .LBB31_5392
; %bb.5391:
	global_load_u16 v1, v[22:23], off
	s_mov_b32 s7, 0
	s_wait_loadcnt 0x1
	v_mov_b32_e32 v17, s7
	s_wait_loadcnt 0x0
	v_and_b32_e32 v16, 0xffff, v1
.LBB31_5392:
	s_mov_b32 s7, 0
.LBB31_5393:
	s_delay_alu instid0(SALU_CYCLE_1)
	s_and_not1_b32 vcc_lo, exec_lo, s7
	s_cbranch_vccnz .LBB31_5399
; %bb.5394:
	global_load_u8 v1, v[22:23], off
	s_mov_b32 s9, 0
	s_mov_b32 s7, exec_lo
	s_wait_loadcnt 0x0
	v_cmpx_lt_i16_e32 0x7f, v1
	s_xor_b32 s7, exec_lo, s7
	s_cbranch_execz .LBB31_5411
; %bb.5395:
	v_cmp_ne_u16_e32 vcc_lo, 0x80, v1
	s_and_b32 s9, vcc_lo, exec_lo
	s_and_not1_saveexec_b32 s7, s7
	s_cbranch_execnz .LBB31_5412
.LBB31_5396:
	s_or_b32 exec_lo, exec_lo, s7
	v_mov_b64_e32 v[16:17], 0
	s_and_saveexec_b32 s7, s9
	s_cbranch_execz .LBB31_5398
.LBB31_5397:
	v_and_b32_e32 v3, 0xffff, v1
	s_delay_alu instid0(VALU_DEP_1) | instskip(SKIP_1) | instid1(VALU_DEP_2)
	v_dual_lshlrev_b32 v1, 24, v1 :: v_dual_bitop2_b32 v5, 7, v3 bitop3:0x40
	v_bfe_u32 v15, v3, 3, 4
	v_and_b32_e32 v1, 0x80000000, v1
	s_delay_alu instid0(VALU_DEP_3) | instskip(NEXT) | instid1(VALU_DEP_3)
	v_clz_i32_u32_e32 v7, v5
	v_cmp_eq_u32_e32 vcc_lo, 0, v15
	s_delay_alu instid0(VALU_DEP_2) | instskip(NEXT) | instid1(VALU_DEP_1)
	v_min_u32_e32 v7, 32, v7
	v_subrev_nc_u32_e32 v11, 28, v7
	v_sub_nc_u32_e32 v7, 29, v7
	s_delay_alu instid0(VALU_DEP_2) | instskip(NEXT) | instid1(VALU_DEP_2)
	v_lshlrev_b32_e32 v3, v11, v3
	v_cndmask_b32_e32 v7, v15, v7, vcc_lo
	s_delay_alu instid0(VALU_DEP_2) | instskip(NEXT) | instid1(VALU_DEP_1)
	v_and_b32_e32 v3, 7, v3
	v_cndmask_b32_e32 v3, v5, v3, vcc_lo
	s_delay_alu instid0(VALU_DEP_3) | instskip(NEXT) | instid1(VALU_DEP_2)
	v_lshl_add_u32 v5, v7, 23, 0x3b800000
	v_lshlrev_b32_e32 v3, 20, v3
	s_delay_alu instid0(VALU_DEP_1) | instskip(NEXT) | instid1(VALU_DEP_1)
	v_or3_b32 v1, v1, v5, v3
	v_trunc_f32_e32 v1, v1
	s_delay_alu instid0(VALU_DEP_1) | instskip(SKIP_1) | instid1(VALU_DEP_2)
	v_mul_f32_e64 v3, 0x2f800000, |v1|
	v_ashrrev_i32_e32 v16, 31, v1
	v_floor_f32_e32 v3, v3
	s_delay_alu instid0(VALU_DEP_2) | instskip(NEXT) | instid1(VALU_DEP_2)
	v_mov_b32_e32 v17, v16
	v_fma_f32 v5, 0xcf800000, v3, |v1|
	v_cvt_u32_f32_e32 v1, v3
	s_delay_alu instid0(VALU_DEP_2) | instskip(NEXT) | instid1(VALU_DEP_2)
	v_cvt_u32_f32_e32 v3, v5
	v_xor_b32_e32 v25, v1, v16
	s_delay_alu instid0(VALU_DEP_2) | instskip(NEXT) | instid1(VALU_DEP_1)
	v_xor_b32_e32 v24, v3, v16
	v_sub_nc_u64_e32 v[16:17], v[24:25], v[16:17]
.LBB31_5398:
	s_or_b32 exec_lo, exec_lo, s7
.LBB31_5399:
	s_mov_b32 s7, -1
.LBB31_5400:
	s_mov_b32 s9, 0
.LBB31_5401:
	s_delay_alu instid0(SALU_CYCLE_1)
	s_and_b32 vcc_lo, exec_lo, s9
	s_cbranch_vccz .LBB31_5432
; %bb.5402:
	s_cmp_gt_i32 s57, 22
	s_cbranch_scc0 .LBB31_5410
; %bb.5403:
	s_cmp_lt_i32 s57, 24
	s_cbranch_scc1 .LBB31_5413
; %bb.5404:
	s_cmp_gt_i32 s57, 24
	s_cbranch_scc0 .LBB31_5414
; %bb.5405:
	global_load_u8 v1, v[22:23], off
	s_mov_b32 s7, 0
	s_mov_b32 s6, exec_lo
	s_wait_loadcnt 0x0
	v_cmpx_lt_i16_e32 0x7f, v1
	s_xor_b32 s6, exec_lo, s6
	s_cbranch_execz .LBB31_5426
; %bb.5406:
	v_cmp_ne_u16_e32 vcc_lo, 0x80, v1
	s_and_b32 s7, vcc_lo, exec_lo
	s_and_not1_saveexec_b32 s6, s6
	s_cbranch_execnz .LBB31_5427
.LBB31_5407:
	s_or_b32 exec_lo, exec_lo, s6
	v_mov_b64_e32 v[16:17], 0
	s_and_saveexec_b32 s6, s7
	s_cbranch_execz .LBB31_5409
.LBB31_5408:
	v_and_b32_e32 v3, 0xffff, v1
	s_delay_alu instid0(VALU_DEP_1) | instskip(SKIP_1) | instid1(VALU_DEP_2)
	v_dual_lshlrev_b32 v1, 24, v1 :: v_dual_bitop2_b32 v5, 3, v3 bitop3:0x40
	v_bfe_u32 v15, v3, 2, 5
	v_and_b32_e32 v1, 0x80000000, v1
	s_delay_alu instid0(VALU_DEP_3) | instskip(NEXT) | instid1(VALU_DEP_3)
	v_clz_i32_u32_e32 v7, v5
	v_cmp_eq_u32_e32 vcc_lo, 0, v15
	s_delay_alu instid0(VALU_DEP_2) | instskip(NEXT) | instid1(VALU_DEP_1)
	v_min_u32_e32 v7, 32, v7
	v_subrev_nc_u32_e32 v11, 29, v7
	v_sub_nc_u32_e32 v7, 30, v7
	s_delay_alu instid0(VALU_DEP_2) | instskip(NEXT) | instid1(VALU_DEP_2)
	v_lshlrev_b32_e32 v3, v11, v3
	v_cndmask_b32_e32 v7, v15, v7, vcc_lo
	s_delay_alu instid0(VALU_DEP_2) | instskip(NEXT) | instid1(VALU_DEP_1)
	v_and_b32_e32 v3, 3, v3
	v_cndmask_b32_e32 v3, v5, v3, vcc_lo
	s_delay_alu instid0(VALU_DEP_3) | instskip(NEXT) | instid1(VALU_DEP_2)
	v_lshl_add_u32 v5, v7, 23, 0x37800000
	v_lshlrev_b32_e32 v3, 21, v3
	s_delay_alu instid0(VALU_DEP_1) | instskip(NEXT) | instid1(VALU_DEP_1)
	v_or3_b32 v1, v1, v5, v3
	v_trunc_f32_e32 v1, v1
	s_delay_alu instid0(VALU_DEP_1) | instskip(SKIP_1) | instid1(VALU_DEP_2)
	v_mul_f32_e64 v3, 0x2f800000, |v1|
	v_ashrrev_i32_e32 v16, 31, v1
	v_floor_f32_e32 v3, v3
	s_delay_alu instid0(VALU_DEP_2) | instskip(NEXT) | instid1(VALU_DEP_2)
	v_mov_b32_e32 v17, v16
	v_fma_f32 v5, 0xcf800000, v3, |v1|
	v_cvt_u32_f32_e32 v1, v3
	s_delay_alu instid0(VALU_DEP_2) | instskip(NEXT) | instid1(VALU_DEP_2)
	v_cvt_u32_f32_e32 v3, v5
	v_xor_b32_e32 v25, v1, v16
	s_delay_alu instid0(VALU_DEP_2) | instskip(NEXT) | instid1(VALU_DEP_1)
	v_xor_b32_e32 v24, v3, v16
	v_sub_nc_u64_e32 v[16:17], v[24:25], v[16:17]
.LBB31_5409:
	s_or_b32 exec_lo, exec_lo, s6
	s_mov_b32 s6, 0
	s_branch .LBB31_5415
.LBB31_5410:
	s_mov_b32 s6, -1
                                        ; implicit-def: $vgpr16_vgpr17
	s_branch .LBB31_5421
.LBB31_5411:
	s_and_not1_saveexec_b32 s7, s7
	s_cbranch_execz .LBB31_5396
.LBB31_5412:
	v_cmp_ne_u16_e32 vcc_lo, 0, v1
	s_and_not1_b32 s9, s9, exec_lo
	s_and_b32 s10, vcc_lo, exec_lo
	s_delay_alu instid0(SALU_CYCLE_1)
	s_or_b32 s9, s9, s10
	s_or_b32 exec_lo, exec_lo, s7
	v_mov_b64_e32 v[16:17], 0
	s_and_saveexec_b32 s7, s9
	s_cbranch_execnz .LBB31_5397
	s_branch .LBB31_5398
.LBB31_5413:
	s_mov_b32 s6, -1
                                        ; implicit-def: $vgpr16_vgpr17
	s_branch .LBB31_5418
.LBB31_5414:
	s_mov_b32 s6, -1
                                        ; implicit-def: $vgpr16_vgpr17
.LBB31_5415:
	s_delay_alu instid0(SALU_CYCLE_1)
	s_and_b32 vcc_lo, exec_lo, s6
	s_cbranch_vccz .LBB31_5417
; %bb.5416:
	global_load_u8 v1, v[22:23], off
	s_wait_loadcnt 0x0
	v_lshlrev_b32_e32 v1, 24, v1
	s_delay_alu instid0(VALU_DEP_1) | instskip(NEXT) | instid1(VALU_DEP_1)
	v_and_b32_e32 v3, 0x7f000000, v1
	v_clz_i32_u32_e32 v5, v3
	v_add_nc_u32_e32 v11, 0x1000000, v3
	v_cmp_ne_u32_e32 vcc_lo, 0, v3
	s_delay_alu instid0(VALU_DEP_3) | instskip(NEXT) | instid1(VALU_DEP_1)
	v_min_u32_e32 v5, 32, v5
	v_sub_nc_u32_e64 v5, v5, 4 clamp
	s_delay_alu instid0(VALU_DEP_1) | instskip(NEXT) | instid1(VALU_DEP_1)
	v_dual_lshlrev_b32 v7, v5, v3 :: v_dual_lshlrev_b32 v5, 23, v5
	v_lshrrev_b32_e32 v7, 4, v7
	s_delay_alu instid0(VALU_DEP_1) | instskip(NEXT) | instid1(VALU_DEP_1)
	v_dual_sub_nc_u32 v5, v7, v5 :: v_dual_ashrrev_i32 v7, 8, v11
	v_add_nc_u32_e32 v5, 0x3c000000, v5
	s_delay_alu instid0(VALU_DEP_1) | instskip(NEXT) | instid1(VALU_DEP_1)
	v_and_or_b32 v5, 0x7f800000, v7, v5
	v_cndmask_b32_e32 v3, 0, v5, vcc_lo
	s_delay_alu instid0(VALU_DEP_1) | instskip(NEXT) | instid1(VALU_DEP_1)
	v_and_or_b32 v1, 0x80000000, v1, v3
	v_trunc_f32_e32 v1, v1
	s_delay_alu instid0(VALU_DEP_1) | instskip(SKIP_1) | instid1(VALU_DEP_2)
	v_mul_f32_e64 v3, 0x2f800000, |v1|
	v_ashrrev_i32_e32 v16, 31, v1
	v_floor_f32_e32 v3, v3
	s_delay_alu instid0(VALU_DEP_2) | instskip(NEXT) | instid1(VALU_DEP_2)
	v_mov_b32_e32 v17, v16
	v_fma_f32 v5, 0xcf800000, v3, |v1|
	v_cvt_u32_f32_e32 v1, v3
	s_delay_alu instid0(VALU_DEP_2) | instskip(NEXT) | instid1(VALU_DEP_2)
	v_cvt_u32_f32_e32 v3, v5
	v_xor_b32_e32 v25, v1, v16
	s_delay_alu instid0(VALU_DEP_2) | instskip(NEXT) | instid1(VALU_DEP_1)
	v_xor_b32_e32 v24, v3, v16
	v_sub_nc_u64_e32 v[16:17], v[24:25], v[16:17]
.LBB31_5417:
	s_mov_b32 s6, 0
.LBB31_5418:
	s_delay_alu instid0(SALU_CYCLE_1)
	s_and_not1_b32 vcc_lo, exec_lo, s6
	s_cbranch_vccnz .LBB31_5420
; %bb.5419:
	global_load_u8 v1, v[22:23], off
	s_wait_loadcnt 0x0
	v_lshlrev_b32_e32 v3, 25, v1
	v_lshlrev_b16 v1, 8, v1
	s_delay_alu instid0(VALU_DEP_1) | instskip(SKIP_1) | instid1(VALU_DEP_2)
	v_and_or_b32 v7, 0x7f00, v1, 0.5
	v_bfe_i32 v1, v1, 0, 16
	v_add_f32_e32 v7, -0.5, v7
	v_lshrrev_b32_e32 v5, 4, v3
	v_cmp_gt_u32_e32 vcc_lo, 0x8000000, v3
	s_delay_alu instid0(VALU_DEP_2) | instskip(NEXT) | instid1(VALU_DEP_1)
	v_or_b32_e32 v5, 0x70000000, v5
	v_mul_f32_e32 v5, 0x7800000, v5
	s_delay_alu instid0(VALU_DEP_1) | instskip(NEXT) | instid1(VALU_DEP_1)
	v_cndmask_b32_e32 v3, v5, v7, vcc_lo
	v_and_or_b32 v1, 0x80000000, v1, v3
	s_delay_alu instid0(VALU_DEP_1) | instskip(NEXT) | instid1(VALU_DEP_1)
	v_trunc_f32_e32 v1, v1
	v_mul_f32_e64 v3, 0x2f800000, |v1|
	v_ashrrev_i32_e32 v16, 31, v1
	s_delay_alu instid0(VALU_DEP_2) | instskip(NEXT) | instid1(VALU_DEP_2)
	v_floor_f32_e32 v3, v3
	v_mov_b32_e32 v17, v16
	s_delay_alu instid0(VALU_DEP_2) | instskip(SKIP_1) | instid1(VALU_DEP_2)
	v_fma_f32 v5, 0xcf800000, v3, |v1|
	v_cvt_u32_f32_e32 v1, v3
	v_cvt_u32_f32_e32 v3, v5
	s_delay_alu instid0(VALU_DEP_2) | instskip(NEXT) | instid1(VALU_DEP_2)
	v_xor_b32_e32 v25, v1, v16
	v_xor_b32_e32 v24, v3, v16
	s_delay_alu instid0(VALU_DEP_1)
	v_sub_nc_u64_e32 v[16:17], v[24:25], v[16:17]
.LBB31_5420:
	s_mov_b32 s6, 0
	s_mov_b32 s7, -1
.LBB31_5421:
	s_and_not1_b32 vcc_lo, exec_lo, s6
	s_mov_b32 s6, 0
	s_cbranch_vccnz .LBB31_5432
; %bb.5422:
	s_cmp_gt_i32 s57, 14
	s_cbranch_scc0 .LBB31_5425
; %bb.5423:
	s_cmp_eq_u32 s57, 15
	s_cbranch_scc0 .LBB31_5428
; %bb.5424:
	global_load_u16 v1, v[22:23], off
	s_mov_b32 s0, 0
	s_mov_b32 s7, -1
	s_wait_loadcnt 0x0
	v_lshlrev_b32_e32 v1, 16, v1
	s_delay_alu instid0(VALU_DEP_1) | instskip(NEXT) | instid1(VALU_DEP_1)
	v_trunc_f32_e32 v1, v1
	v_mul_f32_e64 v3, 0x2f800000, |v1|
	v_ashrrev_i32_e32 v16, 31, v1
	s_delay_alu instid0(VALU_DEP_2) | instskip(NEXT) | instid1(VALU_DEP_2)
	v_floor_f32_e32 v3, v3
	v_mov_b32_e32 v17, v16
	s_delay_alu instid0(VALU_DEP_2) | instskip(SKIP_1) | instid1(VALU_DEP_2)
	v_fma_f32 v5, 0xcf800000, v3, |v1|
	v_cvt_u32_f32_e32 v1, v3
	v_cvt_u32_f32_e32 v3, v5
	s_delay_alu instid0(VALU_DEP_2) | instskip(NEXT) | instid1(VALU_DEP_2)
	v_xor_b32_e32 v25, v1, v16
	v_xor_b32_e32 v24, v3, v16
	s_delay_alu instid0(VALU_DEP_1)
	v_sub_nc_u64_e32 v[16:17], v[24:25], v[16:17]
	s_branch .LBB31_5430
.LBB31_5425:
	s_mov_b32 s6, -1
	s_branch .LBB31_5429
.LBB31_5426:
	s_and_not1_saveexec_b32 s6, s6
	s_cbranch_execz .LBB31_5407
.LBB31_5427:
	v_cmp_ne_u16_e32 vcc_lo, 0, v1
	s_and_not1_b32 s7, s7, exec_lo
	s_and_b32 s9, vcc_lo, exec_lo
	s_delay_alu instid0(SALU_CYCLE_1)
	s_or_b32 s7, s7, s9
	s_or_b32 exec_lo, exec_lo, s6
	v_mov_b64_e32 v[16:17], 0
	s_and_saveexec_b32 s6, s7
	s_cbranch_execnz .LBB31_5408
	s_branch .LBB31_5409
.LBB31_5428:
	s_mov_b32 s0, -1
.LBB31_5429:
                                        ; implicit-def: $vgpr16_vgpr17
.LBB31_5430:
	s_and_b32 vcc_lo, exec_lo, s6
	s_mov_b32 s6, 0
	s_cbranch_vccz .LBB31_5432
; %bb.5431:
	s_cmp_lg_u32 s57, 11
	s_mov_b32 s6, -1
	s_cselect_b32 s0, -1, 0
.LBB31_5432:
	s_delay_alu instid0(SALU_CYCLE_1)
	s_and_b32 vcc_lo, exec_lo, s0
	s_cbranch_vccnz .LBB31_5497
; %bb.5433:
	s_and_not1_b32 vcc_lo, exec_lo, s6
	s_cbranch_vccnz .LBB31_5435
.LBB31_5434:
	global_load_u8 v1, v[22:23], off
	s_mov_b32 s0, 0
	s_mov_b32 s7, -1
	s_wait_loadcnt 0x1
	v_mov_b32_e32 v17, s0
	s_wait_loadcnt 0x0
	v_cmp_ne_u16_e32 vcc_lo, 0, v1
	v_cndmask_b32_e64 v16, 0, 1, vcc_lo
.LBB31_5435:
	s_mov_b32 s0, 0
.LBB31_5436:
	s_delay_alu instid0(SALU_CYCLE_1)
	s_and_b32 vcc_lo, exec_lo, s0
	s_cbranch_vccz .LBB31_5485
; %bb.5437:
	s_cmp_lt_i32 s57, 5
	s_cbranch_scc1 .LBB31_5442
; %bb.5438:
	s_cmp_lt_i32 s57, 8
	s_cbranch_scc1 .LBB31_5443
	;; [unrolled: 3-line block ×3, first 2 shown]
; %bb.5440:
	s_cmp_gt_i32 s57, 9
	s_cbranch_scc0 .LBB31_5445
; %bb.5441:
	s_wait_loadcnt 0x0
	global_load_b64 v[16:17], v[22:23], off
	s_mov_b32 s0, 0
	s_wait_loadcnt 0x0
	v_trunc_f64_e32 v[16:17], v[16:17]
	s_delay_alu instid0(VALU_DEP_1) | instskip(NEXT) | instid1(VALU_DEP_1)
	v_ldexp_f64 v[24:25], v[16:17], 0xffffffe0
	v_floor_f64_e32 v[24:25], v[24:25]
	s_delay_alu instid0(VALU_DEP_1) | instskip(SKIP_1) | instid1(VALU_DEP_2)
	v_fmamk_f64 v[26:27], v[24:25], 0xc1f00000, v[16:17]
	v_cvt_i32_f64_e32 v17, v[24:25]
	v_cvt_u32_f64_e32 v16, v[26:27]
	s_branch .LBB31_5446
.LBB31_5442:
	s_mov_b32 s0, -1
                                        ; implicit-def: $vgpr16_vgpr17
	s_branch .LBB31_5464
.LBB31_5443:
	s_mov_b32 s0, -1
                                        ; implicit-def: $vgpr16_vgpr17
	s_branch .LBB31_5452
.LBB31_5444:
	s_mov_b32 s0, -1
                                        ; implicit-def: $vgpr16_vgpr17
	s_branch .LBB31_5449
.LBB31_5445:
	s_mov_b32 s0, -1
                                        ; implicit-def: $vgpr16_vgpr17
.LBB31_5446:
	s_delay_alu instid0(SALU_CYCLE_1)
	s_and_not1_b32 vcc_lo, exec_lo, s0
	s_cbranch_vccnz .LBB31_5448
; %bb.5447:
	global_load_b32 v1, v[22:23], off
	s_wait_loadcnt 0x0
	v_trunc_f32_e32 v1, v1
	s_delay_alu instid0(VALU_DEP_1) | instskip(SKIP_1) | instid1(VALU_DEP_2)
	v_mul_f32_e64 v3, 0x2f800000, |v1|
	v_ashrrev_i32_e32 v16, 31, v1
	v_floor_f32_e32 v3, v3
	s_delay_alu instid0(VALU_DEP_1) | instskip(SKIP_1) | instid1(VALU_DEP_4)
	v_fma_f32 v5, 0xcf800000, v3, |v1|
	v_cvt_u32_f32_e32 v1, v3
	v_mov_b32_e32 v17, v16
	s_delay_alu instid0(VALU_DEP_3) | instskip(NEXT) | instid1(VALU_DEP_3)
	v_cvt_u32_f32_e32 v3, v5
	v_xor_b32_e32 v25, v1, v16
	s_delay_alu instid0(VALU_DEP_2) | instskip(NEXT) | instid1(VALU_DEP_1)
	v_xor_b32_e32 v24, v3, v16
	v_sub_nc_u64_e32 v[16:17], v[24:25], v[16:17]
.LBB31_5448:
	s_mov_b32 s0, 0
.LBB31_5449:
	s_delay_alu instid0(SALU_CYCLE_1)
	s_and_not1_b32 vcc_lo, exec_lo, s0
	s_cbranch_vccnz .LBB31_5451
; %bb.5450:
	global_load_b32 v1, v[22:23], off
	s_wait_loadcnt 0x0
	v_cvt_f32_f16_e32 v1, v1
	s_delay_alu instid0(VALU_DEP_1) | instskip(NEXT) | instid1(VALU_DEP_1)
	v_cvt_i32_f32_e32 v16, v1
	v_ashrrev_i32_e32 v17, 31, v16
.LBB31_5451:
	s_mov_b32 s0, 0
.LBB31_5452:
	s_delay_alu instid0(SALU_CYCLE_1)
	s_and_not1_b32 vcc_lo, exec_lo, s0
	s_cbranch_vccnz .LBB31_5463
; %bb.5453:
	s_cmp_lt_i32 s57, 6
	s_cbranch_scc1 .LBB31_5456
; %bb.5454:
	s_cmp_gt_i32 s57, 6
	s_cbranch_scc0 .LBB31_5457
; %bb.5455:
	s_wait_loadcnt 0x0
	global_load_b64 v[16:17], v[22:23], off
	s_mov_b32 s0, 0
	s_wait_loadcnt 0x0
	v_trunc_f64_e32 v[16:17], v[16:17]
	s_delay_alu instid0(VALU_DEP_1) | instskip(NEXT) | instid1(VALU_DEP_1)
	v_ldexp_f64 v[24:25], v[16:17], 0xffffffe0
	v_floor_f64_e32 v[24:25], v[24:25]
	s_delay_alu instid0(VALU_DEP_1) | instskip(SKIP_1) | instid1(VALU_DEP_2)
	v_fmamk_f64 v[26:27], v[24:25], 0xc1f00000, v[16:17]
	v_cvt_i32_f64_e32 v17, v[24:25]
	v_cvt_u32_f64_e32 v16, v[26:27]
	s_branch .LBB31_5458
.LBB31_5456:
	s_mov_b32 s0, -1
                                        ; implicit-def: $vgpr16_vgpr17
	s_branch .LBB31_5461
.LBB31_5457:
	s_mov_b32 s0, -1
                                        ; implicit-def: $vgpr16_vgpr17
.LBB31_5458:
	s_delay_alu instid0(SALU_CYCLE_1)
	s_and_not1_b32 vcc_lo, exec_lo, s0
	s_cbranch_vccnz .LBB31_5460
; %bb.5459:
	global_load_b32 v1, v[22:23], off
	s_wait_loadcnt 0x0
	v_trunc_f32_e32 v1, v1
	s_delay_alu instid0(VALU_DEP_1) | instskip(SKIP_1) | instid1(VALU_DEP_2)
	v_mul_f32_e64 v3, 0x2f800000, |v1|
	v_ashrrev_i32_e32 v16, 31, v1
	v_floor_f32_e32 v3, v3
	s_delay_alu instid0(VALU_DEP_1) | instskip(SKIP_1) | instid1(VALU_DEP_4)
	v_fma_f32 v5, 0xcf800000, v3, |v1|
	v_cvt_u32_f32_e32 v1, v3
	v_mov_b32_e32 v17, v16
	s_delay_alu instid0(VALU_DEP_3) | instskip(NEXT) | instid1(VALU_DEP_3)
	v_cvt_u32_f32_e32 v3, v5
	v_xor_b32_e32 v25, v1, v16
	s_delay_alu instid0(VALU_DEP_2) | instskip(NEXT) | instid1(VALU_DEP_1)
	v_xor_b32_e32 v24, v3, v16
	v_sub_nc_u64_e32 v[16:17], v[24:25], v[16:17]
.LBB31_5460:
	s_mov_b32 s0, 0
.LBB31_5461:
	s_delay_alu instid0(SALU_CYCLE_1)
	s_and_not1_b32 vcc_lo, exec_lo, s0
	s_cbranch_vccnz .LBB31_5463
; %bb.5462:
	global_load_u16 v1, v[22:23], off
	s_wait_loadcnt 0x0
	v_cvt_f32_f16_e32 v1, v1
	s_delay_alu instid0(VALU_DEP_1) | instskip(NEXT) | instid1(VALU_DEP_1)
	v_cvt_i32_f32_e32 v16, v1
	v_ashrrev_i32_e32 v17, 31, v16
.LBB31_5463:
	s_mov_b32 s0, 0
.LBB31_5464:
	s_delay_alu instid0(SALU_CYCLE_1)
	s_and_not1_b32 vcc_lo, exec_lo, s0
	s_cbranch_vccnz .LBB31_5484
; %bb.5465:
	s_cmp_lt_i32 s57, 2
	s_cbranch_scc1 .LBB31_5469
; %bb.5466:
	s_cmp_lt_i32 s57, 3
	s_cbranch_scc1 .LBB31_5470
; %bb.5467:
	s_cmp_gt_i32 s57, 3
	s_cbranch_scc0 .LBB31_5471
; %bb.5468:
	s_wait_loadcnt 0x0
	global_load_b64 v[16:17], v[22:23], off
	s_mov_b32 s0, 0
	s_branch .LBB31_5472
.LBB31_5469:
	s_mov_b32 s0, -1
                                        ; implicit-def: $vgpr16_vgpr17
	s_branch .LBB31_5478
.LBB31_5470:
	s_mov_b32 s0, -1
                                        ; implicit-def: $vgpr16_vgpr17
	s_branch .LBB31_5475
.LBB31_5471:
	s_mov_b32 s0, -1
                                        ; implicit-def: $vgpr16_vgpr17
.LBB31_5472:
	s_delay_alu instid0(SALU_CYCLE_1)
	s_and_not1_b32 vcc_lo, exec_lo, s0
	s_cbranch_vccnz .LBB31_5474
; %bb.5473:
	s_wait_loadcnt 0x0
	global_load_b32 v16, v[22:23], off
	s_wait_loadcnt 0x0
	v_ashrrev_i32_e32 v17, 31, v16
.LBB31_5474:
	s_mov_b32 s0, 0
.LBB31_5475:
	s_delay_alu instid0(SALU_CYCLE_1)
	s_and_not1_b32 vcc_lo, exec_lo, s0
	s_cbranch_vccnz .LBB31_5477
; %bb.5476:
	global_load_u16 v1, v[22:23], off
	s_wait_loadcnt 0x0
	v_bfe_i32 v16, v1, 0, 16
	s_delay_alu instid0(VALU_DEP_1)
	v_ashrrev_i32_e32 v17, 31, v16
.LBB31_5477:
	s_mov_b32 s0, 0
.LBB31_5478:
	s_delay_alu instid0(SALU_CYCLE_1)
	s_and_not1_b32 vcc_lo, exec_lo, s0
	s_cbranch_vccnz .LBB31_5484
; %bb.5479:
	s_cmp_gt_i32 s57, 0
	s_mov_b32 s0, 0
	s_cbranch_scc0 .LBB31_5481
; %bb.5480:
	global_load_i8 v1, v[22:23], off
	s_wait_loadcnt 0x0
	v_bfe_i32 v16, v1, 0, 16
	s_delay_alu instid0(VALU_DEP_1)
	v_ashrrev_i32_e32 v17, 31, v16
	s_branch .LBB31_5482
.LBB31_5481:
	s_mov_b32 s0, -1
                                        ; implicit-def: $vgpr16_vgpr17
.LBB31_5482:
	s_delay_alu instid0(SALU_CYCLE_1)
	s_and_not1_b32 vcc_lo, exec_lo, s0
	s_cbranch_vccnz .LBB31_5484
; %bb.5483:
	global_load_u8 v1, v[22:23], off
	s_mov_b32 s0, 0
	s_wait_loadcnt 0x1
	v_mov_b32_e32 v17, s0
	s_wait_loadcnt 0x0
	v_and_b32_e32 v16, 0xffff, v1
.LBB31_5484:
	s_mov_b32 s7, -1
.LBB31_5485:
	s_delay_alu instid0(SALU_CYCLE_1)
	s_and_not1_b32 vcc_lo, exec_lo, s7
	s_cbranch_vccnz .LBB31_5749
; %bb.5486:
	v_mov_b32_e32 v15, 0
	s_cmp_lt_i32 s58, 11
	s_wait_xcnt 0x0
	s_delay_alu instid0(VALU_DEP_1)
	v_add_nc_u64_e32 v[22:23], s[14:15], v[14:15]
	s_cbranch_scc1 .LBB31_5493
; %bb.5487:
	s_cmp_gt_i32 s58, 25
	s_mov_b32 s6, 0
	s_cbranch_scc0 .LBB31_5494
; %bb.5488:
	s_cmp_gt_i32 s58, 28
	s_cbranch_scc0 .LBB31_5495
; %bb.5489:
	s_cmp_gt_i32 s58, 43
	;; [unrolled: 3-line block ×3, first 2 shown]
	s_cbranch_scc0 .LBB31_5498
; %bb.5491:
	s_cmp_eq_u32 s58, 46
	s_mov_b32 s9, 0
	s_cbranch_scc0 .LBB31_5500
; %bb.5492:
	global_load_b32 v1, v[22:23], off
	s_mov_b32 s0, 0
	s_mov_b32 s7, -1
	s_wait_loadcnt 0x0
	v_lshlrev_b32_e32 v1, 16, v1
	s_delay_alu instid0(VALU_DEP_1) | instskip(NEXT) | instid1(VALU_DEP_1)
	v_trunc_f32_e32 v1, v1
	v_mul_f32_e64 v3, 0x2f800000, |v1|
	v_ashrrev_i32_e32 v14, 31, v1
	s_delay_alu instid0(VALU_DEP_2) | instskip(NEXT) | instid1(VALU_DEP_2)
	v_floor_f32_e32 v3, v3
	v_mov_b32_e32 v15, v14
	s_delay_alu instid0(VALU_DEP_2) | instskip(SKIP_1) | instid1(VALU_DEP_2)
	v_fma_f32 v5, 0xcf800000, v3, |v1|
	v_cvt_u32_f32_e32 v1, v3
	v_cvt_u32_f32_e32 v3, v5
	s_delay_alu instid0(VALU_DEP_2) | instskip(NEXT) | instid1(VALU_DEP_2)
	v_xor_b32_e32 v25, v1, v14
	v_xor_b32_e32 v24, v3, v14
	s_delay_alu instid0(VALU_DEP_1)
	v_sub_nc_u64_e32 v[14:15], v[24:25], v[14:15]
	s_branch .LBB31_5502
.LBB31_5493:
	s_mov_b32 s0, -1
	s_mov_b32 s7, 0
                                        ; implicit-def: $vgpr14_vgpr15
	s_branch .LBB31_5564
.LBB31_5494:
	s_mov_b32 s9, -1
	s_mov_b32 s7, 0
	s_mov_b32 s0, 0
                                        ; implicit-def: $vgpr14_vgpr15
	s_branch .LBB31_5529
.LBB31_5495:
	s_mov_b32 s9, -1
	s_mov_b32 s7, 0
	s_mov_b32 s0, 0
                                        ; implicit-def: $vgpr14_vgpr15
	s_branch .LBB31_5512
.LBB31_5496:
	s_mov_b32 s9, -1
	s_mov_b32 s7, 0
	s_mov_b32 s0, 0
                                        ; implicit-def: $vgpr14_vgpr15
	s_branch .LBB31_5507
.LBB31_5497:
	s_or_b32 s23, s23, exec_lo
	s_trap 2
	s_cbranch_execz .LBB31_5434
	s_branch .LBB31_5435
.LBB31_5498:
	s_mov_b32 s9, -1
	s_mov_b32 s7, 0
	s_mov_b32 s0, 0
	s_branch .LBB31_5501
.LBB31_5499:
	s_or_b32 s63, s61, exec_lo
	s_trap 2
                                        ; implicit-def: $vgpr26_vgpr27
                                        ; implicit-def: $vgpr24_vgpr25
                                        ; implicit-def: $vgpr32_vgpr33
                                        ; implicit-def: $vgpr6
                                        ; implicit-def: $vgpr4
                                        ; implicit-def: $vgpr2
                                        ; implicit-def: $vgpr14
                                        ; implicit-def: $vgpr10
                                        ; implicit-def: $vgpr18
                                        ; implicit-def: $vgpr16
                                        ; implicit-def: $vgpr0
                                        ; implicit-def: $vgpr20
                                        ; implicit-def: $vgpr8_vgpr9
                                        ; implicit-def: $vgpr12_vgpr13
	s_branch .LBB31_5080
.LBB31_5500:
	s_mov_b32 s0, -1
	s_mov_b32 s7, 0
.LBB31_5501:
                                        ; implicit-def: $vgpr14_vgpr15
.LBB31_5502:
	s_and_b32 vcc_lo, exec_lo, s9
	s_cbranch_vccz .LBB31_5506
; %bb.5503:
	s_cmp_eq_u32 s58, 44
	s_cbranch_scc0 .LBB31_5505
; %bb.5504:
	global_load_u8 v1, v[22:23], off
	s_mov_b32 s0, 0
	s_mov_b32 s7, -1
	s_wait_loadcnt 0x0
	v_lshlrev_b32_e32 v3, 23, v1
	v_cmp_ne_u32_e32 vcc_lo, 0, v1
	s_delay_alu instid0(VALU_DEP_2) | instskip(NEXT) | instid1(VALU_DEP_1)
	v_trunc_f32_e32 v3, v3
	v_mul_f32_e64 v5, 0x2f800000, |v3|
	v_ashrrev_i32_e32 v14, 31, v3
	s_delay_alu instid0(VALU_DEP_2) | instskip(NEXT) | instid1(VALU_DEP_2)
	v_floor_f32_e32 v5, v5
	v_mov_b32_e32 v15, v14
	s_delay_alu instid0(VALU_DEP_2) | instskip(SKIP_1) | instid1(VALU_DEP_2)
	v_fma_f32 v7, 0xcf800000, v5, |v3|
	v_cvt_u32_f32_e32 v3, v5
	v_cvt_u32_f32_e32 v5, v7
	s_delay_alu instid0(VALU_DEP_2) | instskip(NEXT) | instid1(VALU_DEP_2)
	v_xor_b32_e32 v25, v3, v14
	v_xor_b32_e32 v24, v5, v14
	s_delay_alu instid0(VALU_DEP_1) | instskip(NEXT) | instid1(VALU_DEP_1)
	v_sub_nc_u64_e32 v[14:15], v[24:25], v[14:15]
	v_dual_cndmask_b32 v15, 0, v15 :: v_dual_cndmask_b32 v14, 0, v14
	s_branch .LBB31_5506
.LBB31_5505:
	s_mov_b32 s0, -1
                                        ; implicit-def: $vgpr14_vgpr15
.LBB31_5506:
	s_mov_b32 s9, 0
.LBB31_5507:
	s_delay_alu instid0(SALU_CYCLE_1)
	s_and_b32 vcc_lo, exec_lo, s9
	s_cbranch_vccz .LBB31_5511
; %bb.5508:
	s_cmp_eq_u32 s58, 29
	s_cbranch_scc0 .LBB31_5510
; %bb.5509:
	global_load_b64 v[14:15], v[22:23], off
	s_mov_b32 s0, 0
	s_mov_b32 s7, -1
	s_branch .LBB31_5511
.LBB31_5510:
	s_mov_b32 s0, -1
                                        ; implicit-def: $vgpr14_vgpr15
.LBB31_5511:
	s_mov_b32 s9, 0
.LBB31_5512:
	s_delay_alu instid0(SALU_CYCLE_1)
	s_and_b32 vcc_lo, exec_lo, s9
	s_cbranch_vccz .LBB31_5528
; %bb.5513:
	s_cmp_lt_i32 s58, 27
	s_cbranch_scc1 .LBB31_5516
; %bb.5514:
	s_cmp_gt_i32 s58, 27
	s_cbranch_scc0 .LBB31_5517
; %bb.5515:
	s_wait_loadcnt 0x0
	global_load_b32 v14, v[22:23], off
	v_mov_b32_e32 v15, 0
	s_mov_b32 s7, 0
	s_branch .LBB31_5518
.LBB31_5516:
	s_mov_b32 s7, -1
                                        ; implicit-def: $vgpr14_vgpr15
	s_branch .LBB31_5521
.LBB31_5517:
	s_mov_b32 s7, -1
                                        ; implicit-def: $vgpr14_vgpr15
.LBB31_5518:
	s_delay_alu instid0(SALU_CYCLE_1)
	s_and_not1_b32 vcc_lo, exec_lo, s7
	s_cbranch_vccnz .LBB31_5520
; %bb.5519:
	global_load_u16 v1, v[22:23], off
	s_mov_b32 s7, 0
	s_wait_loadcnt 0x1
	v_mov_b32_e32 v15, s7
	s_wait_loadcnt 0x0
	v_and_b32_e32 v14, 0xffff, v1
.LBB31_5520:
	s_mov_b32 s7, 0
.LBB31_5521:
	s_delay_alu instid0(SALU_CYCLE_1)
	s_and_not1_b32 vcc_lo, exec_lo, s7
	s_cbranch_vccnz .LBB31_5527
; %bb.5522:
	global_load_u8 v1, v[22:23], off
	s_mov_b32 s9, 0
	s_mov_b32 s7, exec_lo
	s_wait_loadcnt 0x0
	v_cmpx_lt_i16_e32 0x7f, v1
	s_xor_b32 s7, exec_lo, s7
	s_cbranch_execz .LBB31_5539
; %bb.5523:
	v_cmp_ne_u16_e32 vcc_lo, 0x80, v1
	s_and_b32 s9, vcc_lo, exec_lo
	s_and_not1_saveexec_b32 s7, s7
	s_cbranch_execnz .LBB31_5540
.LBB31_5524:
	s_or_b32 exec_lo, exec_lo, s7
	v_mov_b64_e32 v[14:15], 0
	s_and_saveexec_b32 s7, s9
	s_cbranch_execz .LBB31_5526
.LBB31_5525:
	v_and_b32_e32 v3, 0xffff, v1
	s_delay_alu instid0(VALU_DEP_1) | instskip(SKIP_1) | instid1(VALU_DEP_2)
	v_dual_lshlrev_b32 v1, 24, v1 :: v_dual_bitop2_b32 v5, 7, v3 bitop3:0x40
	v_bfe_u32 v14, v3, 3, 4
	v_and_b32_e32 v1, 0x80000000, v1
	s_delay_alu instid0(VALU_DEP_3) | instskip(NEXT) | instid1(VALU_DEP_3)
	v_clz_i32_u32_e32 v7, v5
	v_cmp_eq_u32_e32 vcc_lo, 0, v14
	s_delay_alu instid0(VALU_DEP_2) | instskip(NEXT) | instid1(VALU_DEP_1)
	v_min_u32_e32 v7, 32, v7
	v_subrev_nc_u32_e32 v11, 28, v7
	v_sub_nc_u32_e32 v7, 29, v7
	s_delay_alu instid0(VALU_DEP_2) | instskip(NEXT) | instid1(VALU_DEP_2)
	v_lshlrev_b32_e32 v3, v11, v3
	v_cndmask_b32_e32 v7, v14, v7, vcc_lo
	s_delay_alu instid0(VALU_DEP_2) | instskip(NEXT) | instid1(VALU_DEP_1)
	v_and_b32_e32 v3, 7, v3
	v_cndmask_b32_e32 v3, v5, v3, vcc_lo
	s_delay_alu instid0(VALU_DEP_3) | instskip(NEXT) | instid1(VALU_DEP_2)
	v_lshl_add_u32 v5, v7, 23, 0x3b800000
	v_lshlrev_b32_e32 v3, 20, v3
	s_delay_alu instid0(VALU_DEP_1) | instskip(NEXT) | instid1(VALU_DEP_1)
	v_or3_b32 v1, v1, v5, v3
	v_trunc_f32_e32 v1, v1
	s_delay_alu instid0(VALU_DEP_1) | instskip(SKIP_1) | instid1(VALU_DEP_2)
	v_mul_f32_e64 v3, 0x2f800000, |v1|
	v_ashrrev_i32_e32 v14, 31, v1
	v_floor_f32_e32 v3, v3
	s_delay_alu instid0(VALU_DEP_2) | instskip(NEXT) | instid1(VALU_DEP_2)
	v_mov_b32_e32 v15, v14
	v_fma_f32 v5, 0xcf800000, v3, |v1|
	v_cvt_u32_f32_e32 v1, v3
	s_delay_alu instid0(VALU_DEP_2) | instskip(NEXT) | instid1(VALU_DEP_2)
	v_cvt_u32_f32_e32 v3, v5
	v_xor_b32_e32 v25, v1, v14
	s_delay_alu instid0(VALU_DEP_2) | instskip(NEXT) | instid1(VALU_DEP_1)
	v_xor_b32_e32 v24, v3, v14
	v_sub_nc_u64_e32 v[14:15], v[24:25], v[14:15]
.LBB31_5526:
	s_or_b32 exec_lo, exec_lo, s7
.LBB31_5527:
	s_mov_b32 s7, -1
.LBB31_5528:
	s_mov_b32 s9, 0
.LBB31_5529:
	s_delay_alu instid0(SALU_CYCLE_1)
	s_and_b32 vcc_lo, exec_lo, s9
	s_cbranch_vccz .LBB31_5560
; %bb.5530:
	s_cmp_gt_i32 s58, 22
	s_cbranch_scc0 .LBB31_5538
; %bb.5531:
	s_cmp_lt_i32 s58, 24
	s_cbranch_scc1 .LBB31_5541
; %bb.5532:
	s_cmp_gt_i32 s58, 24
	s_cbranch_scc0 .LBB31_5542
; %bb.5533:
	global_load_u8 v1, v[22:23], off
	s_mov_b32 s7, 0
	s_mov_b32 s6, exec_lo
	s_wait_loadcnt 0x0
	v_cmpx_lt_i16_e32 0x7f, v1
	s_xor_b32 s6, exec_lo, s6
	s_cbranch_execz .LBB31_5554
; %bb.5534:
	v_cmp_ne_u16_e32 vcc_lo, 0x80, v1
	s_and_b32 s7, vcc_lo, exec_lo
	s_and_not1_saveexec_b32 s6, s6
	s_cbranch_execnz .LBB31_5555
.LBB31_5535:
	s_or_b32 exec_lo, exec_lo, s6
	v_mov_b64_e32 v[14:15], 0
	s_and_saveexec_b32 s6, s7
	s_cbranch_execz .LBB31_5537
.LBB31_5536:
	v_and_b32_e32 v3, 0xffff, v1
	s_delay_alu instid0(VALU_DEP_1) | instskip(SKIP_1) | instid1(VALU_DEP_2)
	v_dual_lshlrev_b32 v1, 24, v1 :: v_dual_bitop2_b32 v5, 3, v3 bitop3:0x40
	v_bfe_u32 v14, v3, 2, 5
	v_and_b32_e32 v1, 0x80000000, v1
	s_delay_alu instid0(VALU_DEP_3) | instskip(NEXT) | instid1(VALU_DEP_3)
	v_clz_i32_u32_e32 v7, v5
	v_cmp_eq_u32_e32 vcc_lo, 0, v14
	s_delay_alu instid0(VALU_DEP_2) | instskip(NEXT) | instid1(VALU_DEP_1)
	v_min_u32_e32 v7, 32, v7
	v_subrev_nc_u32_e32 v11, 29, v7
	v_sub_nc_u32_e32 v7, 30, v7
	s_delay_alu instid0(VALU_DEP_2) | instskip(NEXT) | instid1(VALU_DEP_2)
	v_lshlrev_b32_e32 v3, v11, v3
	v_cndmask_b32_e32 v7, v14, v7, vcc_lo
	s_delay_alu instid0(VALU_DEP_2) | instskip(NEXT) | instid1(VALU_DEP_1)
	v_and_b32_e32 v3, 3, v3
	v_cndmask_b32_e32 v3, v5, v3, vcc_lo
	s_delay_alu instid0(VALU_DEP_3) | instskip(NEXT) | instid1(VALU_DEP_2)
	v_lshl_add_u32 v5, v7, 23, 0x37800000
	v_lshlrev_b32_e32 v3, 21, v3
	s_delay_alu instid0(VALU_DEP_1) | instskip(NEXT) | instid1(VALU_DEP_1)
	v_or3_b32 v1, v1, v5, v3
	v_trunc_f32_e32 v1, v1
	s_delay_alu instid0(VALU_DEP_1) | instskip(SKIP_1) | instid1(VALU_DEP_2)
	v_mul_f32_e64 v3, 0x2f800000, |v1|
	v_ashrrev_i32_e32 v14, 31, v1
	v_floor_f32_e32 v3, v3
	s_delay_alu instid0(VALU_DEP_2) | instskip(NEXT) | instid1(VALU_DEP_2)
	v_mov_b32_e32 v15, v14
	v_fma_f32 v5, 0xcf800000, v3, |v1|
	v_cvt_u32_f32_e32 v1, v3
	s_delay_alu instid0(VALU_DEP_2) | instskip(NEXT) | instid1(VALU_DEP_2)
	v_cvt_u32_f32_e32 v3, v5
	v_xor_b32_e32 v25, v1, v14
	s_delay_alu instid0(VALU_DEP_2) | instskip(NEXT) | instid1(VALU_DEP_1)
	v_xor_b32_e32 v24, v3, v14
	v_sub_nc_u64_e32 v[14:15], v[24:25], v[14:15]
.LBB31_5537:
	s_or_b32 exec_lo, exec_lo, s6
	s_mov_b32 s6, 0
	s_branch .LBB31_5543
.LBB31_5538:
	s_mov_b32 s6, -1
                                        ; implicit-def: $vgpr14_vgpr15
	s_branch .LBB31_5549
.LBB31_5539:
	s_and_not1_saveexec_b32 s7, s7
	s_cbranch_execz .LBB31_5524
.LBB31_5540:
	v_cmp_ne_u16_e32 vcc_lo, 0, v1
	s_and_not1_b32 s9, s9, exec_lo
	s_and_b32 s10, vcc_lo, exec_lo
	s_delay_alu instid0(SALU_CYCLE_1)
	s_or_b32 s9, s9, s10
	s_or_b32 exec_lo, exec_lo, s7
	v_mov_b64_e32 v[14:15], 0
	s_and_saveexec_b32 s7, s9
	s_cbranch_execnz .LBB31_5525
	s_branch .LBB31_5526
.LBB31_5541:
	s_mov_b32 s6, -1
                                        ; implicit-def: $vgpr14_vgpr15
	s_branch .LBB31_5546
.LBB31_5542:
	s_mov_b32 s6, -1
                                        ; implicit-def: $vgpr14_vgpr15
.LBB31_5543:
	s_delay_alu instid0(SALU_CYCLE_1)
	s_and_b32 vcc_lo, exec_lo, s6
	s_cbranch_vccz .LBB31_5545
; %bb.5544:
	global_load_u8 v1, v[22:23], off
	s_wait_loadcnt 0x0
	v_lshlrev_b32_e32 v1, 24, v1
	s_delay_alu instid0(VALU_DEP_1) | instskip(NEXT) | instid1(VALU_DEP_1)
	v_and_b32_e32 v3, 0x7f000000, v1
	v_clz_i32_u32_e32 v5, v3
	v_add_nc_u32_e32 v11, 0x1000000, v3
	v_cmp_ne_u32_e32 vcc_lo, 0, v3
	s_delay_alu instid0(VALU_DEP_3) | instskip(NEXT) | instid1(VALU_DEP_1)
	v_min_u32_e32 v5, 32, v5
	v_sub_nc_u32_e64 v5, v5, 4 clamp
	s_delay_alu instid0(VALU_DEP_1) | instskip(NEXT) | instid1(VALU_DEP_1)
	v_dual_lshlrev_b32 v7, v5, v3 :: v_dual_lshlrev_b32 v5, 23, v5
	v_lshrrev_b32_e32 v7, 4, v7
	s_delay_alu instid0(VALU_DEP_1) | instskip(NEXT) | instid1(VALU_DEP_1)
	v_dual_sub_nc_u32 v5, v7, v5 :: v_dual_ashrrev_i32 v7, 8, v11
	v_add_nc_u32_e32 v5, 0x3c000000, v5
	s_delay_alu instid0(VALU_DEP_1) | instskip(NEXT) | instid1(VALU_DEP_1)
	v_and_or_b32 v5, 0x7f800000, v7, v5
	v_cndmask_b32_e32 v3, 0, v5, vcc_lo
	s_delay_alu instid0(VALU_DEP_1) | instskip(NEXT) | instid1(VALU_DEP_1)
	v_and_or_b32 v1, 0x80000000, v1, v3
	v_trunc_f32_e32 v1, v1
	s_delay_alu instid0(VALU_DEP_1) | instskip(SKIP_1) | instid1(VALU_DEP_2)
	v_mul_f32_e64 v3, 0x2f800000, |v1|
	v_ashrrev_i32_e32 v14, 31, v1
	v_floor_f32_e32 v3, v3
	s_delay_alu instid0(VALU_DEP_2) | instskip(NEXT) | instid1(VALU_DEP_2)
	v_mov_b32_e32 v15, v14
	v_fma_f32 v5, 0xcf800000, v3, |v1|
	v_cvt_u32_f32_e32 v1, v3
	s_delay_alu instid0(VALU_DEP_2) | instskip(NEXT) | instid1(VALU_DEP_2)
	v_cvt_u32_f32_e32 v3, v5
	v_xor_b32_e32 v25, v1, v14
	s_delay_alu instid0(VALU_DEP_2) | instskip(NEXT) | instid1(VALU_DEP_1)
	v_xor_b32_e32 v24, v3, v14
	v_sub_nc_u64_e32 v[14:15], v[24:25], v[14:15]
.LBB31_5545:
	s_mov_b32 s6, 0
.LBB31_5546:
	s_delay_alu instid0(SALU_CYCLE_1)
	s_and_not1_b32 vcc_lo, exec_lo, s6
	s_cbranch_vccnz .LBB31_5548
; %bb.5547:
	global_load_u8 v1, v[22:23], off
	s_wait_loadcnt 0x0
	v_lshlrev_b32_e32 v3, 25, v1
	v_lshlrev_b16 v1, 8, v1
	s_delay_alu instid0(VALU_DEP_1) | instskip(SKIP_1) | instid1(VALU_DEP_2)
	v_and_or_b32 v7, 0x7f00, v1, 0.5
	v_bfe_i32 v1, v1, 0, 16
	v_add_f32_e32 v7, -0.5, v7
	v_lshrrev_b32_e32 v5, 4, v3
	v_cmp_gt_u32_e32 vcc_lo, 0x8000000, v3
	s_delay_alu instid0(VALU_DEP_2) | instskip(NEXT) | instid1(VALU_DEP_1)
	v_or_b32_e32 v5, 0x70000000, v5
	v_mul_f32_e32 v5, 0x7800000, v5
	s_delay_alu instid0(VALU_DEP_1) | instskip(NEXT) | instid1(VALU_DEP_1)
	v_cndmask_b32_e32 v3, v5, v7, vcc_lo
	v_and_or_b32 v1, 0x80000000, v1, v3
	s_delay_alu instid0(VALU_DEP_1) | instskip(NEXT) | instid1(VALU_DEP_1)
	v_trunc_f32_e32 v1, v1
	v_mul_f32_e64 v3, 0x2f800000, |v1|
	v_ashrrev_i32_e32 v14, 31, v1
	s_delay_alu instid0(VALU_DEP_2) | instskip(NEXT) | instid1(VALU_DEP_2)
	v_floor_f32_e32 v3, v3
	v_mov_b32_e32 v15, v14
	s_delay_alu instid0(VALU_DEP_2) | instskip(SKIP_1) | instid1(VALU_DEP_2)
	v_fma_f32 v5, 0xcf800000, v3, |v1|
	v_cvt_u32_f32_e32 v1, v3
	v_cvt_u32_f32_e32 v3, v5
	s_delay_alu instid0(VALU_DEP_2) | instskip(NEXT) | instid1(VALU_DEP_2)
	v_xor_b32_e32 v25, v1, v14
	v_xor_b32_e32 v24, v3, v14
	s_delay_alu instid0(VALU_DEP_1)
	v_sub_nc_u64_e32 v[14:15], v[24:25], v[14:15]
.LBB31_5548:
	s_mov_b32 s6, 0
	s_mov_b32 s7, -1
.LBB31_5549:
	s_and_not1_b32 vcc_lo, exec_lo, s6
	s_mov_b32 s6, 0
	s_cbranch_vccnz .LBB31_5560
; %bb.5550:
	s_cmp_gt_i32 s58, 14
	s_cbranch_scc0 .LBB31_5553
; %bb.5551:
	s_cmp_eq_u32 s58, 15
	s_cbranch_scc0 .LBB31_5556
; %bb.5552:
	global_load_u16 v1, v[22:23], off
	s_mov_b32 s0, 0
	s_mov_b32 s7, -1
	s_wait_loadcnt 0x0
	v_lshlrev_b32_e32 v1, 16, v1
	s_delay_alu instid0(VALU_DEP_1) | instskip(NEXT) | instid1(VALU_DEP_1)
	v_trunc_f32_e32 v1, v1
	v_mul_f32_e64 v3, 0x2f800000, |v1|
	v_ashrrev_i32_e32 v14, 31, v1
	s_delay_alu instid0(VALU_DEP_2) | instskip(NEXT) | instid1(VALU_DEP_2)
	v_floor_f32_e32 v3, v3
	v_mov_b32_e32 v15, v14
	s_delay_alu instid0(VALU_DEP_2) | instskip(SKIP_1) | instid1(VALU_DEP_2)
	v_fma_f32 v5, 0xcf800000, v3, |v1|
	v_cvt_u32_f32_e32 v1, v3
	v_cvt_u32_f32_e32 v3, v5
	s_delay_alu instid0(VALU_DEP_2) | instskip(NEXT) | instid1(VALU_DEP_2)
	v_xor_b32_e32 v25, v1, v14
	v_xor_b32_e32 v24, v3, v14
	s_delay_alu instid0(VALU_DEP_1)
	v_sub_nc_u64_e32 v[14:15], v[24:25], v[14:15]
	s_branch .LBB31_5558
.LBB31_5553:
	s_mov_b32 s6, -1
	s_branch .LBB31_5557
.LBB31_5554:
	s_and_not1_saveexec_b32 s6, s6
	s_cbranch_execz .LBB31_5535
.LBB31_5555:
	v_cmp_ne_u16_e32 vcc_lo, 0, v1
	s_and_not1_b32 s7, s7, exec_lo
	s_and_b32 s9, vcc_lo, exec_lo
	s_delay_alu instid0(SALU_CYCLE_1)
	s_or_b32 s7, s7, s9
	s_or_b32 exec_lo, exec_lo, s6
	v_mov_b64_e32 v[14:15], 0
	s_and_saveexec_b32 s6, s7
	s_cbranch_execnz .LBB31_5536
	s_branch .LBB31_5537
.LBB31_5556:
	s_mov_b32 s0, -1
.LBB31_5557:
                                        ; implicit-def: $vgpr14_vgpr15
.LBB31_5558:
	s_and_b32 vcc_lo, exec_lo, s6
	s_mov_b32 s6, 0
	s_cbranch_vccz .LBB31_5560
; %bb.5559:
	s_cmp_lg_u32 s58, 11
	s_mov_b32 s6, -1
	s_cselect_b32 s0, -1, 0
.LBB31_5560:
	s_delay_alu instid0(SALU_CYCLE_1)
	s_and_b32 vcc_lo, exec_lo, s0
	s_cbranch_vccnz .LBB31_5625
; %bb.5561:
	s_and_not1_b32 vcc_lo, exec_lo, s6
	s_cbranch_vccnz .LBB31_5563
.LBB31_5562:
	global_load_u8 v1, v[22:23], off
	s_mov_b32 s0, 0
	s_mov_b32 s7, -1
	s_wait_loadcnt 0x1
	v_mov_b32_e32 v15, s0
	s_wait_loadcnt 0x0
	v_cmp_ne_u16_e32 vcc_lo, 0, v1
	v_cndmask_b32_e64 v14, 0, 1, vcc_lo
.LBB31_5563:
	s_mov_b32 s0, 0
.LBB31_5564:
	s_delay_alu instid0(SALU_CYCLE_1)
	s_and_b32 vcc_lo, exec_lo, s0
	s_cbranch_vccz .LBB31_5613
; %bb.5565:
	s_cmp_lt_i32 s58, 5
	s_cbranch_scc1 .LBB31_5570
; %bb.5566:
	s_cmp_lt_i32 s58, 8
	s_cbranch_scc1 .LBB31_5571
	;; [unrolled: 3-line block ×3, first 2 shown]
; %bb.5568:
	s_cmp_gt_i32 s58, 9
	s_cbranch_scc0 .LBB31_5573
; %bb.5569:
	s_wait_loadcnt 0x0
	global_load_b64 v[14:15], v[22:23], off
	s_mov_b32 s0, 0
	s_wait_loadcnt 0x0
	v_trunc_f64_e32 v[14:15], v[14:15]
	s_delay_alu instid0(VALU_DEP_1) | instskip(NEXT) | instid1(VALU_DEP_1)
	v_ldexp_f64 v[24:25], v[14:15], 0xffffffe0
	v_floor_f64_e32 v[24:25], v[24:25]
	s_delay_alu instid0(VALU_DEP_1) | instskip(SKIP_1) | instid1(VALU_DEP_2)
	v_fmamk_f64 v[26:27], v[24:25], 0xc1f00000, v[14:15]
	v_cvt_i32_f64_e32 v15, v[24:25]
	v_cvt_u32_f64_e32 v14, v[26:27]
	s_branch .LBB31_5574
.LBB31_5570:
	s_mov_b32 s0, -1
                                        ; implicit-def: $vgpr14_vgpr15
	s_branch .LBB31_5592
.LBB31_5571:
	s_mov_b32 s0, -1
                                        ; implicit-def: $vgpr14_vgpr15
	s_branch .LBB31_5580
.LBB31_5572:
	s_mov_b32 s0, -1
                                        ; implicit-def: $vgpr14_vgpr15
	s_branch .LBB31_5577
.LBB31_5573:
	s_mov_b32 s0, -1
                                        ; implicit-def: $vgpr14_vgpr15
.LBB31_5574:
	s_delay_alu instid0(SALU_CYCLE_1)
	s_and_not1_b32 vcc_lo, exec_lo, s0
	s_cbranch_vccnz .LBB31_5576
; %bb.5575:
	global_load_b32 v1, v[22:23], off
	s_wait_loadcnt 0x0
	v_trunc_f32_e32 v1, v1
	s_delay_alu instid0(VALU_DEP_1) | instskip(SKIP_1) | instid1(VALU_DEP_2)
	v_mul_f32_e64 v3, 0x2f800000, |v1|
	v_ashrrev_i32_e32 v14, 31, v1
	v_floor_f32_e32 v3, v3
	s_delay_alu instid0(VALU_DEP_1) | instskip(SKIP_1) | instid1(VALU_DEP_4)
	v_fma_f32 v5, 0xcf800000, v3, |v1|
	v_cvt_u32_f32_e32 v1, v3
	v_mov_b32_e32 v15, v14
	s_delay_alu instid0(VALU_DEP_3) | instskip(NEXT) | instid1(VALU_DEP_3)
	v_cvt_u32_f32_e32 v3, v5
	v_xor_b32_e32 v25, v1, v14
	s_delay_alu instid0(VALU_DEP_2) | instskip(NEXT) | instid1(VALU_DEP_1)
	v_xor_b32_e32 v24, v3, v14
	v_sub_nc_u64_e32 v[14:15], v[24:25], v[14:15]
.LBB31_5576:
	s_mov_b32 s0, 0
.LBB31_5577:
	s_delay_alu instid0(SALU_CYCLE_1)
	s_and_not1_b32 vcc_lo, exec_lo, s0
	s_cbranch_vccnz .LBB31_5579
; %bb.5578:
	global_load_b32 v1, v[22:23], off
	s_wait_loadcnt 0x0
	v_cvt_f32_f16_e32 v1, v1
	s_delay_alu instid0(VALU_DEP_1) | instskip(NEXT) | instid1(VALU_DEP_1)
	v_cvt_i32_f32_e32 v14, v1
	v_ashrrev_i32_e32 v15, 31, v14
.LBB31_5579:
	s_mov_b32 s0, 0
.LBB31_5580:
	s_delay_alu instid0(SALU_CYCLE_1)
	s_and_not1_b32 vcc_lo, exec_lo, s0
	s_cbranch_vccnz .LBB31_5591
; %bb.5581:
	s_cmp_lt_i32 s58, 6
	s_cbranch_scc1 .LBB31_5584
; %bb.5582:
	s_cmp_gt_i32 s58, 6
	s_cbranch_scc0 .LBB31_5585
; %bb.5583:
	s_wait_loadcnt 0x0
	global_load_b64 v[14:15], v[22:23], off
	s_mov_b32 s0, 0
	s_wait_loadcnt 0x0
	v_trunc_f64_e32 v[14:15], v[14:15]
	s_delay_alu instid0(VALU_DEP_1) | instskip(NEXT) | instid1(VALU_DEP_1)
	v_ldexp_f64 v[24:25], v[14:15], 0xffffffe0
	v_floor_f64_e32 v[24:25], v[24:25]
	s_delay_alu instid0(VALU_DEP_1) | instskip(SKIP_1) | instid1(VALU_DEP_2)
	v_fmamk_f64 v[26:27], v[24:25], 0xc1f00000, v[14:15]
	v_cvt_i32_f64_e32 v15, v[24:25]
	v_cvt_u32_f64_e32 v14, v[26:27]
	s_branch .LBB31_5586
.LBB31_5584:
	s_mov_b32 s0, -1
                                        ; implicit-def: $vgpr14_vgpr15
	s_branch .LBB31_5589
.LBB31_5585:
	s_mov_b32 s0, -1
                                        ; implicit-def: $vgpr14_vgpr15
.LBB31_5586:
	s_delay_alu instid0(SALU_CYCLE_1)
	s_and_not1_b32 vcc_lo, exec_lo, s0
	s_cbranch_vccnz .LBB31_5588
; %bb.5587:
	global_load_b32 v1, v[22:23], off
	s_wait_loadcnt 0x0
	v_trunc_f32_e32 v1, v1
	s_delay_alu instid0(VALU_DEP_1) | instskip(SKIP_1) | instid1(VALU_DEP_2)
	v_mul_f32_e64 v3, 0x2f800000, |v1|
	v_ashrrev_i32_e32 v14, 31, v1
	v_floor_f32_e32 v3, v3
	s_delay_alu instid0(VALU_DEP_1) | instskip(SKIP_1) | instid1(VALU_DEP_4)
	v_fma_f32 v5, 0xcf800000, v3, |v1|
	v_cvt_u32_f32_e32 v1, v3
	v_mov_b32_e32 v15, v14
	s_delay_alu instid0(VALU_DEP_3) | instskip(NEXT) | instid1(VALU_DEP_3)
	v_cvt_u32_f32_e32 v3, v5
	v_xor_b32_e32 v25, v1, v14
	s_delay_alu instid0(VALU_DEP_2) | instskip(NEXT) | instid1(VALU_DEP_1)
	v_xor_b32_e32 v24, v3, v14
	v_sub_nc_u64_e32 v[14:15], v[24:25], v[14:15]
.LBB31_5588:
	s_mov_b32 s0, 0
.LBB31_5589:
	s_delay_alu instid0(SALU_CYCLE_1)
	s_and_not1_b32 vcc_lo, exec_lo, s0
	s_cbranch_vccnz .LBB31_5591
; %bb.5590:
	global_load_u16 v1, v[22:23], off
	s_wait_loadcnt 0x0
	v_cvt_f32_f16_e32 v1, v1
	s_delay_alu instid0(VALU_DEP_1) | instskip(NEXT) | instid1(VALU_DEP_1)
	v_cvt_i32_f32_e32 v14, v1
	v_ashrrev_i32_e32 v15, 31, v14
.LBB31_5591:
	s_mov_b32 s0, 0
.LBB31_5592:
	s_delay_alu instid0(SALU_CYCLE_1)
	s_and_not1_b32 vcc_lo, exec_lo, s0
	s_cbranch_vccnz .LBB31_5612
; %bb.5593:
	s_cmp_lt_i32 s58, 2
	s_cbranch_scc1 .LBB31_5597
; %bb.5594:
	s_cmp_lt_i32 s58, 3
	s_cbranch_scc1 .LBB31_5598
; %bb.5595:
	s_cmp_gt_i32 s58, 3
	s_cbranch_scc0 .LBB31_5599
; %bb.5596:
	s_wait_loadcnt 0x0
	global_load_b64 v[14:15], v[22:23], off
	s_mov_b32 s0, 0
	s_branch .LBB31_5600
.LBB31_5597:
	s_mov_b32 s0, -1
                                        ; implicit-def: $vgpr14_vgpr15
	s_branch .LBB31_5606
.LBB31_5598:
	s_mov_b32 s0, -1
                                        ; implicit-def: $vgpr14_vgpr15
	s_branch .LBB31_5603
.LBB31_5599:
	s_mov_b32 s0, -1
                                        ; implicit-def: $vgpr14_vgpr15
.LBB31_5600:
	s_delay_alu instid0(SALU_CYCLE_1)
	s_and_not1_b32 vcc_lo, exec_lo, s0
	s_cbranch_vccnz .LBB31_5602
; %bb.5601:
	s_wait_loadcnt 0x0
	global_load_b32 v14, v[22:23], off
	s_wait_loadcnt 0x0
	v_ashrrev_i32_e32 v15, 31, v14
.LBB31_5602:
	s_mov_b32 s0, 0
.LBB31_5603:
	s_delay_alu instid0(SALU_CYCLE_1)
	s_and_not1_b32 vcc_lo, exec_lo, s0
	s_cbranch_vccnz .LBB31_5605
; %bb.5604:
	global_load_u16 v1, v[22:23], off
	s_wait_loadcnt 0x0
	v_bfe_i32 v14, v1, 0, 16
	s_delay_alu instid0(VALU_DEP_1)
	v_ashrrev_i32_e32 v15, 31, v14
.LBB31_5605:
	s_mov_b32 s0, 0
.LBB31_5606:
	s_delay_alu instid0(SALU_CYCLE_1)
	s_and_not1_b32 vcc_lo, exec_lo, s0
	s_cbranch_vccnz .LBB31_5612
; %bb.5607:
	s_cmp_gt_i32 s58, 0
	s_mov_b32 s0, 0
	s_cbranch_scc0 .LBB31_5609
; %bb.5608:
	global_load_i8 v1, v[22:23], off
	s_wait_loadcnt 0x0
	v_bfe_i32 v14, v1, 0, 16
	s_delay_alu instid0(VALU_DEP_1)
	v_ashrrev_i32_e32 v15, 31, v14
	s_branch .LBB31_5610
.LBB31_5609:
	s_mov_b32 s0, -1
                                        ; implicit-def: $vgpr14_vgpr15
.LBB31_5610:
	s_delay_alu instid0(SALU_CYCLE_1)
	s_and_not1_b32 vcc_lo, exec_lo, s0
	s_cbranch_vccnz .LBB31_5612
; %bb.5611:
	global_load_u8 v1, v[22:23], off
	s_mov_b32 s0, 0
	s_wait_loadcnt 0x1
	v_mov_b32_e32 v15, s0
	s_wait_loadcnt 0x0
	v_and_b32_e32 v14, 0xffff, v1
.LBB31_5612:
	s_mov_b32 s7, -1
.LBB31_5613:
	s_delay_alu instid0(SALU_CYCLE_1)
	s_and_not1_b32 vcc_lo, exec_lo, s7
	s_cbranch_vccnz .LBB31_5749
; %bb.5614:
	v_mov_b32_e32 v11, 0
	s_cmp_lt_i32 s59, 11
	s_delay_alu instid0(VALU_DEP_1)
	v_add_nc_u64_e32 v[10:11], s[16:17], v[10:11]
	s_cbranch_scc1 .LBB31_5621
; %bb.5615:
	s_cmp_gt_i32 s59, 25
	s_mov_b32 s6, 0
	s_cbranch_scc0 .LBB31_5622
; %bb.5616:
	s_cmp_gt_i32 s59, 28
	s_cbranch_scc0 .LBB31_5623
; %bb.5617:
	s_cmp_gt_i32 s59, 43
	;; [unrolled: 3-line block ×3, first 2 shown]
	s_cbranch_scc0 .LBB31_5626
; %bb.5619:
	s_cmp_eq_u32 s59, 46
	s_mov_b32 s9, 0
	s_cbranch_scc0 .LBB31_5627
; %bb.5620:
	global_load_b32 v1, v[10:11], off
	s_mov_b32 s0, 0
	s_mov_b32 s7, -1
	s_wait_loadcnt 0x0
	v_lshlrev_b32_e32 v1, 16, v1
	s_delay_alu instid0(VALU_DEP_1) | instskip(NEXT) | instid1(VALU_DEP_1)
	v_trunc_f32_e32 v1, v1
	v_mul_f32_e64 v3, 0x2f800000, |v1|
	s_wait_xcnt 0x1
	v_ashrrev_i32_e32 v22, 31, v1
	s_delay_alu instid0(VALU_DEP_2) | instskip(NEXT) | instid1(VALU_DEP_2)
	v_floor_f32_e32 v3, v3
	v_mov_b32_e32 v23, v22
	s_delay_alu instid0(VALU_DEP_2) | instskip(SKIP_1) | instid1(VALU_DEP_2)
	v_fma_f32 v5, 0xcf800000, v3, |v1|
	v_cvt_u32_f32_e32 v1, v3
	v_cvt_u32_f32_e32 v3, v5
	s_delay_alu instid0(VALU_DEP_2) | instskip(NEXT) | instid1(VALU_DEP_2)
	v_xor_b32_e32 v25, v1, v22
	v_xor_b32_e32 v24, v3, v22
	s_delay_alu instid0(VALU_DEP_1)
	v_sub_nc_u64_e32 v[22:23], v[24:25], v[22:23]
	s_branch .LBB31_5629
.LBB31_5621:
	s_mov_b32 s0, -1
	s_mov_b32 s7, 0
                                        ; implicit-def: $vgpr22_vgpr23
	s_branch .LBB31_5691
.LBB31_5622:
	s_mov_b32 s9, -1
	s_mov_b32 s7, 0
	s_mov_b32 s0, 0
                                        ; implicit-def: $vgpr22_vgpr23
	s_branch .LBB31_5656
.LBB31_5623:
	s_mov_b32 s9, -1
	s_mov_b32 s7, 0
	s_mov_b32 s0, 0
                                        ; implicit-def: $vgpr22_vgpr23
	s_branch .LBB31_5639
.LBB31_5624:
	s_mov_b32 s9, -1
	s_mov_b32 s7, 0
	s_mov_b32 s0, 0
                                        ; implicit-def: $vgpr22_vgpr23
	s_branch .LBB31_5634
.LBB31_5625:
	s_or_b32 s23, s23, exec_lo
	s_trap 2
	s_cbranch_execz .LBB31_5562
	s_branch .LBB31_5563
.LBB31_5626:
	s_mov_b32 s9, -1
	s_mov_b32 s7, 0
	s_mov_b32 s0, 0
	s_branch .LBB31_5628
.LBB31_5627:
	s_mov_b32 s0, -1
	s_mov_b32 s7, 0
.LBB31_5628:
                                        ; implicit-def: $vgpr22_vgpr23
.LBB31_5629:
	s_and_b32 vcc_lo, exec_lo, s9
	s_cbranch_vccz .LBB31_5633
; %bb.5630:
	s_cmp_eq_u32 s59, 44
	s_cbranch_scc0 .LBB31_5632
; %bb.5631:
	global_load_u8 v1, v[10:11], off
	s_mov_b32 s0, 0
	s_mov_b32 s7, -1
	s_wait_loadcnt 0x0
	v_lshlrev_b32_e32 v3, 23, v1
	v_cmp_ne_u32_e32 vcc_lo, 0, v1
	s_delay_alu instid0(VALU_DEP_2) | instskip(NEXT) | instid1(VALU_DEP_1)
	v_trunc_f32_e32 v3, v3
	v_mul_f32_e64 v5, 0x2f800000, |v3|
	s_wait_xcnt 0x1
	v_ashrrev_i32_e32 v22, 31, v3
	s_delay_alu instid0(VALU_DEP_2) | instskip(NEXT) | instid1(VALU_DEP_2)
	v_floor_f32_e32 v5, v5
	v_mov_b32_e32 v23, v22
	s_delay_alu instid0(VALU_DEP_2) | instskip(SKIP_1) | instid1(VALU_DEP_2)
	v_fma_f32 v7, 0xcf800000, v5, |v3|
	v_cvt_u32_f32_e32 v3, v5
	v_cvt_u32_f32_e32 v5, v7
	s_delay_alu instid0(VALU_DEP_2) | instskip(NEXT) | instid1(VALU_DEP_2)
	v_xor_b32_e32 v25, v3, v22
	v_xor_b32_e32 v24, v5, v22
	s_delay_alu instid0(VALU_DEP_1) | instskip(NEXT) | instid1(VALU_DEP_1)
	v_sub_nc_u64_e32 v[22:23], v[24:25], v[22:23]
	v_dual_cndmask_b32 v23, 0, v23 :: v_dual_cndmask_b32 v22, 0, v22
	s_branch .LBB31_5633
.LBB31_5632:
	s_mov_b32 s0, -1
                                        ; implicit-def: $vgpr22_vgpr23
.LBB31_5633:
	s_mov_b32 s9, 0
.LBB31_5634:
	s_delay_alu instid0(SALU_CYCLE_1)
	s_and_b32 vcc_lo, exec_lo, s9
	s_cbranch_vccz .LBB31_5638
; %bb.5635:
	s_cmp_eq_u32 s59, 29
	s_cbranch_scc0 .LBB31_5637
; %bb.5636:
	global_load_b64 v[22:23], v[10:11], off
	s_mov_b32 s0, 0
	s_mov_b32 s7, -1
	s_branch .LBB31_5638
.LBB31_5637:
	s_mov_b32 s0, -1
                                        ; implicit-def: $vgpr22_vgpr23
.LBB31_5638:
	s_mov_b32 s9, 0
.LBB31_5639:
	s_delay_alu instid0(SALU_CYCLE_1)
	s_and_b32 vcc_lo, exec_lo, s9
	s_cbranch_vccz .LBB31_5655
; %bb.5640:
	s_cmp_lt_i32 s59, 27
	s_cbranch_scc1 .LBB31_5643
; %bb.5641:
	s_cmp_gt_i32 s59, 27
	s_cbranch_scc0 .LBB31_5644
; %bb.5642:
	s_wait_loadcnt 0x0
	global_load_b32 v22, v[10:11], off
	v_mov_b32_e32 v23, 0
	s_mov_b32 s7, 0
	s_branch .LBB31_5645
.LBB31_5643:
	s_mov_b32 s7, -1
                                        ; implicit-def: $vgpr22_vgpr23
	s_branch .LBB31_5648
.LBB31_5644:
	s_mov_b32 s7, -1
                                        ; implicit-def: $vgpr22_vgpr23
.LBB31_5645:
	s_delay_alu instid0(SALU_CYCLE_1)
	s_and_not1_b32 vcc_lo, exec_lo, s7
	s_cbranch_vccnz .LBB31_5647
; %bb.5646:
	global_load_u16 v1, v[10:11], off
	s_mov_b32 s7, 0
	s_wait_loadcnt 0x1
	s_wait_xcnt 0x1
	v_mov_b32_e32 v23, s7
	s_wait_loadcnt 0x0
	v_and_b32_e32 v22, 0xffff, v1
.LBB31_5647:
	s_mov_b32 s7, 0
.LBB31_5648:
	s_delay_alu instid0(SALU_CYCLE_1)
	s_and_not1_b32 vcc_lo, exec_lo, s7
	s_cbranch_vccnz .LBB31_5654
; %bb.5649:
	global_load_u8 v1, v[10:11], off
	s_mov_b32 s9, 0
	s_mov_b32 s7, exec_lo
	s_wait_loadcnt 0x0
	v_cmpx_lt_i16_e32 0x7f, v1
	s_xor_b32 s7, exec_lo, s7
	s_cbranch_execz .LBB31_5666
; %bb.5650:
	v_cmp_ne_u16_e32 vcc_lo, 0x80, v1
	s_and_b32 s9, vcc_lo, exec_lo
	s_and_not1_saveexec_b32 s7, s7
	s_cbranch_execnz .LBB31_5667
.LBB31_5651:
	s_or_b32 exec_lo, exec_lo, s7
	v_mov_b64_e32 v[22:23], 0
	s_and_saveexec_b32 s7, s9
	s_cbranch_execz .LBB31_5653
.LBB31_5652:
	v_and_b32_e32 v3, 0xffff, v1
	s_delay_alu instid0(VALU_DEP_1) | instskip(SKIP_1) | instid1(VALU_DEP_2)
	v_dual_lshlrev_b32 v1, 24, v1 :: v_dual_bitop2_b32 v5, 7, v3 bitop3:0x40
	v_bfe_u32 v23, v3, 3, 4
	v_and_b32_e32 v1, 0x80000000, v1
	s_delay_alu instid0(VALU_DEP_3) | instskip(NEXT) | instid1(VALU_DEP_3)
	v_clz_i32_u32_e32 v7, v5
	v_cmp_eq_u32_e32 vcc_lo, 0, v23
	s_delay_alu instid0(VALU_DEP_2) | instskip(NEXT) | instid1(VALU_DEP_1)
	v_min_u32_e32 v7, 32, v7
	v_subrev_nc_u32_e32 v22, 28, v7
	v_sub_nc_u32_e32 v7, 29, v7
	s_delay_alu instid0(VALU_DEP_2) | instskip(NEXT) | instid1(VALU_DEP_2)
	v_lshlrev_b32_e32 v3, v22, v3
	v_cndmask_b32_e32 v7, v23, v7, vcc_lo
	s_delay_alu instid0(VALU_DEP_2) | instskip(NEXT) | instid1(VALU_DEP_1)
	v_and_b32_e32 v3, 7, v3
	v_cndmask_b32_e32 v3, v5, v3, vcc_lo
	s_delay_alu instid0(VALU_DEP_3) | instskip(NEXT) | instid1(VALU_DEP_2)
	v_lshl_add_u32 v5, v7, 23, 0x3b800000
	v_lshlrev_b32_e32 v3, 20, v3
	s_delay_alu instid0(VALU_DEP_1) | instskip(NEXT) | instid1(VALU_DEP_1)
	v_or3_b32 v1, v1, v5, v3
	v_trunc_f32_e32 v1, v1
	s_delay_alu instid0(VALU_DEP_1) | instskip(SKIP_1) | instid1(VALU_DEP_2)
	v_mul_f32_e64 v3, 0x2f800000, |v1|
	v_ashrrev_i32_e32 v22, 31, v1
	v_floor_f32_e32 v3, v3
	s_delay_alu instid0(VALU_DEP_2) | instskip(NEXT) | instid1(VALU_DEP_2)
	v_mov_b32_e32 v23, v22
	v_fma_f32 v5, 0xcf800000, v3, |v1|
	v_cvt_u32_f32_e32 v1, v3
	s_delay_alu instid0(VALU_DEP_2) | instskip(NEXT) | instid1(VALU_DEP_2)
	v_cvt_u32_f32_e32 v3, v5
	v_xor_b32_e32 v25, v1, v22
	s_delay_alu instid0(VALU_DEP_2) | instskip(NEXT) | instid1(VALU_DEP_1)
	v_xor_b32_e32 v24, v3, v22
	v_sub_nc_u64_e32 v[22:23], v[24:25], v[22:23]
.LBB31_5653:
	s_or_b32 exec_lo, exec_lo, s7
.LBB31_5654:
	s_mov_b32 s7, -1
.LBB31_5655:
	s_mov_b32 s9, 0
.LBB31_5656:
	s_delay_alu instid0(SALU_CYCLE_1)
	s_and_b32 vcc_lo, exec_lo, s9
	s_cbranch_vccz .LBB31_5687
; %bb.5657:
	s_cmp_gt_i32 s59, 22
	s_cbranch_scc0 .LBB31_5665
; %bb.5658:
	s_cmp_lt_i32 s59, 24
	s_cbranch_scc1 .LBB31_5668
; %bb.5659:
	s_cmp_gt_i32 s59, 24
	s_cbranch_scc0 .LBB31_5669
; %bb.5660:
	global_load_u8 v1, v[10:11], off
	s_mov_b32 s7, 0
	s_mov_b32 s6, exec_lo
	s_wait_loadcnt 0x0
	v_cmpx_lt_i16_e32 0x7f, v1
	s_xor_b32 s6, exec_lo, s6
	s_cbranch_execz .LBB31_5681
; %bb.5661:
	v_cmp_ne_u16_e32 vcc_lo, 0x80, v1
	s_and_b32 s7, vcc_lo, exec_lo
	s_and_not1_saveexec_b32 s6, s6
	s_cbranch_execnz .LBB31_5682
.LBB31_5662:
	s_or_b32 exec_lo, exec_lo, s6
	v_mov_b64_e32 v[22:23], 0
	s_and_saveexec_b32 s6, s7
	s_cbranch_execz .LBB31_5664
.LBB31_5663:
	v_and_b32_e32 v3, 0xffff, v1
	s_delay_alu instid0(VALU_DEP_1) | instskip(SKIP_1) | instid1(VALU_DEP_2)
	v_dual_lshlrev_b32 v1, 24, v1 :: v_dual_bitop2_b32 v5, 3, v3 bitop3:0x40
	v_bfe_u32 v23, v3, 2, 5
	v_and_b32_e32 v1, 0x80000000, v1
	s_delay_alu instid0(VALU_DEP_3) | instskip(NEXT) | instid1(VALU_DEP_3)
	v_clz_i32_u32_e32 v7, v5
	v_cmp_eq_u32_e32 vcc_lo, 0, v23
	s_delay_alu instid0(VALU_DEP_2) | instskip(NEXT) | instid1(VALU_DEP_1)
	v_min_u32_e32 v7, 32, v7
	v_subrev_nc_u32_e32 v22, 29, v7
	v_sub_nc_u32_e32 v7, 30, v7
	s_delay_alu instid0(VALU_DEP_2) | instskip(NEXT) | instid1(VALU_DEP_2)
	v_lshlrev_b32_e32 v3, v22, v3
	v_cndmask_b32_e32 v7, v23, v7, vcc_lo
	s_delay_alu instid0(VALU_DEP_2) | instskip(NEXT) | instid1(VALU_DEP_1)
	v_and_b32_e32 v3, 3, v3
	v_cndmask_b32_e32 v3, v5, v3, vcc_lo
	s_delay_alu instid0(VALU_DEP_3) | instskip(NEXT) | instid1(VALU_DEP_2)
	v_lshl_add_u32 v5, v7, 23, 0x37800000
	v_lshlrev_b32_e32 v3, 21, v3
	s_delay_alu instid0(VALU_DEP_1) | instskip(NEXT) | instid1(VALU_DEP_1)
	v_or3_b32 v1, v1, v5, v3
	v_trunc_f32_e32 v1, v1
	s_delay_alu instid0(VALU_DEP_1) | instskip(SKIP_1) | instid1(VALU_DEP_2)
	v_mul_f32_e64 v3, 0x2f800000, |v1|
	v_ashrrev_i32_e32 v22, 31, v1
	v_floor_f32_e32 v3, v3
	s_delay_alu instid0(VALU_DEP_2) | instskip(NEXT) | instid1(VALU_DEP_2)
	v_mov_b32_e32 v23, v22
	v_fma_f32 v5, 0xcf800000, v3, |v1|
	v_cvt_u32_f32_e32 v1, v3
	s_delay_alu instid0(VALU_DEP_2) | instskip(NEXT) | instid1(VALU_DEP_2)
	v_cvt_u32_f32_e32 v3, v5
	v_xor_b32_e32 v25, v1, v22
	s_delay_alu instid0(VALU_DEP_2) | instskip(NEXT) | instid1(VALU_DEP_1)
	v_xor_b32_e32 v24, v3, v22
	v_sub_nc_u64_e32 v[22:23], v[24:25], v[22:23]
.LBB31_5664:
	s_or_b32 exec_lo, exec_lo, s6
	s_mov_b32 s6, 0
	s_branch .LBB31_5670
.LBB31_5665:
	s_mov_b32 s6, -1
                                        ; implicit-def: $vgpr22_vgpr23
	s_branch .LBB31_5676
.LBB31_5666:
	s_and_not1_saveexec_b32 s7, s7
	s_cbranch_execz .LBB31_5651
.LBB31_5667:
	v_cmp_ne_u16_e32 vcc_lo, 0, v1
	s_and_not1_b32 s9, s9, exec_lo
	s_and_b32 s10, vcc_lo, exec_lo
	s_delay_alu instid0(SALU_CYCLE_1)
	s_or_b32 s9, s9, s10
	s_or_b32 exec_lo, exec_lo, s7
	v_mov_b64_e32 v[22:23], 0
	s_and_saveexec_b32 s7, s9
	s_cbranch_execnz .LBB31_5652
	s_branch .LBB31_5653
.LBB31_5668:
	s_mov_b32 s6, -1
                                        ; implicit-def: $vgpr22_vgpr23
	s_branch .LBB31_5673
.LBB31_5669:
	s_mov_b32 s6, -1
                                        ; implicit-def: $vgpr22_vgpr23
.LBB31_5670:
	s_delay_alu instid0(SALU_CYCLE_1)
	s_and_b32 vcc_lo, exec_lo, s6
	s_cbranch_vccz .LBB31_5672
; %bb.5671:
	global_load_u8 v1, v[10:11], off
	s_wait_loadcnt 0x0
	v_lshlrev_b32_e32 v1, 24, v1
	s_delay_alu instid0(VALU_DEP_1) | instskip(NEXT) | instid1(VALU_DEP_1)
	v_and_b32_e32 v3, 0x7f000000, v1
	v_clz_i32_u32_e32 v5, v3
	v_cmp_ne_u32_e32 vcc_lo, 0, v3
	s_wait_xcnt 0x1
	v_add_nc_u32_e32 v22, 0x1000000, v3
	s_delay_alu instid0(VALU_DEP_3) | instskip(NEXT) | instid1(VALU_DEP_1)
	v_min_u32_e32 v5, 32, v5
	v_sub_nc_u32_e64 v5, v5, 4 clamp
	s_delay_alu instid0(VALU_DEP_1) | instskip(NEXT) | instid1(VALU_DEP_1)
	v_dual_lshlrev_b32 v7, v5, v3 :: v_dual_lshlrev_b32 v5, 23, v5
	v_lshrrev_b32_e32 v7, 4, v7
	s_delay_alu instid0(VALU_DEP_1) | instskip(NEXT) | instid1(VALU_DEP_1)
	v_dual_sub_nc_u32 v5, v7, v5 :: v_dual_ashrrev_i32 v7, 8, v22
	v_add_nc_u32_e32 v5, 0x3c000000, v5
	s_delay_alu instid0(VALU_DEP_1) | instskip(NEXT) | instid1(VALU_DEP_1)
	v_and_or_b32 v5, 0x7f800000, v7, v5
	v_cndmask_b32_e32 v3, 0, v5, vcc_lo
	s_delay_alu instid0(VALU_DEP_1) | instskip(NEXT) | instid1(VALU_DEP_1)
	v_and_or_b32 v1, 0x80000000, v1, v3
	v_trunc_f32_e32 v1, v1
	s_delay_alu instid0(VALU_DEP_1) | instskip(SKIP_1) | instid1(VALU_DEP_2)
	v_mul_f32_e64 v3, 0x2f800000, |v1|
	v_ashrrev_i32_e32 v22, 31, v1
	v_floor_f32_e32 v3, v3
	s_delay_alu instid0(VALU_DEP_1) | instskip(SKIP_1) | instid1(VALU_DEP_4)
	v_fma_f32 v5, 0xcf800000, v3, |v1|
	v_cvt_u32_f32_e32 v1, v3
	v_mov_b32_e32 v23, v22
	s_delay_alu instid0(VALU_DEP_3) | instskip(NEXT) | instid1(VALU_DEP_3)
	v_cvt_u32_f32_e32 v3, v5
	v_xor_b32_e32 v25, v1, v22
	s_delay_alu instid0(VALU_DEP_2) | instskip(NEXT) | instid1(VALU_DEP_1)
	v_xor_b32_e32 v24, v3, v22
	v_sub_nc_u64_e32 v[22:23], v[24:25], v[22:23]
.LBB31_5672:
	s_mov_b32 s6, 0
.LBB31_5673:
	s_delay_alu instid0(SALU_CYCLE_1)
	s_and_not1_b32 vcc_lo, exec_lo, s6
	s_cbranch_vccnz .LBB31_5675
; %bb.5674:
	global_load_u8 v1, v[10:11], off
	s_wait_loadcnt 0x0
	v_lshlrev_b32_e32 v3, 25, v1
	v_lshlrev_b16 v1, 8, v1
	s_delay_alu instid0(VALU_DEP_1) | instskip(SKIP_1) | instid1(VALU_DEP_2)
	v_and_or_b32 v7, 0x7f00, v1, 0.5
	v_bfe_i32 v1, v1, 0, 16
	v_add_f32_e32 v7, -0.5, v7
	v_lshrrev_b32_e32 v5, 4, v3
	v_cmp_gt_u32_e32 vcc_lo, 0x8000000, v3
	s_delay_alu instid0(VALU_DEP_2) | instskip(NEXT) | instid1(VALU_DEP_1)
	v_or_b32_e32 v5, 0x70000000, v5
	v_mul_f32_e32 v5, 0x7800000, v5
	s_delay_alu instid0(VALU_DEP_1) | instskip(NEXT) | instid1(VALU_DEP_1)
	v_cndmask_b32_e32 v3, v5, v7, vcc_lo
	v_and_or_b32 v1, 0x80000000, v1, v3
	s_delay_alu instid0(VALU_DEP_1) | instskip(NEXT) | instid1(VALU_DEP_1)
	v_trunc_f32_e32 v1, v1
	v_mul_f32_e64 v3, 0x2f800000, |v1|
	s_wait_xcnt 0x1
	v_ashrrev_i32_e32 v22, 31, v1
	s_delay_alu instid0(VALU_DEP_2) | instskip(NEXT) | instid1(VALU_DEP_2)
	v_floor_f32_e32 v3, v3
	v_mov_b32_e32 v23, v22
	s_delay_alu instid0(VALU_DEP_2) | instskip(SKIP_1) | instid1(VALU_DEP_2)
	v_fma_f32 v5, 0xcf800000, v3, |v1|
	v_cvt_u32_f32_e32 v1, v3
	v_cvt_u32_f32_e32 v3, v5
	s_delay_alu instid0(VALU_DEP_2) | instskip(NEXT) | instid1(VALU_DEP_2)
	v_xor_b32_e32 v25, v1, v22
	v_xor_b32_e32 v24, v3, v22
	s_delay_alu instid0(VALU_DEP_1)
	v_sub_nc_u64_e32 v[22:23], v[24:25], v[22:23]
.LBB31_5675:
	s_mov_b32 s6, 0
	s_mov_b32 s7, -1
.LBB31_5676:
	s_and_not1_b32 vcc_lo, exec_lo, s6
	s_mov_b32 s6, 0
	s_cbranch_vccnz .LBB31_5687
; %bb.5677:
	s_cmp_gt_i32 s59, 14
	s_cbranch_scc0 .LBB31_5680
; %bb.5678:
	s_cmp_eq_u32 s59, 15
	s_cbranch_scc0 .LBB31_5683
; %bb.5679:
	global_load_u16 v1, v[10:11], off
	s_mov_b32 s0, 0
	s_mov_b32 s7, -1
	s_wait_loadcnt 0x0
	v_lshlrev_b32_e32 v1, 16, v1
	s_delay_alu instid0(VALU_DEP_1) | instskip(NEXT) | instid1(VALU_DEP_1)
	v_trunc_f32_e32 v1, v1
	v_mul_f32_e64 v3, 0x2f800000, |v1|
	s_wait_xcnt 0x1
	v_ashrrev_i32_e32 v22, 31, v1
	s_delay_alu instid0(VALU_DEP_2) | instskip(NEXT) | instid1(VALU_DEP_2)
	v_floor_f32_e32 v3, v3
	v_mov_b32_e32 v23, v22
	s_delay_alu instid0(VALU_DEP_2) | instskip(SKIP_1) | instid1(VALU_DEP_2)
	v_fma_f32 v5, 0xcf800000, v3, |v1|
	v_cvt_u32_f32_e32 v1, v3
	v_cvt_u32_f32_e32 v3, v5
	s_delay_alu instid0(VALU_DEP_2) | instskip(NEXT) | instid1(VALU_DEP_2)
	v_xor_b32_e32 v25, v1, v22
	v_xor_b32_e32 v24, v3, v22
	s_delay_alu instid0(VALU_DEP_1)
	v_sub_nc_u64_e32 v[22:23], v[24:25], v[22:23]
	s_branch .LBB31_5685
.LBB31_5680:
	s_mov_b32 s6, -1
	s_branch .LBB31_5684
.LBB31_5681:
	s_and_not1_saveexec_b32 s6, s6
	s_cbranch_execz .LBB31_5662
.LBB31_5682:
	v_cmp_ne_u16_e32 vcc_lo, 0, v1
	s_and_not1_b32 s7, s7, exec_lo
	s_and_b32 s9, vcc_lo, exec_lo
	s_delay_alu instid0(SALU_CYCLE_1)
	s_or_b32 s7, s7, s9
	s_or_b32 exec_lo, exec_lo, s6
	v_mov_b64_e32 v[22:23], 0
	s_and_saveexec_b32 s6, s7
	s_cbranch_execnz .LBB31_5663
	s_branch .LBB31_5664
.LBB31_5683:
	s_mov_b32 s0, -1
.LBB31_5684:
                                        ; implicit-def: $vgpr22_vgpr23
.LBB31_5685:
	s_and_b32 vcc_lo, exec_lo, s6
	s_mov_b32 s6, 0
	s_cbranch_vccz .LBB31_5687
; %bb.5686:
	s_cmp_lg_u32 s59, 11
	s_mov_b32 s6, -1
	s_cselect_b32 s0, -1, 0
.LBB31_5687:
	s_delay_alu instid0(SALU_CYCLE_1)
	s_and_b32 vcc_lo, exec_lo, s0
	s_cbranch_vccnz .LBB31_5816
; %bb.5688:
	s_and_not1_b32 vcc_lo, exec_lo, s6
	s_cbranch_vccnz .LBB31_5690
.LBB31_5689:
	global_load_u8 v1, v[10:11], off
	s_mov_b32 s0, 0
	s_mov_b32 s7, -1
	s_wait_loadcnt 0x1
	s_wait_xcnt 0x1
	v_mov_b32_e32 v23, s0
	s_wait_loadcnt 0x0
	v_cmp_ne_u16_e32 vcc_lo, 0, v1
	v_cndmask_b32_e64 v22, 0, 1, vcc_lo
.LBB31_5690:
	s_mov_b32 s0, 0
.LBB31_5691:
	s_delay_alu instid0(SALU_CYCLE_1)
	s_and_b32 vcc_lo, exec_lo, s0
	s_cbranch_vccz .LBB31_5740
; %bb.5692:
	s_cmp_lt_i32 s59, 5
	s_cbranch_scc1 .LBB31_5697
; %bb.5693:
	s_cmp_lt_i32 s59, 8
	s_cbranch_scc1 .LBB31_5698
	;; [unrolled: 3-line block ×3, first 2 shown]
; %bb.5695:
	s_cmp_gt_i32 s59, 9
	s_cbranch_scc0 .LBB31_5700
; %bb.5696:
	s_wait_loadcnt 0x0
	global_load_b64 v[22:23], v[10:11], off
	s_mov_b32 s0, 0
	s_wait_loadcnt 0x0
	v_trunc_f64_e32 v[22:23], v[22:23]
	s_delay_alu instid0(VALU_DEP_1) | instskip(NEXT) | instid1(VALU_DEP_1)
	v_ldexp_f64 v[24:25], v[22:23], 0xffffffe0
	v_floor_f64_e32 v[24:25], v[24:25]
	s_delay_alu instid0(VALU_DEP_1) | instskip(SKIP_1) | instid1(VALU_DEP_2)
	v_fmamk_f64 v[26:27], v[24:25], 0xc1f00000, v[22:23]
	v_cvt_i32_f64_e32 v23, v[24:25]
	v_cvt_u32_f64_e32 v22, v[26:27]
	s_branch .LBB31_5701
.LBB31_5697:
	s_mov_b32 s0, -1
                                        ; implicit-def: $vgpr22_vgpr23
	s_branch .LBB31_5719
.LBB31_5698:
	s_mov_b32 s0, -1
                                        ; implicit-def: $vgpr22_vgpr23
	s_branch .LBB31_5707
.LBB31_5699:
	s_mov_b32 s0, -1
                                        ; implicit-def: $vgpr22_vgpr23
	s_branch .LBB31_5704
.LBB31_5700:
	s_mov_b32 s0, -1
                                        ; implicit-def: $vgpr22_vgpr23
.LBB31_5701:
	s_delay_alu instid0(SALU_CYCLE_1)
	s_and_not1_b32 vcc_lo, exec_lo, s0
	s_cbranch_vccnz .LBB31_5703
; %bb.5702:
	global_load_b32 v1, v[10:11], off
	s_wait_loadcnt 0x0
	v_trunc_f32_e32 v1, v1
	s_delay_alu instid0(VALU_DEP_1) | instskip(SKIP_2) | instid1(VALU_DEP_2)
	v_mul_f32_e64 v3, 0x2f800000, |v1|
	s_wait_xcnt 0x1
	v_ashrrev_i32_e32 v22, 31, v1
	v_floor_f32_e32 v3, v3
	s_delay_alu instid0(VALU_DEP_1) | instskip(SKIP_1) | instid1(VALU_DEP_4)
	v_fma_f32 v5, 0xcf800000, v3, |v1|
	v_cvt_u32_f32_e32 v1, v3
	v_mov_b32_e32 v23, v22
	s_delay_alu instid0(VALU_DEP_3) | instskip(NEXT) | instid1(VALU_DEP_3)
	v_cvt_u32_f32_e32 v3, v5
	v_xor_b32_e32 v25, v1, v22
	s_delay_alu instid0(VALU_DEP_2) | instskip(NEXT) | instid1(VALU_DEP_1)
	v_xor_b32_e32 v24, v3, v22
	v_sub_nc_u64_e32 v[22:23], v[24:25], v[22:23]
.LBB31_5703:
	s_mov_b32 s0, 0
.LBB31_5704:
	s_delay_alu instid0(SALU_CYCLE_1)
	s_and_not1_b32 vcc_lo, exec_lo, s0
	s_cbranch_vccnz .LBB31_5706
; %bb.5705:
	global_load_b32 v1, v[10:11], off
	s_wait_loadcnt 0x0
	v_cvt_f32_f16_e32 v1, v1
	s_wait_xcnt 0x1
	s_delay_alu instid0(VALU_DEP_1) | instskip(NEXT) | instid1(VALU_DEP_1)
	v_cvt_i32_f32_e32 v22, v1
	v_ashrrev_i32_e32 v23, 31, v22
.LBB31_5706:
	s_mov_b32 s0, 0
.LBB31_5707:
	s_delay_alu instid0(SALU_CYCLE_1)
	s_and_not1_b32 vcc_lo, exec_lo, s0
	s_cbranch_vccnz .LBB31_5718
; %bb.5708:
	s_cmp_lt_i32 s59, 6
	s_cbranch_scc1 .LBB31_5711
; %bb.5709:
	s_cmp_gt_i32 s59, 6
	s_cbranch_scc0 .LBB31_5712
; %bb.5710:
	s_wait_loadcnt 0x0
	global_load_b64 v[22:23], v[10:11], off
	s_mov_b32 s0, 0
	s_wait_loadcnt 0x0
	v_trunc_f64_e32 v[22:23], v[22:23]
	s_delay_alu instid0(VALU_DEP_1) | instskip(NEXT) | instid1(VALU_DEP_1)
	v_ldexp_f64 v[24:25], v[22:23], 0xffffffe0
	v_floor_f64_e32 v[24:25], v[24:25]
	s_delay_alu instid0(VALU_DEP_1) | instskip(SKIP_1) | instid1(VALU_DEP_2)
	v_fmamk_f64 v[26:27], v[24:25], 0xc1f00000, v[22:23]
	v_cvt_i32_f64_e32 v23, v[24:25]
	v_cvt_u32_f64_e32 v22, v[26:27]
	s_branch .LBB31_5713
.LBB31_5711:
	s_mov_b32 s0, -1
                                        ; implicit-def: $vgpr22_vgpr23
	s_branch .LBB31_5716
.LBB31_5712:
	s_mov_b32 s0, -1
                                        ; implicit-def: $vgpr22_vgpr23
.LBB31_5713:
	s_delay_alu instid0(SALU_CYCLE_1)
	s_and_not1_b32 vcc_lo, exec_lo, s0
	s_cbranch_vccnz .LBB31_5715
; %bb.5714:
	global_load_b32 v1, v[10:11], off
	s_wait_loadcnt 0x0
	v_trunc_f32_e32 v1, v1
	s_delay_alu instid0(VALU_DEP_1) | instskip(SKIP_2) | instid1(VALU_DEP_2)
	v_mul_f32_e64 v3, 0x2f800000, |v1|
	s_wait_xcnt 0x1
	v_ashrrev_i32_e32 v22, 31, v1
	v_floor_f32_e32 v3, v3
	s_delay_alu instid0(VALU_DEP_1) | instskip(SKIP_1) | instid1(VALU_DEP_4)
	v_fma_f32 v5, 0xcf800000, v3, |v1|
	v_cvt_u32_f32_e32 v1, v3
	v_mov_b32_e32 v23, v22
	s_delay_alu instid0(VALU_DEP_3) | instskip(NEXT) | instid1(VALU_DEP_3)
	v_cvt_u32_f32_e32 v3, v5
	v_xor_b32_e32 v25, v1, v22
	s_delay_alu instid0(VALU_DEP_2) | instskip(NEXT) | instid1(VALU_DEP_1)
	v_xor_b32_e32 v24, v3, v22
	v_sub_nc_u64_e32 v[22:23], v[24:25], v[22:23]
.LBB31_5715:
	s_mov_b32 s0, 0
.LBB31_5716:
	s_delay_alu instid0(SALU_CYCLE_1)
	s_and_not1_b32 vcc_lo, exec_lo, s0
	s_cbranch_vccnz .LBB31_5718
; %bb.5717:
	global_load_u16 v1, v[10:11], off
	s_wait_loadcnt 0x0
	v_cvt_f32_f16_e32 v1, v1
	s_wait_xcnt 0x1
	s_delay_alu instid0(VALU_DEP_1) | instskip(NEXT) | instid1(VALU_DEP_1)
	v_cvt_i32_f32_e32 v22, v1
	v_ashrrev_i32_e32 v23, 31, v22
.LBB31_5718:
	s_mov_b32 s0, 0
.LBB31_5719:
	s_delay_alu instid0(SALU_CYCLE_1)
	s_and_not1_b32 vcc_lo, exec_lo, s0
	s_cbranch_vccnz .LBB31_5739
; %bb.5720:
	s_cmp_lt_i32 s59, 2
	s_cbranch_scc1 .LBB31_5724
; %bb.5721:
	s_cmp_lt_i32 s59, 3
	s_cbranch_scc1 .LBB31_5725
; %bb.5722:
	s_cmp_gt_i32 s59, 3
	s_cbranch_scc0 .LBB31_5726
; %bb.5723:
	s_wait_loadcnt 0x0
	global_load_b64 v[22:23], v[10:11], off
	s_mov_b32 s0, 0
	s_branch .LBB31_5727
.LBB31_5724:
	s_mov_b32 s0, -1
                                        ; implicit-def: $vgpr22_vgpr23
	s_branch .LBB31_5733
.LBB31_5725:
	s_mov_b32 s0, -1
                                        ; implicit-def: $vgpr22_vgpr23
	s_branch .LBB31_5730
.LBB31_5726:
	s_mov_b32 s0, -1
                                        ; implicit-def: $vgpr22_vgpr23
.LBB31_5727:
	s_delay_alu instid0(SALU_CYCLE_1)
	s_and_not1_b32 vcc_lo, exec_lo, s0
	s_cbranch_vccnz .LBB31_5729
; %bb.5728:
	s_wait_loadcnt 0x0
	global_load_b32 v22, v[10:11], off
	s_wait_loadcnt 0x0
	v_ashrrev_i32_e32 v23, 31, v22
.LBB31_5729:
	s_mov_b32 s0, 0
.LBB31_5730:
	s_delay_alu instid0(SALU_CYCLE_1)
	s_and_not1_b32 vcc_lo, exec_lo, s0
	s_cbranch_vccnz .LBB31_5732
; %bb.5731:
	global_load_u16 v1, v[10:11], off
	s_wait_loadcnt 0x0
	s_wait_xcnt 0x1
	v_bfe_i32 v22, v1, 0, 16
	s_delay_alu instid0(VALU_DEP_1)
	v_ashrrev_i32_e32 v23, 31, v22
.LBB31_5732:
	s_mov_b32 s0, 0
.LBB31_5733:
	s_delay_alu instid0(SALU_CYCLE_1)
	s_and_not1_b32 vcc_lo, exec_lo, s0
	s_cbranch_vccnz .LBB31_5739
; %bb.5734:
	s_cmp_gt_i32 s59, 0
	s_mov_b32 s0, 0
	s_cbranch_scc0 .LBB31_5736
; %bb.5735:
	global_load_i8 v1, v[10:11], off
	s_wait_loadcnt 0x0
	s_wait_xcnt 0x1
	v_bfe_i32 v22, v1, 0, 16
	s_delay_alu instid0(VALU_DEP_1)
	v_ashrrev_i32_e32 v23, 31, v22
	s_branch .LBB31_5737
.LBB31_5736:
	s_mov_b32 s0, -1
                                        ; implicit-def: $vgpr22_vgpr23
.LBB31_5737:
	s_delay_alu instid0(SALU_CYCLE_1)
	s_and_not1_b32 vcc_lo, exec_lo, s0
	s_cbranch_vccnz .LBB31_5739
; %bb.5738:
	global_load_u8 v1, v[10:11], off
	s_mov_b32 s0, 0
	s_wait_loadcnt 0x1
	s_wait_xcnt 0x1
	v_mov_b32_e32 v23, s0
	s_wait_loadcnt 0x0
	v_and_b32_e32 v22, 0xffff, v1
.LBB31_5739:
	s_mov_b32 s7, -1
.LBB31_5740:
	s_delay_alu instid0(SALU_CYCLE_1)
	s_and_not1_b32 vcc_lo, exec_lo, s7
	s_cbranch_vccnz .LBB31_5749
; %bb.5741:
	s_mov_b32 s0, exec_lo
	s_wait_loadcnt 0x0
	v_cmpx_ne_u64_e64 v[20:21], v[8:9]
	s_xor_b32 s0, exec_lo, s0
	s_cbranch_execnz .LBB31_6092
.LBB31_5742:
	s_or_saveexec_b32 s24, s0
	s_mov_b32 s6, 0
	s_mov_b32 s7, 0
                                        ; implicit-def: $vgpr42_vgpr43
                                        ; implicit-def: $sgpr0
	s_xor_b32 exec_lo, exec_lo, s24
	s_cbranch_execz .LBB31_6087
; %bb.5743:
	s_mov_b32 s25, s23
	s_mov_b32 s0, exec_lo
	v_cmpx_ne_u64_e64 v[18:19], v[12:13]
	s_xor_b32 s0, exec_lo, s0
	s_cbranch_execnz .LBB31_6094
; %bb.5744:
	s_or_saveexec_b32 s26, s0
                                        ; implicit-def: $vgpr42_vgpr43
                                        ; implicit-def: $sgpr0
	s_delay_alu instid0(SALU_CYCLE_1)
	s_xor_b32 exec_lo, exec_lo, s26
	s_cbranch_execz .LBB31_6086
.LBB31_5745:
	v_sub_nc_u64_e32 v[10:11], v[14:15], v[16:17]
	s_delay_alu instid0(VALU_DEP_1) | instskip(SKIP_3) | instid1(SALU_CYCLE_1)
	v_cmp_gt_i64_e32 vcc_lo, v[8:9], v[10:11]
	v_cmp_lt_i64_e64 s0, s[18:19], v[10:11]
	s_mov_b32 s18, s25
	s_or_b32 s0, vcc_lo, s0
	s_and_saveexec_b32 s6, s0
	s_delay_alu instid0(SALU_CYCLE_1)
	s_xor_b32 s0, exec_lo, s6
	s_cbranch_execnz .LBB31_6096
; %bb.5746:
	s_or_saveexec_b32 s19, s0
	s_mov_b32 s6, 0
                                        ; implicit-def: $vgpr42_vgpr43
                                        ; implicit-def: $sgpr0
	s_xor_b32 exec_lo, exec_lo, s19
	s_cbranch_execz .LBB31_6085
.LBB31_5747:
	v_mov_b64_e32 v[8:9], 0
	s_and_saveexec_b32 s27, s46
	s_cbranch_execz .LBB31_5760
; %bb.5748:
	v_mul_u64_e32 v[12:13], v[22:23], v[12:13]
	s_mov_b32 s9, 0
	v_mov_b64_e32 v[8:9], 0
	s_lshl_b64 s[10:11], s[8:9], 3
	v_mov_b32_e32 v10, 0
	s_add_nc_u64 s[10:11], s[2:3], s[10:11]
	s_mov_b64 s[6:7], 0xffffffff
	s_add_nc_u64 s[10:11], s[10:11], 0x298
	s_branch .LBB31_5756
.LBB31_5749:
	s_mov_b32 s6, 0
	s_mov_b32 s7, 0
                                        ; implicit-def: $vgpr42_vgpr43
                                        ; implicit-def: $sgpr0
.LBB31_5750:
	s_and_not1_b32 s1, s1, exec_lo
	s_and_b32 s2, s23, exec_lo
	s_and_b32 s24, s7, exec_lo
	;; [unrolled: 1-line block ×3, first 2 shown]
	s_or_b32 s1, s1, s2
.LBB31_5751:
	s_wait_xcnt 0x0
	s_or_b32 exec_lo, exec_lo, s22
	s_delay_alu instid0(SALU_CYCLE_1)
	s_and_not1_b32 s2, s63, exec_lo
	s_and_b32 s3, s1, exec_lo
	s_and_b32 s22, s24, exec_lo
	;; [unrolled: 1-line block ×3, first 2 shown]
	s_or_b32 s63, s2, s3
.LBB31_5752:
	s_or_b32 exec_lo, exec_lo, s64
	s_delay_alu instid0(SALU_CYCLE_1)
	s_and_not1_b32 s2, s61, exec_lo
	s_and_b32 s3, s63, exec_lo
	s_and_b32 s9, s22, exec_lo
	;; [unrolled: 1-line block ×3, first 2 shown]
	s_or_b32 s61, s2, s3
.LBB31_5753:
	s_or_b32 exec_lo, exec_lo, s62
	s_delay_alu instid0(SALU_CYCLE_1)
	s_and_not1_b32 s2, s54, exec_lo
	s_and_b32 s3, s61, exec_lo
	s_and_b32 s9, s9, exec_lo
	;; [unrolled: 1-line block ×3, first 2 shown]
	s_or_b32 s54, s2, s3
.LBB31_5754:
	s_or_b32 exec_lo, exec_lo, s60
	s_branch .LBB31_5084
.LBB31_5755:                            ;   in Loop: Header=BB31_5756 Depth=1
	s_or_b32 exec_lo, exec_lo, s0
	s_delay_alu instid0(VALU_DEP_1)
	v_mul_u64_e32 v[20:21], s[12:13], v[18:19]
	s_load_b64 s[12:13], s[10:11], 0x40
	s_add_co_i32 s44, s44, -1
	s_wait_xcnt 0x0
	s_add_nc_u64 s[10:11], s[10:11], -8
	s_cmp_eq_u32 s44, 0
	s_delay_alu instid0(VALU_DEP_1) | instskip(SKIP_1) | instid1(VALU_DEP_1)
	v_sub_nc_u64_e32 v[12:13], v[12:13], v[20:21]
	s_wait_kmcnt 0x0
	v_mad_nc_u64_u32 v[8:9], v12, s12, v[8:9]
	s_delay_alu instid0(VALU_DEP_1) | instskip(NEXT) | instid1(VALU_DEP_1)
	v_mad_u32 v1, v13, s12, v9
	v_mad_u32 v9, v12, s13, v1
	v_mov_b64_e32 v[12:13], v[18:19]
	s_cbranch_scc1 .LBB31_5760
.LBB31_5756:                            ; =>This Inner Loop Header: Depth=1
	s_load_b64 s[12:13], s[10:11], 0x0
                                        ; implicit-def: $vgpr18_vgpr19
	s_mov_b32 s0, exec_lo
	s_wait_kmcnt 0x0
	s_delay_alu instid0(VALU_DEP_1) | instskip(NEXT) | instid1(VALU_DEP_1)
	v_or_b32_e32 v11, s13, v13
	v_cmpx_ne_u64_e32 0, v[10:11]
	s_xor_b32 s28, exec_lo, s0
	s_cbranch_execz .LBB31_5758
; %bb.5757:                             ;   in Loop: Header=BB31_5756 Depth=1
	s_ashr_i32 s14, s13, 31
	v_dual_mov_b32 v23, v10 :: v_dual_ashrrev_i32 v18, 31, v13
	s_mov_b32 s15, s14
	v_mov_b32_e32 v31, v10
	s_add_nc_u64 s[16:17], s[12:13], s[14:15]
	s_delay_alu instid0(VALU_DEP_2) | instskip(SKIP_1) | instid1(SALU_CYCLE_1)
	v_mov_b32_e32 v19, v18
	s_xor_b64 s[16:17], s[16:17], s[14:15]
	s_cvt_f32_u32 s0, s16
	s_cvt_f32_u32 s8, s17
	s_sub_nc_u64 s[56:57], 0, s[16:17]
	v_add_nc_u64_e32 v[20:21], v[12:13], v[18:19]
	v_mov_b32_e32 v27, v10
	s_fmamk_f32 s0, s8, 0x4f800000, s0
	s_delay_alu instid0(SALU_CYCLE_3) | instskip(NEXT) | instid1(VALU_DEP_2)
	v_s_rcp_f32 s0, s0
	v_xor_b32_e32 v22, v20, v18
	s_delay_alu instid0(VALU_DEP_3) | instskip(NEXT) | instid1(TRANS32_DEP_1)
	v_xor_b32_e32 v26, v21, v18
	s_mul_f32 s0, s0, 0x5f7ffffc
	s_delay_alu instid0(SALU_CYCLE_3) | instskip(NEXT) | instid1(SALU_CYCLE_3)
	s_mul_f32 s8, s0, 0x2f800000
	s_trunc_f32 s8, s8
	s_delay_alu instid0(SALU_CYCLE_3) | instskip(SKIP_1) | instid1(SALU_CYCLE_2)
	s_fmamk_f32 s0, s8, 0xcf800000, s0
	s_cvt_u32_f32 s31, s8
	s_cvt_u32_f32 s30, s0
	s_delay_alu instid0(SALU_CYCLE_3) | instskip(NEXT) | instid1(SALU_CYCLE_1)
	s_mul_u64 s[58:59], s[56:57], s[30:31]
	s_mul_hi_u32 s67, s30, s59
	s_mul_i32 s66, s30, s59
	s_mul_hi_u32 s8, s30, s58
	s_mul_i32 s15, s31, s58
	s_add_nc_u64 s[66:67], s[8:9], s[66:67]
	s_mul_hi_u32 s0, s31, s58
	s_mul_hi_u32 s29, s31, s59
	s_add_co_u32 s8, s66, s15
	s_add_co_ci_u32 s8, s67, s0
	s_mul_i32 s58, s31, s59
	s_add_co_ci_u32 s59, s29, 0
	s_delay_alu instid0(SALU_CYCLE_1) | instskip(NEXT) | instid1(SALU_CYCLE_1)
	s_add_nc_u64 s[58:59], s[8:9], s[58:59]
	s_add_co_u32 s30, s30, s58
	s_cselect_b32 s0, -1, 0
	s_delay_alu instid0(SALU_CYCLE_1) | instskip(SKIP_1) | instid1(SALU_CYCLE_1)
	s_cmp_lg_u32 s0, 0
	s_add_co_ci_u32 s31, s31, s59
	s_mul_u64 s[56:57], s[56:57], s[30:31]
	s_delay_alu instid0(SALU_CYCLE_1)
	s_mul_hi_u32 s59, s30, s57
	s_mul_i32 s58, s30, s57
	s_mul_hi_u32 s8, s30, s56
	s_mul_i32 s15, s31, s56
	s_add_nc_u64 s[58:59], s[8:9], s[58:59]
	s_mul_hi_u32 s0, s31, s56
	s_mul_hi_u32 s29, s31, s57
	s_add_co_u32 s8, s58, s15
	s_add_co_ci_u32 s8, s59, s0
	s_mul_i32 s56, s31, s57
	s_add_co_ci_u32 s57, s29, 0
	s_delay_alu instid0(SALU_CYCLE_1) | instskip(NEXT) | instid1(SALU_CYCLE_1)
	s_add_nc_u64 s[56:57], s[8:9], s[56:57]
	s_add_co_u32 s0, s30, s56
	s_cselect_b32 s8, -1, 0
	v_mul_hi_u32 v30, v22, s0
	s_cmp_lg_u32 s8, 0
	s_add_co_ci_u32 s8, s31, s57
	s_and_b64 s[30:31], s[0:1], s[6:7]
	v_mul_u64_e32 v[24:25], s[8:9], v[22:23]
	v_mul_u64_e32 v[20:21], s[30:31], v[26:27]
	;; [unrolled: 1-line block ×3, first 2 shown]
	s_delay_alu instid0(VALU_DEP_3) | instskip(NEXT) | instid1(VALU_DEP_1)
	v_add_nc_u64_e32 v[24:25], v[30:31], v[24:25]
	v_add_co_u32 v1, vcc_lo, v24, v20
	s_delay_alu instid0(VALU_DEP_2) | instskip(NEXT) | instid1(VALU_DEP_4)
	v_add_co_ci_u32_e32 v30, vcc_lo, v25, v21, vcc_lo
	v_add_co_ci_u32_e32 v29, vcc_lo, 0, v29, vcc_lo
	s_delay_alu instid0(VALU_DEP_1) | instskip(NEXT) | instid1(VALU_DEP_1)
	v_add_nc_u64_e32 v[20:21], v[30:31], v[28:29]
	v_mul_u64_e32 v[24:25], s[16:17], v[20:21]
	s_delay_alu instid0(VALU_DEP_1) | instskip(NEXT) | instid1(VALU_DEP_2)
	v_sub_nc_u32_e32 v1, v26, v25
	v_sub_co_u32 v3, vcc_lo, v22, v24
	s_delay_alu instid0(VALU_DEP_1) | instskip(NEXT) | instid1(VALU_DEP_3)
	v_sub_co_ci_u32_e64 v7, null, v26, v25, vcc_lo
	v_subrev_co_ci_u32_e64 v1, null, s17, v1, vcc_lo
	s_delay_alu instid0(VALU_DEP_3) | instskip(SKIP_1) | instid1(VALU_DEP_3)
	v_sub_co_u32 v5, s0, v3, s16
	v_add_nc_u64_e32 v[22:23], 2, v[20:21]
	v_subrev_co_ci_u32_e64 v1, null, 0, v1, s0
	s_delay_alu instid0(VALU_DEP_3) | instskip(SKIP_2) | instid1(VALU_DEP_4)
	v_cmp_le_u32_e32 vcc_lo, s16, v5
	v_add_nc_u64_e32 v[24:25], 1, v[20:21]
	v_cndmask_b32_e64 v5, 0, -1, vcc_lo
	v_cmp_le_u32_e32 vcc_lo, s17, v1
	v_cndmask_b32_e64 v11, 0, -1, vcc_lo
	v_cmp_le_u32_e32 vcc_lo, s16, v3
	;; [unrolled: 2-line block ×3, first 2 shown]
	v_cndmask_b32_e64 v19, 0, -1, vcc_lo
	v_cmp_eq_u32_e32 vcc_lo, s17, v1
	v_cndmask_b32_e32 v1, v11, v5, vcc_lo
	v_cmp_eq_u32_e32 vcc_lo, s17, v7
	s_delay_alu instid0(VALU_DEP_4) | instskip(NEXT) | instid1(VALU_DEP_3)
	v_cndmask_b32_e32 v3, v19, v3, vcc_lo
	v_cmp_ne_u32_e32 vcc_lo, 0, v1
	s_delay_alu instid0(VALU_DEP_2) | instskip(SKIP_1) | instid1(VALU_DEP_1)
	v_cmp_ne_u32_e64 s0, 0, v3
	v_dual_cndmask_b32 v1, v25, v23, vcc_lo :: v_dual_cndmask_b32 v3, v24, v22, vcc_lo
	v_dual_cndmask_b32 v1, v21, v1, s0 :: v_dual_bitop2_b32 v18, s14, v18 bitop3:0x14
	s_delay_alu instid0(VALU_DEP_1) | instskip(NEXT) | instid1(VALU_DEP_2)
	v_dual_cndmask_b32 v3, v20, v3, s0 :: v_dual_mov_b32 v19, v18
	v_xor_b32_e32 v21, v1, v18
	s_delay_alu instid0(VALU_DEP_2) | instskip(NEXT) | instid1(VALU_DEP_1)
	v_xor_b32_e32 v20, v3, v18
	v_sub_nc_u64_e32 v[18:19], v[20:21], v[18:19]
.LBB31_5758:                            ;   in Loop: Header=BB31_5756 Depth=1
	s_and_not1_saveexec_b32 s0, s28
	s_cbranch_execz .LBB31_5755
; %bb.5759:                             ;   in Loop: Header=BB31_5756 Depth=1
	v_cvt_f32_u32_e32 v1, s12
	s_sub_co_i32 s8, 0, s12
	v_mov_b32_e32 v19, v10
	s_delay_alu instid0(VALU_DEP_2) | instskip(SKIP_1) | instid1(TRANS32_DEP_1)
	v_rcp_iflag_f32_e32 v1, v1
	v_nop
	v_mul_f32_e32 v1, 0x4f7ffffe, v1
	s_delay_alu instid0(VALU_DEP_1) | instskip(NEXT) | instid1(VALU_DEP_1)
	v_cvt_u32_f32_e32 v1, v1
	v_mul_lo_u32 v3, s8, v1
	s_delay_alu instid0(VALU_DEP_1) | instskip(NEXT) | instid1(VALU_DEP_1)
	v_mul_hi_u32 v3, v1, v3
	v_add_nc_u32_e32 v1, v1, v3
	s_delay_alu instid0(VALU_DEP_1) | instskip(NEXT) | instid1(VALU_DEP_1)
	v_mul_hi_u32 v1, v12, v1
	v_mul_lo_u32 v3, v1, s12
	s_delay_alu instid0(VALU_DEP_1) | instskip(NEXT) | instid1(VALU_DEP_1)
	v_sub_nc_u32_e32 v3, v12, v3
	v_subrev_nc_u32_e32 v7, s12, v3
	v_cmp_le_u32_e32 vcc_lo, s12, v3
	s_delay_alu instid0(VALU_DEP_2) | instskip(NEXT) | instid1(VALU_DEP_1)
	v_dual_add_nc_u32 v5, 1, v1 :: v_dual_cndmask_b32 v3, v3, v7, vcc_lo
	v_cndmask_b32_e32 v1, v1, v5, vcc_lo
	s_delay_alu instid0(VALU_DEP_2) | instskip(NEXT) | instid1(VALU_DEP_2)
	v_cmp_le_u32_e32 vcc_lo, s12, v3
	v_add_nc_u32_e32 v5, 1, v1
	s_delay_alu instid0(VALU_DEP_1)
	v_cndmask_b32_e32 v18, v1, v5, vcc_lo
	s_branch .LBB31_5755
.LBB31_5760:
	s_or_b32 exec_lo, exec_lo, s27
	s_mov_b32 s10, -1
	s_mov_b32 s6, s18
	s_mov_b32 s0, exec_lo
	v_cmpx_gt_i64_e64 v[14:15], v[16:17]
	s_cbranch_execz .LBB31_5767
; %bb.5761:
	s_delay_alu instid0(VALU_DEP_2) | instskip(SKIP_2) | instid1(VALU_DEP_1)
	v_lshlrev_b64_e32 v[8:9], 3, v[8:9]
	s_mov_b32 s7, 0
	s_xor_b32 s8, s45, -1
                                        ; implicit-def: $sgpr6
                                        ; implicit-def: $sgpr10
                                        ; implicit-def: $sgpr9
	v_lshl_add_u64 v[10:11], v[16:17], 3, v[8:9]
	s_wait_kmcnt 0x0
	v_add_nc_u64_e32 v[12:13], s[20:21], v[8:9]
	s_delay_alu instid0(VALU_DEP_2) | instskip(NEXT) | instid1(VALU_DEP_1)
	v_add_nc_u64_e32 v[10:11], s[20:21], v[10:11]
	v_add_nc_u64_e32 v[8:9], 8, v[10:11]
	s_delay_alu instid0(VALU_DEP_3)
	v_lshl_add_u64 v[10:11], v[14:15], 3, v[12:13]
	s_branch .LBB31_5763
.LBB31_5762:                            ;   in Loop: Header=BB31_5763 Depth=1
	s_or_b32 exec_lo, exec_lo, s11
	s_xor_b32 s11, s9, -1
	s_and_b32 s12, exec_lo, s10
	s_delay_alu instid0(SALU_CYCLE_1) | instskip(SKIP_2) | instid1(SALU_CYCLE_1)
	s_or_b32 s7, s12, s7
	s_and_not1_b32 s6, s6, exec_lo
	s_and_b32 s11, s11, exec_lo
	s_or_b32 s6, s6, s11
	s_and_not1_b32 exec_lo, exec_lo, s7
	s_cbranch_execz .LBB31_5765
.LBB31_5763:                            ; =>This Inner Loop Header: Depth=1
	s_or_b32 s9, s9, exec_lo
	s_or_b32 s10, s10, exec_lo
	s_mov_b32 s11, exec_lo
	s_delay_alu instid0(VALU_DEP_2)
	v_cmpx_lt_u64_e64 v[8:9], v[10:11]
	s_cbranch_execz .LBB31_5762
; %bb.5764:                             ;   in Loop: Header=BB31_5763 Depth=1
	global_load_b128 v[12:15], v[8:9], off offset:-8
	s_wait_xcnt 0x0
	v_add_nc_u64_e32 v[8:9], 8, v[8:9]
	s_and_not1_b32 s10, s10, exec_lo
	s_and_not1_b32 s9, s9, exec_lo
	s_wait_loadcnt 0x0
	v_cmp_ge_i64_e32 vcc_lo, v[12:13], v[14:15]
	s_or_b32 s12, s8, vcc_lo
	s_delay_alu instid0(SALU_CYCLE_1) | instskip(NEXT) | instid1(SALU_CYCLE_1)
	s_and_b32 s12, s12, exec_lo
	s_or_b32 s10, s10, s12
	s_branch .LBB31_5762
.LBB31_5765:
	s_or_b32 exec_lo, exec_lo, s7
	s_mov_b32 s7, -1
	s_mov_b32 s8, s18
	s_and_saveexec_b32 s9, s6
	s_delay_alu instid0(SALU_CYCLE_1)
	s_xor_b32 s6, exec_lo, s9
	s_cbranch_execnz .LBB31_6089
.LBB31_5766:
	s_or_b32 exec_lo, exec_lo, s6
	s_delay_alu instid0(SALU_CYCLE_1)
	s_and_not1_b32 s6, s18, exec_lo
	s_and_b32 s8, s8, exec_lo
	s_or_not1_b32 s10, s7, exec_lo
	s_or_b32 s6, s6, s8
.LBB31_5767:
	s_or_b32 exec_lo, exec_lo, s0
	s_mov_b32 s8, 0
	s_mov_b32 s9, 0
                                        ; implicit-def: $vgpr42_vgpr43
                                        ; implicit-def: $sgpr0
	s_and_saveexec_b32 s7, s10
	s_cbranch_execz .LBB31_6084
; %bb.5768:
	s_load_b32 s0, s[2:3], 0x320
	v_mov_b32_e32 v7, 0
	s_delay_alu instid0(VALU_DEP_1) | instskip(SKIP_2) | instid1(SALU_CYCLE_1)
	v_add_nc_u64_e32 v[6:7], s[4:5], v[6:7]
	s_wait_kmcnt 0x0
	s_and_b32 s0, s0, 0xff
	s_cmp_lt_i32 s0, 11
	s_cbranch_scc1 .LBB31_5817
; %bb.5769:
	s_and_b32 s2, 0xffff, s0
	s_mov_b32 s10, -1
	s_cmp_gt_i32 s2, 25
	s_mov_b32 s3, 0
	s_cbranch_scc0 .LBB31_5794
; %bb.5770:
	s_cmp_gt_i32 s2, 28
	s_cbranch_scc0 .LBB31_5783
; %bb.5771:
	s_cmp_gt_i32 s2, 43
	;; [unrolled: 3-line block ×3, first 2 shown]
	s_cbranch_scc0 .LBB31_5775
; %bb.5773:
	s_mov_b32 s3, -1
	s_mov_b32 s10, 0
	s_cmp_eq_u32 s2, 46
	s_cbranch_scc0 .LBB31_5775
; %bb.5774:
	v_mov_b32_e32 v1, 0
	s_mov_b32 s3, 0
	s_mov_b32 s8, -1
	global_store_b32 v[6:7], v1, off
.LBB31_5775:
	s_and_b32 vcc_lo, exec_lo, s10
	s_cbranch_vccz .LBB31_5778
; %bb.5776:
	s_cmp_eq_u32 s2, 44
	s_mov_b32 s3, -1
	s_cbranch_scc0 .LBB31_5778
; %bb.5777:
	s_wait_xcnt 0x0
	v_mov_b32_e32 v1, 0
	s_mov_b32 s3, 0
	s_mov_b32 s8, -1
	global_store_b8 v[6:7], v1, off
.LBB31_5778:
	s_mov_b32 s10, 0
.LBB31_5779:
	s_delay_alu instid0(SALU_CYCLE_1)
	s_and_b32 vcc_lo, exec_lo, s10
	s_cbranch_vccz .LBB31_5782
; %bb.5780:
	s_cmp_eq_u32 s2, 29
	s_mov_b32 s3, -1
	s_cbranch_scc0 .LBB31_5782
; %bb.5781:
	v_mov_b64_e32 v[8:9], 0
	s_mov_b32 s3, 0
	s_mov_b32 s8, -1
	global_store_b64 v[6:7], v[8:9], off
.LBB31_5782:
	s_mov_b32 s10, 0
.LBB31_5783:
	s_delay_alu instid0(SALU_CYCLE_1)
	s_and_b32 vcc_lo, exec_lo, s10
	s_cbranch_vccz .LBB31_5793
; %bb.5784:
	s_cmp_lt_i32 s2, 27
	s_mov_b32 s8, -1
	s_cbranch_scc1 .LBB31_5790
; %bb.5785:
	s_cmp_gt_i32 s2, 27
	s_cbranch_scc0 .LBB31_5787
; %bb.5786:
	s_wait_xcnt 0x0
	v_mov_b32_e32 v1, 0
	s_mov_b32 s8, 0
	global_store_b32 v[6:7], v1, off
.LBB31_5787:
	s_and_not1_b32 vcc_lo, exec_lo, s8
	s_cbranch_vccnz .LBB31_5789
; %bb.5788:
	s_wait_xcnt 0x0
	v_mov_b32_e32 v1, 0
	global_store_b16 v[6:7], v1, off
.LBB31_5789:
	s_mov_b32 s8, 0
.LBB31_5790:
	s_delay_alu instid0(SALU_CYCLE_1)
	s_and_not1_b32 vcc_lo, exec_lo, s8
	s_cbranch_vccnz .LBB31_5792
; %bb.5791:
	s_wait_xcnt 0x0
	v_mov_b32_e32 v1, 0
	global_store_b8 v[6:7], v1, off
.LBB31_5792:
	s_mov_b32 s8, -1
.LBB31_5793:
	s_mov_b32 s10, 0
.LBB31_5794:
	s_delay_alu instid0(SALU_CYCLE_1)
	s_and_b32 vcc_lo, exec_lo, s10
	s_cbranch_vccz .LBB31_5812
; %bb.5795:
	s_cmp_gt_i32 s2, 22
	s_mov_b32 s9, -1
	s_cbranch_scc0 .LBB31_5805
; %bb.5796:
	s_cmp_lt_i32 s2, 24
	s_mov_b32 s8, -1
	s_cbranch_scc1 .LBB31_5802
; %bb.5797:
	s_cmp_gt_i32 s2, 24
	s_cbranch_scc0 .LBB31_5799
; %bb.5798:
	s_wait_xcnt 0x0
	v_mov_b32_e32 v1, 0
	s_mov_b32 s8, 0
	global_store_b8 v[6:7], v1, off
.LBB31_5799:
	s_and_not1_b32 vcc_lo, exec_lo, s8
	s_cbranch_vccnz .LBB31_5801
; %bb.5800:
	s_wait_xcnt 0x0
	v_mov_b32_e32 v1, 0
	global_store_b8 v[6:7], v1, off
.LBB31_5801:
	s_mov_b32 s8, 0
.LBB31_5802:
	s_delay_alu instid0(SALU_CYCLE_1)
	s_and_not1_b32 vcc_lo, exec_lo, s8
	s_cbranch_vccnz .LBB31_5804
; %bb.5803:
	s_wait_xcnt 0x0
	v_mov_b32_e32 v1, 0
	global_store_b8 v[6:7], v1, off
.LBB31_5804:
	s_mov_b32 s9, 0
	s_mov_b32 s8, -1
.LBB31_5805:
	s_and_not1_b32 vcc_lo, exec_lo, s9
	s_mov_b32 s9, 0
	s_cbranch_vccnz .LBB31_5812
; %bb.5806:
	s_cmp_gt_i32 s2, 14
	s_mov_b32 s9, -1
	s_cbranch_scc0 .LBB31_5810
; %bb.5807:
	s_cmp_eq_u32 s2, 15
	s_mov_b32 s3, -1
	s_cbranch_scc0 .LBB31_5809
; %bb.5808:
	s_wait_xcnt 0x0
	v_mov_b32_e32 v1, 0
	s_mov_b32 s3, 0
	s_mov_b32 s8, -1
	global_store_b16 v[6:7], v1, off
.LBB31_5809:
	s_mov_b32 s9, 0
.LBB31_5810:
	s_delay_alu instid0(SALU_CYCLE_1)
	s_and_b32 vcc_lo, exec_lo, s9
	s_mov_b32 s9, 0
	s_cbranch_vccz .LBB31_5812
; %bb.5811:
	s_cmp_lg_u32 s2, 11
	s_mov_b32 s9, -1
	s_cselect_b32 s3, -1, 0
.LBB31_5812:
	s_delay_alu instid0(SALU_CYCLE_1)
	s_and_b32 vcc_lo, exec_lo, s3
	s_mov_b32 s2, s6
	s_cbranch_vccnz .LBB31_6090
; %bb.5813:
	s_and_not1_b32 vcc_lo, exec_lo, s9
	s_cbranch_vccnz .LBB31_5815
.LBB31_5814:
	s_wait_xcnt 0x0
	v_mov_b32_e32 v1, 0
	s_mov_b32 s8, -1
	global_store_b8 v[6:7], v1, off
.LBB31_5815:
	s_mov_b32 s3, 0
	s_branch .LBB31_5818
.LBB31_5816:
	s_or_b32 s23, s23, exec_lo
	s_trap 2
	s_cbranch_execz .LBB31_5689
	s_branch .LBB31_5690
.LBB31_5817:
	s_mov_b32 s3, -1
	s_mov_b32 s2, s6
.LBB31_5818:
	s_and_b32 vcc_lo, exec_lo, s3
	s_cbranch_vccz .LBB31_5857
; %bb.5819:
	s_and_b32 s3, 0xffff, s0
	s_mov_b32 s8, -1
	s_cmp_lt_i32 s3, 5
	s_cbranch_scc1 .LBB31_5840
; %bb.5820:
	s_cmp_lt_i32 s3, 8
	s_cbranch_scc1 .LBB31_5830
; %bb.5821:
	;; [unrolled: 3-line block ×3, first 2 shown]
	s_cmp_gt_i32 s3, 9
	s_cbranch_scc0 .LBB31_5824
; %bb.5823:
	s_wait_xcnt 0x0
	v_mov_b32_e32 v8, 0
	s_mov_b32 s8, 0
	s_delay_alu instid0(VALU_DEP_1)
	v_dual_mov_b32 v9, v8 :: v_dual_mov_b32 v10, v8
	v_mov_b32_e32 v11, v8
	global_store_b128 v[6:7], v[8:11], off
.LBB31_5824:
	s_and_not1_b32 vcc_lo, exec_lo, s8
	s_cbranch_vccnz .LBB31_5826
; %bb.5825:
	s_wait_xcnt 0x0
	v_mov_b64_e32 v[8:9], 0
	global_store_b64 v[6:7], v[8:9], off
.LBB31_5826:
	s_mov_b32 s8, 0
.LBB31_5827:
	s_delay_alu instid0(SALU_CYCLE_1)
	s_and_not1_b32 vcc_lo, exec_lo, s8
	s_cbranch_vccnz .LBB31_5829
; %bb.5828:
	s_wait_xcnt 0x0
	v_mov_b32_e32 v1, 0
	global_store_b32 v[6:7], v1, off
.LBB31_5829:
	s_mov_b32 s8, 0
.LBB31_5830:
	s_delay_alu instid0(SALU_CYCLE_1)
	s_and_not1_b32 vcc_lo, exec_lo, s8
	s_cbranch_vccnz .LBB31_5839
; %bb.5831:
	s_cmp_lt_i32 s3, 6
	s_mov_b32 s8, -1
	s_cbranch_scc1 .LBB31_5837
; %bb.5832:
	s_cmp_gt_i32 s3, 6
	s_cbranch_scc0 .LBB31_5834
; %bb.5833:
	s_wait_xcnt 0x0
	v_mov_b64_e32 v[8:9], 0
	s_mov_b32 s8, 0
	global_store_b64 v[6:7], v[8:9], off
.LBB31_5834:
	s_and_not1_b32 vcc_lo, exec_lo, s8
	s_cbranch_vccnz .LBB31_5836
; %bb.5835:
	s_wait_xcnt 0x0
	v_mov_b32_e32 v1, 0
	global_store_b32 v[6:7], v1, off
.LBB31_5836:
	s_mov_b32 s8, 0
.LBB31_5837:
	s_delay_alu instid0(SALU_CYCLE_1)
	s_and_not1_b32 vcc_lo, exec_lo, s8
	s_cbranch_vccnz .LBB31_5839
; %bb.5838:
	s_wait_xcnt 0x0
	v_mov_b32_e32 v1, 0
	global_store_b16 v[6:7], v1, off
.LBB31_5839:
	s_mov_b32 s8, 0
.LBB31_5840:
	s_delay_alu instid0(SALU_CYCLE_1)
	s_and_not1_b32 vcc_lo, exec_lo, s8
	s_cbranch_vccnz .LBB31_5856
; %bb.5841:
	s_cmp_lt_i32 s3, 2
	s_mov_b32 s8, -1
	s_cbranch_scc1 .LBB31_5851
; %bb.5842:
	s_cmp_lt_i32 s3, 3
	s_cbranch_scc1 .LBB31_5848
; %bb.5843:
	s_cmp_gt_i32 s3, 3
	s_cbranch_scc0 .LBB31_5845
; %bb.5844:
	s_wait_xcnt 0x0
	v_mov_b64_e32 v[8:9], 0
	s_mov_b32 s8, 0
	global_store_b64 v[6:7], v[8:9], off
.LBB31_5845:
	s_and_not1_b32 vcc_lo, exec_lo, s8
	s_cbranch_vccnz .LBB31_5847
; %bb.5846:
	s_wait_xcnt 0x0
	v_mov_b32_e32 v1, 0
	global_store_b32 v[6:7], v1, off
.LBB31_5847:
	s_mov_b32 s8, 0
.LBB31_5848:
	s_delay_alu instid0(SALU_CYCLE_1)
	s_and_not1_b32 vcc_lo, exec_lo, s8
	s_cbranch_vccnz .LBB31_5850
; %bb.5849:
	s_wait_xcnt 0x0
	v_mov_b32_e32 v1, 0
	global_store_b16 v[6:7], v1, off
.LBB31_5850:
	s_mov_b32 s8, 0
.LBB31_5851:
	s_delay_alu instid0(SALU_CYCLE_1)
	s_and_not1_b32 vcc_lo, exec_lo, s8
	s_cbranch_vccnz .LBB31_5856
; %bb.5852:
	s_cmp_gt_i32 s3, 0
	s_mov_b32 s3, -1
	s_cbranch_scc0 .LBB31_5854
; %bb.5853:
	s_wait_xcnt 0x0
	v_mov_b32_e32 v1, 0
	s_mov_b32 s3, 0
	global_store_b8 v[6:7], v1, off
.LBB31_5854:
	s_and_not1_b32 vcc_lo, exec_lo, s3
	s_cbranch_vccnz .LBB31_5856
; %bb.5855:
	s_wait_xcnt 0x0
	v_mov_b32_e32 v1, 0
	global_store_b8 v[6:7], v1, off
.LBB31_5856:
	s_mov_b32 s8, -1
.LBB31_5857:
	s_delay_alu instid0(SALU_CYCLE_1)
	s_and_not1_b32 vcc_lo, exec_lo, s8
	s_cbranch_vccnz .LBB31_6082
; %bb.5858:
	v_mov_b32_e32 v5, 0
	s_and_b32 s3, 0xffff, s0
	s_delay_alu instid0(SALU_CYCLE_1) | instskip(NEXT) | instid1(VALU_DEP_1)
	s_cmp_lt_i32 s3, 11
	v_add_nc_u64_e32 v[4:5], s[4:5], v[4:5]
	s_cbranch_scc1 .LBB31_5906
; %bb.5859:
	s_mov_b32 s11, -1
	s_mov_b32 s10, 0
	s_cmp_gt_i32 s3, 25
	s_mov_b32 s9, 0
	s_mov_b32 s8, 0
	s_cbranch_scc0 .LBB31_5884
; %bb.5860:
	s_cmp_gt_i32 s3, 28
	s_cbranch_scc0 .LBB31_5873
; %bb.5861:
	s_cmp_gt_i32 s3, 43
	;; [unrolled: 3-line block ×3, first 2 shown]
	s_cbranch_scc0 .LBB31_5865
; %bb.5863:
	s_mov_b32 s8, -1
	s_mov_b32 s11, 0
	s_cmp_eq_u32 s3, 46
	s_cbranch_scc0 .LBB31_5865
; %bb.5864:
	s_wait_xcnt 0x0
	v_mov_b32_e32 v1, 0
	s_mov_b32 s8, 0
	s_mov_b32 s9, -1
	global_store_b32 v[4:5], v1, off
.LBB31_5865:
	s_and_b32 vcc_lo, exec_lo, s11
	s_cbranch_vccz .LBB31_5868
; %bb.5866:
	s_cmp_eq_u32 s3, 44
	s_mov_b32 s8, -1
	s_cbranch_scc0 .LBB31_5868
; %bb.5867:
	s_wait_xcnt 0x0
	v_mov_b32_e32 v1, 0
	s_mov_b32 s8, 0
	s_mov_b32 s9, -1
	global_store_b8 v[4:5], v1, off
.LBB31_5868:
	s_mov_b32 s11, 0
.LBB31_5869:
	s_delay_alu instid0(SALU_CYCLE_1)
	s_and_b32 vcc_lo, exec_lo, s11
	s_cbranch_vccz .LBB31_5872
; %bb.5870:
	s_cmp_eq_u32 s3, 29
	s_mov_b32 s8, -1
	s_cbranch_scc0 .LBB31_5872
; %bb.5871:
	s_wait_xcnt 0x0
	v_mov_b64_e32 v[6:7], 0
	s_mov_b32 s8, 0
	s_mov_b32 s9, -1
	global_store_b64 v[4:5], v[6:7], off
.LBB31_5872:
	s_mov_b32 s11, 0
.LBB31_5873:
	s_delay_alu instid0(SALU_CYCLE_1)
	s_and_b32 vcc_lo, exec_lo, s11
	s_cbranch_vccz .LBB31_5883
; %bb.5874:
	s_cmp_lt_i32 s3, 27
	s_mov_b32 s9, -1
	s_cbranch_scc1 .LBB31_5880
; %bb.5875:
	s_cmp_gt_i32 s3, 27
	s_cbranch_scc0 .LBB31_5877
; %bb.5876:
	s_wait_xcnt 0x0
	v_mov_b32_e32 v1, 0
	s_mov_b32 s9, 0
	global_store_b32 v[4:5], v1, off
.LBB31_5877:
	s_and_not1_b32 vcc_lo, exec_lo, s9
	s_cbranch_vccnz .LBB31_5879
; %bb.5878:
	s_wait_xcnt 0x0
	v_mov_b32_e32 v1, 0
	global_store_b16 v[4:5], v1, off
.LBB31_5879:
	s_mov_b32 s9, 0
.LBB31_5880:
	s_delay_alu instid0(SALU_CYCLE_1)
	s_and_not1_b32 vcc_lo, exec_lo, s9
	s_cbranch_vccnz .LBB31_5882
; %bb.5881:
	s_wait_xcnt 0x0
	v_mov_b32_e32 v1, 0
	global_store_b8 v[4:5], v1, off
.LBB31_5882:
	s_mov_b32 s9, -1
.LBB31_5883:
	s_mov_b32 s11, 0
.LBB31_5884:
	s_delay_alu instid0(SALU_CYCLE_1)
	s_and_b32 vcc_lo, exec_lo, s11
	s_cbranch_vccz .LBB31_5902
; %bb.5885:
	s_cmp_gt_i32 s3, 22
	s_mov_b32 s10, -1
	s_cbranch_scc0 .LBB31_5895
; %bb.5886:
	s_cmp_lt_i32 s3, 24
	s_mov_b32 s9, -1
	s_cbranch_scc1 .LBB31_5892
; %bb.5887:
	s_cmp_gt_i32 s3, 24
	s_cbranch_scc0 .LBB31_5889
; %bb.5888:
	s_wait_xcnt 0x0
	v_mov_b32_e32 v1, 0
	s_mov_b32 s9, 0
	global_store_b8 v[4:5], v1, off
.LBB31_5889:
	s_and_not1_b32 vcc_lo, exec_lo, s9
	s_cbranch_vccnz .LBB31_5891
; %bb.5890:
	s_wait_xcnt 0x0
	v_mov_b32_e32 v1, 0
	global_store_b8 v[4:5], v1, off
.LBB31_5891:
	s_mov_b32 s9, 0
.LBB31_5892:
	s_delay_alu instid0(SALU_CYCLE_1)
	s_and_not1_b32 vcc_lo, exec_lo, s9
	s_cbranch_vccnz .LBB31_5894
; %bb.5893:
	s_wait_xcnt 0x0
	v_mov_b32_e32 v1, 0
	global_store_b8 v[4:5], v1, off
.LBB31_5894:
	s_mov_b32 s10, 0
	s_mov_b32 s9, -1
.LBB31_5895:
	s_and_not1_b32 vcc_lo, exec_lo, s10
	s_mov_b32 s10, 0
	s_cbranch_vccnz .LBB31_5902
; %bb.5896:
	s_cmp_gt_i32 s3, 14
	s_mov_b32 s10, -1
	s_cbranch_scc0 .LBB31_5900
; %bb.5897:
	s_cmp_eq_u32 s3, 15
	s_mov_b32 s8, -1
	s_cbranch_scc0 .LBB31_5899
; %bb.5898:
	s_wait_xcnt 0x0
	v_mov_b32_e32 v1, 0
	s_mov_b32 s8, 0
	s_mov_b32 s9, -1
	global_store_b16 v[4:5], v1, off
.LBB31_5899:
	s_mov_b32 s10, 0
.LBB31_5900:
	s_delay_alu instid0(SALU_CYCLE_1)
	s_and_b32 vcc_lo, exec_lo, s10
	s_mov_b32 s10, 0
	s_cbranch_vccz .LBB31_5902
; %bb.5901:
	s_cmp_lg_u32 s3, 11
	s_mov_b32 s10, -1
	s_cselect_b32 s8, -1, 0
.LBB31_5902:
	s_delay_alu instid0(SALU_CYCLE_1)
	s_and_b32 vcc_lo, exec_lo, s8
	s_cbranch_vccnz .LBB31_6091
; %bb.5903:
	s_and_not1_b32 vcc_lo, exec_lo, s10
	s_cbranch_vccnz .LBB31_5905
.LBB31_5904:
	s_wait_xcnt 0x0
	v_mov_b32_e32 v1, 0
	s_mov_b32 s9, -1
	global_store_b8 v[4:5], v1, off
.LBB31_5905:
	s_mov_b32 s8, 0
	s_branch .LBB31_5907
.LBB31_5906:
	s_mov_b32 s8, -1
	s_mov_b32 s9, 0
.LBB31_5907:
	s_and_b32 vcc_lo, exec_lo, s8
	s_cbranch_vccz .LBB31_5946
; %bb.5908:
	s_cmp_lt_i32 s3, 5
	s_mov_b32 s8, -1
	s_cbranch_scc1 .LBB31_5929
; %bb.5909:
	s_cmp_lt_i32 s3, 8
	s_cbranch_scc1 .LBB31_5919
; %bb.5910:
	s_cmp_lt_i32 s3, 9
	s_cbranch_scc1 .LBB31_5916
; %bb.5911:
	s_cmp_gt_i32 s3, 9
	s_cbranch_scc0 .LBB31_5913
; %bb.5912:
	s_wait_xcnt 0x0
	v_mov_b32_e32 v6, 0
	s_mov_b32 s8, 0
	s_delay_alu instid0(VALU_DEP_1)
	v_dual_mov_b32 v7, v6 :: v_dual_mov_b32 v8, v6
	v_mov_b32_e32 v9, v6
	global_store_b128 v[4:5], v[6:9], off
.LBB31_5913:
	s_and_not1_b32 vcc_lo, exec_lo, s8
	s_cbranch_vccnz .LBB31_5915
; %bb.5914:
	s_wait_xcnt 0x0
	v_mov_b64_e32 v[6:7], 0
	global_store_b64 v[4:5], v[6:7], off
.LBB31_5915:
	s_mov_b32 s8, 0
.LBB31_5916:
	s_delay_alu instid0(SALU_CYCLE_1)
	s_and_not1_b32 vcc_lo, exec_lo, s8
	s_cbranch_vccnz .LBB31_5918
; %bb.5917:
	s_wait_xcnt 0x0
	v_mov_b32_e32 v1, 0
	global_store_b32 v[4:5], v1, off
.LBB31_5918:
	s_mov_b32 s8, 0
.LBB31_5919:
	s_delay_alu instid0(SALU_CYCLE_1)
	s_and_not1_b32 vcc_lo, exec_lo, s8
	s_cbranch_vccnz .LBB31_5928
; %bb.5920:
	s_cmp_lt_i32 s3, 6
	s_mov_b32 s8, -1
	s_cbranch_scc1 .LBB31_5926
; %bb.5921:
	s_cmp_gt_i32 s3, 6
	s_cbranch_scc0 .LBB31_5923
; %bb.5922:
	s_wait_xcnt 0x0
	v_mov_b64_e32 v[6:7], 0
	s_mov_b32 s8, 0
	global_store_b64 v[4:5], v[6:7], off
.LBB31_5923:
	s_and_not1_b32 vcc_lo, exec_lo, s8
	s_cbranch_vccnz .LBB31_5925
; %bb.5924:
	s_wait_xcnt 0x0
	v_mov_b32_e32 v1, 0
	global_store_b32 v[4:5], v1, off
.LBB31_5925:
	s_mov_b32 s8, 0
.LBB31_5926:
	s_delay_alu instid0(SALU_CYCLE_1)
	s_and_not1_b32 vcc_lo, exec_lo, s8
	s_cbranch_vccnz .LBB31_5928
; %bb.5927:
	s_wait_xcnt 0x0
	v_mov_b32_e32 v1, 0
	global_store_b16 v[4:5], v1, off
.LBB31_5928:
	s_mov_b32 s8, 0
.LBB31_5929:
	s_delay_alu instid0(SALU_CYCLE_1)
	s_and_not1_b32 vcc_lo, exec_lo, s8
	s_cbranch_vccnz .LBB31_5945
; %bb.5930:
	s_cmp_lt_i32 s3, 2
	s_mov_b32 s8, -1
	s_cbranch_scc1 .LBB31_5940
; %bb.5931:
	s_cmp_lt_i32 s3, 3
	s_cbranch_scc1 .LBB31_5937
; %bb.5932:
	s_cmp_gt_i32 s3, 3
	s_cbranch_scc0 .LBB31_5934
; %bb.5933:
	s_wait_xcnt 0x0
	v_mov_b64_e32 v[6:7], 0
	s_mov_b32 s8, 0
	global_store_b64 v[4:5], v[6:7], off
.LBB31_5934:
	s_and_not1_b32 vcc_lo, exec_lo, s8
	s_cbranch_vccnz .LBB31_5936
; %bb.5935:
	s_wait_xcnt 0x0
	v_mov_b32_e32 v1, 0
	global_store_b32 v[4:5], v1, off
.LBB31_5936:
	s_mov_b32 s8, 0
.LBB31_5937:
	s_delay_alu instid0(SALU_CYCLE_1)
	s_and_not1_b32 vcc_lo, exec_lo, s8
	s_cbranch_vccnz .LBB31_5939
; %bb.5938:
	s_wait_xcnt 0x0
	v_mov_b32_e32 v1, 0
	global_store_b16 v[4:5], v1, off
.LBB31_5939:
	s_mov_b32 s8, 0
.LBB31_5940:
	s_delay_alu instid0(SALU_CYCLE_1)
	s_and_not1_b32 vcc_lo, exec_lo, s8
	s_cbranch_vccnz .LBB31_5945
; %bb.5941:
	s_cmp_gt_i32 s3, 0
	s_mov_b32 s8, -1
	s_cbranch_scc0 .LBB31_5943
; %bb.5942:
	s_wait_xcnt 0x0
	v_mov_b32_e32 v1, 0
	s_mov_b32 s8, 0
	global_store_b8 v[4:5], v1, off
.LBB31_5943:
	s_and_not1_b32 vcc_lo, exec_lo, s8
	s_cbranch_vccnz .LBB31_5945
; %bb.5944:
	s_wait_xcnt 0x0
	v_mov_b32_e32 v1, 0
	global_store_b8 v[4:5], v1, off
.LBB31_5945:
	s_mov_b32 s9, -1
.LBB31_5946:
	s_delay_alu instid0(SALU_CYCLE_1)
	s_and_not1_b32 vcc_lo, exec_lo, s9
	s_cbranch_vccnz .LBB31_6082
; %bb.5947:
	v_mov_b32_e32 v3, 0
	s_cmp_lt_i32 s3, 11
	s_delay_alu instid0(VALU_DEP_1)
	v_add_nc_u64_e32 v[2:3], s[4:5], v[2:3]
	s_cbranch_scc1 .LBB31_5995
; %bb.5948:
	s_mov_b32 s11, -1
	s_mov_b32 s10, 0
	s_cmp_gt_i32 s3, 25
	s_mov_b32 s9, 0
	s_mov_b32 s8, 0
	s_cbranch_scc0 .LBB31_5973
; %bb.5949:
	s_cmp_gt_i32 s3, 28
	s_cbranch_scc0 .LBB31_5962
; %bb.5950:
	s_cmp_gt_i32 s3, 43
	;; [unrolled: 3-line block ×3, first 2 shown]
	s_cbranch_scc0 .LBB31_5954
; %bb.5952:
	s_mov_b32 s8, -1
	s_mov_b32 s11, 0
	s_cmp_eq_u32 s3, 46
	s_cbranch_scc0 .LBB31_5954
; %bb.5953:
	s_wait_xcnt 0x0
	v_mov_b32_e32 v1, 0
	s_mov_b32 s8, 0
	s_mov_b32 s9, -1
	global_store_b32 v[2:3], v1, off
.LBB31_5954:
	s_and_b32 vcc_lo, exec_lo, s11
	s_cbranch_vccz .LBB31_5957
; %bb.5955:
	s_cmp_eq_u32 s3, 44
	s_mov_b32 s8, -1
	s_cbranch_scc0 .LBB31_5957
; %bb.5956:
	s_wait_xcnt 0x0
	v_mov_b32_e32 v1, 0
	s_mov_b32 s8, 0
	s_mov_b32 s9, -1
	global_store_b8 v[2:3], v1, off
.LBB31_5957:
	s_mov_b32 s11, 0
.LBB31_5958:
	s_delay_alu instid0(SALU_CYCLE_1)
	s_and_b32 vcc_lo, exec_lo, s11
	s_cbranch_vccz .LBB31_5961
; %bb.5959:
	s_cmp_eq_u32 s3, 29
	s_mov_b32 s8, -1
	s_cbranch_scc0 .LBB31_5961
; %bb.5960:
	s_wait_xcnt 0x0
	v_mov_b64_e32 v[4:5], 0
	s_mov_b32 s8, 0
	s_mov_b32 s9, -1
	global_store_b64 v[2:3], v[4:5], off
.LBB31_5961:
	s_mov_b32 s11, 0
.LBB31_5962:
	s_delay_alu instid0(SALU_CYCLE_1)
	s_and_b32 vcc_lo, exec_lo, s11
	s_cbranch_vccz .LBB31_5972
; %bb.5963:
	s_cmp_lt_i32 s3, 27
	s_mov_b32 s9, -1
	s_cbranch_scc1 .LBB31_5969
; %bb.5964:
	s_cmp_gt_i32 s3, 27
	s_cbranch_scc0 .LBB31_5966
; %bb.5965:
	s_wait_xcnt 0x0
	v_mov_b32_e32 v1, 0
	s_mov_b32 s9, 0
	global_store_b32 v[2:3], v1, off
.LBB31_5966:
	s_and_not1_b32 vcc_lo, exec_lo, s9
	s_cbranch_vccnz .LBB31_5968
; %bb.5967:
	s_wait_xcnt 0x0
	v_mov_b32_e32 v1, 0
	global_store_b16 v[2:3], v1, off
.LBB31_5968:
	s_mov_b32 s9, 0
.LBB31_5969:
	s_delay_alu instid0(SALU_CYCLE_1)
	s_and_not1_b32 vcc_lo, exec_lo, s9
	s_cbranch_vccnz .LBB31_5971
; %bb.5970:
	s_wait_xcnt 0x0
	v_mov_b32_e32 v1, 0
	global_store_b8 v[2:3], v1, off
.LBB31_5971:
	s_mov_b32 s9, -1
.LBB31_5972:
	s_mov_b32 s11, 0
.LBB31_5973:
	s_delay_alu instid0(SALU_CYCLE_1)
	s_and_b32 vcc_lo, exec_lo, s11
	s_cbranch_vccz .LBB31_5991
; %bb.5974:
	s_cmp_gt_i32 s3, 22
	s_mov_b32 s10, -1
	s_cbranch_scc0 .LBB31_5984
; %bb.5975:
	s_cmp_lt_i32 s3, 24
	s_mov_b32 s9, -1
	s_cbranch_scc1 .LBB31_5981
; %bb.5976:
	s_cmp_gt_i32 s3, 24
	s_cbranch_scc0 .LBB31_5978
; %bb.5977:
	s_wait_xcnt 0x0
	v_mov_b32_e32 v1, 0
	s_mov_b32 s9, 0
	global_store_b8 v[2:3], v1, off
.LBB31_5978:
	s_and_not1_b32 vcc_lo, exec_lo, s9
	s_cbranch_vccnz .LBB31_5980
; %bb.5979:
	s_wait_xcnt 0x0
	v_mov_b32_e32 v1, 0
	global_store_b8 v[2:3], v1, off
.LBB31_5980:
	s_mov_b32 s9, 0
.LBB31_5981:
	s_delay_alu instid0(SALU_CYCLE_1)
	s_and_not1_b32 vcc_lo, exec_lo, s9
	s_cbranch_vccnz .LBB31_5983
; %bb.5982:
	s_wait_xcnt 0x0
	v_mov_b32_e32 v1, 0
	global_store_b8 v[2:3], v1, off
.LBB31_5983:
	s_mov_b32 s10, 0
	s_mov_b32 s9, -1
.LBB31_5984:
	s_and_not1_b32 vcc_lo, exec_lo, s10
	s_mov_b32 s10, 0
	s_cbranch_vccnz .LBB31_5991
; %bb.5985:
	s_cmp_gt_i32 s3, 14
	s_mov_b32 s10, -1
	s_cbranch_scc0 .LBB31_5989
; %bb.5986:
	s_cmp_eq_u32 s3, 15
	s_mov_b32 s8, -1
	s_cbranch_scc0 .LBB31_5988
; %bb.5987:
	s_wait_xcnt 0x0
	v_mov_b32_e32 v1, 0
	s_mov_b32 s8, 0
	s_mov_b32 s9, -1
	global_store_b16 v[2:3], v1, off
.LBB31_5988:
	s_mov_b32 s10, 0
.LBB31_5989:
	s_delay_alu instid0(SALU_CYCLE_1)
	s_and_b32 vcc_lo, exec_lo, s10
	s_mov_b32 s10, 0
	s_cbranch_vccz .LBB31_5991
; %bb.5990:
	s_cmp_lg_u32 s3, 11
	s_mov_b32 s10, -1
	s_cselect_b32 s8, -1, 0
.LBB31_5991:
	s_delay_alu instid0(SALU_CYCLE_1)
	s_and_b32 vcc_lo, exec_lo, s8
	s_cbranch_vccnz .LBB31_6093
; %bb.5992:
	s_and_not1_b32 vcc_lo, exec_lo, s10
	s_cbranch_vccnz .LBB31_5994
.LBB31_5993:
	s_wait_xcnt 0x0
	v_mov_b32_e32 v1, 0
	s_mov_b32 s9, -1
	global_store_b8 v[2:3], v1, off
.LBB31_5994:
	s_mov_b32 s8, 0
	s_branch .LBB31_5996
.LBB31_5995:
	s_mov_b32 s8, -1
	s_mov_b32 s9, 0
.LBB31_5996:
	s_and_b32 vcc_lo, exec_lo, s8
	s_cbranch_vccz .LBB31_6035
; %bb.5997:
	s_cmp_lt_i32 s3, 5
	s_mov_b32 s8, -1
	s_cbranch_scc1 .LBB31_6018
; %bb.5998:
	s_cmp_lt_i32 s3, 8
	s_cbranch_scc1 .LBB31_6008
; %bb.5999:
	s_cmp_lt_i32 s3, 9
	s_cbranch_scc1 .LBB31_6005
; %bb.6000:
	s_cmp_gt_i32 s3, 9
	s_cbranch_scc0 .LBB31_6002
; %bb.6001:
	s_wait_xcnt 0x0
	v_mov_b32_e32 v4, 0
	s_mov_b32 s8, 0
	s_delay_alu instid0(VALU_DEP_1)
	v_dual_mov_b32 v5, v4 :: v_dual_mov_b32 v6, v4
	v_mov_b32_e32 v7, v4
	global_store_b128 v[2:3], v[4:7], off
.LBB31_6002:
	s_and_not1_b32 vcc_lo, exec_lo, s8
	s_cbranch_vccnz .LBB31_6004
; %bb.6003:
	s_wait_xcnt 0x0
	v_mov_b64_e32 v[4:5], 0
	global_store_b64 v[2:3], v[4:5], off
.LBB31_6004:
	s_mov_b32 s8, 0
.LBB31_6005:
	s_delay_alu instid0(SALU_CYCLE_1)
	s_and_not1_b32 vcc_lo, exec_lo, s8
	s_cbranch_vccnz .LBB31_6007
; %bb.6006:
	s_wait_xcnt 0x0
	v_mov_b32_e32 v1, 0
	global_store_b32 v[2:3], v1, off
.LBB31_6007:
	s_mov_b32 s8, 0
.LBB31_6008:
	s_delay_alu instid0(SALU_CYCLE_1)
	s_and_not1_b32 vcc_lo, exec_lo, s8
	s_cbranch_vccnz .LBB31_6017
; %bb.6009:
	s_cmp_lt_i32 s3, 6
	s_mov_b32 s8, -1
	s_cbranch_scc1 .LBB31_6015
; %bb.6010:
	s_cmp_gt_i32 s3, 6
	s_cbranch_scc0 .LBB31_6012
; %bb.6011:
	s_wait_xcnt 0x0
	v_mov_b64_e32 v[4:5], 0
	s_mov_b32 s8, 0
	global_store_b64 v[2:3], v[4:5], off
.LBB31_6012:
	s_and_not1_b32 vcc_lo, exec_lo, s8
	s_cbranch_vccnz .LBB31_6014
; %bb.6013:
	s_wait_xcnt 0x0
	v_mov_b32_e32 v1, 0
	global_store_b32 v[2:3], v1, off
.LBB31_6014:
	s_mov_b32 s8, 0
.LBB31_6015:
	s_delay_alu instid0(SALU_CYCLE_1)
	s_and_not1_b32 vcc_lo, exec_lo, s8
	s_cbranch_vccnz .LBB31_6017
; %bb.6016:
	s_wait_xcnt 0x0
	v_mov_b32_e32 v1, 0
	global_store_b16 v[2:3], v1, off
.LBB31_6017:
	s_mov_b32 s8, 0
.LBB31_6018:
	s_delay_alu instid0(SALU_CYCLE_1)
	s_and_not1_b32 vcc_lo, exec_lo, s8
	s_cbranch_vccnz .LBB31_6034
; %bb.6019:
	s_cmp_lt_i32 s3, 2
	s_mov_b32 s8, -1
	s_cbranch_scc1 .LBB31_6029
; %bb.6020:
	s_cmp_lt_i32 s3, 3
	s_cbranch_scc1 .LBB31_6026
; %bb.6021:
	s_cmp_gt_i32 s3, 3
	s_cbranch_scc0 .LBB31_6023
; %bb.6022:
	s_wait_xcnt 0x0
	v_mov_b64_e32 v[4:5], 0
	s_mov_b32 s8, 0
	global_store_b64 v[2:3], v[4:5], off
.LBB31_6023:
	s_and_not1_b32 vcc_lo, exec_lo, s8
	s_cbranch_vccnz .LBB31_6025
; %bb.6024:
	s_wait_xcnt 0x0
	v_mov_b32_e32 v1, 0
	global_store_b32 v[2:3], v1, off
.LBB31_6025:
	s_mov_b32 s8, 0
.LBB31_6026:
	s_delay_alu instid0(SALU_CYCLE_1)
	s_and_not1_b32 vcc_lo, exec_lo, s8
	s_cbranch_vccnz .LBB31_6028
; %bb.6027:
	s_wait_xcnt 0x0
	v_mov_b32_e32 v1, 0
	global_store_b16 v[2:3], v1, off
.LBB31_6028:
	s_mov_b32 s8, 0
.LBB31_6029:
	s_delay_alu instid0(SALU_CYCLE_1)
	s_and_not1_b32 vcc_lo, exec_lo, s8
	s_cbranch_vccnz .LBB31_6034
; %bb.6030:
	s_cmp_gt_i32 s3, 0
	s_mov_b32 s8, -1
	s_cbranch_scc0 .LBB31_6032
; %bb.6031:
	s_wait_xcnt 0x0
	v_mov_b32_e32 v1, 0
	s_mov_b32 s8, 0
	global_store_b8 v[2:3], v1, off
.LBB31_6032:
	s_and_not1_b32 vcc_lo, exec_lo, s8
	s_cbranch_vccnz .LBB31_6034
; %bb.6033:
	s_wait_xcnt 0x0
	v_mov_b32_e32 v1, 0
	global_store_b8 v[2:3], v1, off
.LBB31_6034:
	s_mov_b32 s9, -1
.LBB31_6035:
	s_delay_alu instid0(SALU_CYCLE_1)
	s_and_not1_b32 vcc_lo, exec_lo, s9
	s_cbranch_vccnz .LBB31_6082
; %bb.6036:
	s_wait_xcnt 0x0
	v_mov_b32_e32 v1, 0
	s_cmp_lt_i32 s3, 11
	s_delay_alu instid0(VALU_DEP_1)
	v_add_nc_u64_e32 v[42:43], s[4:5], v[0:1]
	s_cbranch_scc1 .LBB31_6088
; %bb.6037:
	s_mov_b32 s8, -1
	s_mov_b32 s4, 0
	s_cmp_gt_i32 s3, 25
	s_mov_b32 s5, 0
	s_cbranch_scc0 .LBB31_6062
; %bb.6038:
	s_cmp_gt_i32 s3, 28
	s_cbranch_scc0 .LBB31_6052
; %bb.6039:
	s_cmp_gt_i32 s3, 43
	;; [unrolled: 3-line block ×3, first 2 shown]
	s_cbranch_scc0 .LBB31_6044
; %bb.6041:
	s_cmp_eq_u32 s3, 46
	s_mov_b32 s5, -1
	s_cbranch_scc0 .LBB31_6043
; %bb.6042:
	v_mov_b32_e32 v0, 0
	s_mov_b32 s5, 0
	global_store_b32 v[42:43], v0, off
.LBB31_6043:
	s_mov_b32 s8, 0
.LBB31_6044:
	s_delay_alu instid0(SALU_CYCLE_1)
	s_and_b32 vcc_lo, exec_lo, s8
	s_cbranch_vccz .LBB31_6047
; %bb.6045:
	s_cmp_eq_u32 s3, 44
	s_mov_b32 s5, -1
	s_cbranch_scc0 .LBB31_6047
; %bb.6046:
	s_wait_xcnt 0x0
	v_mov_b32_e32 v0, 0
	s_mov_b32 s5, 0
	global_store_b8 v[42:43], v0, off
.LBB31_6047:
	s_mov_b32 s8, 0
.LBB31_6048:
	s_delay_alu instid0(SALU_CYCLE_1)
	s_and_b32 vcc_lo, exec_lo, s8
	s_cbranch_vccz .LBB31_6051
; %bb.6049:
	s_cmp_eq_u32 s3, 29
	s_mov_b32 s5, -1
	s_cbranch_scc0 .LBB31_6051
; %bb.6050:
	s_wait_xcnt 0x0
	v_mov_b64_e32 v[0:1], 0
	s_mov_b32 s5, 0
	global_store_b64 v[42:43], v[0:1], off
.LBB31_6051:
	s_mov_b32 s8, 0
.LBB31_6052:
	s_delay_alu instid0(SALU_CYCLE_1)
	s_and_b32 vcc_lo, exec_lo, s8
	s_cbranch_vccz .LBB31_6061
; %bb.6053:
	s_cmp_lt_i32 s3, 27
	s_mov_b32 s8, -1
	s_cbranch_scc1 .LBB31_6059
; %bb.6054:
	s_cmp_gt_i32 s3, 27
	s_cbranch_scc0 .LBB31_6056
; %bb.6055:
	s_wait_xcnt 0x0
	v_mov_b32_e32 v0, 0
	s_mov_b32 s8, 0
	global_store_b32 v[42:43], v0, off
.LBB31_6056:
	s_and_not1_b32 vcc_lo, exec_lo, s8
	s_cbranch_vccnz .LBB31_6058
; %bb.6057:
	s_wait_xcnt 0x0
	v_mov_b32_e32 v0, 0
	global_store_b16 v[42:43], v0, off
.LBB31_6058:
	s_mov_b32 s8, 0
.LBB31_6059:
	s_delay_alu instid0(SALU_CYCLE_1)
	s_and_not1_b32 vcc_lo, exec_lo, s8
	s_cbranch_vccnz .LBB31_6061
; %bb.6060:
	s_wait_xcnt 0x0
	v_mov_b32_e32 v0, 0
	global_store_b8 v[42:43], v0, off
.LBB31_6061:
	s_mov_b32 s8, 0
.LBB31_6062:
	s_delay_alu instid0(SALU_CYCLE_1)
	s_and_b32 vcc_lo, exec_lo, s8
	s_cbranch_vccz .LBB31_6080
; %bb.6063:
	s_cmp_gt_i32 s3, 22
	s_mov_b32 s4, -1
	s_cbranch_scc0 .LBB31_6073
; %bb.6064:
	s_cmp_lt_i32 s3, 24
	s_cbranch_scc1 .LBB31_6070
; %bb.6065:
	s_cmp_gt_i32 s3, 24
	s_cbranch_scc0 .LBB31_6067
; %bb.6066:
	s_wait_xcnt 0x0
	v_mov_b32_e32 v0, 0
	s_mov_b32 s4, 0
	global_store_b8 v[42:43], v0, off
.LBB31_6067:
	s_and_not1_b32 vcc_lo, exec_lo, s4
	s_cbranch_vccnz .LBB31_6069
; %bb.6068:
	s_wait_xcnt 0x0
	v_mov_b32_e32 v0, 0
	global_store_b8 v[42:43], v0, off
.LBB31_6069:
	s_mov_b32 s4, 0
.LBB31_6070:
	s_delay_alu instid0(SALU_CYCLE_1)
	s_and_not1_b32 vcc_lo, exec_lo, s4
	s_cbranch_vccnz .LBB31_6072
; %bb.6071:
	s_wait_xcnt 0x0
	v_mov_b32_e32 v0, 0
	global_store_b8 v[42:43], v0, off
.LBB31_6072:
	s_mov_b32 s4, 0
.LBB31_6073:
	s_delay_alu instid0(SALU_CYCLE_1)
	s_and_not1_b32 vcc_lo, exec_lo, s4
	s_mov_b32 s4, 0
	s_cbranch_vccnz .LBB31_6080
; %bb.6074:
	s_cmp_gt_i32 s3, 14
	s_mov_b32 s4, -1
	s_cbranch_scc0 .LBB31_6078
; %bb.6075:
	s_cmp_eq_u32 s3, 15
	s_mov_b32 s5, -1
	s_cbranch_scc0 .LBB31_6077
; %bb.6076:
	s_wait_xcnt 0x0
	v_mov_b32_e32 v0, 0
	s_mov_b32 s5, 0
	global_store_b16 v[42:43], v0, off
.LBB31_6077:
	s_mov_b32 s4, 0
.LBB31_6078:
	s_delay_alu instid0(SALU_CYCLE_1)
	s_and_b32 vcc_lo, exec_lo, s4
	s_mov_b32 s4, 0
	s_cbranch_vccz .LBB31_6080
; %bb.6079:
	s_cmp_lg_u32 s3, 11
	s_mov_b32 s4, -1
	s_cselect_b32 s5, -1, 0
.LBB31_6080:
	s_delay_alu instid0(SALU_CYCLE_1)
	s_and_b32 vcc_lo, exec_lo, s5
	s_cbranch_vccnz .LBB31_6095
.LBB31_6081:
	s_mov_b32 s3, 0
	s_branch .LBB31_6083
.LBB31_6082:
	s_mov_b32 s3, 0
	s_mov_b32 s4, 0
                                        ; implicit-def: $vgpr42_vgpr43
                                        ; implicit-def: $sgpr0
.LBB31_6083:
	s_and_b32 s9, s3, exec_lo
	s_and_not1_b32 s3, s6, exec_lo
	s_and_b32 s2, s2, exec_lo
	s_and_b32 s8, s4, exec_lo
	s_or_b32 s6, s3, s2
.LBB31_6084:
	s_wait_xcnt 0x0
	s_or_b32 exec_lo, exec_lo, s7
	s_delay_alu instid0(SALU_CYCLE_1)
	s_and_not1_b32 s2, s18, exec_lo
	s_and_b32 s3, s6, exec_lo
	s_and_b32 s7, s9, exec_lo
	s_and_b32 s6, s8, exec_lo
	s_or_b32 s18, s2, s3
.LBB31_6085:
	s_or_b32 exec_lo, exec_lo, s19
	s_delay_alu instid0(SALU_CYCLE_1)
	s_and_not1_b32 s2, s25, exec_lo
	s_and_b32 s3, s18, exec_lo
	s_and_b32 s7, s7, exec_lo
	;; [unrolled: 1-line block ×3, first 2 shown]
	s_or_b32 s25, s2, s3
.LBB31_6086:
	s_or_b32 exec_lo, exec_lo, s26
	s_delay_alu instid0(SALU_CYCLE_1)
	s_and_not1_b32 s2, s23, exec_lo
	s_and_b32 s3, s25, exec_lo
	s_and_b32 s7, s7, exec_lo
	;; [unrolled: 1-line block ×3, first 2 shown]
	s_or_b32 s23, s2, s3
.LBB31_6087:
	s_or_b32 exec_lo, exec_lo, s24
	s_branch .LBB31_5750
.LBB31_6088:
	s_mov_b32 s4, 0
	s_mov_b32 s3, -1
	s_branch .LBB31_6083
.LBB31_6089:
	s_or_b32 s8, s18, exec_lo
	s_xor_b32 s7, exec_lo, -1
	s_trap 2
	s_branch .LBB31_5766
.LBB31_6090:
	s_or_b32 s2, s6, exec_lo
	s_trap 2
	s_cbranch_execz .LBB31_5814
	s_branch .LBB31_5815
.LBB31_6091:
	s_or_b32 s2, s2, exec_lo
	s_trap 2
	s_cbranch_execz .LBB31_5904
	s_branch .LBB31_5905
.LBB31_6092:
	s_or_b32 s23, s23, exec_lo
	s_trap 2
                                        ; implicit-def: $vgpr18_vgpr19
                                        ; implicit-def: $vgpr16_vgpr17
                                        ; implicit-def: $vgpr14_vgpr15
                                        ; implicit-def: $vgpr22_vgpr23
                                        ; implicit-def: $vgpr6
                                        ; implicit-def: $vgpr4
                                        ; implicit-def: $vgpr2
                                        ; implicit-def: $vgpr0
                                        ; implicit-def: $vgpr8_vgpr9
                                        ; implicit-def: $vgpr12_vgpr13
	s_branch .LBB31_5742
.LBB31_6093:
	s_or_b32 s2, s2, exec_lo
	s_trap 2
	s_cbranch_execz .LBB31_5993
	s_branch .LBB31_5994
.LBB31_6094:
	s_or_b32 s25, s23, exec_lo
	s_trap 2
                                        ; implicit-def: $vgpr16_vgpr17
                                        ; implicit-def: $vgpr14_vgpr15
                                        ; implicit-def: $vgpr22_vgpr23
                                        ; implicit-def: $vgpr6
                                        ; implicit-def: $vgpr4
                                        ; implicit-def: $vgpr2
                                        ; implicit-def: $vgpr0
                                        ; implicit-def: $vgpr8_vgpr9
                                        ; implicit-def: $vgpr12_vgpr13
	s_or_saveexec_b32 s26, s0
                                        ; implicit-def: $vgpr42_vgpr43
                                        ; implicit-def: $sgpr0
	s_delay_alu instid0(SALU_CYCLE_1)
	s_xor_b32 exec_lo, exec_lo, s26
	s_cbranch_execz .LBB31_6086
	s_branch .LBB31_5745
.LBB31_6095:
	s_mov_b32 s4, 0
	s_or_b32 s2, s2, exec_lo
	s_trap 2
	s_branch .LBB31_6081
.LBB31_6096:
	s_or_b32 s18, s25, exec_lo
	s_trap 2
                                        ; implicit-def: $vgpr14_vgpr15
                                        ; implicit-def: $vgpr16_vgpr17
                                        ; implicit-def: $vgpr0
                                        ; implicit-def: $vgpr6
                                        ; implicit-def: $vgpr4
                                        ; implicit-def: $vgpr22_vgpr23
                                        ; implicit-def: $vgpr12_vgpr13
                                        ; implicit-def: $vgpr2
	s_or_saveexec_b32 s19, s0
	s_mov_b32 s6, 0
                                        ; implicit-def: $vgpr42_vgpr43
                                        ; implicit-def: $sgpr0
	s_xor_b32 exec_lo, exec_lo, s19
	s_cbranch_execz .LBB31_6085
	s_branch .LBB31_5747
	.section	.rodata,"a",@progbits
	.p2align	6, 0x0
	.amdhsa_kernel _ZN2at6native32elementwise_kernel_manual_unrollILi128ELi4EZNS0_15gpu_kernel_implIZZZNS0_12_GLOBAL__N_142_validate_compressed_sparse_indices_kernelILNS3_8CDimNameE0ENS3_18CUDAKernelLauncherENS3_14EmptyVecKernelENS3_8DummyVecELm8EEEvRKNS_6TensorESB_lllENKUlvE1_clEvENKUlvE0_clEvEUllllllE_EEvRNS_18TensorIteratorBaseERKT_EUlibE0_EEviT1_
		.amdhsa_group_segment_fixed_size 0
		.amdhsa_private_segment_fixed_size 20
		.amdhsa_kernarg_size 816
		.amdhsa_user_sgpr_count 2
		.amdhsa_user_sgpr_dispatch_ptr 0
		.amdhsa_user_sgpr_queue_ptr 0
		.amdhsa_user_sgpr_kernarg_segment_ptr 1
		.amdhsa_user_sgpr_dispatch_id 0
		.amdhsa_user_sgpr_kernarg_preload_length 0
		.amdhsa_user_sgpr_kernarg_preload_offset 0
		.amdhsa_user_sgpr_private_segment_size 0
		.amdhsa_wavefront_size32 1
		.amdhsa_uses_dynamic_stack 0
		.amdhsa_enable_private_segment 1
		.amdhsa_system_sgpr_workgroup_id_x 1
		.amdhsa_system_sgpr_workgroup_id_y 0
		.amdhsa_system_sgpr_workgroup_id_z 0
		.amdhsa_system_sgpr_workgroup_info 0
		.amdhsa_system_vgpr_workitem_id 0
		.amdhsa_next_free_vgpr 67
		.amdhsa_next_free_sgpr 105
		.amdhsa_named_barrier_count 0
		.amdhsa_reserve_vcc 1
		.amdhsa_float_round_mode_32 0
		.amdhsa_float_round_mode_16_64 0
		.amdhsa_float_denorm_mode_32 3
		.amdhsa_float_denorm_mode_16_64 3
		.amdhsa_fp16_overflow 0
		.amdhsa_memory_ordered 1
		.amdhsa_forward_progress 1
		.amdhsa_inst_pref_size 255
		.amdhsa_round_robin_scheduling 0
		.amdhsa_exception_fp_ieee_invalid_op 0
		.amdhsa_exception_fp_denorm_src 0
		.amdhsa_exception_fp_ieee_div_zero 0
		.amdhsa_exception_fp_ieee_overflow 0
		.amdhsa_exception_fp_ieee_underflow 0
		.amdhsa_exception_fp_ieee_inexact 0
		.amdhsa_exception_int_div_zero 0
	.end_amdhsa_kernel
	.section	.text._ZN2at6native32elementwise_kernel_manual_unrollILi128ELi4EZNS0_15gpu_kernel_implIZZZNS0_12_GLOBAL__N_142_validate_compressed_sparse_indices_kernelILNS3_8CDimNameE0ENS3_18CUDAKernelLauncherENS3_14EmptyVecKernelENS3_8DummyVecELm8EEEvRKNS_6TensorESB_lllENKUlvE1_clEvENKUlvE0_clEvEUllllllE_EEvRNS_18TensorIteratorBaseERKT_EUlibE0_EEviT1_,"axG",@progbits,_ZN2at6native32elementwise_kernel_manual_unrollILi128ELi4EZNS0_15gpu_kernel_implIZZZNS0_12_GLOBAL__N_142_validate_compressed_sparse_indices_kernelILNS3_8CDimNameE0ENS3_18CUDAKernelLauncherENS3_14EmptyVecKernelENS3_8DummyVecELm8EEEvRKNS_6TensorESB_lllENKUlvE1_clEvENKUlvE0_clEvEUllllllE_EEvRNS_18TensorIteratorBaseERKT_EUlibE0_EEviT1_,comdat
.Lfunc_end31:
	.size	_ZN2at6native32elementwise_kernel_manual_unrollILi128ELi4EZNS0_15gpu_kernel_implIZZZNS0_12_GLOBAL__N_142_validate_compressed_sparse_indices_kernelILNS3_8CDimNameE0ENS3_18CUDAKernelLauncherENS3_14EmptyVecKernelENS3_8DummyVecELm8EEEvRKNS_6TensorESB_lllENKUlvE1_clEvENKUlvE0_clEvEUllllllE_EEvRNS_18TensorIteratorBaseERKT_EUlibE0_EEviT1_, .Lfunc_end31-_ZN2at6native32elementwise_kernel_manual_unrollILi128ELi4EZNS0_15gpu_kernel_implIZZZNS0_12_GLOBAL__N_142_validate_compressed_sparse_indices_kernelILNS3_8CDimNameE0ENS3_18CUDAKernelLauncherENS3_14EmptyVecKernelENS3_8DummyVecELm8EEEvRKNS_6TensorESB_lllENKUlvE1_clEvENKUlvE0_clEvEUllllllE_EEvRNS_18TensorIteratorBaseERKT_EUlibE0_EEviT1_
                                        ; -- End function
	.set _ZN2at6native32elementwise_kernel_manual_unrollILi128ELi4EZNS0_15gpu_kernel_implIZZZNS0_12_GLOBAL__N_142_validate_compressed_sparse_indices_kernelILNS3_8CDimNameE0ENS3_18CUDAKernelLauncherENS3_14EmptyVecKernelENS3_8DummyVecELm8EEEvRKNS_6TensorESB_lllENKUlvE1_clEvENKUlvE0_clEvEUllllllE_EEvRNS_18TensorIteratorBaseERKT_EUlibE0_EEviT1_.num_vgpr, 67
	.set _ZN2at6native32elementwise_kernel_manual_unrollILi128ELi4EZNS0_15gpu_kernel_implIZZZNS0_12_GLOBAL__N_142_validate_compressed_sparse_indices_kernelILNS3_8CDimNameE0ENS3_18CUDAKernelLauncherENS3_14EmptyVecKernelENS3_8DummyVecELm8EEEvRKNS_6TensorESB_lllENKUlvE1_clEvENKUlvE0_clEvEUllllllE_EEvRNS_18TensorIteratorBaseERKT_EUlibE0_EEviT1_.num_agpr, 0
	.set _ZN2at6native32elementwise_kernel_manual_unrollILi128ELi4EZNS0_15gpu_kernel_implIZZZNS0_12_GLOBAL__N_142_validate_compressed_sparse_indices_kernelILNS3_8CDimNameE0ENS3_18CUDAKernelLauncherENS3_14EmptyVecKernelENS3_8DummyVecELm8EEEvRKNS_6TensorESB_lllENKUlvE1_clEvENKUlvE0_clEvEUllllllE_EEvRNS_18TensorIteratorBaseERKT_EUlibE0_EEviT1_.numbered_sgpr, 105
	.set _ZN2at6native32elementwise_kernel_manual_unrollILi128ELi4EZNS0_15gpu_kernel_implIZZZNS0_12_GLOBAL__N_142_validate_compressed_sparse_indices_kernelILNS3_8CDimNameE0ENS3_18CUDAKernelLauncherENS3_14EmptyVecKernelENS3_8DummyVecELm8EEEvRKNS_6TensorESB_lllENKUlvE1_clEvENKUlvE0_clEvEUllllllE_EEvRNS_18TensorIteratorBaseERKT_EUlibE0_EEviT1_.num_named_barrier, 0
	.set _ZN2at6native32elementwise_kernel_manual_unrollILi128ELi4EZNS0_15gpu_kernel_implIZZZNS0_12_GLOBAL__N_142_validate_compressed_sparse_indices_kernelILNS3_8CDimNameE0ENS3_18CUDAKernelLauncherENS3_14EmptyVecKernelENS3_8DummyVecELm8EEEvRKNS_6TensorESB_lllENKUlvE1_clEvENKUlvE0_clEvEUllllllE_EEvRNS_18TensorIteratorBaseERKT_EUlibE0_EEviT1_.private_seg_size, 20
	.set _ZN2at6native32elementwise_kernel_manual_unrollILi128ELi4EZNS0_15gpu_kernel_implIZZZNS0_12_GLOBAL__N_142_validate_compressed_sparse_indices_kernelILNS3_8CDimNameE0ENS3_18CUDAKernelLauncherENS3_14EmptyVecKernelENS3_8DummyVecELm8EEEvRKNS_6TensorESB_lllENKUlvE1_clEvENKUlvE0_clEvEUllllllE_EEvRNS_18TensorIteratorBaseERKT_EUlibE0_EEviT1_.uses_vcc, 1
	.set _ZN2at6native32elementwise_kernel_manual_unrollILi128ELi4EZNS0_15gpu_kernel_implIZZZNS0_12_GLOBAL__N_142_validate_compressed_sparse_indices_kernelILNS3_8CDimNameE0ENS3_18CUDAKernelLauncherENS3_14EmptyVecKernelENS3_8DummyVecELm8EEEvRKNS_6TensorESB_lllENKUlvE1_clEvENKUlvE0_clEvEUllllllE_EEvRNS_18TensorIteratorBaseERKT_EUlibE0_EEviT1_.uses_flat_scratch, 0
	.set _ZN2at6native32elementwise_kernel_manual_unrollILi128ELi4EZNS0_15gpu_kernel_implIZZZNS0_12_GLOBAL__N_142_validate_compressed_sparse_indices_kernelILNS3_8CDimNameE0ENS3_18CUDAKernelLauncherENS3_14EmptyVecKernelENS3_8DummyVecELm8EEEvRKNS_6TensorESB_lllENKUlvE1_clEvENKUlvE0_clEvEUllllllE_EEvRNS_18TensorIteratorBaseERKT_EUlibE0_EEviT1_.has_dyn_sized_stack, 0
	.set _ZN2at6native32elementwise_kernel_manual_unrollILi128ELi4EZNS0_15gpu_kernel_implIZZZNS0_12_GLOBAL__N_142_validate_compressed_sparse_indices_kernelILNS3_8CDimNameE0ENS3_18CUDAKernelLauncherENS3_14EmptyVecKernelENS3_8DummyVecELm8EEEvRKNS_6TensorESB_lllENKUlvE1_clEvENKUlvE0_clEvEUllllllE_EEvRNS_18TensorIteratorBaseERKT_EUlibE0_EEviT1_.has_recursion, 0
	.set _ZN2at6native32elementwise_kernel_manual_unrollILi128ELi4EZNS0_15gpu_kernel_implIZZZNS0_12_GLOBAL__N_142_validate_compressed_sparse_indices_kernelILNS3_8CDimNameE0ENS3_18CUDAKernelLauncherENS3_14EmptyVecKernelENS3_8DummyVecELm8EEEvRKNS_6TensorESB_lllENKUlvE1_clEvENKUlvE0_clEvEUllllllE_EEvRNS_18TensorIteratorBaseERKT_EUlibE0_EEviT1_.has_indirect_call, 0
	.section	.AMDGPU.csdata,"",@progbits
; Kernel info:
; codeLenInByte = 148076
; TotalNumSgprs: 107
; NumVgprs: 67
; ScratchSize: 20
; MemoryBound: 1
; FloatMode: 240
; IeeeMode: 1
; LDSByteSize: 0 bytes/workgroup (compile time only)
; SGPRBlocks: 0
; VGPRBlocks: 4
; NumSGPRsForWavesPerEU: 107
; NumVGPRsForWavesPerEU: 67
; NamedBarCnt: 0
; Occupancy: 12
; WaveLimiterHint : 1
; COMPUTE_PGM_RSRC2:SCRATCH_EN: 1
; COMPUTE_PGM_RSRC2:USER_SGPR: 2
; COMPUTE_PGM_RSRC2:TRAP_HANDLER: 0
; COMPUTE_PGM_RSRC2:TGID_X_EN: 1
; COMPUTE_PGM_RSRC2:TGID_Y_EN: 0
; COMPUTE_PGM_RSRC2:TGID_Z_EN: 0
; COMPUTE_PGM_RSRC2:TIDIG_COMP_CNT: 0
	.section	.text._ZN2at6native29vectorized_elementwise_kernelILi16EZZZNS0_12_GLOBAL__N_142_validate_compressed_sparse_indices_kernelILNS2_8CDimNameE0ENS2_18CUDAKernelLauncherENS2_14EmptyVecKernelENS2_8DummyVecELm0EEEvRKNS_6TensorESA_lllENKUlvE0_clEvENKUlvE_clEvEUliE_St5arrayIPcLm2EEEEviT0_T1_,"axG",@progbits,_ZN2at6native29vectorized_elementwise_kernelILi16EZZZNS0_12_GLOBAL__N_142_validate_compressed_sparse_indices_kernelILNS2_8CDimNameE0ENS2_18CUDAKernelLauncherENS2_14EmptyVecKernelENS2_8DummyVecELm0EEEvRKNS_6TensorESA_lllENKUlvE0_clEvENKUlvE_clEvEUliE_St5arrayIPcLm2EEEEviT0_T1_,comdat
	.globl	_ZN2at6native29vectorized_elementwise_kernelILi16EZZZNS0_12_GLOBAL__N_142_validate_compressed_sparse_indices_kernelILNS2_8CDimNameE0ENS2_18CUDAKernelLauncherENS2_14EmptyVecKernelENS2_8DummyVecELm0EEEvRKNS_6TensorESA_lllENKUlvE0_clEvENKUlvE_clEvEUliE_St5arrayIPcLm2EEEEviT0_T1_ ; -- Begin function _ZN2at6native29vectorized_elementwise_kernelILi16EZZZNS0_12_GLOBAL__N_142_validate_compressed_sparse_indices_kernelILNS2_8CDimNameE0ENS2_18CUDAKernelLauncherENS2_14EmptyVecKernelENS2_8DummyVecELm0EEEvRKNS_6TensorESA_lllENKUlvE0_clEvENKUlvE_clEvEUliE_St5arrayIPcLm2EEEEviT0_T1_
	.p2align	8
	.type	_ZN2at6native29vectorized_elementwise_kernelILi16EZZZNS0_12_GLOBAL__N_142_validate_compressed_sparse_indices_kernelILNS2_8CDimNameE0ENS2_18CUDAKernelLauncherENS2_14EmptyVecKernelENS2_8DummyVecELm0EEEvRKNS_6TensorESA_lllENKUlvE0_clEvENKUlvE_clEvEUliE_St5arrayIPcLm2EEEEviT0_T1_,@function
_ZN2at6native29vectorized_elementwise_kernelILi16EZZZNS0_12_GLOBAL__N_142_validate_compressed_sparse_indices_kernelILNS2_8CDimNameE0ENS2_18CUDAKernelLauncherENS2_14EmptyVecKernelENS2_8DummyVecELm0EEEvRKNS_6TensorESA_lllENKUlvE0_clEvENKUlvE_clEvEUliE_St5arrayIPcLm2EEEEviT0_T1_: ; @_ZN2at6native29vectorized_elementwise_kernelILi16EZZZNS0_12_GLOBAL__N_142_validate_compressed_sparse_indices_kernelILNS2_8CDimNameE0ENS2_18CUDAKernelLauncherENS2_14EmptyVecKernelENS2_8DummyVecELm0EEEvRKNS_6TensorESA_lllENKUlvE0_clEvENKUlvE_clEvEUliE_St5arrayIPcLm2EEEEviT0_T1_
; %bb.0:
	s_clause 0x3
	s_load_b32 s3, s[0:1], 0x0
	s_load_b32 s16, s[0:1], 0x8
	s_load_b128 s[4:7], s[0:1], 0x10
	s_load_b64 s[10:11], s[0:1], 0x20
	s_wait_xcnt 0x0
	s_bfe_u32 s0, ttmp6, 0x4000c
	s_and_b32 s1, ttmp6, 15
	s_add_co_i32 s0, s0, 1
	s_getreg_b32 s2, hwreg(HW_REG_IB_STS2, 6, 4)
	s_mul_i32 s0, ttmp9, s0
	s_mov_b32 s17, 0
	s_add_co_i32 s1, s1, s0
	s_cmp_eq_u32 s2, 0
	s_get_pc_i64 s[8:9]
	s_add_nc_u64 s[8:9], s[8:9], .str@rel64+4
	s_cselect_b32 s0, ttmp9, s1
	s_mov_b32 s1, 0
	s_lshl_b32 s2, s0, 10
	s_mov_b32 s0, -1
	s_wait_kmcnt 0x0
	s_sub_co_i32 s5, s3, s2
	s_delay_alu instid0(SALU_CYCLE_1)
	s_cmp_gt_i32 s5, 0x3ff
	s_cbranch_scc0 .LBB32_13
; %bb.1:
	s_cmp_eq_u64 s[8:9], 0
	s_cselect_b32 s3, -1, 0
	s_cmp_lg_u64 s[8:9], 0
	s_cbranch_scc0 .LBB32_11
; %bb.2:
	s_ashr_i32 s3, s2, 31
	v_lshlrev_b32_e32 v2, 4, v0
	s_lshl_b64 s[12:13], s[2:3], 2
	s_delay_alu instid0(SALU_CYCLE_1)
	s_add_nc_u64 s[14:15], s[10:11], s[12:13]
	global_load_b32 v1, v2, s[14:15]
	s_wait_loadcnt 0x0
	v_cmp_le_i32_e32 vcc_lo, s16, v1
	v_cmp_gt_i32_e64 s0, s4, v1
	s_and_b32 s0, vcc_lo, s0
	s_delay_alu instid0(SALU_CYCLE_1)
	s_xor_b32 s3, s0, -1
	s_and_saveexec_b32 s1, s0
	s_cbranch_execz .LBB32_10
; %bb.3:
	v_mov_b32_e32 v3, 0
	s_delay_alu instid0(VALU_DEP_1)
	v_add_nc_u64_e32 v[2:3], s[14:15], v[2:3]
	global_load_b96 v[2:4], v[2:3], off offset:4
	s_wait_loadcnt 0x0
	v_cmp_le_i32_e32 vcc_lo, s16, v2
	v_cmp_gt_i32_e64 s0, s4, v2
	s_and_b32 s0, vcc_lo, s0
	s_delay_alu instid0(SALU_CYCLE_1)
	s_xor_b32 s14, s0, -1
	s_and_saveexec_b32 s15, s0
	s_cbranch_execz .LBB32_9
; %bb.4:
	v_cmp_le_i32_e32 vcc_lo, s16, v3
	v_cmp_gt_i32_e64 s0, s4, v3
	s_mov_b32 s20, -1
	s_and_b32 s0, vcc_lo, s0
	s_delay_alu instid0(SALU_CYCLE_1)
	s_xor_b32 s18, s0, -1
	s_and_saveexec_b32 s19, s0
	s_cbranch_execz .LBB32_8
; %bb.5:
	v_cmp_le_i32_e32 vcc_lo, s16, v4
	v_cmp_gt_i32_e64 s0, s4, v4
	s_and_b32 s0, vcc_lo, s0
	s_delay_alu instid0(SALU_CYCLE_1) | instskip(NEXT) | instid1(SALU_CYCLE_1)
	s_and_saveexec_b32 s21, s0
	s_xor_b32 s0, exec_lo, s21
; %bb.6:
	v_mov_b32_e32 v2, 0
	s_add_nc_u64 s[12:13], s[6:7], s[12:13]
	s_xor_b32 s20, exec_lo, -1
	s_delay_alu instid0(VALU_DEP_1)
	v_dual_mov_b32 v3, v2 :: v_dual_mov_b32 v4, v2
	v_mov_b32_e32 v5, v2
	global_store_b128 v0, v[2:5], s[12:13] scale_offset
; %bb.7:
	s_wait_xcnt 0x0
	s_or_b32 exec_lo, exec_lo, s0
	s_delay_alu instid0(SALU_CYCLE_1) | instskip(SKIP_1) | instid1(SALU_CYCLE_1)
	s_and_not1_b32 s0, s18, exec_lo
	s_and_b32 s12, s20, exec_lo
	s_or_b32 s18, s0, s12
.LBB32_8:
	s_or_b32 exec_lo, exec_lo, s19
	s_delay_alu instid0(SALU_CYCLE_1) | instskip(SKIP_1) | instid1(SALU_CYCLE_1)
	s_and_not1_b32 s0, s14, exec_lo
	s_and_b32 s12, s18, exec_lo
	s_or_b32 s14, s0, s12
.LBB32_9:
	s_or_b32 exec_lo, exec_lo, s15
	s_delay_alu instid0(SALU_CYCLE_1) | instskip(SKIP_1) | instid1(SALU_CYCLE_1)
	s_and_not1_b32 s0, s3, exec_lo
	s_and_b32 s3, s14, exec_lo
	s_or_b32 s3, s0, s3
.LBB32_10:
	s_or_b32 exec_lo, exec_lo, s1
.LBB32_11:
	s_mov_b32 s0, 0
	s_mov_b32 s1, 0
	s_and_saveexec_b32 s12, s3
	s_delay_alu instid0(SALU_CYCLE_1)
	s_xor_b32 s3, exec_lo, s12
	s_cbranch_execnz .LBB32_48
.LBB32_12:
	s_or_b32 exec_lo, exec_lo, s3
.LBB32_13:
	s_delay_alu instid0(SALU_CYCLE_1)
	s_and_b32 vcc_lo, exec_lo, s0
	s_cbranch_vccz .LBB32_37
; %bb.14:
	v_cmp_le_i32_e64 s13, s5, v0
	v_cmp_gt_i32_e64 s3, s5, v0
	v_dual_mov_b32 v1, 0 :: v_dual_mov_b32 v3, 0
	v_or_b32_e32 v7, 0x100, v0
	v_dual_mov_b32 v6, 0 :: v_dual_mov_b32 v8, 0
	s_and_saveexec_b32 s0, s3
	s_cbranch_execz .LBB32_22
; %bb.15:
	v_dual_mov_b32 v6, 0 :: v_dual_bitop2_b32 v1, s2, v0 bitop3:0x54
	v_mov_b32_e32 v3, 0
	s_mov_b32 s12, exec_lo
	global_load_b32 v8, v1, s[10:11] scale_offset
	s_wait_xcnt 0x0
	v_mov_b32_e32 v1, 0
	v_cmpx_gt_u32_e64 s5, v7
	s_cbranch_execz .LBB32_21
; %bb.16:
	v_dual_mov_b32 v3, 0 :: v_dual_add_nc_u32 v2, s2, v0
	v_or_b32_e32 v1, 0x200, v0
	global_load_b32 v6, v2, s[10:11] offset:1024 scale_offset
	v_cmp_gt_u32_e32 vcc_lo, s5, v1
	v_mov_b32_e32 v1, 0
	s_wait_xcnt 0x0
	s_and_saveexec_b32 s14, vcc_lo
	s_cbranch_execz .LBB32_20
; %bb.17:
	v_lshl_add_u64 v[4:5], v[2:3], 2, s[10:11]
	v_or_b32_e32 v1, 0x300, v0
	s_mov_b32 s10, exec_lo
	global_load_b32 v2, v[4:5], off offset:2048
	s_wait_xcnt 0x0
	v_cmpx_gt_u32_e64 s5, v1
	s_cbranch_execz .LBB32_19
; %bb.18:
	global_load_b32 v3, v[4:5], off offset:3072
.LBB32_19:
	s_wait_xcnt 0x0
	s_or_b32 exec_lo, exec_lo, s10
	s_wait_loadcnt 0x0
	v_dual_mov_b32 v1, v3 :: v_dual_mov_b32 v3, v2
.LBB32_20:
	s_or_b32 exec_lo, exec_lo, s14
.LBB32_21:
	s_delay_alu instid0(SALU_CYCLE_1)
	s_or_b32 exec_lo, exec_lo, s12
.LBB32_22:
	s_delay_alu instid0(SALU_CYCLE_1)
	s_or_b32 exec_lo, exec_lo, s0
	s_cmp_lg_u64 s[8:9], 0
	s_mov_b32 s10, 0
	s_cselect_b32 s14, -1, 0
	s_and_saveexec_b32 s8, s3
	s_cbranch_execz .LBB32_24
; %bb.23:
	s_wait_loadcnt 0x0
	v_cmp_le_i32_e32 vcc_lo, s16, v8
	v_cmp_gt_i32_e64 s0, s4, v8
	s_and_not1_b32 s9, s13, exec_lo
	s_mov_b32 s10, exec_lo
	s_and_b32 s0, vcc_lo, s0
	s_delay_alu instid0(SALU_CYCLE_1) | instskip(NEXT) | instid1(SALU_CYCLE_1)
	s_and_b32 s0, s14, s0
	s_and_b32 s0, s0, exec_lo
	s_delay_alu instid0(SALU_CYCLE_1)
	s_or_b32 s13, s9, s0
.LBB32_24:
	s_or_b32 exec_lo, exec_lo, s8
                                        ; implicit-def: $sgpr8
                                        ; implicit-def: $sgpr9
                                        ; implicit-def: $sgpr11
	s_and_saveexec_b32 s12, s13
	s_cbranch_execz .LBB32_46
; %bb.25:
	v_cmp_le_i32_e64 s18, s5, v7
	v_cmp_gt_i32_e64 s8, s5, v7
	s_mov_b32 s13, 0
	s_and_saveexec_b32 s9, s8
	s_cbranch_execz .LBB32_27
; %bb.26:
	s_wait_loadcnt 0x0
	v_cmp_le_i32_e32 vcc_lo, s16, v6
	v_cmp_gt_i32_e64 s0, s4, v6
	s_and_not1_b32 s11, s18, exec_lo
	s_mov_b32 s13, exec_lo
	s_and_b32 s0, vcc_lo, s0
	s_delay_alu instid0(SALU_CYCLE_1) | instskip(NEXT) | instid1(SALU_CYCLE_1)
	s_and_b32 s0, s14, s0
	s_and_b32 s0, s0, exec_lo
	s_delay_alu instid0(SALU_CYCLE_1)
	s_or_b32 s18, s11, s0
.LBB32_27:
	s_or_b32 exec_lo, exec_lo, s9
                                        ; implicit-def: $sgpr9
                                        ; implicit-def: $sgpr11
	s_and_saveexec_b32 s15, s18
	s_cbranch_execz .LBB32_35
; %bb.28:
	v_or_b32_e32 v2, 0x200, v0
	s_mov_b32 s18, 0
	s_delay_alu instid0(VALU_DEP_1)
	v_cmp_le_i32_e64 s20, s5, v2
	v_cmp_gt_i32_e64 s9, s5, v2
	s_and_saveexec_b32 s11, s9
; %bb.29:
	v_cmp_le_i32_e32 vcc_lo, s16, v3
	v_cmp_gt_i32_e64 s0, s4, v3
	s_and_not1_b32 s19, s20, exec_lo
	s_mov_b32 s17, exec_lo
	s_and_b32 s0, vcc_lo, s0
	s_delay_alu instid0(SALU_CYCLE_1) | instskip(NEXT) | instid1(SALU_CYCLE_1)
	s_and_b32 s0, s14, s0
	s_and_b32 s0, s0, exec_lo
	s_delay_alu instid0(SALU_CYCLE_1)
	s_or_b32 s20, s19, s0
; %bb.30:
	s_or_b32 exec_lo, exec_lo, s11
                                        ; implicit-def: $sgpr11
	s_and_saveexec_b32 s19, s20
	s_cbranch_execz .LBB32_34
; %bb.31:
	v_or_b32_e32 v2, 0x300, v0
	s_mov_b32 s0, 0
	s_delay_alu instid0(VALU_DEP_1) | instskip(SKIP_2) | instid1(SALU_CYCLE_1)
	v_cmp_le_i32_e64 s18, s5, v2
	v_cmp_gt_i32_e64 s11, s5, v2
	s_and_saveexec_b32 s5, s11
	s_xor_b32 s5, exec_lo, s5
; %bb.32:
	v_cmp_le_i32_e32 vcc_lo, s16, v1
	v_cmp_gt_i32_e64 s0, s4, v1
	s_or_b32 s18, s18, exec_lo
	s_and_b32 s0, vcc_lo, s0
	s_delay_alu instid0(SALU_CYCLE_1) | instskip(NEXT) | instid1(SALU_CYCLE_1)
	s_and_b32 s0, s14, s0
	s_xor_b32 s0, s0, -1
	s_delay_alu instid0(SALU_CYCLE_1)
	s_and_b32 s0, s0, exec_lo
; %bb.33:
	s_or_b32 exec_lo, exec_lo, s5
	s_delay_alu instid0(SALU_CYCLE_1)
	s_and_not1_b32 s4, s17, exec_lo
	s_and_b32 s0, s0, exec_lo
	s_and_b32 s18, s18, exec_lo
	s_or_b32 s17, s4, s0
.LBB32_34:
	s_or_b32 exec_lo, exec_lo, s19
	s_delay_alu instid0(SALU_CYCLE_1)
	s_and_not1_b32 s0, s13, exec_lo
	s_and_b32 s4, s17, exec_lo
	s_and_b32 s17, s18, exec_lo
	s_or_b32 s13, s0, s4
.LBB32_35:
	s_or_b32 exec_lo, exec_lo, s15
	s_delay_alu instid0(SALU_CYCLE_1)
	s_and_not1_b32 s0, s10, exec_lo
	s_and_b32 s4, s13, exec_lo
	s_and_b32 s17, s17, exec_lo
	s_or_b32 s10, s0, s4
	s_or_b32 exec_lo, exec_lo, s12
	s_and_saveexec_b32 s0, s10
	s_cbranch_execz .LBB32_47
.LBB32_36:
	s_and_not1_b32 s17, s17, exec_lo
	s_or_b32 s1, s1, exec_lo
	s_trap 2
	s_or_b32 exec_lo, exec_lo, s0
	s_and_saveexec_b32 s0, s1
	s_cbranch_execnz .LBB32_38
	s_branch .LBB32_39
.LBB32_37:
                                        ; implicit-def: $sgpr3
                                        ; implicit-def: $sgpr8
                                        ; implicit-def: $sgpr9
                                        ; implicit-def: $sgpr11
                                        ; implicit-def: $vgpr0
	s_and_saveexec_b32 s0, s1
.LBB32_38:
	; divergent unreachable
.LBB32_39:
	s_delay_alu instid0(SALU_CYCLE_1)
	s_or_b32 exec_lo, exec_lo, s0
	s_and_saveexec_b32 s0, s17
	s_cbranch_execz .LBB32_45
; %bb.40:
	s_and_b32 exec_lo, exec_lo, s3
	s_cbranch_execz .LBB32_45
; %bb.41:
	v_dual_mov_b32 v1, 0 :: v_dual_bitop2_b32 v2, s2, v0 bitop3:0x54
	global_store_b32 v2, v1, s[6:7] scale_offset
	s_wait_xcnt 0x0
	s_and_b32 exec_lo, exec_lo, s8
	s_cbranch_execz .LBB32_45
; %bb.42:
	v_add_nc_u32_e32 v0, s2, v0
	global_store_b32 v0, v1, s[6:7] offset:1024 scale_offset
	s_wait_xcnt 0x0
	s_and_b32 exec_lo, exec_lo, s9
	s_cbranch_execz .LBB32_45
; %bb.43:
	v_lshl_add_u64 v[0:1], v[0:1], 2, s[6:7]
	v_mov_b32_e32 v2, 0
	global_store_b32 v[0:1], v2, off offset:2048
	s_wait_xcnt 0x0
	s_and_b32 exec_lo, exec_lo, s11
	s_cbranch_execz .LBB32_45
; %bb.44:
	global_store_b32 v[0:1], v2, off offset:3072
.LBB32_45:
	s_endpgm
.LBB32_46:
	s_or_b32 exec_lo, exec_lo, s12
	s_and_saveexec_b32 s0, s10
	s_cbranch_execnz .LBB32_36
.LBB32_47:
	s_or_b32 exec_lo, exec_lo, s0
	s_and_saveexec_b32 s0, s1
	s_cbranch_execnz .LBB32_38
	s_branch .LBB32_39
.LBB32_48:
	s_mov_b32 s1, exec_lo
	s_trap 2
	s_branch .LBB32_12
	.section	.rodata,"a",@progbits
	.p2align	6, 0x0
	.amdhsa_kernel _ZN2at6native29vectorized_elementwise_kernelILi16EZZZNS0_12_GLOBAL__N_142_validate_compressed_sparse_indices_kernelILNS2_8CDimNameE0ENS2_18CUDAKernelLauncherENS2_14EmptyVecKernelENS2_8DummyVecELm0EEEvRKNS_6TensorESA_lllENKUlvE0_clEvENKUlvE_clEvEUliE_St5arrayIPcLm2EEEEviT0_T1_
		.amdhsa_group_segment_fixed_size 0
		.amdhsa_private_segment_fixed_size 0
		.amdhsa_kernarg_size 40
		.amdhsa_user_sgpr_count 2
		.amdhsa_user_sgpr_dispatch_ptr 0
		.amdhsa_user_sgpr_queue_ptr 0
		.amdhsa_user_sgpr_kernarg_segment_ptr 1
		.amdhsa_user_sgpr_dispatch_id 0
		.amdhsa_user_sgpr_kernarg_preload_length 0
		.amdhsa_user_sgpr_kernarg_preload_offset 0
		.amdhsa_user_sgpr_private_segment_size 0
		.amdhsa_wavefront_size32 1
		.amdhsa_uses_dynamic_stack 0
		.amdhsa_enable_private_segment 0
		.amdhsa_system_sgpr_workgroup_id_x 1
		.amdhsa_system_sgpr_workgroup_id_y 0
		.amdhsa_system_sgpr_workgroup_id_z 0
		.amdhsa_system_sgpr_workgroup_info 0
		.amdhsa_system_vgpr_workitem_id 0
		.amdhsa_next_free_vgpr 9
		.amdhsa_next_free_sgpr 22
		.amdhsa_named_barrier_count 0
		.amdhsa_reserve_vcc 1
		.amdhsa_float_round_mode_32 0
		.amdhsa_float_round_mode_16_64 0
		.amdhsa_float_denorm_mode_32 3
		.amdhsa_float_denorm_mode_16_64 3
		.amdhsa_fp16_overflow 0
		.amdhsa_memory_ordered 1
		.amdhsa_forward_progress 1
		.amdhsa_inst_pref_size 11
		.amdhsa_round_robin_scheduling 0
		.amdhsa_exception_fp_ieee_invalid_op 0
		.amdhsa_exception_fp_denorm_src 0
		.amdhsa_exception_fp_ieee_div_zero 0
		.amdhsa_exception_fp_ieee_overflow 0
		.amdhsa_exception_fp_ieee_underflow 0
		.amdhsa_exception_fp_ieee_inexact 0
		.amdhsa_exception_int_div_zero 0
	.end_amdhsa_kernel
	.section	.text._ZN2at6native29vectorized_elementwise_kernelILi16EZZZNS0_12_GLOBAL__N_142_validate_compressed_sparse_indices_kernelILNS2_8CDimNameE0ENS2_18CUDAKernelLauncherENS2_14EmptyVecKernelENS2_8DummyVecELm0EEEvRKNS_6TensorESA_lllENKUlvE0_clEvENKUlvE_clEvEUliE_St5arrayIPcLm2EEEEviT0_T1_,"axG",@progbits,_ZN2at6native29vectorized_elementwise_kernelILi16EZZZNS0_12_GLOBAL__N_142_validate_compressed_sparse_indices_kernelILNS2_8CDimNameE0ENS2_18CUDAKernelLauncherENS2_14EmptyVecKernelENS2_8DummyVecELm0EEEvRKNS_6TensorESA_lllENKUlvE0_clEvENKUlvE_clEvEUliE_St5arrayIPcLm2EEEEviT0_T1_,comdat
.Lfunc_end32:
	.size	_ZN2at6native29vectorized_elementwise_kernelILi16EZZZNS0_12_GLOBAL__N_142_validate_compressed_sparse_indices_kernelILNS2_8CDimNameE0ENS2_18CUDAKernelLauncherENS2_14EmptyVecKernelENS2_8DummyVecELm0EEEvRKNS_6TensorESA_lllENKUlvE0_clEvENKUlvE_clEvEUliE_St5arrayIPcLm2EEEEviT0_T1_, .Lfunc_end32-_ZN2at6native29vectorized_elementwise_kernelILi16EZZZNS0_12_GLOBAL__N_142_validate_compressed_sparse_indices_kernelILNS2_8CDimNameE0ENS2_18CUDAKernelLauncherENS2_14EmptyVecKernelENS2_8DummyVecELm0EEEvRKNS_6TensorESA_lllENKUlvE0_clEvENKUlvE_clEvEUliE_St5arrayIPcLm2EEEEviT0_T1_
                                        ; -- End function
	.set _ZN2at6native29vectorized_elementwise_kernelILi16EZZZNS0_12_GLOBAL__N_142_validate_compressed_sparse_indices_kernelILNS2_8CDimNameE0ENS2_18CUDAKernelLauncherENS2_14EmptyVecKernelENS2_8DummyVecELm0EEEvRKNS_6TensorESA_lllENKUlvE0_clEvENKUlvE_clEvEUliE_St5arrayIPcLm2EEEEviT0_T1_.num_vgpr, 9
	.set _ZN2at6native29vectorized_elementwise_kernelILi16EZZZNS0_12_GLOBAL__N_142_validate_compressed_sparse_indices_kernelILNS2_8CDimNameE0ENS2_18CUDAKernelLauncherENS2_14EmptyVecKernelENS2_8DummyVecELm0EEEvRKNS_6TensorESA_lllENKUlvE0_clEvENKUlvE_clEvEUliE_St5arrayIPcLm2EEEEviT0_T1_.num_agpr, 0
	.set _ZN2at6native29vectorized_elementwise_kernelILi16EZZZNS0_12_GLOBAL__N_142_validate_compressed_sparse_indices_kernelILNS2_8CDimNameE0ENS2_18CUDAKernelLauncherENS2_14EmptyVecKernelENS2_8DummyVecELm0EEEvRKNS_6TensorESA_lllENKUlvE0_clEvENKUlvE_clEvEUliE_St5arrayIPcLm2EEEEviT0_T1_.numbered_sgpr, 22
	.set _ZN2at6native29vectorized_elementwise_kernelILi16EZZZNS0_12_GLOBAL__N_142_validate_compressed_sparse_indices_kernelILNS2_8CDimNameE0ENS2_18CUDAKernelLauncherENS2_14EmptyVecKernelENS2_8DummyVecELm0EEEvRKNS_6TensorESA_lllENKUlvE0_clEvENKUlvE_clEvEUliE_St5arrayIPcLm2EEEEviT0_T1_.num_named_barrier, 0
	.set _ZN2at6native29vectorized_elementwise_kernelILi16EZZZNS0_12_GLOBAL__N_142_validate_compressed_sparse_indices_kernelILNS2_8CDimNameE0ENS2_18CUDAKernelLauncherENS2_14EmptyVecKernelENS2_8DummyVecELm0EEEvRKNS_6TensorESA_lllENKUlvE0_clEvENKUlvE_clEvEUliE_St5arrayIPcLm2EEEEviT0_T1_.private_seg_size, 0
	.set _ZN2at6native29vectorized_elementwise_kernelILi16EZZZNS0_12_GLOBAL__N_142_validate_compressed_sparse_indices_kernelILNS2_8CDimNameE0ENS2_18CUDAKernelLauncherENS2_14EmptyVecKernelENS2_8DummyVecELm0EEEvRKNS_6TensorESA_lllENKUlvE0_clEvENKUlvE_clEvEUliE_St5arrayIPcLm2EEEEviT0_T1_.uses_vcc, 1
	.set _ZN2at6native29vectorized_elementwise_kernelILi16EZZZNS0_12_GLOBAL__N_142_validate_compressed_sparse_indices_kernelILNS2_8CDimNameE0ENS2_18CUDAKernelLauncherENS2_14EmptyVecKernelENS2_8DummyVecELm0EEEvRKNS_6TensorESA_lllENKUlvE0_clEvENKUlvE_clEvEUliE_St5arrayIPcLm2EEEEviT0_T1_.uses_flat_scratch, 0
	.set _ZN2at6native29vectorized_elementwise_kernelILi16EZZZNS0_12_GLOBAL__N_142_validate_compressed_sparse_indices_kernelILNS2_8CDimNameE0ENS2_18CUDAKernelLauncherENS2_14EmptyVecKernelENS2_8DummyVecELm0EEEvRKNS_6TensorESA_lllENKUlvE0_clEvENKUlvE_clEvEUliE_St5arrayIPcLm2EEEEviT0_T1_.has_dyn_sized_stack, 0
	.set _ZN2at6native29vectorized_elementwise_kernelILi16EZZZNS0_12_GLOBAL__N_142_validate_compressed_sparse_indices_kernelILNS2_8CDimNameE0ENS2_18CUDAKernelLauncherENS2_14EmptyVecKernelENS2_8DummyVecELm0EEEvRKNS_6TensorESA_lllENKUlvE0_clEvENKUlvE_clEvEUliE_St5arrayIPcLm2EEEEviT0_T1_.has_recursion, 0
	.set _ZN2at6native29vectorized_elementwise_kernelILi16EZZZNS0_12_GLOBAL__N_142_validate_compressed_sparse_indices_kernelILNS2_8CDimNameE0ENS2_18CUDAKernelLauncherENS2_14EmptyVecKernelENS2_8DummyVecELm0EEEvRKNS_6TensorESA_lllENKUlvE0_clEvENKUlvE_clEvEUliE_St5arrayIPcLm2EEEEviT0_T1_.has_indirect_call, 0
	.section	.AMDGPU.csdata,"",@progbits
; Kernel info:
; codeLenInByte = 1384
; TotalNumSgprs: 24
; NumVgprs: 9
; ScratchSize: 0
; MemoryBound: 0
; FloatMode: 240
; IeeeMode: 1
; LDSByteSize: 0 bytes/workgroup (compile time only)
; SGPRBlocks: 0
; VGPRBlocks: 0
; NumSGPRsForWavesPerEU: 24
; NumVGPRsForWavesPerEU: 9
; NamedBarCnt: 0
; Occupancy: 16
; WaveLimiterHint : 0
; COMPUTE_PGM_RSRC2:SCRATCH_EN: 0
; COMPUTE_PGM_RSRC2:USER_SGPR: 2
; COMPUTE_PGM_RSRC2:TRAP_HANDLER: 0
; COMPUTE_PGM_RSRC2:TGID_X_EN: 1
; COMPUTE_PGM_RSRC2:TGID_Y_EN: 0
; COMPUTE_PGM_RSRC2:TGID_Z_EN: 0
; COMPUTE_PGM_RSRC2:TIDIG_COMP_CNT: 0
	.section	.text._ZN2at6native29vectorized_elementwise_kernelILi8EZZZNS0_12_GLOBAL__N_142_validate_compressed_sparse_indices_kernelILNS2_8CDimNameE0ENS2_18CUDAKernelLauncherENS2_14EmptyVecKernelENS2_8DummyVecELm0EEEvRKNS_6TensorESA_lllENKUlvE0_clEvENKUlvE_clEvEUliE_St5arrayIPcLm2EEEEviT0_T1_,"axG",@progbits,_ZN2at6native29vectorized_elementwise_kernelILi8EZZZNS0_12_GLOBAL__N_142_validate_compressed_sparse_indices_kernelILNS2_8CDimNameE0ENS2_18CUDAKernelLauncherENS2_14EmptyVecKernelENS2_8DummyVecELm0EEEvRKNS_6TensorESA_lllENKUlvE0_clEvENKUlvE_clEvEUliE_St5arrayIPcLm2EEEEviT0_T1_,comdat
	.globl	_ZN2at6native29vectorized_elementwise_kernelILi8EZZZNS0_12_GLOBAL__N_142_validate_compressed_sparse_indices_kernelILNS2_8CDimNameE0ENS2_18CUDAKernelLauncherENS2_14EmptyVecKernelENS2_8DummyVecELm0EEEvRKNS_6TensorESA_lllENKUlvE0_clEvENKUlvE_clEvEUliE_St5arrayIPcLm2EEEEviT0_T1_ ; -- Begin function _ZN2at6native29vectorized_elementwise_kernelILi8EZZZNS0_12_GLOBAL__N_142_validate_compressed_sparse_indices_kernelILNS2_8CDimNameE0ENS2_18CUDAKernelLauncherENS2_14EmptyVecKernelENS2_8DummyVecELm0EEEvRKNS_6TensorESA_lllENKUlvE0_clEvENKUlvE_clEvEUliE_St5arrayIPcLm2EEEEviT0_T1_
	.p2align	8
	.type	_ZN2at6native29vectorized_elementwise_kernelILi8EZZZNS0_12_GLOBAL__N_142_validate_compressed_sparse_indices_kernelILNS2_8CDimNameE0ENS2_18CUDAKernelLauncherENS2_14EmptyVecKernelENS2_8DummyVecELm0EEEvRKNS_6TensorESA_lllENKUlvE0_clEvENKUlvE_clEvEUliE_St5arrayIPcLm2EEEEviT0_T1_,@function
_ZN2at6native29vectorized_elementwise_kernelILi8EZZZNS0_12_GLOBAL__N_142_validate_compressed_sparse_indices_kernelILNS2_8CDimNameE0ENS2_18CUDAKernelLauncherENS2_14EmptyVecKernelENS2_8DummyVecELm0EEEvRKNS_6TensorESA_lllENKUlvE0_clEvENKUlvE_clEvEUliE_St5arrayIPcLm2EEEEviT0_T1_: ; @_ZN2at6native29vectorized_elementwise_kernelILi8EZZZNS0_12_GLOBAL__N_142_validate_compressed_sparse_indices_kernelILNS2_8CDimNameE0ENS2_18CUDAKernelLauncherENS2_14EmptyVecKernelENS2_8DummyVecELm0EEEvRKNS_6TensorESA_lllENKUlvE0_clEvENKUlvE_clEvEUliE_St5arrayIPcLm2EEEEviT0_T1_
; %bb.0:
	s_clause 0x3
	s_load_b32 s3, s[0:1], 0x0
	s_load_b32 s16, s[0:1], 0x8
	s_load_b128 s[4:7], s[0:1], 0x10
	s_load_b64 s[10:11], s[0:1], 0x20
	s_wait_xcnt 0x0
	s_bfe_u32 s0, ttmp6, 0x4000c
	s_and_b32 s1, ttmp6, 15
	s_add_co_i32 s0, s0, 1
	s_getreg_b32 s2, hwreg(HW_REG_IB_STS2, 6, 4)
	s_mul_i32 s0, ttmp9, s0
	s_mov_b32 s17, 0
	s_add_co_i32 s1, s1, s0
	s_cmp_eq_u32 s2, 0
	s_get_pc_i64 s[8:9]
	s_add_nc_u64 s[8:9], s[8:9], .str@rel64+4
	s_cselect_b32 s0, ttmp9, s1
	s_mov_b32 s1, 0
	s_lshl_b32 s2, s0, 10
	s_mov_b32 s0, -1
	s_wait_kmcnt 0x0
	s_sub_co_i32 s5, s3, s2
	s_delay_alu instid0(SALU_CYCLE_1)
	s_cmp_gt_i32 s5, 0x3ff
	s_cbranch_scc0 .LBB33_13
; %bb.1:
	s_cmp_eq_u64 s[8:9], 0
	s_cselect_b32 s3, -1, 0
	s_cmp_lg_u64 s[8:9], 0
	s_cbranch_scc0 .LBB33_11
; %bb.2:
	s_ashr_i32 s3, s2, 31
	v_lshlrev_b32_e32 v2, 4, v0
	s_lshl_b64 s[12:13], s[2:3], 2
	s_delay_alu instid0(SALU_CYCLE_1)
	s_add_nc_u64 s[14:15], s[10:11], s[12:13]
	global_load_b32 v1, v2, s[14:15]
	s_wait_loadcnt 0x0
	v_cmp_le_i32_e32 vcc_lo, s16, v1
	v_cmp_gt_i32_e64 s0, s4, v1
	s_and_b32 s0, vcc_lo, s0
	s_delay_alu instid0(SALU_CYCLE_1)
	s_xor_b32 s3, s0, -1
	s_and_saveexec_b32 s1, s0
	s_cbranch_execz .LBB33_10
; %bb.3:
	v_mov_b32_e32 v3, 0
	s_delay_alu instid0(VALU_DEP_1)
	v_add_nc_u64_e32 v[2:3], s[14:15], v[2:3]
	global_load_b96 v[2:4], v[2:3], off offset:4
	s_wait_loadcnt 0x0
	v_cmp_le_i32_e32 vcc_lo, s16, v2
	v_cmp_gt_i32_e64 s0, s4, v2
	s_and_b32 s0, vcc_lo, s0
	s_delay_alu instid0(SALU_CYCLE_1)
	s_xor_b32 s14, s0, -1
	s_and_saveexec_b32 s15, s0
	s_cbranch_execz .LBB33_9
; %bb.4:
	v_cmp_le_i32_e32 vcc_lo, s16, v3
	v_cmp_gt_i32_e64 s0, s4, v3
	s_mov_b32 s20, -1
	s_and_b32 s0, vcc_lo, s0
	s_delay_alu instid0(SALU_CYCLE_1)
	s_xor_b32 s18, s0, -1
	s_and_saveexec_b32 s19, s0
	s_cbranch_execz .LBB33_8
; %bb.5:
	v_cmp_le_i32_e32 vcc_lo, s16, v4
	v_cmp_gt_i32_e64 s0, s4, v4
	s_and_b32 s0, vcc_lo, s0
	s_delay_alu instid0(SALU_CYCLE_1) | instskip(NEXT) | instid1(SALU_CYCLE_1)
	s_and_saveexec_b32 s21, s0
	s_xor_b32 s0, exec_lo, s21
; %bb.6:
	v_mov_b32_e32 v2, 0
	s_add_nc_u64 s[12:13], s[6:7], s[12:13]
	s_xor_b32 s20, exec_lo, -1
	s_delay_alu instid0(VALU_DEP_1)
	v_dual_mov_b32 v3, v2 :: v_dual_mov_b32 v4, v2
	v_mov_b32_e32 v5, v2
	global_store_b128 v0, v[2:5], s[12:13] scale_offset
; %bb.7:
	s_wait_xcnt 0x0
	s_or_b32 exec_lo, exec_lo, s0
	s_delay_alu instid0(SALU_CYCLE_1) | instskip(SKIP_1) | instid1(SALU_CYCLE_1)
	s_and_not1_b32 s0, s18, exec_lo
	s_and_b32 s12, s20, exec_lo
	s_or_b32 s18, s0, s12
.LBB33_8:
	s_or_b32 exec_lo, exec_lo, s19
	s_delay_alu instid0(SALU_CYCLE_1) | instskip(SKIP_1) | instid1(SALU_CYCLE_1)
	s_and_not1_b32 s0, s14, exec_lo
	s_and_b32 s12, s18, exec_lo
	s_or_b32 s14, s0, s12
.LBB33_9:
	s_or_b32 exec_lo, exec_lo, s15
	s_delay_alu instid0(SALU_CYCLE_1) | instskip(SKIP_1) | instid1(SALU_CYCLE_1)
	s_and_not1_b32 s0, s3, exec_lo
	s_and_b32 s3, s14, exec_lo
	s_or_b32 s3, s0, s3
.LBB33_10:
	s_or_b32 exec_lo, exec_lo, s1
.LBB33_11:
	s_mov_b32 s0, 0
	s_mov_b32 s1, 0
	s_and_saveexec_b32 s12, s3
	s_delay_alu instid0(SALU_CYCLE_1)
	s_xor_b32 s3, exec_lo, s12
	s_cbranch_execnz .LBB33_48
.LBB33_12:
	s_or_b32 exec_lo, exec_lo, s3
.LBB33_13:
	s_delay_alu instid0(SALU_CYCLE_1)
	s_and_b32 vcc_lo, exec_lo, s0
	s_cbranch_vccz .LBB33_37
; %bb.14:
	v_cmp_le_i32_e64 s13, s5, v0
	v_cmp_gt_i32_e64 s3, s5, v0
	v_dual_mov_b32 v1, 0 :: v_dual_mov_b32 v3, 0
	v_or_b32_e32 v7, 0x100, v0
	v_dual_mov_b32 v6, 0 :: v_dual_mov_b32 v8, 0
	s_and_saveexec_b32 s0, s3
	s_cbranch_execz .LBB33_22
; %bb.15:
	v_dual_mov_b32 v6, 0 :: v_dual_bitop2_b32 v1, s2, v0 bitop3:0x54
	v_mov_b32_e32 v3, 0
	s_mov_b32 s12, exec_lo
	global_load_b32 v8, v1, s[10:11] scale_offset
	s_wait_xcnt 0x0
	v_mov_b32_e32 v1, 0
	v_cmpx_gt_u32_e64 s5, v7
	s_cbranch_execz .LBB33_21
; %bb.16:
	v_dual_mov_b32 v3, 0 :: v_dual_add_nc_u32 v2, s2, v0
	v_or_b32_e32 v1, 0x200, v0
	global_load_b32 v6, v2, s[10:11] offset:1024 scale_offset
	v_cmp_gt_u32_e32 vcc_lo, s5, v1
	v_mov_b32_e32 v1, 0
	s_wait_xcnt 0x0
	s_and_saveexec_b32 s14, vcc_lo
	s_cbranch_execz .LBB33_20
; %bb.17:
	v_lshl_add_u64 v[4:5], v[2:3], 2, s[10:11]
	v_or_b32_e32 v1, 0x300, v0
	s_mov_b32 s10, exec_lo
	global_load_b32 v2, v[4:5], off offset:2048
	s_wait_xcnt 0x0
	v_cmpx_gt_u32_e64 s5, v1
	s_cbranch_execz .LBB33_19
; %bb.18:
	global_load_b32 v3, v[4:5], off offset:3072
.LBB33_19:
	s_wait_xcnt 0x0
	s_or_b32 exec_lo, exec_lo, s10
	s_wait_loadcnt 0x0
	v_dual_mov_b32 v1, v3 :: v_dual_mov_b32 v3, v2
.LBB33_20:
	s_or_b32 exec_lo, exec_lo, s14
.LBB33_21:
	s_delay_alu instid0(SALU_CYCLE_1)
	s_or_b32 exec_lo, exec_lo, s12
.LBB33_22:
	s_delay_alu instid0(SALU_CYCLE_1)
	s_or_b32 exec_lo, exec_lo, s0
	s_cmp_lg_u64 s[8:9], 0
	s_mov_b32 s10, 0
	s_cselect_b32 s14, -1, 0
	s_and_saveexec_b32 s8, s3
	s_cbranch_execz .LBB33_24
; %bb.23:
	s_wait_loadcnt 0x0
	v_cmp_le_i32_e32 vcc_lo, s16, v8
	v_cmp_gt_i32_e64 s0, s4, v8
	s_and_not1_b32 s9, s13, exec_lo
	s_mov_b32 s10, exec_lo
	s_and_b32 s0, vcc_lo, s0
	s_delay_alu instid0(SALU_CYCLE_1) | instskip(NEXT) | instid1(SALU_CYCLE_1)
	s_and_b32 s0, s14, s0
	s_and_b32 s0, s0, exec_lo
	s_delay_alu instid0(SALU_CYCLE_1)
	s_or_b32 s13, s9, s0
.LBB33_24:
	s_or_b32 exec_lo, exec_lo, s8
                                        ; implicit-def: $sgpr8
                                        ; implicit-def: $sgpr9
                                        ; implicit-def: $sgpr11
	s_and_saveexec_b32 s12, s13
	s_cbranch_execz .LBB33_46
; %bb.25:
	v_cmp_le_i32_e64 s18, s5, v7
	v_cmp_gt_i32_e64 s8, s5, v7
	s_mov_b32 s13, 0
	s_and_saveexec_b32 s9, s8
	s_cbranch_execz .LBB33_27
; %bb.26:
	s_wait_loadcnt 0x0
	v_cmp_le_i32_e32 vcc_lo, s16, v6
	v_cmp_gt_i32_e64 s0, s4, v6
	s_and_not1_b32 s11, s18, exec_lo
	s_mov_b32 s13, exec_lo
	s_and_b32 s0, vcc_lo, s0
	s_delay_alu instid0(SALU_CYCLE_1) | instskip(NEXT) | instid1(SALU_CYCLE_1)
	s_and_b32 s0, s14, s0
	s_and_b32 s0, s0, exec_lo
	s_delay_alu instid0(SALU_CYCLE_1)
	s_or_b32 s18, s11, s0
.LBB33_27:
	s_or_b32 exec_lo, exec_lo, s9
                                        ; implicit-def: $sgpr9
                                        ; implicit-def: $sgpr11
	s_and_saveexec_b32 s15, s18
	s_cbranch_execz .LBB33_35
; %bb.28:
	v_or_b32_e32 v2, 0x200, v0
	s_mov_b32 s18, 0
	s_delay_alu instid0(VALU_DEP_1)
	v_cmp_le_i32_e64 s20, s5, v2
	v_cmp_gt_i32_e64 s9, s5, v2
	s_and_saveexec_b32 s11, s9
; %bb.29:
	v_cmp_le_i32_e32 vcc_lo, s16, v3
	v_cmp_gt_i32_e64 s0, s4, v3
	s_and_not1_b32 s19, s20, exec_lo
	s_mov_b32 s17, exec_lo
	s_and_b32 s0, vcc_lo, s0
	s_delay_alu instid0(SALU_CYCLE_1) | instskip(NEXT) | instid1(SALU_CYCLE_1)
	s_and_b32 s0, s14, s0
	s_and_b32 s0, s0, exec_lo
	s_delay_alu instid0(SALU_CYCLE_1)
	s_or_b32 s20, s19, s0
; %bb.30:
	s_or_b32 exec_lo, exec_lo, s11
                                        ; implicit-def: $sgpr11
	s_and_saveexec_b32 s19, s20
	s_cbranch_execz .LBB33_34
; %bb.31:
	v_or_b32_e32 v2, 0x300, v0
	s_mov_b32 s0, 0
	s_delay_alu instid0(VALU_DEP_1) | instskip(SKIP_2) | instid1(SALU_CYCLE_1)
	v_cmp_le_i32_e64 s18, s5, v2
	v_cmp_gt_i32_e64 s11, s5, v2
	s_and_saveexec_b32 s5, s11
	s_xor_b32 s5, exec_lo, s5
; %bb.32:
	v_cmp_le_i32_e32 vcc_lo, s16, v1
	v_cmp_gt_i32_e64 s0, s4, v1
	s_or_b32 s18, s18, exec_lo
	s_and_b32 s0, vcc_lo, s0
	s_delay_alu instid0(SALU_CYCLE_1) | instskip(NEXT) | instid1(SALU_CYCLE_1)
	s_and_b32 s0, s14, s0
	s_xor_b32 s0, s0, -1
	s_delay_alu instid0(SALU_CYCLE_1)
	s_and_b32 s0, s0, exec_lo
; %bb.33:
	s_or_b32 exec_lo, exec_lo, s5
	s_delay_alu instid0(SALU_CYCLE_1)
	s_and_not1_b32 s4, s17, exec_lo
	s_and_b32 s0, s0, exec_lo
	s_and_b32 s18, s18, exec_lo
	s_or_b32 s17, s4, s0
.LBB33_34:
	s_or_b32 exec_lo, exec_lo, s19
	s_delay_alu instid0(SALU_CYCLE_1)
	s_and_not1_b32 s0, s13, exec_lo
	s_and_b32 s4, s17, exec_lo
	s_and_b32 s17, s18, exec_lo
	s_or_b32 s13, s0, s4
.LBB33_35:
	s_or_b32 exec_lo, exec_lo, s15
	s_delay_alu instid0(SALU_CYCLE_1)
	s_and_not1_b32 s0, s10, exec_lo
	s_and_b32 s4, s13, exec_lo
	s_and_b32 s17, s17, exec_lo
	s_or_b32 s10, s0, s4
	s_or_b32 exec_lo, exec_lo, s12
	s_and_saveexec_b32 s0, s10
	s_cbranch_execz .LBB33_47
.LBB33_36:
	s_and_not1_b32 s17, s17, exec_lo
	s_or_b32 s1, s1, exec_lo
	s_trap 2
	s_or_b32 exec_lo, exec_lo, s0
	s_and_saveexec_b32 s0, s1
	s_cbranch_execnz .LBB33_38
	s_branch .LBB33_39
.LBB33_37:
                                        ; implicit-def: $sgpr3
                                        ; implicit-def: $sgpr8
                                        ; implicit-def: $sgpr9
                                        ; implicit-def: $sgpr11
                                        ; implicit-def: $vgpr0
	s_and_saveexec_b32 s0, s1
.LBB33_38:
	; divergent unreachable
.LBB33_39:
	s_delay_alu instid0(SALU_CYCLE_1)
	s_or_b32 exec_lo, exec_lo, s0
	s_and_saveexec_b32 s0, s17
	s_cbranch_execz .LBB33_45
; %bb.40:
	s_and_b32 exec_lo, exec_lo, s3
	s_cbranch_execz .LBB33_45
; %bb.41:
	v_dual_mov_b32 v1, 0 :: v_dual_bitop2_b32 v2, s2, v0 bitop3:0x54
	global_store_b32 v2, v1, s[6:7] scale_offset
	s_wait_xcnt 0x0
	s_and_b32 exec_lo, exec_lo, s8
	s_cbranch_execz .LBB33_45
; %bb.42:
	v_add_nc_u32_e32 v0, s2, v0
	global_store_b32 v0, v1, s[6:7] offset:1024 scale_offset
	s_wait_xcnt 0x0
	s_and_b32 exec_lo, exec_lo, s9
	s_cbranch_execz .LBB33_45
; %bb.43:
	v_lshl_add_u64 v[0:1], v[0:1], 2, s[6:7]
	v_mov_b32_e32 v2, 0
	global_store_b32 v[0:1], v2, off offset:2048
	s_wait_xcnt 0x0
	s_and_b32 exec_lo, exec_lo, s11
	s_cbranch_execz .LBB33_45
; %bb.44:
	global_store_b32 v[0:1], v2, off offset:3072
.LBB33_45:
	s_endpgm
.LBB33_46:
	s_or_b32 exec_lo, exec_lo, s12
	s_and_saveexec_b32 s0, s10
	s_cbranch_execnz .LBB33_36
.LBB33_47:
	s_or_b32 exec_lo, exec_lo, s0
	s_and_saveexec_b32 s0, s1
	s_cbranch_execnz .LBB33_38
	s_branch .LBB33_39
.LBB33_48:
	s_mov_b32 s1, exec_lo
	s_trap 2
	s_branch .LBB33_12
	.section	.rodata,"a",@progbits
	.p2align	6, 0x0
	.amdhsa_kernel _ZN2at6native29vectorized_elementwise_kernelILi8EZZZNS0_12_GLOBAL__N_142_validate_compressed_sparse_indices_kernelILNS2_8CDimNameE0ENS2_18CUDAKernelLauncherENS2_14EmptyVecKernelENS2_8DummyVecELm0EEEvRKNS_6TensorESA_lllENKUlvE0_clEvENKUlvE_clEvEUliE_St5arrayIPcLm2EEEEviT0_T1_
		.amdhsa_group_segment_fixed_size 0
		.amdhsa_private_segment_fixed_size 0
		.amdhsa_kernarg_size 40
		.amdhsa_user_sgpr_count 2
		.amdhsa_user_sgpr_dispatch_ptr 0
		.amdhsa_user_sgpr_queue_ptr 0
		.amdhsa_user_sgpr_kernarg_segment_ptr 1
		.amdhsa_user_sgpr_dispatch_id 0
		.amdhsa_user_sgpr_kernarg_preload_length 0
		.amdhsa_user_sgpr_kernarg_preload_offset 0
		.amdhsa_user_sgpr_private_segment_size 0
		.amdhsa_wavefront_size32 1
		.amdhsa_uses_dynamic_stack 0
		.amdhsa_enable_private_segment 0
		.amdhsa_system_sgpr_workgroup_id_x 1
		.amdhsa_system_sgpr_workgroup_id_y 0
		.amdhsa_system_sgpr_workgroup_id_z 0
		.amdhsa_system_sgpr_workgroup_info 0
		.amdhsa_system_vgpr_workitem_id 0
		.amdhsa_next_free_vgpr 9
		.amdhsa_next_free_sgpr 22
		.amdhsa_named_barrier_count 0
		.amdhsa_reserve_vcc 1
		.amdhsa_float_round_mode_32 0
		.amdhsa_float_round_mode_16_64 0
		.amdhsa_float_denorm_mode_32 3
		.amdhsa_float_denorm_mode_16_64 3
		.amdhsa_fp16_overflow 0
		.amdhsa_memory_ordered 1
		.amdhsa_forward_progress 1
		.amdhsa_inst_pref_size 11
		.amdhsa_round_robin_scheduling 0
		.amdhsa_exception_fp_ieee_invalid_op 0
		.amdhsa_exception_fp_denorm_src 0
		.amdhsa_exception_fp_ieee_div_zero 0
		.amdhsa_exception_fp_ieee_overflow 0
		.amdhsa_exception_fp_ieee_underflow 0
		.amdhsa_exception_fp_ieee_inexact 0
		.amdhsa_exception_int_div_zero 0
	.end_amdhsa_kernel
	.section	.text._ZN2at6native29vectorized_elementwise_kernelILi8EZZZNS0_12_GLOBAL__N_142_validate_compressed_sparse_indices_kernelILNS2_8CDimNameE0ENS2_18CUDAKernelLauncherENS2_14EmptyVecKernelENS2_8DummyVecELm0EEEvRKNS_6TensorESA_lllENKUlvE0_clEvENKUlvE_clEvEUliE_St5arrayIPcLm2EEEEviT0_T1_,"axG",@progbits,_ZN2at6native29vectorized_elementwise_kernelILi8EZZZNS0_12_GLOBAL__N_142_validate_compressed_sparse_indices_kernelILNS2_8CDimNameE0ENS2_18CUDAKernelLauncherENS2_14EmptyVecKernelENS2_8DummyVecELm0EEEvRKNS_6TensorESA_lllENKUlvE0_clEvENKUlvE_clEvEUliE_St5arrayIPcLm2EEEEviT0_T1_,comdat
.Lfunc_end33:
	.size	_ZN2at6native29vectorized_elementwise_kernelILi8EZZZNS0_12_GLOBAL__N_142_validate_compressed_sparse_indices_kernelILNS2_8CDimNameE0ENS2_18CUDAKernelLauncherENS2_14EmptyVecKernelENS2_8DummyVecELm0EEEvRKNS_6TensorESA_lllENKUlvE0_clEvENKUlvE_clEvEUliE_St5arrayIPcLm2EEEEviT0_T1_, .Lfunc_end33-_ZN2at6native29vectorized_elementwise_kernelILi8EZZZNS0_12_GLOBAL__N_142_validate_compressed_sparse_indices_kernelILNS2_8CDimNameE0ENS2_18CUDAKernelLauncherENS2_14EmptyVecKernelENS2_8DummyVecELm0EEEvRKNS_6TensorESA_lllENKUlvE0_clEvENKUlvE_clEvEUliE_St5arrayIPcLm2EEEEviT0_T1_
                                        ; -- End function
	.set _ZN2at6native29vectorized_elementwise_kernelILi8EZZZNS0_12_GLOBAL__N_142_validate_compressed_sparse_indices_kernelILNS2_8CDimNameE0ENS2_18CUDAKernelLauncherENS2_14EmptyVecKernelENS2_8DummyVecELm0EEEvRKNS_6TensorESA_lllENKUlvE0_clEvENKUlvE_clEvEUliE_St5arrayIPcLm2EEEEviT0_T1_.num_vgpr, 9
	.set _ZN2at6native29vectorized_elementwise_kernelILi8EZZZNS0_12_GLOBAL__N_142_validate_compressed_sparse_indices_kernelILNS2_8CDimNameE0ENS2_18CUDAKernelLauncherENS2_14EmptyVecKernelENS2_8DummyVecELm0EEEvRKNS_6TensorESA_lllENKUlvE0_clEvENKUlvE_clEvEUliE_St5arrayIPcLm2EEEEviT0_T1_.num_agpr, 0
	.set _ZN2at6native29vectorized_elementwise_kernelILi8EZZZNS0_12_GLOBAL__N_142_validate_compressed_sparse_indices_kernelILNS2_8CDimNameE0ENS2_18CUDAKernelLauncherENS2_14EmptyVecKernelENS2_8DummyVecELm0EEEvRKNS_6TensorESA_lllENKUlvE0_clEvENKUlvE_clEvEUliE_St5arrayIPcLm2EEEEviT0_T1_.numbered_sgpr, 22
	.set _ZN2at6native29vectorized_elementwise_kernelILi8EZZZNS0_12_GLOBAL__N_142_validate_compressed_sparse_indices_kernelILNS2_8CDimNameE0ENS2_18CUDAKernelLauncherENS2_14EmptyVecKernelENS2_8DummyVecELm0EEEvRKNS_6TensorESA_lllENKUlvE0_clEvENKUlvE_clEvEUliE_St5arrayIPcLm2EEEEviT0_T1_.num_named_barrier, 0
	.set _ZN2at6native29vectorized_elementwise_kernelILi8EZZZNS0_12_GLOBAL__N_142_validate_compressed_sparse_indices_kernelILNS2_8CDimNameE0ENS2_18CUDAKernelLauncherENS2_14EmptyVecKernelENS2_8DummyVecELm0EEEvRKNS_6TensorESA_lllENKUlvE0_clEvENKUlvE_clEvEUliE_St5arrayIPcLm2EEEEviT0_T1_.private_seg_size, 0
	.set _ZN2at6native29vectorized_elementwise_kernelILi8EZZZNS0_12_GLOBAL__N_142_validate_compressed_sparse_indices_kernelILNS2_8CDimNameE0ENS2_18CUDAKernelLauncherENS2_14EmptyVecKernelENS2_8DummyVecELm0EEEvRKNS_6TensorESA_lllENKUlvE0_clEvENKUlvE_clEvEUliE_St5arrayIPcLm2EEEEviT0_T1_.uses_vcc, 1
	.set _ZN2at6native29vectorized_elementwise_kernelILi8EZZZNS0_12_GLOBAL__N_142_validate_compressed_sparse_indices_kernelILNS2_8CDimNameE0ENS2_18CUDAKernelLauncherENS2_14EmptyVecKernelENS2_8DummyVecELm0EEEvRKNS_6TensorESA_lllENKUlvE0_clEvENKUlvE_clEvEUliE_St5arrayIPcLm2EEEEviT0_T1_.uses_flat_scratch, 0
	.set _ZN2at6native29vectorized_elementwise_kernelILi8EZZZNS0_12_GLOBAL__N_142_validate_compressed_sparse_indices_kernelILNS2_8CDimNameE0ENS2_18CUDAKernelLauncherENS2_14EmptyVecKernelENS2_8DummyVecELm0EEEvRKNS_6TensorESA_lllENKUlvE0_clEvENKUlvE_clEvEUliE_St5arrayIPcLm2EEEEviT0_T1_.has_dyn_sized_stack, 0
	.set _ZN2at6native29vectorized_elementwise_kernelILi8EZZZNS0_12_GLOBAL__N_142_validate_compressed_sparse_indices_kernelILNS2_8CDimNameE0ENS2_18CUDAKernelLauncherENS2_14EmptyVecKernelENS2_8DummyVecELm0EEEvRKNS_6TensorESA_lllENKUlvE0_clEvENKUlvE_clEvEUliE_St5arrayIPcLm2EEEEviT0_T1_.has_recursion, 0
	.set _ZN2at6native29vectorized_elementwise_kernelILi8EZZZNS0_12_GLOBAL__N_142_validate_compressed_sparse_indices_kernelILNS2_8CDimNameE0ENS2_18CUDAKernelLauncherENS2_14EmptyVecKernelENS2_8DummyVecELm0EEEvRKNS_6TensorESA_lllENKUlvE0_clEvENKUlvE_clEvEUliE_St5arrayIPcLm2EEEEviT0_T1_.has_indirect_call, 0
	.section	.AMDGPU.csdata,"",@progbits
; Kernel info:
; codeLenInByte = 1384
; TotalNumSgprs: 24
; NumVgprs: 9
; ScratchSize: 0
; MemoryBound: 0
; FloatMode: 240
; IeeeMode: 1
; LDSByteSize: 0 bytes/workgroup (compile time only)
; SGPRBlocks: 0
; VGPRBlocks: 0
; NumSGPRsForWavesPerEU: 24
; NumVGPRsForWavesPerEU: 9
; NamedBarCnt: 0
; Occupancy: 16
; WaveLimiterHint : 0
; COMPUTE_PGM_RSRC2:SCRATCH_EN: 0
; COMPUTE_PGM_RSRC2:USER_SGPR: 2
; COMPUTE_PGM_RSRC2:TRAP_HANDLER: 0
; COMPUTE_PGM_RSRC2:TGID_X_EN: 1
; COMPUTE_PGM_RSRC2:TGID_Y_EN: 0
; COMPUTE_PGM_RSRC2:TGID_Z_EN: 0
; COMPUTE_PGM_RSRC2:TIDIG_COMP_CNT: 0
	.section	.text._ZN2at6native29vectorized_elementwise_kernelILi4EZZZNS0_12_GLOBAL__N_142_validate_compressed_sparse_indices_kernelILNS2_8CDimNameE0ENS2_18CUDAKernelLauncherENS2_14EmptyVecKernelENS2_8DummyVecELm0EEEvRKNS_6TensorESA_lllENKUlvE0_clEvENKUlvE_clEvEUliE_St5arrayIPcLm2EEEEviT0_T1_,"axG",@progbits,_ZN2at6native29vectorized_elementwise_kernelILi4EZZZNS0_12_GLOBAL__N_142_validate_compressed_sparse_indices_kernelILNS2_8CDimNameE0ENS2_18CUDAKernelLauncherENS2_14EmptyVecKernelENS2_8DummyVecELm0EEEvRKNS_6TensorESA_lllENKUlvE0_clEvENKUlvE_clEvEUliE_St5arrayIPcLm2EEEEviT0_T1_,comdat
	.globl	_ZN2at6native29vectorized_elementwise_kernelILi4EZZZNS0_12_GLOBAL__N_142_validate_compressed_sparse_indices_kernelILNS2_8CDimNameE0ENS2_18CUDAKernelLauncherENS2_14EmptyVecKernelENS2_8DummyVecELm0EEEvRKNS_6TensorESA_lllENKUlvE0_clEvENKUlvE_clEvEUliE_St5arrayIPcLm2EEEEviT0_T1_ ; -- Begin function _ZN2at6native29vectorized_elementwise_kernelILi4EZZZNS0_12_GLOBAL__N_142_validate_compressed_sparse_indices_kernelILNS2_8CDimNameE0ENS2_18CUDAKernelLauncherENS2_14EmptyVecKernelENS2_8DummyVecELm0EEEvRKNS_6TensorESA_lllENKUlvE0_clEvENKUlvE_clEvEUliE_St5arrayIPcLm2EEEEviT0_T1_
	.p2align	8
	.type	_ZN2at6native29vectorized_elementwise_kernelILi4EZZZNS0_12_GLOBAL__N_142_validate_compressed_sparse_indices_kernelILNS2_8CDimNameE0ENS2_18CUDAKernelLauncherENS2_14EmptyVecKernelENS2_8DummyVecELm0EEEvRKNS_6TensorESA_lllENKUlvE0_clEvENKUlvE_clEvEUliE_St5arrayIPcLm2EEEEviT0_T1_,@function
_ZN2at6native29vectorized_elementwise_kernelILi4EZZZNS0_12_GLOBAL__N_142_validate_compressed_sparse_indices_kernelILNS2_8CDimNameE0ENS2_18CUDAKernelLauncherENS2_14EmptyVecKernelENS2_8DummyVecELm0EEEvRKNS_6TensorESA_lllENKUlvE0_clEvENKUlvE_clEvEUliE_St5arrayIPcLm2EEEEviT0_T1_: ; @_ZN2at6native29vectorized_elementwise_kernelILi4EZZZNS0_12_GLOBAL__N_142_validate_compressed_sparse_indices_kernelILNS2_8CDimNameE0ENS2_18CUDAKernelLauncherENS2_14EmptyVecKernelENS2_8DummyVecELm0EEEvRKNS_6TensorESA_lllENKUlvE0_clEvENKUlvE_clEvEUliE_St5arrayIPcLm2EEEEviT0_T1_
; %bb.0:
	s_clause 0x3
	s_load_b32 s3, s[0:1], 0x0
	s_load_b32 s16, s[0:1], 0x8
	s_load_b128 s[4:7], s[0:1], 0x10
	s_load_b64 s[10:11], s[0:1], 0x20
	s_wait_xcnt 0x0
	s_bfe_u32 s0, ttmp6, 0x4000c
	s_and_b32 s1, ttmp6, 15
	s_add_co_i32 s0, s0, 1
	s_getreg_b32 s2, hwreg(HW_REG_IB_STS2, 6, 4)
	s_mul_i32 s0, ttmp9, s0
	s_mov_b32 s17, 0
	s_add_co_i32 s1, s1, s0
	s_cmp_eq_u32 s2, 0
	s_get_pc_i64 s[8:9]
	s_add_nc_u64 s[8:9], s[8:9], .str@rel64+4
	s_cselect_b32 s0, ttmp9, s1
	s_mov_b32 s1, 0
	s_lshl_b32 s2, s0, 10
	s_mov_b32 s0, -1
	s_wait_kmcnt 0x0
	s_sub_co_i32 s5, s3, s2
	s_delay_alu instid0(SALU_CYCLE_1)
	s_cmp_gt_i32 s5, 0x3ff
	s_cbranch_scc0 .LBB34_13
; %bb.1:
	s_cmp_eq_u64 s[8:9], 0
	s_cselect_b32 s3, -1, 0
	s_cmp_lg_u64 s[8:9], 0
	s_cbranch_scc0 .LBB34_11
; %bb.2:
	s_ashr_i32 s3, s2, 31
	v_lshlrev_b32_e32 v2, 4, v0
	s_lshl_b64 s[12:13], s[2:3], 2
	s_delay_alu instid0(SALU_CYCLE_1)
	s_add_nc_u64 s[14:15], s[10:11], s[12:13]
	global_load_b32 v1, v2, s[14:15]
	s_wait_loadcnt 0x0
	v_cmp_le_i32_e32 vcc_lo, s16, v1
	v_cmp_gt_i32_e64 s0, s4, v1
	s_and_b32 s0, vcc_lo, s0
	s_delay_alu instid0(SALU_CYCLE_1)
	s_xor_b32 s3, s0, -1
	s_and_saveexec_b32 s1, s0
	s_cbranch_execz .LBB34_10
; %bb.3:
	v_mov_b32_e32 v3, 0
	s_delay_alu instid0(VALU_DEP_1)
	v_add_nc_u64_e32 v[2:3], s[14:15], v[2:3]
	global_load_b96 v[2:4], v[2:3], off offset:4
	s_wait_loadcnt 0x0
	v_cmp_le_i32_e32 vcc_lo, s16, v2
	v_cmp_gt_i32_e64 s0, s4, v2
	s_and_b32 s0, vcc_lo, s0
	s_delay_alu instid0(SALU_CYCLE_1)
	s_xor_b32 s14, s0, -1
	s_and_saveexec_b32 s15, s0
	s_cbranch_execz .LBB34_9
; %bb.4:
	v_cmp_le_i32_e32 vcc_lo, s16, v3
	v_cmp_gt_i32_e64 s0, s4, v3
	s_mov_b32 s20, -1
	s_and_b32 s0, vcc_lo, s0
	s_delay_alu instid0(SALU_CYCLE_1)
	s_xor_b32 s18, s0, -1
	s_and_saveexec_b32 s19, s0
	s_cbranch_execz .LBB34_8
; %bb.5:
	v_cmp_le_i32_e32 vcc_lo, s16, v4
	v_cmp_gt_i32_e64 s0, s4, v4
	s_and_b32 s0, vcc_lo, s0
	s_delay_alu instid0(SALU_CYCLE_1) | instskip(NEXT) | instid1(SALU_CYCLE_1)
	s_and_saveexec_b32 s21, s0
	s_xor_b32 s0, exec_lo, s21
; %bb.6:
	v_mov_b32_e32 v2, 0
	s_add_nc_u64 s[12:13], s[6:7], s[12:13]
	s_xor_b32 s20, exec_lo, -1
	s_delay_alu instid0(VALU_DEP_1)
	v_dual_mov_b32 v3, v2 :: v_dual_mov_b32 v4, v2
	v_mov_b32_e32 v5, v2
	global_store_b128 v0, v[2:5], s[12:13] scale_offset
; %bb.7:
	s_wait_xcnt 0x0
	s_or_b32 exec_lo, exec_lo, s0
	s_delay_alu instid0(SALU_CYCLE_1) | instskip(SKIP_1) | instid1(SALU_CYCLE_1)
	s_and_not1_b32 s0, s18, exec_lo
	s_and_b32 s12, s20, exec_lo
	s_or_b32 s18, s0, s12
.LBB34_8:
	s_or_b32 exec_lo, exec_lo, s19
	s_delay_alu instid0(SALU_CYCLE_1) | instskip(SKIP_1) | instid1(SALU_CYCLE_1)
	s_and_not1_b32 s0, s14, exec_lo
	s_and_b32 s12, s18, exec_lo
	s_or_b32 s14, s0, s12
.LBB34_9:
	s_or_b32 exec_lo, exec_lo, s15
	s_delay_alu instid0(SALU_CYCLE_1) | instskip(SKIP_1) | instid1(SALU_CYCLE_1)
	s_and_not1_b32 s0, s3, exec_lo
	s_and_b32 s3, s14, exec_lo
	s_or_b32 s3, s0, s3
.LBB34_10:
	s_or_b32 exec_lo, exec_lo, s1
.LBB34_11:
	s_mov_b32 s0, 0
	s_mov_b32 s1, 0
	s_and_saveexec_b32 s12, s3
	s_delay_alu instid0(SALU_CYCLE_1)
	s_xor_b32 s3, exec_lo, s12
	s_cbranch_execnz .LBB34_48
.LBB34_12:
	s_or_b32 exec_lo, exec_lo, s3
.LBB34_13:
	s_delay_alu instid0(SALU_CYCLE_1)
	s_and_b32 vcc_lo, exec_lo, s0
	s_cbranch_vccz .LBB34_37
; %bb.14:
	v_cmp_le_i32_e64 s13, s5, v0
	v_cmp_gt_i32_e64 s3, s5, v0
	v_dual_mov_b32 v1, 0 :: v_dual_mov_b32 v3, 0
	v_or_b32_e32 v7, 0x100, v0
	v_dual_mov_b32 v6, 0 :: v_dual_mov_b32 v8, 0
	s_and_saveexec_b32 s0, s3
	s_cbranch_execz .LBB34_22
; %bb.15:
	v_dual_mov_b32 v6, 0 :: v_dual_bitop2_b32 v1, s2, v0 bitop3:0x54
	v_mov_b32_e32 v3, 0
	s_mov_b32 s12, exec_lo
	global_load_b32 v8, v1, s[10:11] scale_offset
	s_wait_xcnt 0x0
	v_mov_b32_e32 v1, 0
	v_cmpx_gt_u32_e64 s5, v7
	s_cbranch_execz .LBB34_21
; %bb.16:
	v_dual_mov_b32 v3, 0 :: v_dual_add_nc_u32 v2, s2, v0
	v_or_b32_e32 v1, 0x200, v0
	global_load_b32 v6, v2, s[10:11] offset:1024 scale_offset
	v_cmp_gt_u32_e32 vcc_lo, s5, v1
	v_mov_b32_e32 v1, 0
	s_wait_xcnt 0x0
	s_and_saveexec_b32 s14, vcc_lo
	s_cbranch_execz .LBB34_20
; %bb.17:
	v_lshl_add_u64 v[4:5], v[2:3], 2, s[10:11]
	v_or_b32_e32 v1, 0x300, v0
	s_mov_b32 s10, exec_lo
	global_load_b32 v2, v[4:5], off offset:2048
	s_wait_xcnt 0x0
	v_cmpx_gt_u32_e64 s5, v1
	s_cbranch_execz .LBB34_19
; %bb.18:
	global_load_b32 v3, v[4:5], off offset:3072
.LBB34_19:
	s_wait_xcnt 0x0
	s_or_b32 exec_lo, exec_lo, s10
	s_wait_loadcnt 0x0
	v_dual_mov_b32 v1, v3 :: v_dual_mov_b32 v3, v2
.LBB34_20:
	s_or_b32 exec_lo, exec_lo, s14
.LBB34_21:
	s_delay_alu instid0(SALU_CYCLE_1)
	s_or_b32 exec_lo, exec_lo, s12
.LBB34_22:
	s_delay_alu instid0(SALU_CYCLE_1)
	s_or_b32 exec_lo, exec_lo, s0
	s_cmp_lg_u64 s[8:9], 0
	s_mov_b32 s10, 0
	s_cselect_b32 s14, -1, 0
	s_and_saveexec_b32 s8, s3
	s_cbranch_execz .LBB34_24
; %bb.23:
	s_wait_loadcnt 0x0
	v_cmp_le_i32_e32 vcc_lo, s16, v8
	v_cmp_gt_i32_e64 s0, s4, v8
	s_and_not1_b32 s9, s13, exec_lo
	s_mov_b32 s10, exec_lo
	s_and_b32 s0, vcc_lo, s0
	s_delay_alu instid0(SALU_CYCLE_1) | instskip(NEXT) | instid1(SALU_CYCLE_1)
	s_and_b32 s0, s14, s0
	s_and_b32 s0, s0, exec_lo
	s_delay_alu instid0(SALU_CYCLE_1)
	s_or_b32 s13, s9, s0
.LBB34_24:
	s_or_b32 exec_lo, exec_lo, s8
                                        ; implicit-def: $sgpr8
                                        ; implicit-def: $sgpr9
                                        ; implicit-def: $sgpr11
	s_and_saveexec_b32 s12, s13
	s_cbranch_execz .LBB34_46
; %bb.25:
	v_cmp_le_i32_e64 s18, s5, v7
	v_cmp_gt_i32_e64 s8, s5, v7
	s_mov_b32 s13, 0
	s_and_saveexec_b32 s9, s8
	s_cbranch_execz .LBB34_27
; %bb.26:
	s_wait_loadcnt 0x0
	v_cmp_le_i32_e32 vcc_lo, s16, v6
	v_cmp_gt_i32_e64 s0, s4, v6
	s_and_not1_b32 s11, s18, exec_lo
	s_mov_b32 s13, exec_lo
	s_and_b32 s0, vcc_lo, s0
	s_delay_alu instid0(SALU_CYCLE_1) | instskip(NEXT) | instid1(SALU_CYCLE_1)
	s_and_b32 s0, s14, s0
	s_and_b32 s0, s0, exec_lo
	s_delay_alu instid0(SALU_CYCLE_1)
	s_or_b32 s18, s11, s0
.LBB34_27:
	s_or_b32 exec_lo, exec_lo, s9
                                        ; implicit-def: $sgpr9
                                        ; implicit-def: $sgpr11
	s_and_saveexec_b32 s15, s18
	s_cbranch_execz .LBB34_35
; %bb.28:
	v_or_b32_e32 v2, 0x200, v0
	s_mov_b32 s18, 0
	s_delay_alu instid0(VALU_DEP_1)
	v_cmp_le_i32_e64 s20, s5, v2
	v_cmp_gt_i32_e64 s9, s5, v2
	s_and_saveexec_b32 s11, s9
; %bb.29:
	v_cmp_le_i32_e32 vcc_lo, s16, v3
	v_cmp_gt_i32_e64 s0, s4, v3
	s_and_not1_b32 s19, s20, exec_lo
	s_mov_b32 s17, exec_lo
	s_and_b32 s0, vcc_lo, s0
	s_delay_alu instid0(SALU_CYCLE_1) | instskip(NEXT) | instid1(SALU_CYCLE_1)
	s_and_b32 s0, s14, s0
	s_and_b32 s0, s0, exec_lo
	s_delay_alu instid0(SALU_CYCLE_1)
	s_or_b32 s20, s19, s0
; %bb.30:
	s_or_b32 exec_lo, exec_lo, s11
                                        ; implicit-def: $sgpr11
	s_and_saveexec_b32 s19, s20
	s_cbranch_execz .LBB34_34
; %bb.31:
	v_or_b32_e32 v2, 0x300, v0
	s_mov_b32 s0, 0
	s_delay_alu instid0(VALU_DEP_1) | instskip(SKIP_2) | instid1(SALU_CYCLE_1)
	v_cmp_le_i32_e64 s18, s5, v2
	v_cmp_gt_i32_e64 s11, s5, v2
	s_and_saveexec_b32 s5, s11
	s_xor_b32 s5, exec_lo, s5
; %bb.32:
	v_cmp_le_i32_e32 vcc_lo, s16, v1
	v_cmp_gt_i32_e64 s0, s4, v1
	s_or_b32 s18, s18, exec_lo
	s_and_b32 s0, vcc_lo, s0
	s_delay_alu instid0(SALU_CYCLE_1) | instskip(NEXT) | instid1(SALU_CYCLE_1)
	s_and_b32 s0, s14, s0
	s_xor_b32 s0, s0, -1
	s_delay_alu instid0(SALU_CYCLE_1)
	s_and_b32 s0, s0, exec_lo
; %bb.33:
	s_or_b32 exec_lo, exec_lo, s5
	s_delay_alu instid0(SALU_CYCLE_1)
	s_and_not1_b32 s4, s17, exec_lo
	s_and_b32 s0, s0, exec_lo
	s_and_b32 s18, s18, exec_lo
	s_or_b32 s17, s4, s0
.LBB34_34:
	s_or_b32 exec_lo, exec_lo, s19
	s_delay_alu instid0(SALU_CYCLE_1)
	s_and_not1_b32 s0, s13, exec_lo
	s_and_b32 s4, s17, exec_lo
	s_and_b32 s17, s18, exec_lo
	s_or_b32 s13, s0, s4
.LBB34_35:
	s_or_b32 exec_lo, exec_lo, s15
	s_delay_alu instid0(SALU_CYCLE_1)
	s_and_not1_b32 s0, s10, exec_lo
	s_and_b32 s4, s13, exec_lo
	s_and_b32 s17, s17, exec_lo
	s_or_b32 s10, s0, s4
	s_or_b32 exec_lo, exec_lo, s12
	s_and_saveexec_b32 s0, s10
	s_cbranch_execz .LBB34_47
.LBB34_36:
	s_and_not1_b32 s17, s17, exec_lo
	s_or_b32 s1, s1, exec_lo
	s_trap 2
	s_or_b32 exec_lo, exec_lo, s0
	s_and_saveexec_b32 s0, s1
	s_cbranch_execnz .LBB34_38
	s_branch .LBB34_39
.LBB34_37:
                                        ; implicit-def: $sgpr3
                                        ; implicit-def: $sgpr8
                                        ; implicit-def: $sgpr9
                                        ; implicit-def: $sgpr11
                                        ; implicit-def: $vgpr0
	s_and_saveexec_b32 s0, s1
.LBB34_38:
	; divergent unreachable
.LBB34_39:
	s_delay_alu instid0(SALU_CYCLE_1)
	s_or_b32 exec_lo, exec_lo, s0
	s_and_saveexec_b32 s0, s17
	s_cbranch_execz .LBB34_45
; %bb.40:
	s_and_b32 exec_lo, exec_lo, s3
	s_cbranch_execz .LBB34_45
; %bb.41:
	v_dual_mov_b32 v1, 0 :: v_dual_bitop2_b32 v2, s2, v0 bitop3:0x54
	global_store_b32 v2, v1, s[6:7] scale_offset
	s_wait_xcnt 0x0
	s_and_b32 exec_lo, exec_lo, s8
	s_cbranch_execz .LBB34_45
; %bb.42:
	v_add_nc_u32_e32 v0, s2, v0
	global_store_b32 v0, v1, s[6:7] offset:1024 scale_offset
	s_wait_xcnt 0x0
	s_and_b32 exec_lo, exec_lo, s9
	s_cbranch_execz .LBB34_45
; %bb.43:
	v_lshl_add_u64 v[0:1], v[0:1], 2, s[6:7]
	v_mov_b32_e32 v2, 0
	global_store_b32 v[0:1], v2, off offset:2048
	s_wait_xcnt 0x0
	s_and_b32 exec_lo, exec_lo, s11
	s_cbranch_execz .LBB34_45
; %bb.44:
	global_store_b32 v[0:1], v2, off offset:3072
.LBB34_45:
	s_endpgm
.LBB34_46:
	s_or_b32 exec_lo, exec_lo, s12
	s_and_saveexec_b32 s0, s10
	s_cbranch_execnz .LBB34_36
.LBB34_47:
	s_or_b32 exec_lo, exec_lo, s0
	s_and_saveexec_b32 s0, s1
	s_cbranch_execnz .LBB34_38
	s_branch .LBB34_39
.LBB34_48:
	s_mov_b32 s1, exec_lo
	s_trap 2
	s_branch .LBB34_12
	.section	.rodata,"a",@progbits
	.p2align	6, 0x0
	.amdhsa_kernel _ZN2at6native29vectorized_elementwise_kernelILi4EZZZNS0_12_GLOBAL__N_142_validate_compressed_sparse_indices_kernelILNS2_8CDimNameE0ENS2_18CUDAKernelLauncherENS2_14EmptyVecKernelENS2_8DummyVecELm0EEEvRKNS_6TensorESA_lllENKUlvE0_clEvENKUlvE_clEvEUliE_St5arrayIPcLm2EEEEviT0_T1_
		.amdhsa_group_segment_fixed_size 0
		.amdhsa_private_segment_fixed_size 0
		.amdhsa_kernarg_size 40
		.amdhsa_user_sgpr_count 2
		.amdhsa_user_sgpr_dispatch_ptr 0
		.amdhsa_user_sgpr_queue_ptr 0
		.amdhsa_user_sgpr_kernarg_segment_ptr 1
		.amdhsa_user_sgpr_dispatch_id 0
		.amdhsa_user_sgpr_kernarg_preload_length 0
		.amdhsa_user_sgpr_kernarg_preload_offset 0
		.amdhsa_user_sgpr_private_segment_size 0
		.amdhsa_wavefront_size32 1
		.amdhsa_uses_dynamic_stack 0
		.amdhsa_enable_private_segment 0
		.amdhsa_system_sgpr_workgroup_id_x 1
		.amdhsa_system_sgpr_workgroup_id_y 0
		.amdhsa_system_sgpr_workgroup_id_z 0
		.amdhsa_system_sgpr_workgroup_info 0
		.amdhsa_system_vgpr_workitem_id 0
		.amdhsa_next_free_vgpr 9
		.amdhsa_next_free_sgpr 22
		.amdhsa_named_barrier_count 0
		.amdhsa_reserve_vcc 1
		.amdhsa_float_round_mode_32 0
		.amdhsa_float_round_mode_16_64 0
		.amdhsa_float_denorm_mode_32 3
		.amdhsa_float_denorm_mode_16_64 3
		.amdhsa_fp16_overflow 0
		.amdhsa_memory_ordered 1
		.amdhsa_forward_progress 1
		.amdhsa_inst_pref_size 11
		.amdhsa_round_robin_scheduling 0
		.amdhsa_exception_fp_ieee_invalid_op 0
		.amdhsa_exception_fp_denorm_src 0
		.amdhsa_exception_fp_ieee_div_zero 0
		.amdhsa_exception_fp_ieee_overflow 0
		.amdhsa_exception_fp_ieee_underflow 0
		.amdhsa_exception_fp_ieee_inexact 0
		.amdhsa_exception_int_div_zero 0
	.end_amdhsa_kernel
	.section	.text._ZN2at6native29vectorized_elementwise_kernelILi4EZZZNS0_12_GLOBAL__N_142_validate_compressed_sparse_indices_kernelILNS2_8CDimNameE0ENS2_18CUDAKernelLauncherENS2_14EmptyVecKernelENS2_8DummyVecELm0EEEvRKNS_6TensorESA_lllENKUlvE0_clEvENKUlvE_clEvEUliE_St5arrayIPcLm2EEEEviT0_T1_,"axG",@progbits,_ZN2at6native29vectorized_elementwise_kernelILi4EZZZNS0_12_GLOBAL__N_142_validate_compressed_sparse_indices_kernelILNS2_8CDimNameE0ENS2_18CUDAKernelLauncherENS2_14EmptyVecKernelENS2_8DummyVecELm0EEEvRKNS_6TensorESA_lllENKUlvE0_clEvENKUlvE_clEvEUliE_St5arrayIPcLm2EEEEviT0_T1_,comdat
.Lfunc_end34:
	.size	_ZN2at6native29vectorized_elementwise_kernelILi4EZZZNS0_12_GLOBAL__N_142_validate_compressed_sparse_indices_kernelILNS2_8CDimNameE0ENS2_18CUDAKernelLauncherENS2_14EmptyVecKernelENS2_8DummyVecELm0EEEvRKNS_6TensorESA_lllENKUlvE0_clEvENKUlvE_clEvEUliE_St5arrayIPcLm2EEEEviT0_T1_, .Lfunc_end34-_ZN2at6native29vectorized_elementwise_kernelILi4EZZZNS0_12_GLOBAL__N_142_validate_compressed_sparse_indices_kernelILNS2_8CDimNameE0ENS2_18CUDAKernelLauncherENS2_14EmptyVecKernelENS2_8DummyVecELm0EEEvRKNS_6TensorESA_lllENKUlvE0_clEvENKUlvE_clEvEUliE_St5arrayIPcLm2EEEEviT0_T1_
                                        ; -- End function
	.set _ZN2at6native29vectorized_elementwise_kernelILi4EZZZNS0_12_GLOBAL__N_142_validate_compressed_sparse_indices_kernelILNS2_8CDimNameE0ENS2_18CUDAKernelLauncherENS2_14EmptyVecKernelENS2_8DummyVecELm0EEEvRKNS_6TensorESA_lllENKUlvE0_clEvENKUlvE_clEvEUliE_St5arrayIPcLm2EEEEviT0_T1_.num_vgpr, 9
	.set _ZN2at6native29vectorized_elementwise_kernelILi4EZZZNS0_12_GLOBAL__N_142_validate_compressed_sparse_indices_kernelILNS2_8CDimNameE0ENS2_18CUDAKernelLauncherENS2_14EmptyVecKernelENS2_8DummyVecELm0EEEvRKNS_6TensorESA_lllENKUlvE0_clEvENKUlvE_clEvEUliE_St5arrayIPcLm2EEEEviT0_T1_.num_agpr, 0
	.set _ZN2at6native29vectorized_elementwise_kernelILi4EZZZNS0_12_GLOBAL__N_142_validate_compressed_sparse_indices_kernelILNS2_8CDimNameE0ENS2_18CUDAKernelLauncherENS2_14EmptyVecKernelENS2_8DummyVecELm0EEEvRKNS_6TensorESA_lllENKUlvE0_clEvENKUlvE_clEvEUliE_St5arrayIPcLm2EEEEviT0_T1_.numbered_sgpr, 22
	.set _ZN2at6native29vectorized_elementwise_kernelILi4EZZZNS0_12_GLOBAL__N_142_validate_compressed_sparse_indices_kernelILNS2_8CDimNameE0ENS2_18CUDAKernelLauncherENS2_14EmptyVecKernelENS2_8DummyVecELm0EEEvRKNS_6TensorESA_lllENKUlvE0_clEvENKUlvE_clEvEUliE_St5arrayIPcLm2EEEEviT0_T1_.num_named_barrier, 0
	.set _ZN2at6native29vectorized_elementwise_kernelILi4EZZZNS0_12_GLOBAL__N_142_validate_compressed_sparse_indices_kernelILNS2_8CDimNameE0ENS2_18CUDAKernelLauncherENS2_14EmptyVecKernelENS2_8DummyVecELm0EEEvRKNS_6TensorESA_lllENKUlvE0_clEvENKUlvE_clEvEUliE_St5arrayIPcLm2EEEEviT0_T1_.private_seg_size, 0
	.set _ZN2at6native29vectorized_elementwise_kernelILi4EZZZNS0_12_GLOBAL__N_142_validate_compressed_sparse_indices_kernelILNS2_8CDimNameE0ENS2_18CUDAKernelLauncherENS2_14EmptyVecKernelENS2_8DummyVecELm0EEEvRKNS_6TensorESA_lllENKUlvE0_clEvENKUlvE_clEvEUliE_St5arrayIPcLm2EEEEviT0_T1_.uses_vcc, 1
	.set _ZN2at6native29vectorized_elementwise_kernelILi4EZZZNS0_12_GLOBAL__N_142_validate_compressed_sparse_indices_kernelILNS2_8CDimNameE0ENS2_18CUDAKernelLauncherENS2_14EmptyVecKernelENS2_8DummyVecELm0EEEvRKNS_6TensorESA_lllENKUlvE0_clEvENKUlvE_clEvEUliE_St5arrayIPcLm2EEEEviT0_T1_.uses_flat_scratch, 0
	.set _ZN2at6native29vectorized_elementwise_kernelILi4EZZZNS0_12_GLOBAL__N_142_validate_compressed_sparse_indices_kernelILNS2_8CDimNameE0ENS2_18CUDAKernelLauncherENS2_14EmptyVecKernelENS2_8DummyVecELm0EEEvRKNS_6TensorESA_lllENKUlvE0_clEvENKUlvE_clEvEUliE_St5arrayIPcLm2EEEEviT0_T1_.has_dyn_sized_stack, 0
	.set _ZN2at6native29vectorized_elementwise_kernelILi4EZZZNS0_12_GLOBAL__N_142_validate_compressed_sparse_indices_kernelILNS2_8CDimNameE0ENS2_18CUDAKernelLauncherENS2_14EmptyVecKernelENS2_8DummyVecELm0EEEvRKNS_6TensorESA_lllENKUlvE0_clEvENKUlvE_clEvEUliE_St5arrayIPcLm2EEEEviT0_T1_.has_recursion, 0
	.set _ZN2at6native29vectorized_elementwise_kernelILi4EZZZNS0_12_GLOBAL__N_142_validate_compressed_sparse_indices_kernelILNS2_8CDimNameE0ENS2_18CUDAKernelLauncherENS2_14EmptyVecKernelENS2_8DummyVecELm0EEEvRKNS_6TensorESA_lllENKUlvE0_clEvENKUlvE_clEvEUliE_St5arrayIPcLm2EEEEviT0_T1_.has_indirect_call, 0
	.section	.AMDGPU.csdata,"",@progbits
; Kernel info:
; codeLenInByte = 1384
; TotalNumSgprs: 24
; NumVgprs: 9
; ScratchSize: 0
; MemoryBound: 0
; FloatMode: 240
; IeeeMode: 1
; LDSByteSize: 0 bytes/workgroup (compile time only)
; SGPRBlocks: 0
; VGPRBlocks: 0
; NumSGPRsForWavesPerEU: 24
; NumVGPRsForWavesPerEU: 9
; NamedBarCnt: 0
; Occupancy: 16
; WaveLimiterHint : 0
; COMPUTE_PGM_RSRC2:SCRATCH_EN: 0
; COMPUTE_PGM_RSRC2:USER_SGPR: 2
; COMPUTE_PGM_RSRC2:TRAP_HANDLER: 0
; COMPUTE_PGM_RSRC2:TGID_X_EN: 1
; COMPUTE_PGM_RSRC2:TGID_Y_EN: 0
; COMPUTE_PGM_RSRC2:TGID_Z_EN: 0
; COMPUTE_PGM_RSRC2:TIDIG_COMP_CNT: 0
	.section	.text._ZN2at6native29vectorized_elementwise_kernelILi2EZZZNS0_12_GLOBAL__N_142_validate_compressed_sparse_indices_kernelILNS2_8CDimNameE0ENS2_18CUDAKernelLauncherENS2_14EmptyVecKernelENS2_8DummyVecELm0EEEvRKNS_6TensorESA_lllENKUlvE0_clEvENKUlvE_clEvEUliE_St5arrayIPcLm2EEEEviT0_T1_,"axG",@progbits,_ZN2at6native29vectorized_elementwise_kernelILi2EZZZNS0_12_GLOBAL__N_142_validate_compressed_sparse_indices_kernelILNS2_8CDimNameE0ENS2_18CUDAKernelLauncherENS2_14EmptyVecKernelENS2_8DummyVecELm0EEEvRKNS_6TensorESA_lllENKUlvE0_clEvENKUlvE_clEvEUliE_St5arrayIPcLm2EEEEviT0_T1_,comdat
	.globl	_ZN2at6native29vectorized_elementwise_kernelILi2EZZZNS0_12_GLOBAL__N_142_validate_compressed_sparse_indices_kernelILNS2_8CDimNameE0ENS2_18CUDAKernelLauncherENS2_14EmptyVecKernelENS2_8DummyVecELm0EEEvRKNS_6TensorESA_lllENKUlvE0_clEvENKUlvE_clEvEUliE_St5arrayIPcLm2EEEEviT0_T1_ ; -- Begin function _ZN2at6native29vectorized_elementwise_kernelILi2EZZZNS0_12_GLOBAL__N_142_validate_compressed_sparse_indices_kernelILNS2_8CDimNameE0ENS2_18CUDAKernelLauncherENS2_14EmptyVecKernelENS2_8DummyVecELm0EEEvRKNS_6TensorESA_lllENKUlvE0_clEvENKUlvE_clEvEUliE_St5arrayIPcLm2EEEEviT0_T1_
	.p2align	8
	.type	_ZN2at6native29vectorized_elementwise_kernelILi2EZZZNS0_12_GLOBAL__N_142_validate_compressed_sparse_indices_kernelILNS2_8CDimNameE0ENS2_18CUDAKernelLauncherENS2_14EmptyVecKernelENS2_8DummyVecELm0EEEvRKNS_6TensorESA_lllENKUlvE0_clEvENKUlvE_clEvEUliE_St5arrayIPcLm2EEEEviT0_T1_,@function
_ZN2at6native29vectorized_elementwise_kernelILi2EZZZNS0_12_GLOBAL__N_142_validate_compressed_sparse_indices_kernelILNS2_8CDimNameE0ENS2_18CUDAKernelLauncherENS2_14EmptyVecKernelENS2_8DummyVecELm0EEEvRKNS_6TensorESA_lllENKUlvE0_clEvENKUlvE_clEvEUliE_St5arrayIPcLm2EEEEviT0_T1_: ; @_ZN2at6native29vectorized_elementwise_kernelILi2EZZZNS0_12_GLOBAL__N_142_validate_compressed_sparse_indices_kernelILNS2_8CDimNameE0ENS2_18CUDAKernelLauncherENS2_14EmptyVecKernelENS2_8DummyVecELm0EEEvRKNS_6TensorESA_lllENKUlvE0_clEvENKUlvE_clEvEUliE_St5arrayIPcLm2EEEEviT0_T1_
; %bb.0:
	s_clause 0x3
	s_load_b32 s3, s[0:1], 0x0
	s_load_b32 s16, s[0:1], 0x8
	s_load_b128 s[4:7], s[0:1], 0x10
	s_load_b64 s[10:11], s[0:1], 0x20
	s_wait_xcnt 0x0
	s_bfe_u32 s0, ttmp6, 0x4000c
	s_and_b32 s1, ttmp6, 15
	s_add_co_i32 s0, s0, 1
	s_getreg_b32 s2, hwreg(HW_REG_IB_STS2, 6, 4)
	s_mul_i32 s0, ttmp9, s0
	s_mov_b32 s17, 0
	s_add_co_i32 s1, s1, s0
	s_cmp_eq_u32 s2, 0
	s_get_pc_i64 s[8:9]
	s_add_nc_u64 s[8:9], s[8:9], .str@rel64+4
	s_cselect_b32 s0, ttmp9, s1
	s_mov_b32 s1, 0
	s_lshl_b32 s2, s0, 10
	s_mov_b32 s0, -1
	s_wait_kmcnt 0x0
	s_sub_co_i32 s5, s3, s2
	s_delay_alu instid0(SALU_CYCLE_1)
	s_cmp_gt_i32 s5, 0x3ff
	s_cbranch_scc0 .LBB35_13
; %bb.1:
	s_cmp_eq_u64 s[8:9], 0
	s_cselect_b32 s3, -1, 0
	s_cmp_lg_u64 s[8:9], 0
	s_cbranch_scc0 .LBB35_11
; %bb.2:
	s_ashr_i32 s3, s2, 31
	v_lshlrev_b32_e32 v2, 3, v0
	s_lshl_b64 s[12:13], s[2:3], 2
	s_delay_alu instid0(SALU_CYCLE_1)
	s_add_nc_u64 s[14:15], s[10:11], s[12:13]
	global_load_b32 v1, v2, s[14:15]
	s_wait_loadcnt 0x0
	v_cmp_le_i32_e32 vcc_lo, s16, v1
	v_cmp_gt_i32_e64 s0, s4, v1
	s_and_b32 s0, vcc_lo, s0
	s_delay_alu instid0(SALU_CYCLE_1)
	s_xor_b32 s3, s0, -1
	s_and_saveexec_b32 s1, s0
	s_cbranch_execz .LBB35_10
; %bb.3:
	v_mov_b32_e32 v3, 0
	s_delay_alu instid0(VALU_DEP_1)
	v_add_nc_u64_e32 v[2:3], s[14:15], v[2:3]
	global_load_b32 v1, v[2:3], off offset:4
	s_wait_loadcnt 0x0
	v_cmp_le_i32_e32 vcc_lo, s16, v1
	v_cmp_gt_i32_e64 s0, s4, v1
	s_and_b32 s0, vcc_lo, s0
	s_delay_alu instid0(SALU_CYCLE_1)
	s_xor_b32 s14, s0, -1
	s_and_saveexec_b32 s15, s0
	s_cbranch_execz .LBB35_9
; %bb.4:
	global_load_b64 v[2:3], v[2:3], off offset:2048
	s_mov_b32 s20, -1
	s_wait_loadcnt 0x0
	v_cmp_le_i32_e32 vcc_lo, s16, v2
	v_cmp_gt_i32_e64 s0, s4, v2
	s_and_b32 s0, vcc_lo, s0
	s_delay_alu instid0(SALU_CYCLE_1)
	s_xor_b32 s18, s0, -1
	s_and_saveexec_b32 s19, s0
	s_cbranch_execz .LBB35_8
; %bb.5:
	v_cmp_le_i32_e32 vcc_lo, s16, v3
	v_cmp_gt_i32_e64 s0, s4, v3
	s_and_b32 s0, vcc_lo, s0
	s_delay_alu instid0(SALU_CYCLE_1) | instskip(NEXT) | instid1(SALU_CYCLE_1)
	s_and_saveexec_b32 s21, s0
	s_xor_b32 s0, exec_lo, s21
; %bb.6:
	v_mov_b64_e32 v[2:3], 0
	s_add_nc_u64 s[12:13], s[6:7], s[12:13]
	s_xor_b32 s20, exec_lo, -1
	s_clause 0x1
	global_store_b64 v0, v[2:3], s[12:13] scale_offset
	global_store_b64 v0, v[2:3], s[12:13] offset:2048 scale_offset
; %bb.7:
	s_wait_xcnt 0x0
	s_or_b32 exec_lo, exec_lo, s0
	s_delay_alu instid0(SALU_CYCLE_1) | instskip(SKIP_1) | instid1(SALU_CYCLE_1)
	s_and_not1_b32 s0, s18, exec_lo
	s_and_b32 s12, s20, exec_lo
	s_or_b32 s18, s0, s12
.LBB35_8:
	s_or_b32 exec_lo, exec_lo, s19
	s_delay_alu instid0(SALU_CYCLE_1) | instskip(SKIP_1) | instid1(SALU_CYCLE_1)
	s_and_not1_b32 s0, s14, exec_lo
	s_and_b32 s12, s18, exec_lo
	s_or_b32 s14, s0, s12
.LBB35_9:
	s_or_b32 exec_lo, exec_lo, s15
	s_delay_alu instid0(SALU_CYCLE_1) | instskip(SKIP_1) | instid1(SALU_CYCLE_1)
	s_and_not1_b32 s0, s3, exec_lo
	s_and_b32 s3, s14, exec_lo
	s_or_b32 s3, s0, s3
.LBB35_10:
	s_or_b32 exec_lo, exec_lo, s1
.LBB35_11:
	s_mov_b32 s0, 0
	s_mov_b32 s1, 0
	s_and_saveexec_b32 s12, s3
	s_delay_alu instid0(SALU_CYCLE_1)
	s_xor_b32 s3, exec_lo, s12
	s_cbranch_execnz .LBB35_48
.LBB35_12:
	s_or_b32 exec_lo, exec_lo, s3
.LBB35_13:
	s_delay_alu instid0(SALU_CYCLE_1)
	s_and_b32 vcc_lo, exec_lo, s0
	s_cbranch_vccz .LBB35_37
; %bb.14:
	v_cmp_le_i32_e64 s13, s5, v0
	v_cmp_gt_i32_e64 s3, s5, v0
	v_dual_mov_b32 v1, 0 :: v_dual_mov_b32 v3, 0
	v_or_b32_e32 v7, 0x100, v0
	v_dual_mov_b32 v6, 0 :: v_dual_mov_b32 v8, 0
	s_and_saveexec_b32 s0, s3
	s_cbranch_execz .LBB35_22
; %bb.15:
	v_dual_mov_b32 v6, 0 :: v_dual_bitop2_b32 v1, s2, v0 bitop3:0x54
	v_mov_b32_e32 v3, 0
	s_mov_b32 s12, exec_lo
	global_load_b32 v8, v1, s[10:11] scale_offset
	s_wait_xcnt 0x0
	v_mov_b32_e32 v1, 0
	v_cmpx_gt_u32_e64 s5, v7
	s_cbranch_execz .LBB35_21
; %bb.16:
	v_dual_mov_b32 v3, 0 :: v_dual_add_nc_u32 v2, s2, v0
	v_or_b32_e32 v1, 0x200, v0
	global_load_b32 v6, v2, s[10:11] offset:1024 scale_offset
	v_cmp_gt_u32_e32 vcc_lo, s5, v1
	v_mov_b32_e32 v1, 0
	s_wait_xcnt 0x0
	s_and_saveexec_b32 s14, vcc_lo
	s_cbranch_execz .LBB35_20
; %bb.17:
	v_lshl_add_u64 v[4:5], v[2:3], 2, s[10:11]
	v_or_b32_e32 v1, 0x300, v0
	s_mov_b32 s10, exec_lo
	global_load_b32 v2, v[4:5], off offset:2048
	s_wait_xcnt 0x0
	v_cmpx_gt_u32_e64 s5, v1
	s_cbranch_execz .LBB35_19
; %bb.18:
	global_load_b32 v3, v[4:5], off offset:3072
.LBB35_19:
	s_wait_xcnt 0x0
	s_or_b32 exec_lo, exec_lo, s10
	s_wait_loadcnt 0x0
	v_dual_mov_b32 v1, v3 :: v_dual_mov_b32 v3, v2
.LBB35_20:
	s_or_b32 exec_lo, exec_lo, s14
.LBB35_21:
	s_delay_alu instid0(SALU_CYCLE_1)
	s_or_b32 exec_lo, exec_lo, s12
.LBB35_22:
	s_delay_alu instid0(SALU_CYCLE_1)
	s_or_b32 exec_lo, exec_lo, s0
	s_cmp_lg_u64 s[8:9], 0
	s_mov_b32 s10, 0
	s_cselect_b32 s14, -1, 0
	s_and_saveexec_b32 s8, s3
	s_cbranch_execz .LBB35_24
; %bb.23:
	s_wait_loadcnt 0x0
	v_cmp_le_i32_e32 vcc_lo, s16, v8
	v_cmp_gt_i32_e64 s0, s4, v8
	s_and_not1_b32 s9, s13, exec_lo
	s_mov_b32 s10, exec_lo
	s_and_b32 s0, vcc_lo, s0
	s_delay_alu instid0(SALU_CYCLE_1) | instskip(NEXT) | instid1(SALU_CYCLE_1)
	s_and_b32 s0, s14, s0
	s_and_b32 s0, s0, exec_lo
	s_delay_alu instid0(SALU_CYCLE_1)
	s_or_b32 s13, s9, s0
.LBB35_24:
	s_or_b32 exec_lo, exec_lo, s8
                                        ; implicit-def: $sgpr8
                                        ; implicit-def: $sgpr9
                                        ; implicit-def: $sgpr11
	s_and_saveexec_b32 s12, s13
	s_cbranch_execz .LBB35_46
; %bb.25:
	v_cmp_le_i32_e64 s18, s5, v7
	v_cmp_gt_i32_e64 s8, s5, v7
	s_mov_b32 s13, 0
	s_and_saveexec_b32 s9, s8
	s_cbranch_execz .LBB35_27
; %bb.26:
	s_wait_loadcnt 0x0
	v_cmp_le_i32_e32 vcc_lo, s16, v6
	v_cmp_gt_i32_e64 s0, s4, v6
	s_and_not1_b32 s11, s18, exec_lo
	s_mov_b32 s13, exec_lo
	s_and_b32 s0, vcc_lo, s0
	s_delay_alu instid0(SALU_CYCLE_1) | instskip(NEXT) | instid1(SALU_CYCLE_1)
	s_and_b32 s0, s14, s0
	s_and_b32 s0, s0, exec_lo
	s_delay_alu instid0(SALU_CYCLE_1)
	s_or_b32 s18, s11, s0
.LBB35_27:
	s_or_b32 exec_lo, exec_lo, s9
                                        ; implicit-def: $sgpr9
                                        ; implicit-def: $sgpr11
	s_and_saveexec_b32 s15, s18
	s_cbranch_execz .LBB35_35
; %bb.28:
	v_or_b32_e32 v2, 0x200, v0
	s_mov_b32 s18, 0
	s_delay_alu instid0(VALU_DEP_1)
	v_cmp_le_i32_e64 s20, s5, v2
	v_cmp_gt_i32_e64 s9, s5, v2
	s_and_saveexec_b32 s11, s9
; %bb.29:
	v_cmp_le_i32_e32 vcc_lo, s16, v3
	v_cmp_gt_i32_e64 s0, s4, v3
	s_and_not1_b32 s19, s20, exec_lo
	s_mov_b32 s17, exec_lo
	s_and_b32 s0, vcc_lo, s0
	s_delay_alu instid0(SALU_CYCLE_1) | instskip(NEXT) | instid1(SALU_CYCLE_1)
	s_and_b32 s0, s14, s0
	s_and_b32 s0, s0, exec_lo
	s_delay_alu instid0(SALU_CYCLE_1)
	s_or_b32 s20, s19, s0
; %bb.30:
	s_or_b32 exec_lo, exec_lo, s11
                                        ; implicit-def: $sgpr11
	s_and_saveexec_b32 s19, s20
	s_cbranch_execz .LBB35_34
; %bb.31:
	v_or_b32_e32 v2, 0x300, v0
	s_mov_b32 s0, 0
	s_delay_alu instid0(VALU_DEP_1) | instskip(SKIP_2) | instid1(SALU_CYCLE_1)
	v_cmp_le_i32_e64 s18, s5, v2
	v_cmp_gt_i32_e64 s11, s5, v2
	s_and_saveexec_b32 s5, s11
	s_xor_b32 s5, exec_lo, s5
; %bb.32:
	v_cmp_le_i32_e32 vcc_lo, s16, v1
	v_cmp_gt_i32_e64 s0, s4, v1
	s_or_b32 s18, s18, exec_lo
	s_and_b32 s0, vcc_lo, s0
	s_delay_alu instid0(SALU_CYCLE_1) | instskip(NEXT) | instid1(SALU_CYCLE_1)
	s_and_b32 s0, s14, s0
	s_xor_b32 s0, s0, -1
	s_delay_alu instid0(SALU_CYCLE_1)
	s_and_b32 s0, s0, exec_lo
; %bb.33:
	s_or_b32 exec_lo, exec_lo, s5
	s_delay_alu instid0(SALU_CYCLE_1)
	s_and_not1_b32 s4, s17, exec_lo
	s_and_b32 s0, s0, exec_lo
	s_and_b32 s18, s18, exec_lo
	s_or_b32 s17, s4, s0
.LBB35_34:
	s_or_b32 exec_lo, exec_lo, s19
	s_delay_alu instid0(SALU_CYCLE_1)
	s_and_not1_b32 s0, s13, exec_lo
	s_and_b32 s4, s17, exec_lo
	s_and_b32 s17, s18, exec_lo
	s_or_b32 s13, s0, s4
.LBB35_35:
	s_or_b32 exec_lo, exec_lo, s15
	s_delay_alu instid0(SALU_CYCLE_1)
	s_and_not1_b32 s0, s10, exec_lo
	s_and_b32 s4, s13, exec_lo
	s_and_b32 s17, s17, exec_lo
	s_or_b32 s10, s0, s4
	s_or_b32 exec_lo, exec_lo, s12
	s_and_saveexec_b32 s0, s10
	s_cbranch_execz .LBB35_47
.LBB35_36:
	s_and_not1_b32 s17, s17, exec_lo
	s_or_b32 s1, s1, exec_lo
	s_trap 2
	s_or_b32 exec_lo, exec_lo, s0
	s_and_saveexec_b32 s0, s1
	s_cbranch_execnz .LBB35_38
	s_branch .LBB35_39
.LBB35_37:
                                        ; implicit-def: $sgpr3
                                        ; implicit-def: $sgpr8
                                        ; implicit-def: $sgpr9
                                        ; implicit-def: $sgpr11
                                        ; implicit-def: $vgpr0
	s_and_saveexec_b32 s0, s1
.LBB35_38:
	; divergent unreachable
.LBB35_39:
	s_delay_alu instid0(SALU_CYCLE_1)
	s_or_b32 exec_lo, exec_lo, s0
	s_and_saveexec_b32 s0, s17
	s_cbranch_execz .LBB35_45
; %bb.40:
	s_and_b32 exec_lo, exec_lo, s3
	s_cbranch_execz .LBB35_45
; %bb.41:
	v_dual_mov_b32 v1, 0 :: v_dual_bitop2_b32 v2, s2, v0 bitop3:0x54
	global_store_b32 v2, v1, s[6:7] scale_offset
	s_wait_xcnt 0x0
	s_and_b32 exec_lo, exec_lo, s8
	s_cbranch_execz .LBB35_45
; %bb.42:
	v_add_nc_u32_e32 v0, s2, v0
	global_store_b32 v0, v1, s[6:7] offset:1024 scale_offset
	s_wait_xcnt 0x0
	s_and_b32 exec_lo, exec_lo, s9
	s_cbranch_execz .LBB35_45
; %bb.43:
	v_lshl_add_u64 v[0:1], v[0:1], 2, s[6:7]
	v_mov_b32_e32 v2, 0
	global_store_b32 v[0:1], v2, off offset:2048
	s_wait_xcnt 0x0
	s_and_b32 exec_lo, exec_lo, s11
	s_cbranch_execz .LBB35_45
; %bb.44:
	global_store_b32 v[0:1], v2, off offset:3072
.LBB35_45:
	s_endpgm
.LBB35_46:
	s_or_b32 exec_lo, exec_lo, s12
	s_and_saveexec_b32 s0, s10
	s_cbranch_execnz .LBB35_36
.LBB35_47:
	s_or_b32 exec_lo, exec_lo, s0
	s_and_saveexec_b32 s0, s1
	s_cbranch_execnz .LBB35_38
	s_branch .LBB35_39
.LBB35_48:
	s_mov_b32 s1, exec_lo
	s_trap 2
	s_branch .LBB35_12
	.section	.rodata,"a",@progbits
	.p2align	6, 0x0
	.amdhsa_kernel _ZN2at6native29vectorized_elementwise_kernelILi2EZZZNS0_12_GLOBAL__N_142_validate_compressed_sparse_indices_kernelILNS2_8CDimNameE0ENS2_18CUDAKernelLauncherENS2_14EmptyVecKernelENS2_8DummyVecELm0EEEvRKNS_6TensorESA_lllENKUlvE0_clEvENKUlvE_clEvEUliE_St5arrayIPcLm2EEEEviT0_T1_
		.amdhsa_group_segment_fixed_size 0
		.amdhsa_private_segment_fixed_size 0
		.amdhsa_kernarg_size 40
		.amdhsa_user_sgpr_count 2
		.amdhsa_user_sgpr_dispatch_ptr 0
		.amdhsa_user_sgpr_queue_ptr 0
		.amdhsa_user_sgpr_kernarg_segment_ptr 1
		.amdhsa_user_sgpr_dispatch_id 0
		.amdhsa_user_sgpr_kernarg_preload_length 0
		.amdhsa_user_sgpr_kernarg_preload_offset 0
		.amdhsa_user_sgpr_private_segment_size 0
		.amdhsa_wavefront_size32 1
		.amdhsa_uses_dynamic_stack 0
		.amdhsa_enable_private_segment 0
		.amdhsa_system_sgpr_workgroup_id_x 1
		.amdhsa_system_sgpr_workgroup_id_y 0
		.amdhsa_system_sgpr_workgroup_id_z 0
		.amdhsa_system_sgpr_workgroup_info 0
		.amdhsa_system_vgpr_workitem_id 0
		.amdhsa_next_free_vgpr 9
		.amdhsa_next_free_sgpr 22
		.amdhsa_named_barrier_count 0
		.amdhsa_reserve_vcc 1
		.amdhsa_float_round_mode_32 0
		.amdhsa_float_round_mode_16_64 0
		.amdhsa_float_denorm_mode_32 3
		.amdhsa_float_denorm_mode_16_64 3
		.amdhsa_fp16_overflow 0
		.amdhsa_memory_ordered 1
		.amdhsa_forward_progress 1
		.amdhsa_inst_pref_size 11
		.amdhsa_round_robin_scheduling 0
		.amdhsa_exception_fp_ieee_invalid_op 0
		.amdhsa_exception_fp_denorm_src 0
		.amdhsa_exception_fp_ieee_div_zero 0
		.amdhsa_exception_fp_ieee_overflow 0
		.amdhsa_exception_fp_ieee_underflow 0
		.amdhsa_exception_fp_ieee_inexact 0
		.amdhsa_exception_int_div_zero 0
	.end_amdhsa_kernel
	.section	.text._ZN2at6native29vectorized_elementwise_kernelILi2EZZZNS0_12_GLOBAL__N_142_validate_compressed_sparse_indices_kernelILNS2_8CDimNameE0ENS2_18CUDAKernelLauncherENS2_14EmptyVecKernelENS2_8DummyVecELm0EEEvRKNS_6TensorESA_lllENKUlvE0_clEvENKUlvE_clEvEUliE_St5arrayIPcLm2EEEEviT0_T1_,"axG",@progbits,_ZN2at6native29vectorized_elementwise_kernelILi2EZZZNS0_12_GLOBAL__N_142_validate_compressed_sparse_indices_kernelILNS2_8CDimNameE0ENS2_18CUDAKernelLauncherENS2_14EmptyVecKernelENS2_8DummyVecELm0EEEvRKNS_6TensorESA_lllENKUlvE0_clEvENKUlvE_clEvEUliE_St5arrayIPcLm2EEEEviT0_T1_,comdat
.Lfunc_end35:
	.size	_ZN2at6native29vectorized_elementwise_kernelILi2EZZZNS0_12_GLOBAL__N_142_validate_compressed_sparse_indices_kernelILNS2_8CDimNameE0ENS2_18CUDAKernelLauncherENS2_14EmptyVecKernelENS2_8DummyVecELm0EEEvRKNS_6TensorESA_lllENKUlvE0_clEvENKUlvE_clEvEUliE_St5arrayIPcLm2EEEEviT0_T1_, .Lfunc_end35-_ZN2at6native29vectorized_elementwise_kernelILi2EZZZNS0_12_GLOBAL__N_142_validate_compressed_sparse_indices_kernelILNS2_8CDimNameE0ENS2_18CUDAKernelLauncherENS2_14EmptyVecKernelENS2_8DummyVecELm0EEEvRKNS_6TensorESA_lllENKUlvE0_clEvENKUlvE_clEvEUliE_St5arrayIPcLm2EEEEviT0_T1_
                                        ; -- End function
	.set _ZN2at6native29vectorized_elementwise_kernelILi2EZZZNS0_12_GLOBAL__N_142_validate_compressed_sparse_indices_kernelILNS2_8CDimNameE0ENS2_18CUDAKernelLauncherENS2_14EmptyVecKernelENS2_8DummyVecELm0EEEvRKNS_6TensorESA_lllENKUlvE0_clEvENKUlvE_clEvEUliE_St5arrayIPcLm2EEEEviT0_T1_.num_vgpr, 9
	.set _ZN2at6native29vectorized_elementwise_kernelILi2EZZZNS0_12_GLOBAL__N_142_validate_compressed_sparse_indices_kernelILNS2_8CDimNameE0ENS2_18CUDAKernelLauncherENS2_14EmptyVecKernelENS2_8DummyVecELm0EEEvRKNS_6TensorESA_lllENKUlvE0_clEvENKUlvE_clEvEUliE_St5arrayIPcLm2EEEEviT0_T1_.num_agpr, 0
	.set _ZN2at6native29vectorized_elementwise_kernelILi2EZZZNS0_12_GLOBAL__N_142_validate_compressed_sparse_indices_kernelILNS2_8CDimNameE0ENS2_18CUDAKernelLauncherENS2_14EmptyVecKernelENS2_8DummyVecELm0EEEvRKNS_6TensorESA_lllENKUlvE0_clEvENKUlvE_clEvEUliE_St5arrayIPcLm2EEEEviT0_T1_.numbered_sgpr, 22
	.set _ZN2at6native29vectorized_elementwise_kernelILi2EZZZNS0_12_GLOBAL__N_142_validate_compressed_sparse_indices_kernelILNS2_8CDimNameE0ENS2_18CUDAKernelLauncherENS2_14EmptyVecKernelENS2_8DummyVecELm0EEEvRKNS_6TensorESA_lllENKUlvE0_clEvENKUlvE_clEvEUliE_St5arrayIPcLm2EEEEviT0_T1_.num_named_barrier, 0
	.set _ZN2at6native29vectorized_elementwise_kernelILi2EZZZNS0_12_GLOBAL__N_142_validate_compressed_sparse_indices_kernelILNS2_8CDimNameE0ENS2_18CUDAKernelLauncherENS2_14EmptyVecKernelENS2_8DummyVecELm0EEEvRKNS_6TensorESA_lllENKUlvE0_clEvENKUlvE_clEvEUliE_St5arrayIPcLm2EEEEviT0_T1_.private_seg_size, 0
	.set _ZN2at6native29vectorized_elementwise_kernelILi2EZZZNS0_12_GLOBAL__N_142_validate_compressed_sparse_indices_kernelILNS2_8CDimNameE0ENS2_18CUDAKernelLauncherENS2_14EmptyVecKernelENS2_8DummyVecELm0EEEvRKNS_6TensorESA_lllENKUlvE0_clEvENKUlvE_clEvEUliE_St5arrayIPcLm2EEEEviT0_T1_.uses_vcc, 1
	.set _ZN2at6native29vectorized_elementwise_kernelILi2EZZZNS0_12_GLOBAL__N_142_validate_compressed_sparse_indices_kernelILNS2_8CDimNameE0ENS2_18CUDAKernelLauncherENS2_14EmptyVecKernelENS2_8DummyVecELm0EEEvRKNS_6TensorESA_lllENKUlvE0_clEvENKUlvE_clEvEUliE_St5arrayIPcLm2EEEEviT0_T1_.uses_flat_scratch, 0
	.set _ZN2at6native29vectorized_elementwise_kernelILi2EZZZNS0_12_GLOBAL__N_142_validate_compressed_sparse_indices_kernelILNS2_8CDimNameE0ENS2_18CUDAKernelLauncherENS2_14EmptyVecKernelENS2_8DummyVecELm0EEEvRKNS_6TensorESA_lllENKUlvE0_clEvENKUlvE_clEvEUliE_St5arrayIPcLm2EEEEviT0_T1_.has_dyn_sized_stack, 0
	.set _ZN2at6native29vectorized_elementwise_kernelILi2EZZZNS0_12_GLOBAL__N_142_validate_compressed_sparse_indices_kernelILNS2_8CDimNameE0ENS2_18CUDAKernelLauncherENS2_14EmptyVecKernelENS2_8DummyVecELm0EEEvRKNS_6TensorESA_lllENKUlvE0_clEvENKUlvE_clEvEUliE_St5arrayIPcLm2EEEEviT0_T1_.has_recursion, 0
	.set _ZN2at6native29vectorized_elementwise_kernelILi2EZZZNS0_12_GLOBAL__N_142_validate_compressed_sparse_indices_kernelILNS2_8CDimNameE0ENS2_18CUDAKernelLauncherENS2_14EmptyVecKernelENS2_8DummyVecELm0EEEvRKNS_6TensorESA_lllENKUlvE0_clEvENKUlvE_clEvEUliE_St5arrayIPcLm2EEEEviT0_T1_.has_indirect_call, 0
	.section	.AMDGPU.csdata,"",@progbits
; Kernel info:
; codeLenInByte = 1400
; TotalNumSgprs: 24
; NumVgprs: 9
; ScratchSize: 0
; MemoryBound: 0
; FloatMode: 240
; IeeeMode: 1
; LDSByteSize: 0 bytes/workgroup (compile time only)
; SGPRBlocks: 0
; VGPRBlocks: 0
; NumSGPRsForWavesPerEU: 24
; NumVGPRsForWavesPerEU: 9
; NamedBarCnt: 0
; Occupancy: 16
; WaveLimiterHint : 1
; COMPUTE_PGM_RSRC2:SCRATCH_EN: 0
; COMPUTE_PGM_RSRC2:USER_SGPR: 2
; COMPUTE_PGM_RSRC2:TRAP_HANDLER: 0
; COMPUTE_PGM_RSRC2:TGID_X_EN: 1
; COMPUTE_PGM_RSRC2:TGID_Y_EN: 0
; COMPUTE_PGM_RSRC2:TGID_Z_EN: 0
; COMPUTE_PGM_RSRC2:TIDIG_COMP_CNT: 0
	.section	.text._ZN2at6native27unrolled_elementwise_kernelIZZZNS0_12_GLOBAL__N_142_validate_compressed_sparse_indices_kernelILNS2_8CDimNameE0ENS2_18CUDAKernelLauncherENS2_14EmptyVecKernelENS2_8DummyVecELm0EEEvRKNS_6TensorESA_lllENKUlvE0_clEvENKUlvE_clEvEUliE_St5arrayIPcLm2EELi4E23TrivialOffsetCalculatorILi1EjESI_NS0_6memory15LoadWithoutCastENSJ_16StoreWithoutCastEEEviT_T0_T2_T3_T4_T5_,"axG",@progbits,_ZN2at6native27unrolled_elementwise_kernelIZZZNS0_12_GLOBAL__N_142_validate_compressed_sparse_indices_kernelILNS2_8CDimNameE0ENS2_18CUDAKernelLauncherENS2_14EmptyVecKernelENS2_8DummyVecELm0EEEvRKNS_6TensorESA_lllENKUlvE0_clEvENKUlvE_clEvEUliE_St5arrayIPcLm2EELi4E23TrivialOffsetCalculatorILi1EjESI_NS0_6memory15LoadWithoutCastENSJ_16StoreWithoutCastEEEviT_T0_T2_T3_T4_T5_,comdat
	.globl	_ZN2at6native27unrolled_elementwise_kernelIZZZNS0_12_GLOBAL__N_142_validate_compressed_sparse_indices_kernelILNS2_8CDimNameE0ENS2_18CUDAKernelLauncherENS2_14EmptyVecKernelENS2_8DummyVecELm0EEEvRKNS_6TensorESA_lllENKUlvE0_clEvENKUlvE_clEvEUliE_St5arrayIPcLm2EELi4E23TrivialOffsetCalculatorILi1EjESI_NS0_6memory15LoadWithoutCastENSJ_16StoreWithoutCastEEEviT_T0_T2_T3_T4_T5_ ; -- Begin function _ZN2at6native27unrolled_elementwise_kernelIZZZNS0_12_GLOBAL__N_142_validate_compressed_sparse_indices_kernelILNS2_8CDimNameE0ENS2_18CUDAKernelLauncherENS2_14EmptyVecKernelENS2_8DummyVecELm0EEEvRKNS_6TensorESA_lllENKUlvE0_clEvENKUlvE_clEvEUliE_St5arrayIPcLm2EELi4E23TrivialOffsetCalculatorILi1EjESI_NS0_6memory15LoadWithoutCastENSJ_16StoreWithoutCastEEEviT_T0_T2_T3_T4_T5_
	.p2align	8
	.type	_ZN2at6native27unrolled_elementwise_kernelIZZZNS0_12_GLOBAL__N_142_validate_compressed_sparse_indices_kernelILNS2_8CDimNameE0ENS2_18CUDAKernelLauncherENS2_14EmptyVecKernelENS2_8DummyVecELm0EEEvRKNS_6TensorESA_lllENKUlvE0_clEvENKUlvE_clEvEUliE_St5arrayIPcLm2EELi4E23TrivialOffsetCalculatorILi1EjESI_NS0_6memory15LoadWithoutCastENSJ_16StoreWithoutCastEEEviT_T0_T2_T3_T4_T5_,@function
_ZN2at6native27unrolled_elementwise_kernelIZZZNS0_12_GLOBAL__N_142_validate_compressed_sparse_indices_kernelILNS2_8CDimNameE0ENS2_18CUDAKernelLauncherENS2_14EmptyVecKernelENS2_8DummyVecELm0EEEvRKNS_6TensorESA_lllENKUlvE0_clEvENKUlvE_clEvEUliE_St5arrayIPcLm2EELi4E23TrivialOffsetCalculatorILi1EjESI_NS0_6memory15LoadWithoutCastENSJ_16StoreWithoutCastEEEviT_T0_T2_T3_T4_T5_: ; @_ZN2at6native27unrolled_elementwise_kernelIZZZNS0_12_GLOBAL__N_142_validate_compressed_sparse_indices_kernelILNS2_8CDimNameE0ENS2_18CUDAKernelLauncherENS2_14EmptyVecKernelENS2_8DummyVecELm0EEEvRKNS_6TensorESA_lllENKUlvE0_clEvENKUlvE_clEvEUliE_St5arrayIPcLm2EELi4E23TrivialOffsetCalculatorILi1EjESI_NS0_6memory15LoadWithoutCastENSJ_16StoreWithoutCastEEEviT_T0_T2_T3_T4_T5_
; %bb.0:
	s_load_b32 s2, s[0:1], 0x0
	s_bfe_u32 s3, ttmp6, 0x4000c
	s_clause 0x1
	s_load_b128 s[4:7], s[0:1], 0x10
	s_load_b64 s[8:9], s[0:1], 0x20
	s_add_co_i32 s3, s3, 1
	s_wait_kmcnt 0x0
	s_and_b32 s5, ttmp6, 15
	s_mul_i32 s3, ttmp9, s3
	s_getreg_b32 s10, hwreg(HW_REG_IB_STS2, 6, 4)
	s_add_co_i32 s5, s5, s3
	s_cmp_eq_u32 s10, 0
	v_dual_mov_b32 v2, 0 :: v_dual_mov_b32 v5, 0
	s_cselect_b32 s3, ttmp9, s5
	v_dual_mov_b32 v6, 0 :: v_dual_mov_b32 v3, 0
	s_lshl_b32 s3, s3, 10
	v_or_b32_e32 v1, 0x100, v0
	s_mov_b32 s5, 0
	s_sub_co_i32 s10, s2, s3
	s_delay_alu instid0(SALU_CYCLE_1)
	v_cmp_le_i32_e64 s12, s10, v0
	v_cmp_gt_i32_e32 vcc_lo, s10, v0
	s_and_saveexec_b32 s11, vcc_lo
	s_cbranch_execz .LBB36_8
; %bb.1:
	v_dual_mov_b32 v6, 0 :: v_dual_bitop2_b32 v2, s3, v0 bitop3:0x54
	v_or_b32_e32 v4, 0x100, v0
	v_mov_b32_e32 v5, 0
	s_mov_b32 s13, exec_lo
	global_load_b32 v3, v2, s[8:9] scale_offset
	s_wait_xcnt 0x0
	v_mov_b32_e32 v2, 0
	v_cmpx_gt_u32_e64 s10, v4
	s_cbranch_execz .LBB36_7
; %bb.2:
	v_dual_mov_b32 v5, 0 :: v_dual_add_nc_u32 v2, s3, v4
	v_or_b32_e32 v4, 0x200, v0
	s_mov_b32 s14, exec_lo
	global_load_b32 v6, v2, s[8:9] scale_offset
	s_wait_xcnt 0x0
	v_mov_b32_e32 v2, 0
	v_cmpx_gt_u32_e64 s10, v4
	s_cbranch_execz .LBB36_6
; %bb.3:
	v_add_nc_u32_e32 v2, s3, v4
	v_or_b32_e32 v4, 0x300, v0
	s_mov_b32 s15, exec_lo
	global_load_b32 v5, v2, s[8:9] scale_offset
	s_wait_xcnt 0x0
	v_mov_b32_e32 v2, 0
	v_cmpx_gt_u32_e64 s10, v4
	s_cbranch_execz .LBB36_5
; %bb.4:
	v_add_nc_u32_e32 v2, s3, v4
	global_load_b32 v2, v2, s[8:9] scale_offset
.LBB36_5:
	s_wait_xcnt 0x0
	s_or_b32 exec_lo, exec_lo, s15
.LBB36_6:
	s_delay_alu instid0(SALU_CYCLE_1)
	s_or_b32 exec_lo, exec_lo, s14
.LBB36_7:
	s_delay_alu instid0(SALU_CYCLE_1)
	s_or_b32 exec_lo, exec_lo, s13
.LBB36_8:
	s_delay_alu instid0(SALU_CYCLE_1) | instskip(SKIP_4) | instid1(SALU_CYCLE_1)
	s_or_b32 exec_lo, exec_lo, s11
	s_load_b32 s13, s[0:1], 0x8
	s_wait_xcnt 0x0
	s_get_pc_i64 s[0:1]
	s_add_nc_u64 s[0:1], s[0:1], .str@rel64+4
	s_cmp_lg_u64 s[0:1], 0
	s_cselect_b32 s14, -1, 0
	s_and_saveexec_b32 s2, vcc_lo
	s_cbranch_execz .LBB36_10
; %bb.9:
	s_wait_loadcnt 0x0
	s_wait_kmcnt 0x0
	v_cmp_le_i32_e64 s0, s13, v3
	v_cmp_gt_i32_e64 s1, s4, v3
	s_mov_b32 s5, exec_lo
	s_and_b32 s0, s0, s1
	s_and_not1_b32 s1, s12, exec_lo
	s_and_b32 s0, s14, s0
	s_delay_alu instid0(SALU_CYCLE_1) | instskip(NEXT) | instid1(SALU_CYCLE_1)
	s_and_b32 s0, s0, exec_lo
	s_or_b32 s12, s1, s0
.LBB36_10:
	s_or_b32 exec_lo, exec_lo, s2
	s_mov_b32 s0, 0
                                        ; implicit-def: $sgpr2
                                        ; implicit-def: $sgpr8
                                        ; implicit-def: $sgpr9
                                        ; implicit-def: $vgpr4
                                        ; implicit-def: $vgpr3
	s_and_saveexec_b32 s11, s12
	s_cbranch_execz .LBB36_23
; %bb.11:
	v_cmp_le_i32_e64 s17, s10, v1
	v_cmp_gt_i32_e64 s2, s10, v1
	s_mov_b32 s16, 0
	s_mov_b32 s12, 0
	s_and_saveexec_b32 s8, s2
	s_cbranch_execz .LBB36_13
; %bb.12:
	s_wait_loadcnt 0x0
	s_wait_kmcnt 0x0
	v_cmp_le_i32_e64 s0, s13, v6
	v_cmp_gt_i32_e64 s1, s4, v6
	s_mov_b32 s12, exec_lo
	s_and_b32 s0, s0, s1
	s_and_not1_b32 s1, s17, exec_lo
	s_and_b32 s0, s14, s0
	s_delay_alu instid0(SALU_CYCLE_1) | instskip(NEXT) | instid1(SALU_CYCLE_1)
	s_and_b32 s0, s0, exec_lo
	s_or_b32 s17, s1, s0
.LBB36_13:
	s_or_b32 exec_lo, exec_lo, s8
                                        ; implicit-def: $sgpr8
                                        ; implicit-def: $sgpr9
                                        ; implicit-def: $vgpr4
                                        ; implicit-def: $vgpr3
	s_and_saveexec_b32 s15, s17
	s_cbranch_execz .LBB36_21
; %bb.14:
	s_wait_loadcnt 0x0
	v_or_b32_e32 v3, 0x200, v0
	s_mov_b32 s17, 0
	s_delay_alu instid0(VALU_DEP_1)
	v_cmp_le_i32_e64 s19, s10, v3
	v_cmp_gt_i32_e64 s8, s10, v3
	s_and_saveexec_b32 s9, s8
	s_cbranch_execz .LBB36_16
; %bb.15:
	s_wait_kmcnt 0x0
	v_cmp_le_i32_e64 s0, s13, v5
	v_cmp_gt_i32_e64 s1, s4, v5
	s_mov_b32 s16, exec_lo
	s_and_b32 s0, s0, s1
	s_and_not1_b32 s1, s19, exec_lo
	s_and_b32 s0, s14, s0
	s_delay_alu instid0(SALU_CYCLE_1) | instskip(NEXT) | instid1(SALU_CYCLE_1)
	s_and_b32 s0, s0, exec_lo
	s_or_b32 s19, s1, s0
.LBB36_16:
	s_or_b32 exec_lo, exec_lo, s9
                                        ; implicit-def: $sgpr9
                                        ; implicit-def: $vgpr4
	s_and_saveexec_b32 s18, s19
	s_cbranch_execz .LBB36_20
; %bb.17:
	v_or_b32_e32 v4, 0x300, v0
	s_mov_b32 s0, 0
	s_delay_alu instid0(VALU_DEP_1) | instskip(SKIP_2) | instid1(SALU_CYCLE_1)
	v_cmp_le_i32_e64 s17, s10, v4
	v_cmp_gt_i32_e64 s9, s10, v4
	s_and_saveexec_b32 s1, s9
	s_xor_b32 s10, exec_lo, s1
	s_cbranch_execz .LBB36_19
; %bb.18:
	s_wait_kmcnt 0x0
	v_cmp_le_i32_e64 s0, s13, v2
	v_cmp_gt_i32_e64 s1, s4, v2
	s_or_b32 s17, s17, exec_lo
	s_and_b32 s0, s0, s1
	s_delay_alu instid0(SALU_CYCLE_1) | instskip(NEXT) | instid1(SALU_CYCLE_1)
	s_and_b32 s0, s14, s0
	s_xor_b32 s0, s0, -1
	s_delay_alu instid0(SALU_CYCLE_1)
	s_and_b32 s0, s0, exec_lo
.LBB36_19:
	s_or_b32 exec_lo, exec_lo, s10
	s_delay_alu instid0(SALU_CYCLE_1)
	s_and_not1_b32 s1, s16, exec_lo
	s_and_b32 s0, s0, exec_lo
	s_and_b32 s17, s17, exec_lo
	s_or_b32 s16, s1, s0
.LBB36_20:
	s_or_b32 exec_lo, exec_lo, s18
	s_delay_alu instid0(SALU_CYCLE_1)
	s_and_not1_b32 s0, s12, exec_lo
	s_and_b32 s1, s16, exec_lo
	s_and_b32 s16, s17, exec_lo
	s_or_b32 s12, s0, s1
.LBB36_21:
	s_or_b32 exec_lo, exec_lo, s15
	s_delay_alu instid0(SALU_CYCLE_1)
	s_and_not1_b32 s1, s5, exec_lo
	s_and_b32 s4, s12, exec_lo
	s_and_b32 s0, s16, exec_lo
	s_or_b32 s5, s1, s4
	s_or_b32 exec_lo, exec_lo, s11
	s_and_saveexec_b32 s1, s5
	s_cbranch_execz .LBB36_24
.LBB36_22:
	s_trap 2
	; divergent unreachable
	s_and_not1_b32 s0, s0, exec_lo
	s_or_b32 exec_lo, exec_lo, s1
	s_and_saveexec_b32 s1, s0
	s_cbranch_execnz .LBB36_25
	s_branch .LBB36_30
.LBB36_23:
	s_or_b32 exec_lo, exec_lo, s11
	s_and_saveexec_b32 s1, s5
	s_cbranch_execnz .LBB36_22
.LBB36_24:
	s_or_b32 exec_lo, exec_lo, s1
	s_and_saveexec_b32 s1, s0
	s_cbranch_execz .LBB36_30
.LBB36_25:
	s_and_b32 exec_lo, exec_lo, vcc_lo
	s_cbranch_execz .LBB36_30
; %bb.26:
	s_wait_loadcnt 0x0
	v_dual_mov_b32 v0, 0 :: v_dual_bitop2_b32 v2, s3, v0 bitop3:0x54
	global_store_b32 v2, v0, s[6:7] scale_offset
	s_wait_xcnt 0x0
	s_and_b32 exec_lo, exec_lo, s2
	s_cbranch_execz .LBB36_30
; %bb.27:
	v_add_nc_u32_e32 v1, s3, v1
	global_store_b32 v1, v0, s[6:7] scale_offset
	s_wait_xcnt 0x0
	s_and_b32 exec_lo, exec_lo, s8
	s_cbranch_execz .LBB36_30
; %bb.28:
	v_dual_mov_b32 v0, 0 :: v_dual_add_nc_u32 v1, s3, v3
	global_store_b32 v1, v0, s[6:7] scale_offset
	s_wait_xcnt 0x0
	s_and_b32 exec_lo, exec_lo, s9
	s_cbranch_execz .LBB36_30
; %bb.29:
	v_add_nc_u32_e32 v1, s3, v4
	global_store_b32 v1, v0, s[6:7] scale_offset
	s_endpgm
.LBB36_30:
	s_endpgm
	.section	.rodata,"a",@progbits
	.p2align	6, 0x0
	.amdhsa_kernel _ZN2at6native27unrolled_elementwise_kernelIZZZNS0_12_GLOBAL__N_142_validate_compressed_sparse_indices_kernelILNS2_8CDimNameE0ENS2_18CUDAKernelLauncherENS2_14EmptyVecKernelENS2_8DummyVecELm0EEEvRKNS_6TensorESA_lllENKUlvE0_clEvENKUlvE_clEvEUliE_St5arrayIPcLm2EELi4E23TrivialOffsetCalculatorILi1EjESI_NS0_6memory15LoadWithoutCastENSJ_16StoreWithoutCastEEEviT_T0_T2_T3_T4_T5_
		.amdhsa_group_segment_fixed_size 0
		.amdhsa_private_segment_fixed_size 0
		.amdhsa_kernarg_size 44
		.amdhsa_user_sgpr_count 2
		.amdhsa_user_sgpr_dispatch_ptr 0
		.amdhsa_user_sgpr_queue_ptr 0
		.amdhsa_user_sgpr_kernarg_segment_ptr 1
		.amdhsa_user_sgpr_dispatch_id 0
		.amdhsa_user_sgpr_kernarg_preload_length 0
		.amdhsa_user_sgpr_kernarg_preload_offset 0
		.amdhsa_user_sgpr_private_segment_size 0
		.amdhsa_wavefront_size32 1
		.amdhsa_uses_dynamic_stack 0
		.amdhsa_enable_private_segment 0
		.amdhsa_system_sgpr_workgroup_id_x 1
		.amdhsa_system_sgpr_workgroup_id_y 0
		.amdhsa_system_sgpr_workgroup_id_z 0
		.amdhsa_system_sgpr_workgroup_info 0
		.amdhsa_system_vgpr_workitem_id 0
		.amdhsa_next_free_vgpr 7
		.amdhsa_next_free_sgpr 20
		.amdhsa_named_barrier_count 0
		.amdhsa_reserve_vcc 1
		.amdhsa_float_round_mode_32 0
		.amdhsa_float_round_mode_16_64 0
		.amdhsa_float_denorm_mode_32 3
		.amdhsa_float_denorm_mode_16_64 3
		.amdhsa_fp16_overflow 0
		.amdhsa_memory_ordered 1
		.amdhsa_forward_progress 1
		.amdhsa_inst_pref_size 8
		.amdhsa_round_robin_scheduling 0
		.amdhsa_exception_fp_ieee_invalid_op 0
		.amdhsa_exception_fp_denorm_src 0
		.amdhsa_exception_fp_ieee_div_zero 0
		.amdhsa_exception_fp_ieee_overflow 0
		.amdhsa_exception_fp_ieee_underflow 0
		.amdhsa_exception_fp_ieee_inexact 0
		.amdhsa_exception_int_div_zero 0
	.end_amdhsa_kernel
	.section	.text._ZN2at6native27unrolled_elementwise_kernelIZZZNS0_12_GLOBAL__N_142_validate_compressed_sparse_indices_kernelILNS2_8CDimNameE0ENS2_18CUDAKernelLauncherENS2_14EmptyVecKernelENS2_8DummyVecELm0EEEvRKNS_6TensorESA_lllENKUlvE0_clEvENKUlvE_clEvEUliE_St5arrayIPcLm2EELi4E23TrivialOffsetCalculatorILi1EjESI_NS0_6memory15LoadWithoutCastENSJ_16StoreWithoutCastEEEviT_T0_T2_T3_T4_T5_,"axG",@progbits,_ZN2at6native27unrolled_elementwise_kernelIZZZNS0_12_GLOBAL__N_142_validate_compressed_sparse_indices_kernelILNS2_8CDimNameE0ENS2_18CUDAKernelLauncherENS2_14EmptyVecKernelENS2_8DummyVecELm0EEEvRKNS_6TensorESA_lllENKUlvE0_clEvENKUlvE_clEvEUliE_St5arrayIPcLm2EELi4E23TrivialOffsetCalculatorILi1EjESI_NS0_6memory15LoadWithoutCastENSJ_16StoreWithoutCastEEEviT_T0_T2_T3_T4_T5_,comdat
.Lfunc_end36:
	.size	_ZN2at6native27unrolled_elementwise_kernelIZZZNS0_12_GLOBAL__N_142_validate_compressed_sparse_indices_kernelILNS2_8CDimNameE0ENS2_18CUDAKernelLauncherENS2_14EmptyVecKernelENS2_8DummyVecELm0EEEvRKNS_6TensorESA_lllENKUlvE0_clEvENKUlvE_clEvEUliE_St5arrayIPcLm2EELi4E23TrivialOffsetCalculatorILi1EjESI_NS0_6memory15LoadWithoutCastENSJ_16StoreWithoutCastEEEviT_T0_T2_T3_T4_T5_, .Lfunc_end36-_ZN2at6native27unrolled_elementwise_kernelIZZZNS0_12_GLOBAL__N_142_validate_compressed_sparse_indices_kernelILNS2_8CDimNameE0ENS2_18CUDAKernelLauncherENS2_14EmptyVecKernelENS2_8DummyVecELm0EEEvRKNS_6TensorESA_lllENKUlvE0_clEvENKUlvE_clEvEUliE_St5arrayIPcLm2EELi4E23TrivialOffsetCalculatorILi1EjESI_NS0_6memory15LoadWithoutCastENSJ_16StoreWithoutCastEEEviT_T0_T2_T3_T4_T5_
                                        ; -- End function
	.set _ZN2at6native27unrolled_elementwise_kernelIZZZNS0_12_GLOBAL__N_142_validate_compressed_sparse_indices_kernelILNS2_8CDimNameE0ENS2_18CUDAKernelLauncherENS2_14EmptyVecKernelENS2_8DummyVecELm0EEEvRKNS_6TensorESA_lllENKUlvE0_clEvENKUlvE_clEvEUliE_St5arrayIPcLm2EELi4E23TrivialOffsetCalculatorILi1EjESI_NS0_6memory15LoadWithoutCastENSJ_16StoreWithoutCastEEEviT_T0_T2_T3_T4_T5_.num_vgpr, 7
	.set _ZN2at6native27unrolled_elementwise_kernelIZZZNS0_12_GLOBAL__N_142_validate_compressed_sparse_indices_kernelILNS2_8CDimNameE0ENS2_18CUDAKernelLauncherENS2_14EmptyVecKernelENS2_8DummyVecELm0EEEvRKNS_6TensorESA_lllENKUlvE0_clEvENKUlvE_clEvEUliE_St5arrayIPcLm2EELi4E23TrivialOffsetCalculatorILi1EjESI_NS0_6memory15LoadWithoutCastENSJ_16StoreWithoutCastEEEviT_T0_T2_T3_T4_T5_.num_agpr, 0
	.set _ZN2at6native27unrolled_elementwise_kernelIZZZNS0_12_GLOBAL__N_142_validate_compressed_sparse_indices_kernelILNS2_8CDimNameE0ENS2_18CUDAKernelLauncherENS2_14EmptyVecKernelENS2_8DummyVecELm0EEEvRKNS_6TensorESA_lllENKUlvE0_clEvENKUlvE_clEvEUliE_St5arrayIPcLm2EELi4E23TrivialOffsetCalculatorILi1EjESI_NS0_6memory15LoadWithoutCastENSJ_16StoreWithoutCastEEEviT_T0_T2_T3_T4_T5_.numbered_sgpr, 20
	.set _ZN2at6native27unrolled_elementwise_kernelIZZZNS0_12_GLOBAL__N_142_validate_compressed_sparse_indices_kernelILNS2_8CDimNameE0ENS2_18CUDAKernelLauncherENS2_14EmptyVecKernelENS2_8DummyVecELm0EEEvRKNS_6TensorESA_lllENKUlvE0_clEvENKUlvE_clEvEUliE_St5arrayIPcLm2EELi4E23TrivialOffsetCalculatorILi1EjESI_NS0_6memory15LoadWithoutCastENSJ_16StoreWithoutCastEEEviT_T0_T2_T3_T4_T5_.num_named_barrier, 0
	.set _ZN2at6native27unrolled_elementwise_kernelIZZZNS0_12_GLOBAL__N_142_validate_compressed_sparse_indices_kernelILNS2_8CDimNameE0ENS2_18CUDAKernelLauncherENS2_14EmptyVecKernelENS2_8DummyVecELm0EEEvRKNS_6TensorESA_lllENKUlvE0_clEvENKUlvE_clEvEUliE_St5arrayIPcLm2EELi4E23TrivialOffsetCalculatorILi1EjESI_NS0_6memory15LoadWithoutCastENSJ_16StoreWithoutCastEEEviT_T0_T2_T3_T4_T5_.private_seg_size, 0
	.set _ZN2at6native27unrolled_elementwise_kernelIZZZNS0_12_GLOBAL__N_142_validate_compressed_sparse_indices_kernelILNS2_8CDimNameE0ENS2_18CUDAKernelLauncherENS2_14EmptyVecKernelENS2_8DummyVecELm0EEEvRKNS_6TensorESA_lllENKUlvE0_clEvENKUlvE_clEvEUliE_St5arrayIPcLm2EELi4E23TrivialOffsetCalculatorILi1EjESI_NS0_6memory15LoadWithoutCastENSJ_16StoreWithoutCastEEEviT_T0_T2_T3_T4_T5_.uses_vcc, 1
	.set _ZN2at6native27unrolled_elementwise_kernelIZZZNS0_12_GLOBAL__N_142_validate_compressed_sparse_indices_kernelILNS2_8CDimNameE0ENS2_18CUDAKernelLauncherENS2_14EmptyVecKernelENS2_8DummyVecELm0EEEvRKNS_6TensorESA_lllENKUlvE0_clEvENKUlvE_clEvEUliE_St5arrayIPcLm2EELi4E23TrivialOffsetCalculatorILi1EjESI_NS0_6memory15LoadWithoutCastENSJ_16StoreWithoutCastEEEviT_T0_T2_T3_T4_T5_.uses_flat_scratch, 0
	.set _ZN2at6native27unrolled_elementwise_kernelIZZZNS0_12_GLOBAL__N_142_validate_compressed_sparse_indices_kernelILNS2_8CDimNameE0ENS2_18CUDAKernelLauncherENS2_14EmptyVecKernelENS2_8DummyVecELm0EEEvRKNS_6TensorESA_lllENKUlvE0_clEvENKUlvE_clEvEUliE_St5arrayIPcLm2EELi4E23TrivialOffsetCalculatorILi1EjESI_NS0_6memory15LoadWithoutCastENSJ_16StoreWithoutCastEEEviT_T0_T2_T3_T4_T5_.has_dyn_sized_stack, 0
	.set _ZN2at6native27unrolled_elementwise_kernelIZZZNS0_12_GLOBAL__N_142_validate_compressed_sparse_indices_kernelILNS2_8CDimNameE0ENS2_18CUDAKernelLauncherENS2_14EmptyVecKernelENS2_8DummyVecELm0EEEvRKNS_6TensorESA_lllENKUlvE0_clEvENKUlvE_clEvEUliE_St5arrayIPcLm2EELi4E23TrivialOffsetCalculatorILi1EjESI_NS0_6memory15LoadWithoutCastENSJ_16StoreWithoutCastEEEviT_T0_T2_T3_T4_T5_.has_recursion, 0
	.set _ZN2at6native27unrolled_elementwise_kernelIZZZNS0_12_GLOBAL__N_142_validate_compressed_sparse_indices_kernelILNS2_8CDimNameE0ENS2_18CUDAKernelLauncherENS2_14EmptyVecKernelENS2_8DummyVecELm0EEEvRKNS_6TensorESA_lllENKUlvE0_clEvENKUlvE_clEvEUliE_St5arrayIPcLm2EELi4E23TrivialOffsetCalculatorILi1EjESI_NS0_6memory15LoadWithoutCastENSJ_16StoreWithoutCastEEEviT_T0_T2_T3_T4_T5_.has_indirect_call, 0
	.section	.AMDGPU.csdata,"",@progbits
; Kernel info:
; codeLenInByte = 1004
; TotalNumSgprs: 22
; NumVgprs: 7
; ScratchSize: 0
; MemoryBound: 0
; FloatMode: 240
; IeeeMode: 1
; LDSByteSize: 0 bytes/workgroup (compile time only)
; SGPRBlocks: 0
; VGPRBlocks: 0
; NumSGPRsForWavesPerEU: 22
; NumVGPRsForWavesPerEU: 7
; NamedBarCnt: 0
; Occupancy: 16
; WaveLimiterHint : 0
; COMPUTE_PGM_RSRC2:SCRATCH_EN: 0
; COMPUTE_PGM_RSRC2:USER_SGPR: 2
; COMPUTE_PGM_RSRC2:TRAP_HANDLER: 0
; COMPUTE_PGM_RSRC2:TGID_X_EN: 1
; COMPUTE_PGM_RSRC2:TGID_Y_EN: 0
; COMPUTE_PGM_RSRC2:TGID_Z_EN: 0
; COMPUTE_PGM_RSRC2:TIDIG_COMP_CNT: 0
	.section	.text._ZN2at6native32elementwise_kernel_manual_unrollILi128ELi4EZNS0_22gpu_kernel_impl_nocastIZZZNS0_12_GLOBAL__N_142_validate_compressed_sparse_indices_kernelILNS3_8CDimNameE0ENS3_18CUDAKernelLauncherENS3_14EmptyVecKernelENS3_8DummyVecELm0EEEvRKNS_6TensorESB_lllENKUlvE0_clEvENKUlvE_clEvEUliE_EEvRNS_18TensorIteratorBaseERKT_EUlibE_EEviT1_,"axG",@progbits,_ZN2at6native32elementwise_kernel_manual_unrollILi128ELi4EZNS0_22gpu_kernel_impl_nocastIZZZNS0_12_GLOBAL__N_142_validate_compressed_sparse_indices_kernelILNS3_8CDimNameE0ENS3_18CUDAKernelLauncherENS3_14EmptyVecKernelENS3_8DummyVecELm0EEEvRKNS_6TensorESB_lllENKUlvE0_clEvENKUlvE_clEvEUliE_EEvRNS_18TensorIteratorBaseERKT_EUlibE_EEviT1_,comdat
	.globl	_ZN2at6native32elementwise_kernel_manual_unrollILi128ELi4EZNS0_22gpu_kernel_impl_nocastIZZZNS0_12_GLOBAL__N_142_validate_compressed_sparse_indices_kernelILNS3_8CDimNameE0ENS3_18CUDAKernelLauncherENS3_14EmptyVecKernelENS3_8DummyVecELm0EEEvRKNS_6TensorESB_lllENKUlvE0_clEvENKUlvE_clEvEUliE_EEvRNS_18TensorIteratorBaseERKT_EUlibE_EEviT1_ ; -- Begin function _ZN2at6native32elementwise_kernel_manual_unrollILi128ELi4EZNS0_22gpu_kernel_impl_nocastIZZZNS0_12_GLOBAL__N_142_validate_compressed_sparse_indices_kernelILNS3_8CDimNameE0ENS3_18CUDAKernelLauncherENS3_14EmptyVecKernelENS3_8DummyVecELm0EEEvRKNS_6TensorESB_lllENKUlvE0_clEvENKUlvE_clEvEUliE_EEvRNS_18TensorIteratorBaseERKT_EUlibE_EEviT1_
	.p2align	8
	.type	_ZN2at6native32elementwise_kernel_manual_unrollILi128ELi4EZNS0_22gpu_kernel_impl_nocastIZZZNS0_12_GLOBAL__N_142_validate_compressed_sparse_indices_kernelILNS3_8CDimNameE0ENS3_18CUDAKernelLauncherENS3_14EmptyVecKernelENS3_8DummyVecELm0EEEvRKNS_6TensorESB_lllENKUlvE0_clEvENKUlvE_clEvEUliE_EEvRNS_18TensorIteratorBaseERKT_EUlibE_EEviT1_,@function
_ZN2at6native32elementwise_kernel_manual_unrollILi128ELi4EZNS0_22gpu_kernel_impl_nocastIZZZNS0_12_GLOBAL__N_142_validate_compressed_sparse_indices_kernelILNS3_8CDimNameE0ENS3_18CUDAKernelLauncherENS3_14EmptyVecKernelENS3_8DummyVecELm0EEEvRKNS_6TensorESB_lllENKUlvE0_clEvENKUlvE_clEvEUliE_EEvRNS_18TensorIteratorBaseERKT_EUlibE_EEviT1_: ; @_ZN2at6native32elementwise_kernel_manual_unrollILi128ELi4EZNS0_22gpu_kernel_impl_nocastIZZZNS0_12_GLOBAL__N_142_validate_compressed_sparse_indices_kernelILNS3_8CDimNameE0ENS3_18CUDAKernelLauncherENS3_14EmptyVecKernelENS3_8DummyVecELm0EEEvRKNS_6TensorESB_lllENKUlvE0_clEvENKUlvE_clEvEUliE_EEvRNS_18TensorIteratorBaseERKT_EUlibE_EEviT1_
; %bb.0:
	s_clause 0x1
	s_load_b32 s30, s[0:1], 0x8
	s_load_b32 s40, s[0:1], 0x0
	s_bfe_u32 s2, ttmp6, 0x4000c
	s_and_b32 s3, ttmp6, 15
	s_add_co_i32 s2, s2, 1
	s_getreg_b32 s4, hwreg(HW_REG_IB_STS2, 6, 4)
	s_mul_i32 s2, ttmp9, s2
	s_mov_b32 s33, 0
	s_add_co_i32 s3, s3, s2
	s_cmp_eq_u32 s4, 0
	s_mov_b32 s24, -1
	s_cselect_b32 s2, ttmp9, s3
	s_add_nc_u64 s[16:17], s[0:1], 8
	v_lshl_or_b32 v0, s2, 9, v0
	s_mov_b32 s10, 0
	s_get_pc_i64 s[2:3]
	s_add_nc_u64 s[2:3], s[2:3], .str@rel64+4
	s_wait_xcnt 0x0
	s_mov_b32 s0, exec_lo
	v_or_b32_e32 v1, 0x180, v0
	s_wait_kmcnt 0x0
	s_add_co_i32 s31, s30, -1
	s_delay_alu instid0(SALU_CYCLE_1)
	s_cmp_gt_u32 s31, 1
	s_cselect_b32 s34, -1, 0
	v_cmpx_le_i32_e64 s40, v1
	s_xor_b32 s35, exec_lo, s0
	s_cbranch_execz .LBB37_31
; %bb.1:
	s_clause 0x5
	s_load_b128 s[8:11], s[16:17], 0x4
	s_load_b64 s[0:1], s[16:17], 0x14
	s_load_b32 s36, s[16:17], 0x158
	s_load_b32 s37, s[16:17], 0x160
	s_load_b128 s[12:15], s[16:17], 0xc4
	s_load_b128 s[4:7], s[16:17], 0x148
	s_cmp_lg_u32 s30, 0
	s_mov_b32 s19, 0
	s_cselect_b32 s42, -1, 0
	s_min_u32 s41, s31, 15
	s_cmp_gt_u32 s30, 1
	s_add_nc_u64 s[22:23], s[16:17], 0xc4
	s_cselect_b32 s39, -1, 0
	s_cmp_lg_u64 s[2:3], 0
	s_mov_b32 s21, s19
	s_cselect_b32 s38, -1, 0
	s_mov_b32 s43, exec_lo
	s_wait_kmcnt 0x0
	s_mov_b32 s18, s9
	s_mov_b32 s20, s0
	;; [unrolled: 1-line block ×3, first 2 shown]
	v_cmpx_gt_i32_e64 s40, v0
	s_cbranch_execz .LBB37_7
; %bb.2:
	s_and_not1_b32 vcc_lo, exec_lo, s34
	s_cbranch_vccnz .LBB37_14
; %bb.3:
	s_and_not1_b32 vcc_lo, exec_lo, s42
	s_cbranch_vccnz .LBB37_16
; %bb.4:
	s_add_co_i32 s0, s41, 1
	s_cmp_eq_u32 s31, 2
	s_cbranch_scc1 .LBB37_17
; %bb.5:
	v_dual_mov_b32 v2, 0 :: v_dual_mov_b32 v3, 0
	v_mov_b32_e32 v1, v0
	s_and_b32 s24, s0, 28
	s_mov_b32 s9, 0
	s_mov_b64 s[26:27], s[16:17]
	s_mov_b64 s[28:29], s[22:23]
.LBB37_6:                               ; =>This Inner Loop Header: Depth=1
	s_clause 0x1
	s_load_b256 s[44:51], s[26:27], 0x4
	s_load_b128 s[60:63], s[26:27], 0x24
	s_load_b256 s[52:59], s[28:29], 0x0
	s_add_co_i32 s9, s9, 4
	s_wait_xcnt 0x0
	s_add_nc_u64 s[26:27], s[26:27], 48
	s_cmp_lg_u32 s24, s9
	s_add_nc_u64 s[28:29], s[28:29], 32
	s_wait_kmcnt 0x0
	v_mul_hi_u32 v4, s45, v1
	s_delay_alu instid0(VALU_DEP_1) | instskip(NEXT) | instid1(VALU_DEP_1)
	v_add_nc_u32_e32 v4, v1, v4
	v_lshrrev_b32_e32 v4, s46, v4
	s_delay_alu instid0(VALU_DEP_1) | instskip(NEXT) | instid1(VALU_DEP_1)
	v_mul_hi_u32 v5, s48, v4
	v_add_nc_u32_e32 v5, v4, v5
	s_delay_alu instid0(VALU_DEP_1) | instskip(NEXT) | instid1(VALU_DEP_1)
	v_lshrrev_b32_e32 v5, s49, v5
	v_mul_hi_u32 v6, s51, v5
	s_delay_alu instid0(VALU_DEP_1) | instskip(SKIP_1) | instid1(VALU_DEP_1)
	v_add_nc_u32_e32 v6, v5, v6
	v_mul_lo_u32 v7, v4, s44
	v_sub_nc_u32_e32 v1, v1, v7
	v_mul_lo_u32 v7, v5, s47
	s_delay_alu instid0(VALU_DEP_4) | instskip(NEXT) | instid1(VALU_DEP_3)
	v_lshrrev_b32_e32 v6, s60, v6
	v_mad_u32 v3, v1, s53, v3
	v_mad_u32 v1, v1, s52, v2
	s_delay_alu instid0(VALU_DEP_4) | instskip(NEXT) | instid1(VALU_DEP_4)
	v_sub_nc_u32_e32 v2, v4, v7
	v_mul_hi_u32 v8, s62, v6
	v_mul_lo_u32 v4, v6, s50
	s_delay_alu instid0(VALU_DEP_3) | instskip(SKIP_1) | instid1(VALU_DEP_4)
	v_mad_u32 v3, v2, s55, v3
	v_mad_u32 v2, v2, s54, v1
	v_add_nc_u32_e32 v7, v6, v8
	s_delay_alu instid0(VALU_DEP_1) | instskip(NEXT) | instid1(VALU_DEP_1)
	v_dual_sub_nc_u32 v4, v5, v4 :: v_dual_lshrrev_b32 v1, s63, v7
	v_mad_u32 v3, v4, s57, v3
	s_delay_alu instid0(VALU_DEP_4) | instskip(NEXT) | instid1(VALU_DEP_3)
	v_mad_u32 v2, v4, s56, v2
	v_mul_lo_u32 v5, v1, s61
	s_delay_alu instid0(VALU_DEP_1) | instskip(NEXT) | instid1(VALU_DEP_1)
	v_sub_nc_u32_e32 v4, v6, v5
	v_mad_u32 v3, v4, s59, v3
	s_delay_alu instid0(VALU_DEP_4)
	v_mad_u32 v2, v4, s58, v2
	s_cbranch_scc1 .LBB37_6
	s_branch .LBB37_18
.LBB37_7:
	s_or_b32 exec_lo, exec_lo, s43
                                        ; implicit-def: $vgpr2
	s_and_saveexec_b32 s43, s24
	s_cbranch_execz .LBB37_27
.LBB37_8:
	s_mov_b32 s0, -1
	s_mov_b32 s44, s9
	s_mov_b32 s45, exec_lo
	v_cmpx_gt_i32_e64 s40, v0
	s_cbranch_execz .LBB37_115
; %bb.9:
	s_and_not1_b32 vcc_lo, exec_lo, s34
	s_cbranch_vccnz .LBB37_15
; %bb.10:
	s_and_not1_b32 vcc_lo, exec_lo, s42
	s_cbranch_vccnz .LBB37_104
; %bb.11:
	s_add_co_i32 s0, s41, 1
	s_cmp_eq_u32 s31, 2
	s_cbranch_scc1 .LBB37_105
; %bb.12:
	v_dual_mov_b32 v2, 0 :: v_dual_mov_b32 v3, 0
	v_mov_b32_e32 v1, v0
	s_and_b32 s24, s0, 28
	s_mov_b32 s25, 0
	s_mov_b64 s[26:27], s[16:17]
	s_mov_b64 s[28:29], s[22:23]
.LBB37_13:                              ; =>This Inner Loop Header: Depth=1
	s_clause 0x1
	s_load_b256 s[48:55], s[26:27], 0x4
	s_load_b128 s[64:67], s[26:27], 0x24
	s_load_b256 s[56:63], s[28:29], 0x0
	s_add_co_i32 s25, s25, 4
	s_wait_xcnt 0x0
	s_add_nc_u64 s[26:27], s[26:27], 48
	s_cmp_eq_u32 s24, s25
	s_add_nc_u64 s[28:29], s[28:29], 32
	s_wait_kmcnt 0x0
	v_mul_hi_u32 v4, s49, v1
	s_delay_alu instid0(VALU_DEP_1) | instskip(NEXT) | instid1(VALU_DEP_1)
	v_add_nc_u32_e32 v4, v1, v4
	v_lshrrev_b32_e32 v4, s50, v4
	s_delay_alu instid0(VALU_DEP_1) | instskip(NEXT) | instid1(VALU_DEP_1)
	v_mul_hi_u32 v5, s52, v4
	v_add_nc_u32_e32 v5, v4, v5
	s_delay_alu instid0(VALU_DEP_1) | instskip(NEXT) | instid1(VALU_DEP_1)
	v_lshrrev_b32_e32 v5, s53, v5
	v_mul_hi_u32 v6, s55, v5
	s_delay_alu instid0(VALU_DEP_1) | instskip(SKIP_1) | instid1(VALU_DEP_1)
	v_add_nc_u32_e32 v6, v5, v6
	v_mul_lo_u32 v7, v4, s48
	v_sub_nc_u32_e32 v1, v1, v7
	v_mul_lo_u32 v7, v5, s51
	s_delay_alu instid0(VALU_DEP_4) | instskip(NEXT) | instid1(VALU_DEP_3)
	v_lshrrev_b32_e32 v6, s64, v6
	v_mad_u32 v3, v1, s57, v3
	v_mad_u32 v1, v1, s56, v2
	s_delay_alu instid0(VALU_DEP_4) | instskip(NEXT) | instid1(VALU_DEP_4)
	v_sub_nc_u32_e32 v2, v4, v7
	v_mul_hi_u32 v8, s66, v6
	v_mul_lo_u32 v4, v6, s54
	s_delay_alu instid0(VALU_DEP_3) | instskip(SKIP_1) | instid1(VALU_DEP_4)
	v_mad_u32 v3, v2, s59, v3
	v_mad_u32 v2, v2, s58, v1
	v_add_nc_u32_e32 v7, v6, v8
	s_delay_alu instid0(VALU_DEP_1) | instskip(NEXT) | instid1(VALU_DEP_1)
	v_dual_sub_nc_u32 v4, v5, v4 :: v_dual_lshrrev_b32 v1, s67, v7
	v_mad_u32 v3, v4, s61, v3
	s_delay_alu instid0(VALU_DEP_4) | instskip(NEXT) | instid1(VALU_DEP_3)
	v_mad_u32 v2, v4, s60, v2
	v_mul_lo_u32 v5, v1, s65
	s_delay_alu instid0(VALU_DEP_1) | instskip(NEXT) | instid1(VALU_DEP_1)
	v_sub_nc_u32_e32 v4, v6, v5
	v_mad_u32 v3, v4, s63, v3
	s_delay_alu instid0(VALU_DEP_4)
	v_mad_u32 v2, v4, s62, v2
	s_cbranch_scc0 .LBB37_13
	s_branch .LBB37_106
.LBB37_14:
                                        ; implicit-def: $vgpr3
	s_branch .LBB37_22
.LBB37_15:
                                        ; implicit-def: $vgpr3
	s_and_not1_b32 vcc_lo, exec_lo, s0
	s_cbranch_vccz .LBB37_110
	s_branch .LBB37_112
.LBB37_16:
	v_dual_mov_b32 v3, 0 :: v_dual_mov_b32 v2, 0
	s_branch .LBB37_21
.LBB37_17:
	v_mov_b64_e32 v[2:3], 0
	v_mov_b32_e32 v1, v0
	s_mov_b32 s24, 0
.LBB37_18:
	s_and_b32 s0, s0, 3
	s_mov_b32 s25, 0
	s_cmp_eq_u32 s0, 0
	s_cbranch_scc1 .LBB37_21
; %bb.19:
	s_lshl_b32 s26, s24, 3
	s_mov_b32 s27, s25
	s_mul_u64 s[28:29], s[24:25], 12
	s_add_nc_u64 s[26:27], s[16:17], s[26:27]
	s_delay_alu instid0(SALU_CYCLE_1)
	s_add_nc_u64 s[24:25], s[26:27], 0xc4
	s_add_nc_u64 s[26:27], s[16:17], s[28:29]
.LBB37_20:                              ; =>This Inner Loop Header: Depth=1
	s_load_b96 s[44:46], s[26:27], 0x4
	s_load_b64 s[28:29], s[24:25], 0x0
	s_add_co_i32 s0, s0, -1
	s_wait_xcnt 0x0
	s_add_nc_u64 s[26:27], s[26:27], 12
	s_cmp_lg_u32 s0, 0
	s_add_nc_u64 s[24:25], s[24:25], 8
	s_wait_kmcnt 0x0
	v_mul_hi_u32 v4, s45, v1
	s_delay_alu instid0(VALU_DEP_1) | instskip(NEXT) | instid1(VALU_DEP_1)
	v_add_nc_u32_e32 v4, v1, v4
	v_lshrrev_b32_e32 v4, s46, v4
	s_delay_alu instid0(VALU_DEP_1) | instskip(NEXT) | instid1(VALU_DEP_1)
	v_mul_lo_u32 v5, v4, s44
	v_sub_nc_u32_e32 v1, v1, v5
	s_delay_alu instid0(VALU_DEP_1)
	v_mad_u32 v3, v1, s29, v3
	v_mad_u32 v2, v1, s28, v2
	v_mov_b32_e32 v1, v4
	s_cbranch_scc1 .LBB37_20
.LBB37_21:
	s_cbranch_execnz .LBB37_24
.LBB37_22:
	v_mov_b32_e32 v1, 0
	s_and_not1_b32 vcc_lo, exec_lo, s39
	s_delay_alu instid0(VALU_DEP_1) | instskip(NEXT) | instid1(VALU_DEP_1)
	v_mul_u64_e32 v[2:3], s[18:19], v[0:1]
	v_add_nc_u32_e32 v2, v0, v3
	s_delay_alu instid0(VALU_DEP_1) | instskip(NEXT) | instid1(VALU_DEP_1)
	v_lshrrev_b32_e32 v4, s10, v2
	v_mul_lo_u32 v2, v4, s8
	s_delay_alu instid0(VALU_DEP_1) | instskip(NEXT) | instid1(VALU_DEP_1)
	v_sub_nc_u32_e32 v2, v0, v2
	v_mul_lo_u32 v3, v2, s13
	v_mul_lo_u32 v2, v2, s12
	s_cbranch_vccnz .LBB37_24
; %bb.23:
	v_mov_b32_e32 v5, v1
	s_delay_alu instid0(VALU_DEP_1) | instskip(NEXT) | instid1(VALU_DEP_1)
	v_mul_u64_e32 v[6:7], s[20:21], v[4:5]
	v_add_nc_u32_e32 v1, v4, v7
	s_delay_alu instid0(VALU_DEP_1) | instskip(NEXT) | instid1(VALU_DEP_1)
	v_lshrrev_b32_e32 v1, s1, v1
	v_mul_lo_u32 v1, v1, s11
	s_delay_alu instid0(VALU_DEP_1) | instskip(NEXT) | instid1(VALU_DEP_1)
	v_sub_nc_u32_e32 v1, v4, v1
	v_mad_u32 v2, v1, s14, v2
	v_mad_u32 v3, v1, s15, v3
.LBB37_24:
	global_load_b32 v1, v3, s[6:7]
	s_wait_loadcnt 0x0
	v_cmp_le_i32_e32 vcc_lo, s36, v1
	v_cmp_gt_i32_e64 s0, s37, v1
	s_and_b32 s9, vcc_lo, s0
	s_mov_b32 s0, 0
	s_and_b32 s25, s38, s9
	s_mov_b32 s9, -1
	s_and_saveexec_b32 s24, s25
; %bb.25:
	v_dual_mov_b32 v1, 0 :: v_dual_add_nc_u32 v0, 0x80, v0
	s_mov_b32 s0, exec_lo
	s_xor_b32 s9, exec_lo, -1
	global_store_b32 v2, v1, s[4:5]
; %bb.26:
	s_wait_xcnt 0x0
	s_or_b32 exec_lo, exec_lo, s24
	s_delay_alu instid0(SALU_CYCLE_1)
	s_and_b32 s9, s9, exec_lo
	s_or_not1_b32 s24, s0, exec_lo
	s_or_b32 exec_lo, exec_lo, s43
                                        ; implicit-def: $vgpr2
	s_and_saveexec_b32 s43, s24
	s_cbranch_execnz .LBB37_8
.LBB37_27:
	s_or_b32 exec_lo, exec_lo, s43
	s_mov_b32 s0, 0
	s_and_saveexec_b32 s1, s9
	s_cbranch_execnz .LBB37_156
.LBB37_28:
	s_or_b32 exec_lo, exec_lo, s1
	s_and_saveexec_b32 s1, s19
	s_delay_alu instid0(SALU_CYCLE_1)
	s_xor_b32 s1, exec_lo, s1
	s_cbranch_execz .LBB37_30
.LBB37_29:
	v_mov_b32_e32 v0, 0
	global_store_b32 v2, v0, s[4:5]
.LBB37_30:
	s_wait_xcnt 0x0
	s_or_b32 exec_lo, exec_lo, s1
	s_delay_alu instid0(SALU_CYCLE_1)
	s_and_b32 s10, s0, exec_lo
                                        ; implicit-def: $vgpr1
                                        ; implicit-def: $vgpr0
.LBB37_31:
	s_or_saveexec_b32 s11, s35
                                        ; implicit-def: $sgpr4_sgpr5_sgpr6_sgpr7
                                        ; implicit-def: $vgpr8
                                        ; implicit-def: $vgpr6
                                        ; implicit-def: $vgpr4
                                        ; implicit-def: $vgpr2
	s_delay_alu instid0(SALU_CYCLE_1)
	s_xor_b32 exec_lo, exec_lo, s11
	s_cbranch_execz .LBB37_38
; %bb.32:
	v_cndmask_b32_e64 v8, 0, 1, s34
	s_and_not1_b32 vcc_lo, exec_lo, s34
	s_cbranch_vccnz .LBB37_41
; %bb.33:
	s_cmp_lg_u32 s30, 0
	s_mov_b32 s8, 0
	s_cbranch_scc0 .LBB37_42
; %bb.34:
	s_min_u32 s1, s31, 15
	s_delay_alu instid0(SALU_CYCLE_1)
	s_add_co_i32 s1, s1, 1
	s_cmp_eq_u32 s31, 2
	s_cbranch_scc1 .LBB37_43
; %bb.35:
	v_dual_mov_b32 v2, 0 :: v_dual_mov_b32 v3, 0
	v_mov_b32_e32 v4, v0
	s_and_b32 s0, s1, 28
	s_add_nc_u64 s[4:5], s[16:17], 0xc4
	s_mov_b32 s9, 0
	s_mov_b64 s[6:7], s[16:17]
.LBB37_36:                              ; =>This Inner Loop Header: Depth=1
	s_clause 0x1
	s_load_b256 s[20:27], s[6:7], 0x4
	s_load_b128 s[12:15], s[6:7], 0x24
	s_load_b256 s[36:43], s[4:5], 0x0
	s_add_co_i32 s9, s9, 4
	s_wait_xcnt 0x0
	s_add_nc_u64 s[6:7], s[6:7], 48
	s_cmp_lg_u32 s0, s9
	s_add_nc_u64 s[4:5], s[4:5], 32
	s_wait_kmcnt 0x0
	v_mul_hi_u32 v5, s21, v4
	s_delay_alu instid0(VALU_DEP_1) | instskip(NEXT) | instid1(VALU_DEP_1)
	v_add_nc_u32_e32 v5, v4, v5
	v_lshrrev_b32_e32 v5, s22, v5
	s_delay_alu instid0(VALU_DEP_1) | instskip(NEXT) | instid1(VALU_DEP_1)
	v_mul_hi_u32 v6, s24, v5
	v_add_nc_u32_e32 v6, v5, v6
	s_delay_alu instid0(VALU_DEP_1) | instskip(NEXT) | instid1(VALU_DEP_1)
	v_lshrrev_b32_e32 v6, s25, v6
	v_mul_hi_u32 v7, s27, v6
	s_delay_alu instid0(VALU_DEP_1) | instskip(SKIP_1) | instid1(VALU_DEP_1)
	v_add_nc_u32_e32 v7, v6, v7
	v_mul_lo_u32 v9, v5, s20
	v_sub_nc_u32_e32 v4, v4, v9
	v_mul_lo_u32 v9, v6, s23
	s_delay_alu instid0(VALU_DEP_4) | instskip(NEXT) | instid1(VALU_DEP_3)
	v_lshrrev_b32_e32 v7, s12, v7
	v_mad_u32 v3, v4, s37, v3
	v_mad_u32 v2, v4, s36, v2
	s_delay_alu instid0(VALU_DEP_4) | instskip(NEXT) | instid1(VALU_DEP_4)
	v_sub_nc_u32_e32 v4, v5, v9
	v_mul_hi_u32 v10, s14, v7
	v_mul_lo_u32 v5, v7, s26
	s_delay_alu instid0(VALU_DEP_3) | instskip(SKIP_1) | instid1(VALU_DEP_3)
	v_mad_u32 v3, v4, s39, v3
	v_mad_u32 v2, v4, s38, v2
	v_dual_add_nc_u32 v9, v7, v10 :: v_dual_sub_nc_u32 v5, v6, v5
	s_delay_alu instid0(VALU_DEP_1) | instskip(NEXT) | instid1(VALU_DEP_2)
	v_lshrrev_b32_e32 v4, s15, v9
	v_mad_u32 v3, v5, s41, v3
	s_delay_alu instid0(VALU_DEP_4) | instskip(NEXT) | instid1(VALU_DEP_3)
	v_mad_u32 v2, v5, s40, v2
	v_mul_lo_u32 v6, v4, s13
	s_delay_alu instid0(VALU_DEP_1) | instskip(NEXT) | instid1(VALU_DEP_1)
	v_sub_nc_u32_e32 v5, v7, v6
	v_mad_u32 v3, v5, s43, v3
	s_delay_alu instid0(VALU_DEP_4)
	v_mad_u32 v2, v5, s42, v2
	s_cbranch_scc1 .LBB37_36
; %bb.37:
	s_and_b32 s6, s1, 3
	s_mov_b32 s1, 0
	s_cmp_eq_u32 s6, 0
	s_cbranch_scc0 .LBB37_44
	s_branch .LBB37_46
.LBB37_38:
	s_or_b32 exec_lo, exec_lo, s11
	s_and_saveexec_b32 s0, s10
	s_cbranch_execz .LBB37_102
.LBB37_39:
	; divergent unreachable
	s_or_b32 exec_lo, exec_lo, s0
	s_and_saveexec_b32 s0, s33
	s_cbranch_execnz .LBB37_103
.LBB37_40:
	s_endpgm
.LBB37_41:
	s_mov_b32 s8, -1
                                        ; implicit-def: $vgpr3
	s_branch .LBB37_46
.LBB37_42:
	v_dual_mov_b32 v3, 0 :: v_dual_mov_b32 v2, 0
	s_branch .LBB37_46
.LBB37_43:
	v_mov_b64_e32 v[2:3], 0
	v_mov_b32_e32 v4, v0
	s_mov_b32 s0, 0
	s_and_b32 s6, s1, 3
	s_mov_b32 s1, 0
	s_cmp_eq_u32 s6, 0
	s_cbranch_scc1 .LBB37_46
.LBB37_44:
	s_lshl_b32 s4, s0, 3
	s_mov_b32 s5, s1
	s_mul_u64 s[12:13], s[0:1], 12
	s_add_nc_u64 s[4:5], s[16:17], s[4:5]
	s_delay_alu instid0(SALU_CYCLE_1)
	s_add_nc_u64 s[0:1], s[4:5], 0xc4
	s_add_nc_u64 s[4:5], s[16:17], s[12:13]
.LBB37_45:                              ; =>This Inner Loop Header: Depth=1
	s_load_b96 s[12:14], s[4:5], 0x4
	s_add_co_i32 s6, s6, -1
	s_wait_xcnt 0x0
	s_add_nc_u64 s[4:5], s[4:5], 12
	s_cmp_lg_u32 s6, 0
	s_wait_kmcnt 0x0
	v_mul_hi_u32 v5, s13, v4
	s_delay_alu instid0(VALU_DEP_1) | instskip(NEXT) | instid1(VALU_DEP_1)
	v_add_nc_u32_e32 v5, v4, v5
	v_lshrrev_b32_e32 v5, s14, v5
	s_load_b64 s[14:15], s[0:1], 0x0
	s_wait_xcnt 0x0
	s_add_nc_u64 s[0:1], s[0:1], 8
	s_delay_alu instid0(VALU_DEP_1) | instskip(NEXT) | instid1(VALU_DEP_1)
	v_mul_lo_u32 v6, v5, s12
	v_sub_nc_u32_e32 v4, v4, v6
	s_wait_kmcnt 0x0
	s_delay_alu instid0(VALU_DEP_1)
	v_mad_u32 v3, v4, s15, v3
	v_mad_u32 v2, v4, s14, v2
	v_mov_b32_e32 v4, v5
	s_cbranch_scc1 .LBB37_45
.LBB37_46:
	s_and_not1_b32 vcc_lo, exec_lo, s8
	s_cbranch_vccnz .LBB37_49
; %bb.47:
	s_clause 0x1
	s_load_b96 s[4:6], s[16:17], 0x4
	s_load_b64 s[0:1], s[16:17], 0xc4
	s_cmp_lt_u32 s30, 2
	s_wait_kmcnt 0x0
	v_mul_hi_u32 v2, s5, v0
	s_delay_alu instid0(VALU_DEP_1) | instskip(NEXT) | instid1(VALU_DEP_1)
	v_add_nc_u32_e32 v2, v0, v2
	v_lshrrev_b32_e32 v4, s6, v2
	s_delay_alu instid0(VALU_DEP_1) | instskip(NEXT) | instid1(VALU_DEP_1)
	v_mul_lo_u32 v2, v4, s4
	v_sub_nc_u32_e32 v2, v0, v2
	s_delay_alu instid0(VALU_DEP_1)
	v_mul_lo_u32 v3, v2, s1
	v_mul_lo_u32 v2, v2, s0
	s_cbranch_scc1 .LBB37_49
; %bb.48:
	s_clause 0x1
	s_load_b96 s[4:6], s[16:17], 0x10
	s_load_b64 s[0:1], s[16:17], 0xcc
	s_wait_kmcnt 0x0
	v_mul_hi_u32 v5, s5, v4
	s_delay_alu instid0(VALU_DEP_1) | instskip(NEXT) | instid1(VALU_DEP_1)
	v_add_nc_u32_e32 v5, v4, v5
	v_lshrrev_b32_e32 v5, s6, v5
	s_delay_alu instid0(VALU_DEP_1) | instskip(NEXT) | instid1(VALU_DEP_1)
	v_mul_lo_u32 v5, v5, s4
	v_sub_nc_u32_e32 v4, v4, v5
	s_delay_alu instid0(VALU_DEP_1)
	v_mad_u32 v2, v4, s0, v2
	v_mad_u32 v3, v4, s1, v3
.LBB37_49:
	v_cmp_ne_u32_e32 vcc_lo, 1, v8
	v_add_nc_u32_e32 v6, 0x80, v0
	s_cbranch_vccnz .LBB37_55
; %bb.50:
	s_cmp_lg_u32 s30, 0
	s_mov_b32 s8, 0
	s_cbranch_scc0 .LBB37_56
; %bb.51:
	s_min_u32 s1, s31, 15
	s_delay_alu instid0(SALU_CYCLE_1)
	s_add_co_i32 s1, s1, 1
	s_cmp_eq_u32 s31, 2
	s_cbranch_scc1 .LBB37_57
; %bb.52:
	v_dual_mov_b32 v4, 0 :: v_dual_mov_b32 v5, 0
	v_mov_b32_e32 v7, v6
	s_and_b32 s0, s1, 28
	s_add_nc_u64 s[4:5], s[16:17], 0xc4
	s_mov_b32 s9, 0
	s_mov_b64 s[6:7], s[16:17]
.LBB37_53:                              ; =>This Inner Loop Header: Depth=1
	s_clause 0x1
	s_load_b256 s[20:27], s[6:7], 0x4
	s_load_b128 s[12:15], s[6:7], 0x24
	s_load_b256 s[36:43], s[4:5], 0x0
	s_add_co_i32 s9, s9, 4
	s_wait_xcnt 0x0
	s_add_nc_u64 s[6:7], s[6:7], 48
	s_cmp_lg_u32 s0, s9
	s_add_nc_u64 s[4:5], s[4:5], 32
	s_wait_kmcnt 0x0
	v_mul_hi_u32 v9, s21, v7
	s_delay_alu instid0(VALU_DEP_1) | instskip(NEXT) | instid1(VALU_DEP_1)
	v_add_nc_u32_e32 v9, v7, v9
	v_lshrrev_b32_e32 v9, s22, v9
	s_delay_alu instid0(VALU_DEP_1) | instskip(NEXT) | instid1(VALU_DEP_1)
	v_mul_hi_u32 v10, s24, v9
	v_add_nc_u32_e32 v10, v9, v10
	s_delay_alu instid0(VALU_DEP_1) | instskip(NEXT) | instid1(VALU_DEP_1)
	v_lshrrev_b32_e32 v10, s25, v10
	v_mul_hi_u32 v11, s27, v10
	s_delay_alu instid0(VALU_DEP_1) | instskip(SKIP_1) | instid1(VALU_DEP_1)
	v_add_nc_u32_e32 v11, v10, v11
	v_mul_lo_u32 v12, v9, s20
	v_sub_nc_u32_e32 v7, v7, v12
	v_mul_lo_u32 v12, v10, s23
	s_delay_alu instid0(VALU_DEP_4) | instskip(NEXT) | instid1(VALU_DEP_3)
	v_lshrrev_b32_e32 v11, s12, v11
	v_mad_u32 v5, v7, s37, v5
	v_mad_u32 v4, v7, s36, v4
	s_delay_alu instid0(VALU_DEP_4) | instskip(NEXT) | instid1(VALU_DEP_4)
	v_sub_nc_u32_e32 v7, v9, v12
	v_mul_hi_u32 v13, s14, v11
	v_mul_lo_u32 v9, v11, s26
	s_delay_alu instid0(VALU_DEP_3) | instskip(SKIP_1) | instid1(VALU_DEP_4)
	v_mad_u32 v5, v7, s39, v5
	v_mad_u32 v4, v7, s38, v4
	v_add_nc_u32_e32 v12, v11, v13
	s_delay_alu instid0(VALU_DEP_1) | instskip(NEXT) | instid1(VALU_DEP_1)
	v_dual_sub_nc_u32 v9, v10, v9 :: v_dual_lshrrev_b32 v7, s15, v12
	v_mad_u32 v5, v9, s41, v5
	s_delay_alu instid0(VALU_DEP_4) | instskip(NEXT) | instid1(VALU_DEP_3)
	v_mad_u32 v4, v9, s40, v4
	v_mul_lo_u32 v10, v7, s13
	s_delay_alu instid0(VALU_DEP_1) | instskip(NEXT) | instid1(VALU_DEP_1)
	v_sub_nc_u32_e32 v9, v11, v10
	v_mad_u32 v5, v9, s43, v5
	s_delay_alu instid0(VALU_DEP_4)
	v_mad_u32 v4, v9, s42, v4
	s_cbranch_scc1 .LBB37_53
; %bb.54:
	s_and_b32 s6, s1, 3
	s_mov_b32 s1, 0
	s_cmp_eq_u32 s6, 0
	s_cbranch_scc0 .LBB37_58
	s_branch .LBB37_60
.LBB37_55:
	s_mov_b32 s8, -1
                                        ; implicit-def: $vgpr5
	s_branch .LBB37_60
.LBB37_56:
	v_dual_mov_b32 v5, 0 :: v_dual_mov_b32 v4, 0
	s_branch .LBB37_60
.LBB37_57:
	v_mov_b64_e32 v[4:5], 0
	v_mov_b32_e32 v7, v6
	s_mov_b32 s0, 0
	s_and_b32 s6, s1, 3
	s_mov_b32 s1, 0
	s_cmp_eq_u32 s6, 0
	s_cbranch_scc1 .LBB37_60
.LBB37_58:
	s_lshl_b32 s4, s0, 3
	s_mov_b32 s5, s1
	s_mul_u64 s[12:13], s[0:1], 12
	s_add_nc_u64 s[4:5], s[16:17], s[4:5]
	s_delay_alu instid0(SALU_CYCLE_1)
	s_add_nc_u64 s[0:1], s[4:5], 0xc4
	s_add_nc_u64 s[4:5], s[16:17], s[12:13]
.LBB37_59:                              ; =>This Inner Loop Header: Depth=1
	s_load_b96 s[12:14], s[4:5], 0x4
	s_add_co_i32 s6, s6, -1
	s_wait_xcnt 0x0
	s_add_nc_u64 s[4:5], s[4:5], 12
	s_cmp_lg_u32 s6, 0
	s_wait_kmcnt 0x0
	v_mul_hi_u32 v9, s13, v7
	s_delay_alu instid0(VALU_DEP_1) | instskip(NEXT) | instid1(VALU_DEP_1)
	v_add_nc_u32_e32 v9, v7, v9
	v_lshrrev_b32_e32 v9, s14, v9
	s_load_b64 s[14:15], s[0:1], 0x0
	s_wait_xcnt 0x0
	s_add_nc_u64 s[0:1], s[0:1], 8
	s_delay_alu instid0(VALU_DEP_1) | instskip(NEXT) | instid1(VALU_DEP_1)
	v_mul_lo_u32 v10, v9, s12
	v_sub_nc_u32_e32 v7, v7, v10
	s_wait_kmcnt 0x0
	s_delay_alu instid0(VALU_DEP_1)
	v_mad_u32 v5, v7, s15, v5
	v_mad_u32 v4, v7, s14, v4
	v_mov_b32_e32 v7, v9
	s_cbranch_scc1 .LBB37_59
.LBB37_60:
	s_and_not1_b32 vcc_lo, exec_lo, s8
	s_cbranch_vccnz .LBB37_63
; %bb.61:
	s_clause 0x1
	s_load_b96 s[4:6], s[16:17], 0x4
	s_load_b64 s[0:1], s[16:17], 0xc4
	s_cmp_lt_u32 s30, 2
	s_wait_kmcnt 0x0
	v_mul_hi_u32 v4, s5, v6
	s_delay_alu instid0(VALU_DEP_1) | instskip(NEXT) | instid1(VALU_DEP_1)
	v_add_nc_u32_e32 v4, v6, v4
	v_lshrrev_b32_e32 v7, s6, v4
	s_delay_alu instid0(VALU_DEP_1) | instskip(NEXT) | instid1(VALU_DEP_1)
	v_mul_lo_u32 v4, v7, s4
	v_sub_nc_u32_e32 v4, v6, v4
	s_delay_alu instid0(VALU_DEP_1)
	v_mul_lo_u32 v5, v4, s1
	v_mul_lo_u32 v4, v4, s0
	s_cbranch_scc1 .LBB37_63
; %bb.62:
	s_clause 0x1
	s_load_b96 s[4:6], s[16:17], 0x10
	s_load_b64 s[0:1], s[16:17], 0xcc
	s_wait_kmcnt 0x0
	v_mul_hi_u32 v6, s5, v7
	s_delay_alu instid0(VALU_DEP_1) | instskip(NEXT) | instid1(VALU_DEP_1)
	v_add_nc_u32_e32 v6, v7, v6
	v_lshrrev_b32_e32 v6, s6, v6
	s_delay_alu instid0(VALU_DEP_1) | instskip(NEXT) | instid1(VALU_DEP_1)
	v_mul_lo_u32 v6, v6, s4
	v_sub_nc_u32_e32 v6, v7, v6
	s_delay_alu instid0(VALU_DEP_1)
	v_mad_u32 v4, v6, s0, v4
	v_mad_u32 v5, v6, s1, v5
.LBB37_63:
	v_cmp_ne_u32_e32 vcc_lo, 1, v8
	v_add_nc_u32_e32 v0, 0x100, v0
	s_cbranch_vccnz .LBB37_69
; %bb.64:
	s_cmp_lg_u32 s30, 0
	s_mov_b32 s8, 0
	s_cbranch_scc0 .LBB37_70
; %bb.65:
	s_min_u32 s1, s31, 15
	s_delay_alu instid0(SALU_CYCLE_1)
	s_add_co_i32 s1, s1, 1
	s_cmp_eq_u32 s31, 2
	s_cbranch_scc1 .LBB37_71
; %bb.66:
	v_dual_mov_b32 v6, 0 :: v_dual_mov_b32 v7, 0
	v_mov_b32_e32 v9, v0
	s_and_b32 s0, s1, 28
	s_add_nc_u64 s[4:5], s[16:17], 0xc4
	s_mov_b32 s9, 0
	s_mov_b64 s[6:7], s[16:17]
.LBB37_67:                              ; =>This Inner Loop Header: Depth=1
	s_clause 0x1
	s_load_b256 s[20:27], s[6:7], 0x4
	s_load_b128 s[12:15], s[6:7], 0x24
	s_load_b256 s[36:43], s[4:5], 0x0
	s_add_co_i32 s9, s9, 4
	s_wait_xcnt 0x0
	s_add_nc_u64 s[6:7], s[6:7], 48
	s_cmp_lg_u32 s0, s9
	s_add_nc_u64 s[4:5], s[4:5], 32
	s_wait_kmcnt 0x0
	v_mul_hi_u32 v10, s21, v9
	s_delay_alu instid0(VALU_DEP_1) | instskip(NEXT) | instid1(VALU_DEP_1)
	v_add_nc_u32_e32 v10, v9, v10
	v_lshrrev_b32_e32 v10, s22, v10
	s_delay_alu instid0(VALU_DEP_1) | instskip(NEXT) | instid1(VALU_DEP_1)
	v_mul_hi_u32 v11, s24, v10
	v_add_nc_u32_e32 v11, v10, v11
	s_delay_alu instid0(VALU_DEP_1) | instskip(NEXT) | instid1(VALU_DEP_1)
	v_lshrrev_b32_e32 v11, s25, v11
	v_mul_hi_u32 v12, s27, v11
	s_delay_alu instid0(VALU_DEP_1) | instskip(SKIP_1) | instid1(VALU_DEP_1)
	v_add_nc_u32_e32 v12, v11, v12
	v_mul_lo_u32 v13, v10, s20
	v_sub_nc_u32_e32 v9, v9, v13
	v_mul_lo_u32 v13, v11, s23
	s_delay_alu instid0(VALU_DEP_4) | instskip(NEXT) | instid1(VALU_DEP_3)
	v_lshrrev_b32_e32 v12, s12, v12
	v_mad_u32 v7, v9, s37, v7
	v_mad_u32 v6, v9, s36, v6
	s_delay_alu instid0(VALU_DEP_4) | instskip(NEXT) | instid1(VALU_DEP_4)
	v_sub_nc_u32_e32 v9, v10, v13
	v_mul_hi_u32 v14, s14, v12
	v_mul_lo_u32 v10, v12, s26
	s_delay_alu instid0(VALU_DEP_3) | instskip(SKIP_1) | instid1(VALU_DEP_4)
	v_mad_u32 v7, v9, s39, v7
	v_mad_u32 v6, v9, s38, v6
	v_add_nc_u32_e32 v13, v12, v14
	s_delay_alu instid0(VALU_DEP_1) | instskip(NEXT) | instid1(VALU_DEP_1)
	v_dual_sub_nc_u32 v10, v11, v10 :: v_dual_lshrrev_b32 v9, s15, v13
	v_mad_u32 v7, v10, s41, v7
	s_delay_alu instid0(VALU_DEP_4) | instskip(NEXT) | instid1(VALU_DEP_3)
	v_mad_u32 v6, v10, s40, v6
	v_mul_lo_u32 v11, v9, s13
	s_delay_alu instid0(VALU_DEP_1) | instskip(NEXT) | instid1(VALU_DEP_1)
	v_sub_nc_u32_e32 v10, v12, v11
	v_mad_u32 v7, v10, s43, v7
	s_delay_alu instid0(VALU_DEP_4)
	v_mad_u32 v6, v10, s42, v6
	s_cbranch_scc1 .LBB37_67
; %bb.68:
	s_and_b32 s6, s1, 3
	s_mov_b32 s1, 0
	s_cmp_eq_u32 s6, 0
	s_cbranch_scc0 .LBB37_72
	s_branch .LBB37_74
.LBB37_69:
	s_mov_b32 s8, -1
                                        ; implicit-def: $vgpr7
	s_branch .LBB37_74
.LBB37_70:
	v_dual_mov_b32 v7, 0 :: v_dual_mov_b32 v6, 0
	s_branch .LBB37_74
.LBB37_71:
	v_mov_b64_e32 v[6:7], 0
	v_mov_b32_e32 v9, v0
	s_mov_b32 s0, 0
	s_and_b32 s6, s1, 3
	s_mov_b32 s1, 0
	s_cmp_eq_u32 s6, 0
	s_cbranch_scc1 .LBB37_74
.LBB37_72:
	s_lshl_b32 s4, s0, 3
	s_mov_b32 s5, s1
	s_mul_u64 s[12:13], s[0:1], 12
	s_add_nc_u64 s[4:5], s[16:17], s[4:5]
	s_delay_alu instid0(SALU_CYCLE_1)
	s_add_nc_u64 s[0:1], s[4:5], 0xc4
	s_add_nc_u64 s[4:5], s[16:17], s[12:13]
.LBB37_73:                              ; =>This Inner Loop Header: Depth=1
	s_load_b96 s[12:14], s[4:5], 0x4
	s_add_co_i32 s6, s6, -1
	s_wait_xcnt 0x0
	s_add_nc_u64 s[4:5], s[4:5], 12
	s_cmp_lg_u32 s6, 0
	s_wait_kmcnt 0x0
	v_mul_hi_u32 v10, s13, v9
	s_delay_alu instid0(VALU_DEP_1) | instskip(NEXT) | instid1(VALU_DEP_1)
	v_add_nc_u32_e32 v10, v9, v10
	v_lshrrev_b32_e32 v10, s14, v10
	s_load_b64 s[14:15], s[0:1], 0x0
	s_wait_xcnt 0x0
	s_add_nc_u64 s[0:1], s[0:1], 8
	s_delay_alu instid0(VALU_DEP_1) | instskip(NEXT) | instid1(VALU_DEP_1)
	v_mul_lo_u32 v11, v10, s12
	v_sub_nc_u32_e32 v9, v9, v11
	s_wait_kmcnt 0x0
	s_delay_alu instid0(VALU_DEP_1)
	v_mad_u32 v7, v9, s15, v7
	v_mad_u32 v6, v9, s14, v6
	v_mov_b32_e32 v9, v10
	s_cbranch_scc1 .LBB37_73
.LBB37_74:
	s_and_not1_b32 vcc_lo, exec_lo, s8
	s_cbranch_vccnz .LBB37_77
; %bb.75:
	s_clause 0x1
	s_load_b96 s[4:6], s[16:17], 0x4
	s_load_b64 s[0:1], s[16:17], 0xc4
	s_cmp_lt_u32 s30, 2
	s_wait_kmcnt 0x0
	v_mul_hi_u32 v6, s5, v0
	s_delay_alu instid0(VALU_DEP_1) | instskip(NEXT) | instid1(VALU_DEP_1)
	v_add_nc_u32_e32 v6, v0, v6
	v_lshrrev_b32_e32 v9, s6, v6
	s_delay_alu instid0(VALU_DEP_1) | instskip(NEXT) | instid1(VALU_DEP_1)
	v_mul_lo_u32 v6, v9, s4
	v_sub_nc_u32_e32 v0, v0, v6
	s_delay_alu instid0(VALU_DEP_1)
	v_mul_lo_u32 v7, v0, s1
	v_mul_lo_u32 v6, v0, s0
	s_cbranch_scc1 .LBB37_77
; %bb.76:
	s_clause 0x1
	s_load_b96 s[4:6], s[16:17], 0x10
	s_load_b64 s[0:1], s[16:17], 0xcc
	s_wait_kmcnt 0x0
	v_mul_hi_u32 v0, s5, v9
	s_delay_alu instid0(VALU_DEP_1) | instskip(NEXT) | instid1(VALU_DEP_1)
	v_add_nc_u32_e32 v0, v9, v0
	v_lshrrev_b32_e32 v0, s6, v0
	s_delay_alu instid0(VALU_DEP_1) | instskip(NEXT) | instid1(VALU_DEP_1)
	v_mul_lo_u32 v0, v0, s4
	v_sub_nc_u32_e32 v0, v9, v0
	s_delay_alu instid0(VALU_DEP_1)
	v_mad_u32 v6, v0, s0, v6
	v_mad_u32 v7, v0, s1, v7
.LBB37_77:
	v_cmp_ne_u32_e32 vcc_lo, 1, v8
	s_cbranch_vccnz .LBB37_83
; %bb.78:
	s_cmp_lg_u32 s30, 0
	s_mov_b32 s8, 0
	s_cbranch_scc0 .LBB37_84
; %bb.79:
	s_min_u32 s1, s31, 15
	s_delay_alu instid0(SALU_CYCLE_1)
	s_add_co_i32 s1, s1, 1
	s_cmp_eq_u32 s31, 2
	s_cbranch_scc1 .LBB37_85
; %bb.80:
	v_dual_mov_b32 v8, 0 :: v_dual_mov_b32 v9, 0
	v_mov_b32_e32 v0, v1
	s_and_b32 s0, s1, 28
	s_add_nc_u64 s[4:5], s[16:17], 0xc4
	s_mov_b32 s9, 0
	s_mov_b64 s[6:7], s[16:17]
.LBB37_81:                              ; =>This Inner Loop Header: Depth=1
	s_clause 0x1
	s_load_b256 s[20:27], s[6:7], 0x4
	s_load_b128 s[12:15], s[6:7], 0x24
	s_load_b256 s[36:43], s[4:5], 0x0
	s_add_co_i32 s9, s9, 4
	s_wait_xcnt 0x0
	s_add_nc_u64 s[6:7], s[6:7], 48
	s_cmp_lg_u32 s0, s9
	s_add_nc_u64 s[4:5], s[4:5], 32
	s_wait_kmcnt 0x0
	v_mul_hi_u32 v10, s21, v0
	s_delay_alu instid0(VALU_DEP_1) | instskip(NEXT) | instid1(VALU_DEP_1)
	v_add_nc_u32_e32 v10, v0, v10
	v_lshrrev_b32_e32 v10, s22, v10
	s_delay_alu instid0(VALU_DEP_1) | instskip(NEXT) | instid1(VALU_DEP_1)
	v_mul_hi_u32 v11, s24, v10
	v_add_nc_u32_e32 v11, v10, v11
	s_delay_alu instid0(VALU_DEP_1) | instskip(NEXT) | instid1(VALU_DEP_1)
	v_lshrrev_b32_e32 v11, s25, v11
	v_mul_hi_u32 v12, s27, v11
	s_delay_alu instid0(VALU_DEP_1) | instskip(SKIP_1) | instid1(VALU_DEP_1)
	v_add_nc_u32_e32 v12, v11, v12
	v_mul_lo_u32 v13, v10, s20
	v_sub_nc_u32_e32 v0, v0, v13
	v_mul_lo_u32 v13, v11, s23
	s_delay_alu instid0(VALU_DEP_4) | instskip(NEXT) | instid1(VALU_DEP_3)
	v_lshrrev_b32_e32 v12, s12, v12
	v_mad_u32 v9, v0, s37, v9
	v_mad_u32 v0, v0, s36, v8
	s_delay_alu instid0(VALU_DEP_4) | instskip(NEXT) | instid1(VALU_DEP_4)
	v_sub_nc_u32_e32 v8, v10, v13
	v_mul_hi_u32 v14, s14, v12
	v_mul_lo_u32 v10, v12, s26
	s_delay_alu instid0(VALU_DEP_3) | instskip(SKIP_1) | instid1(VALU_DEP_4)
	v_mad_u32 v9, v8, s39, v9
	v_mad_u32 v8, v8, s38, v0
	v_add_nc_u32_e32 v13, v12, v14
	s_delay_alu instid0(VALU_DEP_1) | instskip(NEXT) | instid1(VALU_DEP_1)
	v_dual_sub_nc_u32 v10, v11, v10 :: v_dual_lshrrev_b32 v0, s15, v13
	v_mad_u32 v9, v10, s41, v9
	s_delay_alu instid0(VALU_DEP_4) | instskip(NEXT) | instid1(VALU_DEP_3)
	v_mad_u32 v8, v10, s40, v8
	v_mul_lo_u32 v11, v0, s13
	s_delay_alu instid0(VALU_DEP_1) | instskip(NEXT) | instid1(VALU_DEP_1)
	v_sub_nc_u32_e32 v10, v12, v11
	v_mad_u32 v9, v10, s43, v9
	s_delay_alu instid0(VALU_DEP_4)
	v_mad_u32 v8, v10, s42, v8
	s_cbranch_scc1 .LBB37_81
; %bb.82:
	s_and_b32 s6, s1, 3
	s_mov_b32 s1, 0
	s_cmp_eq_u32 s6, 0
	s_cbranch_scc0 .LBB37_86
	s_branch .LBB37_88
.LBB37_83:
	s_mov_b32 s8, -1
                                        ; implicit-def: $vgpr9
	s_branch .LBB37_88
.LBB37_84:
	v_dual_mov_b32 v9, 0 :: v_dual_mov_b32 v8, 0
	s_branch .LBB37_88
.LBB37_85:
	v_mov_b64_e32 v[8:9], 0
	v_mov_b32_e32 v0, v1
	s_mov_b32 s0, 0
	s_and_b32 s6, s1, 3
	s_mov_b32 s1, 0
	s_cmp_eq_u32 s6, 0
	s_cbranch_scc1 .LBB37_88
.LBB37_86:
	s_lshl_b32 s4, s0, 3
	s_mov_b32 s5, s1
	s_mul_u64 s[12:13], s[0:1], 12
	s_add_nc_u64 s[4:5], s[16:17], s[4:5]
	s_delay_alu instid0(SALU_CYCLE_1)
	s_add_nc_u64 s[0:1], s[4:5], 0xc4
	s_add_nc_u64 s[4:5], s[16:17], s[12:13]
.LBB37_87:                              ; =>This Inner Loop Header: Depth=1
	s_load_b96 s[12:14], s[4:5], 0x4
	s_add_co_i32 s6, s6, -1
	s_wait_xcnt 0x0
	s_add_nc_u64 s[4:5], s[4:5], 12
	s_cmp_lg_u32 s6, 0
	s_wait_kmcnt 0x0
	v_mul_hi_u32 v10, s13, v0
	s_delay_alu instid0(VALU_DEP_1) | instskip(NEXT) | instid1(VALU_DEP_1)
	v_add_nc_u32_e32 v10, v0, v10
	v_lshrrev_b32_e32 v10, s14, v10
	s_load_b64 s[14:15], s[0:1], 0x0
	s_wait_xcnt 0x0
	s_add_nc_u64 s[0:1], s[0:1], 8
	s_delay_alu instid0(VALU_DEP_1) | instskip(NEXT) | instid1(VALU_DEP_1)
	v_mul_lo_u32 v11, v10, s12
	v_sub_nc_u32_e32 v0, v0, v11
	s_wait_kmcnt 0x0
	s_delay_alu instid0(VALU_DEP_1)
	v_mad_u32 v9, v0, s15, v9
	v_mad_u32 v8, v0, s14, v8
	v_mov_b32_e32 v0, v10
	s_cbranch_scc1 .LBB37_87
.LBB37_88:
	s_and_not1_b32 vcc_lo, exec_lo, s8
	s_cbranch_vccnz .LBB37_91
; %bb.89:
	s_clause 0x1
	s_load_b96 s[4:6], s[16:17], 0x4
	s_load_b64 s[0:1], s[16:17], 0xc4
	s_cmp_lt_u32 s30, 2
	s_wait_kmcnt 0x0
	v_mul_hi_u32 v0, s5, v1
	s_delay_alu instid0(VALU_DEP_1) | instskip(NEXT) | instid1(VALU_DEP_1)
	v_add_nc_u32_e32 v0, v1, v0
	v_lshrrev_b32_e32 v0, s6, v0
	s_delay_alu instid0(VALU_DEP_1) | instskip(NEXT) | instid1(VALU_DEP_1)
	v_mul_lo_u32 v8, v0, s4
	v_sub_nc_u32_e32 v1, v1, v8
	s_delay_alu instid0(VALU_DEP_1)
	v_mul_lo_u32 v9, v1, s1
	v_mul_lo_u32 v8, v1, s0
	s_cbranch_scc1 .LBB37_91
; %bb.90:
	s_clause 0x1
	s_load_b96 s[4:6], s[16:17], 0x10
	s_load_b64 s[0:1], s[16:17], 0xcc
	s_wait_kmcnt 0x0
	v_mul_hi_u32 v1, s5, v0
	s_delay_alu instid0(VALU_DEP_1) | instskip(NEXT) | instid1(VALU_DEP_1)
	v_add_nc_u32_e32 v1, v0, v1
	v_lshrrev_b32_e32 v1, s6, v1
	s_delay_alu instid0(VALU_DEP_1) | instskip(NEXT) | instid1(VALU_DEP_1)
	v_mul_lo_u32 v1, v1, s4
	v_sub_nc_u32_e32 v0, v0, v1
	s_delay_alu instid0(VALU_DEP_1)
	v_mad_u32 v8, v0, s0, v8
	v_mad_u32 v9, v0, s1, v9
.LBB37_91:
	s_clause 0x2
	s_load_b128 s[4:7], s[16:17], 0x148
	s_load_b32 s12, s[16:17], 0x158
	s_load_b64 s[8:9], s[16:17], 0x160
	s_wait_kmcnt 0x0
	global_load_b32 v0, v3, s[6:7]
	s_wait_loadcnt 0x0
	v_cmp_gt_i32_e32 vcc_lo, s12, v0
	v_cmp_le_i32_e64 s0, s8, v0
	s_or_b32 s0, vcc_lo, s0
	s_cmp_eq_u64 s[2:3], 0
	s_cselect_b32 s1, -1, 0
	s_delay_alu instid0(SALU_CYCLE_1) | instskip(SKIP_3) | instid1(SALU_CYCLE_1)
	s_or_b32 s0, s1, s0
	s_mov_b32 s1, s10
	s_wait_xcnt 0x0
	s_and_saveexec_b32 s2, s0
	s_xor_b32 s0, exec_lo, s2
	s_cbranch_execnz .LBB37_157
; %bb.92:
	s_or_saveexec_b32 s2, s0
	s_mov_b32 s0, 0
	s_xor_b32 exec_lo, exec_lo, s2
	s_cbranch_execz .LBB37_101
.LBB37_93:
	global_load_b32 v0, v5, s[6:7]
	s_mov_b32 s3, s1
	s_wait_loadcnt 0x0
	v_cmp_gt_i32_e32 vcc_lo, s12, v0
	v_cmp_le_i32_e64 s0, s8, v0
	s_or_b32 s0, vcc_lo, s0
	s_wait_xcnt 0x0
	s_and_saveexec_b32 s9, s0
	s_delay_alu instid0(SALU_CYCLE_1)
	s_xor_b32 s0, exec_lo, s9
	s_cbranch_execnz .LBB37_158
; %bb.94:
	s_or_saveexec_b32 s9, s0
	s_mov_b32 s0, 0
	s_xor_b32 exec_lo, exec_lo, s9
	s_cbranch_execz .LBB37_100
.LBB37_95:
	global_load_b32 v0, v7, s[6:7]
	s_mov_b32 s13, s3
	s_wait_loadcnt 0x0
	v_cmp_gt_i32_e32 vcc_lo, s12, v0
	v_cmp_le_i32_e64 s0, s8, v0
	s_or_b32 s0, vcc_lo, s0
	s_wait_xcnt 0x0
	s_and_saveexec_b32 s14, s0
	s_delay_alu instid0(SALU_CYCLE_1)
	s_xor_b32 s0, exec_lo, s14
	s_cbranch_execnz .LBB37_159
; %bb.96:
	s_or_saveexec_b32 s14, s0
	s_mov_b32 s0, 0
	s_xor_b32 exec_lo, exec_lo, s14
	s_cbranch_execz .LBB37_99
.LBB37_97:
	global_load_b32 v0, v9, s[6:7]
	s_wait_xcnt 0x0
	s_mov_b32 s6, -1
	s_wait_loadcnt 0x0
	v_cmp_gt_i32_e32 vcc_lo, s12, v0
	v_cmp_le_i32_e64 s0, s8, v0
	s_or_b32 s8, vcc_lo, s0
	s_mov_b32 s0, s13
	s_and_saveexec_b32 s7, s8
	s_cbranch_execnz .LBB37_160
.LBB37_98:
	s_or_b32 exec_lo, exec_lo, s7
	s_delay_alu instid0(SALU_CYCLE_1)
	s_and_not1_b32 s7, s13, exec_lo
	s_and_b32 s8, s0, exec_lo
	s_and_b32 s0, s6, exec_lo
	s_or_b32 s13, s7, s8
.LBB37_99:
	s_or_b32 exec_lo, exec_lo, s14
	s_delay_alu instid0(SALU_CYCLE_1)
	s_and_not1_b32 s3, s3, exec_lo
	s_and_b32 s6, s13, exec_lo
	s_and_b32 s0, s0, exec_lo
	s_or_b32 s3, s3, s6
.LBB37_100:
	s_or_b32 exec_lo, exec_lo, s9
	s_delay_alu instid0(SALU_CYCLE_1)
	s_and_not1_b32 s1, s1, exec_lo
	s_and_b32 s3, s3, exec_lo
	s_and_b32 s0, s0, exec_lo
	s_or_b32 s1, s1, s3
.LBB37_101:
	s_or_b32 exec_lo, exec_lo, s2
	s_delay_alu instid0(SALU_CYCLE_1)
	s_and_not1_b32 s2, s10, exec_lo
	s_and_b32 s1, s1, exec_lo
	s_and_b32 s33, s0, exec_lo
	s_or_b32 s10, s2, s1
	s_or_b32 exec_lo, exec_lo, s11
	s_and_saveexec_b32 s0, s10
	s_cbranch_execnz .LBB37_39
.LBB37_102:
	s_or_b32 exec_lo, exec_lo, s0
	s_and_saveexec_b32 s0, s33
	s_cbranch_execz .LBB37_40
.LBB37_103:
	v_mov_b32_e32 v0, 0
	s_clause 0x3
	global_store_b32 v2, v0, s[4:5]
	global_store_b32 v4, v0, s[4:5]
	global_store_b32 v6, v0, s[4:5]
	global_store_b32 v8, v0, s[4:5]
	s_endpgm
.LBB37_104:
	v_dual_mov_b32 v3, 0 :: v_dual_mov_b32 v2, 0
	s_branch .LBB37_109
.LBB37_105:
	v_mov_b64_e32 v[2:3], 0
	v_mov_b32_e32 v1, v0
	s_mov_b32 s24, 0
.LBB37_106:
	s_and_b32 s0, s0, 3
	s_mov_b32 s25, 0
	s_cmp_eq_u32 s0, 0
	s_cbranch_scc1 .LBB37_109
; %bb.107:
	s_lshl_b32 s26, s24, 3
	s_mov_b32 s27, s25
	s_mul_u64 s[28:29], s[24:25], 12
	s_add_nc_u64 s[26:27], s[16:17], s[26:27]
	s_delay_alu instid0(SALU_CYCLE_1)
	s_add_nc_u64 s[24:25], s[26:27], 0xc4
	s_add_nc_u64 s[26:27], s[16:17], s[28:29]
.LBB37_108:                             ; =>This Inner Loop Header: Depth=1
	s_load_b96 s[48:50], s[26:27], 0x4
	s_load_b64 s[28:29], s[24:25], 0x0
	s_add_co_i32 s0, s0, -1
	s_wait_xcnt 0x0
	s_add_nc_u64 s[26:27], s[26:27], 12
	s_cmp_lg_u32 s0, 0
	s_add_nc_u64 s[24:25], s[24:25], 8
	s_wait_kmcnt 0x0
	v_mul_hi_u32 v4, s49, v1
	s_delay_alu instid0(VALU_DEP_1) | instskip(NEXT) | instid1(VALU_DEP_1)
	v_add_nc_u32_e32 v4, v1, v4
	v_lshrrev_b32_e32 v4, s50, v4
	s_delay_alu instid0(VALU_DEP_1) | instskip(NEXT) | instid1(VALU_DEP_1)
	v_mul_lo_u32 v5, v4, s48
	v_sub_nc_u32_e32 v1, v1, v5
	s_delay_alu instid0(VALU_DEP_1)
	v_mad_u32 v3, v1, s29, v3
	v_mad_u32 v2, v1, s28, v2
	v_mov_b32_e32 v1, v4
	s_cbranch_scc1 .LBB37_108
.LBB37_109:
	s_cbranch_execnz .LBB37_112
.LBB37_110:
	v_mov_b32_e32 v1, 0
	s_and_not1_b32 vcc_lo, exec_lo, s39
	s_delay_alu instid0(VALU_DEP_1) | instskip(NEXT) | instid1(VALU_DEP_1)
	v_mul_u64_e32 v[2:3], s[18:19], v[0:1]
	v_add_nc_u32_e32 v2, v0, v3
	s_delay_alu instid0(VALU_DEP_1) | instskip(NEXT) | instid1(VALU_DEP_1)
	v_lshrrev_b32_e32 v4, s10, v2
	v_mul_lo_u32 v2, v4, s8
	s_delay_alu instid0(VALU_DEP_1) | instskip(NEXT) | instid1(VALU_DEP_1)
	v_sub_nc_u32_e32 v2, v0, v2
	v_mul_lo_u32 v3, v2, s13
	v_mul_lo_u32 v2, v2, s12
	s_cbranch_vccnz .LBB37_112
; %bb.111:
	v_mov_b32_e32 v5, v1
	s_delay_alu instid0(VALU_DEP_1) | instskip(NEXT) | instid1(VALU_DEP_1)
	v_mul_u64_e32 v[6:7], s[20:21], v[4:5]
	v_add_nc_u32_e32 v1, v4, v7
	s_delay_alu instid0(VALU_DEP_1) | instskip(NEXT) | instid1(VALU_DEP_1)
	v_lshrrev_b32_e32 v1, s1, v1
	v_mul_lo_u32 v1, v1, s11
	s_delay_alu instid0(VALU_DEP_1) | instskip(NEXT) | instid1(VALU_DEP_1)
	v_sub_nc_u32_e32 v1, v4, v1
	v_mad_u32 v2, v1, s14, v2
	v_mad_u32 v3, v1, s15, v3
.LBB37_112:
	global_load_b32 v1, v3, s[6:7]
	s_wait_loadcnt 0x0
	v_cmp_le_i32_e32 vcc_lo, s36, v1
	v_cmp_gt_i32_e64 s0, s37, v1
	s_and_b32 s24, vcc_lo, s0
	s_mov_b32 s0, 0
	s_and_b32 s26, s38, s24
	s_mov_b32 s24, -1
	s_wait_xcnt 0x0
	s_and_saveexec_b32 s25, s26
; %bb.113:
	v_dual_mov_b32 v1, 0 :: v_dual_add_nc_u32 v0, 0x80, v0
	s_mov_b32 s0, exec_lo
	s_xor_b32 s24, exec_lo, -1
	global_store_b32 v2, v1, s[4:5]
; %bb.114:
	s_wait_xcnt 0x0
	s_or_b32 exec_lo, exec_lo, s25
	s_delay_alu instid0(SALU_CYCLE_1)
	s_and_not1_b32 s25, s9, exec_lo
	s_and_b32 s24, s24, exec_lo
	s_or_not1_b32 s0, s0, exec_lo
	s_or_b32 s44, s25, s24
.LBB37_115:
	s_or_b32 exec_lo, exec_lo, s45
	s_mov_b32 s24, 0
                                        ; implicit-def: $vgpr2
	s_and_saveexec_b32 s45, s0
	s_cbranch_execz .LBB37_155
; %bb.116:
	s_mov_b32 s0, -1
	s_mov_b32 s28, s44
	s_mov_b32 s46, exec_lo
	v_cmpx_gt_i32_e64 s40, v0
	s_cbranch_execz .LBB37_135
; %bb.117:
	s_and_not1_b32 vcc_lo, exec_lo, s34
	s_cbranch_vccnz .LBB37_122
; %bb.118:
	s_and_not1_b32 vcc_lo, exec_lo, s42
	s_cbranch_vccnz .LBB37_123
; %bb.119:
	s_add_co_i32 s0, s41, 1
	s_cmp_eq_u32 s31, 2
	s_cbranch_scc1 .LBB37_124
; %bb.120:
	v_dual_mov_b32 v2, 0 :: v_dual_mov_b32 v3, 0
	v_mov_b32_e32 v1, v0
	s_and_b32 s24, s0, 28
	s_mov_b32 s25, 0
	s_mov_b64 s[26:27], s[16:17]
	s_mov_b64 s[28:29], s[22:23]
.LBB37_121:                             ; =>This Inner Loop Header: Depth=1
	s_clause 0x1
	s_load_b256 s[48:55], s[26:27], 0x4
	s_load_b128 s[64:67], s[26:27], 0x24
	s_load_b256 s[56:63], s[28:29], 0x0
	s_add_co_i32 s25, s25, 4
	s_wait_xcnt 0x0
	s_add_nc_u64 s[26:27], s[26:27], 48
	s_cmp_eq_u32 s24, s25
	s_add_nc_u64 s[28:29], s[28:29], 32
	s_wait_kmcnt 0x0
	v_mul_hi_u32 v4, s49, v1
	s_delay_alu instid0(VALU_DEP_1) | instskip(NEXT) | instid1(VALU_DEP_1)
	v_add_nc_u32_e32 v4, v1, v4
	v_lshrrev_b32_e32 v4, s50, v4
	s_delay_alu instid0(VALU_DEP_1) | instskip(NEXT) | instid1(VALU_DEP_1)
	v_mul_hi_u32 v5, s52, v4
	v_add_nc_u32_e32 v5, v4, v5
	s_delay_alu instid0(VALU_DEP_1) | instskip(NEXT) | instid1(VALU_DEP_1)
	v_lshrrev_b32_e32 v5, s53, v5
	v_mul_hi_u32 v6, s55, v5
	s_delay_alu instid0(VALU_DEP_1) | instskip(SKIP_1) | instid1(VALU_DEP_1)
	v_add_nc_u32_e32 v6, v5, v6
	v_mul_lo_u32 v7, v4, s48
	v_sub_nc_u32_e32 v1, v1, v7
	v_mul_lo_u32 v7, v5, s51
	s_delay_alu instid0(VALU_DEP_4) | instskip(NEXT) | instid1(VALU_DEP_3)
	v_lshrrev_b32_e32 v6, s64, v6
	v_mad_u32 v3, v1, s57, v3
	v_mad_u32 v1, v1, s56, v2
	s_delay_alu instid0(VALU_DEP_4) | instskip(NEXT) | instid1(VALU_DEP_4)
	v_sub_nc_u32_e32 v2, v4, v7
	v_mul_hi_u32 v8, s66, v6
	v_mul_lo_u32 v4, v6, s54
	s_delay_alu instid0(VALU_DEP_3) | instskip(SKIP_1) | instid1(VALU_DEP_4)
	v_mad_u32 v3, v2, s59, v3
	v_mad_u32 v2, v2, s58, v1
	v_add_nc_u32_e32 v7, v6, v8
	s_delay_alu instid0(VALU_DEP_1) | instskip(NEXT) | instid1(VALU_DEP_1)
	v_dual_sub_nc_u32 v4, v5, v4 :: v_dual_lshrrev_b32 v1, s67, v7
	v_mad_u32 v3, v4, s61, v3
	s_delay_alu instid0(VALU_DEP_4) | instskip(NEXT) | instid1(VALU_DEP_3)
	v_mad_u32 v2, v4, s60, v2
	v_mul_lo_u32 v5, v1, s65
	s_delay_alu instid0(VALU_DEP_1) | instskip(NEXT) | instid1(VALU_DEP_1)
	v_sub_nc_u32_e32 v4, v6, v5
	v_mad_u32 v3, v4, s63, v3
	s_delay_alu instid0(VALU_DEP_4)
	v_mad_u32 v2, v4, s62, v2
	s_cbranch_scc0 .LBB37_121
	s_branch .LBB37_125
.LBB37_122:
                                        ; implicit-def: $vgpr3
	s_branch .LBB37_129
.LBB37_123:
	v_dual_mov_b32 v3, 0 :: v_dual_mov_b32 v2, 0
	s_branch .LBB37_128
.LBB37_124:
	v_mov_b64_e32 v[2:3], 0
	v_mov_b32_e32 v1, v0
.LBB37_125:
	s_and_b32 s0, s0, 3
	s_mov_b32 s25, 0
	s_cmp_eq_u32 s0, 0
	s_cbranch_scc1 .LBB37_128
; %bb.126:
	s_lshl_b32 s26, s24, 3
	s_mov_b32 s27, s25
	s_mul_u64 s[28:29], s[24:25], 12
	s_add_nc_u64 s[26:27], s[16:17], s[26:27]
	s_delay_alu instid0(SALU_CYCLE_1)
	s_add_nc_u64 s[24:25], s[26:27], 0xc4
	s_add_nc_u64 s[26:27], s[16:17], s[28:29]
.LBB37_127:                             ; =>This Inner Loop Header: Depth=1
	s_load_b96 s[48:50], s[26:27], 0x4
	s_load_b64 s[28:29], s[24:25], 0x0
	s_add_co_i32 s0, s0, -1
	s_wait_xcnt 0x0
	s_add_nc_u64 s[26:27], s[26:27], 12
	s_cmp_lg_u32 s0, 0
	s_add_nc_u64 s[24:25], s[24:25], 8
	s_wait_kmcnt 0x0
	v_mul_hi_u32 v4, s49, v1
	s_delay_alu instid0(VALU_DEP_1) | instskip(NEXT) | instid1(VALU_DEP_1)
	v_add_nc_u32_e32 v4, v1, v4
	v_lshrrev_b32_e32 v4, s50, v4
	s_delay_alu instid0(VALU_DEP_1) | instskip(NEXT) | instid1(VALU_DEP_1)
	v_mul_lo_u32 v5, v4, s48
	v_sub_nc_u32_e32 v1, v1, v5
	s_delay_alu instid0(VALU_DEP_1)
	v_mad_u32 v3, v1, s29, v3
	v_mad_u32 v2, v1, s28, v2
	v_mov_b32_e32 v1, v4
	s_cbranch_scc1 .LBB37_127
.LBB37_128:
	s_mov_b32 s0, 0
.LBB37_129:
	s_delay_alu instid0(SALU_CYCLE_1)
	s_and_not1_b32 vcc_lo, exec_lo, s0
	s_cbranch_vccnz .LBB37_132
; %bb.130:
	v_mov_b32_e32 v1, 0
	s_and_not1_b32 vcc_lo, exec_lo, s39
	s_delay_alu instid0(VALU_DEP_1) | instskip(NEXT) | instid1(VALU_DEP_1)
	v_mul_u64_e32 v[2:3], s[18:19], v[0:1]
	v_add_nc_u32_e32 v2, v0, v3
	s_delay_alu instid0(VALU_DEP_1) | instskip(NEXT) | instid1(VALU_DEP_1)
	v_lshrrev_b32_e32 v4, s10, v2
	v_mul_lo_u32 v2, v4, s8
	s_delay_alu instid0(VALU_DEP_1) | instskip(NEXT) | instid1(VALU_DEP_1)
	v_sub_nc_u32_e32 v2, v0, v2
	v_mul_lo_u32 v3, v2, s13
	v_mul_lo_u32 v2, v2, s12
	s_cbranch_vccnz .LBB37_132
; %bb.131:
	v_mov_b32_e32 v5, v1
	s_delay_alu instid0(VALU_DEP_1) | instskip(NEXT) | instid1(VALU_DEP_1)
	v_mul_u64_e32 v[6:7], s[20:21], v[4:5]
	v_add_nc_u32_e32 v1, v4, v7
	s_delay_alu instid0(VALU_DEP_1) | instskip(NEXT) | instid1(VALU_DEP_1)
	v_lshrrev_b32_e32 v1, s1, v1
	v_mul_lo_u32 v1, v1, s11
	s_delay_alu instid0(VALU_DEP_1) | instskip(NEXT) | instid1(VALU_DEP_1)
	v_sub_nc_u32_e32 v1, v4, v1
	v_mad_u32 v2, v1, s14, v2
	v_mad_u32 v3, v1, s15, v3
.LBB37_132:
	global_load_b32 v1, v3, s[6:7]
	s_wait_loadcnt 0x0
	v_cmp_le_i32_e32 vcc_lo, s36, v1
	v_cmp_gt_i32_e64 s0, s37, v1
	s_and_b32 s24, vcc_lo, s0
	s_mov_b32 s0, 0
	s_and_b32 s26, s38, s24
	s_mov_b32 s24, -1
	s_wait_xcnt 0x0
	s_and_saveexec_b32 s25, s26
; %bb.133:
	v_dual_mov_b32 v1, 0 :: v_dual_add_nc_u32 v0, 0x80, v0
	s_mov_b32 s0, exec_lo
	s_xor_b32 s24, exec_lo, -1
	global_store_b32 v2, v1, s[4:5]
; %bb.134:
	s_wait_xcnt 0x0
	s_or_b32 exec_lo, exec_lo, s25
	s_delay_alu instid0(SALU_CYCLE_1)
	s_and_not1_b32 s25, s44, exec_lo
	s_and_b32 s24, s24, exec_lo
	s_or_not1_b32 s0, s0, exec_lo
	s_or_b32 s28, s25, s24
.LBB37_135:
	s_or_b32 exec_lo, exec_lo, s46
	s_mov_b32 s24, 0
                                        ; implicit-def: $vgpr2
	s_and_saveexec_b32 s29, s0
	s_cbranch_execz .LBB37_154
; %bb.136:
	v_cmp_gt_i32_e32 vcc_lo, s40, v0
	s_mov_b32 s0, s28
                                        ; implicit-def: $vgpr2
	s_and_saveexec_b32 s40, vcc_lo
	s_cbranch_execz .LBB37_153
; %bb.137:
	s_and_not1_b32 vcc_lo, exec_lo, s34
	s_cbranch_vccnz .LBB37_142
; %bb.138:
	s_and_not1_b32 vcc_lo, exec_lo, s42
	s_cbranch_vccnz .LBB37_143
; %bb.139:
	s_add_co_i32 s41, s41, 1
	s_cmp_eq_u32 s31, 2
	s_cbranch_scc1 .LBB37_144
; %bb.140:
	v_dual_mov_b32 v2, 0 :: v_dual_mov_b32 v3, 0
	v_mov_b32_e32 v1, v0
	s_and_b32 s24, s41, 28
	s_mov_b32 s0, 0
	s_mov_b64 s[26:27], s[16:17]
.LBB37_141:                             ; =>This Inner Loop Header: Depth=1
	s_clause 0x1
	s_load_b256 s[48:55], s[26:27], 0x4
	s_load_b128 s[64:67], s[26:27], 0x24
	s_load_b256 s[56:63], s[22:23], 0x0
	s_add_co_i32 s0, s0, 4
	s_wait_xcnt 0x0
	s_add_nc_u64 s[26:27], s[26:27], 48
	s_cmp_eq_u32 s24, s0
	s_add_nc_u64 s[22:23], s[22:23], 32
	s_wait_kmcnt 0x0
	v_mul_hi_u32 v4, s49, v1
	s_delay_alu instid0(VALU_DEP_1) | instskip(NEXT) | instid1(VALU_DEP_1)
	v_add_nc_u32_e32 v4, v1, v4
	v_lshrrev_b32_e32 v4, s50, v4
	s_delay_alu instid0(VALU_DEP_1) | instskip(NEXT) | instid1(VALU_DEP_1)
	v_mul_hi_u32 v5, s52, v4
	v_add_nc_u32_e32 v5, v4, v5
	s_delay_alu instid0(VALU_DEP_1) | instskip(NEXT) | instid1(VALU_DEP_1)
	v_lshrrev_b32_e32 v5, s53, v5
	v_mul_hi_u32 v6, s55, v5
	s_delay_alu instid0(VALU_DEP_1) | instskip(SKIP_1) | instid1(VALU_DEP_1)
	v_add_nc_u32_e32 v6, v5, v6
	v_mul_lo_u32 v7, v4, s48
	v_sub_nc_u32_e32 v1, v1, v7
	v_mul_lo_u32 v7, v5, s51
	s_delay_alu instid0(VALU_DEP_4) | instskip(NEXT) | instid1(VALU_DEP_3)
	v_lshrrev_b32_e32 v6, s64, v6
	v_mad_u32 v3, v1, s57, v3
	v_mad_u32 v1, v1, s56, v2
	s_delay_alu instid0(VALU_DEP_4) | instskip(NEXT) | instid1(VALU_DEP_4)
	v_sub_nc_u32_e32 v2, v4, v7
	v_mul_hi_u32 v8, s66, v6
	v_mul_lo_u32 v4, v6, s54
	s_delay_alu instid0(VALU_DEP_3) | instskip(SKIP_1) | instid1(VALU_DEP_4)
	v_mad_u32 v3, v2, s59, v3
	v_mad_u32 v2, v2, s58, v1
	v_add_nc_u32_e32 v7, v6, v8
	s_delay_alu instid0(VALU_DEP_1) | instskip(NEXT) | instid1(VALU_DEP_1)
	v_dual_sub_nc_u32 v4, v5, v4 :: v_dual_lshrrev_b32 v1, s67, v7
	v_mad_u32 v3, v4, s61, v3
	s_delay_alu instid0(VALU_DEP_4) | instskip(NEXT) | instid1(VALU_DEP_3)
	v_mad_u32 v2, v4, s60, v2
	v_mul_lo_u32 v5, v1, s65
	s_delay_alu instid0(VALU_DEP_1) | instskip(NEXT) | instid1(VALU_DEP_1)
	v_sub_nc_u32_e32 v4, v6, v5
	v_mad_u32 v3, v4, s63, v3
	s_delay_alu instid0(VALU_DEP_4)
	v_mad_u32 v2, v4, s62, v2
	s_cbranch_scc0 .LBB37_141
	s_branch .LBB37_145
.LBB37_142:
	s_mov_b32 s0, -1
                                        ; implicit-def: $vgpr3
	s_branch .LBB37_149
.LBB37_143:
	v_dual_mov_b32 v3, 0 :: v_dual_mov_b32 v2, 0
	s_branch .LBB37_148
.LBB37_144:
	v_mov_b64_e32 v[2:3], 0
	v_mov_b32_e32 v1, v0
.LBB37_145:
	s_and_b32 s0, s41, 3
	s_mov_b32 s25, 0
	s_cmp_eq_u32 s0, 0
	s_cbranch_scc1 .LBB37_148
; %bb.146:
	s_lshl_b32 s22, s24, 3
	s_mov_b32 s23, s25
	s_mul_u64 s[24:25], s[24:25], 12
	s_add_nc_u64 s[22:23], s[16:17], s[22:23]
	s_add_nc_u64 s[24:25], s[16:17], s[24:25]
	;; [unrolled: 1-line block ×3, first 2 shown]
.LBB37_147:                             ; =>This Inner Loop Header: Depth=1
	s_load_b96 s[48:50], s[24:25], 0x4
	s_load_b64 s[26:27], s[22:23], 0x0
	s_add_co_i32 s0, s0, -1
	s_wait_xcnt 0x0
	s_add_nc_u64 s[24:25], s[24:25], 12
	s_cmp_lg_u32 s0, 0
	s_add_nc_u64 s[22:23], s[22:23], 8
	s_wait_kmcnt 0x0
	v_mul_hi_u32 v4, s49, v1
	s_delay_alu instid0(VALU_DEP_1) | instskip(NEXT) | instid1(VALU_DEP_1)
	v_add_nc_u32_e32 v4, v1, v4
	v_lshrrev_b32_e32 v4, s50, v4
	s_delay_alu instid0(VALU_DEP_1) | instskip(NEXT) | instid1(VALU_DEP_1)
	v_mul_lo_u32 v5, v4, s48
	v_sub_nc_u32_e32 v1, v1, v5
	s_delay_alu instid0(VALU_DEP_1)
	v_mad_u32 v3, v1, s27, v3
	v_mad_u32 v2, v1, s26, v2
	v_mov_b32_e32 v1, v4
	s_cbranch_scc1 .LBB37_147
.LBB37_148:
	s_mov_b32 s0, 0
.LBB37_149:
	s_delay_alu instid0(SALU_CYCLE_1)
	s_and_not1_b32 vcc_lo, exec_lo, s0
	s_cbranch_vccnz .LBB37_152
; %bb.150:
	v_mov_b32_e32 v1, 0
	s_and_not1_b32 vcc_lo, exec_lo, s39
	s_delay_alu instid0(VALU_DEP_1) | instskip(NEXT) | instid1(VALU_DEP_1)
	v_mul_u64_e32 v[2:3], s[18:19], v[0:1]
	v_add_nc_u32_e32 v2, v0, v3
	s_delay_alu instid0(VALU_DEP_1) | instskip(NEXT) | instid1(VALU_DEP_1)
	v_lshrrev_b32_e32 v4, s10, v2
	v_mul_lo_u32 v2, v4, s8
	s_delay_alu instid0(VALU_DEP_1) | instskip(NEXT) | instid1(VALU_DEP_1)
	v_sub_nc_u32_e32 v0, v0, v2
	v_mul_lo_u32 v3, v0, s13
	v_mul_lo_u32 v2, v0, s12
	s_cbranch_vccnz .LBB37_152
; %bb.151:
	v_mov_b32_e32 v5, v1
	s_delay_alu instid0(VALU_DEP_1) | instskip(NEXT) | instid1(VALU_DEP_1)
	v_mul_u64_e32 v[0:1], s[20:21], v[4:5]
	v_add_nc_u32_e32 v0, v4, v1
	s_delay_alu instid0(VALU_DEP_1) | instskip(NEXT) | instid1(VALU_DEP_1)
	v_lshrrev_b32_e32 v0, s1, v0
	v_mul_lo_u32 v0, v0, s11
	s_delay_alu instid0(VALU_DEP_1) | instskip(NEXT) | instid1(VALU_DEP_1)
	v_sub_nc_u32_e32 v0, v4, v0
	v_mad_u32 v2, v0, s14, v2
	v_mad_u32 v3, v0, s15, v3
.LBB37_152:
	global_load_b32 v0, v3, s[6:7]
	s_and_not1_b32 s1, s28, exec_lo
	s_mov_b32 s24, exec_lo
	s_wait_loadcnt 0x0
	v_cmp_le_i32_e32 vcc_lo, s36, v0
	v_cmp_gt_i32_e64 s0, s37, v0
	s_and_b32 s0, vcc_lo, s0
	s_delay_alu instid0(SALU_CYCLE_1) | instskip(NEXT) | instid1(SALU_CYCLE_1)
	s_and_b32 s0, s38, s0
	s_xor_b32 s0, s0, -1
	s_delay_alu instid0(SALU_CYCLE_1) | instskip(NEXT) | instid1(SALU_CYCLE_1)
	s_and_b32 s0, s0, exec_lo
	s_or_b32 s0, s1, s0
.LBB37_153:
	s_wait_xcnt 0x0
	s_or_b32 exec_lo, exec_lo, s40
	s_delay_alu instid0(SALU_CYCLE_1)
	s_and_not1_b32 s1, s28, exec_lo
	s_and_b32 s0, s0, exec_lo
	s_and_b32 s24, s24, exec_lo
	s_or_b32 s28, s1, s0
.LBB37_154:
	s_or_b32 exec_lo, exec_lo, s29
	s_delay_alu instid0(SALU_CYCLE_1)
	s_and_not1_b32 s0, s44, exec_lo
	s_and_b32 s1, s28, exec_lo
	s_and_b32 s24, s24, exec_lo
	s_or_b32 s44, s0, s1
.LBB37_155:
	s_or_b32 exec_lo, exec_lo, s45
	s_delay_alu instid0(SALU_CYCLE_1)
	s_and_not1_b32 s0, s9, exec_lo
	s_and_b32 s1, s44, exec_lo
	s_and_b32 s19, s24, exec_lo
	s_or_b32 s9, s0, s1
	s_or_b32 exec_lo, exec_lo, s43
	s_mov_b32 s0, 0
	s_and_saveexec_b32 s1, s9
	s_cbranch_execz .LBB37_28
.LBB37_156:
	s_mov_b32 s0, exec_lo
	s_and_not1_b32 s19, s19, exec_lo
	s_trap 2
	s_or_b32 exec_lo, exec_lo, s1
	s_and_saveexec_b32 s1, s19
	s_delay_alu instid0(SALU_CYCLE_1)
	s_xor_b32 s1, exec_lo, s1
	s_cbranch_execnz .LBB37_29
	s_branch .LBB37_30
.LBB37_157:
	s_or_b32 s1, s10, exec_lo
	s_trap 2
	s_or_saveexec_b32 s2, s0
	s_mov_b32 s0, 0
	s_xor_b32 exec_lo, exec_lo, s2
	s_cbranch_execnz .LBB37_93
	s_branch .LBB37_101
.LBB37_158:
	s_or_b32 s3, s1, exec_lo
	s_trap 2
	s_or_saveexec_b32 s9, s0
	s_mov_b32 s0, 0
	s_xor_b32 exec_lo, exec_lo, s9
	s_cbranch_execnz .LBB37_95
	s_branch .LBB37_100
.LBB37_159:
	s_or_b32 s13, s3, exec_lo
	s_trap 2
	s_or_saveexec_b32 s14, s0
	s_mov_b32 s0, 0
	s_xor_b32 exec_lo, exec_lo, s14
	s_cbranch_execnz .LBB37_97
	s_branch .LBB37_99
.LBB37_160:
	s_xor_b32 s6, exec_lo, -1
	s_or_b32 s0, s13, exec_lo
	s_trap 2
	s_branch .LBB37_98
	.section	.rodata,"a",@progbits
	.p2align	6, 0x0
	.amdhsa_kernel _ZN2at6native32elementwise_kernel_manual_unrollILi128ELi4EZNS0_22gpu_kernel_impl_nocastIZZZNS0_12_GLOBAL__N_142_validate_compressed_sparse_indices_kernelILNS3_8CDimNameE0ENS3_18CUDAKernelLauncherENS3_14EmptyVecKernelENS3_8DummyVecELm0EEEvRKNS_6TensorESB_lllENKUlvE0_clEvENKUlvE_clEvEUliE_EEvRNS_18TensorIteratorBaseERKT_EUlibE_EEviT1_
		.amdhsa_group_segment_fixed_size 0
		.amdhsa_private_segment_fixed_size 0
		.amdhsa_kernarg_size 368
		.amdhsa_user_sgpr_count 2
		.amdhsa_user_sgpr_dispatch_ptr 0
		.amdhsa_user_sgpr_queue_ptr 0
		.amdhsa_user_sgpr_kernarg_segment_ptr 1
		.amdhsa_user_sgpr_dispatch_id 0
		.amdhsa_user_sgpr_kernarg_preload_length 0
		.amdhsa_user_sgpr_kernarg_preload_offset 0
		.amdhsa_user_sgpr_private_segment_size 0
		.amdhsa_wavefront_size32 1
		.amdhsa_uses_dynamic_stack 0
		.amdhsa_enable_private_segment 0
		.amdhsa_system_sgpr_workgroup_id_x 1
		.amdhsa_system_sgpr_workgroup_id_y 0
		.amdhsa_system_sgpr_workgroup_id_z 0
		.amdhsa_system_sgpr_workgroup_info 0
		.amdhsa_system_vgpr_workitem_id 0
		.amdhsa_next_free_vgpr 15
		.amdhsa_next_free_sgpr 68
		.amdhsa_named_barrier_count 0
		.amdhsa_reserve_vcc 1
		.amdhsa_float_round_mode_32 0
		.amdhsa_float_round_mode_16_64 0
		.amdhsa_float_denorm_mode_32 3
		.amdhsa_float_denorm_mode_16_64 3
		.amdhsa_fp16_overflow 0
		.amdhsa_memory_ordered 1
		.amdhsa_forward_progress 1
		.amdhsa_inst_pref_size 57
		.amdhsa_round_robin_scheduling 0
		.amdhsa_exception_fp_ieee_invalid_op 0
		.amdhsa_exception_fp_denorm_src 0
		.amdhsa_exception_fp_ieee_div_zero 0
		.amdhsa_exception_fp_ieee_overflow 0
		.amdhsa_exception_fp_ieee_underflow 0
		.amdhsa_exception_fp_ieee_inexact 0
		.amdhsa_exception_int_div_zero 0
	.end_amdhsa_kernel
	.section	.text._ZN2at6native32elementwise_kernel_manual_unrollILi128ELi4EZNS0_22gpu_kernel_impl_nocastIZZZNS0_12_GLOBAL__N_142_validate_compressed_sparse_indices_kernelILNS3_8CDimNameE0ENS3_18CUDAKernelLauncherENS3_14EmptyVecKernelENS3_8DummyVecELm0EEEvRKNS_6TensorESB_lllENKUlvE0_clEvENKUlvE_clEvEUliE_EEvRNS_18TensorIteratorBaseERKT_EUlibE_EEviT1_,"axG",@progbits,_ZN2at6native32elementwise_kernel_manual_unrollILi128ELi4EZNS0_22gpu_kernel_impl_nocastIZZZNS0_12_GLOBAL__N_142_validate_compressed_sparse_indices_kernelILNS3_8CDimNameE0ENS3_18CUDAKernelLauncherENS3_14EmptyVecKernelENS3_8DummyVecELm0EEEvRKNS_6TensorESB_lllENKUlvE0_clEvENKUlvE_clEvEUliE_EEvRNS_18TensorIteratorBaseERKT_EUlibE_EEviT1_,comdat
.Lfunc_end37:
	.size	_ZN2at6native32elementwise_kernel_manual_unrollILi128ELi4EZNS0_22gpu_kernel_impl_nocastIZZZNS0_12_GLOBAL__N_142_validate_compressed_sparse_indices_kernelILNS3_8CDimNameE0ENS3_18CUDAKernelLauncherENS3_14EmptyVecKernelENS3_8DummyVecELm0EEEvRKNS_6TensorESB_lllENKUlvE0_clEvENKUlvE_clEvEUliE_EEvRNS_18TensorIteratorBaseERKT_EUlibE_EEviT1_, .Lfunc_end37-_ZN2at6native32elementwise_kernel_manual_unrollILi128ELi4EZNS0_22gpu_kernel_impl_nocastIZZZNS0_12_GLOBAL__N_142_validate_compressed_sparse_indices_kernelILNS3_8CDimNameE0ENS3_18CUDAKernelLauncherENS3_14EmptyVecKernelENS3_8DummyVecELm0EEEvRKNS_6TensorESB_lllENKUlvE0_clEvENKUlvE_clEvEUliE_EEvRNS_18TensorIteratorBaseERKT_EUlibE_EEviT1_
                                        ; -- End function
	.set _ZN2at6native32elementwise_kernel_manual_unrollILi128ELi4EZNS0_22gpu_kernel_impl_nocastIZZZNS0_12_GLOBAL__N_142_validate_compressed_sparse_indices_kernelILNS3_8CDimNameE0ENS3_18CUDAKernelLauncherENS3_14EmptyVecKernelENS3_8DummyVecELm0EEEvRKNS_6TensorESB_lllENKUlvE0_clEvENKUlvE_clEvEUliE_EEvRNS_18TensorIteratorBaseERKT_EUlibE_EEviT1_.num_vgpr, 15
	.set _ZN2at6native32elementwise_kernel_manual_unrollILi128ELi4EZNS0_22gpu_kernel_impl_nocastIZZZNS0_12_GLOBAL__N_142_validate_compressed_sparse_indices_kernelILNS3_8CDimNameE0ENS3_18CUDAKernelLauncherENS3_14EmptyVecKernelENS3_8DummyVecELm0EEEvRKNS_6TensorESB_lllENKUlvE0_clEvENKUlvE_clEvEUliE_EEvRNS_18TensorIteratorBaseERKT_EUlibE_EEviT1_.num_agpr, 0
	.set _ZN2at6native32elementwise_kernel_manual_unrollILi128ELi4EZNS0_22gpu_kernel_impl_nocastIZZZNS0_12_GLOBAL__N_142_validate_compressed_sparse_indices_kernelILNS3_8CDimNameE0ENS3_18CUDAKernelLauncherENS3_14EmptyVecKernelENS3_8DummyVecELm0EEEvRKNS_6TensorESB_lllENKUlvE0_clEvENKUlvE_clEvEUliE_EEvRNS_18TensorIteratorBaseERKT_EUlibE_EEviT1_.numbered_sgpr, 68
	.set _ZN2at6native32elementwise_kernel_manual_unrollILi128ELi4EZNS0_22gpu_kernel_impl_nocastIZZZNS0_12_GLOBAL__N_142_validate_compressed_sparse_indices_kernelILNS3_8CDimNameE0ENS3_18CUDAKernelLauncherENS3_14EmptyVecKernelENS3_8DummyVecELm0EEEvRKNS_6TensorESB_lllENKUlvE0_clEvENKUlvE_clEvEUliE_EEvRNS_18TensorIteratorBaseERKT_EUlibE_EEviT1_.num_named_barrier, 0
	.set _ZN2at6native32elementwise_kernel_manual_unrollILi128ELi4EZNS0_22gpu_kernel_impl_nocastIZZZNS0_12_GLOBAL__N_142_validate_compressed_sparse_indices_kernelILNS3_8CDimNameE0ENS3_18CUDAKernelLauncherENS3_14EmptyVecKernelENS3_8DummyVecELm0EEEvRKNS_6TensorESB_lllENKUlvE0_clEvENKUlvE_clEvEUliE_EEvRNS_18TensorIteratorBaseERKT_EUlibE_EEviT1_.private_seg_size, 0
	.set _ZN2at6native32elementwise_kernel_manual_unrollILi128ELi4EZNS0_22gpu_kernel_impl_nocastIZZZNS0_12_GLOBAL__N_142_validate_compressed_sparse_indices_kernelILNS3_8CDimNameE0ENS3_18CUDAKernelLauncherENS3_14EmptyVecKernelENS3_8DummyVecELm0EEEvRKNS_6TensorESB_lllENKUlvE0_clEvENKUlvE_clEvEUliE_EEvRNS_18TensorIteratorBaseERKT_EUlibE_EEviT1_.uses_vcc, 1
	.set _ZN2at6native32elementwise_kernel_manual_unrollILi128ELi4EZNS0_22gpu_kernel_impl_nocastIZZZNS0_12_GLOBAL__N_142_validate_compressed_sparse_indices_kernelILNS3_8CDimNameE0ENS3_18CUDAKernelLauncherENS3_14EmptyVecKernelENS3_8DummyVecELm0EEEvRKNS_6TensorESB_lllENKUlvE0_clEvENKUlvE_clEvEUliE_EEvRNS_18TensorIteratorBaseERKT_EUlibE_EEviT1_.uses_flat_scratch, 0
	.set _ZN2at6native32elementwise_kernel_manual_unrollILi128ELi4EZNS0_22gpu_kernel_impl_nocastIZZZNS0_12_GLOBAL__N_142_validate_compressed_sparse_indices_kernelILNS3_8CDimNameE0ENS3_18CUDAKernelLauncherENS3_14EmptyVecKernelENS3_8DummyVecELm0EEEvRKNS_6TensorESB_lllENKUlvE0_clEvENKUlvE_clEvEUliE_EEvRNS_18TensorIteratorBaseERKT_EUlibE_EEviT1_.has_dyn_sized_stack, 0
	.set _ZN2at6native32elementwise_kernel_manual_unrollILi128ELi4EZNS0_22gpu_kernel_impl_nocastIZZZNS0_12_GLOBAL__N_142_validate_compressed_sparse_indices_kernelILNS3_8CDimNameE0ENS3_18CUDAKernelLauncherENS3_14EmptyVecKernelENS3_8DummyVecELm0EEEvRKNS_6TensorESB_lllENKUlvE0_clEvENKUlvE_clEvEUliE_EEvRNS_18TensorIteratorBaseERKT_EUlibE_EEviT1_.has_recursion, 0
	.set _ZN2at6native32elementwise_kernel_manual_unrollILi128ELi4EZNS0_22gpu_kernel_impl_nocastIZZZNS0_12_GLOBAL__N_142_validate_compressed_sparse_indices_kernelILNS3_8CDimNameE0ENS3_18CUDAKernelLauncherENS3_14EmptyVecKernelENS3_8DummyVecELm0EEEvRKNS_6TensorESB_lllENKUlvE0_clEvENKUlvE_clEvEUliE_EEvRNS_18TensorIteratorBaseERKT_EUlibE_EEviT1_.has_indirect_call, 0
	.section	.AMDGPU.csdata,"",@progbits
; Kernel info:
; codeLenInByte = 7196
; TotalNumSgprs: 70
; NumVgprs: 15
; ScratchSize: 0
; MemoryBound: 0
; FloatMode: 240
; IeeeMode: 1
; LDSByteSize: 0 bytes/workgroup (compile time only)
; SGPRBlocks: 0
; VGPRBlocks: 0
; NumSGPRsForWavesPerEU: 70
; NumVGPRsForWavesPerEU: 15
; NamedBarCnt: 0
; Occupancy: 16
; WaveLimiterHint : 1
; COMPUTE_PGM_RSRC2:SCRATCH_EN: 0
; COMPUTE_PGM_RSRC2:USER_SGPR: 2
; COMPUTE_PGM_RSRC2:TRAP_HANDLER: 0
; COMPUTE_PGM_RSRC2:TGID_X_EN: 1
; COMPUTE_PGM_RSRC2:TGID_Y_EN: 0
; COMPUTE_PGM_RSRC2:TGID_Z_EN: 0
; COMPUTE_PGM_RSRC2:TIDIG_COMP_CNT: 0
	.section	.text._ZN2at6native32elementwise_kernel_manual_unrollILi128ELi4EZNS0_15gpu_kernel_implIZZZNS0_12_GLOBAL__N_142_validate_compressed_sparse_indices_kernelILNS3_8CDimNameE0ENS3_18CUDAKernelLauncherENS3_14EmptyVecKernelENS3_8DummyVecELm0EEEvRKNS_6TensorESB_lllENKUlvE0_clEvENKUlvE_clEvEUliE_EEvRNS_18TensorIteratorBaseERKT_EUlibE_EEviT1_,"axG",@progbits,_ZN2at6native32elementwise_kernel_manual_unrollILi128ELi4EZNS0_15gpu_kernel_implIZZZNS0_12_GLOBAL__N_142_validate_compressed_sparse_indices_kernelILNS3_8CDimNameE0ENS3_18CUDAKernelLauncherENS3_14EmptyVecKernelENS3_8DummyVecELm0EEEvRKNS_6TensorESB_lllENKUlvE0_clEvENKUlvE_clEvEUliE_EEvRNS_18TensorIteratorBaseERKT_EUlibE_EEviT1_,comdat
	.globl	_ZN2at6native32elementwise_kernel_manual_unrollILi128ELi4EZNS0_15gpu_kernel_implIZZZNS0_12_GLOBAL__N_142_validate_compressed_sparse_indices_kernelILNS3_8CDimNameE0ENS3_18CUDAKernelLauncherENS3_14EmptyVecKernelENS3_8DummyVecELm0EEEvRKNS_6TensorESB_lllENKUlvE0_clEvENKUlvE_clEvEUliE_EEvRNS_18TensorIteratorBaseERKT_EUlibE_EEviT1_ ; -- Begin function _ZN2at6native32elementwise_kernel_manual_unrollILi128ELi4EZNS0_15gpu_kernel_implIZZZNS0_12_GLOBAL__N_142_validate_compressed_sparse_indices_kernelILNS3_8CDimNameE0ENS3_18CUDAKernelLauncherENS3_14EmptyVecKernelENS3_8DummyVecELm0EEEvRKNS_6TensorESB_lllENKUlvE0_clEvENKUlvE_clEvEUliE_EEvRNS_18TensorIteratorBaseERKT_EUlibE_EEviT1_
	.p2align	8
	.type	_ZN2at6native32elementwise_kernel_manual_unrollILi128ELi4EZNS0_15gpu_kernel_implIZZZNS0_12_GLOBAL__N_142_validate_compressed_sparse_indices_kernelILNS3_8CDimNameE0ENS3_18CUDAKernelLauncherENS3_14EmptyVecKernelENS3_8DummyVecELm0EEEvRKNS_6TensorESB_lllENKUlvE0_clEvENKUlvE_clEvEUliE_EEvRNS_18TensorIteratorBaseERKT_EUlibE_EEviT1_,@function
_ZN2at6native32elementwise_kernel_manual_unrollILi128ELi4EZNS0_15gpu_kernel_implIZZZNS0_12_GLOBAL__N_142_validate_compressed_sparse_indices_kernelILNS3_8CDimNameE0ENS3_18CUDAKernelLauncherENS3_14EmptyVecKernelENS3_8DummyVecELm0EEEvRKNS_6TensorESB_lllENKUlvE0_clEvENKUlvE_clEvEUliE_EEvRNS_18TensorIteratorBaseERKT_EUlibE_EEviT1_: ; @_ZN2at6native32elementwise_kernel_manual_unrollILi128ELi4EZNS0_15gpu_kernel_implIZZZNS0_12_GLOBAL__N_142_validate_compressed_sparse_indices_kernelILNS3_8CDimNameE0ENS3_18CUDAKernelLauncherENS3_14EmptyVecKernelENS3_8DummyVecELm0EEEvRKNS_6TensorESB_lllENKUlvE0_clEvENKUlvE_clEvEUliE_EEvRNS_18TensorIteratorBaseERKT_EUlibE_EEviT1_
; %bb.0:
	s_clause 0x1
	s_load_b96 s[12:14], s[0:1], 0x28
	s_load_b96 s[8:10], s[0:1], 0x18
	s_bfe_u32 s2, ttmp6, 0x4000c
	s_wait_kmcnt 0x0
	s_clause 0x1
	s_load_b32 s13, s[0:1], 0x0
	s_load_b128 s[4:7], s[0:1], 0x8
	s_add_co_i32 s2, s2, 1
	s_and_b32 s3, ttmp6, 15
	s_wait_xcnt 0x0
	s_mul_i32 s0, ttmp9, s2
	s_getreg_b32 s11, hwreg(HW_REG_IB_STS2, 6, 4)
	s_add_co_i32 s3, s3, s0
	s_mov_b32 s1, 0
	s_bfe_u32 s2, s14, 0x80008
	s_cmp_eq_u32 s11, 0
	s_mov_b32 s11, 0
	s_cselect_b32 s0, ttmp9, s3
	s_delay_alu instid0(SALU_CYCLE_1) | instskip(SKIP_1) | instid1(VALU_DEP_1)
	v_lshl_or_b32 v4, s0, 9, v0
	s_mov_b32 s0, exec_lo
	v_or_b32_e32 v0, 0x180, v4
	s_wait_kmcnt 0x0
	s_delay_alu instid0(VALU_DEP_1)
	v_cmpx_le_i32_e64 s13, v0
	s_xor_b32 s3, exec_lo, s0
	s_cbranch_execz .LBB38_894
; %bb.1:
	s_get_pc_i64 s[22:23]
	s_add_nc_u64 s[22:23], s[22:23], .str@rel64+4
	s_mov_b32 s21, -1
	s_cmp_lg_u64 s[22:23], 0
	s_mov_b32 s19, 0
	s_mov_b32 s17, 0
	;; [unrolled: 1-line block ×3, first 2 shown]
	s_cselect_b32 s11, -1, 0
	s_mov_b32 s15, 0
	s_mov_b32 s18, exec_lo
	v_cmpx_gt_i32_e64 s13, v4
	s_cbranch_execz .LBB38_221
; %bb.2:
	v_mul_lo_u32 v0, v4, s9
	s_and_b32 s0, 0xffff, s2
	s_delay_alu instid0(SALU_CYCLE_1) | instskip(NEXT) | instid1(VALU_DEP_1)
	s_cmp_lt_i32 s0, 11
	v_ashrrev_i32_e32 v1, 31, v0
	s_delay_alu instid0(VALU_DEP_1)
	v_add_nc_u64_e32 v[0:1], s[6:7], v[0:1]
	s_cbranch_scc1 .LBB38_9
; %bb.3:
	s_cmp_gt_i32 s0, 25
	s_cbranch_scc0 .LBB38_19
; %bb.4:
	s_cmp_gt_i32 s0, 28
	s_cbranch_scc0 .LBB38_23
	;; [unrolled: 3-line block ×4, first 2 shown]
; %bb.7:
	s_cmp_eq_u32 s0, 46
	s_cbranch_scc0 .LBB38_29
; %bb.8:
	global_load_b32 v2, v[0:1], off
	s_mov_b32 s15, -1
	s_wait_loadcnt 0x0
	v_lshlrev_b32_e32 v2, 16, v2
	s_delay_alu instid0(VALU_DEP_1)
	v_cvt_i32_f32_e32 v2, v2
	s_branch .LBB38_31
.LBB38_9:
                                        ; implicit-def: $vgpr2
	s_cbranch_execnz .LBB38_91
.LBB38_10:
	s_and_not1_b32 vcc_lo, exec_lo, s15
	s_cbranch_vccnz .LBB38_138
.LBB38_11:
	s_wait_loadcnt 0x0
	s_delay_alu instid0(VALU_DEP_1)
	v_cmp_le_i32_e32 vcc_lo, s10, v2
	v_cmp_gt_i32_e64 s0, s12, v2
	s_mov_b32 s16, -1
	s_mov_b32 s20, 0
	s_mov_b32 s15, 0
	s_and_b32 s0, vcc_lo, s0
	s_delay_alu instid0(SALU_CYCLE_1) | instskip(NEXT) | instid1(SALU_CYCLE_1)
	s_and_b32 s21, s11, s0
	s_and_saveexec_b32 s0, s21
	s_cbranch_execz .LBB38_219
; %bb.12:
	v_mul_lo_u32 v0, v4, s8
	s_and_b32 s16, s14, 0xff
	s_delay_alu instid0(SALU_CYCLE_1) | instskip(NEXT) | instid1(VALU_DEP_1)
	s_cmp_lt_i32 s16, 11
	v_ashrrev_i32_e32 v1, 31, v0
	s_delay_alu instid0(VALU_DEP_1)
	v_add_nc_u64_e32 v[0:1], s[4:5], v[0:1]
	s_cbranch_scc1 .LBB38_20
; %bb.13:
	s_and_b32 s20, 0xffff, s16
	s_delay_alu instid0(SALU_CYCLE_1)
	s_cmp_gt_i32 s20, 25
	s_cbranch_scc0 .LBB38_24
; %bb.14:
	s_cmp_gt_i32 s20, 28
	s_cbranch_scc0 .LBB38_26
; %bb.15:
	;; [unrolled: 3-line block ×4, first 2 shown]
	s_mov_b32 s22, 0
	s_mov_b32 s15, -1
	s_cmp_eq_u32 s20, 46
	s_mov_b32 s21, 0
	s_cbranch_scc0 .LBB38_140
; %bb.18:
	v_mov_b32_e32 v2, 0
	s_mov_b32 s21, -1
	s_mov_b32 s15, 0
	global_store_b32 v[0:1], v2, off
	s_branch .LBB38_140
.LBB38_19:
                                        ; implicit-def: $vgpr2
	s_cbranch_execnz .LBB38_58
	s_branch .LBB38_90
.LBB38_20:
	s_mov_b32 s21, 0
	s_cbranch_execnz .LBB38_179
.LBB38_21:
	s_and_not1_b32 vcc_lo, exec_lo, s21
	s_cbranch_vccnz .LBB38_217
.LBB38_22:
	v_add_nc_u32_e32 v4, 0x80, v4
	s_mov_b32 s20, -1
	s_branch .LBB38_218
.LBB38_23:
	s_mov_b32 s16, -1
                                        ; implicit-def: $vgpr2
	s_branch .LBB38_41
.LBB38_24:
	s_mov_b32 s22, -1
	s_mov_b32 s21, 0
	s_branch .LBB38_159
.LBB38_25:
	s_mov_b32 s16, -1
                                        ; implicit-def: $vgpr2
	s_branch .LBB38_36
.LBB38_26:
	s_mov_b32 s22, -1
	s_mov_b32 s21, 0
	s_branch .LBB38_148
.LBB38_27:
	s_mov_b32 s16, -1
	s_branch .LBB38_30
.LBB38_28:
	s_mov_b32 s22, -1
	s_mov_b32 s21, 0
	s_branch .LBB38_144
.LBB38_29:
	s_mov_b32 s17, -1
.LBB38_30:
                                        ; implicit-def: $vgpr2
.LBB38_31:
	s_and_b32 vcc_lo, exec_lo, s16
	s_cbranch_vccz .LBB38_35
; %bb.32:
	s_cmp_eq_u32 s0, 44
	s_cbranch_scc0 .LBB38_34
; %bb.33:
	global_load_u8 v2, v[0:1], off
	s_mov_b32 s17, 0
	s_mov_b32 s15, -1
	s_wait_loadcnt 0x0
	v_lshlrev_b32_e32 v3, 23, v2
	v_cmp_ne_u32_e32 vcc_lo, 0, v2
	s_delay_alu instid0(VALU_DEP_2) | instskip(NEXT) | instid1(VALU_DEP_1)
	v_cvt_i32_f32_e32 v3, v3
	v_cndmask_b32_e32 v2, 0, v3, vcc_lo
	s_branch .LBB38_35
.LBB38_34:
	s_mov_b32 s17, -1
                                        ; implicit-def: $vgpr2
.LBB38_35:
	s_mov_b32 s16, 0
.LBB38_36:
	s_delay_alu instid0(SALU_CYCLE_1)
	s_and_b32 vcc_lo, exec_lo, s16
	s_cbranch_vccz .LBB38_40
; %bb.37:
	s_cmp_eq_u32 s0, 29
	s_cbranch_scc0 .LBB38_39
; %bb.38:
	global_load_b32 v2, v[0:1], off
	s_mov_b32 s15, -1
	s_mov_b32 s17, 0
	s_branch .LBB38_40
.LBB38_39:
	s_mov_b32 s17, -1
                                        ; implicit-def: $vgpr2
.LBB38_40:
	s_mov_b32 s16, 0
.LBB38_41:
	s_delay_alu instid0(SALU_CYCLE_1)
	s_and_b32 vcc_lo, exec_lo, s16
	s_cbranch_vccz .LBB38_57
; %bb.42:
	s_cmp_lt_i32 s0, 27
	s_cbranch_scc1 .LBB38_45
; %bb.43:
	s_cmp_gt_i32 s0, 27
	s_cbranch_scc0 .LBB38_46
; %bb.44:
	s_wait_loadcnt 0x0
	global_load_b32 v2, v[0:1], off
	s_mov_b32 s15, 0
	s_branch .LBB38_47
.LBB38_45:
	s_mov_b32 s15, -1
                                        ; implicit-def: $vgpr2
	s_branch .LBB38_50
.LBB38_46:
	s_mov_b32 s15, -1
                                        ; implicit-def: $vgpr2
.LBB38_47:
	s_delay_alu instid0(SALU_CYCLE_1)
	s_and_not1_b32 vcc_lo, exec_lo, s15
	s_cbranch_vccnz .LBB38_49
; %bb.48:
	s_wait_loadcnt 0x0
	global_load_u16 v2, v[0:1], off
.LBB38_49:
	s_mov_b32 s15, 0
.LBB38_50:
	s_delay_alu instid0(SALU_CYCLE_1)
	s_and_not1_b32 vcc_lo, exec_lo, s15
	s_cbranch_vccnz .LBB38_56
; %bb.51:
	global_load_u8 v3, v[0:1], off
	s_mov_b32 s16, 0
	s_mov_b32 s15, exec_lo
	s_wait_loadcnt 0x0
	v_cmpx_lt_i16_e32 0x7f, v3
	s_xor_b32 s15, exec_lo, s15
	s_cbranch_execz .LBB38_67
; %bb.52:
	v_cmp_ne_u16_e32 vcc_lo, 0x80, v3
	s_and_b32 s16, vcc_lo, exec_lo
	s_and_not1_saveexec_b32 s15, s15
	s_cbranch_execnz .LBB38_68
.LBB38_53:
	s_or_b32 exec_lo, exec_lo, s15
	v_mov_b32_e32 v2, 0
	s_and_saveexec_b32 s15, s16
	s_cbranch_execz .LBB38_55
.LBB38_54:
	v_and_b32_e32 v2, 0xffff, v3
	s_delay_alu instid0(VALU_DEP_1) | instskip(SKIP_1) | instid1(VALU_DEP_2)
	v_dual_lshlrev_b32 v3, 24, v3 :: v_dual_bitop2_b32 v5, 7, v2 bitop3:0x40
	v_bfe_u32 v8, v2, 3, 4
	v_and_b32_e32 v3, 0x80000000, v3
	s_delay_alu instid0(VALU_DEP_3) | instskip(NEXT) | instid1(VALU_DEP_3)
	v_clz_i32_u32_e32 v6, v5
	v_cmp_eq_u32_e32 vcc_lo, 0, v8
	s_delay_alu instid0(VALU_DEP_2) | instskip(NEXT) | instid1(VALU_DEP_1)
	v_min_u32_e32 v6, 32, v6
	v_subrev_nc_u32_e32 v7, 28, v6
	v_sub_nc_u32_e32 v6, 29, v6
	s_delay_alu instid0(VALU_DEP_2) | instskip(NEXT) | instid1(VALU_DEP_2)
	v_lshlrev_b32_e32 v2, v7, v2
	v_cndmask_b32_e32 v6, v8, v6, vcc_lo
	s_delay_alu instid0(VALU_DEP_2) | instskip(NEXT) | instid1(VALU_DEP_1)
	v_and_b32_e32 v2, 7, v2
	v_cndmask_b32_e32 v2, v5, v2, vcc_lo
	s_delay_alu instid0(VALU_DEP_3) | instskip(NEXT) | instid1(VALU_DEP_2)
	v_lshl_add_u32 v5, v6, 23, 0x3b800000
	v_lshlrev_b32_e32 v2, 20, v2
	s_delay_alu instid0(VALU_DEP_1) | instskip(NEXT) | instid1(VALU_DEP_1)
	v_or3_b32 v2, v3, v5, v2
	v_cvt_i32_f32_e32 v2, v2
.LBB38_55:
	s_or_b32 exec_lo, exec_lo, s15
.LBB38_56:
	s_mov_b32 s15, -1
.LBB38_57:
	s_branch .LBB38_90
.LBB38_58:
	s_cmp_gt_i32 s0, 22
	s_cbranch_scc0 .LBB38_66
; %bb.59:
	s_cmp_lt_i32 s0, 24
	s_cbranch_scc1 .LBB38_69
; %bb.60:
	s_cmp_gt_i32 s0, 24
	s_cbranch_scc0 .LBB38_70
; %bb.61:
	global_load_u8 v3, v[0:1], off
	s_mov_b32 s16, 0
	s_mov_b32 s15, exec_lo
	s_wait_loadcnt 0x0
	v_cmpx_lt_i16_e32 0x7f, v3
	s_xor_b32 s15, exec_lo, s15
	s_cbranch_execz .LBB38_82
; %bb.62:
	v_cmp_ne_u16_e32 vcc_lo, 0x80, v3
	s_and_b32 s16, vcc_lo, exec_lo
	s_and_not1_saveexec_b32 s15, s15
	s_cbranch_execnz .LBB38_83
.LBB38_63:
	s_or_b32 exec_lo, exec_lo, s15
	v_mov_b32_e32 v2, 0
	s_and_saveexec_b32 s15, s16
	s_cbranch_execz .LBB38_65
.LBB38_64:
	v_and_b32_e32 v2, 0xffff, v3
	s_delay_alu instid0(VALU_DEP_1) | instskip(SKIP_1) | instid1(VALU_DEP_2)
	v_dual_lshlrev_b32 v3, 24, v3 :: v_dual_bitop2_b32 v5, 3, v2 bitop3:0x40
	v_bfe_u32 v8, v2, 2, 5
	v_and_b32_e32 v3, 0x80000000, v3
	s_delay_alu instid0(VALU_DEP_3) | instskip(NEXT) | instid1(VALU_DEP_3)
	v_clz_i32_u32_e32 v6, v5
	v_cmp_eq_u32_e32 vcc_lo, 0, v8
	s_delay_alu instid0(VALU_DEP_2) | instskip(NEXT) | instid1(VALU_DEP_1)
	v_min_u32_e32 v6, 32, v6
	v_subrev_nc_u32_e32 v7, 29, v6
	v_sub_nc_u32_e32 v6, 30, v6
	s_delay_alu instid0(VALU_DEP_2) | instskip(NEXT) | instid1(VALU_DEP_2)
	v_lshlrev_b32_e32 v2, v7, v2
	v_cndmask_b32_e32 v6, v8, v6, vcc_lo
	s_delay_alu instid0(VALU_DEP_2) | instskip(NEXT) | instid1(VALU_DEP_1)
	v_and_b32_e32 v2, 3, v2
	v_cndmask_b32_e32 v2, v5, v2, vcc_lo
	s_delay_alu instid0(VALU_DEP_3) | instskip(NEXT) | instid1(VALU_DEP_2)
	v_lshl_add_u32 v5, v6, 23, 0x37800000
	v_lshlrev_b32_e32 v2, 21, v2
	s_delay_alu instid0(VALU_DEP_1) | instskip(NEXT) | instid1(VALU_DEP_1)
	v_or3_b32 v2, v3, v5, v2
	v_cvt_i32_f32_e32 v2, v2
.LBB38_65:
	s_or_b32 exec_lo, exec_lo, s15
	s_mov_b32 s15, 0
	s_branch .LBB38_71
.LBB38_66:
	s_mov_b32 s16, -1
                                        ; implicit-def: $vgpr2
	s_branch .LBB38_77
.LBB38_67:
	s_and_not1_saveexec_b32 s15, s15
	s_cbranch_execz .LBB38_53
.LBB38_68:
	v_cmp_ne_u16_e32 vcc_lo, 0, v3
	s_and_not1_b32 s16, s16, exec_lo
	s_and_b32 s20, vcc_lo, exec_lo
	s_delay_alu instid0(SALU_CYCLE_1)
	s_or_b32 s16, s16, s20
	s_or_b32 exec_lo, exec_lo, s15
	v_mov_b32_e32 v2, 0
	s_and_saveexec_b32 s15, s16
	s_cbranch_execnz .LBB38_54
	s_branch .LBB38_55
.LBB38_69:
	s_mov_b32 s15, -1
                                        ; implicit-def: $vgpr2
	s_branch .LBB38_74
.LBB38_70:
	s_mov_b32 s15, -1
                                        ; implicit-def: $vgpr2
.LBB38_71:
	s_delay_alu instid0(SALU_CYCLE_1)
	s_and_b32 vcc_lo, exec_lo, s15
	s_cbranch_vccz .LBB38_73
; %bb.72:
	s_wait_loadcnt 0x0
	global_load_u8 v2, v[0:1], off
	s_wait_loadcnt 0x0
	v_lshlrev_b32_e32 v2, 24, v2
	s_delay_alu instid0(VALU_DEP_1) | instskip(NEXT) | instid1(VALU_DEP_1)
	v_and_b32_e32 v3, 0x7f000000, v2
	v_clz_i32_u32_e32 v5, v3
	v_add_nc_u32_e32 v7, 0x1000000, v3
	v_cmp_ne_u32_e32 vcc_lo, 0, v3
	s_delay_alu instid0(VALU_DEP_3) | instskip(NEXT) | instid1(VALU_DEP_1)
	v_min_u32_e32 v5, 32, v5
	v_sub_nc_u32_e64 v5, v5, 4 clamp
	s_delay_alu instid0(VALU_DEP_1) | instskip(NEXT) | instid1(VALU_DEP_1)
	v_dual_lshlrev_b32 v6, v5, v3 :: v_dual_lshlrev_b32 v5, 23, v5
	v_lshrrev_b32_e32 v6, 4, v6
	s_delay_alu instid0(VALU_DEP_1) | instskip(NEXT) | instid1(VALU_DEP_1)
	v_dual_sub_nc_u32 v5, v6, v5 :: v_dual_ashrrev_i32 v6, 8, v7
	v_add_nc_u32_e32 v5, 0x3c000000, v5
	s_delay_alu instid0(VALU_DEP_1) | instskip(NEXT) | instid1(VALU_DEP_1)
	v_and_or_b32 v5, 0x7f800000, v6, v5
	v_cndmask_b32_e32 v3, 0, v5, vcc_lo
	s_delay_alu instid0(VALU_DEP_1) | instskip(NEXT) | instid1(VALU_DEP_1)
	v_and_or_b32 v2, 0x80000000, v2, v3
	v_cvt_i32_f32_e32 v2, v2
.LBB38_73:
	s_mov_b32 s15, 0
.LBB38_74:
	s_delay_alu instid0(SALU_CYCLE_1)
	s_and_not1_b32 vcc_lo, exec_lo, s15
	s_cbranch_vccnz .LBB38_76
; %bb.75:
	s_wait_loadcnt 0x0
	global_load_u8 v2, v[0:1], off
	s_wait_loadcnt 0x0
	v_lshlrev_b32_e32 v3, 25, v2
	v_lshlrev_b16 v2, 8, v2
	s_delay_alu instid0(VALU_DEP_2) | instskip(NEXT) | instid1(VALU_DEP_2)
	v_cmp_gt_u32_e32 vcc_lo, 0x8000000, v3
	v_and_or_b32 v6, 0x7f00, v2, 0.5
	v_lshrrev_b32_e32 v5, 4, v3
	v_bfe_i32 v2, v2, 0, 16
	s_delay_alu instid0(VALU_DEP_3) | instskip(NEXT) | instid1(VALU_DEP_3)
	v_add_f32_e32 v6, -0.5, v6
	v_or_b32_e32 v5, 0x70000000, v5
	s_delay_alu instid0(VALU_DEP_1) | instskip(NEXT) | instid1(VALU_DEP_1)
	v_mul_f32_e32 v5, 0x7800000, v5
	v_cndmask_b32_e32 v3, v5, v6, vcc_lo
	s_delay_alu instid0(VALU_DEP_1) | instskip(NEXT) | instid1(VALU_DEP_1)
	v_and_or_b32 v2, 0x80000000, v2, v3
	v_cvt_i32_f32_e32 v2, v2
.LBB38_76:
	s_mov_b32 s16, 0
	s_mov_b32 s15, -1
.LBB38_77:
	s_and_not1_b32 vcc_lo, exec_lo, s16
	s_cbranch_vccnz .LBB38_90
; %bb.78:
	s_cmp_gt_i32 s0, 14
	s_cbranch_scc0 .LBB38_81
; %bb.79:
	s_cmp_eq_u32 s0, 15
	s_cbranch_scc0 .LBB38_84
; %bb.80:
	s_wait_loadcnt 0x0
	global_load_u16 v2, v[0:1], off
	s_mov_b32 s15, -1
	s_mov_b32 s17, 0
	s_wait_loadcnt 0x0
	v_lshlrev_b32_e32 v2, 16, v2
	s_delay_alu instid0(VALU_DEP_1)
	v_cvt_i32_f32_e32 v2, v2
	s_branch .LBB38_85
.LBB38_81:
	s_mov_b32 s16, -1
                                        ; implicit-def: $vgpr2
	s_branch .LBB38_86
.LBB38_82:
	s_and_not1_saveexec_b32 s15, s15
	s_cbranch_execz .LBB38_63
.LBB38_83:
	v_cmp_ne_u16_e32 vcc_lo, 0, v3
	s_and_not1_b32 s16, s16, exec_lo
	s_and_b32 s20, vcc_lo, exec_lo
	s_delay_alu instid0(SALU_CYCLE_1)
	s_or_b32 s16, s16, s20
	s_or_b32 exec_lo, exec_lo, s15
	v_mov_b32_e32 v2, 0
	s_and_saveexec_b32 s15, s16
	s_cbranch_execnz .LBB38_64
	s_branch .LBB38_65
.LBB38_84:
	s_mov_b32 s17, -1
                                        ; implicit-def: $vgpr2
.LBB38_85:
	s_mov_b32 s16, 0
.LBB38_86:
	s_delay_alu instid0(SALU_CYCLE_1)
	s_and_b32 vcc_lo, exec_lo, s16
	s_cbranch_vccz .LBB38_90
; %bb.87:
	s_cmp_eq_u32 s0, 11
	s_cbranch_scc0 .LBB38_89
; %bb.88:
	s_wait_loadcnt 0x0
	global_load_u8 v2, v[0:1], off
	s_mov_b32 s17, 0
	s_mov_b32 s15, -1
	s_wait_loadcnt 0x0
	v_cmp_ne_u16_e32 vcc_lo, 0, v2
	v_cndmask_b32_e64 v2, 0, 1, vcc_lo
	s_branch .LBB38_90
.LBB38_89:
	s_mov_b32 s17, -1
                                        ; implicit-def: $vgpr2
.LBB38_90:
	s_branch .LBB38_10
.LBB38_91:
	s_cmp_lt_i32 s0, 5
	s_cbranch_scc1 .LBB38_96
; %bb.92:
	s_cmp_lt_i32 s0, 8
	s_cbranch_scc1 .LBB38_97
; %bb.93:
	;; [unrolled: 3-line block ×3, first 2 shown]
	s_cmp_gt_i32 s0, 9
	s_cbranch_scc0 .LBB38_99
; %bb.95:
	s_wait_loadcnt 0x0
	global_load_b64 v[2:3], v[0:1], off
	s_mov_b32 s15, 0
	s_wait_loadcnt 0x0
	v_cvt_i32_f64_e32 v2, v[2:3]
	s_branch .LBB38_100
.LBB38_96:
                                        ; implicit-def: $vgpr2
	s_branch .LBB38_118
.LBB38_97:
	s_mov_b32 s15, -1
                                        ; implicit-def: $vgpr2
	s_branch .LBB38_106
.LBB38_98:
	s_mov_b32 s15, -1
                                        ; implicit-def: $vgpr2
	s_branch .LBB38_103
.LBB38_99:
	s_mov_b32 s15, -1
                                        ; implicit-def: $vgpr2
.LBB38_100:
	s_delay_alu instid0(SALU_CYCLE_1)
	s_and_not1_b32 vcc_lo, exec_lo, s15
	s_cbranch_vccnz .LBB38_102
; %bb.101:
	s_wait_loadcnt 0x0
	global_load_b32 v2, v[0:1], off
	s_wait_loadcnt 0x0
	v_cvt_i32_f32_e32 v2, v2
.LBB38_102:
	s_mov_b32 s15, 0
.LBB38_103:
	s_delay_alu instid0(SALU_CYCLE_1)
	s_and_not1_b32 vcc_lo, exec_lo, s15
	s_cbranch_vccnz .LBB38_105
; %bb.104:
	s_wait_loadcnt 0x0
	global_load_b32 v2, v[0:1], off
	s_wait_loadcnt 0x0
	v_cvt_f32_f16_e32 v2, v2
	s_delay_alu instid0(VALU_DEP_1)
	v_cvt_i32_f32_e32 v2, v2
.LBB38_105:
	s_mov_b32 s15, 0
.LBB38_106:
	s_delay_alu instid0(SALU_CYCLE_1)
	s_and_not1_b32 vcc_lo, exec_lo, s15
	s_cbranch_vccnz .LBB38_117
; %bb.107:
	s_cmp_lt_i32 s0, 6
	s_cbranch_scc1 .LBB38_110
; %bb.108:
	s_cmp_gt_i32 s0, 6
	s_cbranch_scc0 .LBB38_111
; %bb.109:
	s_wait_loadcnt 0x0
	global_load_b64 v[2:3], v[0:1], off
	s_mov_b32 s15, 0
	s_wait_loadcnt 0x0
	v_cvt_i32_f64_e32 v2, v[2:3]
	s_branch .LBB38_112
.LBB38_110:
	s_mov_b32 s15, -1
                                        ; implicit-def: $vgpr2
	s_branch .LBB38_115
.LBB38_111:
	s_mov_b32 s15, -1
                                        ; implicit-def: $vgpr2
.LBB38_112:
	s_delay_alu instid0(SALU_CYCLE_1)
	s_and_not1_b32 vcc_lo, exec_lo, s15
	s_cbranch_vccnz .LBB38_114
; %bb.113:
	s_wait_loadcnt 0x0
	global_load_b32 v2, v[0:1], off
	s_wait_loadcnt 0x0
	v_cvt_i32_f32_e32 v2, v2
.LBB38_114:
	s_mov_b32 s15, 0
.LBB38_115:
	s_delay_alu instid0(SALU_CYCLE_1)
	s_and_not1_b32 vcc_lo, exec_lo, s15
	s_cbranch_vccnz .LBB38_117
; %bb.116:
	s_wait_loadcnt 0x0
	global_load_u16 v2, v[0:1], off
	s_wait_loadcnt 0x0
	v_cvt_f32_f16_e32 v2, v2
	s_delay_alu instid0(VALU_DEP_1)
	v_cvt_i32_f32_e32 v2, v2
.LBB38_117:
	s_cbranch_execnz .LBB38_137
.LBB38_118:
	s_cmp_lt_i32 s0, 2
	s_cbranch_scc1 .LBB38_122
; %bb.119:
	s_cmp_lt_i32 s0, 3
	s_cbranch_scc1 .LBB38_123
; %bb.120:
	s_cmp_gt_i32 s0, 3
	s_cbranch_scc0 .LBB38_124
; %bb.121:
	s_wait_loadcnt 0x0
	global_load_b32 v2, v[0:1], off
	s_mov_b32 s15, 0
	s_branch .LBB38_125
.LBB38_122:
	s_mov_b32 s15, -1
                                        ; implicit-def: $vgpr2
	s_branch .LBB38_131
.LBB38_123:
	s_mov_b32 s15, -1
                                        ; implicit-def: $vgpr2
	s_branch .LBB38_128
.LBB38_124:
	s_mov_b32 s15, -1
                                        ; implicit-def: $vgpr2
.LBB38_125:
	s_delay_alu instid0(SALU_CYCLE_1)
	s_and_not1_b32 vcc_lo, exec_lo, s15
	s_cbranch_vccnz .LBB38_127
; %bb.126:
	s_wait_loadcnt 0x0
	global_load_b32 v2, v[0:1], off
.LBB38_127:
	s_mov_b32 s15, 0
.LBB38_128:
	s_delay_alu instid0(SALU_CYCLE_1)
	s_and_not1_b32 vcc_lo, exec_lo, s15
	s_cbranch_vccnz .LBB38_130
; %bb.129:
	s_wait_loadcnt 0x0
	global_load_i16 v2, v[0:1], off
.LBB38_130:
	s_mov_b32 s15, 0
.LBB38_131:
	s_delay_alu instid0(SALU_CYCLE_1)
	s_and_not1_b32 vcc_lo, exec_lo, s15
	s_cbranch_vccnz .LBB38_137
; %bb.132:
	s_cmp_gt_i32 s0, 0
	s_mov_b32 s0, 0
	s_cbranch_scc0 .LBB38_134
; %bb.133:
	s_wait_loadcnt 0x0
	global_load_i8 v2, v[0:1], off
	s_branch .LBB38_135
.LBB38_134:
	s_mov_b32 s0, -1
                                        ; implicit-def: $vgpr2
.LBB38_135:
	s_delay_alu instid0(SALU_CYCLE_1)
	s_and_not1_b32 vcc_lo, exec_lo, s0
	s_cbranch_vccnz .LBB38_137
; %bb.136:
	s_wait_loadcnt 0x0
	global_load_u8 v2, v[0:1], off
.LBB38_137:
	s_branch .LBB38_11
.LBB38_138:
	s_mov_b32 s20, 0
	s_mov_b32 s16, 0
	;; [unrolled: 1-line block ×3, first 2 shown]
                                        ; implicit-def: $vgpr4
	s_branch .LBB38_220
.LBB38_139:
	s_mov_b32 s22, -1
	s_mov_b32 s21, 0
.LBB38_140:
	s_and_b32 vcc_lo, exec_lo, s22
	s_cbranch_vccz .LBB38_143
; %bb.141:
	s_cmp_eq_u32 s20, 44
	s_mov_b32 s15, -1
	s_cbranch_scc0 .LBB38_143
; %bb.142:
	s_wait_xcnt 0x0
	v_mov_b32_e32 v2, 0
	s_mov_b32 s21, -1
	s_mov_b32 s15, 0
	s_mov_b32 s22, 0
	global_store_b8 v[0:1], v2, off
	s_branch .LBB38_144
.LBB38_143:
	s_mov_b32 s22, 0
.LBB38_144:
	s_delay_alu instid0(SALU_CYCLE_1)
	s_and_b32 vcc_lo, exec_lo, s22
	s_cbranch_vccz .LBB38_147
; %bb.145:
	s_cmp_eq_u32 s20, 29
	s_mov_b32 s15, -1
	s_cbranch_scc0 .LBB38_147
; %bb.146:
	s_wait_xcnt 0x0
	v_mov_b64_e32 v[2:3], 0
	s_mov_b32 s21, -1
	s_mov_b32 s15, 0
	s_mov_b32 s22, 0
	global_store_b64 v[0:1], v[2:3], off
	s_branch .LBB38_148
.LBB38_147:
	s_mov_b32 s22, 0
.LBB38_148:
	s_delay_alu instid0(SALU_CYCLE_1)
	s_and_b32 vcc_lo, exec_lo, s22
	s_cbranch_vccz .LBB38_158
; %bb.149:
	s_cmp_lt_i32 s20, 27
	s_mov_b32 s21, -1
	s_cbranch_scc1 .LBB38_155
; %bb.150:
	s_cmp_gt_i32 s20, 27
	s_cbranch_scc0 .LBB38_152
; %bb.151:
	s_wait_xcnt 0x0
	v_mov_b32_e32 v2, 0
	s_mov_b32 s21, 0
	global_store_b32 v[0:1], v2, off
.LBB38_152:
	s_and_not1_b32 vcc_lo, exec_lo, s21
	s_cbranch_vccnz .LBB38_154
; %bb.153:
	s_wait_xcnt 0x0
	v_mov_b32_e32 v2, 0
	global_store_b16 v[0:1], v2, off
.LBB38_154:
	s_mov_b32 s21, 0
.LBB38_155:
	s_delay_alu instid0(SALU_CYCLE_1)
	s_and_not1_b32 vcc_lo, exec_lo, s21
	s_cbranch_vccnz .LBB38_157
; %bb.156:
	s_wait_xcnt 0x0
	v_mov_b32_e32 v2, 0
	global_store_b8 v[0:1], v2, off
.LBB38_157:
	s_mov_b32 s21, -1
.LBB38_158:
	s_mov_b32 s22, 0
.LBB38_159:
	s_delay_alu instid0(SALU_CYCLE_1)
	s_and_b32 vcc_lo, exec_lo, s22
	s_cbranch_vccz .LBB38_178
; %bb.160:
	s_cmp_gt_i32 s20, 22
	s_mov_b32 s22, -1
	s_cbranch_scc0 .LBB38_170
; %bb.161:
	s_cmp_lt_i32 s20, 24
	s_mov_b32 s21, -1
	s_cbranch_scc1 .LBB38_167
; %bb.162:
	s_cmp_gt_i32 s20, 24
	s_cbranch_scc0 .LBB38_164
; %bb.163:
	s_wait_xcnt 0x0
	v_mov_b32_e32 v2, 0
	s_mov_b32 s21, 0
	global_store_b8 v[0:1], v2, off
.LBB38_164:
	s_and_not1_b32 vcc_lo, exec_lo, s21
	s_cbranch_vccnz .LBB38_166
; %bb.165:
	s_wait_xcnt 0x0
	v_mov_b32_e32 v2, 0
	global_store_b8 v[0:1], v2, off
.LBB38_166:
	s_mov_b32 s21, 0
.LBB38_167:
	s_delay_alu instid0(SALU_CYCLE_1)
	s_and_not1_b32 vcc_lo, exec_lo, s21
	s_cbranch_vccnz .LBB38_169
; %bb.168:
	s_wait_xcnt 0x0
	v_mov_b32_e32 v2, 0
	global_store_b8 v[0:1], v2, off
.LBB38_169:
	s_mov_b32 s22, 0
	s_mov_b32 s21, -1
.LBB38_170:
	s_and_not1_b32 vcc_lo, exec_lo, s22
	s_cbranch_vccnz .LBB38_178
; %bb.171:
	s_cmp_gt_i32 s20, 14
	s_mov_b32 s22, -1
	s_cbranch_scc0 .LBB38_175
; %bb.172:
	s_cmp_eq_u32 s20, 15
	s_mov_b32 s15, -1
	s_cbranch_scc0 .LBB38_174
; %bb.173:
	s_wait_xcnt 0x0
	v_mov_b32_e32 v2, 0
	s_mov_b32 s21, -1
	s_mov_b32 s15, 0
	global_store_b16 v[0:1], v2, off
.LBB38_174:
	s_mov_b32 s22, 0
.LBB38_175:
	s_delay_alu instid0(SALU_CYCLE_1)
	s_and_b32 vcc_lo, exec_lo, s22
	s_cbranch_vccz .LBB38_178
; %bb.176:
	s_cmp_eq_u32 s20, 11
	s_mov_b32 s15, -1
	s_cbranch_scc0 .LBB38_178
; %bb.177:
	s_wait_xcnt 0x0
	v_mov_b32_e32 v2, 0
	s_mov_b32 s21, -1
	s_mov_b32 s15, 0
	global_store_b8 v[0:1], v2, off
.LBB38_178:
	s_branch .LBB38_21
.LBB38_179:
	s_and_b32 s16, 0xffff, s16
	s_mov_b32 s20, -1
	s_cmp_lt_i32 s16, 5
	s_cbranch_scc1 .LBB38_200
; %bb.180:
	s_cmp_lt_i32 s16, 8
	s_cbranch_scc1 .LBB38_190
; %bb.181:
	s_cmp_lt_i32 s16, 9
	s_cbranch_scc1 .LBB38_187
; %bb.182:
	s_cmp_gt_i32 s16, 9
	s_cbranch_scc0 .LBB38_184
; %bb.183:
	v_mov_b32_e32 v6, 0
	s_mov_b32 s20, 0
	s_delay_alu instid0(VALU_DEP_1)
	v_dual_mov_b32 v7, v6 :: v_dual_mov_b32 v8, v6
	v_mov_b32_e32 v9, v6
	global_store_b128 v[0:1], v[6:9], off
.LBB38_184:
	s_and_not1_b32 vcc_lo, exec_lo, s20
	s_cbranch_vccnz .LBB38_186
; %bb.185:
	s_wait_xcnt 0x0
	v_mov_b64_e32 v[2:3], 0
	global_store_b64 v[0:1], v[2:3], off
.LBB38_186:
	s_mov_b32 s20, 0
.LBB38_187:
	s_delay_alu instid0(SALU_CYCLE_1)
	s_and_not1_b32 vcc_lo, exec_lo, s20
	s_cbranch_vccnz .LBB38_189
; %bb.188:
	s_wait_xcnt 0x0
	v_mov_b32_e32 v2, 0
	global_store_b32 v[0:1], v2, off
.LBB38_189:
	s_mov_b32 s20, 0
.LBB38_190:
	s_delay_alu instid0(SALU_CYCLE_1)
	s_and_not1_b32 vcc_lo, exec_lo, s20
	s_cbranch_vccnz .LBB38_199
; %bb.191:
	s_cmp_lt_i32 s16, 6
	s_mov_b32 s20, -1
	s_cbranch_scc1 .LBB38_197
; %bb.192:
	s_cmp_gt_i32 s16, 6
	s_cbranch_scc0 .LBB38_194
; %bb.193:
	s_wait_xcnt 0x0
	v_mov_b64_e32 v[2:3], 0
	s_mov_b32 s20, 0
	global_store_b64 v[0:1], v[2:3], off
.LBB38_194:
	s_and_not1_b32 vcc_lo, exec_lo, s20
	s_cbranch_vccnz .LBB38_196
; %bb.195:
	s_wait_xcnt 0x0
	v_mov_b32_e32 v2, 0
	global_store_b32 v[0:1], v2, off
.LBB38_196:
	s_mov_b32 s20, 0
.LBB38_197:
	s_delay_alu instid0(SALU_CYCLE_1)
	s_and_not1_b32 vcc_lo, exec_lo, s20
	s_cbranch_vccnz .LBB38_199
; %bb.198:
	s_wait_xcnt 0x0
	v_mov_b32_e32 v2, 0
	global_store_b16 v[0:1], v2, off
.LBB38_199:
	s_mov_b32 s20, 0
.LBB38_200:
	s_delay_alu instid0(SALU_CYCLE_1)
	s_and_not1_b32 vcc_lo, exec_lo, s20
	s_cbranch_vccnz .LBB38_216
; %bb.201:
	s_cmp_lt_i32 s16, 2
	s_mov_b32 s20, -1
	s_cbranch_scc1 .LBB38_211
; %bb.202:
	s_cmp_lt_i32 s16, 3
	s_cbranch_scc1 .LBB38_208
; %bb.203:
	s_cmp_gt_i32 s16, 3
	s_cbranch_scc0 .LBB38_205
; %bb.204:
	s_wait_xcnt 0x0
	v_mov_b64_e32 v[2:3], 0
	s_mov_b32 s20, 0
	global_store_b64 v[0:1], v[2:3], off
.LBB38_205:
	s_and_not1_b32 vcc_lo, exec_lo, s20
	s_cbranch_vccnz .LBB38_207
; %bb.206:
	s_wait_xcnt 0x0
	v_mov_b32_e32 v2, 0
	global_store_b32 v[0:1], v2, off
.LBB38_207:
	s_mov_b32 s20, 0
.LBB38_208:
	s_delay_alu instid0(SALU_CYCLE_1)
	s_and_not1_b32 vcc_lo, exec_lo, s20
	s_cbranch_vccnz .LBB38_210
; %bb.209:
	s_wait_xcnt 0x0
	v_mov_b32_e32 v2, 0
	global_store_b16 v[0:1], v2, off
.LBB38_210:
	s_mov_b32 s20, 0
.LBB38_211:
	s_delay_alu instid0(SALU_CYCLE_1)
	s_and_not1_b32 vcc_lo, exec_lo, s20
	s_cbranch_vccnz .LBB38_216
; %bb.212:
	s_cmp_gt_i32 s16, 0
	s_mov_b32 s16, -1
	s_cbranch_scc0 .LBB38_214
; %bb.213:
	s_wait_xcnt 0x0
	v_mov_b32_e32 v2, 0
	s_mov_b32 s16, 0
	global_store_b8 v[0:1], v2, off
.LBB38_214:
	s_and_not1_b32 vcc_lo, exec_lo, s16
	s_cbranch_vccnz .LBB38_216
; %bb.215:
	s_wait_xcnt 0x0
	v_mov_b32_e32 v2, 0
	global_store_b8 v[0:1], v2, off
.LBB38_216:
	s_branch .LBB38_22
.LBB38_217:
	s_mov_b32 s20, 0
                                        ; implicit-def: $vgpr4
.LBB38_218:
	s_and_b32 s15, s15, exec_lo
	s_xor_b32 s16, exec_lo, -1
	s_and_b32 s20, s20, exec_lo
.LBB38_219:
	s_wait_xcnt 0x0
	s_or_b32 exec_lo, exec_lo, s0
.LBB38_220:
	s_delay_alu instid0(SALU_CYCLE_1)
	s_and_b32 s15, s15, exec_lo
	s_and_b32 s16, s16, exec_lo
	;; [unrolled: 1-line block ×3, first 2 shown]
	s_or_not1_b32 s21, s20, exec_lo
.LBB38_221:
	s_wait_xcnt 0x0
	s_or_b32 exec_lo, exec_lo, s18
	s_mov_b32 s20, 0
	s_mov_b32 s0, 0
                                        ; implicit-def: $vgpr0_vgpr1
                                        ; implicit-def: $vgpr2
	s_and_saveexec_b32 s18, s21
	s_cbranch_execz .LBB38_230
; %bb.222:
	s_mov_b32 s0, -1
	s_mov_b32 s19, s17
	s_mov_b32 s21, s16
	;; [unrolled: 1-line block ×3, first 2 shown]
	s_mov_b32 s22, exec_lo
	v_cmpx_gt_i32_e64 s13, v4
	s_cbranch_execz .LBB38_448
; %bb.223:
	v_mul_lo_u32 v0, v4, s9
	s_and_b32 s0, 0xffff, s2
	s_delay_alu instid0(SALU_CYCLE_1) | instskip(NEXT) | instid1(VALU_DEP_1)
	s_cmp_lt_i32 s0, 11
	v_ashrrev_i32_e32 v1, 31, v0
	s_delay_alu instid0(VALU_DEP_1)
	v_add_nc_u64_e32 v[0:1], s[6:7], v[0:1]
	s_cbranch_scc1 .LBB38_233
; %bb.224:
	s_cmp_gt_i32 s0, 25
	s_cbranch_scc0 .LBB38_243
; %bb.225:
	s_cmp_gt_i32 s0, 28
	s_cbranch_scc0 .LBB38_245
	;; [unrolled: 3-line block ×4, first 2 shown]
; %bb.228:
	s_cmp_eq_u32 s0, 46
	s_mov_b32 s21, 0
	s_cbranch_scc0 .LBB38_251
; %bb.229:
	s_wait_loadcnt 0x0
	global_load_b32 v2, v[0:1], off
	s_mov_b32 s20, -1
	s_mov_b32 s19, 0
	s_wait_loadcnt 0x0
	v_lshlrev_b32_e32 v2, 16, v2
	s_delay_alu instid0(VALU_DEP_1)
	v_cvt_i32_f32_e32 v2, v2
	s_branch .LBB38_253
.LBB38_230:
	s_or_b32 exec_lo, exec_lo, s18
	s_mov_b32 s13, 0
	s_and_saveexec_b32 s18, s17
	s_cbranch_execnz .LBB38_752
.LBB38_231:
	s_or_b32 exec_lo, exec_lo, s18
	s_and_saveexec_b32 s17, s19
	s_delay_alu instid0(SALU_CYCLE_1)
	s_xor_b32 s17, exec_lo, s17
	s_cbranch_execz .LBB38_753
.LBB38_232:
	s_wait_loadcnt 0x0
	global_load_u8 v2, v[0:1], off
	s_or_b32 s0, s0, exec_lo
	s_wait_loadcnt 0x0
	v_cmp_ne_u16_e32 vcc_lo, 0, v2
	v_cndmask_b32_e64 v2, 0, 1, vcc_lo
	s_wait_xcnt 0x0
	s_or_b32 exec_lo, exec_lo, s17
	s_and_saveexec_b32 s17, s20
	s_cbranch_execz .LBB38_799
	s_branch .LBB38_754
.LBB38_233:
	s_mov_b32 s20, 0
	s_mov_b32 s19, s17
                                        ; implicit-def: $vgpr2
	s_cbranch_execnz .LBB38_314
.LBB38_234:
	s_and_not1_b32 vcc_lo, exec_lo, s20
	s_cbranch_vccnz .LBB38_362
.LBB38_235:
	s_wait_loadcnt 0x0
	s_delay_alu instid0(VALU_DEP_1)
	v_cmp_le_i32_e32 vcc_lo, s10, v2
	v_cmp_gt_i32_e64 s0, s12, v2
	s_mov_b32 s23, 0
	s_mov_b32 s21, -1
	s_mov_b32 s20, s15
	s_and_b32 s0, vcc_lo, s0
	s_delay_alu instid0(SALU_CYCLE_1)
	s_and_b32 s24, s11, s0
	s_wait_xcnt 0x0
	s_and_saveexec_b32 s0, s24
	s_cbranch_execz .LBB38_446
; %bb.236:
	v_mul_lo_u32 v0, v4, s8
	s_and_b32 s21, s14, 0xff
	s_delay_alu instid0(SALU_CYCLE_1) | instskip(NEXT) | instid1(VALU_DEP_1)
	s_cmp_lt_i32 s21, 11
	v_ashrrev_i32_e32 v1, 31, v0
	s_delay_alu instid0(VALU_DEP_1)
	v_add_nc_u64_e32 v[0:1], s[4:5], v[0:1]
	s_cbranch_scc1 .LBB38_244
; %bb.237:
	s_and_b32 s23, 0xffff, s21
	s_delay_alu instid0(SALU_CYCLE_1)
	s_cmp_gt_i32 s23, 25
	s_cbranch_scc0 .LBB38_246
; %bb.238:
	s_cmp_gt_i32 s23, 28
	s_cbranch_scc0 .LBB38_248
; %bb.239:
	;; [unrolled: 3-line block ×4, first 2 shown]
	s_mov_b32 s25, 0
	s_mov_b32 s20, -1
	s_cmp_eq_u32 s23, 46
	s_mov_b32 s24, 0
	s_cbranch_scc0 .LBB38_364
; %bb.242:
	v_mov_b32_e32 v2, 0
	s_mov_b32 s24, -1
	s_mov_b32 s20, 0
	global_store_b32 v[0:1], v2, off
	s_branch .LBB38_364
.LBB38_243:
	s_mov_b32 s21, -1
	s_mov_b32 s20, 0
	s_mov_b32 s19, s17
                                        ; implicit-def: $vgpr2
	s_branch .LBB38_280
.LBB38_244:
	s_mov_b32 s23, -1
	s_mov_b32 s24, 0
	s_mov_b32 s20, s15
	s_branch .LBB38_403
.LBB38_245:
	s_mov_b32 s21, -1
	s_mov_b32 s20, 0
	s_mov_b32 s19, s17
                                        ; implicit-def: $vgpr2
	s_branch .LBB38_263
.LBB38_246:
	s_mov_b32 s25, -1
	s_mov_b32 s24, 0
	s_mov_b32 s20, s15
	s_branch .LBB38_383
.LBB38_247:
	s_mov_b32 s21, -1
	s_mov_b32 s20, 0
	s_mov_b32 s19, s17
                                        ; implicit-def: $vgpr2
	s_branch .LBB38_258
.LBB38_248:
	s_mov_b32 s25, -1
	s_mov_b32 s24, 0
	s_mov_b32 s20, s15
	s_branch .LBB38_372
.LBB38_249:
	s_mov_b32 s21, -1
	s_mov_b32 s20, 0
	s_mov_b32 s19, s17
	s_branch .LBB38_252
.LBB38_250:
	s_mov_b32 s25, -1
	s_mov_b32 s24, 0
	s_mov_b32 s20, s15
	s_branch .LBB38_368
.LBB38_251:
	s_mov_b32 s19, -1
	s_mov_b32 s20, 0
.LBB38_252:
                                        ; implicit-def: $vgpr2
.LBB38_253:
	s_and_b32 vcc_lo, exec_lo, s21
	s_cbranch_vccz .LBB38_257
; %bb.254:
	s_cmp_eq_u32 s0, 44
	s_cbranch_scc0 .LBB38_256
; %bb.255:
	s_wait_loadcnt 0x0
	global_load_u8 v2, v[0:1], off
	s_mov_b32 s19, 0
	s_mov_b32 s20, -1
	s_wait_loadcnt 0x0
	v_lshlrev_b32_e32 v3, 23, v2
	v_cmp_ne_u32_e32 vcc_lo, 0, v2
	s_delay_alu instid0(VALU_DEP_2) | instskip(NEXT) | instid1(VALU_DEP_1)
	v_cvt_i32_f32_e32 v3, v3
	v_cndmask_b32_e32 v2, 0, v3, vcc_lo
	s_branch .LBB38_257
.LBB38_256:
	s_mov_b32 s19, -1
                                        ; implicit-def: $vgpr2
.LBB38_257:
	s_mov_b32 s21, 0
.LBB38_258:
	s_delay_alu instid0(SALU_CYCLE_1)
	s_and_b32 vcc_lo, exec_lo, s21
	s_cbranch_vccz .LBB38_262
; %bb.259:
	s_cmp_eq_u32 s0, 29
	s_cbranch_scc0 .LBB38_261
; %bb.260:
	s_wait_loadcnt 0x0
	global_load_b32 v2, v[0:1], off
	s_mov_b32 s20, -1
	s_mov_b32 s19, 0
	s_branch .LBB38_262
.LBB38_261:
	s_mov_b32 s19, -1
                                        ; implicit-def: $vgpr2
.LBB38_262:
	s_mov_b32 s21, 0
.LBB38_263:
	s_delay_alu instid0(SALU_CYCLE_1)
	s_and_b32 vcc_lo, exec_lo, s21
	s_cbranch_vccz .LBB38_279
; %bb.264:
	s_cmp_lt_i32 s0, 27
	s_cbranch_scc1 .LBB38_267
; %bb.265:
	s_cmp_gt_i32 s0, 27
	s_cbranch_scc0 .LBB38_268
; %bb.266:
	s_wait_loadcnt 0x0
	global_load_b32 v2, v[0:1], off
	s_mov_b32 s20, 0
	s_branch .LBB38_269
.LBB38_267:
	s_mov_b32 s20, -1
                                        ; implicit-def: $vgpr2
	s_branch .LBB38_272
.LBB38_268:
	s_mov_b32 s20, -1
                                        ; implicit-def: $vgpr2
.LBB38_269:
	s_delay_alu instid0(SALU_CYCLE_1)
	s_and_not1_b32 vcc_lo, exec_lo, s20
	s_cbranch_vccnz .LBB38_271
; %bb.270:
	s_wait_loadcnt 0x0
	global_load_u16 v2, v[0:1], off
.LBB38_271:
	s_mov_b32 s20, 0
.LBB38_272:
	s_delay_alu instid0(SALU_CYCLE_1)
	s_and_not1_b32 vcc_lo, exec_lo, s20
	s_cbranch_vccnz .LBB38_278
; %bb.273:
	global_load_u8 v3, v[0:1], off
	s_mov_b32 s21, 0
	s_mov_b32 s20, exec_lo
	s_wait_loadcnt 0x0
	v_cmpx_lt_i16_e32 0x7f, v3
	s_xor_b32 s20, exec_lo, s20
	s_cbranch_execz .LBB38_290
; %bb.274:
	v_cmp_ne_u16_e32 vcc_lo, 0x80, v3
	s_and_b32 s21, vcc_lo, exec_lo
	s_and_not1_saveexec_b32 s20, s20
	s_cbranch_execnz .LBB38_291
.LBB38_275:
	s_or_b32 exec_lo, exec_lo, s20
	v_mov_b32_e32 v2, 0
	s_and_saveexec_b32 s20, s21
	s_cbranch_execz .LBB38_277
.LBB38_276:
	v_and_b32_e32 v2, 0xffff, v3
	s_delay_alu instid0(VALU_DEP_1) | instskip(SKIP_1) | instid1(VALU_DEP_2)
	v_dual_lshlrev_b32 v3, 24, v3 :: v_dual_bitop2_b32 v5, 7, v2 bitop3:0x40
	v_bfe_u32 v8, v2, 3, 4
	v_and_b32_e32 v3, 0x80000000, v3
	s_delay_alu instid0(VALU_DEP_3) | instskip(NEXT) | instid1(VALU_DEP_3)
	v_clz_i32_u32_e32 v6, v5
	v_cmp_eq_u32_e32 vcc_lo, 0, v8
	s_delay_alu instid0(VALU_DEP_2) | instskip(NEXT) | instid1(VALU_DEP_1)
	v_min_u32_e32 v6, 32, v6
	v_subrev_nc_u32_e32 v7, 28, v6
	v_sub_nc_u32_e32 v6, 29, v6
	s_delay_alu instid0(VALU_DEP_2) | instskip(NEXT) | instid1(VALU_DEP_2)
	v_lshlrev_b32_e32 v2, v7, v2
	v_cndmask_b32_e32 v6, v8, v6, vcc_lo
	s_delay_alu instid0(VALU_DEP_2) | instskip(NEXT) | instid1(VALU_DEP_1)
	v_and_b32_e32 v2, 7, v2
	v_cndmask_b32_e32 v2, v5, v2, vcc_lo
	s_delay_alu instid0(VALU_DEP_3) | instskip(NEXT) | instid1(VALU_DEP_2)
	v_lshl_add_u32 v5, v6, 23, 0x3b800000
	v_lshlrev_b32_e32 v2, 20, v2
	s_delay_alu instid0(VALU_DEP_1) | instskip(NEXT) | instid1(VALU_DEP_1)
	v_or3_b32 v2, v3, v5, v2
	v_cvt_i32_f32_e32 v2, v2
.LBB38_277:
	s_or_b32 exec_lo, exec_lo, s20
.LBB38_278:
	s_mov_b32 s20, -1
.LBB38_279:
	s_mov_b32 s21, 0
.LBB38_280:
	s_delay_alu instid0(SALU_CYCLE_1)
	s_and_b32 vcc_lo, exec_lo, s21
	s_cbranch_vccz .LBB38_313
; %bb.281:
	s_cmp_gt_i32 s0, 22
	s_cbranch_scc0 .LBB38_289
; %bb.282:
	s_cmp_lt_i32 s0, 24
	s_cbranch_scc1 .LBB38_292
; %bb.283:
	s_cmp_gt_i32 s0, 24
	s_cbranch_scc0 .LBB38_293
; %bb.284:
	global_load_u8 v3, v[0:1], off
	s_mov_b32 s21, 0
	s_mov_b32 s20, exec_lo
	s_wait_loadcnt 0x0
	v_cmpx_lt_i16_e32 0x7f, v3
	s_xor_b32 s20, exec_lo, s20
	s_cbranch_execz .LBB38_305
; %bb.285:
	v_cmp_ne_u16_e32 vcc_lo, 0x80, v3
	s_and_b32 s21, vcc_lo, exec_lo
	s_and_not1_saveexec_b32 s20, s20
	s_cbranch_execnz .LBB38_306
.LBB38_286:
	s_or_b32 exec_lo, exec_lo, s20
	v_mov_b32_e32 v2, 0
	s_and_saveexec_b32 s20, s21
	s_cbranch_execz .LBB38_288
.LBB38_287:
	v_and_b32_e32 v2, 0xffff, v3
	s_delay_alu instid0(VALU_DEP_1) | instskip(SKIP_1) | instid1(VALU_DEP_2)
	v_dual_lshlrev_b32 v3, 24, v3 :: v_dual_bitop2_b32 v5, 3, v2 bitop3:0x40
	v_bfe_u32 v8, v2, 2, 5
	v_and_b32_e32 v3, 0x80000000, v3
	s_delay_alu instid0(VALU_DEP_3) | instskip(NEXT) | instid1(VALU_DEP_3)
	v_clz_i32_u32_e32 v6, v5
	v_cmp_eq_u32_e32 vcc_lo, 0, v8
	s_delay_alu instid0(VALU_DEP_2) | instskip(NEXT) | instid1(VALU_DEP_1)
	v_min_u32_e32 v6, 32, v6
	v_subrev_nc_u32_e32 v7, 29, v6
	v_sub_nc_u32_e32 v6, 30, v6
	s_delay_alu instid0(VALU_DEP_2) | instskip(NEXT) | instid1(VALU_DEP_2)
	v_lshlrev_b32_e32 v2, v7, v2
	v_cndmask_b32_e32 v6, v8, v6, vcc_lo
	s_delay_alu instid0(VALU_DEP_2) | instskip(NEXT) | instid1(VALU_DEP_1)
	v_and_b32_e32 v2, 3, v2
	v_cndmask_b32_e32 v2, v5, v2, vcc_lo
	s_delay_alu instid0(VALU_DEP_3) | instskip(NEXT) | instid1(VALU_DEP_2)
	v_lshl_add_u32 v5, v6, 23, 0x37800000
	v_lshlrev_b32_e32 v2, 21, v2
	s_delay_alu instid0(VALU_DEP_1) | instskip(NEXT) | instid1(VALU_DEP_1)
	v_or3_b32 v2, v3, v5, v2
	v_cvt_i32_f32_e32 v2, v2
.LBB38_288:
	s_or_b32 exec_lo, exec_lo, s20
	s_mov_b32 s20, 0
	s_branch .LBB38_294
.LBB38_289:
	s_mov_b32 s21, -1
                                        ; implicit-def: $vgpr2
	s_branch .LBB38_300
.LBB38_290:
	s_and_not1_saveexec_b32 s20, s20
	s_cbranch_execz .LBB38_275
.LBB38_291:
	v_cmp_ne_u16_e32 vcc_lo, 0, v3
	s_and_not1_b32 s21, s21, exec_lo
	s_and_b32 s23, vcc_lo, exec_lo
	s_delay_alu instid0(SALU_CYCLE_1)
	s_or_b32 s21, s21, s23
	s_or_b32 exec_lo, exec_lo, s20
	v_mov_b32_e32 v2, 0
	s_and_saveexec_b32 s20, s21
	s_cbranch_execnz .LBB38_276
	s_branch .LBB38_277
.LBB38_292:
	s_mov_b32 s20, -1
                                        ; implicit-def: $vgpr2
	s_branch .LBB38_297
.LBB38_293:
	s_mov_b32 s20, -1
                                        ; implicit-def: $vgpr2
.LBB38_294:
	s_delay_alu instid0(SALU_CYCLE_1)
	s_and_b32 vcc_lo, exec_lo, s20
	s_cbranch_vccz .LBB38_296
; %bb.295:
	s_wait_loadcnt 0x0
	global_load_u8 v2, v[0:1], off
	s_wait_loadcnt 0x0
	v_lshlrev_b32_e32 v2, 24, v2
	s_delay_alu instid0(VALU_DEP_1) | instskip(NEXT) | instid1(VALU_DEP_1)
	v_and_b32_e32 v3, 0x7f000000, v2
	v_clz_i32_u32_e32 v5, v3
	v_add_nc_u32_e32 v7, 0x1000000, v3
	v_cmp_ne_u32_e32 vcc_lo, 0, v3
	s_delay_alu instid0(VALU_DEP_3) | instskip(NEXT) | instid1(VALU_DEP_1)
	v_min_u32_e32 v5, 32, v5
	v_sub_nc_u32_e64 v5, v5, 4 clamp
	s_delay_alu instid0(VALU_DEP_1) | instskip(NEXT) | instid1(VALU_DEP_1)
	v_dual_lshlrev_b32 v6, v5, v3 :: v_dual_lshlrev_b32 v5, 23, v5
	v_lshrrev_b32_e32 v6, 4, v6
	s_delay_alu instid0(VALU_DEP_1) | instskip(NEXT) | instid1(VALU_DEP_1)
	v_dual_sub_nc_u32 v5, v6, v5 :: v_dual_ashrrev_i32 v6, 8, v7
	v_add_nc_u32_e32 v5, 0x3c000000, v5
	s_delay_alu instid0(VALU_DEP_1) | instskip(NEXT) | instid1(VALU_DEP_1)
	v_and_or_b32 v5, 0x7f800000, v6, v5
	v_cndmask_b32_e32 v3, 0, v5, vcc_lo
	s_delay_alu instid0(VALU_DEP_1) | instskip(NEXT) | instid1(VALU_DEP_1)
	v_and_or_b32 v2, 0x80000000, v2, v3
	v_cvt_i32_f32_e32 v2, v2
.LBB38_296:
	s_mov_b32 s20, 0
.LBB38_297:
	s_delay_alu instid0(SALU_CYCLE_1)
	s_and_not1_b32 vcc_lo, exec_lo, s20
	s_cbranch_vccnz .LBB38_299
; %bb.298:
	s_wait_loadcnt 0x0
	global_load_u8 v2, v[0:1], off
	s_wait_loadcnt 0x0
	v_lshlrev_b32_e32 v3, 25, v2
	v_lshlrev_b16 v2, 8, v2
	s_delay_alu instid0(VALU_DEP_2) | instskip(NEXT) | instid1(VALU_DEP_2)
	v_cmp_gt_u32_e32 vcc_lo, 0x8000000, v3
	v_and_or_b32 v6, 0x7f00, v2, 0.5
	v_lshrrev_b32_e32 v5, 4, v3
	v_bfe_i32 v2, v2, 0, 16
	s_delay_alu instid0(VALU_DEP_3) | instskip(NEXT) | instid1(VALU_DEP_3)
	v_add_f32_e32 v6, -0.5, v6
	v_or_b32_e32 v5, 0x70000000, v5
	s_delay_alu instid0(VALU_DEP_1) | instskip(NEXT) | instid1(VALU_DEP_1)
	v_mul_f32_e32 v5, 0x7800000, v5
	v_cndmask_b32_e32 v3, v5, v6, vcc_lo
	s_delay_alu instid0(VALU_DEP_1) | instskip(NEXT) | instid1(VALU_DEP_1)
	v_and_or_b32 v2, 0x80000000, v2, v3
	v_cvt_i32_f32_e32 v2, v2
.LBB38_299:
	s_mov_b32 s21, 0
	s_mov_b32 s20, -1
.LBB38_300:
	s_and_not1_b32 vcc_lo, exec_lo, s21
	s_cbranch_vccnz .LBB38_313
; %bb.301:
	s_cmp_gt_i32 s0, 14
	s_cbranch_scc0 .LBB38_304
; %bb.302:
	s_cmp_eq_u32 s0, 15
	s_cbranch_scc0 .LBB38_307
; %bb.303:
	s_wait_loadcnt 0x0
	global_load_u16 v2, v[0:1], off
	s_mov_b32 s20, -1
	s_mov_b32 s19, 0
	s_wait_loadcnt 0x0
	v_lshlrev_b32_e32 v2, 16, v2
	s_delay_alu instid0(VALU_DEP_1)
	v_cvt_i32_f32_e32 v2, v2
	s_branch .LBB38_308
.LBB38_304:
	s_mov_b32 s21, -1
                                        ; implicit-def: $vgpr2
	s_branch .LBB38_309
.LBB38_305:
	s_and_not1_saveexec_b32 s20, s20
	s_cbranch_execz .LBB38_286
.LBB38_306:
	v_cmp_ne_u16_e32 vcc_lo, 0, v3
	s_and_not1_b32 s21, s21, exec_lo
	s_and_b32 s23, vcc_lo, exec_lo
	s_delay_alu instid0(SALU_CYCLE_1)
	s_or_b32 s21, s21, s23
	s_or_b32 exec_lo, exec_lo, s20
	v_mov_b32_e32 v2, 0
	s_and_saveexec_b32 s20, s21
	s_cbranch_execnz .LBB38_287
	s_branch .LBB38_288
.LBB38_307:
	s_mov_b32 s19, -1
                                        ; implicit-def: $vgpr2
.LBB38_308:
	s_mov_b32 s21, 0
.LBB38_309:
	s_delay_alu instid0(SALU_CYCLE_1)
	s_and_b32 vcc_lo, exec_lo, s21
	s_cbranch_vccz .LBB38_313
; %bb.310:
	s_cmp_eq_u32 s0, 11
	s_cbranch_scc0 .LBB38_312
; %bb.311:
	s_wait_loadcnt 0x0
	global_load_u8 v2, v[0:1], off
	s_mov_b32 s19, 0
	s_mov_b32 s20, -1
	s_wait_loadcnt 0x0
	v_cmp_ne_u16_e32 vcc_lo, 0, v2
	v_cndmask_b32_e64 v2, 0, 1, vcc_lo
	s_branch .LBB38_313
.LBB38_312:
	s_mov_b32 s19, -1
                                        ; implicit-def: $vgpr2
.LBB38_313:
	s_branch .LBB38_234
.LBB38_314:
	s_cmp_lt_i32 s0, 5
	s_cbranch_scc1 .LBB38_319
; %bb.315:
	s_cmp_lt_i32 s0, 8
	s_cbranch_scc1 .LBB38_320
; %bb.316:
	;; [unrolled: 3-line block ×3, first 2 shown]
	s_cmp_gt_i32 s0, 9
	s_cbranch_scc0 .LBB38_322
; %bb.318:
	s_wait_loadcnt 0x0
	global_load_b64 v[2:3], v[0:1], off
	s_mov_b32 s20, 0
	s_wait_loadcnt 0x0
	v_cvt_i32_f64_e32 v2, v[2:3]
	s_branch .LBB38_323
.LBB38_319:
	s_mov_b32 s20, -1
                                        ; implicit-def: $vgpr2
	s_branch .LBB38_341
.LBB38_320:
	s_mov_b32 s20, -1
                                        ; implicit-def: $vgpr2
	s_branch .LBB38_329
.LBB38_321:
	s_mov_b32 s20, -1
                                        ; implicit-def: $vgpr2
	s_branch .LBB38_326
.LBB38_322:
	s_mov_b32 s20, -1
                                        ; implicit-def: $vgpr2
.LBB38_323:
	s_delay_alu instid0(SALU_CYCLE_1)
	s_and_not1_b32 vcc_lo, exec_lo, s20
	s_cbranch_vccnz .LBB38_325
; %bb.324:
	s_wait_loadcnt 0x0
	global_load_b32 v2, v[0:1], off
	s_wait_loadcnt 0x0
	v_cvt_i32_f32_e32 v2, v2
.LBB38_325:
	s_mov_b32 s20, 0
.LBB38_326:
	s_delay_alu instid0(SALU_CYCLE_1)
	s_and_not1_b32 vcc_lo, exec_lo, s20
	s_cbranch_vccnz .LBB38_328
; %bb.327:
	s_wait_loadcnt 0x0
	global_load_b32 v2, v[0:1], off
	s_wait_loadcnt 0x0
	v_cvt_f32_f16_e32 v2, v2
	s_delay_alu instid0(VALU_DEP_1)
	v_cvt_i32_f32_e32 v2, v2
.LBB38_328:
	s_mov_b32 s20, 0
.LBB38_329:
	s_delay_alu instid0(SALU_CYCLE_1)
	s_and_not1_b32 vcc_lo, exec_lo, s20
	s_cbranch_vccnz .LBB38_340
; %bb.330:
	s_cmp_lt_i32 s0, 6
	s_cbranch_scc1 .LBB38_333
; %bb.331:
	s_cmp_gt_i32 s0, 6
	s_cbranch_scc0 .LBB38_334
; %bb.332:
	s_wait_loadcnt 0x0
	global_load_b64 v[2:3], v[0:1], off
	s_mov_b32 s20, 0
	s_wait_loadcnt 0x0
	v_cvt_i32_f64_e32 v2, v[2:3]
	s_branch .LBB38_335
.LBB38_333:
	s_mov_b32 s20, -1
                                        ; implicit-def: $vgpr2
	s_branch .LBB38_338
.LBB38_334:
	s_mov_b32 s20, -1
                                        ; implicit-def: $vgpr2
.LBB38_335:
	s_delay_alu instid0(SALU_CYCLE_1)
	s_and_not1_b32 vcc_lo, exec_lo, s20
	s_cbranch_vccnz .LBB38_337
; %bb.336:
	s_wait_loadcnt 0x0
	global_load_b32 v2, v[0:1], off
	s_wait_loadcnt 0x0
	v_cvt_i32_f32_e32 v2, v2
.LBB38_337:
	s_mov_b32 s20, 0
.LBB38_338:
	s_delay_alu instid0(SALU_CYCLE_1)
	s_and_not1_b32 vcc_lo, exec_lo, s20
	s_cbranch_vccnz .LBB38_340
; %bb.339:
	s_wait_loadcnt 0x0
	global_load_u16 v2, v[0:1], off
	s_wait_loadcnt 0x0
	v_cvt_f32_f16_e32 v2, v2
	s_delay_alu instid0(VALU_DEP_1)
	v_cvt_i32_f32_e32 v2, v2
.LBB38_340:
	s_mov_b32 s20, 0
.LBB38_341:
	s_delay_alu instid0(SALU_CYCLE_1)
	s_and_not1_b32 vcc_lo, exec_lo, s20
	s_cbranch_vccnz .LBB38_361
; %bb.342:
	s_cmp_lt_i32 s0, 2
	s_cbranch_scc1 .LBB38_346
; %bb.343:
	s_cmp_lt_i32 s0, 3
	s_cbranch_scc1 .LBB38_347
; %bb.344:
	s_cmp_gt_i32 s0, 3
	s_cbranch_scc0 .LBB38_348
; %bb.345:
	s_wait_loadcnt 0x0
	global_load_b32 v2, v[0:1], off
	s_mov_b32 s20, 0
	s_branch .LBB38_349
.LBB38_346:
	s_mov_b32 s20, -1
                                        ; implicit-def: $vgpr2
	s_branch .LBB38_355
.LBB38_347:
	s_mov_b32 s20, -1
                                        ; implicit-def: $vgpr2
	s_branch .LBB38_352
.LBB38_348:
	s_mov_b32 s20, -1
                                        ; implicit-def: $vgpr2
.LBB38_349:
	s_delay_alu instid0(SALU_CYCLE_1)
	s_and_not1_b32 vcc_lo, exec_lo, s20
	s_cbranch_vccnz .LBB38_351
; %bb.350:
	s_wait_loadcnt 0x0
	global_load_b32 v2, v[0:1], off
.LBB38_351:
	s_mov_b32 s20, 0
.LBB38_352:
	s_delay_alu instid0(SALU_CYCLE_1)
	s_and_not1_b32 vcc_lo, exec_lo, s20
	s_cbranch_vccnz .LBB38_354
; %bb.353:
	s_wait_loadcnt 0x0
	global_load_i16 v2, v[0:1], off
.LBB38_354:
	s_mov_b32 s20, 0
.LBB38_355:
	s_delay_alu instid0(SALU_CYCLE_1)
	s_and_not1_b32 vcc_lo, exec_lo, s20
	s_cbranch_vccnz .LBB38_361
; %bb.356:
	s_cmp_gt_i32 s0, 0
	s_mov_b32 s0, 0
	s_cbranch_scc0 .LBB38_358
; %bb.357:
	s_wait_loadcnt 0x0
	global_load_i8 v2, v[0:1], off
	s_branch .LBB38_359
.LBB38_358:
	s_mov_b32 s0, -1
                                        ; implicit-def: $vgpr2
.LBB38_359:
	s_delay_alu instid0(SALU_CYCLE_1)
	s_and_not1_b32 vcc_lo, exec_lo, s0
	s_cbranch_vccnz .LBB38_361
; %bb.360:
	s_wait_loadcnt 0x0
	global_load_u8 v2, v[0:1], off
.LBB38_361:
	s_branch .LBB38_235
.LBB38_362:
	s_mov_b32 s23, 0
	s_mov_b32 s20, s15
	;; [unrolled: 1-line block ×3, first 2 shown]
                                        ; implicit-def: $vgpr4
	s_branch .LBB38_447
.LBB38_363:
	s_mov_b32 s25, -1
	s_mov_b32 s24, 0
	s_mov_b32 s20, s15
.LBB38_364:
	s_and_b32 vcc_lo, exec_lo, s25
	s_cbranch_vccz .LBB38_367
; %bb.365:
	s_cmp_eq_u32 s23, 44
	s_mov_b32 s20, -1
	s_cbranch_scc0 .LBB38_367
; %bb.366:
	s_wait_xcnt 0x0
	v_mov_b32_e32 v2, 0
	s_mov_b32 s24, -1
	s_mov_b32 s20, 0
	global_store_b8 v[0:1], v2, off
.LBB38_367:
	s_mov_b32 s25, 0
.LBB38_368:
	s_delay_alu instid0(SALU_CYCLE_1)
	s_and_b32 vcc_lo, exec_lo, s25
	s_cbranch_vccz .LBB38_371
; %bb.369:
	s_cmp_eq_u32 s23, 29
	s_mov_b32 s20, -1
	s_cbranch_scc0 .LBB38_371
; %bb.370:
	s_wait_xcnt 0x0
	v_mov_b64_e32 v[2:3], 0
	s_mov_b32 s24, -1
	s_mov_b32 s20, 0
	s_mov_b32 s25, 0
	global_store_b64 v[0:1], v[2:3], off
	s_branch .LBB38_372
.LBB38_371:
	s_mov_b32 s25, 0
.LBB38_372:
	s_delay_alu instid0(SALU_CYCLE_1)
	s_and_b32 vcc_lo, exec_lo, s25
	s_cbranch_vccz .LBB38_382
; %bb.373:
	s_cmp_lt_i32 s23, 27
	s_mov_b32 s24, -1
	s_cbranch_scc1 .LBB38_379
; %bb.374:
	s_cmp_gt_i32 s23, 27
	s_cbranch_scc0 .LBB38_376
; %bb.375:
	s_wait_xcnt 0x0
	v_mov_b32_e32 v2, 0
	s_mov_b32 s24, 0
	global_store_b32 v[0:1], v2, off
.LBB38_376:
	s_and_not1_b32 vcc_lo, exec_lo, s24
	s_cbranch_vccnz .LBB38_378
; %bb.377:
	s_wait_xcnt 0x0
	v_mov_b32_e32 v2, 0
	global_store_b16 v[0:1], v2, off
.LBB38_378:
	s_mov_b32 s24, 0
.LBB38_379:
	s_delay_alu instid0(SALU_CYCLE_1)
	s_and_not1_b32 vcc_lo, exec_lo, s24
	s_cbranch_vccnz .LBB38_381
; %bb.380:
	s_wait_xcnt 0x0
	v_mov_b32_e32 v2, 0
	global_store_b8 v[0:1], v2, off
.LBB38_381:
	s_mov_b32 s24, -1
.LBB38_382:
	s_mov_b32 s25, 0
.LBB38_383:
	s_delay_alu instid0(SALU_CYCLE_1)
	s_and_b32 vcc_lo, exec_lo, s25
	s_cbranch_vccz .LBB38_402
; %bb.384:
	s_cmp_gt_i32 s23, 22
	s_mov_b32 s25, -1
	s_cbranch_scc0 .LBB38_394
; %bb.385:
	s_cmp_lt_i32 s23, 24
	s_mov_b32 s24, -1
	s_cbranch_scc1 .LBB38_391
; %bb.386:
	s_cmp_gt_i32 s23, 24
	s_cbranch_scc0 .LBB38_388
; %bb.387:
	s_wait_xcnt 0x0
	v_mov_b32_e32 v2, 0
	s_mov_b32 s24, 0
	global_store_b8 v[0:1], v2, off
.LBB38_388:
	s_and_not1_b32 vcc_lo, exec_lo, s24
	s_cbranch_vccnz .LBB38_390
; %bb.389:
	s_wait_xcnt 0x0
	v_mov_b32_e32 v2, 0
	global_store_b8 v[0:1], v2, off
.LBB38_390:
	s_mov_b32 s24, 0
.LBB38_391:
	s_delay_alu instid0(SALU_CYCLE_1)
	s_and_not1_b32 vcc_lo, exec_lo, s24
	s_cbranch_vccnz .LBB38_393
; %bb.392:
	s_wait_xcnt 0x0
	v_mov_b32_e32 v2, 0
	global_store_b8 v[0:1], v2, off
.LBB38_393:
	s_mov_b32 s25, 0
	s_mov_b32 s24, -1
.LBB38_394:
	s_and_not1_b32 vcc_lo, exec_lo, s25
	s_cbranch_vccnz .LBB38_402
; %bb.395:
	s_cmp_gt_i32 s23, 14
	s_mov_b32 s25, -1
	s_cbranch_scc0 .LBB38_399
; %bb.396:
	s_cmp_eq_u32 s23, 15
	s_mov_b32 s20, -1
	s_cbranch_scc0 .LBB38_398
; %bb.397:
	s_wait_xcnt 0x0
	v_mov_b32_e32 v2, 0
	s_mov_b32 s24, -1
	s_mov_b32 s20, 0
	global_store_b16 v[0:1], v2, off
.LBB38_398:
	s_mov_b32 s25, 0
.LBB38_399:
	s_delay_alu instid0(SALU_CYCLE_1)
	s_and_b32 vcc_lo, exec_lo, s25
	s_cbranch_vccz .LBB38_402
; %bb.400:
	s_cmp_eq_u32 s23, 11
	s_mov_b32 s20, -1
	s_cbranch_scc0 .LBB38_402
; %bb.401:
	s_wait_xcnt 0x0
	v_mov_b32_e32 v2, 0
	s_mov_b32 s24, -1
	s_mov_b32 s20, 0
	global_store_b8 v[0:1], v2, off
.LBB38_402:
	s_mov_b32 s23, 0
.LBB38_403:
	s_delay_alu instid0(SALU_CYCLE_1)
	s_and_b32 vcc_lo, exec_lo, s23
	s_cbranch_vccz .LBB38_442
; %bb.404:
	s_and_b32 s21, 0xffff, s21
	s_mov_b32 s23, -1
	s_cmp_lt_i32 s21, 5
	s_cbranch_scc1 .LBB38_425
; %bb.405:
	s_cmp_lt_i32 s21, 8
	s_cbranch_scc1 .LBB38_415
; %bb.406:
	;; [unrolled: 3-line block ×3, first 2 shown]
	s_cmp_gt_i32 s21, 9
	s_cbranch_scc0 .LBB38_409
; %bb.408:
	v_mov_b32_e32 v6, 0
	s_mov_b32 s23, 0
	s_delay_alu instid0(VALU_DEP_1)
	v_dual_mov_b32 v7, v6 :: v_dual_mov_b32 v8, v6
	v_mov_b32_e32 v9, v6
	global_store_b128 v[0:1], v[6:9], off
.LBB38_409:
	s_and_not1_b32 vcc_lo, exec_lo, s23
	s_cbranch_vccnz .LBB38_411
; %bb.410:
	s_wait_xcnt 0x0
	v_mov_b64_e32 v[2:3], 0
	global_store_b64 v[0:1], v[2:3], off
.LBB38_411:
	s_mov_b32 s23, 0
.LBB38_412:
	s_delay_alu instid0(SALU_CYCLE_1)
	s_and_not1_b32 vcc_lo, exec_lo, s23
	s_cbranch_vccnz .LBB38_414
; %bb.413:
	s_wait_xcnt 0x0
	v_mov_b32_e32 v2, 0
	global_store_b32 v[0:1], v2, off
.LBB38_414:
	s_mov_b32 s23, 0
.LBB38_415:
	s_delay_alu instid0(SALU_CYCLE_1)
	s_and_not1_b32 vcc_lo, exec_lo, s23
	s_cbranch_vccnz .LBB38_424
; %bb.416:
	s_cmp_lt_i32 s21, 6
	s_mov_b32 s23, -1
	s_cbranch_scc1 .LBB38_422
; %bb.417:
	s_cmp_gt_i32 s21, 6
	s_cbranch_scc0 .LBB38_419
; %bb.418:
	s_wait_xcnt 0x0
	v_mov_b64_e32 v[2:3], 0
	s_mov_b32 s23, 0
	global_store_b64 v[0:1], v[2:3], off
.LBB38_419:
	s_and_not1_b32 vcc_lo, exec_lo, s23
	s_cbranch_vccnz .LBB38_421
; %bb.420:
	s_wait_xcnt 0x0
	v_mov_b32_e32 v2, 0
	global_store_b32 v[0:1], v2, off
.LBB38_421:
	s_mov_b32 s23, 0
.LBB38_422:
	s_delay_alu instid0(SALU_CYCLE_1)
	s_and_not1_b32 vcc_lo, exec_lo, s23
	s_cbranch_vccnz .LBB38_424
; %bb.423:
	s_wait_xcnt 0x0
	v_mov_b32_e32 v2, 0
	global_store_b16 v[0:1], v2, off
.LBB38_424:
	s_mov_b32 s23, 0
.LBB38_425:
	s_delay_alu instid0(SALU_CYCLE_1)
	s_and_not1_b32 vcc_lo, exec_lo, s23
	s_cbranch_vccnz .LBB38_441
; %bb.426:
	s_cmp_lt_i32 s21, 2
	s_mov_b32 s23, -1
	s_cbranch_scc1 .LBB38_436
; %bb.427:
	s_cmp_lt_i32 s21, 3
	s_cbranch_scc1 .LBB38_433
; %bb.428:
	s_cmp_gt_i32 s21, 3
	s_cbranch_scc0 .LBB38_430
; %bb.429:
	s_wait_xcnt 0x0
	v_mov_b64_e32 v[2:3], 0
	s_mov_b32 s23, 0
	global_store_b64 v[0:1], v[2:3], off
.LBB38_430:
	s_and_not1_b32 vcc_lo, exec_lo, s23
	s_cbranch_vccnz .LBB38_432
; %bb.431:
	s_wait_xcnt 0x0
	v_mov_b32_e32 v2, 0
	global_store_b32 v[0:1], v2, off
.LBB38_432:
	s_mov_b32 s23, 0
.LBB38_433:
	s_delay_alu instid0(SALU_CYCLE_1)
	s_and_not1_b32 vcc_lo, exec_lo, s23
	s_cbranch_vccnz .LBB38_435
; %bb.434:
	s_wait_xcnt 0x0
	v_mov_b32_e32 v2, 0
	global_store_b16 v[0:1], v2, off
.LBB38_435:
	s_mov_b32 s23, 0
.LBB38_436:
	s_delay_alu instid0(SALU_CYCLE_1)
	s_and_not1_b32 vcc_lo, exec_lo, s23
	s_cbranch_vccnz .LBB38_441
; %bb.437:
	s_cmp_gt_i32 s21, 0
	s_mov_b32 s21, -1
	s_cbranch_scc0 .LBB38_439
; %bb.438:
	s_wait_xcnt 0x0
	v_mov_b32_e32 v2, 0
	s_mov_b32 s21, 0
	global_store_b8 v[0:1], v2, off
.LBB38_439:
	s_and_not1_b32 vcc_lo, exec_lo, s21
	s_cbranch_vccnz .LBB38_441
; %bb.440:
	s_wait_xcnt 0x0
	v_mov_b32_e32 v2, 0
	global_store_b8 v[0:1], v2, off
.LBB38_441:
	s_mov_b32 s24, -1
.LBB38_442:
	s_delay_alu instid0(SALU_CYCLE_1)
	s_and_not1_b32 vcc_lo, exec_lo, s24
	s_cbranch_vccnz .LBB38_444
; %bb.443:
	v_add_nc_u32_e32 v4, 0x80, v4
	s_mov_b32 s23, -1
	s_branch .LBB38_445
.LBB38_444:
	s_mov_b32 s23, 0
                                        ; implicit-def: $vgpr4
.LBB38_445:
	s_and_not1_b32 s21, s15, exec_lo
	s_and_b32 s20, s20, exec_lo
	s_and_b32 s23, s23, exec_lo
	s_or_b32 s20, s21, s20
	s_xor_b32 s21, exec_lo, -1
.LBB38_446:
	s_wait_xcnt 0x0
	s_or_b32 exec_lo, exec_lo, s0
.LBB38_447:
	s_delay_alu instid0(SALU_CYCLE_1)
	s_and_not1_b32 s0, s15, exec_lo
	s_and_b32 s20, s20, exec_lo
	s_and_b32 s21, s21, exec_lo
	s_or_b32 s20, s0, s20
	s_and_not1_b32 s0, s16, exec_lo
	s_and_not1_b32 s24, s17, exec_lo
	s_and_b32 s19, s19, exec_lo
	s_or_b32 s21, s0, s21
	s_or_b32 s19, s24, s19
	s_or_not1_b32 s0, s23, exec_lo
.LBB38_448:
	s_wait_xcnt 0x0
	s_or_b32 exec_lo, exec_lo, s22
	s_mov_b32 s23, 0
	s_mov_b32 s24, 0
	;; [unrolled: 1-line block ×3, first 2 shown]
                                        ; implicit-def: $vgpr0_vgpr1
                                        ; implicit-def: $vgpr2
	s_and_saveexec_b32 s22, s0
	s_cbranch_execz .LBB38_751
; %bb.449:
	s_mov_b32 s29, -1
	s_mov_b32 s0, s19
	s_mov_b32 s24, s21
	;; [unrolled: 1-line block ×3, first 2 shown]
	s_mov_b32 s23, exec_lo
	v_cmpx_gt_i32_e64 s13, v4
	s_cbranch_execz .LBB38_673
; %bb.450:
	v_mul_lo_u32 v0, v4, s9
	s_and_b32 s0, 0xffff, s2
	s_delay_alu instid0(SALU_CYCLE_1) | instskip(NEXT) | instid1(VALU_DEP_1)
	s_cmp_lt_i32 s0, 11
	v_ashrrev_i32_e32 v1, 31, v0
	s_delay_alu instid0(VALU_DEP_1)
	v_add_nc_u64_e32 v[0:1], s[6:7], v[0:1]
	s_cbranch_scc1 .LBB38_457
; %bb.451:
	s_cmp_gt_i32 s0, 25
	s_cbranch_scc0 .LBB38_458
; %bb.452:
	s_cmp_gt_i32 s0, 28
	s_cbranch_scc0 .LBB38_459
	;; [unrolled: 3-line block ×4, first 2 shown]
; %bb.455:
	s_cmp_eq_u32 s0, 46
	s_mov_b32 s26, 0
	s_cbranch_scc0 .LBB38_462
; %bb.456:
	s_wait_loadcnt 0x0
	global_load_b32 v2, v[0:1], off
	s_mov_b32 s25, -1
	s_mov_b32 s24, 0
	s_wait_loadcnt 0x0
	v_lshlrev_b32_e32 v2, 16, v2
	s_delay_alu instid0(VALU_DEP_1)
	v_cvt_i32_f32_e32 v2, v2
	s_branch .LBB38_464
.LBB38_457:
	s_mov_b32 s26, -1
	s_mov_b32 s25, 0
	s_mov_b32 s24, s19
                                        ; implicit-def: $vgpr2
	s_branch .LBB38_525
.LBB38_458:
	s_mov_b32 s26, -1
	s_mov_b32 s25, 0
	s_mov_b32 s24, s19
                                        ; implicit-def: $vgpr2
	s_branch .LBB38_491
.LBB38_459:
	s_mov_b32 s26, -1
	s_mov_b32 s25, 0
	s_mov_b32 s24, s19
                                        ; implicit-def: $vgpr2
	s_branch .LBB38_474
.LBB38_460:
	s_mov_b32 s26, -1
	s_mov_b32 s25, 0
	s_mov_b32 s24, s19
                                        ; implicit-def: $vgpr2
	s_branch .LBB38_469
.LBB38_461:
	s_mov_b32 s26, -1
	s_mov_b32 s25, 0
	s_mov_b32 s24, s19
	s_branch .LBB38_463
.LBB38_462:
	s_mov_b32 s24, -1
	s_mov_b32 s25, 0
.LBB38_463:
                                        ; implicit-def: $vgpr2
.LBB38_464:
	s_and_b32 vcc_lo, exec_lo, s26
	s_cbranch_vccz .LBB38_468
; %bb.465:
	s_cmp_eq_u32 s0, 44
	s_cbranch_scc0 .LBB38_467
; %bb.466:
	s_wait_loadcnt 0x0
	global_load_u8 v2, v[0:1], off
	s_mov_b32 s24, 0
	s_mov_b32 s25, -1
	s_wait_loadcnt 0x0
	v_lshlrev_b32_e32 v3, 23, v2
	v_cmp_ne_u32_e32 vcc_lo, 0, v2
	s_delay_alu instid0(VALU_DEP_2) | instskip(NEXT) | instid1(VALU_DEP_1)
	v_cvt_i32_f32_e32 v3, v3
	v_cndmask_b32_e32 v2, 0, v3, vcc_lo
	s_branch .LBB38_468
.LBB38_467:
	s_mov_b32 s24, -1
                                        ; implicit-def: $vgpr2
.LBB38_468:
	s_mov_b32 s26, 0
.LBB38_469:
	s_delay_alu instid0(SALU_CYCLE_1)
	s_and_b32 vcc_lo, exec_lo, s26
	s_cbranch_vccz .LBB38_473
; %bb.470:
	s_cmp_eq_u32 s0, 29
	s_cbranch_scc0 .LBB38_472
; %bb.471:
	s_wait_loadcnt 0x0
	global_load_b32 v2, v[0:1], off
	s_mov_b32 s25, -1
	s_mov_b32 s24, 0
	s_branch .LBB38_473
.LBB38_472:
	s_mov_b32 s24, -1
                                        ; implicit-def: $vgpr2
.LBB38_473:
	s_mov_b32 s26, 0
.LBB38_474:
	s_delay_alu instid0(SALU_CYCLE_1)
	s_and_b32 vcc_lo, exec_lo, s26
	s_cbranch_vccz .LBB38_490
; %bb.475:
	s_cmp_lt_i32 s0, 27
	s_cbranch_scc1 .LBB38_478
; %bb.476:
	s_cmp_gt_i32 s0, 27
	s_cbranch_scc0 .LBB38_479
; %bb.477:
	s_wait_loadcnt 0x0
	global_load_b32 v2, v[0:1], off
	s_mov_b32 s25, 0
	s_branch .LBB38_480
.LBB38_478:
	s_mov_b32 s25, -1
                                        ; implicit-def: $vgpr2
	s_branch .LBB38_483
.LBB38_479:
	s_mov_b32 s25, -1
                                        ; implicit-def: $vgpr2
.LBB38_480:
	s_delay_alu instid0(SALU_CYCLE_1)
	s_and_not1_b32 vcc_lo, exec_lo, s25
	s_cbranch_vccnz .LBB38_482
; %bb.481:
	s_wait_loadcnt 0x0
	global_load_u16 v2, v[0:1], off
.LBB38_482:
	s_mov_b32 s25, 0
.LBB38_483:
	s_delay_alu instid0(SALU_CYCLE_1)
	s_and_not1_b32 vcc_lo, exec_lo, s25
	s_cbranch_vccnz .LBB38_489
; %bb.484:
	global_load_u8 v3, v[0:1], off
	s_mov_b32 s26, 0
	s_mov_b32 s25, exec_lo
	s_wait_loadcnt 0x0
	v_cmpx_lt_i16_e32 0x7f, v3
	s_xor_b32 s25, exec_lo, s25
	s_cbranch_execz .LBB38_501
; %bb.485:
	v_cmp_ne_u16_e32 vcc_lo, 0x80, v3
	s_and_b32 s26, vcc_lo, exec_lo
	s_and_not1_saveexec_b32 s25, s25
	s_cbranch_execnz .LBB38_502
.LBB38_486:
	s_or_b32 exec_lo, exec_lo, s25
	v_mov_b32_e32 v2, 0
	s_and_saveexec_b32 s25, s26
	s_cbranch_execz .LBB38_488
.LBB38_487:
	v_and_b32_e32 v2, 0xffff, v3
	s_delay_alu instid0(VALU_DEP_1) | instskip(SKIP_1) | instid1(VALU_DEP_2)
	v_dual_lshlrev_b32 v3, 24, v3 :: v_dual_bitop2_b32 v5, 7, v2 bitop3:0x40
	v_bfe_u32 v8, v2, 3, 4
	v_and_b32_e32 v3, 0x80000000, v3
	s_delay_alu instid0(VALU_DEP_3) | instskip(NEXT) | instid1(VALU_DEP_3)
	v_clz_i32_u32_e32 v6, v5
	v_cmp_eq_u32_e32 vcc_lo, 0, v8
	s_delay_alu instid0(VALU_DEP_2) | instskip(NEXT) | instid1(VALU_DEP_1)
	v_min_u32_e32 v6, 32, v6
	v_subrev_nc_u32_e32 v7, 28, v6
	v_sub_nc_u32_e32 v6, 29, v6
	s_delay_alu instid0(VALU_DEP_2) | instskip(NEXT) | instid1(VALU_DEP_2)
	v_lshlrev_b32_e32 v2, v7, v2
	v_cndmask_b32_e32 v6, v8, v6, vcc_lo
	s_delay_alu instid0(VALU_DEP_2) | instskip(NEXT) | instid1(VALU_DEP_1)
	v_and_b32_e32 v2, 7, v2
	v_cndmask_b32_e32 v2, v5, v2, vcc_lo
	s_delay_alu instid0(VALU_DEP_3) | instskip(NEXT) | instid1(VALU_DEP_2)
	v_lshl_add_u32 v5, v6, 23, 0x3b800000
	v_lshlrev_b32_e32 v2, 20, v2
	s_delay_alu instid0(VALU_DEP_1) | instskip(NEXT) | instid1(VALU_DEP_1)
	v_or3_b32 v2, v3, v5, v2
	v_cvt_i32_f32_e32 v2, v2
.LBB38_488:
	s_or_b32 exec_lo, exec_lo, s25
.LBB38_489:
	s_mov_b32 s25, -1
.LBB38_490:
	s_mov_b32 s26, 0
.LBB38_491:
	s_delay_alu instid0(SALU_CYCLE_1)
	s_and_b32 vcc_lo, exec_lo, s26
	s_cbranch_vccz .LBB38_524
; %bb.492:
	s_cmp_gt_i32 s0, 22
	s_cbranch_scc0 .LBB38_500
; %bb.493:
	s_cmp_lt_i32 s0, 24
	s_cbranch_scc1 .LBB38_503
; %bb.494:
	s_cmp_gt_i32 s0, 24
	s_cbranch_scc0 .LBB38_504
; %bb.495:
	global_load_u8 v3, v[0:1], off
	s_mov_b32 s26, 0
	s_mov_b32 s25, exec_lo
	s_wait_loadcnt 0x0
	v_cmpx_lt_i16_e32 0x7f, v3
	s_xor_b32 s25, exec_lo, s25
	s_cbranch_execz .LBB38_516
; %bb.496:
	v_cmp_ne_u16_e32 vcc_lo, 0x80, v3
	s_and_b32 s26, vcc_lo, exec_lo
	s_and_not1_saveexec_b32 s25, s25
	s_cbranch_execnz .LBB38_517
.LBB38_497:
	s_or_b32 exec_lo, exec_lo, s25
	v_mov_b32_e32 v2, 0
	s_and_saveexec_b32 s25, s26
	s_cbranch_execz .LBB38_499
.LBB38_498:
	v_and_b32_e32 v2, 0xffff, v3
	s_delay_alu instid0(VALU_DEP_1) | instskip(SKIP_1) | instid1(VALU_DEP_2)
	v_dual_lshlrev_b32 v3, 24, v3 :: v_dual_bitop2_b32 v5, 3, v2 bitop3:0x40
	v_bfe_u32 v8, v2, 2, 5
	v_and_b32_e32 v3, 0x80000000, v3
	s_delay_alu instid0(VALU_DEP_3) | instskip(NEXT) | instid1(VALU_DEP_3)
	v_clz_i32_u32_e32 v6, v5
	v_cmp_eq_u32_e32 vcc_lo, 0, v8
	s_delay_alu instid0(VALU_DEP_2) | instskip(NEXT) | instid1(VALU_DEP_1)
	v_min_u32_e32 v6, 32, v6
	v_subrev_nc_u32_e32 v7, 29, v6
	v_sub_nc_u32_e32 v6, 30, v6
	s_delay_alu instid0(VALU_DEP_2) | instskip(NEXT) | instid1(VALU_DEP_2)
	v_lshlrev_b32_e32 v2, v7, v2
	v_cndmask_b32_e32 v6, v8, v6, vcc_lo
	s_delay_alu instid0(VALU_DEP_2) | instskip(NEXT) | instid1(VALU_DEP_1)
	v_and_b32_e32 v2, 3, v2
	v_cndmask_b32_e32 v2, v5, v2, vcc_lo
	s_delay_alu instid0(VALU_DEP_3) | instskip(NEXT) | instid1(VALU_DEP_2)
	v_lshl_add_u32 v5, v6, 23, 0x37800000
	v_lshlrev_b32_e32 v2, 21, v2
	s_delay_alu instid0(VALU_DEP_1) | instskip(NEXT) | instid1(VALU_DEP_1)
	v_or3_b32 v2, v3, v5, v2
	v_cvt_i32_f32_e32 v2, v2
.LBB38_499:
	s_or_b32 exec_lo, exec_lo, s25
	s_mov_b32 s25, 0
	s_branch .LBB38_505
.LBB38_500:
	s_mov_b32 s26, -1
                                        ; implicit-def: $vgpr2
	s_branch .LBB38_511
.LBB38_501:
	s_and_not1_saveexec_b32 s25, s25
	s_cbranch_execz .LBB38_486
.LBB38_502:
	v_cmp_ne_u16_e32 vcc_lo, 0, v3
	s_and_not1_b32 s26, s26, exec_lo
	s_and_b32 s27, vcc_lo, exec_lo
	s_delay_alu instid0(SALU_CYCLE_1)
	s_or_b32 s26, s26, s27
	s_or_b32 exec_lo, exec_lo, s25
	v_mov_b32_e32 v2, 0
	s_and_saveexec_b32 s25, s26
	s_cbranch_execnz .LBB38_487
	s_branch .LBB38_488
.LBB38_503:
	s_mov_b32 s25, -1
                                        ; implicit-def: $vgpr2
	s_branch .LBB38_508
.LBB38_504:
	s_mov_b32 s25, -1
                                        ; implicit-def: $vgpr2
.LBB38_505:
	s_delay_alu instid0(SALU_CYCLE_1)
	s_and_b32 vcc_lo, exec_lo, s25
	s_cbranch_vccz .LBB38_507
; %bb.506:
	s_wait_loadcnt 0x0
	global_load_u8 v2, v[0:1], off
	s_wait_loadcnt 0x0
	v_lshlrev_b32_e32 v2, 24, v2
	s_delay_alu instid0(VALU_DEP_1) | instskip(NEXT) | instid1(VALU_DEP_1)
	v_and_b32_e32 v3, 0x7f000000, v2
	v_clz_i32_u32_e32 v5, v3
	v_add_nc_u32_e32 v7, 0x1000000, v3
	v_cmp_ne_u32_e32 vcc_lo, 0, v3
	s_delay_alu instid0(VALU_DEP_3) | instskip(NEXT) | instid1(VALU_DEP_1)
	v_min_u32_e32 v5, 32, v5
	v_sub_nc_u32_e64 v5, v5, 4 clamp
	s_delay_alu instid0(VALU_DEP_1) | instskip(NEXT) | instid1(VALU_DEP_1)
	v_dual_lshlrev_b32 v6, v5, v3 :: v_dual_lshlrev_b32 v5, 23, v5
	v_lshrrev_b32_e32 v6, 4, v6
	s_delay_alu instid0(VALU_DEP_1) | instskip(NEXT) | instid1(VALU_DEP_1)
	v_dual_sub_nc_u32 v5, v6, v5 :: v_dual_ashrrev_i32 v6, 8, v7
	v_add_nc_u32_e32 v5, 0x3c000000, v5
	s_delay_alu instid0(VALU_DEP_1) | instskip(NEXT) | instid1(VALU_DEP_1)
	v_and_or_b32 v5, 0x7f800000, v6, v5
	v_cndmask_b32_e32 v3, 0, v5, vcc_lo
	s_delay_alu instid0(VALU_DEP_1) | instskip(NEXT) | instid1(VALU_DEP_1)
	v_and_or_b32 v2, 0x80000000, v2, v3
	v_cvt_i32_f32_e32 v2, v2
.LBB38_507:
	s_mov_b32 s25, 0
.LBB38_508:
	s_delay_alu instid0(SALU_CYCLE_1)
	s_and_not1_b32 vcc_lo, exec_lo, s25
	s_cbranch_vccnz .LBB38_510
; %bb.509:
	s_wait_loadcnt 0x0
	global_load_u8 v2, v[0:1], off
	s_wait_loadcnt 0x0
	v_lshlrev_b32_e32 v3, 25, v2
	v_lshlrev_b16 v2, 8, v2
	s_delay_alu instid0(VALU_DEP_2) | instskip(NEXT) | instid1(VALU_DEP_2)
	v_cmp_gt_u32_e32 vcc_lo, 0x8000000, v3
	v_and_or_b32 v6, 0x7f00, v2, 0.5
	v_lshrrev_b32_e32 v5, 4, v3
	v_bfe_i32 v2, v2, 0, 16
	s_delay_alu instid0(VALU_DEP_3) | instskip(NEXT) | instid1(VALU_DEP_3)
	v_add_f32_e32 v6, -0.5, v6
	v_or_b32_e32 v5, 0x70000000, v5
	s_delay_alu instid0(VALU_DEP_1) | instskip(NEXT) | instid1(VALU_DEP_1)
	v_mul_f32_e32 v5, 0x7800000, v5
	v_cndmask_b32_e32 v3, v5, v6, vcc_lo
	s_delay_alu instid0(VALU_DEP_1) | instskip(NEXT) | instid1(VALU_DEP_1)
	v_and_or_b32 v2, 0x80000000, v2, v3
	v_cvt_i32_f32_e32 v2, v2
.LBB38_510:
	s_mov_b32 s26, 0
	s_mov_b32 s25, -1
.LBB38_511:
	s_and_not1_b32 vcc_lo, exec_lo, s26
	s_cbranch_vccnz .LBB38_524
; %bb.512:
	s_cmp_gt_i32 s0, 14
	s_cbranch_scc0 .LBB38_515
; %bb.513:
	s_cmp_eq_u32 s0, 15
	s_cbranch_scc0 .LBB38_518
; %bb.514:
	s_wait_loadcnt 0x0
	global_load_u16 v2, v[0:1], off
	s_mov_b32 s25, -1
	s_mov_b32 s24, 0
	s_wait_loadcnt 0x0
	v_lshlrev_b32_e32 v2, 16, v2
	s_delay_alu instid0(VALU_DEP_1)
	v_cvt_i32_f32_e32 v2, v2
	s_branch .LBB38_519
.LBB38_515:
	s_mov_b32 s26, -1
                                        ; implicit-def: $vgpr2
	s_branch .LBB38_520
.LBB38_516:
	s_and_not1_saveexec_b32 s25, s25
	s_cbranch_execz .LBB38_497
.LBB38_517:
	v_cmp_ne_u16_e32 vcc_lo, 0, v3
	s_and_not1_b32 s26, s26, exec_lo
	s_and_b32 s27, vcc_lo, exec_lo
	s_delay_alu instid0(SALU_CYCLE_1)
	s_or_b32 s26, s26, s27
	s_or_b32 exec_lo, exec_lo, s25
	v_mov_b32_e32 v2, 0
	s_and_saveexec_b32 s25, s26
	s_cbranch_execnz .LBB38_498
	s_branch .LBB38_499
.LBB38_518:
	s_mov_b32 s24, -1
                                        ; implicit-def: $vgpr2
.LBB38_519:
	s_mov_b32 s26, 0
.LBB38_520:
	s_delay_alu instid0(SALU_CYCLE_1)
	s_and_b32 vcc_lo, exec_lo, s26
	s_cbranch_vccz .LBB38_524
; %bb.521:
	s_cmp_eq_u32 s0, 11
	s_cbranch_scc0 .LBB38_523
; %bb.522:
	s_wait_loadcnt 0x0
	global_load_u8 v2, v[0:1], off
	s_mov_b32 s24, 0
	s_mov_b32 s25, -1
	s_wait_loadcnt 0x0
	v_cmp_ne_u16_e32 vcc_lo, 0, v2
	v_cndmask_b32_e64 v2, 0, 1, vcc_lo
	s_branch .LBB38_524
.LBB38_523:
	s_mov_b32 s24, -1
                                        ; implicit-def: $vgpr2
.LBB38_524:
	s_mov_b32 s26, 0
.LBB38_525:
	s_delay_alu instid0(SALU_CYCLE_1)
	s_and_b32 vcc_lo, exec_lo, s26
	s_cbranch_vccz .LBB38_574
; %bb.526:
	s_cmp_lt_i32 s0, 5
	s_cbranch_scc1 .LBB38_531
; %bb.527:
	s_cmp_lt_i32 s0, 8
	s_cbranch_scc1 .LBB38_532
	;; [unrolled: 3-line block ×3, first 2 shown]
; %bb.529:
	s_cmp_gt_i32 s0, 9
	s_cbranch_scc0 .LBB38_534
; %bb.530:
	s_wait_loadcnt 0x0
	global_load_b64 v[2:3], v[0:1], off
	s_mov_b32 s25, 0
	s_wait_loadcnt 0x0
	v_cvt_i32_f64_e32 v2, v[2:3]
	s_branch .LBB38_535
.LBB38_531:
	s_mov_b32 s25, -1
                                        ; implicit-def: $vgpr2
	s_branch .LBB38_553
.LBB38_532:
	s_mov_b32 s25, -1
                                        ; implicit-def: $vgpr2
	s_branch .LBB38_541
.LBB38_533:
	s_mov_b32 s25, -1
                                        ; implicit-def: $vgpr2
	s_branch .LBB38_538
.LBB38_534:
	s_mov_b32 s25, -1
                                        ; implicit-def: $vgpr2
.LBB38_535:
	s_delay_alu instid0(SALU_CYCLE_1)
	s_and_not1_b32 vcc_lo, exec_lo, s25
	s_cbranch_vccnz .LBB38_537
; %bb.536:
	s_wait_loadcnt 0x0
	global_load_b32 v2, v[0:1], off
	s_wait_loadcnt 0x0
	v_cvt_i32_f32_e32 v2, v2
.LBB38_537:
	s_mov_b32 s25, 0
.LBB38_538:
	s_delay_alu instid0(SALU_CYCLE_1)
	s_and_not1_b32 vcc_lo, exec_lo, s25
	s_cbranch_vccnz .LBB38_540
; %bb.539:
	s_wait_loadcnt 0x0
	global_load_b32 v2, v[0:1], off
	s_wait_loadcnt 0x0
	v_cvt_f32_f16_e32 v2, v2
	s_delay_alu instid0(VALU_DEP_1)
	v_cvt_i32_f32_e32 v2, v2
.LBB38_540:
	s_mov_b32 s25, 0
.LBB38_541:
	s_delay_alu instid0(SALU_CYCLE_1)
	s_and_not1_b32 vcc_lo, exec_lo, s25
	s_cbranch_vccnz .LBB38_552
; %bb.542:
	s_cmp_lt_i32 s0, 6
	s_cbranch_scc1 .LBB38_545
; %bb.543:
	s_cmp_gt_i32 s0, 6
	s_cbranch_scc0 .LBB38_546
; %bb.544:
	s_wait_loadcnt 0x0
	global_load_b64 v[2:3], v[0:1], off
	s_mov_b32 s25, 0
	s_wait_loadcnt 0x0
	v_cvt_i32_f64_e32 v2, v[2:3]
	s_branch .LBB38_547
.LBB38_545:
	s_mov_b32 s25, -1
                                        ; implicit-def: $vgpr2
	s_branch .LBB38_550
.LBB38_546:
	s_mov_b32 s25, -1
                                        ; implicit-def: $vgpr2
.LBB38_547:
	s_delay_alu instid0(SALU_CYCLE_1)
	s_and_not1_b32 vcc_lo, exec_lo, s25
	s_cbranch_vccnz .LBB38_549
; %bb.548:
	s_wait_loadcnt 0x0
	global_load_b32 v2, v[0:1], off
	s_wait_loadcnt 0x0
	v_cvt_i32_f32_e32 v2, v2
.LBB38_549:
	s_mov_b32 s25, 0
.LBB38_550:
	s_delay_alu instid0(SALU_CYCLE_1)
	s_and_not1_b32 vcc_lo, exec_lo, s25
	s_cbranch_vccnz .LBB38_552
; %bb.551:
	s_wait_loadcnt 0x0
	global_load_u16 v2, v[0:1], off
	s_wait_loadcnt 0x0
	v_cvt_f32_f16_e32 v2, v2
	s_delay_alu instid0(VALU_DEP_1)
	v_cvt_i32_f32_e32 v2, v2
.LBB38_552:
	s_mov_b32 s25, 0
.LBB38_553:
	s_delay_alu instid0(SALU_CYCLE_1)
	s_and_not1_b32 vcc_lo, exec_lo, s25
	s_cbranch_vccnz .LBB38_573
; %bb.554:
	s_cmp_lt_i32 s0, 2
	s_cbranch_scc1 .LBB38_558
; %bb.555:
	s_cmp_lt_i32 s0, 3
	s_cbranch_scc1 .LBB38_559
; %bb.556:
	s_cmp_gt_i32 s0, 3
	s_cbranch_scc0 .LBB38_560
; %bb.557:
	s_wait_loadcnt 0x0
	global_load_b32 v2, v[0:1], off
	s_mov_b32 s25, 0
	s_branch .LBB38_561
.LBB38_558:
	s_mov_b32 s25, -1
                                        ; implicit-def: $vgpr2
	s_branch .LBB38_567
.LBB38_559:
	s_mov_b32 s25, -1
                                        ; implicit-def: $vgpr2
	s_branch .LBB38_564
.LBB38_560:
	s_mov_b32 s25, -1
                                        ; implicit-def: $vgpr2
.LBB38_561:
	s_delay_alu instid0(SALU_CYCLE_1)
	s_and_not1_b32 vcc_lo, exec_lo, s25
	s_cbranch_vccnz .LBB38_563
; %bb.562:
	s_wait_loadcnt 0x0
	global_load_b32 v2, v[0:1], off
.LBB38_563:
	s_mov_b32 s25, 0
.LBB38_564:
	s_delay_alu instid0(SALU_CYCLE_1)
	s_and_not1_b32 vcc_lo, exec_lo, s25
	s_cbranch_vccnz .LBB38_566
; %bb.565:
	s_wait_loadcnt 0x0
	global_load_i16 v2, v[0:1], off
.LBB38_566:
	s_mov_b32 s25, 0
.LBB38_567:
	s_delay_alu instid0(SALU_CYCLE_1)
	s_and_not1_b32 vcc_lo, exec_lo, s25
	s_cbranch_vccnz .LBB38_573
; %bb.568:
	s_cmp_gt_i32 s0, 0
	s_mov_b32 s0, 0
	s_cbranch_scc0 .LBB38_570
; %bb.569:
	s_wait_loadcnt 0x0
	global_load_i8 v2, v[0:1], off
	s_branch .LBB38_571
.LBB38_570:
	s_mov_b32 s0, -1
                                        ; implicit-def: $vgpr2
.LBB38_571:
	s_delay_alu instid0(SALU_CYCLE_1)
	s_and_not1_b32 vcc_lo, exec_lo, s0
	s_cbranch_vccnz .LBB38_573
; %bb.572:
	s_wait_loadcnt 0x0
	global_load_u8 v2, v[0:1], off
.LBB38_573:
	s_mov_b32 s25, -1
.LBB38_574:
	s_delay_alu instid0(SALU_CYCLE_1)
	s_and_not1_b32 vcc_lo, exec_lo, s25
	s_cbranch_vccnz .LBB38_583
; %bb.575:
	s_wait_loadcnt 0x0
	s_delay_alu instid0(VALU_DEP_1)
	v_cmp_le_i32_e32 vcc_lo, s10, v2
	v_cmp_gt_i32_e64 s0, s12, v2
	s_mov_b32 s26, 0
	s_mov_b32 s27, -1
	s_mov_b32 s25, s20
	s_and_b32 s0, vcc_lo, s0
	s_delay_alu instid0(SALU_CYCLE_1)
	s_and_b32 s28, s11, s0
	s_wait_xcnt 0x0
	s_and_saveexec_b32 s0, s28
	s_cbranch_execz .LBB38_671
; %bb.576:
	v_mul_lo_u32 v0, v4, s8
	s_and_b32 s26, s14, 0xff
	s_delay_alu instid0(SALU_CYCLE_1) | instskip(NEXT) | instid1(VALU_DEP_1)
	s_cmp_lt_i32 s26, 11
	v_ashrrev_i32_e32 v1, 31, v0
	s_delay_alu instid0(VALU_DEP_1)
	v_add_nc_u64_e32 v[0:1], s[4:5], v[0:1]
	s_cbranch_scc1 .LBB38_584
; %bb.577:
	s_and_b32 s27, 0xffff, s26
	s_delay_alu instid0(SALU_CYCLE_1)
	s_cmp_gt_i32 s27, 25
	s_cbranch_scc0 .LBB38_585
; %bb.578:
	s_cmp_gt_i32 s27, 28
	s_cbranch_scc0 .LBB38_586
; %bb.579:
	;; [unrolled: 3-line block ×4, first 2 shown]
	s_mov_b32 s29, 0
	s_mov_b32 s25, -1
	s_cmp_eq_u32 s27, 46
	s_mov_b32 s28, 0
	s_cbranch_scc0 .LBB38_589
; %bb.582:
	v_mov_b32_e32 v2, 0
	s_mov_b32 s28, -1
	s_mov_b32 s25, 0
	global_store_b32 v[0:1], v2, off
	s_branch .LBB38_589
.LBB38_583:
	s_mov_b32 s26, 0
	s_mov_b32 s25, s20
	;; [unrolled: 1-line block ×3, first 2 shown]
                                        ; implicit-def: $vgpr4
	s_branch .LBB38_672
.LBB38_584:
	s_mov_b32 s28, 0
	s_mov_b32 s25, s20
	s_branch .LBB38_628
.LBB38_585:
	s_mov_b32 s28, 0
	s_mov_b32 s25, s20
	s_branch .LBB38_608
.LBB38_586:
	s_mov_b32 s28, 0
	s_mov_b32 s25, s20
	s_branch .LBB38_597
.LBB38_587:
	s_mov_b32 s28, 0
	s_mov_b32 s25, s20
	s_branch .LBB38_593
.LBB38_588:
	s_mov_b32 s28, 0
	s_mov_b32 s25, s20
.LBB38_589:
	s_and_b32 vcc_lo, exec_lo, s29
	s_cbranch_vccz .LBB38_592
; %bb.590:
	s_cmp_eq_u32 s27, 44
	s_mov_b32 s25, -1
	s_cbranch_scc0 .LBB38_592
; %bb.591:
	s_wait_xcnt 0x0
	v_mov_b32_e32 v2, 0
	s_mov_b32 s28, -1
	s_mov_b32 s25, 0
	global_store_b8 v[0:1], v2, off
.LBB38_592:
	s_mov_b32 s29, 0
.LBB38_593:
	s_delay_alu instid0(SALU_CYCLE_1)
	s_and_b32 vcc_lo, exec_lo, s29
	s_cbranch_vccz .LBB38_596
; %bb.594:
	s_cmp_eq_u32 s27, 29
	s_mov_b32 s25, -1
	s_cbranch_scc0 .LBB38_596
; %bb.595:
	s_wait_xcnt 0x0
	v_mov_b64_e32 v[2:3], 0
	s_mov_b32 s28, -1
	s_mov_b32 s25, 0
	s_mov_b32 s29, 0
	global_store_b64 v[0:1], v[2:3], off
	s_branch .LBB38_597
.LBB38_596:
	s_mov_b32 s29, 0
.LBB38_597:
	s_delay_alu instid0(SALU_CYCLE_1)
	s_and_b32 vcc_lo, exec_lo, s29
	s_cbranch_vccz .LBB38_607
; %bb.598:
	s_cmp_lt_i32 s27, 27
	s_mov_b32 s28, -1
	s_cbranch_scc1 .LBB38_604
; %bb.599:
	s_cmp_gt_i32 s27, 27
	s_cbranch_scc0 .LBB38_601
; %bb.600:
	s_wait_xcnt 0x0
	v_mov_b32_e32 v2, 0
	s_mov_b32 s28, 0
	global_store_b32 v[0:1], v2, off
.LBB38_601:
	s_and_not1_b32 vcc_lo, exec_lo, s28
	s_cbranch_vccnz .LBB38_603
; %bb.602:
	s_wait_xcnt 0x0
	v_mov_b32_e32 v2, 0
	global_store_b16 v[0:1], v2, off
.LBB38_603:
	s_mov_b32 s28, 0
.LBB38_604:
	s_delay_alu instid0(SALU_CYCLE_1)
	s_and_not1_b32 vcc_lo, exec_lo, s28
	s_cbranch_vccnz .LBB38_606
; %bb.605:
	s_wait_xcnt 0x0
	v_mov_b32_e32 v2, 0
	global_store_b8 v[0:1], v2, off
.LBB38_606:
	s_mov_b32 s28, -1
.LBB38_607:
	s_mov_b32 s29, 0
.LBB38_608:
	s_delay_alu instid0(SALU_CYCLE_1)
	s_and_b32 vcc_lo, exec_lo, s29
	s_cbranch_vccz .LBB38_627
; %bb.609:
	s_cmp_gt_i32 s27, 22
	s_mov_b32 s29, -1
	s_cbranch_scc0 .LBB38_619
; %bb.610:
	s_cmp_lt_i32 s27, 24
	s_mov_b32 s28, -1
	s_cbranch_scc1 .LBB38_616
; %bb.611:
	s_cmp_gt_i32 s27, 24
	s_cbranch_scc0 .LBB38_613
; %bb.612:
	s_wait_xcnt 0x0
	v_mov_b32_e32 v2, 0
	s_mov_b32 s28, 0
	global_store_b8 v[0:1], v2, off
.LBB38_613:
	s_and_not1_b32 vcc_lo, exec_lo, s28
	s_cbranch_vccnz .LBB38_615
; %bb.614:
	s_wait_xcnt 0x0
	v_mov_b32_e32 v2, 0
	global_store_b8 v[0:1], v2, off
.LBB38_615:
	s_mov_b32 s28, 0
.LBB38_616:
	s_delay_alu instid0(SALU_CYCLE_1)
	s_and_not1_b32 vcc_lo, exec_lo, s28
	s_cbranch_vccnz .LBB38_618
; %bb.617:
	s_wait_xcnt 0x0
	v_mov_b32_e32 v2, 0
	global_store_b8 v[0:1], v2, off
.LBB38_618:
	s_mov_b32 s29, 0
	s_mov_b32 s28, -1
.LBB38_619:
	s_and_not1_b32 vcc_lo, exec_lo, s29
	s_cbranch_vccnz .LBB38_627
; %bb.620:
	s_cmp_gt_i32 s27, 14
	s_mov_b32 s29, -1
	s_cbranch_scc0 .LBB38_624
; %bb.621:
	s_cmp_eq_u32 s27, 15
	s_mov_b32 s25, -1
	s_cbranch_scc0 .LBB38_623
; %bb.622:
	s_wait_xcnt 0x0
	v_mov_b32_e32 v2, 0
	s_mov_b32 s28, -1
	s_mov_b32 s25, 0
	global_store_b16 v[0:1], v2, off
.LBB38_623:
	s_mov_b32 s29, 0
.LBB38_624:
	s_delay_alu instid0(SALU_CYCLE_1)
	s_and_b32 vcc_lo, exec_lo, s29
	s_cbranch_vccz .LBB38_627
; %bb.625:
	s_cmp_eq_u32 s27, 11
	s_mov_b32 s25, -1
	s_cbranch_scc0 .LBB38_627
; %bb.626:
	s_wait_xcnt 0x0
	v_mov_b32_e32 v2, 0
	s_mov_b32 s28, -1
	s_mov_b32 s25, 0
	global_store_b8 v[0:1], v2, off
.LBB38_627:
	s_mov_b32 s27, 0
.LBB38_628:
	s_delay_alu instid0(SALU_CYCLE_1)
	s_and_b32 vcc_lo, exec_lo, s27
	s_cbranch_vccz .LBB38_667
; %bb.629:
	s_and_b32 s26, 0xffff, s26
	s_mov_b32 s27, -1
	s_cmp_lt_i32 s26, 5
	s_cbranch_scc1 .LBB38_650
; %bb.630:
	s_cmp_lt_i32 s26, 8
	s_cbranch_scc1 .LBB38_640
; %bb.631:
	;; [unrolled: 3-line block ×3, first 2 shown]
	s_cmp_gt_i32 s26, 9
	s_cbranch_scc0 .LBB38_634
; %bb.633:
	v_mov_b32_e32 v6, 0
	s_mov_b32 s27, 0
	s_delay_alu instid0(VALU_DEP_1)
	v_dual_mov_b32 v7, v6 :: v_dual_mov_b32 v8, v6
	v_mov_b32_e32 v9, v6
	global_store_b128 v[0:1], v[6:9], off
.LBB38_634:
	s_and_not1_b32 vcc_lo, exec_lo, s27
	s_cbranch_vccnz .LBB38_636
; %bb.635:
	s_wait_xcnt 0x0
	v_mov_b64_e32 v[2:3], 0
	global_store_b64 v[0:1], v[2:3], off
.LBB38_636:
	s_mov_b32 s27, 0
.LBB38_637:
	s_delay_alu instid0(SALU_CYCLE_1)
	s_and_not1_b32 vcc_lo, exec_lo, s27
	s_cbranch_vccnz .LBB38_639
; %bb.638:
	s_wait_xcnt 0x0
	v_mov_b32_e32 v2, 0
	global_store_b32 v[0:1], v2, off
.LBB38_639:
	s_mov_b32 s27, 0
.LBB38_640:
	s_delay_alu instid0(SALU_CYCLE_1)
	s_and_not1_b32 vcc_lo, exec_lo, s27
	s_cbranch_vccnz .LBB38_649
; %bb.641:
	s_cmp_lt_i32 s26, 6
	s_mov_b32 s27, -1
	s_cbranch_scc1 .LBB38_647
; %bb.642:
	s_cmp_gt_i32 s26, 6
	s_cbranch_scc0 .LBB38_644
; %bb.643:
	s_wait_xcnt 0x0
	v_mov_b64_e32 v[2:3], 0
	s_mov_b32 s27, 0
	global_store_b64 v[0:1], v[2:3], off
.LBB38_644:
	s_and_not1_b32 vcc_lo, exec_lo, s27
	s_cbranch_vccnz .LBB38_646
; %bb.645:
	s_wait_xcnt 0x0
	v_mov_b32_e32 v2, 0
	global_store_b32 v[0:1], v2, off
.LBB38_646:
	s_mov_b32 s27, 0
.LBB38_647:
	s_delay_alu instid0(SALU_CYCLE_1)
	s_and_not1_b32 vcc_lo, exec_lo, s27
	s_cbranch_vccnz .LBB38_649
; %bb.648:
	s_wait_xcnt 0x0
	v_mov_b32_e32 v2, 0
	global_store_b16 v[0:1], v2, off
.LBB38_649:
	s_mov_b32 s27, 0
.LBB38_650:
	s_delay_alu instid0(SALU_CYCLE_1)
	s_and_not1_b32 vcc_lo, exec_lo, s27
	s_cbranch_vccnz .LBB38_666
; %bb.651:
	s_cmp_lt_i32 s26, 2
	s_mov_b32 s27, -1
	s_cbranch_scc1 .LBB38_661
; %bb.652:
	s_cmp_lt_i32 s26, 3
	s_cbranch_scc1 .LBB38_658
; %bb.653:
	s_cmp_gt_i32 s26, 3
	s_cbranch_scc0 .LBB38_655
; %bb.654:
	s_wait_xcnt 0x0
	v_mov_b64_e32 v[2:3], 0
	s_mov_b32 s27, 0
	global_store_b64 v[0:1], v[2:3], off
.LBB38_655:
	s_and_not1_b32 vcc_lo, exec_lo, s27
	s_cbranch_vccnz .LBB38_657
; %bb.656:
	s_wait_xcnt 0x0
	v_mov_b32_e32 v2, 0
	global_store_b32 v[0:1], v2, off
.LBB38_657:
	s_mov_b32 s27, 0
.LBB38_658:
	s_delay_alu instid0(SALU_CYCLE_1)
	s_and_not1_b32 vcc_lo, exec_lo, s27
	s_cbranch_vccnz .LBB38_660
; %bb.659:
	s_wait_xcnt 0x0
	v_mov_b32_e32 v2, 0
	global_store_b16 v[0:1], v2, off
.LBB38_660:
	s_mov_b32 s27, 0
.LBB38_661:
	s_delay_alu instid0(SALU_CYCLE_1)
	s_and_not1_b32 vcc_lo, exec_lo, s27
	s_cbranch_vccnz .LBB38_666
; %bb.662:
	s_cmp_gt_i32 s26, 0
	s_mov_b32 s26, -1
	s_cbranch_scc0 .LBB38_664
; %bb.663:
	s_wait_xcnt 0x0
	v_mov_b32_e32 v2, 0
	s_mov_b32 s26, 0
	global_store_b8 v[0:1], v2, off
.LBB38_664:
	s_and_not1_b32 vcc_lo, exec_lo, s26
	s_cbranch_vccnz .LBB38_666
; %bb.665:
	s_wait_xcnt 0x0
	v_mov_b32_e32 v2, 0
	global_store_b8 v[0:1], v2, off
.LBB38_666:
	s_mov_b32 s28, -1
.LBB38_667:
	s_delay_alu instid0(SALU_CYCLE_1)
	s_and_not1_b32 vcc_lo, exec_lo, s28
	s_cbranch_vccnz .LBB38_669
; %bb.668:
	v_add_nc_u32_e32 v4, 0x80, v4
	s_mov_b32 s26, -1
	s_branch .LBB38_670
.LBB38_669:
	s_mov_b32 s26, 0
                                        ; implicit-def: $vgpr4
.LBB38_670:
	s_and_not1_b32 s27, s20, exec_lo
	s_and_b32 s25, s25, exec_lo
	s_and_b32 s26, s26, exec_lo
	s_or_b32 s25, s27, s25
	s_xor_b32 s27, exec_lo, -1
.LBB38_671:
	s_wait_xcnt 0x0
	s_or_b32 exec_lo, exec_lo, s0
.LBB38_672:
	s_delay_alu instid0(SALU_CYCLE_1)
	s_and_not1_b32 s0, s20, exec_lo
	s_and_b32 s25, s25, exec_lo
	s_and_b32 s27, s27, exec_lo
	s_or_b32 s25, s0, s25
	s_and_not1_b32 s0, s21, exec_lo
	s_and_not1_b32 s28, s19, exec_lo
	s_and_b32 s29, s24, exec_lo
	s_or_b32 s24, s0, s27
	s_or_b32 s0, s28, s29
	s_or_not1_b32 s29, s26, exec_lo
.LBB38_673:
	s_wait_xcnt 0x0
	s_or_b32 exec_lo, exec_lo, s23
	s_mov_b32 s26, 0
	s_mov_b32 s27, 0
	;; [unrolled: 1-line block ×3, first 2 shown]
                                        ; implicit-def: $vgpr0_vgpr1
                                        ; implicit-def: $vgpr2
	s_and_saveexec_b32 s23, s29
	s_cbranch_execz .LBB38_750
; %bb.674:
	v_cmp_gt_i32_e32 vcc_lo, s13, v4
	s_mov_b32 s30, s0
	s_mov_b32 s29, 0
	;; [unrolled: 1-line block ×3, first 2 shown]
                                        ; implicit-def: $vgpr0_vgpr1
                                        ; implicit-def: $vgpr2
	s_and_saveexec_b32 s13, vcc_lo
	s_cbranch_execz .LBB38_749
; %bb.675:
	v_mul_lo_u32 v0, v4, s9
	s_and_b32 s26, 0xffff, s2
	s_delay_alu instid0(SALU_CYCLE_1) | instskip(NEXT) | instid1(VALU_DEP_1)
	s_cmp_lt_i32 s26, 11
	v_ashrrev_i32_e32 v1, 31, v0
	s_delay_alu instid0(VALU_DEP_1)
	v_add_nc_u64_e32 v[0:1], s[6:7], v[0:1]
	s_cbranch_scc1 .LBB38_682
; %bb.676:
	s_cmp_gt_i32 s26, 25
	s_cbranch_scc0 .LBB38_683
; %bb.677:
	s_cmp_gt_i32 s26, 28
	s_cbranch_scc0 .LBB38_684
	;; [unrolled: 3-line block ×4, first 2 shown]
; %bb.680:
	s_cmp_eq_u32 s26, 46
	s_mov_b32 s30, 0
	s_cbranch_scc0 .LBB38_687
; %bb.681:
	s_wait_loadcnt 0x0
	global_load_b32 v2, v[0:1], off
	s_mov_b32 s29, -1
	s_wait_loadcnt 0x0
	v_lshlrev_b32_e32 v2, 16, v2
	s_delay_alu instid0(VALU_DEP_1)
	v_cvt_i32_f32_e32 v2, v2
	s_branch .LBB38_689
.LBB38_682:
	s_mov_b32 s26, -1
	s_mov_b32 s27, s0
                                        ; implicit-def: $vgpr2
	s_branch .LBB38_748
.LBB38_683:
	s_mov_b32 s30, -1
	s_mov_b32 s27, s0
                                        ; implicit-def: $vgpr2
	s_branch .LBB38_716
.LBB38_684:
	s_mov_b32 s30, -1
	s_mov_b32 s27, s0
                                        ; implicit-def: $vgpr2
	s_branch .LBB38_699
.LBB38_685:
	s_mov_b32 s30, -1
	s_mov_b32 s27, s0
                                        ; implicit-def: $vgpr2
	s_branch .LBB38_694
.LBB38_686:
	s_mov_b32 s30, -1
	s_mov_b32 s27, s0
	s_branch .LBB38_688
.LBB38_687:
	s_mov_b32 s27, -1
.LBB38_688:
                                        ; implicit-def: $vgpr2
.LBB38_689:
	s_and_b32 vcc_lo, exec_lo, s30
	s_cbranch_vccz .LBB38_693
; %bb.690:
	s_cmp_eq_u32 s26, 44
	s_cbranch_scc0 .LBB38_692
; %bb.691:
	s_wait_loadcnt 0x0
	global_load_u8 v2, v[0:1], off
	s_mov_b32 s27, 0
	s_mov_b32 s29, -1
	s_wait_loadcnt 0x0
	v_lshlrev_b32_e32 v3, 23, v2
	v_cmp_ne_u32_e32 vcc_lo, 0, v2
	s_delay_alu instid0(VALU_DEP_2) | instskip(NEXT) | instid1(VALU_DEP_1)
	v_cvt_i32_f32_e32 v3, v3
	v_cndmask_b32_e32 v2, 0, v3, vcc_lo
	s_branch .LBB38_693
.LBB38_692:
	s_mov_b32 s27, -1
                                        ; implicit-def: $vgpr2
.LBB38_693:
	s_mov_b32 s30, 0
.LBB38_694:
	s_delay_alu instid0(SALU_CYCLE_1)
	s_and_b32 vcc_lo, exec_lo, s30
	s_cbranch_vccz .LBB38_698
; %bb.695:
	s_cmp_eq_u32 s26, 29
	s_cbranch_scc0 .LBB38_697
; %bb.696:
	s_wait_loadcnt 0x0
	global_load_b32 v2, v[0:1], off
	s_mov_b32 s27, 0
	s_mov_b32 s29, -1
	s_branch .LBB38_698
.LBB38_697:
	s_mov_b32 s27, -1
                                        ; implicit-def: $vgpr2
.LBB38_698:
	s_mov_b32 s30, 0
.LBB38_699:
	s_delay_alu instid0(SALU_CYCLE_1)
	s_and_b32 vcc_lo, exec_lo, s30
	s_cbranch_vccz .LBB38_715
; %bb.700:
	s_cmp_lt_i32 s26, 27
	s_cbranch_scc1 .LBB38_703
; %bb.701:
	s_cmp_gt_i32 s26, 27
	s_cbranch_scc0 .LBB38_704
; %bb.702:
	s_wait_loadcnt 0x0
	global_load_b32 v2, v[0:1], off
	s_mov_b32 s29, 0
	s_branch .LBB38_705
.LBB38_703:
	s_mov_b32 s29, -1
                                        ; implicit-def: $vgpr2
	s_branch .LBB38_708
.LBB38_704:
	s_mov_b32 s29, -1
                                        ; implicit-def: $vgpr2
.LBB38_705:
	s_delay_alu instid0(SALU_CYCLE_1)
	s_and_not1_b32 vcc_lo, exec_lo, s29
	s_cbranch_vccnz .LBB38_707
; %bb.706:
	s_wait_loadcnt 0x0
	global_load_u16 v2, v[0:1], off
.LBB38_707:
	s_mov_b32 s29, 0
.LBB38_708:
	s_delay_alu instid0(SALU_CYCLE_1)
	s_and_not1_b32 vcc_lo, exec_lo, s29
	s_cbranch_vccnz .LBB38_714
; %bb.709:
	global_load_u8 v3, v[0:1], off
	s_mov_b32 s30, 0
	s_mov_b32 s29, exec_lo
	s_wait_loadcnt 0x0
	v_cmpx_lt_i16_e32 0x7f, v3
	s_xor_b32 s29, exec_lo, s29
	s_cbranch_execz .LBB38_726
; %bb.710:
	v_cmp_ne_u16_e32 vcc_lo, 0x80, v3
	s_and_b32 s30, vcc_lo, exec_lo
	s_and_not1_saveexec_b32 s29, s29
	s_cbranch_execnz .LBB38_727
.LBB38_711:
	s_or_b32 exec_lo, exec_lo, s29
	v_mov_b32_e32 v2, 0
	s_and_saveexec_b32 s29, s30
	s_cbranch_execz .LBB38_713
.LBB38_712:
	v_and_b32_e32 v2, 0xffff, v3
	s_delay_alu instid0(VALU_DEP_1) | instskip(SKIP_1) | instid1(VALU_DEP_2)
	v_dual_lshlrev_b32 v3, 24, v3 :: v_dual_bitop2_b32 v5, 7, v2 bitop3:0x40
	v_bfe_u32 v8, v2, 3, 4
	v_and_b32_e32 v3, 0x80000000, v3
	s_delay_alu instid0(VALU_DEP_3) | instskip(NEXT) | instid1(VALU_DEP_3)
	v_clz_i32_u32_e32 v6, v5
	v_cmp_eq_u32_e32 vcc_lo, 0, v8
	s_delay_alu instid0(VALU_DEP_2) | instskip(NEXT) | instid1(VALU_DEP_1)
	v_min_u32_e32 v6, 32, v6
	v_subrev_nc_u32_e32 v7, 28, v6
	v_sub_nc_u32_e32 v6, 29, v6
	s_delay_alu instid0(VALU_DEP_2) | instskip(NEXT) | instid1(VALU_DEP_2)
	v_lshlrev_b32_e32 v2, v7, v2
	v_cndmask_b32_e32 v6, v8, v6, vcc_lo
	s_delay_alu instid0(VALU_DEP_2) | instskip(NEXT) | instid1(VALU_DEP_1)
	v_and_b32_e32 v2, 7, v2
	v_cndmask_b32_e32 v2, v5, v2, vcc_lo
	s_delay_alu instid0(VALU_DEP_3) | instskip(NEXT) | instid1(VALU_DEP_2)
	v_lshl_add_u32 v5, v6, 23, 0x3b800000
	v_lshlrev_b32_e32 v2, 20, v2
	s_delay_alu instid0(VALU_DEP_1) | instskip(NEXT) | instid1(VALU_DEP_1)
	v_or3_b32 v2, v3, v5, v2
	v_cvt_i32_f32_e32 v2, v2
.LBB38_713:
	s_or_b32 exec_lo, exec_lo, s29
.LBB38_714:
	s_mov_b32 s29, -1
.LBB38_715:
	s_mov_b32 s30, 0
.LBB38_716:
	s_delay_alu instid0(SALU_CYCLE_1)
	s_and_b32 vcc_lo, exec_lo, s30
	s_cbranch_vccz .LBB38_747
; %bb.717:
	s_cmp_gt_i32 s26, 22
	s_cbranch_scc0 .LBB38_725
; %bb.718:
	s_cmp_lt_i32 s26, 24
	s_cbranch_scc1 .LBB38_728
; %bb.719:
	s_cmp_gt_i32 s26, 24
	s_cbranch_scc0 .LBB38_729
; %bb.720:
	global_load_u8 v3, v[0:1], off
	s_mov_b32 s29, 0
	s_mov_b32 s28, exec_lo
	s_wait_loadcnt 0x0
	v_cmpx_lt_i16_e32 0x7f, v3
	s_xor_b32 s28, exec_lo, s28
	s_cbranch_execz .LBB38_741
; %bb.721:
	v_cmp_ne_u16_e32 vcc_lo, 0x80, v3
	s_and_b32 s29, vcc_lo, exec_lo
	s_and_not1_saveexec_b32 s28, s28
	s_cbranch_execnz .LBB38_742
.LBB38_722:
	s_or_b32 exec_lo, exec_lo, s28
	v_mov_b32_e32 v2, 0
	s_and_saveexec_b32 s28, s29
	s_cbranch_execz .LBB38_724
.LBB38_723:
	v_and_b32_e32 v2, 0xffff, v3
	s_delay_alu instid0(VALU_DEP_1) | instskip(SKIP_1) | instid1(VALU_DEP_2)
	v_dual_lshlrev_b32 v3, 24, v3 :: v_dual_bitop2_b32 v5, 3, v2 bitop3:0x40
	v_bfe_u32 v8, v2, 2, 5
	v_and_b32_e32 v3, 0x80000000, v3
	s_delay_alu instid0(VALU_DEP_3) | instskip(NEXT) | instid1(VALU_DEP_3)
	v_clz_i32_u32_e32 v6, v5
	v_cmp_eq_u32_e32 vcc_lo, 0, v8
	s_delay_alu instid0(VALU_DEP_2) | instskip(NEXT) | instid1(VALU_DEP_1)
	v_min_u32_e32 v6, 32, v6
	v_subrev_nc_u32_e32 v7, 29, v6
	v_sub_nc_u32_e32 v6, 30, v6
	s_delay_alu instid0(VALU_DEP_2) | instskip(NEXT) | instid1(VALU_DEP_2)
	v_lshlrev_b32_e32 v2, v7, v2
	v_cndmask_b32_e32 v6, v8, v6, vcc_lo
	s_delay_alu instid0(VALU_DEP_2) | instskip(NEXT) | instid1(VALU_DEP_1)
	v_and_b32_e32 v2, 3, v2
	v_cndmask_b32_e32 v2, v5, v2, vcc_lo
	s_delay_alu instid0(VALU_DEP_3) | instskip(NEXT) | instid1(VALU_DEP_2)
	v_lshl_add_u32 v5, v6, 23, 0x37800000
	v_lshlrev_b32_e32 v2, 21, v2
	s_delay_alu instid0(VALU_DEP_1) | instskip(NEXT) | instid1(VALU_DEP_1)
	v_or3_b32 v2, v3, v5, v2
	v_cvt_i32_f32_e32 v2, v2
.LBB38_724:
	s_or_b32 exec_lo, exec_lo, s28
	s_mov_b32 s28, 0
	s_branch .LBB38_730
.LBB38_725:
	s_mov_b32 s28, -1
                                        ; implicit-def: $vgpr2
	s_branch .LBB38_736
.LBB38_726:
	s_and_not1_saveexec_b32 s29, s29
	s_cbranch_execz .LBB38_711
.LBB38_727:
	v_cmp_ne_u16_e32 vcc_lo, 0, v3
	s_and_not1_b32 s30, s30, exec_lo
	s_and_b32 s31, vcc_lo, exec_lo
	s_delay_alu instid0(SALU_CYCLE_1)
	s_or_b32 s30, s30, s31
	s_or_b32 exec_lo, exec_lo, s29
	v_mov_b32_e32 v2, 0
	s_and_saveexec_b32 s29, s30
	s_cbranch_execnz .LBB38_712
	s_branch .LBB38_713
.LBB38_728:
	s_mov_b32 s28, -1
                                        ; implicit-def: $vgpr2
	s_branch .LBB38_733
.LBB38_729:
	s_mov_b32 s28, -1
                                        ; implicit-def: $vgpr2
.LBB38_730:
	s_delay_alu instid0(SALU_CYCLE_1)
	s_and_b32 vcc_lo, exec_lo, s28
	s_cbranch_vccz .LBB38_732
; %bb.731:
	s_wait_loadcnt 0x0
	global_load_u8 v2, v[0:1], off
	s_wait_loadcnt 0x0
	v_lshlrev_b32_e32 v2, 24, v2
	s_delay_alu instid0(VALU_DEP_1) | instskip(NEXT) | instid1(VALU_DEP_1)
	v_and_b32_e32 v3, 0x7f000000, v2
	v_clz_i32_u32_e32 v5, v3
	v_add_nc_u32_e32 v7, 0x1000000, v3
	v_cmp_ne_u32_e32 vcc_lo, 0, v3
	s_delay_alu instid0(VALU_DEP_3) | instskip(NEXT) | instid1(VALU_DEP_1)
	v_min_u32_e32 v5, 32, v5
	v_sub_nc_u32_e64 v5, v5, 4 clamp
	s_delay_alu instid0(VALU_DEP_1) | instskip(NEXT) | instid1(VALU_DEP_1)
	v_dual_lshlrev_b32 v6, v5, v3 :: v_dual_lshlrev_b32 v5, 23, v5
	v_lshrrev_b32_e32 v6, 4, v6
	s_delay_alu instid0(VALU_DEP_1) | instskip(NEXT) | instid1(VALU_DEP_1)
	v_dual_sub_nc_u32 v5, v6, v5 :: v_dual_ashrrev_i32 v6, 8, v7
	v_add_nc_u32_e32 v5, 0x3c000000, v5
	s_delay_alu instid0(VALU_DEP_1) | instskip(NEXT) | instid1(VALU_DEP_1)
	v_and_or_b32 v5, 0x7f800000, v6, v5
	v_cndmask_b32_e32 v3, 0, v5, vcc_lo
	s_delay_alu instid0(VALU_DEP_1) | instskip(NEXT) | instid1(VALU_DEP_1)
	v_and_or_b32 v2, 0x80000000, v2, v3
	v_cvt_i32_f32_e32 v2, v2
.LBB38_732:
	s_mov_b32 s28, 0
.LBB38_733:
	s_delay_alu instid0(SALU_CYCLE_1)
	s_and_not1_b32 vcc_lo, exec_lo, s28
	s_cbranch_vccnz .LBB38_735
; %bb.734:
	s_wait_loadcnt 0x0
	global_load_u8 v2, v[0:1], off
	s_wait_loadcnt 0x0
	v_lshlrev_b32_e32 v3, 25, v2
	v_lshlrev_b16 v2, 8, v2
	s_delay_alu instid0(VALU_DEP_2) | instskip(NEXT) | instid1(VALU_DEP_2)
	v_cmp_gt_u32_e32 vcc_lo, 0x8000000, v3
	v_and_or_b32 v6, 0x7f00, v2, 0.5
	v_lshrrev_b32_e32 v5, 4, v3
	v_bfe_i32 v2, v2, 0, 16
	s_delay_alu instid0(VALU_DEP_3) | instskip(NEXT) | instid1(VALU_DEP_3)
	v_add_f32_e32 v6, -0.5, v6
	v_or_b32_e32 v5, 0x70000000, v5
	s_delay_alu instid0(VALU_DEP_1) | instskip(NEXT) | instid1(VALU_DEP_1)
	v_mul_f32_e32 v5, 0x7800000, v5
	v_cndmask_b32_e32 v3, v5, v6, vcc_lo
	s_delay_alu instid0(VALU_DEP_1) | instskip(NEXT) | instid1(VALU_DEP_1)
	v_and_or_b32 v2, 0x80000000, v2, v3
	v_cvt_i32_f32_e32 v2, v2
.LBB38_735:
	s_mov_b32 s28, 0
	s_mov_b32 s29, -1
.LBB38_736:
	s_and_not1_b32 vcc_lo, exec_lo, s28
	s_mov_b32 s28, 0
	s_cbranch_vccnz .LBB38_747
; %bb.737:
	s_cmp_gt_i32 s26, 14
	s_cbranch_scc0 .LBB38_740
; %bb.738:
	s_cmp_eq_u32 s26, 15
	s_cbranch_scc0 .LBB38_743
; %bb.739:
	s_wait_loadcnt 0x0
	global_load_u16 v2, v[0:1], off
	s_mov_b32 s27, 0
	s_mov_b32 s29, -1
	s_wait_loadcnt 0x0
	v_lshlrev_b32_e32 v2, 16, v2
	s_delay_alu instid0(VALU_DEP_1)
	v_cvt_i32_f32_e32 v2, v2
	s_branch .LBB38_745
.LBB38_740:
	s_mov_b32 s28, -1
	s_branch .LBB38_744
.LBB38_741:
	s_and_not1_saveexec_b32 s28, s28
	s_cbranch_execz .LBB38_722
.LBB38_742:
	v_cmp_ne_u16_e32 vcc_lo, 0, v3
	s_and_not1_b32 s29, s29, exec_lo
	s_and_b32 s30, vcc_lo, exec_lo
	s_delay_alu instid0(SALU_CYCLE_1)
	s_or_b32 s29, s29, s30
	s_or_b32 exec_lo, exec_lo, s28
	v_mov_b32_e32 v2, 0
	s_and_saveexec_b32 s28, s29
	s_cbranch_execnz .LBB38_723
	s_branch .LBB38_724
.LBB38_743:
	s_mov_b32 s27, -1
.LBB38_744:
                                        ; implicit-def: $vgpr2
.LBB38_745:
	s_and_b32 vcc_lo, exec_lo, s28
	s_mov_b32 s28, 0
	s_cbranch_vccz .LBB38_747
; %bb.746:
	s_cmp_lg_u32 s26, 11
	s_mov_b32 s28, -1
	s_cselect_b32 s26, -1, 0
	s_and_not1_b32 s27, s27, exec_lo
	s_and_b32 s26, s26, exec_lo
	s_delay_alu instid0(SALU_CYCLE_1)
	s_or_b32 s27, s27, s26
.LBB38_747:
	s_mov_b32 s26, 0
.LBB38_748:
	s_and_not1_b32 s30, s0, exec_lo
	s_and_b32 s27, s27, exec_lo
	s_and_b32 s31, s29, exec_lo
	;; [unrolled: 1-line block ×4, first 2 shown]
	s_or_b32 s30, s30, s27
.LBB38_749:
	s_wait_xcnt 0x0
	s_or_b32 exec_lo, exec_lo, s13
	s_delay_alu instid0(SALU_CYCLE_1)
	s_and_not1_b32 s0, s0, exec_lo
	s_and_b32 s13, s30, exec_lo
	s_and_b32 s28, s31, exec_lo
	;; [unrolled: 1-line block ×4, first 2 shown]
	s_or_b32 s0, s0, s13
.LBB38_750:
	s_or_b32 exec_lo, exec_lo, s23
	s_delay_alu instid0(SALU_CYCLE_1)
	s_and_not1_b32 s13, s20, exec_lo
	s_and_b32 s20, s25, exec_lo
	s_and_not1_b32 s21, s21, exec_lo
	s_and_b32 s23, s24, exec_lo
	s_or_b32 s20, s13, s20
	s_and_not1_b32 s13, s19, exec_lo
	s_and_b32 s0, s0, exec_lo
	s_or_b32 s21, s21, s23
	s_and_b32 s25, s28, exec_lo
	s_and_b32 s24, s27, exec_lo
	;; [unrolled: 1-line block ×3, first 2 shown]
	s_or_b32 s19, s13, s0
.LBB38_751:
	s_or_b32 exec_lo, exec_lo, s22
	s_delay_alu instid0(SALU_CYCLE_1)
	s_and_not1_b32 s0, s15, exec_lo
	s_and_b32 s13, s20, exec_lo
	s_and_not1_b32 s16, s16, exec_lo
	s_and_b32 s20, s21, exec_lo
	s_or_b32 s15, s0, s13
	s_and_not1_b32 s13, s17, exec_lo
	s_and_b32 s17, s19, exec_lo
	s_or_b32 s16, s16, s20
	s_and_b32 s0, s25, exec_lo
	s_and_b32 s20, s24, exec_lo
	;; [unrolled: 1-line block ×3, first 2 shown]
	s_or_b32 s17, s13, s17
	s_or_b32 exec_lo, exec_lo, s18
	s_mov_b32 s13, 0
	s_and_saveexec_b32 s18, s17
	s_cbranch_execz .LBB38_231
.LBB38_752:
	s_mov_b32 s13, exec_lo
	s_and_not1_b32 s19, s19, exec_lo
	s_trap 2
	s_or_b32 exec_lo, exec_lo, s18
	s_and_saveexec_b32 s17, s19
	s_delay_alu instid0(SALU_CYCLE_1)
	s_xor_b32 s17, exec_lo, s17
	s_cbranch_execnz .LBB38_232
.LBB38_753:
	s_or_b32 exec_lo, exec_lo, s17
	s_and_saveexec_b32 s17, s20
	s_cbranch_execz .LBB38_799
.LBB38_754:
	s_sext_i32_i16 s18, s2
	s_delay_alu instid0(SALU_CYCLE_1)
	s_cmp_lt_i32 s18, 5
	s_cbranch_scc1 .LBB38_759
; %bb.755:
	s_cmp_lt_i32 s18, 8
	s_cbranch_scc1 .LBB38_760
; %bb.756:
	;; [unrolled: 3-line block ×3, first 2 shown]
	s_cmp_gt_i32 s18, 9
	s_cbranch_scc0 .LBB38_762
; %bb.758:
	s_wait_loadcnt 0x0
	global_load_b64 v[2:3], v[0:1], off
	s_mov_b32 s18, 0
	s_wait_loadcnt 0x0
	v_cvt_i32_f64_e32 v2, v[2:3]
	s_branch .LBB38_763
.LBB38_759:
                                        ; implicit-def: $vgpr2
	s_branch .LBB38_780
.LBB38_760:
                                        ; implicit-def: $vgpr2
	s_branch .LBB38_769
.LBB38_761:
	s_mov_b32 s18, -1
                                        ; implicit-def: $vgpr2
	s_branch .LBB38_766
.LBB38_762:
	s_mov_b32 s18, -1
                                        ; implicit-def: $vgpr2
.LBB38_763:
	s_delay_alu instid0(SALU_CYCLE_1)
	s_and_not1_b32 vcc_lo, exec_lo, s18
	s_cbranch_vccnz .LBB38_765
; %bb.764:
	s_wait_loadcnt 0x0
	global_load_b32 v2, v[0:1], off
	s_wait_loadcnt 0x0
	v_cvt_i32_f32_e32 v2, v2
.LBB38_765:
	s_mov_b32 s18, 0
.LBB38_766:
	s_delay_alu instid0(SALU_CYCLE_1)
	s_and_not1_b32 vcc_lo, exec_lo, s18
	s_cbranch_vccnz .LBB38_768
; %bb.767:
	s_wait_loadcnt 0x0
	global_load_b32 v2, v[0:1], off
	s_wait_loadcnt 0x0
	v_cvt_f32_f16_e32 v2, v2
	s_delay_alu instid0(VALU_DEP_1)
	v_cvt_i32_f32_e32 v2, v2
.LBB38_768:
	s_cbranch_execnz .LBB38_779
.LBB38_769:
	s_sext_i32_i16 s18, s2
	s_delay_alu instid0(SALU_CYCLE_1)
	s_cmp_lt_i32 s18, 6
	s_cbranch_scc1 .LBB38_772
; %bb.770:
	s_cmp_gt_i32 s18, 6
	s_cbranch_scc0 .LBB38_773
; %bb.771:
	s_wait_loadcnt 0x0
	global_load_b64 v[2:3], v[0:1], off
	s_mov_b32 s18, 0
	s_wait_loadcnt 0x0
	v_cvt_i32_f64_e32 v2, v[2:3]
	s_branch .LBB38_774
.LBB38_772:
	s_mov_b32 s18, -1
                                        ; implicit-def: $vgpr2
	s_branch .LBB38_777
.LBB38_773:
	s_mov_b32 s18, -1
                                        ; implicit-def: $vgpr2
.LBB38_774:
	s_delay_alu instid0(SALU_CYCLE_1)
	s_and_not1_b32 vcc_lo, exec_lo, s18
	s_cbranch_vccnz .LBB38_776
; %bb.775:
	s_wait_loadcnt 0x0
	global_load_b32 v2, v[0:1], off
	s_wait_loadcnt 0x0
	v_cvt_i32_f32_e32 v2, v2
.LBB38_776:
	s_mov_b32 s18, 0
.LBB38_777:
	s_delay_alu instid0(SALU_CYCLE_1)
	s_and_not1_b32 vcc_lo, exec_lo, s18
	s_cbranch_vccnz .LBB38_779
; %bb.778:
	s_wait_loadcnt 0x0
	global_load_u16 v2, v[0:1], off
	s_wait_loadcnt 0x0
	v_cvt_f32_f16_e32 v2, v2
	s_delay_alu instid0(VALU_DEP_1)
	v_cvt_i32_f32_e32 v2, v2
.LBB38_779:
	s_cbranch_execnz .LBB38_798
.LBB38_780:
	s_sext_i32_i16 s18, s2
	s_delay_alu instid0(SALU_CYCLE_1)
	s_cmp_lt_i32 s18, 2
	s_cbranch_scc1 .LBB38_784
; %bb.781:
	s_cmp_lt_i32 s18, 3
	s_cbranch_scc1 .LBB38_785
; %bb.782:
	s_cmp_gt_i32 s18, 3
	s_cbranch_scc0 .LBB38_786
; %bb.783:
	s_wait_loadcnt 0x0
	global_load_b32 v2, v[0:1], off
	s_mov_b32 s18, 0
	s_branch .LBB38_787
.LBB38_784:
                                        ; implicit-def: $vgpr2
	s_branch .LBB38_793
.LBB38_785:
	s_mov_b32 s18, -1
                                        ; implicit-def: $vgpr2
	s_branch .LBB38_790
.LBB38_786:
	s_mov_b32 s18, -1
                                        ; implicit-def: $vgpr2
.LBB38_787:
	s_delay_alu instid0(SALU_CYCLE_1)
	s_and_not1_b32 vcc_lo, exec_lo, s18
	s_cbranch_vccnz .LBB38_789
; %bb.788:
	s_wait_loadcnt 0x0
	global_load_b32 v2, v[0:1], off
.LBB38_789:
	s_mov_b32 s18, 0
.LBB38_790:
	s_delay_alu instid0(SALU_CYCLE_1)
	s_and_not1_b32 vcc_lo, exec_lo, s18
	s_cbranch_vccnz .LBB38_792
; %bb.791:
	s_wait_loadcnt 0x0
	global_load_i16 v2, v[0:1], off
.LBB38_792:
	s_cbranch_execnz .LBB38_798
.LBB38_793:
	s_sext_i32_i16 s18, s2
	s_delay_alu instid0(SALU_CYCLE_1)
	s_cmp_gt_i32 s18, 0
	s_mov_b32 s18, 0
	s_cbranch_scc0 .LBB38_795
; %bb.794:
	s_wait_loadcnt 0x0
	global_load_i8 v2, v[0:1], off
	s_branch .LBB38_796
.LBB38_795:
	s_mov_b32 s18, -1
                                        ; implicit-def: $vgpr2
.LBB38_796:
	s_delay_alu instid0(SALU_CYCLE_1)
	s_and_not1_b32 vcc_lo, exec_lo, s18
	s_cbranch_vccnz .LBB38_798
; %bb.797:
	s_wait_loadcnt 0x0
	global_load_u8 v2, v[0:1], off
.LBB38_798:
	s_or_b32 s0, s0, exec_lo
.LBB38_799:
	s_wait_xcnt 0x0
	s_or_b32 exec_lo, exec_lo, s17
	s_mov_b32 s18, 0
	s_and_saveexec_b32 s17, s0
	s_delay_alu instid0(SALU_CYCLE_1)
	s_xor_b32 s17, exec_lo, s17
	s_cbranch_execz .LBB38_801
; %bb.800:
	s_wait_loadcnt 0x0
	s_delay_alu instid0(VALU_DEP_1) | instskip(SKIP_3) | instid1(SALU_CYCLE_1)
	v_cmp_le_i32_e32 vcc_lo, s10, v2
	v_cmp_gt_i32_e64 s0, s12, v2
	s_mov_b32 s18, exec_lo
	s_and_b32 s0, vcc_lo, s0
	s_and_b32 s0, s11, s0
	s_and_not1_b32 s11, s16, exec_lo
	s_xor_b32 s0, s0, -1
	s_delay_alu instid0(SALU_CYCLE_1) | instskip(NEXT) | instid1(SALU_CYCLE_1)
	s_and_b32 s0, s0, exec_lo
	s_or_b32 s16, s11, s0
.LBB38_801:
	s_or_b32 exec_lo, exec_lo, s17
	s_and_saveexec_b32 s0, s16
	s_cbranch_execnz .LBB38_814
.LBB38_802:
	s_or_b32 exec_lo, exec_lo, s0
	s_mov_b32 s16, 0
	s_mov_b32 s17, 0
                                        ; implicit-def: $sgpr0
                                        ; implicit-def: $vgpr0_vgpr1
	s_and_saveexec_b32 s11, s18
	s_cbranch_execz .LBB38_810
; %bb.803:
	v_mul_lo_u32 v0, v4, s8
	s_and_b32 s0, s14, 0xff
	s_delay_alu instid0(SALU_CYCLE_1) | instskip(NEXT) | instid1(VALU_DEP_1)
	s_cmp_lt_i32 s0, 11
	v_ashrrev_i32_e32 v1, 31, v0
	s_delay_alu instid0(VALU_DEP_1)
	v_add_nc_u64_e32 v[0:1], s[4:5], v[0:1]
	s_cbranch_scc1 .LBB38_813
; %bb.804:
	s_and_b32 s17, 0xffff, s0
	s_mov_b32 s18, -1
	s_cmp_gt_i32 s17, 25
	s_mov_b32 s16, s15
	s_cbranch_scc0 .LBB38_834
; %bb.805:
	s_cmp_gt_i32 s17, 28
	s_mov_b32 s16, s15
	s_cbranch_scc0 .LBB38_824
; %bb.806:
	s_cmp_gt_i32 s17, 43
	s_mov_b32 s16, s15
	s_cbranch_scc0 .LBB38_820
; %bb.807:
	s_cmp_gt_i32 s17, 45
	s_mov_b32 s16, s15
	s_cbranch_scc0 .LBB38_816
; %bb.808:
	s_cmp_eq_u32 s17, 46
	s_mov_b32 s16, -1
	s_cbranch_scc0 .LBB38_815
; %bb.809:
	s_wait_loadcnt 0x0
	v_mov_b32_e32 v2, 0
	s_mov_b32 s16, 0
	s_mov_b32 s18, 0
	global_store_b32 v[0:1], v2, off
	s_branch .LBB38_816
.LBB38_810:
	s_or_b32 exec_lo, exec_lo, s11
	s_and_saveexec_b32 s11, s15
	s_cbranch_execnz .LBB38_854
.LBB38_811:
	s_or_b32 exec_lo, exec_lo, s11
	s_and_saveexec_b32 s11, s16
	s_delay_alu instid0(SALU_CYCLE_1)
	s_xor_b32 s11, exec_lo, s11
	s_cbranch_execz .LBB38_855
.LBB38_812:
	s_wait_loadcnt 0x0
	v_mov_b32_e32 v2, 0
	global_store_b8 v[0:1], v2, off
	s_wait_xcnt 0x0
	s_or_b32 exec_lo, exec_lo, s11
	s_and_saveexec_b32 s11, s17
	s_delay_alu instid0(SALU_CYCLE_1)
	s_xor_b32 s11, exec_lo, s11
	s_cbranch_execz .LBB38_893
	s_branch .LBB38_856
.LBB38_813:
	s_mov_b32 s19, 0
	s_mov_b32 s18, -1
	s_mov_b32 s16, s15
	s_branch .LBB38_853
.LBB38_814:
	s_or_b32 s13, s13, exec_lo
	s_and_not1_b32 s18, s18, exec_lo
	s_trap 2
	s_branch .LBB38_802
.LBB38_815:
	s_mov_b32 s18, 0
.LBB38_816:
	s_delay_alu instid0(SALU_CYCLE_1)
	s_and_b32 vcc_lo, exec_lo, s18
	s_cbranch_vccz .LBB38_819
; %bb.817:
	s_cmp_eq_u32 s17, 44
	s_mov_b32 s16, -1
	s_cbranch_scc0 .LBB38_819
; %bb.818:
	s_wait_loadcnt 0x0
	v_mov_b32_e32 v2, 0
	s_mov_b32 s16, 0
	s_mov_b32 s18, 0
	global_store_b8 v[0:1], v2, off
	s_branch .LBB38_820
.LBB38_819:
	s_mov_b32 s18, 0
.LBB38_820:
	s_delay_alu instid0(SALU_CYCLE_1)
	s_and_b32 vcc_lo, exec_lo, s18
	s_cbranch_vccz .LBB38_823
; %bb.821:
	s_cmp_eq_u32 s17, 29
	s_mov_b32 s16, -1
	s_cbranch_scc0 .LBB38_823
; %bb.822:
	s_wait_loadcnt 0x0
	v_mov_b64_e32 v[2:3], 0
	s_mov_b32 s16, 0
	s_mov_b32 s18, 0
	global_store_b64 v[0:1], v[2:3], off
	s_branch .LBB38_824
.LBB38_823:
	s_mov_b32 s18, 0
.LBB38_824:
	s_delay_alu instid0(SALU_CYCLE_1)
	s_and_b32 vcc_lo, exec_lo, s18
	s_cbranch_vccz .LBB38_833
; %bb.825:
	s_cmp_lt_i32 s17, 27
	s_mov_b32 s18, -1
	s_cbranch_scc1 .LBB38_831
; %bb.826:
	s_cmp_gt_i32 s17, 27
	s_cbranch_scc0 .LBB38_828
; %bb.827:
	s_wait_loadcnt 0x0
	v_mov_b32_e32 v2, 0
	s_mov_b32 s18, 0
	global_store_b32 v[0:1], v2, off
.LBB38_828:
	s_and_not1_b32 vcc_lo, exec_lo, s18
	s_cbranch_vccnz .LBB38_830
; %bb.829:
	s_wait_loadcnt 0x0
	v_mov_b32_e32 v2, 0
	global_store_b16 v[0:1], v2, off
.LBB38_830:
	s_mov_b32 s18, 0
.LBB38_831:
	s_delay_alu instid0(SALU_CYCLE_1)
	s_and_not1_b32 vcc_lo, exec_lo, s18
	s_cbranch_vccnz .LBB38_833
; %bb.832:
	s_wait_loadcnt 0x0
	v_mov_b32_e32 v2, 0
	global_store_b8 v[0:1], v2, off
.LBB38_833:
	s_mov_b32 s18, 0
.LBB38_834:
	s_delay_alu instid0(SALU_CYCLE_1)
	s_and_b32 vcc_lo, exec_lo, s18
	s_mov_b32 s18, 0
	s_cbranch_vccz .LBB38_852
; %bb.835:
	s_cmp_gt_i32 s17, 22
	s_mov_b32 s19, -1
	s_cbranch_scc0 .LBB38_845
; %bb.836:
	s_cmp_lt_i32 s17, 24
	s_cbranch_scc1 .LBB38_842
; %bb.837:
	s_cmp_gt_i32 s17, 24
	s_cbranch_scc0 .LBB38_839
; %bb.838:
	s_wait_loadcnt 0x0
	v_mov_b32_e32 v2, 0
	s_mov_b32 s19, 0
	global_store_b8 v[0:1], v2, off
.LBB38_839:
	s_and_not1_b32 vcc_lo, exec_lo, s19
	s_cbranch_vccnz .LBB38_841
; %bb.840:
	s_wait_loadcnt 0x0
	v_mov_b32_e32 v2, 0
	global_store_b8 v[0:1], v2, off
.LBB38_841:
	s_mov_b32 s19, 0
.LBB38_842:
	s_delay_alu instid0(SALU_CYCLE_1)
	s_and_not1_b32 vcc_lo, exec_lo, s19
	s_cbranch_vccnz .LBB38_844
; %bb.843:
	s_wait_loadcnt 0x0
	v_mov_b32_e32 v2, 0
	global_store_b8 v[0:1], v2, off
.LBB38_844:
	s_mov_b32 s19, 0
.LBB38_845:
	s_delay_alu instid0(SALU_CYCLE_1)
	s_and_not1_b32 vcc_lo, exec_lo, s19
	s_mov_b32 s19, 0
	s_cbranch_vccnz .LBB38_853
; %bb.846:
	s_cmp_gt_i32 s17, 14
	s_mov_b32 s19, -1
	s_cbranch_scc0 .LBB38_850
; %bb.847:
	s_cmp_eq_u32 s17, 15
	s_mov_b32 s16, -1
	s_cbranch_scc0 .LBB38_849
; %bb.848:
	s_wait_loadcnt 0x0
	v_mov_b32_e32 v2, 0
	s_mov_b32 s16, 0
	global_store_b16 v[0:1], v2, off
.LBB38_849:
	s_mov_b32 s19, 0
.LBB38_850:
	s_delay_alu instid0(SALU_CYCLE_1)
	s_and_b32 vcc_lo, exec_lo, s19
	s_mov_b32 s19, 0
	s_cbranch_vccz .LBB38_853
; %bb.851:
	s_cmp_lg_u32 s17, 11
	s_mov_b32 s19, -1
	s_cselect_b32 s17, -1, 0
	s_and_not1_b32 s16, s16, exec_lo
	s_and_b32 s17, s17, exec_lo
	s_delay_alu instid0(SALU_CYCLE_1)
	s_or_b32 s16, s16, s17
	s_branch .LBB38_853
.LBB38_852:
	s_mov_b32 s19, 0
.LBB38_853:
	s_and_b32 s17, s18, exec_lo
	s_and_not1_b32 s15, s15, exec_lo
	s_and_b32 s18, s16, exec_lo
	s_and_b32 s16, s19, exec_lo
	s_or_b32 s15, s15, s18
	s_wait_xcnt 0x0
	s_or_b32 exec_lo, exec_lo, s11
	s_and_saveexec_b32 s11, s15
	s_cbranch_execz .LBB38_811
.LBB38_854:
	s_or_b32 s13, s13, exec_lo
	s_and_not1_b32 s16, s16, exec_lo
	s_trap 2
	s_or_b32 exec_lo, exec_lo, s11
	s_and_saveexec_b32 s11, s16
	s_delay_alu instid0(SALU_CYCLE_1)
	s_xor_b32 s11, exec_lo, s11
	s_cbranch_execnz .LBB38_812
.LBB38_855:
	s_or_b32 exec_lo, exec_lo, s11
	s_and_saveexec_b32 s11, s17
	s_delay_alu instid0(SALU_CYCLE_1)
	s_xor_b32 s11, exec_lo, s11
	s_cbranch_execz .LBB38_893
.LBB38_856:
	s_sext_i32_i16 s16, s0
	s_mov_b32 s15, -1
	s_cmp_lt_i32 s16, 5
	s_cbranch_scc1 .LBB38_877
; %bb.857:
	s_cmp_lt_i32 s16, 8
	s_cbranch_scc1 .LBB38_867
; %bb.858:
	;; [unrolled: 3-line block ×3, first 2 shown]
	s_cmp_gt_i32 s16, 9
	s_cbranch_scc0 .LBB38_861
; %bb.860:
	s_wait_loadcnt 0x0
	v_mov_b32_e32 v2, 0
	s_mov_b32 s15, 0
	s_delay_alu instid0(VALU_DEP_1)
	v_dual_mov_b32 v3, v2 :: v_dual_mov_b32 v4, v2
	v_mov_b32_e32 v5, v2
	global_store_b128 v[0:1], v[2:5], off
.LBB38_861:
	s_and_not1_b32 vcc_lo, exec_lo, s15
	s_cbranch_vccnz .LBB38_863
; %bb.862:
	s_wait_loadcnt 0x0
	v_mov_b64_e32 v[2:3], 0
	global_store_b64 v[0:1], v[2:3], off
.LBB38_863:
	s_mov_b32 s15, 0
.LBB38_864:
	s_delay_alu instid0(SALU_CYCLE_1)
	s_and_not1_b32 vcc_lo, exec_lo, s15
	s_cbranch_vccnz .LBB38_866
; %bb.865:
	s_wait_loadcnt 0x0
	v_mov_b32_e32 v2, 0
	global_store_b32 v[0:1], v2, off
.LBB38_866:
	s_mov_b32 s15, 0
.LBB38_867:
	s_delay_alu instid0(SALU_CYCLE_1)
	s_and_not1_b32 vcc_lo, exec_lo, s15
	s_cbranch_vccnz .LBB38_876
; %bb.868:
	s_sext_i32_i16 s16, s0
	s_mov_b32 s15, -1
	s_cmp_lt_i32 s16, 6
	s_cbranch_scc1 .LBB38_874
; %bb.869:
	s_cmp_gt_i32 s16, 6
	s_cbranch_scc0 .LBB38_871
; %bb.870:
	s_wait_loadcnt 0x0
	v_mov_b64_e32 v[2:3], 0
	s_mov_b32 s15, 0
	global_store_b64 v[0:1], v[2:3], off
.LBB38_871:
	s_and_not1_b32 vcc_lo, exec_lo, s15
	s_cbranch_vccnz .LBB38_873
; %bb.872:
	s_wait_loadcnt 0x0
	v_mov_b32_e32 v2, 0
	global_store_b32 v[0:1], v2, off
.LBB38_873:
	s_mov_b32 s15, 0
.LBB38_874:
	s_delay_alu instid0(SALU_CYCLE_1)
	s_and_not1_b32 vcc_lo, exec_lo, s15
	s_cbranch_vccnz .LBB38_876
; %bb.875:
	s_wait_loadcnt 0x0
	v_mov_b32_e32 v2, 0
	global_store_b16 v[0:1], v2, off
.LBB38_876:
	s_mov_b32 s15, 0
.LBB38_877:
	s_delay_alu instid0(SALU_CYCLE_1)
	s_and_not1_b32 vcc_lo, exec_lo, s15
	s_cbranch_vccnz .LBB38_893
; %bb.878:
	s_sext_i32_i16 s16, s0
	s_mov_b32 s15, -1
	s_cmp_lt_i32 s16, 2
	s_cbranch_scc1 .LBB38_888
; %bb.879:
	s_cmp_lt_i32 s16, 3
	s_cbranch_scc1 .LBB38_885
; %bb.880:
	s_cmp_gt_i32 s16, 3
	s_cbranch_scc0 .LBB38_882
; %bb.881:
	s_wait_loadcnt 0x0
	v_mov_b64_e32 v[2:3], 0
	s_mov_b32 s15, 0
	global_store_b64 v[0:1], v[2:3], off
.LBB38_882:
	s_and_not1_b32 vcc_lo, exec_lo, s15
	s_cbranch_vccnz .LBB38_884
; %bb.883:
	s_wait_loadcnt 0x0
	v_mov_b32_e32 v2, 0
	global_store_b32 v[0:1], v2, off
.LBB38_884:
	s_mov_b32 s15, 0
.LBB38_885:
	s_delay_alu instid0(SALU_CYCLE_1)
	s_and_not1_b32 vcc_lo, exec_lo, s15
	s_cbranch_vccnz .LBB38_887
; %bb.886:
	s_wait_loadcnt 0x0
	v_mov_b32_e32 v2, 0
	global_store_b16 v[0:1], v2, off
.LBB38_887:
	s_mov_b32 s15, 0
.LBB38_888:
	s_delay_alu instid0(SALU_CYCLE_1)
	s_and_not1_b32 vcc_lo, exec_lo, s15
	s_cbranch_vccnz .LBB38_893
; %bb.889:
	s_sext_i32_i16 s0, s0
	s_delay_alu instid0(SALU_CYCLE_1)
	s_cmp_gt_i32 s0, 0
	s_mov_b32 s0, -1
	s_cbranch_scc0 .LBB38_891
; %bb.890:
	s_wait_loadcnt 0x0
	v_mov_b32_e32 v2, 0
	s_mov_b32 s0, 0
	global_store_b8 v[0:1], v2, off
.LBB38_891:
	s_and_not1_b32 vcc_lo, exec_lo, s0
	s_cbranch_vccnz .LBB38_893
; %bb.892:
	s_wait_loadcnt 0x0
	v_mov_b32_e32 v2, 0
	global_store_b8 v[0:1], v2, off
.LBB38_893:
	s_wait_xcnt 0x0
	s_or_b32 exec_lo, exec_lo, s11
	s_delay_alu instid0(SALU_CYCLE_1)
	s_and_b32 s11, s13, exec_lo
                                        ; implicit-def: $vgpr4
.LBB38_894:
	s_or_saveexec_b32 s3, s3
	s_mov_b32 s15, 0
                                        ; implicit-def: $sgpr0
                                        ; implicit-def: $vgpr2_vgpr3
	s_xor_b32 exec_lo, exec_lo, s3
	s_cbranch_execz .LBB38_1729
; %bb.895:
	v_mul_lo_u32 v0, s9, v4
	s_and_b32 s15, 0xffff, s2
	s_delay_alu instid0(SALU_CYCLE_1) | instskip(NEXT) | instid1(VALU_DEP_1)
	s_cmp_lt_i32 s15, 11
	v_ashrrev_i32_e32 v1, 31, v0
	s_wait_loadcnt 0x0
	s_delay_alu instid0(VALU_DEP_1)
	v_add_nc_u64_e32 v[2:3], s[6:7], v[0:1]
	s_cbranch_scc1 .LBB38_902
; %bb.896:
	s_cmp_gt_i32 s15, 25
	s_mov_b32 s2, 0
	s_cbranch_scc0 .LBB38_913
; %bb.897:
	s_cmp_gt_i32 s15, 28
	s_cbranch_scc0 .LBB38_914
; %bb.898:
	s_cmp_gt_i32 s15, 43
	;; [unrolled: 3-line block ×3, first 2 shown]
	s_cbranch_scc0 .LBB38_928
; %bb.900:
	s_cmp_eq_u32 s15, 46
	s_cbranch_scc0 .LBB38_931
; %bb.901:
	global_load_b32 v1, v[2:3], off
	s_mov_b32 s0, 0
	s_mov_b32 s13, -1
	s_wait_loadcnt 0x0
	v_lshlrev_b32_e32 v1, 16, v1
	s_delay_alu instid0(VALU_DEP_1)
	v_cvt_i32_f32_e32 v1, v1
	s_branch .LBB38_933
.LBB38_902:
	s_mov_b32 s13, 0
	s_mov_b32 s1, s11
                                        ; implicit-def: $vgpr1
	s_cbranch_execnz .LBB38_993
.LBB38_903:
	s_and_not1_b32 vcc_lo, exec_lo, s13
	s_cbranch_vccnz .LBB38_1038
.LBB38_904:
	s_wait_loadcnt 0x0
	s_delay_alu instid0(VALU_DEP_1)
	v_cmp_gt_i32_e32 vcc_lo, s10, v1
	v_cmp_le_i32_e64 s0, s12, v1
	s_get_pc_i64 s[16:17]
	s_add_nc_u64 s[16:17], s[16:17], .str@rel64+4
	s_or_b32 s0, vcc_lo, s0
	s_cmp_eq_u64 s[16:17], 0
	s_cselect_b32 s2, -1, 0
	s_delay_alu instid0(SALU_CYCLE_1) | instskip(SKIP_2) | instid1(SALU_CYCLE_1)
	s_or_b32 s0, s2, s0
	s_wait_xcnt 0x0
	s_and_saveexec_b32 s2, s0
	s_xor_b32 s0, exec_lo, s2
	s_cbranch_execnz .LBB38_1288
.LBB38_905:
	s_or_saveexec_b32 s2, s0
	s_mov_b32 s13, 0
	s_mov_b32 s17, 0
                                        ; implicit-def: $sgpr0
                                        ; implicit-def: $vgpr2_vgpr3
	s_xor_b32 exec_lo, exec_lo, s2
	s_cbranch_execz .LBB38_1727
; %bb.906:
	s_lshl_b32 s18, s9, 7
	s_cmp_lt_i32 s15, 11
	v_add_nc_u32_e32 v0, s18, v0
	s_delay_alu instid0(VALU_DEP_1) | instskip(NEXT) | instid1(VALU_DEP_1)
	v_ashrrev_i32_e32 v1, 31, v0
	v_add_nc_u64_e32 v[2:3], s[6:7], v[0:1]
	s_cbranch_scc1 .LBB38_915
; %bb.907:
	s_cmp_gt_i32 s15, 25
	s_cbranch_scc0 .LBB38_927
; %bb.908:
	s_cmp_gt_i32 s15, 28
	s_cbranch_scc0 .LBB38_929
	;; [unrolled: 3-line block ×4, first 2 shown]
; %bb.911:
	s_cmp_eq_u32 s15, 46
	s_mov_b32 s9, 0
	s_cbranch_scc0 .LBB38_1042
; %bb.912:
	global_load_b32 v1, v[2:3], off
	s_mov_b32 s0, 0
	s_mov_b32 s16, -1
	s_wait_loadcnt 0x0
	v_lshlrev_b32_e32 v1, 16, v1
	s_delay_alu instid0(VALU_DEP_1)
	v_cvt_i32_f32_e32 v1, v1
	s_branch .LBB38_1044
.LBB38_913:
	s_mov_b32 s13, 0
	s_mov_b32 s0, 0
                                        ; implicit-def: $vgpr1
	s_cbranch_execnz .LBB38_960
	s_branch .LBB38_989
.LBB38_914:
	s_mov_b32 s13, 0
	s_mov_b32 s0, 0
                                        ; implicit-def: $vgpr1
	s_cbranch_execz .LBB38_959
	s_branch .LBB38_944
.LBB38_915:
	s_mov_b32 s16, 0
	s_mov_b32 s9, s1
                                        ; implicit-def: $vgpr1
	s_cbranch_execnz .LBB38_1107
.LBB38_916:
	s_and_not1_b32 vcc_lo, exec_lo, s16
	s_cbranch_vccnz .LBB38_1155
.LBB38_917:
	s_wait_loadcnt 0x0
	s_delay_alu instid0(VALU_DEP_1) | instskip(SKIP_4) | instid1(SALU_CYCLE_1)
	v_cmp_gt_i32_e32 vcc_lo, s10, v1
	v_cmp_le_i32_e64 s0, s12, v1
	s_or_b32 s0, vcc_lo, s0
	s_wait_xcnt 0x0
	s_and_saveexec_b32 s13, s0
	s_xor_b32 s0, exec_lo, s13
	s_cbranch_execnz .LBB38_1775
.LBB38_918:
	s_or_saveexec_b32 s13, s0
	s_mov_b32 s16, 0
	s_mov_b32 s17, 0
                                        ; implicit-def: $sgpr0
                                        ; implicit-def: $vgpr2_vgpr3
	s_xor_b32 exec_lo, exec_lo, s13
	s_cbranch_execz .LBB38_1725
; %bb.919:
	v_add_nc_u32_e32 v0, s18, v0
	s_cmp_lt_i32 s15, 11
	s_delay_alu instid0(VALU_DEP_1) | instskip(NEXT) | instid1(VALU_DEP_1)
	v_ashrrev_i32_e32 v1, 31, v0
	v_add_nc_u64_e32 v[2:3], s[6:7], v[0:1]
	s_cbranch_scc1 .LBB38_930
; %bb.920:
	s_cmp_gt_i32 s15, 25
	s_cbranch_scc0 .LBB38_938
; %bb.921:
	s_cmp_gt_i32 s15, 28
	s_cbranch_scc0 .LBB38_1041
; %bb.922:
	s_cmp_gt_i32 s15, 43
	s_cbranch_scc0 .LBB38_1047
; %bb.923:
	s_cmp_gt_i32 s15, 45
	s_cbranch_scc0 .LBB38_1157
; %bb.924:
	s_cmp_eq_u32 s15, 46
	s_cbranch_scc0 .LBB38_1158
; %bb.925:
	global_load_b32 v1, v[2:3], off
	s_mov_b32 s0, 0
	s_mov_b32 s19, -1
	s_wait_loadcnt 0x0
	v_lshlrev_b32_e32 v1, 16, v1
	s_delay_alu instid0(VALU_DEP_1)
	v_cvt_i32_f32_e32 v1, v1
	s_branch .LBB38_1160
.LBB38_926:
	s_mov_b32 s13, 0
	s_mov_b32 s0, 0
                                        ; implicit-def: $vgpr1
	s_cbranch_execnz .LBB38_940
	s_branch .LBB38_943
.LBB38_927:
	s_mov_b32 s9, -1
	s_mov_b32 s16, 0
	s_mov_b32 s0, 0
                                        ; implicit-def: $vgpr1
	s_branch .LBB38_1072
.LBB38_928:
	s_mov_b32 s1, -1
	s_mov_b32 s13, 0
	s_mov_b32 s0, 0
	s_branch .LBB38_932
.LBB38_929:
	s_mov_b32 s9, -1
	s_mov_b32 s16, 0
	s_mov_b32 s0, 0
                                        ; implicit-def: $vgpr1
	s_branch .LBB38_1055
.LBB38_930:
	s_mov_b32 s0, -1
	s_mov_b32 s19, 0
	s_mov_b32 s16, s9
                                        ; implicit-def: $vgpr1
	s_branch .LBB38_1222
.LBB38_931:
	s_mov_b32 s0, -1
	s_mov_b32 s13, 0
.LBB38_932:
                                        ; implicit-def: $vgpr1
.LBB38_933:
	s_and_b32 vcc_lo, exec_lo, s1
	s_cbranch_vccz .LBB38_936
; %bb.934:
	s_cmp_eq_u32 s15, 44
	s_cbranch_scc0 .LBB38_939
; %bb.935:
	global_load_u8 v1, v[2:3], off
	s_mov_b32 s0, 0
	s_mov_b32 s13, -1
	s_wait_loadcnt 0x0
	v_lshlrev_b32_e32 v5, 23, v1
	v_cmp_ne_u32_e32 vcc_lo, 0, v1
	s_delay_alu instid0(VALU_DEP_2) | instskip(NEXT) | instid1(VALU_DEP_1)
	v_cvt_i32_f32_e32 v5, v5
	v_cndmask_b32_e32 v1, 0, v5, vcc_lo
.LBB38_936:
	s_branch .LBB38_943
.LBB38_937:
	s_mov_b32 s9, -1
	s_mov_b32 s16, 0
	s_mov_b32 s0, 0
                                        ; implicit-def: $vgpr1
	s_branch .LBB38_1050
.LBB38_938:
	s_mov_b32 s16, -1
	s_mov_b32 s19, 0
	s_mov_b32 s0, 0
                                        ; implicit-def: $vgpr1
	s_branch .LBB38_1187
.LBB38_939:
	s_mov_b32 s0, -1
                                        ; implicit-def: $vgpr1
	s_branch .LBB38_943
.LBB38_940:
	s_cmp_eq_u32 s15, 29
	s_cbranch_scc0 .LBB38_942
; %bb.941:
	global_load_b32 v1, v[2:3], off
	s_mov_b32 s0, 0
	s_mov_b32 s13, -1
	s_branch .LBB38_943
.LBB38_942:
	s_mov_b32 s0, -1
                                        ; implicit-def: $vgpr1
.LBB38_943:
	s_branch .LBB38_959
.LBB38_944:
	s_cmp_lt_i32 s15, 27
	s_cbranch_scc1 .LBB38_947
; %bb.945:
	s_cmp_gt_i32 s15, 27
	s_cbranch_scc0 .LBB38_948
; %bb.946:
	s_wait_loadcnt 0x0
	global_load_b32 v1, v[2:3], off
	s_mov_b32 s1, 0
	s_branch .LBB38_949
.LBB38_947:
	s_mov_b32 s1, -1
                                        ; implicit-def: $vgpr1
	s_branch .LBB38_952
.LBB38_948:
	s_mov_b32 s1, -1
                                        ; implicit-def: $vgpr1
.LBB38_949:
	s_delay_alu instid0(SALU_CYCLE_1)
	s_and_not1_b32 vcc_lo, exec_lo, s1
	s_cbranch_vccnz .LBB38_951
; %bb.950:
	s_wait_loadcnt 0x0
	global_load_u16 v1, v[2:3], off
.LBB38_951:
	s_mov_b32 s1, 0
.LBB38_952:
	s_delay_alu instid0(SALU_CYCLE_1)
	s_and_not1_b32 vcc_lo, exec_lo, s1
	s_cbranch_vccnz .LBB38_958
; %bb.953:
	global_load_u8 v5, v[2:3], off
	s_mov_b32 s13, 0
	s_mov_b32 s1, exec_lo
	s_wait_loadcnt 0x0
	v_cmpx_lt_i16_e32 0x7f, v5
	s_xor_b32 s1, exec_lo, s1
	s_cbranch_execz .LBB38_969
; %bb.954:
	v_cmp_ne_u16_e32 vcc_lo, 0x80, v5
	s_and_b32 s13, vcc_lo, exec_lo
	s_and_not1_saveexec_b32 s1, s1
	s_cbranch_execnz .LBB38_970
.LBB38_955:
	s_or_b32 exec_lo, exec_lo, s1
	v_mov_b32_e32 v1, 0
	s_and_saveexec_b32 s1, s13
	s_cbranch_execz .LBB38_957
.LBB38_956:
	v_and_b32_e32 v1, 0xffff, v5
	s_delay_alu instid0(VALU_DEP_1) | instskip(SKIP_1) | instid1(VALU_DEP_2)
	v_and_b32_e32 v6, 7, v1
	v_bfe_u32 v9, v1, 3, 4
	v_clz_i32_u32_e32 v7, v6
	s_delay_alu instid0(VALU_DEP_2) | instskip(NEXT) | instid1(VALU_DEP_2)
	v_cmp_eq_u32_e32 vcc_lo, 0, v9
	v_min_u32_e32 v7, 32, v7
	s_delay_alu instid0(VALU_DEP_1) | instskip(NEXT) | instid1(VALU_DEP_1)
	v_subrev_nc_u32_e32 v8, 28, v7
	v_dual_lshlrev_b32 v1, v8, v1 :: v_dual_sub_nc_u32 v7, 29, v7
	s_delay_alu instid0(VALU_DEP_1) | instskip(NEXT) | instid1(VALU_DEP_2)
	v_and_b32_e32 v1, 7, v1
	v_dual_lshlrev_b32 v5, 24, v5 :: v_dual_cndmask_b32 v7, v9, v7, vcc_lo
	s_delay_alu instid0(VALU_DEP_2) | instskip(NEXT) | instid1(VALU_DEP_2)
	v_cndmask_b32_e32 v1, v6, v1, vcc_lo
	v_and_b32_e32 v5, 0x80000000, v5
	s_delay_alu instid0(VALU_DEP_3) | instskip(NEXT) | instid1(VALU_DEP_3)
	v_lshl_add_u32 v6, v7, 23, 0x3b800000
	v_lshlrev_b32_e32 v1, 20, v1
	s_delay_alu instid0(VALU_DEP_1) | instskip(NEXT) | instid1(VALU_DEP_1)
	v_or3_b32 v1, v5, v6, v1
	v_cvt_i32_f32_e32 v1, v1
.LBB38_957:
	s_or_b32 exec_lo, exec_lo, s1
.LBB38_958:
	s_mov_b32 s13, -1
.LBB38_959:
	s_branch .LBB38_989
.LBB38_960:
	s_cmp_gt_i32 s15, 22
	s_cbranch_scc0 .LBB38_968
; %bb.961:
	s_cmp_lt_i32 s15, 24
	s_cbranch_scc1 .LBB38_971
; %bb.962:
	s_cmp_gt_i32 s15, 24
	s_cbranch_scc0 .LBB38_972
; %bb.963:
	global_load_u8 v5, v[2:3], off
	s_mov_b32 s1, exec_lo
	s_wait_loadcnt 0x0
	v_cmpx_lt_i16_e32 0x7f, v5
	s_xor_b32 s1, exec_lo, s1
	s_cbranch_execz .LBB38_983
; %bb.964:
	v_cmp_ne_u16_e32 vcc_lo, 0x80, v5
	s_and_b32 s2, vcc_lo, exec_lo
	s_and_not1_saveexec_b32 s1, s1
	s_cbranch_execnz .LBB38_984
.LBB38_965:
	s_or_b32 exec_lo, exec_lo, s1
	v_mov_b32_e32 v1, 0
	s_and_saveexec_b32 s1, s2
	s_cbranch_execz .LBB38_967
.LBB38_966:
	v_and_b32_e32 v1, 0xffff, v5
	s_delay_alu instid0(VALU_DEP_1) | instskip(SKIP_1) | instid1(VALU_DEP_2)
	v_and_b32_e32 v6, 3, v1
	v_bfe_u32 v9, v1, 2, 5
	v_clz_i32_u32_e32 v7, v6
	s_delay_alu instid0(VALU_DEP_2) | instskip(NEXT) | instid1(VALU_DEP_2)
	v_cmp_eq_u32_e32 vcc_lo, 0, v9
	v_min_u32_e32 v7, 32, v7
	s_delay_alu instid0(VALU_DEP_1) | instskip(NEXT) | instid1(VALU_DEP_1)
	v_subrev_nc_u32_e32 v8, 29, v7
	v_dual_lshlrev_b32 v1, v8, v1 :: v_dual_sub_nc_u32 v7, 30, v7
	s_delay_alu instid0(VALU_DEP_1) | instskip(NEXT) | instid1(VALU_DEP_2)
	v_and_b32_e32 v1, 3, v1
	v_dual_lshlrev_b32 v5, 24, v5 :: v_dual_cndmask_b32 v7, v9, v7, vcc_lo
	s_delay_alu instid0(VALU_DEP_2) | instskip(NEXT) | instid1(VALU_DEP_2)
	v_cndmask_b32_e32 v1, v6, v1, vcc_lo
	v_and_b32_e32 v5, 0x80000000, v5
	s_delay_alu instid0(VALU_DEP_3) | instskip(NEXT) | instid1(VALU_DEP_3)
	v_lshl_add_u32 v6, v7, 23, 0x37800000
	v_lshlrev_b32_e32 v1, 21, v1
	s_delay_alu instid0(VALU_DEP_1) | instskip(NEXT) | instid1(VALU_DEP_1)
	v_or3_b32 v1, v5, v6, v1
	v_cvt_i32_f32_e32 v1, v1
.LBB38_967:
	s_or_b32 exec_lo, exec_lo, s1
	s_mov_b32 s1, 0
	s_branch .LBB38_973
.LBB38_968:
                                        ; implicit-def: $vgpr1
	s_mov_b32 s2, 0
	s_branch .LBB38_979
.LBB38_969:
	s_and_not1_saveexec_b32 s1, s1
	s_cbranch_execz .LBB38_955
.LBB38_970:
	v_cmp_ne_u16_e32 vcc_lo, 0, v5
	s_and_not1_b32 s13, s13, exec_lo
	s_and_b32 s16, vcc_lo, exec_lo
	s_delay_alu instid0(SALU_CYCLE_1)
	s_or_b32 s13, s13, s16
	s_or_b32 exec_lo, exec_lo, s1
	v_mov_b32_e32 v1, 0
	s_and_saveexec_b32 s1, s13
	s_cbranch_execnz .LBB38_956
	s_branch .LBB38_957
.LBB38_971:
	s_mov_b32 s1, -1
                                        ; implicit-def: $vgpr1
	s_branch .LBB38_976
.LBB38_972:
	s_mov_b32 s1, -1
                                        ; implicit-def: $vgpr1
.LBB38_973:
	s_delay_alu instid0(SALU_CYCLE_1)
	s_and_b32 vcc_lo, exec_lo, s1
	s_cbranch_vccz .LBB38_975
; %bb.974:
	s_wait_loadcnt 0x0
	global_load_u8 v1, v[2:3], off
	s_wait_loadcnt 0x0
	v_lshlrev_b32_e32 v1, 24, v1
	s_delay_alu instid0(VALU_DEP_1) | instskip(NEXT) | instid1(VALU_DEP_1)
	v_and_b32_e32 v5, 0x7f000000, v1
	v_clz_i32_u32_e32 v6, v5
	v_cmp_ne_u32_e32 vcc_lo, 0, v5
	v_add_nc_u32_e32 v8, 0x1000000, v5
	s_delay_alu instid0(VALU_DEP_3) | instskip(NEXT) | instid1(VALU_DEP_1)
	v_min_u32_e32 v6, 32, v6
	v_sub_nc_u32_e64 v6, v6, 4 clamp
	s_delay_alu instid0(VALU_DEP_1) | instskip(NEXT) | instid1(VALU_DEP_1)
	v_dual_lshlrev_b32 v7, v6, v5 :: v_dual_lshlrev_b32 v6, 23, v6
	v_lshrrev_b32_e32 v7, 4, v7
	s_delay_alu instid0(VALU_DEP_1) | instskip(NEXT) | instid1(VALU_DEP_1)
	v_dual_sub_nc_u32 v6, v7, v6 :: v_dual_ashrrev_i32 v7, 8, v8
	v_add_nc_u32_e32 v6, 0x3c000000, v6
	s_delay_alu instid0(VALU_DEP_1) | instskip(NEXT) | instid1(VALU_DEP_1)
	v_and_or_b32 v6, 0x7f800000, v7, v6
	v_cndmask_b32_e32 v5, 0, v6, vcc_lo
	s_delay_alu instid0(VALU_DEP_1) | instskip(NEXT) | instid1(VALU_DEP_1)
	v_and_or_b32 v1, 0x80000000, v1, v5
	v_cvt_i32_f32_e32 v1, v1
.LBB38_975:
	s_mov_b32 s1, 0
.LBB38_976:
	s_delay_alu instid0(SALU_CYCLE_1)
	s_and_not1_b32 vcc_lo, exec_lo, s1
	s_cbranch_vccnz .LBB38_978
; %bb.977:
	s_wait_loadcnt 0x0
	global_load_u8 v1, v[2:3], off
	s_wait_loadcnt 0x0
	v_lshlrev_b32_e32 v5, 25, v1
	v_lshlrev_b16 v1, 8, v1
	s_delay_alu instid0(VALU_DEP_1) | instskip(SKIP_1) | instid1(VALU_DEP_2)
	v_and_or_b32 v7, 0x7f00, v1, 0.5
	v_bfe_i32 v1, v1, 0, 16
	v_dual_add_f32 v7, -0.5, v7 :: v_dual_lshrrev_b32 v6, 4, v5
	v_cmp_gt_u32_e32 vcc_lo, 0x8000000, v5
	s_delay_alu instid0(VALU_DEP_2) | instskip(NEXT) | instid1(VALU_DEP_1)
	v_or_b32_e32 v6, 0x70000000, v6
	v_mul_f32_e32 v6, 0x7800000, v6
	s_delay_alu instid0(VALU_DEP_1) | instskip(NEXT) | instid1(VALU_DEP_1)
	v_cndmask_b32_e32 v5, v6, v7, vcc_lo
	v_and_or_b32 v1, 0x80000000, v1, v5
	s_delay_alu instid0(VALU_DEP_1)
	v_cvt_i32_f32_e32 v1, v1
.LBB38_978:
	s_mov_b32 s13, -1
	s_mov_b32 s2, 0
	s_cbranch_execnz .LBB38_989
.LBB38_979:
	s_cmp_gt_i32 s15, 14
	s_cbranch_scc0 .LBB38_982
; %bb.980:
	s_cmp_eq_u32 s15, 15
	s_cbranch_scc0 .LBB38_985
; %bb.981:
	s_wait_loadcnt 0x0
	global_load_u16 v1, v[2:3], off
	s_mov_b32 s0, 0
	s_mov_b32 s13, -1
	s_wait_loadcnt 0x0
	v_lshlrev_b32_e32 v1, 16, v1
	s_delay_alu instid0(VALU_DEP_1)
	v_cvt_i32_f32_e32 v1, v1
	s_branch .LBB38_986
.LBB38_982:
	s_mov_b32 s1, -1
                                        ; implicit-def: $vgpr1
	s_branch .LBB38_987
.LBB38_983:
	s_and_not1_saveexec_b32 s1, s1
	s_cbranch_execz .LBB38_965
.LBB38_984:
	v_cmp_ne_u16_e32 vcc_lo, 0, v5
	s_and_not1_b32 s2, s2, exec_lo
	s_and_b32 s13, vcc_lo, exec_lo
	s_delay_alu instid0(SALU_CYCLE_1)
	s_or_b32 s2, s2, s13
	s_or_b32 exec_lo, exec_lo, s1
	v_mov_b32_e32 v1, 0
	s_and_saveexec_b32 s1, s2
	s_cbranch_execnz .LBB38_966
	s_branch .LBB38_967
.LBB38_985:
	s_mov_b32 s0, -1
                                        ; implicit-def: $vgpr1
.LBB38_986:
	s_mov_b32 s1, 0
.LBB38_987:
	s_delay_alu instid0(SALU_CYCLE_1)
	s_and_b32 vcc_lo, exec_lo, s1
	s_cbranch_vccz .LBB38_989
; %bb.988:
	s_cmp_lg_u32 s15, 11
	s_mov_b32 s2, -1
	s_cselect_b32 s0, -1, 0
.LBB38_989:
	s_delay_alu instid0(SALU_CYCLE_1)
	s_and_b32 vcc_lo, exec_lo, s0
	s_mov_b32 s1, s11
	s_cbranch_vccnz .LBB38_1039
; %bb.990:
	s_and_not1_b32 vcc_lo, exec_lo, s2
	s_cbranch_vccnz .LBB38_992
.LBB38_991:
	s_wait_loadcnt 0x0
	global_load_u8 v1, v[2:3], off
	s_mov_b32 s13, -1
	s_wait_loadcnt 0x0
	v_cmp_ne_u16_e32 vcc_lo, 0, v1
	v_cndmask_b32_e64 v1, 0, 1, vcc_lo
.LBB38_992:
	s_branch .LBB38_903
.LBB38_993:
	s_cmp_lt_i32 s15, 5
	s_cbranch_scc1 .LBB38_998
; %bb.994:
	s_cmp_lt_i32 s15, 8
	s_cbranch_scc1 .LBB38_999
; %bb.995:
	s_cmp_lt_i32 s15, 9
	s_cbranch_scc1 .LBB38_1000
; %bb.996:
	s_cmp_gt_i32 s15, 9
	s_cbranch_scc0 .LBB38_1001
; %bb.997:
	global_load_b64 v[6:7], v[2:3], off
	s_mov_b32 s0, 0
	s_wait_loadcnt 0x0
	v_cvt_i32_f64_e32 v1, v[6:7]
	s_branch .LBB38_1002
.LBB38_998:
                                        ; implicit-def: $vgpr1
	s_branch .LBB38_1019
.LBB38_999:
                                        ; implicit-def: $vgpr1
	s_branch .LBB38_1008
.LBB38_1000:
	s_mov_b32 s0, -1
                                        ; implicit-def: $vgpr1
	s_branch .LBB38_1005
.LBB38_1001:
	s_mov_b32 s0, -1
                                        ; implicit-def: $vgpr1
.LBB38_1002:
	s_delay_alu instid0(SALU_CYCLE_1)
	s_and_not1_b32 vcc_lo, exec_lo, s0
	s_cbranch_vccnz .LBB38_1004
; %bb.1003:
	s_wait_loadcnt 0x0
	global_load_b32 v1, v[2:3], off
	s_wait_loadcnt 0x0
	v_cvt_i32_f32_e32 v1, v1
.LBB38_1004:
	s_mov_b32 s0, 0
.LBB38_1005:
	s_delay_alu instid0(SALU_CYCLE_1)
	s_and_not1_b32 vcc_lo, exec_lo, s0
	s_cbranch_vccnz .LBB38_1007
; %bb.1006:
	s_wait_loadcnt 0x0
	global_load_b32 v1, v[2:3], off
	s_wait_loadcnt 0x0
	v_cvt_f32_f16_e32 v1, v1
	s_delay_alu instid0(VALU_DEP_1)
	v_cvt_i32_f32_e32 v1, v1
.LBB38_1007:
	s_cbranch_execnz .LBB38_1018
.LBB38_1008:
	s_cmp_lt_i32 s15, 6
	s_cbranch_scc1 .LBB38_1011
; %bb.1009:
	s_cmp_gt_i32 s15, 6
	s_cbranch_scc0 .LBB38_1012
; %bb.1010:
	global_load_b64 v[6:7], v[2:3], off
	s_mov_b32 s0, 0
	s_wait_loadcnt 0x0
	v_cvt_i32_f64_e32 v1, v[6:7]
	s_branch .LBB38_1013
.LBB38_1011:
	s_mov_b32 s0, -1
                                        ; implicit-def: $vgpr1
	s_branch .LBB38_1016
.LBB38_1012:
	s_mov_b32 s0, -1
                                        ; implicit-def: $vgpr1
.LBB38_1013:
	s_delay_alu instid0(SALU_CYCLE_1)
	s_and_not1_b32 vcc_lo, exec_lo, s0
	s_cbranch_vccnz .LBB38_1015
; %bb.1014:
	s_wait_loadcnt 0x0
	global_load_b32 v1, v[2:3], off
	s_wait_loadcnt 0x0
	v_cvt_i32_f32_e32 v1, v1
.LBB38_1015:
	s_mov_b32 s0, 0
.LBB38_1016:
	s_delay_alu instid0(SALU_CYCLE_1)
	s_and_not1_b32 vcc_lo, exec_lo, s0
	s_cbranch_vccnz .LBB38_1018
; %bb.1017:
	s_wait_loadcnt 0x0
	global_load_u16 v1, v[2:3], off
	s_wait_loadcnt 0x0
	v_cvt_f32_f16_e32 v1, v1
	s_delay_alu instid0(VALU_DEP_1)
	v_cvt_i32_f32_e32 v1, v1
.LBB38_1018:
	s_cbranch_execnz .LBB38_1037
.LBB38_1019:
	s_cmp_lt_i32 s15, 2
	s_cbranch_scc1 .LBB38_1023
; %bb.1020:
	s_cmp_lt_i32 s15, 3
	s_cbranch_scc1 .LBB38_1024
; %bb.1021:
	s_cmp_gt_i32 s15, 3
	s_cbranch_scc0 .LBB38_1025
; %bb.1022:
	s_wait_loadcnt 0x0
	global_load_b32 v1, v[2:3], off
	s_mov_b32 s0, 0
	s_branch .LBB38_1026
.LBB38_1023:
                                        ; implicit-def: $vgpr1
	s_branch .LBB38_1032
.LBB38_1024:
	s_mov_b32 s0, -1
                                        ; implicit-def: $vgpr1
	s_branch .LBB38_1029
.LBB38_1025:
	s_mov_b32 s0, -1
                                        ; implicit-def: $vgpr1
.LBB38_1026:
	s_delay_alu instid0(SALU_CYCLE_1)
	s_and_not1_b32 vcc_lo, exec_lo, s0
	s_cbranch_vccnz .LBB38_1028
; %bb.1027:
	s_wait_loadcnt 0x0
	global_load_b32 v1, v[2:3], off
.LBB38_1028:
	s_mov_b32 s0, 0
.LBB38_1029:
	s_delay_alu instid0(SALU_CYCLE_1)
	s_and_not1_b32 vcc_lo, exec_lo, s0
	s_cbranch_vccnz .LBB38_1031
; %bb.1030:
	s_wait_loadcnt 0x0
	global_load_i16 v1, v[2:3], off
.LBB38_1031:
	s_cbranch_execnz .LBB38_1037
.LBB38_1032:
	s_cmp_gt_i32 s15, 0
	s_mov_b32 s0, 0
	s_cbranch_scc0 .LBB38_1034
; %bb.1033:
	s_wait_loadcnt 0x0
	global_load_i8 v1, v[2:3], off
	s_branch .LBB38_1035
.LBB38_1034:
	s_mov_b32 s0, -1
                                        ; implicit-def: $vgpr1
.LBB38_1035:
	s_delay_alu instid0(SALU_CYCLE_1)
	s_and_not1_b32 vcc_lo, exec_lo, s0
	s_cbranch_vccnz .LBB38_1037
; %bb.1036:
	s_wait_loadcnt 0x0
	global_load_u8 v1, v[2:3], off
.LBB38_1037:
	s_branch .LBB38_904
.LBB38_1038:
	s_mov_b32 s13, 0
	s_mov_b32 s17, 0
                                        ; implicit-def: $sgpr0
                                        ; implicit-def: $vgpr2_vgpr3
	s_branch .LBB38_1728
.LBB38_1039:
	s_or_b32 s1, s11, exec_lo
	s_trap 2
	s_cbranch_execz .LBB38_991
	s_branch .LBB38_992
.LBB38_1040:
	s_mov_b32 s9, -1
	s_mov_b32 s16, 0
	s_mov_b32 s0, 0
	s_branch .LBB38_1043
.LBB38_1041:
	s_mov_b32 s16, -1
	s_mov_b32 s19, 0
	s_mov_b32 s0, 0
                                        ; implicit-def: $vgpr1
	s_branch .LBB38_1170
.LBB38_1042:
	s_mov_b32 s0, -1
	s_mov_b32 s16, 0
.LBB38_1043:
                                        ; implicit-def: $vgpr1
.LBB38_1044:
	s_and_b32 vcc_lo, exec_lo, s9
	s_cbranch_vccz .LBB38_1049
; %bb.1045:
	s_cmp_eq_u32 s15, 44
	s_cbranch_scc0 .LBB38_1048
; %bb.1046:
	global_load_u8 v1, v[2:3], off
	s_mov_b32 s0, 0
	s_mov_b32 s16, -1
	s_wait_loadcnt 0x0
	v_lshlrev_b32_e32 v5, 23, v1
	v_cmp_ne_u32_e32 vcc_lo, 0, v1
	s_delay_alu instid0(VALU_DEP_2) | instskip(NEXT) | instid1(VALU_DEP_1)
	v_cvt_i32_f32_e32 v5, v5
	v_cndmask_b32_e32 v1, 0, v5, vcc_lo
	s_branch .LBB38_1049
.LBB38_1047:
	s_mov_b32 s16, -1
	s_mov_b32 s19, 0
	s_mov_b32 s0, 0
                                        ; implicit-def: $vgpr1
	s_branch .LBB38_1165
.LBB38_1048:
	s_mov_b32 s0, -1
                                        ; implicit-def: $vgpr1
.LBB38_1049:
	s_mov_b32 s9, 0
.LBB38_1050:
	s_delay_alu instid0(SALU_CYCLE_1)
	s_and_b32 vcc_lo, exec_lo, s9
	s_cbranch_vccz .LBB38_1054
; %bb.1051:
	s_cmp_eq_u32 s15, 29
	s_cbranch_scc0 .LBB38_1053
; %bb.1052:
	global_load_b32 v1, v[2:3], off
	s_mov_b32 s0, 0
	s_mov_b32 s16, -1
	s_branch .LBB38_1054
.LBB38_1053:
	s_mov_b32 s0, -1
                                        ; implicit-def: $vgpr1
.LBB38_1054:
	s_mov_b32 s9, 0
.LBB38_1055:
	s_delay_alu instid0(SALU_CYCLE_1)
	s_and_b32 vcc_lo, exec_lo, s9
	s_cbranch_vccz .LBB38_1071
; %bb.1056:
	s_cmp_lt_i32 s15, 27
	s_cbranch_scc1 .LBB38_1059
; %bb.1057:
	s_cmp_gt_i32 s15, 27
	s_cbranch_scc0 .LBB38_1060
; %bb.1058:
	s_wait_loadcnt 0x0
	global_load_b32 v1, v[2:3], off
	s_mov_b32 s9, 0
	s_branch .LBB38_1061
.LBB38_1059:
	s_mov_b32 s9, -1
                                        ; implicit-def: $vgpr1
	s_branch .LBB38_1064
.LBB38_1060:
	s_mov_b32 s9, -1
                                        ; implicit-def: $vgpr1
.LBB38_1061:
	s_delay_alu instid0(SALU_CYCLE_1)
	s_and_not1_b32 vcc_lo, exec_lo, s9
	s_cbranch_vccnz .LBB38_1063
; %bb.1062:
	s_wait_loadcnt 0x0
	global_load_u16 v1, v[2:3], off
.LBB38_1063:
	s_mov_b32 s9, 0
.LBB38_1064:
	s_delay_alu instid0(SALU_CYCLE_1)
	s_and_not1_b32 vcc_lo, exec_lo, s9
	s_cbranch_vccnz .LBB38_1070
; %bb.1065:
	global_load_u8 v5, v[2:3], off
	s_mov_b32 s16, 0
	s_mov_b32 s9, exec_lo
	s_wait_loadcnt 0x0
	v_cmpx_lt_i16_e32 0x7f, v5
	s_xor_b32 s9, exec_lo, s9
	s_cbranch_execz .LBB38_1082
; %bb.1066:
	v_cmp_ne_u16_e32 vcc_lo, 0x80, v5
	s_and_b32 s16, vcc_lo, exec_lo
	s_and_not1_saveexec_b32 s9, s9
	s_cbranch_execnz .LBB38_1083
.LBB38_1067:
	s_or_b32 exec_lo, exec_lo, s9
	v_mov_b32_e32 v1, 0
	s_and_saveexec_b32 s9, s16
	s_cbranch_execz .LBB38_1069
.LBB38_1068:
	v_and_b32_e32 v1, 0xffff, v5
	s_delay_alu instid0(VALU_DEP_1) | instskip(SKIP_1) | instid1(VALU_DEP_2)
	v_and_b32_e32 v6, 7, v1
	v_bfe_u32 v9, v1, 3, 4
	v_clz_i32_u32_e32 v7, v6
	s_delay_alu instid0(VALU_DEP_2) | instskip(NEXT) | instid1(VALU_DEP_2)
	v_cmp_eq_u32_e32 vcc_lo, 0, v9
	v_min_u32_e32 v7, 32, v7
	s_delay_alu instid0(VALU_DEP_1) | instskip(NEXT) | instid1(VALU_DEP_1)
	v_subrev_nc_u32_e32 v8, 28, v7
	v_dual_lshlrev_b32 v1, v8, v1 :: v_dual_sub_nc_u32 v7, 29, v7
	s_delay_alu instid0(VALU_DEP_1) | instskip(NEXT) | instid1(VALU_DEP_2)
	v_and_b32_e32 v1, 7, v1
	v_dual_lshlrev_b32 v5, 24, v5 :: v_dual_cndmask_b32 v7, v9, v7, vcc_lo
	s_delay_alu instid0(VALU_DEP_2) | instskip(NEXT) | instid1(VALU_DEP_2)
	v_cndmask_b32_e32 v1, v6, v1, vcc_lo
	v_and_b32_e32 v5, 0x80000000, v5
	s_delay_alu instid0(VALU_DEP_3) | instskip(NEXT) | instid1(VALU_DEP_3)
	v_lshl_add_u32 v6, v7, 23, 0x3b800000
	v_lshlrev_b32_e32 v1, 20, v1
	s_delay_alu instid0(VALU_DEP_1) | instskip(NEXT) | instid1(VALU_DEP_1)
	v_or3_b32 v1, v5, v6, v1
	v_cvt_i32_f32_e32 v1, v1
.LBB38_1069:
	s_or_b32 exec_lo, exec_lo, s9
.LBB38_1070:
	s_mov_b32 s16, -1
.LBB38_1071:
	s_mov_b32 s9, 0
.LBB38_1072:
	s_delay_alu instid0(SALU_CYCLE_1)
	s_and_b32 vcc_lo, exec_lo, s9
	s_cbranch_vccz .LBB38_1103
; %bb.1073:
	s_cmp_gt_i32 s15, 22
	s_cbranch_scc0 .LBB38_1081
; %bb.1074:
	s_cmp_lt_i32 s15, 24
	s_cbranch_scc1 .LBB38_1084
; %bb.1075:
	s_cmp_gt_i32 s15, 24
	s_cbranch_scc0 .LBB38_1085
; %bb.1076:
	global_load_u8 v5, v[2:3], off
	s_mov_b32 s9, exec_lo
	s_wait_loadcnt 0x0
	v_cmpx_lt_i16_e32 0x7f, v5
	s_xor_b32 s9, exec_lo, s9
	s_cbranch_execz .LBB38_1097
; %bb.1077:
	v_cmp_ne_u16_e32 vcc_lo, 0x80, v5
	s_and_b32 s13, vcc_lo, exec_lo
	s_and_not1_saveexec_b32 s9, s9
	s_cbranch_execnz .LBB38_1098
.LBB38_1078:
	s_or_b32 exec_lo, exec_lo, s9
	v_mov_b32_e32 v1, 0
	s_and_saveexec_b32 s9, s13
	s_cbranch_execz .LBB38_1080
.LBB38_1079:
	v_and_b32_e32 v1, 0xffff, v5
	s_delay_alu instid0(VALU_DEP_1) | instskip(SKIP_1) | instid1(VALU_DEP_2)
	v_and_b32_e32 v6, 3, v1
	v_bfe_u32 v9, v1, 2, 5
	v_clz_i32_u32_e32 v7, v6
	s_delay_alu instid0(VALU_DEP_2) | instskip(NEXT) | instid1(VALU_DEP_2)
	v_cmp_eq_u32_e32 vcc_lo, 0, v9
	v_min_u32_e32 v7, 32, v7
	s_delay_alu instid0(VALU_DEP_1) | instskip(NEXT) | instid1(VALU_DEP_1)
	v_subrev_nc_u32_e32 v8, 29, v7
	v_dual_lshlrev_b32 v1, v8, v1 :: v_dual_sub_nc_u32 v7, 30, v7
	s_delay_alu instid0(VALU_DEP_1) | instskip(NEXT) | instid1(VALU_DEP_2)
	v_and_b32_e32 v1, 3, v1
	v_dual_lshlrev_b32 v5, 24, v5 :: v_dual_cndmask_b32 v7, v9, v7, vcc_lo
	s_delay_alu instid0(VALU_DEP_2) | instskip(NEXT) | instid1(VALU_DEP_2)
	v_cndmask_b32_e32 v1, v6, v1, vcc_lo
	v_and_b32_e32 v5, 0x80000000, v5
	s_delay_alu instid0(VALU_DEP_3) | instskip(NEXT) | instid1(VALU_DEP_3)
	v_lshl_add_u32 v6, v7, 23, 0x37800000
	v_lshlrev_b32_e32 v1, 21, v1
	s_delay_alu instid0(VALU_DEP_1) | instskip(NEXT) | instid1(VALU_DEP_1)
	v_or3_b32 v1, v5, v6, v1
	v_cvt_i32_f32_e32 v1, v1
.LBB38_1080:
	s_or_b32 exec_lo, exec_lo, s9
	s_mov_b32 s9, 0
	s_branch .LBB38_1086
.LBB38_1081:
	s_mov_b32 s9, -1
                                        ; implicit-def: $vgpr1
	s_branch .LBB38_1092
.LBB38_1082:
	s_and_not1_saveexec_b32 s9, s9
	s_cbranch_execz .LBB38_1067
.LBB38_1083:
	v_cmp_ne_u16_e32 vcc_lo, 0, v5
	s_and_not1_b32 s16, s16, exec_lo
	s_and_b32 s17, vcc_lo, exec_lo
	s_delay_alu instid0(SALU_CYCLE_1)
	s_or_b32 s16, s16, s17
	s_or_b32 exec_lo, exec_lo, s9
	v_mov_b32_e32 v1, 0
	s_and_saveexec_b32 s9, s16
	s_cbranch_execnz .LBB38_1068
	s_branch .LBB38_1069
.LBB38_1084:
	s_mov_b32 s9, -1
                                        ; implicit-def: $vgpr1
	s_branch .LBB38_1089
.LBB38_1085:
	s_mov_b32 s9, -1
                                        ; implicit-def: $vgpr1
.LBB38_1086:
	s_delay_alu instid0(SALU_CYCLE_1)
	s_and_b32 vcc_lo, exec_lo, s9
	s_cbranch_vccz .LBB38_1088
; %bb.1087:
	s_wait_loadcnt 0x0
	global_load_u8 v1, v[2:3], off
	s_wait_loadcnt 0x0
	v_lshlrev_b32_e32 v1, 24, v1
	s_delay_alu instid0(VALU_DEP_1) | instskip(NEXT) | instid1(VALU_DEP_1)
	v_and_b32_e32 v5, 0x7f000000, v1
	v_clz_i32_u32_e32 v6, v5
	v_cmp_ne_u32_e32 vcc_lo, 0, v5
	v_add_nc_u32_e32 v8, 0x1000000, v5
	s_delay_alu instid0(VALU_DEP_3) | instskip(NEXT) | instid1(VALU_DEP_1)
	v_min_u32_e32 v6, 32, v6
	v_sub_nc_u32_e64 v6, v6, 4 clamp
	s_delay_alu instid0(VALU_DEP_1) | instskip(NEXT) | instid1(VALU_DEP_1)
	v_dual_lshlrev_b32 v7, v6, v5 :: v_dual_lshlrev_b32 v6, 23, v6
	v_lshrrev_b32_e32 v7, 4, v7
	s_delay_alu instid0(VALU_DEP_1) | instskip(NEXT) | instid1(VALU_DEP_1)
	v_dual_sub_nc_u32 v6, v7, v6 :: v_dual_ashrrev_i32 v7, 8, v8
	v_add_nc_u32_e32 v6, 0x3c000000, v6
	s_delay_alu instid0(VALU_DEP_1) | instskip(NEXT) | instid1(VALU_DEP_1)
	v_and_or_b32 v6, 0x7f800000, v7, v6
	v_cndmask_b32_e32 v5, 0, v6, vcc_lo
	s_delay_alu instid0(VALU_DEP_1) | instskip(NEXT) | instid1(VALU_DEP_1)
	v_and_or_b32 v1, 0x80000000, v1, v5
	v_cvt_i32_f32_e32 v1, v1
.LBB38_1088:
	s_mov_b32 s9, 0
.LBB38_1089:
	s_delay_alu instid0(SALU_CYCLE_1)
	s_and_not1_b32 vcc_lo, exec_lo, s9
	s_cbranch_vccnz .LBB38_1091
; %bb.1090:
	s_wait_loadcnt 0x0
	global_load_u8 v1, v[2:3], off
	s_wait_loadcnt 0x0
	v_lshlrev_b32_e32 v5, 25, v1
	v_lshlrev_b16 v1, 8, v1
	s_delay_alu instid0(VALU_DEP_1) | instskip(SKIP_1) | instid1(VALU_DEP_2)
	v_and_or_b32 v7, 0x7f00, v1, 0.5
	v_bfe_i32 v1, v1, 0, 16
	v_dual_add_f32 v7, -0.5, v7 :: v_dual_lshrrev_b32 v6, 4, v5
	v_cmp_gt_u32_e32 vcc_lo, 0x8000000, v5
	s_delay_alu instid0(VALU_DEP_2) | instskip(NEXT) | instid1(VALU_DEP_1)
	v_or_b32_e32 v6, 0x70000000, v6
	v_mul_f32_e32 v6, 0x7800000, v6
	s_delay_alu instid0(VALU_DEP_1) | instskip(NEXT) | instid1(VALU_DEP_1)
	v_cndmask_b32_e32 v5, v6, v7, vcc_lo
	v_and_or_b32 v1, 0x80000000, v1, v5
	s_delay_alu instid0(VALU_DEP_1)
	v_cvt_i32_f32_e32 v1, v1
.LBB38_1091:
	s_mov_b32 s9, 0
	s_mov_b32 s16, -1
.LBB38_1092:
	s_and_not1_b32 vcc_lo, exec_lo, s9
	s_mov_b32 s13, 0
	s_cbranch_vccnz .LBB38_1103
; %bb.1093:
	s_cmp_gt_i32 s15, 14
	s_cbranch_scc0 .LBB38_1096
; %bb.1094:
	s_cmp_eq_u32 s15, 15
	s_cbranch_scc0 .LBB38_1099
; %bb.1095:
	s_wait_loadcnt 0x0
	global_load_u16 v1, v[2:3], off
	s_mov_b32 s0, 0
	s_mov_b32 s16, -1
	s_wait_loadcnt 0x0
	v_lshlrev_b32_e32 v1, 16, v1
	s_delay_alu instid0(VALU_DEP_1)
	v_cvt_i32_f32_e32 v1, v1
	s_branch .LBB38_1100
.LBB38_1096:
	s_mov_b32 s9, -1
                                        ; implicit-def: $vgpr1
	s_branch .LBB38_1101
.LBB38_1097:
	s_and_not1_saveexec_b32 s9, s9
	s_cbranch_execz .LBB38_1078
.LBB38_1098:
	v_cmp_ne_u16_e32 vcc_lo, 0, v5
	s_and_not1_b32 s13, s13, exec_lo
	s_and_b32 s16, vcc_lo, exec_lo
	s_delay_alu instid0(SALU_CYCLE_1)
	s_or_b32 s13, s13, s16
	s_or_b32 exec_lo, exec_lo, s9
	v_mov_b32_e32 v1, 0
	s_and_saveexec_b32 s9, s13
	s_cbranch_execnz .LBB38_1079
	s_branch .LBB38_1080
.LBB38_1099:
	s_mov_b32 s0, -1
                                        ; implicit-def: $vgpr1
.LBB38_1100:
	s_mov_b32 s9, 0
.LBB38_1101:
	s_delay_alu instid0(SALU_CYCLE_1)
	s_and_b32 vcc_lo, exec_lo, s9
	s_cbranch_vccz .LBB38_1103
; %bb.1102:
	s_cmp_lg_u32 s15, 11
	s_mov_b32 s13, -1
	s_cselect_b32 s0, -1, 0
.LBB38_1103:
	s_delay_alu instid0(SALU_CYCLE_1)
	s_and_b32 vcc_lo, exec_lo, s0
	s_mov_b32 s9, s1
	s_cbranch_vccnz .LBB38_1156
; %bb.1104:
	s_and_not1_b32 vcc_lo, exec_lo, s13
	s_cbranch_vccnz .LBB38_1106
.LBB38_1105:
	s_wait_loadcnt 0x0
	global_load_u8 v1, v[2:3], off
	s_mov_b32 s16, -1
	s_wait_loadcnt 0x0
	v_cmp_ne_u16_e32 vcc_lo, 0, v1
	v_cndmask_b32_e64 v1, 0, 1, vcc_lo
.LBB38_1106:
	s_branch .LBB38_916
.LBB38_1107:
	s_cmp_lt_i32 s15, 5
	s_cbranch_scc1 .LBB38_1112
; %bb.1108:
	s_cmp_lt_i32 s15, 8
	s_cbranch_scc1 .LBB38_1113
; %bb.1109:
	;; [unrolled: 3-line block ×3, first 2 shown]
	s_cmp_gt_i32 s15, 9
	s_cbranch_scc0 .LBB38_1115
; %bb.1111:
	global_load_b64 v[6:7], v[2:3], off
	s_mov_b32 s0, 0
	s_wait_loadcnt 0x0
	v_cvt_i32_f64_e32 v1, v[6:7]
	s_branch .LBB38_1116
.LBB38_1112:
	s_mov_b32 s0, -1
                                        ; implicit-def: $vgpr1
	s_branch .LBB38_1134
.LBB38_1113:
	s_mov_b32 s0, -1
                                        ; implicit-def: $vgpr1
	s_branch .LBB38_1122
.LBB38_1114:
	s_mov_b32 s0, -1
                                        ; implicit-def: $vgpr1
	s_branch .LBB38_1119
.LBB38_1115:
	s_mov_b32 s0, -1
                                        ; implicit-def: $vgpr1
.LBB38_1116:
	s_delay_alu instid0(SALU_CYCLE_1)
	s_and_not1_b32 vcc_lo, exec_lo, s0
	s_cbranch_vccnz .LBB38_1118
; %bb.1117:
	s_wait_loadcnt 0x0
	global_load_b32 v1, v[2:3], off
	s_wait_loadcnt 0x0
	v_cvt_i32_f32_e32 v1, v1
.LBB38_1118:
	s_mov_b32 s0, 0
.LBB38_1119:
	s_delay_alu instid0(SALU_CYCLE_1)
	s_and_not1_b32 vcc_lo, exec_lo, s0
	s_cbranch_vccnz .LBB38_1121
; %bb.1120:
	s_wait_loadcnt 0x0
	global_load_b32 v1, v[2:3], off
	s_wait_loadcnt 0x0
	v_cvt_f32_f16_e32 v1, v1
	s_delay_alu instid0(VALU_DEP_1)
	v_cvt_i32_f32_e32 v1, v1
.LBB38_1121:
	s_mov_b32 s0, 0
.LBB38_1122:
	s_delay_alu instid0(SALU_CYCLE_1)
	s_and_not1_b32 vcc_lo, exec_lo, s0
	s_cbranch_vccnz .LBB38_1133
; %bb.1123:
	s_cmp_lt_i32 s15, 6
	s_cbranch_scc1 .LBB38_1126
; %bb.1124:
	s_cmp_gt_i32 s15, 6
	s_cbranch_scc0 .LBB38_1127
; %bb.1125:
	global_load_b64 v[6:7], v[2:3], off
	s_mov_b32 s0, 0
	s_wait_loadcnt 0x0
	v_cvt_i32_f64_e32 v1, v[6:7]
	s_branch .LBB38_1128
.LBB38_1126:
	s_mov_b32 s0, -1
                                        ; implicit-def: $vgpr1
	s_branch .LBB38_1131
.LBB38_1127:
	s_mov_b32 s0, -1
                                        ; implicit-def: $vgpr1
.LBB38_1128:
	s_delay_alu instid0(SALU_CYCLE_1)
	s_and_not1_b32 vcc_lo, exec_lo, s0
	s_cbranch_vccnz .LBB38_1130
; %bb.1129:
	s_wait_loadcnt 0x0
	global_load_b32 v1, v[2:3], off
	s_wait_loadcnt 0x0
	v_cvt_i32_f32_e32 v1, v1
.LBB38_1130:
	s_mov_b32 s0, 0
.LBB38_1131:
	s_delay_alu instid0(SALU_CYCLE_1)
	s_and_not1_b32 vcc_lo, exec_lo, s0
	s_cbranch_vccnz .LBB38_1133
; %bb.1132:
	s_wait_loadcnt 0x0
	global_load_u16 v1, v[2:3], off
	s_wait_loadcnt 0x0
	v_cvt_f32_f16_e32 v1, v1
	s_delay_alu instid0(VALU_DEP_1)
	v_cvt_i32_f32_e32 v1, v1
.LBB38_1133:
	s_mov_b32 s0, 0
.LBB38_1134:
	s_delay_alu instid0(SALU_CYCLE_1)
	s_and_not1_b32 vcc_lo, exec_lo, s0
	s_cbranch_vccnz .LBB38_1154
; %bb.1135:
	s_cmp_lt_i32 s15, 2
	s_cbranch_scc1 .LBB38_1139
; %bb.1136:
	s_cmp_lt_i32 s15, 3
	s_cbranch_scc1 .LBB38_1140
; %bb.1137:
	s_cmp_gt_i32 s15, 3
	s_cbranch_scc0 .LBB38_1141
; %bb.1138:
	s_wait_loadcnt 0x0
	global_load_b32 v1, v[2:3], off
	s_mov_b32 s0, 0
	s_branch .LBB38_1142
.LBB38_1139:
	s_mov_b32 s0, -1
                                        ; implicit-def: $vgpr1
	s_branch .LBB38_1148
.LBB38_1140:
	s_mov_b32 s0, -1
                                        ; implicit-def: $vgpr1
	s_branch .LBB38_1145
.LBB38_1141:
	s_mov_b32 s0, -1
                                        ; implicit-def: $vgpr1
.LBB38_1142:
	s_delay_alu instid0(SALU_CYCLE_1)
	s_and_not1_b32 vcc_lo, exec_lo, s0
	s_cbranch_vccnz .LBB38_1144
; %bb.1143:
	s_wait_loadcnt 0x0
	global_load_b32 v1, v[2:3], off
.LBB38_1144:
	s_mov_b32 s0, 0
.LBB38_1145:
	s_delay_alu instid0(SALU_CYCLE_1)
	s_and_not1_b32 vcc_lo, exec_lo, s0
	s_cbranch_vccnz .LBB38_1147
; %bb.1146:
	s_wait_loadcnt 0x0
	global_load_i16 v1, v[2:3], off
.LBB38_1147:
	s_mov_b32 s0, 0
.LBB38_1148:
	s_delay_alu instid0(SALU_CYCLE_1)
	s_and_not1_b32 vcc_lo, exec_lo, s0
	s_cbranch_vccnz .LBB38_1154
; %bb.1149:
	s_cmp_gt_i32 s15, 0
	s_mov_b32 s0, 0
	s_cbranch_scc0 .LBB38_1151
; %bb.1150:
	s_wait_loadcnt 0x0
	global_load_i8 v1, v[2:3], off
	s_branch .LBB38_1152
.LBB38_1151:
	s_mov_b32 s0, -1
                                        ; implicit-def: $vgpr1
.LBB38_1152:
	s_delay_alu instid0(SALU_CYCLE_1)
	s_and_not1_b32 vcc_lo, exec_lo, s0
	s_cbranch_vccnz .LBB38_1154
; %bb.1153:
	s_wait_loadcnt 0x0
	global_load_u8 v1, v[2:3], off
.LBB38_1154:
	s_branch .LBB38_917
.LBB38_1155:
	s_mov_b32 s16, 0
	s_mov_b32 s17, 0
                                        ; implicit-def: $sgpr0
                                        ; implicit-def: $vgpr2_vgpr3
	s_branch .LBB38_1726
.LBB38_1156:
	s_or_b32 s9, s1, exec_lo
	s_trap 2
	s_cbranch_execz .LBB38_1105
	s_branch .LBB38_1106
.LBB38_1157:
	s_mov_b32 s16, -1
	s_mov_b32 s19, 0
	s_mov_b32 s0, 0
	s_branch .LBB38_1159
.LBB38_1158:
	s_mov_b32 s0, -1
	s_mov_b32 s19, 0
.LBB38_1159:
                                        ; implicit-def: $vgpr1
.LBB38_1160:
	s_and_b32 vcc_lo, exec_lo, s16
	s_cbranch_vccz .LBB38_1164
; %bb.1161:
	s_cmp_eq_u32 s15, 44
	s_cbranch_scc0 .LBB38_1163
; %bb.1162:
	global_load_u8 v1, v[2:3], off
	s_mov_b32 s0, 0
	s_mov_b32 s19, -1
	s_wait_loadcnt 0x0
	v_lshlrev_b32_e32 v5, 23, v1
	v_cmp_ne_u32_e32 vcc_lo, 0, v1
	s_delay_alu instid0(VALU_DEP_2) | instskip(NEXT) | instid1(VALU_DEP_1)
	v_cvt_i32_f32_e32 v5, v5
	v_cndmask_b32_e32 v1, 0, v5, vcc_lo
	s_branch .LBB38_1164
.LBB38_1163:
	s_mov_b32 s0, -1
                                        ; implicit-def: $vgpr1
.LBB38_1164:
	s_mov_b32 s16, 0
.LBB38_1165:
	s_delay_alu instid0(SALU_CYCLE_1)
	s_and_b32 vcc_lo, exec_lo, s16
	s_cbranch_vccz .LBB38_1169
; %bb.1166:
	s_cmp_eq_u32 s15, 29
	s_cbranch_scc0 .LBB38_1168
; %bb.1167:
	global_load_b32 v1, v[2:3], off
	s_mov_b32 s0, 0
	s_mov_b32 s19, -1
	s_branch .LBB38_1169
.LBB38_1168:
	s_mov_b32 s0, -1
                                        ; implicit-def: $vgpr1
.LBB38_1169:
	s_mov_b32 s16, 0
.LBB38_1170:
	s_delay_alu instid0(SALU_CYCLE_1)
	s_and_b32 vcc_lo, exec_lo, s16
	s_cbranch_vccz .LBB38_1186
; %bb.1171:
	s_cmp_lt_i32 s15, 27
	s_cbranch_scc1 .LBB38_1174
; %bb.1172:
	s_cmp_gt_i32 s15, 27
	s_cbranch_scc0 .LBB38_1175
; %bb.1173:
	s_wait_loadcnt 0x0
	global_load_b32 v1, v[2:3], off
	s_mov_b32 s16, 0
	s_branch .LBB38_1176
.LBB38_1174:
	s_mov_b32 s16, -1
                                        ; implicit-def: $vgpr1
	s_branch .LBB38_1179
.LBB38_1175:
	s_mov_b32 s16, -1
                                        ; implicit-def: $vgpr1
.LBB38_1176:
	s_delay_alu instid0(SALU_CYCLE_1)
	s_and_not1_b32 vcc_lo, exec_lo, s16
	s_cbranch_vccnz .LBB38_1178
; %bb.1177:
	s_wait_loadcnt 0x0
	global_load_u16 v1, v[2:3], off
.LBB38_1178:
	s_mov_b32 s16, 0
.LBB38_1179:
	s_delay_alu instid0(SALU_CYCLE_1)
	s_and_not1_b32 vcc_lo, exec_lo, s16
	s_cbranch_vccnz .LBB38_1185
; %bb.1180:
	global_load_u8 v5, v[2:3], off
	s_mov_b32 s19, 0
	s_mov_b32 s16, exec_lo
	s_wait_loadcnt 0x0
	v_cmpx_lt_i16_e32 0x7f, v5
	s_xor_b32 s16, exec_lo, s16
	s_cbranch_execz .LBB38_1197
; %bb.1181:
	v_cmp_ne_u16_e32 vcc_lo, 0x80, v5
	s_and_b32 s19, vcc_lo, exec_lo
	s_and_not1_saveexec_b32 s16, s16
	s_cbranch_execnz .LBB38_1198
.LBB38_1182:
	s_or_b32 exec_lo, exec_lo, s16
	v_mov_b32_e32 v1, 0
	s_and_saveexec_b32 s16, s19
	s_cbranch_execz .LBB38_1184
.LBB38_1183:
	v_and_b32_e32 v1, 0xffff, v5
	s_delay_alu instid0(VALU_DEP_1) | instskip(SKIP_1) | instid1(VALU_DEP_2)
	v_and_b32_e32 v6, 7, v1
	v_bfe_u32 v9, v1, 3, 4
	v_clz_i32_u32_e32 v7, v6
	s_delay_alu instid0(VALU_DEP_2) | instskip(NEXT) | instid1(VALU_DEP_2)
	v_cmp_eq_u32_e32 vcc_lo, 0, v9
	v_min_u32_e32 v7, 32, v7
	s_delay_alu instid0(VALU_DEP_1) | instskip(NEXT) | instid1(VALU_DEP_1)
	v_subrev_nc_u32_e32 v8, 28, v7
	v_dual_lshlrev_b32 v1, v8, v1 :: v_dual_sub_nc_u32 v7, 29, v7
	s_delay_alu instid0(VALU_DEP_1) | instskip(NEXT) | instid1(VALU_DEP_2)
	v_and_b32_e32 v1, 7, v1
	v_dual_lshlrev_b32 v5, 24, v5 :: v_dual_cndmask_b32 v7, v9, v7, vcc_lo
	s_delay_alu instid0(VALU_DEP_2) | instskip(NEXT) | instid1(VALU_DEP_2)
	v_cndmask_b32_e32 v1, v6, v1, vcc_lo
	v_and_b32_e32 v5, 0x80000000, v5
	s_delay_alu instid0(VALU_DEP_3) | instskip(NEXT) | instid1(VALU_DEP_3)
	v_lshl_add_u32 v6, v7, 23, 0x3b800000
	v_lshlrev_b32_e32 v1, 20, v1
	s_delay_alu instid0(VALU_DEP_1) | instskip(NEXT) | instid1(VALU_DEP_1)
	v_or3_b32 v1, v5, v6, v1
	v_cvt_i32_f32_e32 v1, v1
.LBB38_1184:
	s_or_b32 exec_lo, exec_lo, s16
.LBB38_1185:
	s_mov_b32 s19, -1
.LBB38_1186:
	s_mov_b32 s16, 0
.LBB38_1187:
	s_delay_alu instid0(SALU_CYCLE_1)
	s_and_b32 vcc_lo, exec_lo, s16
	s_cbranch_vccz .LBB38_1218
; %bb.1188:
	s_cmp_gt_i32 s15, 22
	s_cbranch_scc0 .LBB38_1196
; %bb.1189:
	s_cmp_lt_i32 s15, 24
	s_cbranch_scc1 .LBB38_1199
; %bb.1190:
	s_cmp_gt_i32 s15, 24
	s_cbranch_scc0 .LBB38_1200
; %bb.1191:
	global_load_u8 v5, v[2:3], off
	s_mov_b32 s16, exec_lo
	s_wait_loadcnt 0x0
	v_cmpx_lt_i16_e32 0x7f, v5
	s_xor_b32 s16, exec_lo, s16
	s_cbranch_execz .LBB38_1212
; %bb.1192:
	v_cmp_ne_u16_e32 vcc_lo, 0x80, v5
	s_and_b32 s17, vcc_lo, exec_lo
	s_and_not1_saveexec_b32 s16, s16
	s_cbranch_execnz .LBB38_1213
.LBB38_1193:
	s_or_b32 exec_lo, exec_lo, s16
	v_mov_b32_e32 v1, 0
	s_and_saveexec_b32 s16, s17
	s_cbranch_execz .LBB38_1195
.LBB38_1194:
	v_and_b32_e32 v1, 0xffff, v5
	s_delay_alu instid0(VALU_DEP_1) | instskip(SKIP_1) | instid1(VALU_DEP_2)
	v_and_b32_e32 v6, 3, v1
	v_bfe_u32 v9, v1, 2, 5
	v_clz_i32_u32_e32 v7, v6
	s_delay_alu instid0(VALU_DEP_2) | instskip(NEXT) | instid1(VALU_DEP_2)
	v_cmp_eq_u32_e32 vcc_lo, 0, v9
	v_min_u32_e32 v7, 32, v7
	s_delay_alu instid0(VALU_DEP_1) | instskip(NEXT) | instid1(VALU_DEP_1)
	v_subrev_nc_u32_e32 v8, 29, v7
	v_dual_lshlrev_b32 v1, v8, v1 :: v_dual_sub_nc_u32 v7, 30, v7
	s_delay_alu instid0(VALU_DEP_1) | instskip(NEXT) | instid1(VALU_DEP_2)
	v_and_b32_e32 v1, 3, v1
	v_dual_lshlrev_b32 v5, 24, v5 :: v_dual_cndmask_b32 v7, v9, v7, vcc_lo
	s_delay_alu instid0(VALU_DEP_2) | instskip(NEXT) | instid1(VALU_DEP_2)
	v_cndmask_b32_e32 v1, v6, v1, vcc_lo
	v_and_b32_e32 v5, 0x80000000, v5
	s_delay_alu instid0(VALU_DEP_3) | instskip(NEXT) | instid1(VALU_DEP_3)
	v_lshl_add_u32 v6, v7, 23, 0x37800000
	v_lshlrev_b32_e32 v1, 21, v1
	s_delay_alu instid0(VALU_DEP_1) | instskip(NEXT) | instid1(VALU_DEP_1)
	v_or3_b32 v1, v5, v6, v1
	v_cvt_i32_f32_e32 v1, v1
.LBB38_1195:
	s_or_b32 exec_lo, exec_lo, s16
	s_mov_b32 s16, 0
	s_branch .LBB38_1201
.LBB38_1196:
	s_mov_b32 s16, -1
                                        ; implicit-def: $vgpr1
	s_branch .LBB38_1207
.LBB38_1197:
	s_and_not1_saveexec_b32 s16, s16
	s_cbranch_execz .LBB38_1182
.LBB38_1198:
	v_cmp_ne_u16_e32 vcc_lo, 0, v5
	s_and_not1_b32 s19, s19, exec_lo
	s_and_b32 s20, vcc_lo, exec_lo
	s_delay_alu instid0(SALU_CYCLE_1)
	s_or_b32 s19, s19, s20
	s_or_b32 exec_lo, exec_lo, s16
	v_mov_b32_e32 v1, 0
	s_and_saveexec_b32 s16, s19
	s_cbranch_execnz .LBB38_1183
	s_branch .LBB38_1184
.LBB38_1199:
	s_mov_b32 s16, -1
                                        ; implicit-def: $vgpr1
	s_branch .LBB38_1204
.LBB38_1200:
	s_mov_b32 s16, -1
                                        ; implicit-def: $vgpr1
.LBB38_1201:
	s_delay_alu instid0(SALU_CYCLE_1)
	s_and_b32 vcc_lo, exec_lo, s16
	s_cbranch_vccz .LBB38_1203
; %bb.1202:
	s_wait_loadcnt 0x0
	global_load_u8 v1, v[2:3], off
	s_wait_loadcnt 0x0
	v_lshlrev_b32_e32 v1, 24, v1
	s_delay_alu instid0(VALU_DEP_1) | instskip(NEXT) | instid1(VALU_DEP_1)
	v_and_b32_e32 v5, 0x7f000000, v1
	v_clz_i32_u32_e32 v6, v5
	v_cmp_ne_u32_e32 vcc_lo, 0, v5
	v_add_nc_u32_e32 v8, 0x1000000, v5
	s_delay_alu instid0(VALU_DEP_3) | instskip(NEXT) | instid1(VALU_DEP_1)
	v_min_u32_e32 v6, 32, v6
	v_sub_nc_u32_e64 v6, v6, 4 clamp
	s_delay_alu instid0(VALU_DEP_1) | instskip(NEXT) | instid1(VALU_DEP_1)
	v_dual_lshlrev_b32 v7, v6, v5 :: v_dual_lshlrev_b32 v6, 23, v6
	v_lshrrev_b32_e32 v7, 4, v7
	s_delay_alu instid0(VALU_DEP_1) | instskip(NEXT) | instid1(VALU_DEP_1)
	v_dual_sub_nc_u32 v6, v7, v6 :: v_dual_ashrrev_i32 v7, 8, v8
	v_add_nc_u32_e32 v6, 0x3c000000, v6
	s_delay_alu instid0(VALU_DEP_1) | instskip(NEXT) | instid1(VALU_DEP_1)
	v_and_or_b32 v6, 0x7f800000, v7, v6
	v_cndmask_b32_e32 v5, 0, v6, vcc_lo
	s_delay_alu instid0(VALU_DEP_1) | instskip(NEXT) | instid1(VALU_DEP_1)
	v_and_or_b32 v1, 0x80000000, v1, v5
	v_cvt_i32_f32_e32 v1, v1
.LBB38_1203:
	s_mov_b32 s16, 0
.LBB38_1204:
	s_delay_alu instid0(SALU_CYCLE_1)
	s_and_not1_b32 vcc_lo, exec_lo, s16
	s_cbranch_vccnz .LBB38_1206
; %bb.1205:
	s_wait_loadcnt 0x0
	global_load_u8 v1, v[2:3], off
	s_wait_loadcnt 0x0
	v_lshlrev_b32_e32 v5, 25, v1
	v_lshlrev_b16 v1, 8, v1
	s_delay_alu instid0(VALU_DEP_1) | instskip(SKIP_1) | instid1(VALU_DEP_2)
	v_and_or_b32 v7, 0x7f00, v1, 0.5
	v_bfe_i32 v1, v1, 0, 16
	v_dual_add_f32 v7, -0.5, v7 :: v_dual_lshrrev_b32 v6, 4, v5
	v_cmp_gt_u32_e32 vcc_lo, 0x8000000, v5
	s_delay_alu instid0(VALU_DEP_2) | instskip(NEXT) | instid1(VALU_DEP_1)
	v_or_b32_e32 v6, 0x70000000, v6
	v_mul_f32_e32 v6, 0x7800000, v6
	s_delay_alu instid0(VALU_DEP_1) | instskip(NEXT) | instid1(VALU_DEP_1)
	v_cndmask_b32_e32 v5, v6, v7, vcc_lo
	v_and_or_b32 v1, 0x80000000, v1, v5
	s_delay_alu instid0(VALU_DEP_1)
	v_cvt_i32_f32_e32 v1, v1
.LBB38_1206:
	s_mov_b32 s16, 0
	s_mov_b32 s19, -1
.LBB38_1207:
	s_and_not1_b32 vcc_lo, exec_lo, s16
	s_mov_b32 s17, 0
	s_cbranch_vccnz .LBB38_1218
; %bb.1208:
	s_cmp_gt_i32 s15, 14
	s_cbranch_scc0 .LBB38_1211
; %bb.1209:
	s_cmp_eq_u32 s15, 15
	s_cbranch_scc0 .LBB38_1214
; %bb.1210:
	s_wait_loadcnt 0x0
	global_load_u16 v1, v[2:3], off
	s_mov_b32 s0, 0
	s_mov_b32 s19, -1
	s_wait_loadcnt 0x0
	v_lshlrev_b32_e32 v1, 16, v1
	s_delay_alu instid0(VALU_DEP_1)
	v_cvt_i32_f32_e32 v1, v1
	s_branch .LBB38_1215
.LBB38_1211:
	s_mov_b32 s16, -1
                                        ; implicit-def: $vgpr1
	s_branch .LBB38_1216
.LBB38_1212:
	s_and_not1_saveexec_b32 s16, s16
	s_cbranch_execz .LBB38_1193
.LBB38_1213:
	v_cmp_ne_u16_e32 vcc_lo, 0, v5
	s_and_not1_b32 s17, s17, exec_lo
	s_and_b32 s19, vcc_lo, exec_lo
	s_delay_alu instid0(SALU_CYCLE_1)
	s_or_b32 s17, s17, s19
	s_or_b32 exec_lo, exec_lo, s16
	v_mov_b32_e32 v1, 0
	s_and_saveexec_b32 s16, s17
	s_cbranch_execnz .LBB38_1194
	s_branch .LBB38_1195
.LBB38_1214:
	s_mov_b32 s0, -1
                                        ; implicit-def: $vgpr1
.LBB38_1215:
	s_mov_b32 s16, 0
.LBB38_1216:
	s_delay_alu instid0(SALU_CYCLE_1)
	s_and_b32 vcc_lo, exec_lo, s16
	s_cbranch_vccz .LBB38_1218
; %bb.1217:
	s_cmp_lg_u32 s15, 11
	s_mov_b32 s17, -1
	s_cselect_b32 s0, -1, 0
.LBB38_1218:
	s_delay_alu instid0(SALU_CYCLE_1)
	s_and_b32 vcc_lo, exec_lo, s0
	s_mov_b32 s16, s9
	s_cbranch_vccnz .LBB38_1285
; %bb.1219:
	s_and_not1_b32 vcc_lo, exec_lo, s17
	s_cbranch_vccnz .LBB38_1221
.LBB38_1220:
	s_wait_loadcnt 0x0
	global_load_u8 v1, v[2:3], off
	s_mov_b32 s19, -1
	s_wait_loadcnt 0x0
	v_cmp_ne_u16_e32 vcc_lo, 0, v1
	v_cndmask_b32_e64 v1, 0, 1, vcc_lo
.LBB38_1221:
	s_mov_b32 s0, 0
.LBB38_1222:
	s_delay_alu instid0(SALU_CYCLE_1)
	s_and_b32 vcc_lo, exec_lo, s0
	s_cbranch_vccz .LBB38_1271
; %bb.1223:
	s_cmp_lt_i32 s15, 5
	s_cbranch_scc1 .LBB38_1228
; %bb.1224:
	s_cmp_lt_i32 s15, 8
	s_cbranch_scc1 .LBB38_1229
	;; [unrolled: 3-line block ×3, first 2 shown]
; %bb.1226:
	s_cmp_gt_i32 s15, 9
	s_cbranch_scc0 .LBB38_1231
; %bb.1227:
	global_load_b64 v[6:7], v[2:3], off
	s_mov_b32 s0, 0
	s_wait_loadcnt 0x0
	v_cvt_i32_f64_e32 v1, v[6:7]
	s_branch .LBB38_1232
.LBB38_1228:
	s_mov_b32 s0, -1
                                        ; implicit-def: $vgpr1
	s_branch .LBB38_1250
.LBB38_1229:
	s_mov_b32 s0, -1
                                        ; implicit-def: $vgpr1
	s_branch .LBB38_1238
.LBB38_1230:
	s_mov_b32 s0, -1
                                        ; implicit-def: $vgpr1
	s_branch .LBB38_1235
.LBB38_1231:
	s_mov_b32 s0, -1
                                        ; implicit-def: $vgpr1
.LBB38_1232:
	s_delay_alu instid0(SALU_CYCLE_1)
	s_and_not1_b32 vcc_lo, exec_lo, s0
	s_cbranch_vccnz .LBB38_1234
; %bb.1233:
	s_wait_loadcnt 0x0
	global_load_b32 v1, v[2:3], off
	s_wait_loadcnt 0x0
	v_cvt_i32_f32_e32 v1, v1
.LBB38_1234:
	s_mov_b32 s0, 0
.LBB38_1235:
	s_delay_alu instid0(SALU_CYCLE_1)
	s_and_not1_b32 vcc_lo, exec_lo, s0
	s_cbranch_vccnz .LBB38_1237
; %bb.1236:
	s_wait_loadcnt 0x0
	global_load_b32 v1, v[2:3], off
	s_wait_loadcnt 0x0
	v_cvt_f32_f16_e32 v1, v1
	s_delay_alu instid0(VALU_DEP_1)
	v_cvt_i32_f32_e32 v1, v1
.LBB38_1237:
	s_mov_b32 s0, 0
.LBB38_1238:
	s_delay_alu instid0(SALU_CYCLE_1)
	s_and_not1_b32 vcc_lo, exec_lo, s0
	s_cbranch_vccnz .LBB38_1249
; %bb.1239:
	s_cmp_lt_i32 s15, 6
	s_cbranch_scc1 .LBB38_1242
; %bb.1240:
	s_cmp_gt_i32 s15, 6
	s_cbranch_scc0 .LBB38_1243
; %bb.1241:
	global_load_b64 v[6:7], v[2:3], off
	s_mov_b32 s0, 0
	s_wait_loadcnt 0x0
	v_cvt_i32_f64_e32 v1, v[6:7]
	s_branch .LBB38_1244
.LBB38_1242:
	s_mov_b32 s0, -1
                                        ; implicit-def: $vgpr1
	s_branch .LBB38_1247
.LBB38_1243:
	s_mov_b32 s0, -1
                                        ; implicit-def: $vgpr1
.LBB38_1244:
	s_delay_alu instid0(SALU_CYCLE_1)
	s_and_not1_b32 vcc_lo, exec_lo, s0
	s_cbranch_vccnz .LBB38_1246
; %bb.1245:
	s_wait_loadcnt 0x0
	global_load_b32 v1, v[2:3], off
	s_wait_loadcnt 0x0
	v_cvt_i32_f32_e32 v1, v1
.LBB38_1246:
	s_mov_b32 s0, 0
.LBB38_1247:
	s_delay_alu instid0(SALU_CYCLE_1)
	s_and_not1_b32 vcc_lo, exec_lo, s0
	s_cbranch_vccnz .LBB38_1249
; %bb.1248:
	s_wait_loadcnt 0x0
	global_load_u16 v1, v[2:3], off
	s_wait_loadcnt 0x0
	v_cvt_f32_f16_e32 v1, v1
	s_delay_alu instid0(VALU_DEP_1)
	v_cvt_i32_f32_e32 v1, v1
.LBB38_1249:
	s_mov_b32 s0, 0
.LBB38_1250:
	s_delay_alu instid0(SALU_CYCLE_1)
	s_and_not1_b32 vcc_lo, exec_lo, s0
	s_cbranch_vccnz .LBB38_1270
; %bb.1251:
	s_cmp_lt_i32 s15, 2
	s_cbranch_scc1 .LBB38_1255
; %bb.1252:
	s_cmp_lt_i32 s15, 3
	s_cbranch_scc1 .LBB38_1256
; %bb.1253:
	s_cmp_gt_i32 s15, 3
	s_cbranch_scc0 .LBB38_1257
; %bb.1254:
	s_wait_loadcnt 0x0
	global_load_b32 v1, v[2:3], off
	s_mov_b32 s0, 0
	s_branch .LBB38_1258
.LBB38_1255:
	s_mov_b32 s0, -1
                                        ; implicit-def: $vgpr1
	s_branch .LBB38_1264
.LBB38_1256:
	s_mov_b32 s0, -1
                                        ; implicit-def: $vgpr1
	s_branch .LBB38_1261
.LBB38_1257:
	s_mov_b32 s0, -1
                                        ; implicit-def: $vgpr1
.LBB38_1258:
	s_delay_alu instid0(SALU_CYCLE_1)
	s_and_not1_b32 vcc_lo, exec_lo, s0
	s_cbranch_vccnz .LBB38_1260
; %bb.1259:
	s_wait_loadcnt 0x0
	global_load_b32 v1, v[2:3], off
.LBB38_1260:
	s_mov_b32 s0, 0
.LBB38_1261:
	s_delay_alu instid0(SALU_CYCLE_1)
	s_and_not1_b32 vcc_lo, exec_lo, s0
	s_cbranch_vccnz .LBB38_1263
; %bb.1262:
	s_wait_loadcnt 0x0
	global_load_i16 v1, v[2:3], off
.LBB38_1263:
	s_mov_b32 s0, 0
.LBB38_1264:
	s_delay_alu instid0(SALU_CYCLE_1)
	s_and_not1_b32 vcc_lo, exec_lo, s0
	s_cbranch_vccnz .LBB38_1270
; %bb.1265:
	s_cmp_gt_i32 s15, 0
	s_mov_b32 s0, 0
	s_cbranch_scc0 .LBB38_1267
; %bb.1266:
	s_wait_loadcnt 0x0
	global_load_i8 v1, v[2:3], off
	s_branch .LBB38_1268
.LBB38_1267:
	s_mov_b32 s0, -1
                                        ; implicit-def: $vgpr1
.LBB38_1268:
	s_delay_alu instid0(SALU_CYCLE_1)
	s_and_not1_b32 vcc_lo, exec_lo, s0
	s_cbranch_vccnz .LBB38_1270
; %bb.1269:
	s_wait_loadcnt 0x0
	global_load_u8 v1, v[2:3], off
.LBB38_1270:
	s_mov_b32 s19, -1
.LBB38_1271:
	s_delay_alu instid0(SALU_CYCLE_1)
	s_and_not1_b32 vcc_lo, exec_lo, s19
	s_cbranch_vccnz .LBB38_1281
; %bb.1272:
	s_wait_loadcnt 0x0
	s_delay_alu instid0(VALU_DEP_1) | instskip(SKIP_4) | instid1(SALU_CYCLE_1)
	v_cmp_gt_i32_e32 vcc_lo, s10, v1
	v_cmp_le_i32_e64 s0, s12, v1
	s_or_b32 s0, vcc_lo, s0
	s_wait_xcnt 0x0
	s_and_saveexec_b32 s17, s0
	s_xor_b32 s0, exec_lo, s17
	s_cbranch_execnz .LBB38_1778
.LBB38_1273:
	s_or_saveexec_b32 s17, s0
	s_mov_b32 s19, 0
	s_mov_b32 s20, 0
                                        ; implicit-def: $sgpr0
                                        ; implicit-def: $vgpr2_vgpr3
	s_xor_b32 exec_lo, exec_lo, s17
	s_cbranch_execz .LBB38_1723
; %bb.1274:
	v_add_nc_u32_e32 v0, s18, v0
	s_cmp_lt_i32 s15, 11
	s_delay_alu instid0(VALU_DEP_1) | instskip(NEXT) | instid1(VALU_DEP_1)
	v_ashrrev_i32_e32 v1, 31, v0
	v_add_nc_u64_e32 v[0:1], s[6:7], v[0:1]
	s_cbranch_scc1 .LBB38_1282
; %bb.1275:
	s_cmp_gt_i32 s15, 25
	s_mov_b32 s7, 0
	s_cbranch_scc0 .LBB38_1283
; %bb.1276:
	s_cmp_gt_i32 s15, 28
	s_cbranch_scc0 .LBB38_1284
; %bb.1277:
	s_cmp_gt_i32 s15, 43
	;; [unrolled: 3-line block ×3, first 2 shown]
	s_cbranch_scc0 .LBB38_1287
; %bb.1279:
	s_cmp_eq_u32 s15, 46
	s_mov_b32 s6, 0
	s_cbranch_scc0 .LBB38_1289
; %bb.1280:
	global_load_b32 v2, v[0:1], off
	s_mov_b32 s0, 0
	s_mov_b32 s18, -1
	s_wait_loadcnt 0x0
	v_lshlrev_b32_e32 v2, 16, v2
	s_delay_alu instid0(VALU_DEP_1)
	v_cvt_i32_f32_e32 v2, v2
	s_branch .LBB38_1291
.LBB38_1281:
	s_mov_b32 s19, 0
	s_mov_b32 s20, 0
                                        ; implicit-def: $sgpr0
                                        ; implicit-def: $vgpr2_vgpr3
	s_branch .LBB38_1724
.LBB38_1282:
	s_mov_b32 s0, -1
	s_mov_b32 s18, 0
	s_mov_b32 s6, s16
                                        ; implicit-def: $vgpr2
	s_branch .LBB38_1353
.LBB38_1283:
	s_mov_b32 s6, -1
	s_mov_b32 s18, 0
	s_mov_b32 s0, 0
                                        ; implicit-def: $vgpr2
	s_branch .LBB38_1318
.LBB38_1284:
	s_mov_b32 s6, -1
	s_mov_b32 s18, 0
	s_mov_b32 s0, 0
                                        ; implicit-def: $vgpr2
	s_branch .LBB38_1301
.LBB38_1285:
	s_or_b32 s16, s9, exec_lo
	s_trap 2
	s_cbranch_execz .LBB38_1220
	s_branch .LBB38_1221
.LBB38_1286:
	s_mov_b32 s6, -1
	s_mov_b32 s18, 0
	s_mov_b32 s0, 0
                                        ; implicit-def: $vgpr2
	s_branch .LBB38_1296
.LBB38_1287:
	s_mov_b32 s6, -1
	s_mov_b32 s18, 0
	s_mov_b32 s0, 0
	s_branch .LBB38_1290
.LBB38_1288:
	s_or_b32 s1, s1, exec_lo
	s_trap 2
                                        ; implicit-def: $vgpr0
                                        ; implicit-def: $vgpr4
	s_branch .LBB38_905
.LBB38_1289:
	s_mov_b32 s0, -1
	s_mov_b32 s18, 0
.LBB38_1290:
                                        ; implicit-def: $vgpr2
.LBB38_1291:
	s_and_b32 vcc_lo, exec_lo, s6
	s_cbranch_vccz .LBB38_1295
; %bb.1292:
	s_cmp_eq_u32 s15, 44
	s_cbranch_scc0 .LBB38_1294
; %bb.1293:
	global_load_u8 v2, v[0:1], off
	s_mov_b32 s0, 0
	s_mov_b32 s18, -1
	s_wait_loadcnt 0x0
	v_lshlrev_b32_e32 v3, 23, v2
	v_cmp_ne_u32_e32 vcc_lo, 0, v2
	s_delay_alu instid0(VALU_DEP_2) | instskip(NEXT) | instid1(VALU_DEP_1)
	v_cvt_i32_f32_e32 v3, v3
	v_cndmask_b32_e32 v2, 0, v3, vcc_lo
	s_branch .LBB38_1295
.LBB38_1294:
	s_mov_b32 s0, -1
                                        ; implicit-def: $vgpr2
.LBB38_1295:
	s_mov_b32 s6, 0
.LBB38_1296:
	s_delay_alu instid0(SALU_CYCLE_1)
	s_and_b32 vcc_lo, exec_lo, s6
	s_cbranch_vccz .LBB38_1300
; %bb.1297:
	s_cmp_eq_u32 s15, 29
	s_cbranch_scc0 .LBB38_1299
; %bb.1298:
	global_load_b32 v2, v[0:1], off
	s_mov_b32 s0, 0
	s_mov_b32 s18, -1
	s_branch .LBB38_1300
.LBB38_1299:
	s_mov_b32 s0, -1
                                        ; implicit-def: $vgpr2
.LBB38_1300:
	s_mov_b32 s6, 0
.LBB38_1301:
	s_delay_alu instid0(SALU_CYCLE_1)
	s_and_b32 vcc_lo, exec_lo, s6
	s_cbranch_vccz .LBB38_1317
; %bb.1302:
	s_cmp_lt_i32 s15, 27
	s_cbranch_scc1 .LBB38_1305
; %bb.1303:
	s_cmp_gt_i32 s15, 27
	s_cbranch_scc0 .LBB38_1306
; %bb.1304:
	s_wait_loadcnt 0x0
	global_load_b32 v2, v[0:1], off
	s_mov_b32 s6, 0
	s_branch .LBB38_1307
.LBB38_1305:
	s_mov_b32 s6, -1
                                        ; implicit-def: $vgpr2
	s_branch .LBB38_1310
.LBB38_1306:
	s_mov_b32 s6, -1
                                        ; implicit-def: $vgpr2
.LBB38_1307:
	s_delay_alu instid0(SALU_CYCLE_1)
	s_and_not1_b32 vcc_lo, exec_lo, s6
	s_cbranch_vccnz .LBB38_1309
; %bb.1308:
	s_wait_loadcnt 0x0
	global_load_u16 v2, v[0:1], off
.LBB38_1309:
	s_mov_b32 s6, 0
.LBB38_1310:
	s_delay_alu instid0(SALU_CYCLE_1)
	s_and_not1_b32 vcc_lo, exec_lo, s6
	s_cbranch_vccnz .LBB38_1316
; %bb.1311:
	global_load_u8 v3, v[0:1], off
	s_mov_b32 s18, 0
	s_mov_b32 s6, exec_lo
	s_wait_loadcnt 0x0
	v_cmpx_lt_i16_e32 0x7f, v3
	s_xor_b32 s6, exec_lo, s6
	s_cbranch_execz .LBB38_1328
; %bb.1312:
	v_cmp_ne_u16_e32 vcc_lo, 0x80, v3
	s_and_b32 s18, vcc_lo, exec_lo
	s_and_not1_saveexec_b32 s6, s6
	s_cbranch_execnz .LBB38_1329
.LBB38_1313:
	s_or_b32 exec_lo, exec_lo, s6
	v_mov_b32_e32 v2, 0
	s_and_saveexec_b32 s6, s18
	s_cbranch_execz .LBB38_1315
.LBB38_1314:
	v_and_b32_e32 v2, 0xffff, v3
	s_delay_alu instid0(VALU_DEP_1) | instskip(SKIP_1) | instid1(VALU_DEP_2)
	v_dual_lshlrev_b32 v3, 24, v3 :: v_dual_bitop2_b32 v5, 7, v2 bitop3:0x40
	v_bfe_u32 v8, v2, 3, 4
	v_and_b32_e32 v3, 0x80000000, v3
	s_delay_alu instid0(VALU_DEP_3) | instskip(NEXT) | instid1(VALU_DEP_3)
	v_clz_i32_u32_e32 v6, v5
	v_cmp_eq_u32_e32 vcc_lo, 0, v8
	s_delay_alu instid0(VALU_DEP_2) | instskip(NEXT) | instid1(VALU_DEP_1)
	v_min_u32_e32 v6, 32, v6
	v_subrev_nc_u32_e32 v7, 28, v6
	v_sub_nc_u32_e32 v6, 29, v6
	s_delay_alu instid0(VALU_DEP_2) | instskip(NEXT) | instid1(VALU_DEP_2)
	v_lshlrev_b32_e32 v2, v7, v2
	v_cndmask_b32_e32 v6, v8, v6, vcc_lo
	s_delay_alu instid0(VALU_DEP_2) | instskip(NEXT) | instid1(VALU_DEP_1)
	v_and_b32_e32 v2, 7, v2
	v_cndmask_b32_e32 v2, v5, v2, vcc_lo
	s_delay_alu instid0(VALU_DEP_3) | instskip(NEXT) | instid1(VALU_DEP_2)
	v_lshl_add_u32 v5, v6, 23, 0x3b800000
	v_lshlrev_b32_e32 v2, 20, v2
	s_delay_alu instid0(VALU_DEP_1) | instskip(NEXT) | instid1(VALU_DEP_1)
	v_or3_b32 v2, v3, v5, v2
	v_cvt_i32_f32_e32 v2, v2
.LBB38_1315:
	s_or_b32 exec_lo, exec_lo, s6
.LBB38_1316:
	s_mov_b32 s18, -1
.LBB38_1317:
	s_mov_b32 s6, 0
.LBB38_1318:
	s_delay_alu instid0(SALU_CYCLE_1)
	s_and_b32 vcc_lo, exec_lo, s6
	s_cbranch_vccz .LBB38_1349
; %bb.1319:
	s_cmp_gt_i32 s15, 22
	s_cbranch_scc0 .LBB38_1327
; %bb.1320:
	s_cmp_lt_i32 s15, 24
	s_cbranch_scc1 .LBB38_1330
; %bb.1321:
	s_cmp_gt_i32 s15, 24
	s_cbranch_scc0 .LBB38_1331
; %bb.1322:
	global_load_u8 v3, v[0:1], off
	s_mov_b32 s6, exec_lo
	s_wait_loadcnt 0x0
	v_cmpx_lt_i16_e32 0x7f, v3
	s_xor_b32 s6, exec_lo, s6
	s_cbranch_execz .LBB38_1343
; %bb.1323:
	v_cmp_ne_u16_e32 vcc_lo, 0x80, v3
	s_and_b32 s7, vcc_lo, exec_lo
	s_and_not1_saveexec_b32 s6, s6
	s_cbranch_execnz .LBB38_1344
.LBB38_1324:
	s_or_b32 exec_lo, exec_lo, s6
	v_mov_b32_e32 v2, 0
	s_and_saveexec_b32 s6, s7
	s_cbranch_execz .LBB38_1326
.LBB38_1325:
	v_and_b32_e32 v2, 0xffff, v3
	s_delay_alu instid0(VALU_DEP_1) | instskip(SKIP_1) | instid1(VALU_DEP_2)
	v_dual_lshlrev_b32 v3, 24, v3 :: v_dual_bitop2_b32 v5, 3, v2 bitop3:0x40
	v_bfe_u32 v8, v2, 2, 5
	v_and_b32_e32 v3, 0x80000000, v3
	s_delay_alu instid0(VALU_DEP_3) | instskip(NEXT) | instid1(VALU_DEP_3)
	v_clz_i32_u32_e32 v6, v5
	v_cmp_eq_u32_e32 vcc_lo, 0, v8
	s_delay_alu instid0(VALU_DEP_2) | instskip(NEXT) | instid1(VALU_DEP_1)
	v_min_u32_e32 v6, 32, v6
	v_subrev_nc_u32_e32 v7, 29, v6
	v_sub_nc_u32_e32 v6, 30, v6
	s_delay_alu instid0(VALU_DEP_2) | instskip(NEXT) | instid1(VALU_DEP_2)
	v_lshlrev_b32_e32 v2, v7, v2
	v_cndmask_b32_e32 v6, v8, v6, vcc_lo
	s_delay_alu instid0(VALU_DEP_2) | instskip(NEXT) | instid1(VALU_DEP_1)
	v_and_b32_e32 v2, 3, v2
	v_cndmask_b32_e32 v2, v5, v2, vcc_lo
	s_delay_alu instid0(VALU_DEP_3) | instskip(NEXT) | instid1(VALU_DEP_2)
	v_lshl_add_u32 v5, v6, 23, 0x37800000
	v_lshlrev_b32_e32 v2, 21, v2
	s_delay_alu instid0(VALU_DEP_1) | instskip(NEXT) | instid1(VALU_DEP_1)
	v_or3_b32 v2, v3, v5, v2
	v_cvt_i32_f32_e32 v2, v2
.LBB38_1326:
	s_or_b32 exec_lo, exec_lo, s6
	s_mov_b32 s6, 0
	s_branch .LBB38_1332
.LBB38_1327:
	s_mov_b32 s6, -1
                                        ; implicit-def: $vgpr2
	s_branch .LBB38_1338
.LBB38_1328:
	s_and_not1_saveexec_b32 s6, s6
	s_cbranch_execz .LBB38_1313
.LBB38_1329:
	v_cmp_ne_u16_e32 vcc_lo, 0, v3
	s_and_not1_b32 s18, s18, exec_lo
	s_and_b32 s19, vcc_lo, exec_lo
	s_delay_alu instid0(SALU_CYCLE_1)
	s_or_b32 s18, s18, s19
	s_or_b32 exec_lo, exec_lo, s6
	v_mov_b32_e32 v2, 0
	s_and_saveexec_b32 s6, s18
	s_cbranch_execnz .LBB38_1314
	s_branch .LBB38_1315
.LBB38_1330:
	s_mov_b32 s6, -1
                                        ; implicit-def: $vgpr2
	s_branch .LBB38_1335
.LBB38_1331:
	s_mov_b32 s6, -1
                                        ; implicit-def: $vgpr2
.LBB38_1332:
	s_delay_alu instid0(SALU_CYCLE_1)
	s_and_b32 vcc_lo, exec_lo, s6
	s_cbranch_vccz .LBB38_1334
; %bb.1333:
	s_wait_loadcnt 0x0
	global_load_u8 v2, v[0:1], off
	s_wait_loadcnt 0x0
	v_lshlrev_b32_e32 v2, 24, v2
	s_delay_alu instid0(VALU_DEP_1) | instskip(NEXT) | instid1(VALU_DEP_1)
	v_and_b32_e32 v3, 0x7f000000, v2
	v_clz_i32_u32_e32 v5, v3
	v_add_nc_u32_e32 v7, 0x1000000, v3
	v_cmp_ne_u32_e32 vcc_lo, 0, v3
	s_delay_alu instid0(VALU_DEP_3) | instskip(NEXT) | instid1(VALU_DEP_1)
	v_min_u32_e32 v5, 32, v5
	v_sub_nc_u32_e64 v5, v5, 4 clamp
	s_delay_alu instid0(VALU_DEP_1) | instskip(NEXT) | instid1(VALU_DEP_1)
	v_dual_lshlrev_b32 v6, v5, v3 :: v_dual_lshlrev_b32 v5, 23, v5
	v_lshrrev_b32_e32 v6, 4, v6
	s_delay_alu instid0(VALU_DEP_1) | instskip(NEXT) | instid1(VALU_DEP_1)
	v_dual_sub_nc_u32 v5, v6, v5 :: v_dual_ashrrev_i32 v6, 8, v7
	v_add_nc_u32_e32 v5, 0x3c000000, v5
	s_delay_alu instid0(VALU_DEP_1) | instskip(NEXT) | instid1(VALU_DEP_1)
	v_and_or_b32 v5, 0x7f800000, v6, v5
	v_cndmask_b32_e32 v3, 0, v5, vcc_lo
	s_delay_alu instid0(VALU_DEP_1) | instskip(NEXT) | instid1(VALU_DEP_1)
	v_and_or_b32 v2, 0x80000000, v2, v3
	v_cvt_i32_f32_e32 v2, v2
.LBB38_1334:
	s_mov_b32 s6, 0
.LBB38_1335:
	s_delay_alu instid0(SALU_CYCLE_1)
	s_and_not1_b32 vcc_lo, exec_lo, s6
	s_cbranch_vccnz .LBB38_1337
; %bb.1336:
	s_wait_loadcnt 0x0
	global_load_u8 v2, v[0:1], off
	s_wait_loadcnt 0x0
	v_lshlrev_b32_e32 v3, 25, v2
	v_lshlrev_b16 v2, 8, v2
	s_delay_alu instid0(VALU_DEP_2) | instskip(NEXT) | instid1(VALU_DEP_2)
	v_cmp_gt_u32_e32 vcc_lo, 0x8000000, v3
	v_and_or_b32 v6, 0x7f00, v2, 0.5
	v_lshrrev_b32_e32 v5, 4, v3
	v_bfe_i32 v2, v2, 0, 16
	s_delay_alu instid0(VALU_DEP_3) | instskip(NEXT) | instid1(VALU_DEP_3)
	v_add_f32_e32 v6, -0.5, v6
	v_or_b32_e32 v5, 0x70000000, v5
	s_delay_alu instid0(VALU_DEP_1) | instskip(NEXT) | instid1(VALU_DEP_1)
	v_mul_f32_e32 v5, 0x7800000, v5
	v_cndmask_b32_e32 v3, v5, v6, vcc_lo
	s_delay_alu instid0(VALU_DEP_1) | instskip(NEXT) | instid1(VALU_DEP_1)
	v_and_or_b32 v2, 0x80000000, v2, v3
	v_cvt_i32_f32_e32 v2, v2
.LBB38_1337:
	s_mov_b32 s6, 0
	s_mov_b32 s18, -1
.LBB38_1338:
	s_and_not1_b32 vcc_lo, exec_lo, s6
	s_mov_b32 s7, 0
	s_cbranch_vccnz .LBB38_1349
; %bb.1339:
	s_cmp_gt_i32 s15, 14
	s_cbranch_scc0 .LBB38_1342
; %bb.1340:
	s_cmp_eq_u32 s15, 15
	s_cbranch_scc0 .LBB38_1345
; %bb.1341:
	s_wait_loadcnt 0x0
	global_load_u16 v2, v[0:1], off
	s_mov_b32 s0, 0
	s_mov_b32 s18, -1
	s_wait_loadcnt 0x0
	v_lshlrev_b32_e32 v2, 16, v2
	s_delay_alu instid0(VALU_DEP_1)
	v_cvt_i32_f32_e32 v2, v2
	s_branch .LBB38_1346
.LBB38_1342:
	s_mov_b32 s6, -1
                                        ; implicit-def: $vgpr2
	s_branch .LBB38_1347
.LBB38_1343:
	s_and_not1_saveexec_b32 s6, s6
	s_cbranch_execz .LBB38_1324
.LBB38_1344:
	v_cmp_ne_u16_e32 vcc_lo, 0, v3
	s_and_not1_b32 s7, s7, exec_lo
	s_and_b32 s18, vcc_lo, exec_lo
	s_delay_alu instid0(SALU_CYCLE_1)
	s_or_b32 s7, s7, s18
	s_or_b32 exec_lo, exec_lo, s6
	v_mov_b32_e32 v2, 0
	s_and_saveexec_b32 s6, s7
	s_cbranch_execnz .LBB38_1325
	s_branch .LBB38_1326
.LBB38_1345:
	s_mov_b32 s0, -1
                                        ; implicit-def: $vgpr2
.LBB38_1346:
	s_mov_b32 s6, 0
.LBB38_1347:
	s_delay_alu instid0(SALU_CYCLE_1)
	s_and_b32 vcc_lo, exec_lo, s6
	s_cbranch_vccz .LBB38_1349
; %bb.1348:
	s_cmp_lg_u32 s15, 11
	s_mov_b32 s7, -1
	s_cselect_b32 s0, -1, 0
.LBB38_1349:
	s_delay_alu instid0(SALU_CYCLE_1)
	s_and_b32 vcc_lo, exec_lo, s0
	s_mov_b32 s6, s16
	s_cbranch_vccnz .LBB38_1772
; %bb.1350:
	s_and_not1_b32 vcc_lo, exec_lo, s7
	s_cbranch_vccnz .LBB38_1352
.LBB38_1351:
	s_wait_loadcnt 0x0
	global_load_u8 v2, v[0:1], off
	s_mov_b32 s18, -1
	s_wait_loadcnt 0x0
	v_cmp_ne_u16_e32 vcc_lo, 0, v2
	v_cndmask_b32_e64 v2, 0, 1, vcc_lo
.LBB38_1352:
	s_mov_b32 s0, 0
.LBB38_1353:
	s_delay_alu instid0(SALU_CYCLE_1)
	s_and_b32 vcc_lo, exec_lo, s0
	s_cbranch_vccz .LBB38_1402
; %bb.1354:
	s_cmp_lt_i32 s15, 5
	s_cbranch_scc1 .LBB38_1359
; %bb.1355:
	s_cmp_lt_i32 s15, 8
	s_cbranch_scc1 .LBB38_1360
	;; [unrolled: 3-line block ×3, first 2 shown]
; %bb.1357:
	s_cmp_gt_i32 s15, 9
	s_cbranch_scc0 .LBB38_1362
; %bb.1358:
	s_wait_loadcnt 0x0
	global_load_b64 v[2:3], v[0:1], off
	s_mov_b32 s0, 0
	s_wait_loadcnt 0x0
	v_cvt_i32_f64_e32 v2, v[2:3]
	s_branch .LBB38_1363
.LBB38_1359:
	s_mov_b32 s0, -1
                                        ; implicit-def: $vgpr2
	s_branch .LBB38_1381
.LBB38_1360:
	s_mov_b32 s0, -1
                                        ; implicit-def: $vgpr2
	s_branch .LBB38_1369
.LBB38_1361:
	s_mov_b32 s0, -1
                                        ; implicit-def: $vgpr2
	s_branch .LBB38_1366
.LBB38_1362:
	s_mov_b32 s0, -1
                                        ; implicit-def: $vgpr2
.LBB38_1363:
	s_delay_alu instid0(SALU_CYCLE_1)
	s_and_not1_b32 vcc_lo, exec_lo, s0
	s_cbranch_vccnz .LBB38_1365
; %bb.1364:
	s_wait_loadcnt 0x0
	global_load_b32 v2, v[0:1], off
	s_wait_loadcnt 0x0
	v_cvt_i32_f32_e32 v2, v2
.LBB38_1365:
	s_mov_b32 s0, 0
.LBB38_1366:
	s_delay_alu instid0(SALU_CYCLE_1)
	s_and_not1_b32 vcc_lo, exec_lo, s0
	s_cbranch_vccnz .LBB38_1368
; %bb.1367:
	s_wait_loadcnt 0x0
	global_load_b32 v2, v[0:1], off
	s_wait_loadcnt 0x0
	v_cvt_f32_f16_e32 v2, v2
	s_delay_alu instid0(VALU_DEP_1)
	v_cvt_i32_f32_e32 v2, v2
.LBB38_1368:
	s_mov_b32 s0, 0
.LBB38_1369:
	s_delay_alu instid0(SALU_CYCLE_1)
	s_and_not1_b32 vcc_lo, exec_lo, s0
	s_cbranch_vccnz .LBB38_1380
; %bb.1370:
	s_cmp_lt_i32 s15, 6
	s_cbranch_scc1 .LBB38_1373
; %bb.1371:
	s_cmp_gt_i32 s15, 6
	s_cbranch_scc0 .LBB38_1374
; %bb.1372:
	s_wait_loadcnt 0x0
	global_load_b64 v[2:3], v[0:1], off
	s_mov_b32 s0, 0
	s_wait_loadcnt 0x0
	v_cvt_i32_f64_e32 v2, v[2:3]
	s_branch .LBB38_1375
.LBB38_1373:
	s_mov_b32 s0, -1
                                        ; implicit-def: $vgpr2
	s_branch .LBB38_1378
.LBB38_1374:
	s_mov_b32 s0, -1
                                        ; implicit-def: $vgpr2
.LBB38_1375:
	s_delay_alu instid0(SALU_CYCLE_1)
	s_and_not1_b32 vcc_lo, exec_lo, s0
	s_cbranch_vccnz .LBB38_1377
; %bb.1376:
	s_wait_loadcnt 0x0
	global_load_b32 v2, v[0:1], off
	s_wait_loadcnt 0x0
	v_cvt_i32_f32_e32 v2, v2
.LBB38_1377:
	s_mov_b32 s0, 0
.LBB38_1378:
	s_delay_alu instid0(SALU_CYCLE_1)
	s_and_not1_b32 vcc_lo, exec_lo, s0
	s_cbranch_vccnz .LBB38_1380
; %bb.1379:
	s_wait_loadcnt 0x0
	global_load_u16 v2, v[0:1], off
	s_wait_loadcnt 0x0
	v_cvt_f32_f16_e32 v2, v2
	s_delay_alu instid0(VALU_DEP_1)
	v_cvt_i32_f32_e32 v2, v2
.LBB38_1380:
	s_mov_b32 s0, 0
.LBB38_1381:
	s_delay_alu instid0(SALU_CYCLE_1)
	s_and_not1_b32 vcc_lo, exec_lo, s0
	s_cbranch_vccnz .LBB38_1401
; %bb.1382:
	s_cmp_lt_i32 s15, 2
	s_cbranch_scc1 .LBB38_1386
; %bb.1383:
	s_cmp_lt_i32 s15, 3
	s_cbranch_scc1 .LBB38_1387
; %bb.1384:
	s_cmp_gt_i32 s15, 3
	s_cbranch_scc0 .LBB38_1388
; %bb.1385:
	s_wait_loadcnt 0x0
	global_load_b32 v2, v[0:1], off
	s_mov_b32 s0, 0
	s_branch .LBB38_1389
.LBB38_1386:
	s_mov_b32 s0, -1
                                        ; implicit-def: $vgpr2
	s_branch .LBB38_1395
.LBB38_1387:
	s_mov_b32 s0, -1
                                        ; implicit-def: $vgpr2
	s_branch .LBB38_1392
.LBB38_1388:
	s_mov_b32 s0, -1
                                        ; implicit-def: $vgpr2
.LBB38_1389:
	s_delay_alu instid0(SALU_CYCLE_1)
	s_and_not1_b32 vcc_lo, exec_lo, s0
	s_cbranch_vccnz .LBB38_1391
; %bb.1390:
	s_wait_loadcnt 0x0
	global_load_b32 v2, v[0:1], off
.LBB38_1391:
	s_mov_b32 s0, 0
.LBB38_1392:
	s_delay_alu instid0(SALU_CYCLE_1)
	s_and_not1_b32 vcc_lo, exec_lo, s0
	s_cbranch_vccnz .LBB38_1394
; %bb.1393:
	s_wait_loadcnt 0x0
	global_load_i16 v2, v[0:1], off
.LBB38_1394:
	s_mov_b32 s0, 0
.LBB38_1395:
	s_delay_alu instid0(SALU_CYCLE_1)
	s_and_not1_b32 vcc_lo, exec_lo, s0
	s_cbranch_vccnz .LBB38_1401
; %bb.1396:
	s_cmp_gt_i32 s15, 0
	s_mov_b32 s0, 0
	s_cbranch_scc0 .LBB38_1398
; %bb.1397:
	s_wait_loadcnt 0x0
	global_load_i8 v2, v[0:1], off
	s_branch .LBB38_1399
.LBB38_1398:
	s_mov_b32 s0, -1
                                        ; implicit-def: $vgpr2
.LBB38_1399:
	s_delay_alu instid0(SALU_CYCLE_1)
	s_and_not1_b32 vcc_lo, exec_lo, s0
	s_cbranch_vccnz .LBB38_1401
; %bb.1400:
	s_wait_loadcnt 0x0
	global_load_u8 v2, v[0:1], off
.LBB38_1401:
	s_mov_b32 s18, -1
.LBB38_1402:
	s_delay_alu instid0(SALU_CYCLE_1)
	s_and_not1_b32 vcc_lo, exec_lo, s18
	s_cbranch_vccnz .LBB38_1453
; %bb.1403:
	s_wait_loadcnt 0x0
	s_delay_alu instid0(VALU_DEP_1) | instskip(SKIP_4) | instid1(SALU_CYCLE_1)
	v_cmp_gt_i32_e32 vcc_lo, s10, v2
	v_cmp_le_i32_e64 s0, s12, v2
	s_or_b32 s0, vcc_lo, s0
	s_wait_xcnt 0x0
	s_and_saveexec_b32 s7, s0
	s_xor_b32 s0, exec_lo, s7
	s_cbranch_execnz .LBB38_1780
.LBB38_1404:
	s_or_saveexec_b32 s7, s0
	s_mov_b32 s10, 0
	s_mov_b32 s12, 0
                                        ; implicit-def: $sgpr0
                                        ; implicit-def: $vgpr2_vgpr3
	s_xor_b32 exec_lo, exec_lo, s7
	s_cbranch_execz .LBB38_1721
; %bb.1405:
	v_mul_lo_u32 v0, s8, v4
	s_and_b32 s0, s14, 0xff
	s_delay_alu instid0(SALU_CYCLE_1) | instskip(NEXT) | instid1(VALU_DEP_1)
	s_cmp_lt_i32 s0, 11
	v_ashrrev_i32_e32 v1, 31, v0
	s_delay_alu instid0(VALU_DEP_1)
	v_add_nc_u64_e32 v[2:3], s[4:5], v[0:1]
	s_cbranch_scc1 .LBB38_1454
; %bb.1406:
	s_and_b32 s10, 0xffff, s0
	s_mov_b32 s18, -1
	s_mov_b32 s15, 0
	s_cmp_gt_i32 s10, 25
	s_mov_b32 s14, 0
	s_cbranch_scc0 .LBB38_1431
; %bb.1407:
	s_cmp_gt_i32 s10, 28
	s_cbranch_scc0 .LBB38_1420
; %bb.1408:
	s_cmp_gt_i32 s10, 43
	;; [unrolled: 3-line block ×3, first 2 shown]
	s_cbranch_scc0 .LBB38_1412
; %bb.1410:
	s_mov_b32 s12, -1
	s_mov_b32 s18, 0
	s_cmp_eq_u32 s10, 46
	s_cbranch_scc0 .LBB38_1412
; %bb.1411:
	v_mov_b32_e32 v1, 0
	s_mov_b32 s12, 0
	s_mov_b32 s14, -1
	global_store_b32 v[2:3], v1, off
.LBB38_1412:
	s_and_b32 vcc_lo, exec_lo, s18
	s_cbranch_vccz .LBB38_1415
; %bb.1413:
	s_cmp_eq_u32 s10, 44
	s_mov_b32 s12, -1
	s_cbranch_scc0 .LBB38_1415
; %bb.1414:
	s_wait_xcnt 0x0
	v_mov_b32_e32 v1, 0
	s_mov_b32 s12, 0
	s_mov_b32 s14, -1
	global_store_b8 v[2:3], v1, off
.LBB38_1415:
	s_mov_b32 s18, 0
.LBB38_1416:
	s_delay_alu instid0(SALU_CYCLE_1)
	s_and_b32 vcc_lo, exec_lo, s18
	s_cbranch_vccz .LBB38_1419
; %bb.1417:
	s_cmp_eq_u32 s10, 29
	s_mov_b32 s12, -1
	s_cbranch_scc0 .LBB38_1419
; %bb.1418:
	v_mov_b64_e32 v[4:5], 0
	s_mov_b32 s12, 0
	s_mov_b32 s14, -1
	global_store_b64 v[2:3], v[4:5], off
.LBB38_1419:
	s_mov_b32 s18, 0
.LBB38_1420:
	s_delay_alu instid0(SALU_CYCLE_1)
	s_and_b32 vcc_lo, exec_lo, s18
	s_cbranch_vccz .LBB38_1430
; %bb.1421:
	s_cmp_lt_i32 s10, 27
	s_mov_b32 s14, -1
	s_cbranch_scc1 .LBB38_1427
; %bb.1422:
	s_cmp_gt_i32 s10, 27
	s_cbranch_scc0 .LBB38_1424
; %bb.1423:
	s_wait_xcnt 0x0
	v_mov_b32_e32 v1, 0
	s_mov_b32 s14, 0
	global_store_b32 v[2:3], v1, off
.LBB38_1424:
	s_and_not1_b32 vcc_lo, exec_lo, s14
	s_cbranch_vccnz .LBB38_1426
; %bb.1425:
	s_wait_xcnt 0x0
	v_mov_b32_e32 v1, 0
	global_store_b16 v[2:3], v1, off
.LBB38_1426:
	s_mov_b32 s14, 0
.LBB38_1427:
	s_delay_alu instid0(SALU_CYCLE_1)
	s_and_not1_b32 vcc_lo, exec_lo, s14
	s_cbranch_vccnz .LBB38_1429
; %bb.1428:
	s_wait_xcnt 0x0
	v_mov_b32_e32 v1, 0
	global_store_b8 v[2:3], v1, off
.LBB38_1429:
	s_mov_b32 s14, -1
.LBB38_1430:
	s_mov_b32 s18, 0
.LBB38_1431:
	s_delay_alu instid0(SALU_CYCLE_1)
	s_and_b32 vcc_lo, exec_lo, s18
	s_cbranch_vccz .LBB38_1449
; %bb.1432:
	s_cmp_gt_i32 s10, 22
	s_mov_b32 s15, -1
	s_cbranch_scc0 .LBB38_1442
; %bb.1433:
	s_cmp_lt_i32 s10, 24
	s_mov_b32 s14, -1
	s_cbranch_scc1 .LBB38_1439
; %bb.1434:
	s_cmp_gt_i32 s10, 24
	s_cbranch_scc0 .LBB38_1436
; %bb.1435:
	s_wait_xcnt 0x0
	v_mov_b32_e32 v1, 0
	s_mov_b32 s14, 0
	global_store_b8 v[2:3], v1, off
.LBB38_1436:
	s_and_not1_b32 vcc_lo, exec_lo, s14
	s_cbranch_vccnz .LBB38_1438
; %bb.1437:
	s_wait_xcnt 0x0
	v_mov_b32_e32 v1, 0
	global_store_b8 v[2:3], v1, off
.LBB38_1438:
	s_mov_b32 s14, 0
.LBB38_1439:
	s_delay_alu instid0(SALU_CYCLE_1)
	s_and_not1_b32 vcc_lo, exec_lo, s14
	s_cbranch_vccnz .LBB38_1441
; %bb.1440:
	s_wait_xcnt 0x0
	v_mov_b32_e32 v1, 0
	global_store_b8 v[2:3], v1, off
.LBB38_1441:
	s_mov_b32 s15, 0
	s_mov_b32 s14, -1
.LBB38_1442:
	s_and_not1_b32 vcc_lo, exec_lo, s15
	s_mov_b32 s15, 0
	s_cbranch_vccnz .LBB38_1449
; %bb.1443:
	s_cmp_gt_i32 s10, 14
	s_mov_b32 s15, -1
	s_cbranch_scc0 .LBB38_1447
; %bb.1444:
	s_cmp_eq_u32 s10, 15
	s_mov_b32 s12, -1
	s_cbranch_scc0 .LBB38_1446
; %bb.1445:
	s_wait_xcnt 0x0
	v_mov_b32_e32 v1, 0
	s_mov_b32 s12, 0
	s_mov_b32 s14, -1
	global_store_b16 v[2:3], v1, off
.LBB38_1446:
	s_mov_b32 s15, 0
.LBB38_1447:
	s_delay_alu instid0(SALU_CYCLE_1)
	s_and_b32 vcc_lo, exec_lo, s15
	s_mov_b32 s15, 0
	s_cbranch_vccz .LBB38_1449
; %bb.1448:
	s_cmp_lg_u32 s10, 11
	s_mov_b32 s15, -1
	s_cselect_b32 s12, -1, 0
.LBB38_1449:
	s_delay_alu instid0(SALU_CYCLE_1)
	s_and_b32 vcc_lo, exec_lo, s12
	s_mov_b32 s10, s6
	s_cbranch_vccnz .LBB38_1774
; %bb.1450:
	s_and_not1_b32 vcc_lo, exec_lo, s15
	s_cbranch_vccnz .LBB38_1452
.LBB38_1451:
	s_wait_xcnt 0x0
	v_mov_b32_e32 v1, 0
	s_mov_b32 s14, -1
	global_store_b8 v[2:3], v1, off
.LBB38_1452:
	s_mov_b32 s12, 0
	s_branch .LBB38_1455
.LBB38_1453:
	s_mov_b32 s10, 0
	s_mov_b32 s12, 0
                                        ; implicit-def: $sgpr0
                                        ; implicit-def: $vgpr2_vgpr3
	s_branch .LBB38_1722
.LBB38_1454:
	s_mov_b32 s12, -1
	s_mov_b32 s14, 0
	s_mov_b32 s10, s6
.LBB38_1455:
	s_and_b32 vcc_lo, exec_lo, s12
	s_cbranch_vccz .LBB38_1494
; %bb.1456:
	s_and_b32 s12, 0xffff, s0
	s_mov_b32 s14, -1
	s_cmp_lt_i32 s12, 5
	s_cbranch_scc1 .LBB38_1477
; %bb.1457:
	s_cmp_lt_i32 s12, 8
	s_cbranch_scc1 .LBB38_1467
; %bb.1458:
	;; [unrolled: 3-line block ×3, first 2 shown]
	s_cmp_gt_i32 s12, 9
	s_cbranch_scc0 .LBB38_1461
; %bb.1460:
	s_wait_xcnt 0x0
	v_mov_b32_e32 v4, 0
	s_mov_b32 s14, 0
	s_delay_alu instid0(VALU_DEP_1)
	v_dual_mov_b32 v5, v4 :: v_dual_mov_b32 v6, v4
	v_mov_b32_e32 v7, v4
	global_store_b128 v[2:3], v[4:7], off
.LBB38_1461:
	s_and_not1_b32 vcc_lo, exec_lo, s14
	s_cbranch_vccnz .LBB38_1463
; %bb.1462:
	s_wait_xcnt 0x0
	v_mov_b64_e32 v[4:5], 0
	global_store_b64 v[2:3], v[4:5], off
.LBB38_1463:
	s_mov_b32 s14, 0
.LBB38_1464:
	s_delay_alu instid0(SALU_CYCLE_1)
	s_and_not1_b32 vcc_lo, exec_lo, s14
	s_cbranch_vccnz .LBB38_1466
; %bb.1465:
	s_wait_xcnt 0x0
	v_mov_b32_e32 v1, 0
	global_store_b32 v[2:3], v1, off
.LBB38_1466:
	s_mov_b32 s14, 0
.LBB38_1467:
	s_delay_alu instid0(SALU_CYCLE_1)
	s_and_not1_b32 vcc_lo, exec_lo, s14
	s_cbranch_vccnz .LBB38_1476
; %bb.1468:
	s_cmp_lt_i32 s12, 6
	s_mov_b32 s14, -1
	s_cbranch_scc1 .LBB38_1474
; %bb.1469:
	s_cmp_gt_i32 s12, 6
	s_cbranch_scc0 .LBB38_1471
; %bb.1470:
	s_wait_xcnt 0x0
	v_mov_b64_e32 v[4:5], 0
	s_mov_b32 s14, 0
	global_store_b64 v[2:3], v[4:5], off
.LBB38_1471:
	s_and_not1_b32 vcc_lo, exec_lo, s14
	s_cbranch_vccnz .LBB38_1473
; %bb.1472:
	s_wait_xcnt 0x0
	v_mov_b32_e32 v1, 0
	global_store_b32 v[2:3], v1, off
.LBB38_1473:
	s_mov_b32 s14, 0
.LBB38_1474:
	s_delay_alu instid0(SALU_CYCLE_1)
	s_and_not1_b32 vcc_lo, exec_lo, s14
	s_cbranch_vccnz .LBB38_1476
; %bb.1475:
	s_wait_xcnt 0x0
	v_mov_b32_e32 v1, 0
	global_store_b16 v[2:3], v1, off
.LBB38_1476:
	s_mov_b32 s14, 0
.LBB38_1477:
	s_delay_alu instid0(SALU_CYCLE_1)
	s_and_not1_b32 vcc_lo, exec_lo, s14
	s_cbranch_vccnz .LBB38_1493
; %bb.1478:
	s_cmp_lt_i32 s12, 2
	s_mov_b32 s14, -1
	s_cbranch_scc1 .LBB38_1488
; %bb.1479:
	s_cmp_lt_i32 s12, 3
	s_cbranch_scc1 .LBB38_1485
; %bb.1480:
	s_cmp_gt_i32 s12, 3
	s_cbranch_scc0 .LBB38_1482
; %bb.1481:
	s_wait_xcnt 0x0
	v_mov_b64_e32 v[4:5], 0
	s_mov_b32 s14, 0
	global_store_b64 v[2:3], v[4:5], off
.LBB38_1482:
	s_and_not1_b32 vcc_lo, exec_lo, s14
	s_cbranch_vccnz .LBB38_1484
; %bb.1483:
	s_wait_xcnt 0x0
	v_mov_b32_e32 v1, 0
	global_store_b32 v[2:3], v1, off
.LBB38_1484:
	s_mov_b32 s14, 0
.LBB38_1485:
	s_delay_alu instid0(SALU_CYCLE_1)
	s_and_not1_b32 vcc_lo, exec_lo, s14
	s_cbranch_vccnz .LBB38_1487
; %bb.1486:
	s_wait_xcnt 0x0
	v_mov_b32_e32 v1, 0
	global_store_b16 v[2:3], v1, off
.LBB38_1487:
	s_mov_b32 s14, 0
.LBB38_1488:
	s_delay_alu instid0(SALU_CYCLE_1)
	s_and_not1_b32 vcc_lo, exec_lo, s14
	s_cbranch_vccnz .LBB38_1493
; %bb.1489:
	s_cmp_gt_i32 s12, 0
	s_mov_b32 s12, -1
	s_cbranch_scc0 .LBB38_1491
; %bb.1490:
	s_wait_xcnt 0x0
	v_mov_b32_e32 v1, 0
	s_mov_b32 s12, 0
	global_store_b8 v[2:3], v1, off
.LBB38_1491:
	s_and_not1_b32 vcc_lo, exec_lo, s12
	s_cbranch_vccnz .LBB38_1493
; %bb.1492:
	s_wait_xcnt 0x0
	v_mov_b32_e32 v1, 0
	global_store_b8 v[2:3], v1, off
.LBB38_1493:
	s_mov_b32 s14, -1
.LBB38_1494:
	s_delay_alu instid0(SALU_CYCLE_1)
	s_and_not1_b32 vcc_lo, exec_lo, s14
	s_cbranch_vccnz .LBB38_1719
; %bb.1495:
	s_lshl_b32 s8, s8, 7
	s_cmp_lt_i32 s0, 11
	v_add_nc_u32_e32 v0, s8, v0
	s_wait_xcnt 0x0
	s_delay_alu instid0(VALU_DEP_1) | instskip(NEXT) | instid1(VALU_DEP_1)
	v_ashrrev_i32_e32 v1, 31, v0
	v_add_nc_u64_e32 v[2:3], s[4:5], v[0:1]
	s_cbranch_scc1 .LBB38_1543
; %bb.1496:
	s_and_b32 s12, 0xffff, s0
	s_mov_b32 s19, -1
	s_mov_b32 s18, 0
	s_cmp_gt_i32 s12, 25
	s_mov_b32 s15, 0
	s_mov_b32 s14, 0
	s_cbranch_scc0 .LBB38_1521
; %bb.1497:
	s_cmp_gt_i32 s12, 28
	s_cbranch_scc0 .LBB38_1510
; %bb.1498:
	s_cmp_gt_i32 s12, 43
	;; [unrolled: 3-line block ×3, first 2 shown]
	s_cbranch_scc0 .LBB38_1502
; %bb.1500:
	s_mov_b32 s14, -1
	s_mov_b32 s19, 0
	s_cmp_eq_u32 s12, 46
	s_cbranch_scc0 .LBB38_1502
; %bb.1501:
	v_mov_b32_e32 v1, 0
	s_mov_b32 s14, 0
	s_mov_b32 s15, -1
	global_store_b32 v[2:3], v1, off
.LBB38_1502:
	s_and_b32 vcc_lo, exec_lo, s19
	s_cbranch_vccz .LBB38_1505
; %bb.1503:
	s_cmp_eq_u32 s12, 44
	s_mov_b32 s14, -1
	s_cbranch_scc0 .LBB38_1505
; %bb.1504:
	s_wait_xcnt 0x0
	v_mov_b32_e32 v1, 0
	s_mov_b32 s14, 0
	s_mov_b32 s15, -1
	global_store_b8 v[2:3], v1, off
.LBB38_1505:
	s_mov_b32 s19, 0
.LBB38_1506:
	s_delay_alu instid0(SALU_CYCLE_1)
	s_and_b32 vcc_lo, exec_lo, s19
	s_cbranch_vccz .LBB38_1509
; %bb.1507:
	s_cmp_eq_u32 s12, 29
	s_mov_b32 s14, -1
	s_cbranch_scc0 .LBB38_1509
; %bb.1508:
	v_mov_b64_e32 v[4:5], 0
	s_mov_b32 s14, 0
	s_mov_b32 s15, -1
	global_store_b64 v[2:3], v[4:5], off
.LBB38_1509:
	s_mov_b32 s19, 0
.LBB38_1510:
	s_delay_alu instid0(SALU_CYCLE_1)
	s_and_b32 vcc_lo, exec_lo, s19
	s_cbranch_vccz .LBB38_1520
; %bb.1511:
	s_cmp_lt_i32 s12, 27
	s_mov_b32 s15, -1
	s_cbranch_scc1 .LBB38_1517
; %bb.1512:
	s_cmp_gt_i32 s12, 27
	s_cbranch_scc0 .LBB38_1514
; %bb.1513:
	s_wait_xcnt 0x0
	v_mov_b32_e32 v1, 0
	s_mov_b32 s15, 0
	global_store_b32 v[2:3], v1, off
.LBB38_1514:
	s_and_not1_b32 vcc_lo, exec_lo, s15
	s_cbranch_vccnz .LBB38_1516
; %bb.1515:
	s_wait_xcnt 0x0
	v_mov_b32_e32 v1, 0
	global_store_b16 v[2:3], v1, off
.LBB38_1516:
	s_mov_b32 s15, 0
.LBB38_1517:
	s_delay_alu instid0(SALU_CYCLE_1)
	s_and_not1_b32 vcc_lo, exec_lo, s15
	s_cbranch_vccnz .LBB38_1519
; %bb.1518:
	s_wait_xcnt 0x0
	v_mov_b32_e32 v1, 0
	global_store_b8 v[2:3], v1, off
.LBB38_1519:
	s_mov_b32 s15, -1
.LBB38_1520:
	s_mov_b32 s19, 0
.LBB38_1521:
	s_delay_alu instid0(SALU_CYCLE_1)
	s_and_b32 vcc_lo, exec_lo, s19
	s_cbranch_vccz .LBB38_1539
; %bb.1522:
	s_cmp_gt_i32 s12, 22
	s_mov_b32 s18, -1
	s_cbranch_scc0 .LBB38_1532
; %bb.1523:
	s_cmp_lt_i32 s12, 24
	s_mov_b32 s15, -1
	s_cbranch_scc1 .LBB38_1529
; %bb.1524:
	s_cmp_gt_i32 s12, 24
	s_cbranch_scc0 .LBB38_1526
; %bb.1525:
	s_wait_xcnt 0x0
	v_mov_b32_e32 v1, 0
	s_mov_b32 s15, 0
	global_store_b8 v[2:3], v1, off
.LBB38_1526:
	s_and_not1_b32 vcc_lo, exec_lo, s15
	s_cbranch_vccnz .LBB38_1528
; %bb.1527:
	s_wait_xcnt 0x0
	v_mov_b32_e32 v1, 0
	global_store_b8 v[2:3], v1, off
.LBB38_1528:
	s_mov_b32 s15, 0
.LBB38_1529:
	s_delay_alu instid0(SALU_CYCLE_1)
	s_and_not1_b32 vcc_lo, exec_lo, s15
	s_cbranch_vccnz .LBB38_1531
; %bb.1530:
	s_wait_xcnt 0x0
	v_mov_b32_e32 v1, 0
	global_store_b8 v[2:3], v1, off
.LBB38_1531:
	s_mov_b32 s18, 0
	s_mov_b32 s15, -1
.LBB38_1532:
	s_and_not1_b32 vcc_lo, exec_lo, s18
	s_mov_b32 s18, 0
	s_cbranch_vccnz .LBB38_1539
; %bb.1533:
	s_cmp_gt_i32 s12, 14
	s_mov_b32 s18, -1
	s_cbranch_scc0 .LBB38_1537
; %bb.1534:
	s_cmp_eq_u32 s12, 15
	s_mov_b32 s14, -1
	s_cbranch_scc0 .LBB38_1536
; %bb.1535:
	s_wait_xcnt 0x0
	v_mov_b32_e32 v1, 0
	s_mov_b32 s14, 0
	s_mov_b32 s15, -1
	global_store_b16 v[2:3], v1, off
.LBB38_1536:
	s_mov_b32 s18, 0
.LBB38_1537:
	s_delay_alu instid0(SALU_CYCLE_1)
	s_and_b32 vcc_lo, exec_lo, s18
	s_mov_b32 s18, 0
	s_cbranch_vccz .LBB38_1539
; %bb.1538:
	s_cmp_lg_u32 s12, 11
	s_mov_b32 s18, -1
	s_cselect_b32 s14, -1, 0
.LBB38_1539:
	s_delay_alu instid0(SALU_CYCLE_1)
	s_and_b32 vcc_lo, exec_lo, s14
	s_cbranch_vccnz .LBB38_1776
; %bb.1540:
	s_and_not1_b32 vcc_lo, exec_lo, s18
	s_cbranch_vccnz .LBB38_1542
.LBB38_1541:
	s_wait_xcnt 0x0
	v_mov_b32_e32 v1, 0
	s_mov_b32 s15, -1
	global_store_b8 v[2:3], v1, off
.LBB38_1542:
	s_mov_b32 s12, 0
	s_branch .LBB38_1544
.LBB38_1543:
	s_mov_b32 s12, -1
	s_mov_b32 s15, 0
.LBB38_1544:
	s_and_b32 vcc_lo, exec_lo, s12
	s_cbranch_vccz .LBB38_1583
; %bb.1545:
	s_and_b32 s12, 0xffff, s0
	s_mov_b32 s14, -1
	s_cmp_lt_i32 s12, 5
	s_cbranch_scc1 .LBB38_1566
; %bb.1546:
	s_cmp_lt_i32 s12, 8
	s_cbranch_scc1 .LBB38_1556
; %bb.1547:
	;; [unrolled: 3-line block ×3, first 2 shown]
	s_cmp_gt_i32 s12, 9
	s_cbranch_scc0 .LBB38_1550
; %bb.1549:
	s_wait_xcnt 0x0
	v_mov_b32_e32 v4, 0
	s_mov_b32 s14, 0
	s_delay_alu instid0(VALU_DEP_1)
	v_dual_mov_b32 v5, v4 :: v_dual_mov_b32 v6, v4
	v_mov_b32_e32 v7, v4
	global_store_b128 v[2:3], v[4:7], off
.LBB38_1550:
	s_and_not1_b32 vcc_lo, exec_lo, s14
	s_cbranch_vccnz .LBB38_1552
; %bb.1551:
	s_wait_xcnt 0x0
	v_mov_b64_e32 v[4:5], 0
	global_store_b64 v[2:3], v[4:5], off
.LBB38_1552:
	s_mov_b32 s14, 0
.LBB38_1553:
	s_delay_alu instid0(SALU_CYCLE_1)
	s_and_not1_b32 vcc_lo, exec_lo, s14
	s_cbranch_vccnz .LBB38_1555
; %bb.1554:
	s_wait_xcnt 0x0
	v_mov_b32_e32 v1, 0
	global_store_b32 v[2:3], v1, off
.LBB38_1555:
	s_mov_b32 s14, 0
.LBB38_1556:
	s_delay_alu instid0(SALU_CYCLE_1)
	s_and_not1_b32 vcc_lo, exec_lo, s14
	s_cbranch_vccnz .LBB38_1565
; %bb.1557:
	s_cmp_lt_i32 s12, 6
	s_mov_b32 s14, -1
	s_cbranch_scc1 .LBB38_1563
; %bb.1558:
	s_cmp_gt_i32 s12, 6
	s_cbranch_scc0 .LBB38_1560
; %bb.1559:
	s_wait_xcnt 0x0
	v_mov_b64_e32 v[4:5], 0
	s_mov_b32 s14, 0
	global_store_b64 v[2:3], v[4:5], off
.LBB38_1560:
	s_and_not1_b32 vcc_lo, exec_lo, s14
	s_cbranch_vccnz .LBB38_1562
; %bb.1561:
	s_wait_xcnt 0x0
	v_mov_b32_e32 v1, 0
	global_store_b32 v[2:3], v1, off
.LBB38_1562:
	s_mov_b32 s14, 0
.LBB38_1563:
	s_delay_alu instid0(SALU_CYCLE_1)
	s_and_not1_b32 vcc_lo, exec_lo, s14
	s_cbranch_vccnz .LBB38_1565
; %bb.1564:
	s_wait_xcnt 0x0
	v_mov_b32_e32 v1, 0
	global_store_b16 v[2:3], v1, off
.LBB38_1565:
	s_mov_b32 s14, 0
.LBB38_1566:
	s_delay_alu instid0(SALU_CYCLE_1)
	s_and_not1_b32 vcc_lo, exec_lo, s14
	s_cbranch_vccnz .LBB38_1582
; %bb.1567:
	s_cmp_lt_i32 s12, 2
	s_mov_b32 s14, -1
	s_cbranch_scc1 .LBB38_1577
; %bb.1568:
	s_cmp_lt_i32 s12, 3
	s_cbranch_scc1 .LBB38_1574
; %bb.1569:
	s_cmp_gt_i32 s12, 3
	s_cbranch_scc0 .LBB38_1571
; %bb.1570:
	s_wait_xcnt 0x0
	v_mov_b64_e32 v[4:5], 0
	s_mov_b32 s14, 0
	global_store_b64 v[2:3], v[4:5], off
.LBB38_1571:
	s_and_not1_b32 vcc_lo, exec_lo, s14
	s_cbranch_vccnz .LBB38_1573
; %bb.1572:
	s_wait_xcnt 0x0
	v_mov_b32_e32 v1, 0
	global_store_b32 v[2:3], v1, off
.LBB38_1573:
	s_mov_b32 s14, 0
.LBB38_1574:
	s_delay_alu instid0(SALU_CYCLE_1)
	s_and_not1_b32 vcc_lo, exec_lo, s14
	s_cbranch_vccnz .LBB38_1576
; %bb.1575:
	s_wait_xcnt 0x0
	v_mov_b32_e32 v1, 0
	global_store_b16 v[2:3], v1, off
.LBB38_1576:
	s_mov_b32 s14, 0
.LBB38_1577:
	s_delay_alu instid0(SALU_CYCLE_1)
	s_and_not1_b32 vcc_lo, exec_lo, s14
	s_cbranch_vccnz .LBB38_1582
; %bb.1578:
	s_cmp_gt_i32 s12, 0
	s_mov_b32 s12, -1
	s_cbranch_scc0 .LBB38_1580
; %bb.1579:
	s_wait_xcnt 0x0
	v_mov_b32_e32 v1, 0
	s_mov_b32 s12, 0
	global_store_b8 v[2:3], v1, off
.LBB38_1580:
	s_and_not1_b32 vcc_lo, exec_lo, s12
	s_cbranch_vccnz .LBB38_1582
; %bb.1581:
	s_wait_xcnt 0x0
	v_mov_b32_e32 v1, 0
	global_store_b8 v[2:3], v1, off
.LBB38_1582:
	s_mov_b32 s15, -1
.LBB38_1583:
	s_delay_alu instid0(SALU_CYCLE_1)
	s_and_not1_b32 vcc_lo, exec_lo, s15
	s_cbranch_vccnz .LBB38_1719
; %bb.1584:
	v_add_nc_u32_e32 v0, s8, v0
	s_cmp_lt_i32 s0, 11
	s_wait_xcnt 0x0
	s_delay_alu instid0(VALU_DEP_1) | instskip(NEXT) | instid1(VALU_DEP_1)
	v_ashrrev_i32_e32 v1, 31, v0
	v_add_nc_u64_e32 v[2:3], s[4:5], v[0:1]
	s_cbranch_scc1 .LBB38_1632
; %bb.1585:
	s_and_b32 s12, 0xffff, s0
	s_mov_b32 s19, -1
	s_mov_b32 s18, 0
	s_cmp_gt_i32 s12, 25
	s_mov_b32 s15, 0
	s_mov_b32 s14, 0
	s_cbranch_scc0 .LBB38_1610
; %bb.1586:
	s_cmp_gt_i32 s12, 28
	s_cbranch_scc0 .LBB38_1599
; %bb.1587:
	s_cmp_gt_i32 s12, 43
	;; [unrolled: 3-line block ×3, first 2 shown]
	s_cbranch_scc0 .LBB38_1591
; %bb.1589:
	s_mov_b32 s14, -1
	s_mov_b32 s19, 0
	s_cmp_eq_u32 s12, 46
	s_cbranch_scc0 .LBB38_1591
; %bb.1590:
	v_mov_b32_e32 v1, 0
	s_mov_b32 s14, 0
	s_mov_b32 s15, -1
	global_store_b32 v[2:3], v1, off
.LBB38_1591:
	s_and_b32 vcc_lo, exec_lo, s19
	s_cbranch_vccz .LBB38_1594
; %bb.1592:
	s_cmp_eq_u32 s12, 44
	s_mov_b32 s14, -1
	s_cbranch_scc0 .LBB38_1594
; %bb.1593:
	s_wait_xcnt 0x0
	v_mov_b32_e32 v1, 0
	s_mov_b32 s14, 0
	s_mov_b32 s15, -1
	global_store_b8 v[2:3], v1, off
.LBB38_1594:
	s_mov_b32 s19, 0
.LBB38_1595:
	s_delay_alu instid0(SALU_CYCLE_1)
	s_and_b32 vcc_lo, exec_lo, s19
	s_cbranch_vccz .LBB38_1598
; %bb.1596:
	s_cmp_eq_u32 s12, 29
	s_mov_b32 s14, -1
	s_cbranch_scc0 .LBB38_1598
; %bb.1597:
	v_mov_b64_e32 v[4:5], 0
	s_mov_b32 s14, 0
	s_mov_b32 s15, -1
	global_store_b64 v[2:3], v[4:5], off
.LBB38_1598:
	s_mov_b32 s19, 0
.LBB38_1599:
	s_delay_alu instid0(SALU_CYCLE_1)
	s_and_b32 vcc_lo, exec_lo, s19
	s_cbranch_vccz .LBB38_1609
; %bb.1600:
	s_cmp_lt_i32 s12, 27
	s_mov_b32 s15, -1
	s_cbranch_scc1 .LBB38_1606
; %bb.1601:
	s_cmp_gt_i32 s12, 27
	s_cbranch_scc0 .LBB38_1603
; %bb.1602:
	s_wait_xcnt 0x0
	v_mov_b32_e32 v1, 0
	s_mov_b32 s15, 0
	global_store_b32 v[2:3], v1, off
.LBB38_1603:
	s_and_not1_b32 vcc_lo, exec_lo, s15
	s_cbranch_vccnz .LBB38_1605
; %bb.1604:
	s_wait_xcnt 0x0
	v_mov_b32_e32 v1, 0
	global_store_b16 v[2:3], v1, off
.LBB38_1605:
	s_mov_b32 s15, 0
.LBB38_1606:
	s_delay_alu instid0(SALU_CYCLE_1)
	s_and_not1_b32 vcc_lo, exec_lo, s15
	s_cbranch_vccnz .LBB38_1608
; %bb.1607:
	s_wait_xcnt 0x0
	v_mov_b32_e32 v1, 0
	global_store_b8 v[2:3], v1, off
.LBB38_1608:
	s_mov_b32 s15, -1
.LBB38_1609:
	s_mov_b32 s19, 0
.LBB38_1610:
	s_delay_alu instid0(SALU_CYCLE_1)
	s_and_b32 vcc_lo, exec_lo, s19
	s_cbranch_vccz .LBB38_1628
; %bb.1611:
	s_cmp_gt_i32 s12, 22
	s_mov_b32 s18, -1
	s_cbranch_scc0 .LBB38_1621
; %bb.1612:
	s_cmp_lt_i32 s12, 24
	s_mov_b32 s15, -1
	s_cbranch_scc1 .LBB38_1618
; %bb.1613:
	s_cmp_gt_i32 s12, 24
	s_cbranch_scc0 .LBB38_1615
; %bb.1614:
	s_wait_xcnt 0x0
	v_mov_b32_e32 v1, 0
	s_mov_b32 s15, 0
	global_store_b8 v[2:3], v1, off
.LBB38_1615:
	s_and_not1_b32 vcc_lo, exec_lo, s15
	s_cbranch_vccnz .LBB38_1617
; %bb.1616:
	s_wait_xcnt 0x0
	v_mov_b32_e32 v1, 0
	global_store_b8 v[2:3], v1, off
.LBB38_1617:
	s_mov_b32 s15, 0
.LBB38_1618:
	s_delay_alu instid0(SALU_CYCLE_1)
	s_and_not1_b32 vcc_lo, exec_lo, s15
	s_cbranch_vccnz .LBB38_1620
; %bb.1619:
	s_wait_xcnt 0x0
	v_mov_b32_e32 v1, 0
	global_store_b8 v[2:3], v1, off
.LBB38_1620:
	s_mov_b32 s18, 0
	s_mov_b32 s15, -1
.LBB38_1621:
	s_and_not1_b32 vcc_lo, exec_lo, s18
	s_mov_b32 s18, 0
	s_cbranch_vccnz .LBB38_1628
; %bb.1622:
	s_cmp_gt_i32 s12, 14
	s_mov_b32 s18, -1
	s_cbranch_scc0 .LBB38_1626
; %bb.1623:
	s_cmp_eq_u32 s12, 15
	s_mov_b32 s14, -1
	s_cbranch_scc0 .LBB38_1625
; %bb.1624:
	s_wait_xcnt 0x0
	v_mov_b32_e32 v1, 0
	s_mov_b32 s14, 0
	s_mov_b32 s15, -1
	global_store_b16 v[2:3], v1, off
.LBB38_1625:
	s_mov_b32 s18, 0
.LBB38_1626:
	s_delay_alu instid0(SALU_CYCLE_1)
	s_and_b32 vcc_lo, exec_lo, s18
	s_mov_b32 s18, 0
	s_cbranch_vccz .LBB38_1628
; %bb.1627:
	s_cmp_lg_u32 s12, 11
	s_mov_b32 s18, -1
	s_cselect_b32 s14, -1, 0
.LBB38_1628:
	s_delay_alu instid0(SALU_CYCLE_1)
	s_and_b32 vcc_lo, exec_lo, s14
	s_cbranch_vccnz .LBB38_1777
; %bb.1629:
	s_and_not1_b32 vcc_lo, exec_lo, s18
	s_cbranch_vccnz .LBB38_1631
.LBB38_1630:
	s_wait_xcnt 0x0
	v_mov_b32_e32 v1, 0
	s_mov_b32 s15, -1
	global_store_b8 v[2:3], v1, off
.LBB38_1631:
	s_mov_b32 s12, 0
	s_branch .LBB38_1633
.LBB38_1632:
	s_mov_b32 s12, -1
	s_mov_b32 s15, 0
.LBB38_1633:
	s_and_b32 vcc_lo, exec_lo, s12
	s_cbranch_vccz .LBB38_1672
; %bb.1634:
	s_and_b32 s12, 0xffff, s0
	s_mov_b32 s14, -1
	s_cmp_lt_i32 s12, 5
	s_cbranch_scc1 .LBB38_1655
; %bb.1635:
	s_cmp_lt_i32 s12, 8
	s_cbranch_scc1 .LBB38_1645
; %bb.1636:
	;; [unrolled: 3-line block ×3, first 2 shown]
	s_cmp_gt_i32 s12, 9
	s_cbranch_scc0 .LBB38_1639
; %bb.1638:
	s_wait_xcnt 0x0
	v_mov_b32_e32 v4, 0
	s_mov_b32 s14, 0
	s_delay_alu instid0(VALU_DEP_1)
	v_dual_mov_b32 v5, v4 :: v_dual_mov_b32 v6, v4
	v_mov_b32_e32 v7, v4
	global_store_b128 v[2:3], v[4:7], off
.LBB38_1639:
	s_and_not1_b32 vcc_lo, exec_lo, s14
	s_cbranch_vccnz .LBB38_1641
; %bb.1640:
	s_wait_xcnt 0x0
	v_mov_b64_e32 v[4:5], 0
	global_store_b64 v[2:3], v[4:5], off
.LBB38_1641:
	s_mov_b32 s14, 0
.LBB38_1642:
	s_delay_alu instid0(SALU_CYCLE_1)
	s_and_not1_b32 vcc_lo, exec_lo, s14
	s_cbranch_vccnz .LBB38_1644
; %bb.1643:
	s_wait_xcnt 0x0
	v_mov_b32_e32 v1, 0
	global_store_b32 v[2:3], v1, off
.LBB38_1644:
	s_mov_b32 s14, 0
.LBB38_1645:
	s_delay_alu instid0(SALU_CYCLE_1)
	s_and_not1_b32 vcc_lo, exec_lo, s14
	s_cbranch_vccnz .LBB38_1654
; %bb.1646:
	s_cmp_lt_i32 s12, 6
	s_mov_b32 s14, -1
	s_cbranch_scc1 .LBB38_1652
; %bb.1647:
	s_cmp_gt_i32 s12, 6
	s_cbranch_scc0 .LBB38_1649
; %bb.1648:
	s_wait_xcnt 0x0
	v_mov_b64_e32 v[4:5], 0
	s_mov_b32 s14, 0
	global_store_b64 v[2:3], v[4:5], off
.LBB38_1649:
	s_and_not1_b32 vcc_lo, exec_lo, s14
	s_cbranch_vccnz .LBB38_1651
; %bb.1650:
	s_wait_xcnt 0x0
	v_mov_b32_e32 v1, 0
	global_store_b32 v[2:3], v1, off
.LBB38_1651:
	s_mov_b32 s14, 0
.LBB38_1652:
	s_delay_alu instid0(SALU_CYCLE_1)
	s_and_not1_b32 vcc_lo, exec_lo, s14
	s_cbranch_vccnz .LBB38_1654
; %bb.1653:
	s_wait_xcnt 0x0
	v_mov_b32_e32 v1, 0
	global_store_b16 v[2:3], v1, off
.LBB38_1654:
	s_mov_b32 s14, 0
.LBB38_1655:
	s_delay_alu instid0(SALU_CYCLE_1)
	s_and_not1_b32 vcc_lo, exec_lo, s14
	s_cbranch_vccnz .LBB38_1671
; %bb.1656:
	s_cmp_lt_i32 s12, 2
	s_mov_b32 s14, -1
	s_cbranch_scc1 .LBB38_1666
; %bb.1657:
	s_cmp_lt_i32 s12, 3
	s_cbranch_scc1 .LBB38_1663
; %bb.1658:
	s_cmp_gt_i32 s12, 3
	s_cbranch_scc0 .LBB38_1660
; %bb.1659:
	s_wait_xcnt 0x0
	v_mov_b64_e32 v[4:5], 0
	s_mov_b32 s14, 0
	global_store_b64 v[2:3], v[4:5], off
.LBB38_1660:
	s_and_not1_b32 vcc_lo, exec_lo, s14
	s_cbranch_vccnz .LBB38_1662
; %bb.1661:
	s_wait_xcnt 0x0
	v_mov_b32_e32 v1, 0
	global_store_b32 v[2:3], v1, off
.LBB38_1662:
	s_mov_b32 s14, 0
.LBB38_1663:
	s_delay_alu instid0(SALU_CYCLE_1)
	s_and_not1_b32 vcc_lo, exec_lo, s14
	s_cbranch_vccnz .LBB38_1665
; %bb.1664:
	s_wait_xcnt 0x0
	v_mov_b32_e32 v1, 0
	global_store_b16 v[2:3], v1, off
.LBB38_1665:
	s_mov_b32 s14, 0
.LBB38_1666:
	s_delay_alu instid0(SALU_CYCLE_1)
	s_and_not1_b32 vcc_lo, exec_lo, s14
	s_cbranch_vccnz .LBB38_1671
; %bb.1667:
	s_cmp_gt_i32 s12, 0
	s_mov_b32 s12, -1
	s_cbranch_scc0 .LBB38_1669
; %bb.1668:
	s_wait_xcnt 0x0
	v_mov_b32_e32 v1, 0
	s_mov_b32 s12, 0
	global_store_b8 v[2:3], v1, off
.LBB38_1669:
	s_and_not1_b32 vcc_lo, exec_lo, s12
	s_cbranch_vccnz .LBB38_1671
; %bb.1670:
	s_wait_xcnt 0x0
	v_mov_b32_e32 v1, 0
	global_store_b8 v[2:3], v1, off
.LBB38_1671:
	s_mov_b32 s15, -1
.LBB38_1672:
	s_delay_alu instid0(SALU_CYCLE_1)
	s_and_not1_b32 vcc_lo, exec_lo, s15
	s_cbranch_vccnz .LBB38_1719
; %bb.1673:
	v_add_nc_u32_e32 v0, s8, v0
	s_cmp_lt_i32 s0, 11
	s_wait_xcnt 0x0
	s_delay_alu instid0(VALU_DEP_1) | instskip(NEXT) | instid1(VALU_DEP_1)
	v_ashrrev_i32_e32 v1, 31, v0
	v_add_nc_u64_e32 v[2:3], s[4:5], v[0:1]
	s_cbranch_scc1 .LBB38_1773
; %bb.1674:
	s_and_b32 s5, 0xffff, s0
	s_mov_b32 s12, -1
	s_mov_b32 s4, 0
	s_cmp_gt_i32 s5, 25
	s_mov_b32 s8, 0
	s_cbranch_scc0 .LBB38_1699
; %bb.1675:
	s_cmp_gt_i32 s5, 28
	s_cbranch_scc0 .LBB38_1689
; %bb.1676:
	s_cmp_gt_i32 s5, 43
	s_cbranch_scc0 .LBB38_1685
; %bb.1677:
	s_cmp_gt_i32 s5, 45
	s_cbranch_scc0 .LBB38_1681
; %bb.1678:
	s_cmp_eq_u32 s5, 46
	s_mov_b32 s8, -1
	s_cbranch_scc0 .LBB38_1680
; %bb.1679:
	v_mov_b32_e32 v0, 0
	s_mov_b32 s8, 0
	global_store_b32 v[2:3], v0, off
.LBB38_1680:
	s_mov_b32 s12, 0
.LBB38_1681:
	s_delay_alu instid0(SALU_CYCLE_1)
	s_and_b32 vcc_lo, exec_lo, s12
	s_cbranch_vccz .LBB38_1684
; %bb.1682:
	s_cmp_eq_u32 s5, 44
	s_mov_b32 s8, -1
	s_cbranch_scc0 .LBB38_1684
; %bb.1683:
	s_wait_xcnt 0x0
	v_mov_b32_e32 v0, 0
	s_mov_b32 s8, 0
	global_store_b8 v[2:3], v0, off
.LBB38_1684:
	s_mov_b32 s12, 0
.LBB38_1685:
	s_delay_alu instid0(SALU_CYCLE_1)
	s_and_b32 vcc_lo, exec_lo, s12
	s_cbranch_vccz .LBB38_1688
; %bb.1686:
	s_cmp_eq_u32 s5, 29
	s_mov_b32 s8, -1
	s_cbranch_scc0 .LBB38_1688
; %bb.1687:
	s_wait_xcnt 0x0
	v_mov_b64_e32 v[0:1], 0
	s_mov_b32 s8, 0
	global_store_b64 v[2:3], v[0:1], off
.LBB38_1688:
	s_mov_b32 s12, 0
.LBB38_1689:
	s_delay_alu instid0(SALU_CYCLE_1)
	s_and_b32 vcc_lo, exec_lo, s12
	s_cbranch_vccz .LBB38_1698
; %bb.1690:
	s_cmp_lt_i32 s5, 27
	s_mov_b32 s12, -1
	s_cbranch_scc1 .LBB38_1696
; %bb.1691:
	s_cmp_gt_i32 s5, 27
	s_cbranch_scc0 .LBB38_1693
; %bb.1692:
	s_wait_xcnt 0x0
	v_mov_b32_e32 v0, 0
	s_mov_b32 s12, 0
	global_store_b32 v[2:3], v0, off
.LBB38_1693:
	s_and_not1_b32 vcc_lo, exec_lo, s12
	s_cbranch_vccnz .LBB38_1695
; %bb.1694:
	s_wait_xcnt 0x0
	v_mov_b32_e32 v0, 0
	global_store_b16 v[2:3], v0, off
.LBB38_1695:
	s_mov_b32 s12, 0
.LBB38_1696:
	s_delay_alu instid0(SALU_CYCLE_1)
	s_and_not1_b32 vcc_lo, exec_lo, s12
	s_cbranch_vccnz .LBB38_1698
; %bb.1697:
	s_wait_xcnt 0x0
	v_mov_b32_e32 v0, 0
	global_store_b8 v[2:3], v0, off
.LBB38_1698:
	s_mov_b32 s12, 0
.LBB38_1699:
	s_delay_alu instid0(SALU_CYCLE_1)
	s_and_b32 vcc_lo, exec_lo, s12
	s_cbranch_vccz .LBB38_1717
; %bb.1700:
	s_cmp_gt_i32 s5, 22
	s_mov_b32 s4, -1
	s_cbranch_scc0 .LBB38_1710
; %bb.1701:
	s_cmp_lt_i32 s5, 24
	s_cbranch_scc1 .LBB38_1707
; %bb.1702:
	s_cmp_gt_i32 s5, 24
	s_cbranch_scc0 .LBB38_1704
; %bb.1703:
	s_wait_xcnt 0x0
	v_mov_b32_e32 v0, 0
	s_mov_b32 s4, 0
	global_store_b8 v[2:3], v0, off
.LBB38_1704:
	s_and_not1_b32 vcc_lo, exec_lo, s4
	s_cbranch_vccnz .LBB38_1706
; %bb.1705:
	s_wait_xcnt 0x0
	v_mov_b32_e32 v0, 0
	global_store_b8 v[2:3], v0, off
.LBB38_1706:
	s_mov_b32 s4, 0
.LBB38_1707:
	s_delay_alu instid0(SALU_CYCLE_1)
	s_and_not1_b32 vcc_lo, exec_lo, s4
	s_cbranch_vccnz .LBB38_1709
; %bb.1708:
	s_wait_xcnt 0x0
	v_mov_b32_e32 v0, 0
	global_store_b8 v[2:3], v0, off
.LBB38_1709:
	s_mov_b32 s4, 0
.LBB38_1710:
	s_delay_alu instid0(SALU_CYCLE_1)
	s_and_not1_b32 vcc_lo, exec_lo, s4
	s_mov_b32 s4, 0
	s_cbranch_vccnz .LBB38_1717
; %bb.1711:
	s_cmp_gt_i32 s5, 14
	s_mov_b32 s4, -1
	s_cbranch_scc0 .LBB38_1715
; %bb.1712:
	s_cmp_eq_u32 s5, 15
	s_mov_b32 s8, -1
	s_cbranch_scc0 .LBB38_1714
; %bb.1713:
	s_wait_xcnt 0x0
	v_mov_b32_e32 v0, 0
	s_mov_b32 s8, 0
	global_store_b16 v[2:3], v0, off
.LBB38_1714:
	s_mov_b32 s4, 0
.LBB38_1715:
	s_delay_alu instid0(SALU_CYCLE_1)
	s_and_b32 vcc_lo, exec_lo, s4
	s_mov_b32 s4, 0
	s_cbranch_vccz .LBB38_1717
; %bb.1716:
	s_cmp_lg_u32 s5, 11
	s_mov_b32 s4, -1
	s_cselect_b32 s8, -1, 0
.LBB38_1717:
	s_delay_alu instid0(SALU_CYCLE_1)
	s_and_b32 vcc_lo, exec_lo, s8
	s_cbranch_vccnz .LBB38_1779
.LBB38_1718:
	s_mov_b32 s5, 0
	s_branch .LBB38_1720
.LBB38_1719:
	s_mov_b32 s5, 0
	s_mov_b32 s4, 0
                                        ; implicit-def: $sgpr0
                                        ; implicit-def: $vgpr2_vgpr3
.LBB38_1720:
	s_and_b32 s12, s5, exec_lo
	s_and_not1_b32 s5, s6, exec_lo
	s_and_b32 s6, s10, exec_lo
	s_and_b32 s10, s4, exec_lo
	s_or_b32 s6, s5, s6
.LBB38_1721:
	s_wait_xcnt 0x0
	s_or_b32 exec_lo, exec_lo, s7
.LBB38_1722:
	s_delay_alu instid0(SALU_CYCLE_1)
	s_and_not1_b32 s4, s16, exec_lo
	s_and_b32 s5, s6, exec_lo
	s_and_b32 s20, s12, exec_lo
	;; [unrolled: 1-line block ×3, first 2 shown]
	s_or_b32 s16, s4, s5
.LBB38_1723:
	s_wait_xcnt 0x0
	s_or_b32 exec_lo, exec_lo, s17
.LBB38_1724:
	s_delay_alu instid0(SALU_CYCLE_1)
	s_and_not1_b32 s4, s9, exec_lo
	s_and_b32 s5, s16, exec_lo
	s_and_b32 s17, s20, exec_lo
	;; [unrolled: 1-line block ×3, first 2 shown]
	s_or_b32 s9, s4, s5
.LBB38_1725:
	s_wait_xcnt 0x0
	s_or_b32 exec_lo, exec_lo, s13
.LBB38_1726:
	s_delay_alu instid0(SALU_CYCLE_1)
	s_and_not1_b32 s1, s1, exec_lo
	s_and_b32 s4, s9, exec_lo
	s_and_b32 s17, s17, exec_lo
	;; [unrolled: 1-line block ×3, first 2 shown]
	s_or_b32 s1, s1, s4
.LBB38_1727:
	s_wait_xcnt 0x0
	s_or_b32 exec_lo, exec_lo, s2
.LBB38_1728:
	s_delay_alu instid0(SALU_CYCLE_1)
	s_and_not1_b32 s2, s11, exec_lo
	s_and_b32 s4, s1, exec_lo
	s_and_b32 s15, s17, exec_lo
	s_and_b32 s1, s13, exec_lo
	s_or_b32 s11, s2, s4
.LBB38_1729:
	s_wait_xcnt 0x0
	s_or_b32 exec_lo, exec_lo, s3
	s_and_saveexec_b32 s2, s11
	s_cbranch_execz .LBB38_1732
; %bb.1730:
	; divergent unreachable
	s_or_b32 exec_lo, exec_lo, s2
	s_and_saveexec_b32 s2, s1
	s_delay_alu instid0(SALU_CYCLE_1)
	s_xor_b32 s1, exec_lo, s2
	s_cbranch_execnz .LBB38_1733
.LBB38_1731:
	s_or_b32 exec_lo, exec_lo, s1
	s_and_saveexec_b32 s1, s15
	s_cbranch_execnz .LBB38_1734
	s_branch .LBB38_1771
.LBB38_1732:
	s_or_b32 exec_lo, exec_lo, s2
	s_and_saveexec_b32 s2, s1
	s_delay_alu instid0(SALU_CYCLE_1)
	s_xor_b32 s1, exec_lo, s2
	s_cbranch_execz .LBB38_1731
.LBB38_1733:
	v_mov_b32_e32 v0, 0
	s_wait_loadcnt 0x0
	global_store_b8 v[2:3], v0, off
	s_wait_xcnt 0x0
	s_or_b32 exec_lo, exec_lo, s1
	s_and_saveexec_b32 s1, s15
	s_cbranch_execz .LBB38_1771
.LBB38_1734:
	s_sext_i32_i16 s2, s0
	s_mov_b32 s1, -1
	s_cmp_lt_i32 s2, 5
	s_cbranch_scc1 .LBB38_1755
; %bb.1735:
	s_cmp_lt_i32 s2, 8
	s_cbranch_scc1 .LBB38_1745
; %bb.1736:
	s_cmp_lt_i32 s2, 9
	s_cbranch_scc1 .LBB38_1742
; %bb.1737:
	s_cmp_gt_i32 s2, 9
	s_cbranch_scc0 .LBB38_1739
; %bb.1738:
	v_mov_b32_e32 v4, 0
	s_mov_b32 s1, 0
	s_delay_alu instid0(VALU_DEP_1)
	v_dual_mov_b32 v5, v4 :: v_dual_mov_b32 v6, v4
	v_mov_b32_e32 v7, v4
	s_wait_loadcnt 0x0
	global_store_b128 v[2:3], v[4:7], off
.LBB38_1739:
	s_and_not1_b32 vcc_lo, exec_lo, s1
	s_cbranch_vccnz .LBB38_1741
; %bb.1740:
	s_wait_loadcnt 0x0
	v_mov_b64_e32 v[0:1], 0
	global_store_b64 v[2:3], v[0:1], off
.LBB38_1741:
	s_mov_b32 s1, 0
.LBB38_1742:
	s_delay_alu instid0(SALU_CYCLE_1)
	s_and_not1_b32 vcc_lo, exec_lo, s1
	s_cbranch_vccnz .LBB38_1744
; %bb.1743:
	s_wait_xcnt 0x0
	v_mov_b32_e32 v0, 0
	s_wait_loadcnt 0x0
	global_store_b32 v[2:3], v0, off
.LBB38_1744:
	s_mov_b32 s1, 0
.LBB38_1745:
	s_delay_alu instid0(SALU_CYCLE_1)
	s_and_not1_b32 vcc_lo, exec_lo, s1
	s_cbranch_vccnz .LBB38_1754
; %bb.1746:
	s_sext_i32_i16 s2, s0
	s_mov_b32 s1, -1
	s_cmp_lt_i32 s2, 6
	s_cbranch_scc1 .LBB38_1752
; %bb.1747:
	s_cmp_gt_i32 s2, 6
	s_cbranch_scc0 .LBB38_1749
; %bb.1748:
	s_wait_loadcnt 0x0
	v_mov_b64_e32 v[0:1], 0
	s_mov_b32 s1, 0
	global_store_b64 v[2:3], v[0:1], off
.LBB38_1749:
	s_and_not1_b32 vcc_lo, exec_lo, s1
	s_cbranch_vccnz .LBB38_1751
; %bb.1750:
	s_wait_xcnt 0x0
	v_mov_b32_e32 v0, 0
	s_wait_loadcnt 0x0
	global_store_b32 v[2:3], v0, off
.LBB38_1751:
	s_mov_b32 s1, 0
.LBB38_1752:
	s_delay_alu instid0(SALU_CYCLE_1)
	s_and_not1_b32 vcc_lo, exec_lo, s1
	s_cbranch_vccnz .LBB38_1754
; %bb.1753:
	s_wait_xcnt 0x0
	v_mov_b32_e32 v0, 0
	s_wait_loadcnt 0x0
	global_store_b16 v[2:3], v0, off
.LBB38_1754:
	s_mov_b32 s1, 0
.LBB38_1755:
	s_delay_alu instid0(SALU_CYCLE_1)
	s_and_not1_b32 vcc_lo, exec_lo, s1
	s_cbranch_vccnz .LBB38_1771
; %bb.1756:
	s_sext_i32_i16 s2, s0
	s_mov_b32 s1, -1
	s_cmp_lt_i32 s2, 2
	s_cbranch_scc1 .LBB38_1766
; %bb.1757:
	s_cmp_lt_i32 s2, 3
	s_cbranch_scc1 .LBB38_1763
; %bb.1758:
	s_cmp_gt_i32 s2, 3
	s_cbranch_scc0 .LBB38_1760
; %bb.1759:
	s_wait_loadcnt 0x0
	v_mov_b64_e32 v[0:1], 0
	s_mov_b32 s1, 0
	global_store_b64 v[2:3], v[0:1], off
.LBB38_1760:
	s_and_not1_b32 vcc_lo, exec_lo, s1
	s_cbranch_vccnz .LBB38_1762
; %bb.1761:
	s_wait_xcnt 0x0
	v_mov_b32_e32 v0, 0
	s_wait_loadcnt 0x0
	global_store_b32 v[2:3], v0, off
.LBB38_1762:
	s_mov_b32 s1, 0
.LBB38_1763:
	s_delay_alu instid0(SALU_CYCLE_1)
	s_and_not1_b32 vcc_lo, exec_lo, s1
	s_cbranch_vccnz .LBB38_1765
; %bb.1764:
	s_wait_xcnt 0x0
	v_mov_b32_e32 v0, 0
	s_wait_loadcnt 0x0
	global_store_b16 v[2:3], v0, off
.LBB38_1765:
	s_mov_b32 s1, 0
.LBB38_1766:
	s_delay_alu instid0(SALU_CYCLE_1)
	s_and_not1_b32 vcc_lo, exec_lo, s1
	s_cbranch_vccnz .LBB38_1771
; %bb.1767:
	s_sext_i32_i16 s0, s0
	s_delay_alu instid0(SALU_CYCLE_1)
	s_cmp_gt_i32 s0, 0
	s_mov_b32 s0, -1
	s_cbranch_scc0 .LBB38_1769
; %bb.1768:
	s_wait_xcnt 0x0
	v_mov_b32_e32 v0, 0
	s_mov_b32 s0, 0
	s_wait_loadcnt 0x0
	global_store_b8 v[2:3], v0, off
.LBB38_1769:
	s_and_not1_b32 vcc_lo, exec_lo, s0
	s_cbranch_vccnz .LBB38_1771
; %bb.1770:
	s_wait_xcnt 0x0
	v_mov_b32_e32 v0, 0
	s_wait_loadcnt 0x0
	global_store_b8 v[2:3], v0, off
	s_endpgm
.LBB38_1771:
	s_endpgm
.LBB38_1772:
	s_or_b32 s6, s16, exec_lo
	s_trap 2
	s_cbranch_execz .LBB38_1351
	s_branch .LBB38_1352
.LBB38_1773:
	s_mov_b32 s4, 0
	s_mov_b32 s5, -1
	s_branch .LBB38_1720
.LBB38_1774:
	s_or_b32 s10, s6, exec_lo
	s_trap 2
	s_cbranch_execz .LBB38_1451
	s_branch .LBB38_1452
.LBB38_1775:
	s_or_b32 s9, s9, exec_lo
	s_trap 2
                                        ; implicit-def: $vgpr0
                                        ; implicit-def: $vgpr4
	s_branch .LBB38_918
.LBB38_1776:
	s_or_b32 s10, s10, exec_lo
	s_trap 2
	s_cbranch_execz .LBB38_1541
	s_branch .LBB38_1542
.LBB38_1777:
	s_or_b32 s10, s10, exec_lo
	s_trap 2
	s_cbranch_execz .LBB38_1630
	s_branch .LBB38_1631
.LBB38_1778:
	s_or_b32 s16, s16, exec_lo
	s_trap 2
                                        ; implicit-def: $vgpr0
                                        ; implicit-def: $vgpr4
	s_branch .LBB38_1273
.LBB38_1779:
	s_mov_b32 s4, 0
	s_or_b32 s10, s10, exec_lo
	s_trap 2
	s_branch .LBB38_1718
.LBB38_1780:
	s_or_b32 s6, s6, exec_lo
	s_trap 2
                                        ; implicit-def: $vgpr4
	s_branch .LBB38_1404
	.section	.rodata,"a",@progbits
	.p2align	6, 0x0
	.amdhsa_kernel _ZN2at6native32elementwise_kernel_manual_unrollILi128ELi4EZNS0_15gpu_kernel_implIZZZNS0_12_GLOBAL__N_142_validate_compressed_sparse_indices_kernelILNS3_8CDimNameE0ENS3_18CUDAKernelLauncherENS3_14EmptyVecKernelENS3_8DummyVecELm0EEEvRKNS_6TensorESB_lllENKUlvE0_clEvENKUlvE_clEvEUliE_EEvRNS_18TensorIteratorBaseERKT_EUlibE_EEviT1_
		.amdhsa_group_segment_fixed_size 0
		.amdhsa_private_segment_fixed_size 0
		.amdhsa_kernarg_size 56
		.amdhsa_user_sgpr_count 2
		.amdhsa_user_sgpr_dispatch_ptr 0
		.amdhsa_user_sgpr_queue_ptr 0
		.amdhsa_user_sgpr_kernarg_segment_ptr 1
		.amdhsa_user_sgpr_dispatch_id 0
		.amdhsa_user_sgpr_kernarg_preload_length 0
		.amdhsa_user_sgpr_kernarg_preload_offset 0
		.amdhsa_user_sgpr_private_segment_size 0
		.amdhsa_wavefront_size32 1
		.amdhsa_uses_dynamic_stack 0
		.amdhsa_enable_private_segment 0
		.amdhsa_system_sgpr_workgroup_id_x 1
		.amdhsa_system_sgpr_workgroup_id_y 0
		.amdhsa_system_sgpr_workgroup_id_z 0
		.amdhsa_system_sgpr_workgroup_info 0
		.amdhsa_system_vgpr_workitem_id 0
		.amdhsa_next_free_vgpr 10
		.amdhsa_next_free_sgpr 32
		.amdhsa_named_barrier_count 0
		.amdhsa_reserve_vcc 1
		.amdhsa_float_round_mode_32 0
		.amdhsa_float_round_mode_16_64 0
		.amdhsa_float_denorm_mode_32 3
		.amdhsa_float_denorm_mode_16_64 3
		.amdhsa_fp16_overflow 0
		.amdhsa_memory_ordered 1
		.amdhsa_forward_progress 1
		.amdhsa_inst_pref_size 219
		.amdhsa_round_robin_scheduling 0
		.amdhsa_exception_fp_ieee_invalid_op 0
		.amdhsa_exception_fp_denorm_src 0
		.amdhsa_exception_fp_ieee_div_zero 0
		.amdhsa_exception_fp_ieee_overflow 0
		.amdhsa_exception_fp_ieee_underflow 0
		.amdhsa_exception_fp_ieee_inexact 0
		.amdhsa_exception_int_div_zero 0
	.end_amdhsa_kernel
	.section	.text._ZN2at6native32elementwise_kernel_manual_unrollILi128ELi4EZNS0_15gpu_kernel_implIZZZNS0_12_GLOBAL__N_142_validate_compressed_sparse_indices_kernelILNS3_8CDimNameE0ENS3_18CUDAKernelLauncherENS3_14EmptyVecKernelENS3_8DummyVecELm0EEEvRKNS_6TensorESB_lllENKUlvE0_clEvENKUlvE_clEvEUliE_EEvRNS_18TensorIteratorBaseERKT_EUlibE_EEviT1_,"axG",@progbits,_ZN2at6native32elementwise_kernel_manual_unrollILi128ELi4EZNS0_15gpu_kernel_implIZZZNS0_12_GLOBAL__N_142_validate_compressed_sparse_indices_kernelILNS3_8CDimNameE0ENS3_18CUDAKernelLauncherENS3_14EmptyVecKernelENS3_8DummyVecELm0EEEvRKNS_6TensorESB_lllENKUlvE0_clEvENKUlvE_clEvEUliE_EEvRNS_18TensorIteratorBaseERKT_EUlibE_EEviT1_,comdat
.Lfunc_end38:
	.size	_ZN2at6native32elementwise_kernel_manual_unrollILi128ELi4EZNS0_15gpu_kernel_implIZZZNS0_12_GLOBAL__N_142_validate_compressed_sparse_indices_kernelILNS3_8CDimNameE0ENS3_18CUDAKernelLauncherENS3_14EmptyVecKernelENS3_8DummyVecELm0EEEvRKNS_6TensorESB_lllENKUlvE0_clEvENKUlvE_clEvEUliE_EEvRNS_18TensorIteratorBaseERKT_EUlibE_EEviT1_, .Lfunc_end38-_ZN2at6native32elementwise_kernel_manual_unrollILi128ELi4EZNS0_15gpu_kernel_implIZZZNS0_12_GLOBAL__N_142_validate_compressed_sparse_indices_kernelILNS3_8CDimNameE0ENS3_18CUDAKernelLauncherENS3_14EmptyVecKernelENS3_8DummyVecELm0EEEvRKNS_6TensorESB_lllENKUlvE0_clEvENKUlvE_clEvEUliE_EEvRNS_18TensorIteratorBaseERKT_EUlibE_EEviT1_
                                        ; -- End function
	.set _ZN2at6native32elementwise_kernel_manual_unrollILi128ELi4EZNS0_15gpu_kernel_implIZZZNS0_12_GLOBAL__N_142_validate_compressed_sparse_indices_kernelILNS3_8CDimNameE0ENS3_18CUDAKernelLauncherENS3_14EmptyVecKernelENS3_8DummyVecELm0EEEvRKNS_6TensorESB_lllENKUlvE0_clEvENKUlvE_clEvEUliE_EEvRNS_18TensorIteratorBaseERKT_EUlibE_EEviT1_.num_vgpr, 10
	.set _ZN2at6native32elementwise_kernel_manual_unrollILi128ELi4EZNS0_15gpu_kernel_implIZZZNS0_12_GLOBAL__N_142_validate_compressed_sparse_indices_kernelILNS3_8CDimNameE0ENS3_18CUDAKernelLauncherENS3_14EmptyVecKernelENS3_8DummyVecELm0EEEvRKNS_6TensorESB_lllENKUlvE0_clEvENKUlvE_clEvEUliE_EEvRNS_18TensorIteratorBaseERKT_EUlibE_EEviT1_.num_agpr, 0
	.set _ZN2at6native32elementwise_kernel_manual_unrollILi128ELi4EZNS0_15gpu_kernel_implIZZZNS0_12_GLOBAL__N_142_validate_compressed_sparse_indices_kernelILNS3_8CDimNameE0ENS3_18CUDAKernelLauncherENS3_14EmptyVecKernelENS3_8DummyVecELm0EEEvRKNS_6TensorESB_lllENKUlvE0_clEvENKUlvE_clEvEUliE_EEvRNS_18TensorIteratorBaseERKT_EUlibE_EEviT1_.numbered_sgpr, 32
	.set _ZN2at6native32elementwise_kernel_manual_unrollILi128ELi4EZNS0_15gpu_kernel_implIZZZNS0_12_GLOBAL__N_142_validate_compressed_sparse_indices_kernelILNS3_8CDimNameE0ENS3_18CUDAKernelLauncherENS3_14EmptyVecKernelENS3_8DummyVecELm0EEEvRKNS_6TensorESB_lllENKUlvE0_clEvENKUlvE_clEvEUliE_EEvRNS_18TensorIteratorBaseERKT_EUlibE_EEviT1_.num_named_barrier, 0
	.set _ZN2at6native32elementwise_kernel_manual_unrollILi128ELi4EZNS0_15gpu_kernel_implIZZZNS0_12_GLOBAL__N_142_validate_compressed_sparse_indices_kernelILNS3_8CDimNameE0ENS3_18CUDAKernelLauncherENS3_14EmptyVecKernelENS3_8DummyVecELm0EEEvRKNS_6TensorESB_lllENKUlvE0_clEvENKUlvE_clEvEUliE_EEvRNS_18TensorIteratorBaseERKT_EUlibE_EEviT1_.private_seg_size, 0
	.set _ZN2at6native32elementwise_kernel_manual_unrollILi128ELi4EZNS0_15gpu_kernel_implIZZZNS0_12_GLOBAL__N_142_validate_compressed_sparse_indices_kernelILNS3_8CDimNameE0ENS3_18CUDAKernelLauncherENS3_14EmptyVecKernelENS3_8DummyVecELm0EEEvRKNS_6TensorESB_lllENKUlvE0_clEvENKUlvE_clEvEUliE_EEvRNS_18TensorIteratorBaseERKT_EUlibE_EEviT1_.uses_vcc, 1
	.set _ZN2at6native32elementwise_kernel_manual_unrollILi128ELi4EZNS0_15gpu_kernel_implIZZZNS0_12_GLOBAL__N_142_validate_compressed_sparse_indices_kernelILNS3_8CDimNameE0ENS3_18CUDAKernelLauncherENS3_14EmptyVecKernelENS3_8DummyVecELm0EEEvRKNS_6TensorESB_lllENKUlvE0_clEvENKUlvE_clEvEUliE_EEvRNS_18TensorIteratorBaseERKT_EUlibE_EEviT1_.uses_flat_scratch, 0
	.set _ZN2at6native32elementwise_kernel_manual_unrollILi128ELi4EZNS0_15gpu_kernel_implIZZZNS0_12_GLOBAL__N_142_validate_compressed_sparse_indices_kernelILNS3_8CDimNameE0ENS3_18CUDAKernelLauncherENS3_14EmptyVecKernelENS3_8DummyVecELm0EEEvRKNS_6TensorESB_lllENKUlvE0_clEvENKUlvE_clEvEUliE_EEvRNS_18TensorIteratorBaseERKT_EUlibE_EEviT1_.has_dyn_sized_stack, 0
	.set _ZN2at6native32elementwise_kernel_manual_unrollILi128ELi4EZNS0_15gpu_kernel_implIZZZNS0_12_GLOBAL__N_142_validate_compressed_sparse_indices_kernelILNS3_8CDimNameE0ENS3_18CUDAKernelLauncherENS3_14EmptyVecKernelENS3_8DummyVecELm0EEEvRKNS_6TensorESB_lllENKUlvE0_clEvENKUlvE_clEvEUliE_EEvRNS_18TensorIteratorBaseERKT_EUlibE_EEviT1_.has_recursion, 0
	.set _ZN2at6native32elementwise_kernel_manual_unrollILi128ELi4EZNS0_15gpu_kernel_implIZZZNS0_12_GLOBAL__N_142_validate_compressed_sparse_indices_kernelILNS3_8CDimNameE0ENS3_18CUDAKernelLauncherENS3_14EmptyVecKernelENS3_8DummyVecELm0EEEvRKNS_6TensorESB_lllENKUlvE0_clEvENKUlvE_clEvEUliE_EEvRNS_18TensorIteratorBaseERKT_EUlibE_EEviT1_.has_indirect_call, 0
	.section	.AMDGPU.csdata,"",@progbits
; Kernel info:
; codeLenInByte = 28000
; TotalNumSgprs: 34
; NumVgprs: 10
; ScratchSize: 0
; MemoryBound: 1
; FloatMode: 240
; IeeeMode: 1
; LDSByteSize: 0 bytes/workgroup (compile time only)
; SGPRBlocks: 0
; VGPRBlocks: 0
; NumSGPRsForWavesPerEU: 34
; NumVGPRsForWavesPerEU: 10
; NamedBarCnt: 0
; Occupancy: 16
; WaveLimiterHint : 0
; COMPUTE_PGM_RSRC2:SCRATCH_EN: 0
; COMPUTE_PGM_RSRC2:USER_SGPR: 2
; COMPUTE_PGM_RSRC2:TRAP_HANDLER: 0
; COMPUTE_PGM_RSRC2:TGID_X_EN: 1
; COMPUTE_PGM_RSRC2:TGID_Y_EN: 0
; COMPUTE_PGM_RSRC2:TGID_Z_EN: 0
; COMPUTE_PGM_RSRC2:TIDIG_COMP_CNT: 0
	.section	.text._ZN2at6native32elementwise_kernel_manual_unrollILi128ELi4EZNS0_15gpu_kernel_implIZZZNS0_12_GLOBAL__N_142_validate_compressed_sparse_indices_kernelILNS3_8CDimNameE0ENS3_18CUDAKernelLauncherENS3_14EmptyVecKernelENS3_8DummyVecELm0EEEvRKNS_6TensorESB_lllENKUlvE0_clEvENKUlvE_clEvEUliE_EEvRNS_18TensorIteratorBaseERKT_EUlibE0_EEviT1_,"axG",@progbits,_ZN2at6native32elementwise_kernel_manual_unrollILi128ELi4EZNS0_15gpu_kernel_implIZZZNS0_12_GLOBAL__N_142_validate_compressed_sparse_indices_kernelILNS3_8CDimNameE0ENS3_18CUDAKernelLauncherENS3_14EmptyVecKernelENS3_8DummyVecELm0EEEvRKNS_6TensorESB_lllENKUlvE0_clEvENKUlvE_clEvEUliE_EEvRNS_18TensorIteratorBaseERKT_EUlibE0_EEviT1_,comdat
	.globl	_ZN2at6native32elementwise_kernel_manual_unrollILi128ELi4EZNS0_15gpu_kernel_implIZZZNS0_12_GLOBAL__N_142_validate_compressed_sparse_indices_kernelILNS3_8CDimNameE0ENS3_18CUDAKernelLauncherENS3_14EmptyVecKernelENS3_8DummyVecELm0EEEvRKNS_6TensorESB_lllENKUlvE0_clEvENKUlvE_clEvEUliE_EEvRNS_18TensorIteratorBaseERKT_EUlibE0_EEviT1_ ; -- Begin function _ZN2at6native32elementwise_kernel_manual_unrollILi128ELi4EZNS0_15gpu_kernel_implIZZZNS0_12_GLOBAL__N_142_validate_compressed_sparse_indices_kernelILNS3_8CDimNameE0ENS3_18CUDAKernelLauncherENS3_14EmptyVecKernelENS3_8DummyVecELm0EEEvRKNS_6TensorESB_lllENKUlvE0_clEvENKUlvE_clEvEUliE_EEvRNS_18TensorIteratorBaseERKT_EUlibE0_EEviT1_
	.p2align	8
	.type	_ZN2at6native32elementwise_kernel_manual_unrollILi128ELi4EZNS0_15gpu_kernel_implIZZZNS0_12_GLOBAL__N_142_validate_compressed_sparse_indices_kernelILNS3_8CDimNameE0ENS3_18CUDAKernelLauncherENS3_14EmptyVecKernelENS3_8DummyVecELm0EEEvRKNS_6TensorESB_lllENKUlvE0_clEvENKUlvE_clEvEUliE_EEvRNS_18TensorIteratorBaseERKT_EUlibE0_EEviT1_,@function
_ZN2at6native32elementwise_kernel_manual_unrollILi128ELi4EZNS0_15gpu_kernel_implIZZZNS0_12_GLOBAL__N_142_validate_compressed_sparse_indices_kernelILNS3_8CDimNameE0ENS3_18CUDAKernelLauncherENS3_14EmptyVecKernelENS3_8DummyVecELm0EEEvRKNS_6TensorESB_lllENKUlvE0_clEvENKUlvE_clEvEUliE_EEvRNS_18TensorIteratorBaseERKT_EUlibE0_EEviT1_: ; @_ZN2at6native32elementwise_kernel_manual_unrollILi128ELi4EZNS0_15gpu_kernel_implIZZZNS0_12_GLOBAL__N_142_validate_compressed_sparse_indices_kernelILNS3_8CDimNameE0ENS3_18CUDAKernelLauncherENS3_14EmptyVecKernelENS3_8DummyVecELm0EEEvRKNS_6TensorESB_lllENKUlvE0_clEvENKUlvE_clEvEUliE_EEvRNS_18TensorIteratorBaseERKT_EUlibE0_EEviT1_
; %bb.0:
	s_clause 0x1
	s_load_b32 s28, s[0:1], 0x8
	s_load_b32 s39, s[0:1], 0x0
	s_bfe_u32 s2, ttmp6, 0x4000c
	s_and_b32 s3, ttmp6, 15
	s_add_co_i32 s2, s2, 1
	s_getreg_b32 s4, hwreg(HW_REG_IB_STS2, 6, 4)
	s_mul_i32 s2, ttmp9, s2
	s_mov_b32 s30, 0
	s_add_co_i32 s3, s3, s2
	s_cmp_eq_u32 s4, 0
	s_mov_b32 s22, -1
	s_cselect_b32 s2, ttmp9, s3
	s_mov_b32 s10, 0
	v_lshl_or_b32 v0, s2, 9, v0
	s_add_nc_u64 s[2:3], s[0:1], 8
	s_wait_xcnt 0x0
	s_mov_b32 s0, exec_lo
	s_delay_alu instid0(VALU_DEP_1) | instskip(SKIP_2) | instid1(SALU_CYCLE_1)
	v_or_b32_e32 v9, 0x180, v0
	s_wait_kmcnt 0x0
	s_add_co_i32 s29, s28, -1
	s_cmp_gt_u32 s29, 1
	s_cselect_b32 s31, -1, 0
	v_cmpx_le_i32_e64 s39, v9
	s_xor_b32 s33, exec_lo, s0
	s_cbranch_execz .LBB39_959
; %bb.1:
	s_clause 0x6
	s_load_b128 s[8:11], s[2:3], 0x4
	s_load_b32 s34, s[2:3], 0x168
	s_load_b64 s[0:1], s[2:3], 0x14
	s_load_b32 s35, s[2:3], 0x158
	s_load_b32 s36, s[2:3], 0x160
	s_load_b128 s[12:15], s[2:3], 0xc4
	s_load_b128 s[4:7], s[2:3], 0x148
	s_cmp_lg_u32 s28, 0
	s_get_pc_i64 s[24:25]
	s_add_nc_u64 s[24:25], s[24:25], .str@rel64+4
	s_cselect_b32 s41, -1, 0
	s_min_u32 s40, s29, 15
	s_cmp_gt_u32 s28, 1
	s_mov_b32 s17, 0
	s_cselect_b32 s38, -1, 0
	s_add_nc_u64 s[20:21], s[2:3], 0xc4
	s_mov_b32 s19, s17
	s_mov_b32 s44, s17
	;; [unrolled: 1-line block ×4, first 2 shown]
	s_mov_b32 s45, exec_lo
	s_wait_kmcnt 0x0
	s_mov_b32 s16, s9
	s_bfe_u32 s37, s34, 0x80008
	s_cmp_lg_u64 s[24:25], 0
	s_mov_b32 s18, s0
	s_cselect_b32 s9, -1, 0
	v_cmpx_gt_i32_e64 s39, v0
	s_cbranch_execz .LBB39_236
; %bb.2:
	s_and_not1_b32 vcc_lo, exec_lo, s31
	s_cbranch_vccnz .LBB39_8
; %bb.3:
	s_and_not1_b32 vcc_lo, exec_lo, s41
	s_cbranch_vccnz .LBB39_9
; %bb.4:
	s_add_co_i32 s0, s40, 1
	s_cmp_eq_u32 s29, 2
	s_cbranch_scc1 .LBB39_10
; %bb.5:
	v_dual_mov_b32 v2, 0 :: v_dual_mov_b32 v4, 0
	v_mov_b32_e32 v1, v0
	s_and_b32 s22, s0, 28
	s_mov_b32 s23, 0
	s_mov_b64 s[24:25], s[2:3]
	s_mov_b64 s[26:27], s[20:21]
.LBB39_6:                               ; =>This Inner Loop Header: Depth=1
	s_clause 0x1
	s_load_b256 s[48:55], s[24:25], 0x4
	s_load_b128 s[64:67], s[24:25], 0x24
	s_load_b256 s[56:63], s[26:27], 0x0
	s_add_co_i32 s23, s23, 4
	s_wait_xcnt 0x0
	s_add_nc_u64 s[24:25], s[24:25], 48
	s_cmp_lg_u32 s22, s23
	s_add_nc_u64 s[26:27], s[26:27], 32
	s_wait_kmcnt 0x0
	v_mul_hi_u32 v3, s49, v1
	s_delay_alu instid0(VALU_DEP_1) | instskip(NEXT) | instid1(VALU_DEP_1)
	v_add_nc_u32_e32 v3, v1, v3
	v_lshrrev_b32_e32 v3, s50, v3
	s_delay_alu instid0(VALU_DEP_1) | instskip(NEXT) | instid1(VALU_DEP_1)
	v_mul_hi_u32 v5, s52, v3
	v_add_nc_u32_e32 v5, v3, v5
	s_delay_alu instid0(VALU_DEP_1) | instskip(NEXT) | instid1(VALU_DEP_1)
	v_lshrrev_b32_e32 v5, s53, v5
	v_mul_hi_u32 v6, s55, v5
	s_delay_alu instid0(VALU_DEP_1) | instskip(SKIP_1) | instid1(VALU_DEP_1)
	v_add_nc_u32_e32 v6, v5, v6
	v_mul_lo_u32 v7, v3, s48
	v_sub_nc_u32_e32 v1, v1, v7
	v_mul_lo_u32 v7, v5, s51
	s_delay_alu instid0(VALU_DEP_4) | instskip(NEXT) | instid1(VALU_DEP_3)
	v_lshrrev_b32_e32 v6, s64, v6
	v_mad_u32 v4, v1, s57, v4
	v_mad_u32 v1, v1, s56, v2
	s_delay_alu instid0(VALU_DEP_4) | instskip(NEXT) | instid1(VALU_DEP_4)
	v_sub_nc_u32_e32 v2, v3, v7
	v_mul_hi_u32 v8, s66, v6
	v_mul_lo_u32 v3, v6, s54
	s_delay_alu instid0(VALU_DEP_3) | instskip(SKIP_1) | instid1(VALU_DEP_3)
	v_mad_u32 v4, v2, s59, v4
	v_mad_u32 v2, v2, s58, v1
	v_dual_add_nc_u32 v7, v6, v8 :: v_dual_sub_nc_u32 v3, v5, v3
	s_delay_alu instid0(VALU_DEP_1) | instskip(NEXT) | instid1(VALU_DEP_2)
	v_lshrrev_b32_e32 v1, s67, v7
	v_mad_u32 v4, v3, s61, v4
	s_delay_alu instid0(VALU_DEP_4) | instskip(NEXT) | instid1(VALU_DEP_3)
	v_mad_u32 v2, v3, s60, v2
	v_mul_lo_u32 v5, v1, s65
	s_delay_alu instid0(VALU_DEP_1) | instskip(NEXT) | instid1(VALU_DEP_1)
	v_sub_nc_u32_e32 v3, v6, v5
	v_mad_u32 v4, v3, s63, v4
	s_delay_alu instid0(VALU_DEP_4)
	v_mad_u32 v2, v3, s62, v2
	s_cbranch_scc1 .LBB39_6
; %bb.7:
	s_delay_alu instid0(VALU_DEP_2)
	v_mov_b32_e32 v3, v4
	s_and_b32 s0, s0, 3
	s_mov_b32 s23, 0
	s_cmp_eq_u32 s0, 0
	s_cbranch_scc0 .LBB39_11
	s_branch .LBB39_14
.LBB39_8:
                                        ; implicit-def: $vgpr4
                                        ; implicit-def: $vgpr2
	s_branch .LBB39_15
.LBB39_9:
	v_dual_mov_b32 v4, 0 :: v_dual_mov_b32 v2, 0
	s_branch .LBB39_14
.LBB39_10:
	v_mov_b64_e32 v[2:3], 0
	v_mov_b32_e32 v1, v0
	s_mov_b32 s22, 0
                                        ; implicit-def: $vgpr4
	s_and_b32 s0, s0, 3
	s_mov_b32 s23, 0
	s_cmp_eq_u32 s0, 0
	s_cbranch_scc1 .LBB39_14
.LBB39_11:
	s_lshl_b32 s24, s22, 3
	s_mov_b32 s25, s23
	s_mul_u64 s[26:27], s[22:23], 12
	s_add_nc_u64 s[24:25], s[2:3], s[24:25]
	s_delay_alu instid0(SALU_CYCLE_1)
	s_add_nc_u64 s[22:23], s[24:25], 0xc4
	s_add_nc_u64 s[24:25], s[2:3], s[26:27]
.LBB39_12:                              ; =>This Inner Loop Header: Depth=1
	s_load_b96 s[48:50], s[24:25], 0x4
	s_load_b64 s[26:27], s[22:23], 0x0
	s_add_co_i32 s0, s0, -1
	s_wait_xcnt 0x0
	s_add_nc_u64 s[24:25], s[24:25], 12
	s_cmp_lg_u32 s0, 0
	s_add_nc_u64 s[22:23], s[22:23], 8
	s_wait_kmcnt 0x0
	v_mul_hi_u32 v4, s49, v1
	s_delay_alu instid0(VALU_DEP_1) | instskip(NEXT) | instid1(VALU_DEP_1)
	v_add_nc_u32_e32 v4, v1, v4
	v_lshrrev_b32_e32 v4, s50, v4
	s_delay_alu instid0(VALU_DEP_1) | instskip(NEXT) | instid1(VALU_DEP_1)
	v_mul_lo_u32 v5, v4, s48
	v_sub_nc_u32_e32 v1, v1, v5
	s_delay_alu instid0(VALU_DEP_1)
	v_mad_u32 v3, v1, s27, v3
	v_mad_u32 v2, v1, s26, v2
	v_mov_b32_e32 v1, v4
	s_cbranch_scc1 .LBB39_12
; %bb.13:
	s_delay_alu instid0(VALU_DEP_3)
	v_mov_b32_e32 v4, v3
.LBB39_14:
	s_cbranch_execnz .LBB39_17
.LBB39_15:
	v_mov_b32_e32 v1, 0
	s_and_not1_b32 vcc_lo, exec_lo, s38
	s_delay_alu instid0(VALU_DEP_1) | instskip(NEXT) | instid1(VALU_DEP_1)
	v_mul_u64_e32 v[2:3], s[16:17], v[0:1]
	v_add_nc_u32_e32 v2, v0, v3
	s_delay_alu instid0(VALU_DEP_1) | instskip(NEXT) | instid1(VALU_DEP_1)
	v_lshrrev_b32_e32 v6, s10, v2
	v_mul_lo_u32 v2, v6, s8
	s_delay_alu instid0(VALU_DEP_1) | instskip(NEXT) | instid1(VALU_DEP_1)
	v_sub_nc_u32_e32 v2, v0, v2
	v_mul_lo_u32 v4, v2, s13
	v_mul_lo_u32 v2, v2, s12
	s_cbranch_vccnz .LBB39_17
; %bb.16:
	v_mov_b32_e32 v7, v1
	s_delay_alu instid0(VALU_DEP_1) | instskip(NEXT) | instid1(VALU_DEP_1)
	v_mul_u64_e32 v[8:9], s[18:19], v[6:7]
	v_add_nc_u32_e32 v1, v6, v9
	s_delay_alu instid0(VALU_DEP_1) | instskip(NEXT) | instid1(VALU_DEP_1)
	v_lshrrev_b32_e32 v1, s1, v1
	v_mul_lo_u32 v1, v1, s11
	s_delay_alu instid0(VALU_DEP_1) | instskip(NEXT) | instid1(VALU_DEP_1)
	v_sub_nc_u32_e32 v1, v6, v1
	v_mad_u32 v2, v1, s14, v2
	v_mad_u32 v4, v1, s15, v4
.LBB39_17:
	v_mov_b32_e32 v5, 0
	s_and_b32 s0, 0xffff, s37
	s_delay_alu instid0(SALU_CYCLE_1) | instskip(NEXT) | instid1(VALU_DEP_1)
	s_cmp_lt_i32 s0, 11
	v_add_nc_u64_e32 v[4:5], s[6:7], v[4:5]
	s_cbranch_scc1 .LBB39_24
; %bb.18:
	s_cmp_gt_i32 s0, 25
	s_cbranch_scc0 .LBB39_34
; %bb.19:
	s_cmp_gt_i32 s0, 28
	s_cbranch_scc0 .LBB39_38
	;; [unrolled: 3-line block ×4, first 2 shown]
; %bb.22:
	s_cmp_eq_u32 s0, 46
	s_mov_b32 s24, 0
	s_cbranch_scc0 .LBB39_44
; %bb.23:
	global_load_b32 v1, v[4:5], off
	s_mov_b32 s23, -1
	s_mov_b32 s22, 0
	s_wait_loadcnt 0x0
	v_lshlrev_b32_e32 v1, 16, v1
	s_delay_alu instid0(VALU_DEP_1)
	v_cvt_i32_f32_e32 v1, v1
	s_branch .LBB39_46
.LBB39_24:
	s_mov_b32 s22, 0
	s_mov_b32 s23, 0
                                        ; implicit-def: $vgpr1
	s_cbranch_execnz .LBB39_106
.LBB39_25:
	s_and_not1_b32 vcc_lo, exec_lo, s23
	s_cbranch_vccnz .LBB39_153
.LBB39_26:
	s_wait_loadcnt 0x0
	s_delay_alu instid0(VALU_DEP_1)
	v_cmp_le_i32_e32 vcc_lo, s35, v1
	v_cmp_gt_i32_e64 s0, s36, v1
	s_mov_b32 s24, -1
	s_mov_b32 s23, 0
	s_mov_b32 s25, 0
	s_and_b32 s0, vcc_lo, s0
	s_delay_alu instid0(SALU_CYCLE_1) | instskip(NEXT) | instid1(SALU_CYCLE_1)
	s_and_b32 s26, s9, s0
	s_and_saveexec_b32 s0, s26
	s_cbranch_execz .LBB39_234
; %bb.27:
	v_mov_b32_e32 v3, 0
	s_and_b32 s24, s34, 0xff
	s_delay_alu instid0(SALU_CYCLE_1) | instskip(NEXT) | instid1(VALU_DEP_1)
	s_cmp_lt_i32 s24, 11
	v_add_nc_u64_e32 v[2:3], s[4:5], v[2:3]
	s_cbranch_scc1 .LBB39_35
; %bb.28:
	s_and_b32 s25, 0xffff, s24
	s_delay_alu instid0(SALU_CYCLE_1)
	s_cmp_gt_i32 s25, 25
	s_cbranch_scc0 .LBB39_39
; %bb.29:
	s_cmp_gt_i32 s25, 28
	s_cbranch_scc0 .LBB39_41
; %bb.30:
	;; [unrolled: 3-line block ×4, first 2 shown]
	s_mov_b32 s27, 0
	s_mov_b32 s23, -1
	s_cmp_eq_u32 s25, 46
	s_mov_b32 s26, 0
	s_cbranch_scc0 .LBB39_155
; %bb.33:
	v_mov_b32_e32 v1, 0
	s_mov_b32 s26, -1
	s_mov_b32 s23, 0
	global_store_b32 v[2:3], v1, off
	s_branch .LBB39_155
.LBB39_34:
	s_mov_b32 s22, 0
	s_mov_b32 s23, 0
                                        ; implicit-def: $vgpr1
	s_cbranch_execnz .LBB39_73
	s_branch .LBB39_105
.LBB39_35:
	s_mov_b32 s26, 0
	s_cbranch_execnz .LBB39_194
.LBB39_36:
	s_and_not1_b32 vcc_lo, exec_lo, s26
	s_cbranch_vccnz .LBB39_232
.LBB39_37:
	v_add_nc_u32_e32 v0, 0x80, v0
	s_mov_b32 s26, -1
	s_branch .LBB39_233
.LBB39_38:
	s_mov_b32 s24, -1
	s_mov_b32 s22, 0
	s_mov_b32 s23, 0
                                        ; implicit-def: $vgpr1
	s_branch .LBB39_56
.LBB39_39:
	s_mov_b32 s27, -1
	s_mov_b32 s26, 0
	s_branch .LBB39_174
.LBB39_40:
	s_mov_b32 s24, -1
	s_mov_b32 s22, 0
	s_mov_b32 s23, 0
                                        ; implicit-def: $vgpr1
	s_branch .LBB39_51
.LBB39_41:
	s_mov_b32 s27, -1
	s_mov_b32 s26, 0
	s_branch .LBB39_163
.LBB39_42:
	s_mov_b32 s24, -1
	s_mov_b32 s22, 0
	s_branch .LBB39_45
.LBB39_43:
	s_mov_b32 s27, -1
	s_mov_b32 s26, 0
	s_branch .LBB39_159
.LBB39_44:
	s_mov_b32 s22, -1
.LBB39_45:
	s_mov_b32 s23, 0
                                        ; implicit-def: $vgpr1
.LBB39_46:
	s_and_b32 vcc_lo, exec_lo, s24
	s_cbranch_vccz .LBB39_50
; %bb.47:
	s_cmp_eq_u32 s0, 44
	s_cbranch_scc0 .LBB39_49
; %bb.48:
	global_load_u8 v1, v[4:5], off
	s_mov_b32 s22, 0
	s_mov_b32 s23, -1
	s_wait_loadcnt 0x0
	v_lshlrev_b32_e32 v3, 23, v1
	v_cmp_ne_u32_e32 vcc_lo, 0, v1
	s_delay_alu instid0(VALU_DEP_2) | instskip(NEXT) | instid1(VALU_DEP_1)
	v_cvt_i32_f32_e32 v3, v3
	v_cndmask_b32_e32 v1, 0, v3, vcc_lo
	s_branch .LBB39_50
.LBB39_49:
	s_mov_b32 s22, -1
                                        ; implicit-def: $vgpr1
.LBB39_50:
	s_mov_b32 s24, 0
.LBB39_51:
	s_delay_alu instid0(SALU_CYCLE_1)
	s_and_b32 vcc_lo, exec_lo, s24
	s_cbranch_vccz .LBB39_55
; %bb.52:
	s_cmp_eq_u32 s0, 29
	s_cbranch_scc0 .LBB39_54
; %bb.53:
	global_load_b32 v1, v[4:5], off
	s_mov_b32 s23, -1
	s_mov_b32 s22, 0
	s_branch .LBB39_55
.LBB39_54:
	s_mov_b32 s22, -1
                                        ; implicit-def: $vgpr1
.LBB39_55:
	s_mov_b32 s24, 0
.LBB39_56:
	s_delay_alu instid0(SALU_CYCLE_1)
	s_and_b32 vcc_lo, exec_lo, s24
	s_cbranch_vccz .LBB39_72
; %bb.57:
	s_cmp_lt_i32 s0, 27
	s_cbranch_scc1 .LBB39_60
; %bb.58:
	s_cmp_gt_i32 s0, 27
	s_cbranch_scc0 .LBB39_61
; %bb.59:
	s_wait_loadcnt 0x0
	global_load_b32 v1, v[4:5], off
	s_mov_b32 s23, 0
	s_branch .LBB39_62
.LBB39_60:
	s_mov_b32 s23, -1
                                        ; implicit-def: $vgpr1
	s_branch .LBB39_65
.LBB39_61:
	s_mov_b32 s23, -1
                                        ; implicit-def: $vgpr1
.LBB39_62:
	s_delay_alu instid0(SALU_CYCLE_1)
	s_and_not1_b32 vcc_lo, exec_lo, s23
	s_cbranch_vccnz .LBB39_64
; %bb.63:
	s_wait_loadcnt 0x0
	global_load_u16 v1, v[4:5], off
.LBB39_64:
	s_mov_b32 s23, 0
.LBB39_65:
	s_delay_alu instid0(SALU_CYCLE_1)
	s_and_not1_b32 vcc_lo, exec_lo, s23
	s_cbranch_vccnz .LBB39_71
; %bb.66:
	global_load_u8 v3, v[4:5], off
	s_mov_b32 s24, 0
	s_mov_b32 s23, exec_lo
	s_wait_loadcnt 0x0
	v_cmpx_lt_i16_e32 0x7f, v3
	s_xor_b32 s23, exec_lo, s23
	s_cbranch_execz .LBB39_82
; %bb.67:
	v_cmp_ne_u16_e32 vcc_lo, 0x80, v3
	s_and_b32 s24, vcc_lo, exec_lo
	s_and_not1_saveexec_b32 s23, s23
	s_cbranch_execnz .LBB39_83
.LBB39_68:
	s_or_b32 exec_lo, exec_lo, s23
	v_mov_b32_e32 v1, 0
	s_and_saveexec_b32 s23, s24
	s_cbranch_execz .LBB39_70
.LBB39_69:
	v_and_b32_e32 v1, 0xffff, v3
	s_delay_alu instid0(VALU_DEP_1) | instskip(SKIP_1) | instid1(VALU_DEP_2)
	v_and_b32_e32 v6, 7, v1
	v_bfe_u32 v9, v1, 3, 4
	v_clz_i32_u32_e32 v7, v6
	s_delay_alu instid0(VALU_DEP_2) | instskip(NEXT) | instid1(VALU_DEP_2)
	v_cmp_eq_u32_e32 vcc_lo, 0, v9
	v_min_u32_e32 v7, 32, v7
	s_delay_alu instid0(VALU_DEP_1) | instskip(NEXT) | instid1(VALU_DEP_1)
	v_subrev_nc_u32_e32 v8, 28, v7
	v_dual_lshlrev_b32 v1, v8, v1 :: v_dual_sub_nc_u32 v7, 29, v7
	s_delay_alu instid0(VALU_DEP_1) | instskip(NEXT) | instid1(VALU_DEP_1)
	v_dual_lshlrev_b32 v3, 24, v3 :: v_dual_bitop2_b32 v1, 7, v1 bitop3:0x40
	v_dual_cndmask_b32 v1, v6, v1, vcc_lo :: v_dual_cndmask_b32 v7, v9, v7, vcc_lo
	s_delay_alu instid0(VALU_DEP_2) | instskip(NEXT) | instid1(VALU_DEP_2)
	v_and_b32_e32 v3, 0x80000000, v3
	v_lshlrev_b32_e32 v1, 20, v1
	s_delay_alu instid0(VALU_DEP_3) | instskip(NEXT) | instid1(VALU_DEP_1)
	v_lshl_add_u32 v6, v7, 23, 0x3b800000
	v_or3_b32 v1, v3, v6, v1
	s_delay_alu instid0(VALU_DEP_1)
	v_cvt_i32_f32_e32 v1, v1
.LBB39_70:
	s_or_b32 exec_lo, exec_lo, s23
.LBB39_71:
	s_mov_b32 s23, -1
.LBB39_72:
	s_branch .LBB39_105
.LBB39_73:
	s_cmp_gt_i32 s0, 22
	s_cbranch_scc0 .LBB39_81
; %bb.74:
	s_cmp_lt_i32 s0, 24
	s_cbranch_scc1 .LBB39_84
; %bb.75:
	s_cmp_gt_i32 s0, 24
	s_cbranch_scc0 .LBB39_85
; %bb.76:
	global_load_u8 v3, v[4:5], off
	s_mov_b32 s24, 0
	s_mov_b32 s23, exec_lo
	s_wait_loadcnt 0x0
	v_cmpx_lt_i16_e32 0x7f, v3
	s_xor_b32 s23, exec_lo, s23
	s_cbranch_execz .LBB39_97
; %bb.77:
	v_cmp_ne_u16_e32 vcc_lo, 0x80, v3
	s_and_b32 s24, vcc_lo, exec_lo
	s_and_not1_saveexec_b32 s23, s23
	s_cbranch_execnz .LBB39_98
.LBB39_78:
	s_or_b32 exec_lo, exec_lo, s23
	v_mov_b32_e32 v1, 0
	s_and_saveexec_b32 s23, s24
	s_cbranch_execz .LBB39_80
.LBB39_79:
	v_and_b32_e32 v1, 0xffff, v3
	s_delay_alu instid0(VALU_DEP_1) | instskip(SKIP_1) | instid1(VALU_DEP_2)
	v_and_b32_e32 v6, 3, v1
	v_bfe_u32 v9, v1, 2, 5
	v_clz_i32_u32_e32 v7, v6
	s_delay_alu instid0(VALU_DEP_2) | instskip(NEXT) | instid1(VALU_DEP_2)
	v_cmp_eq_u32_e32 vcc_lo, 0, v9
	v_min_u32_e32 v7, 32, v7
	s_delay_alu instid0(VALU_DEP_1) | instskip(NEXT) | instid1(VALU_DEP_1)
	v_subrev_nc_u32_e32 v8, 29, v7
	v_dual_lshlrev_b32 v1, v8, v1 :: v_dual_sub_nc_u32 v7, 30, v7
	s_delay_alu instid0(VALU_DEP_1) | instskip(NEXT) | instid1(VALU_DEP_1)
	v_dual_lshlrev_b32 v3, 24, v3 :: v_dual_bitop2_b32 v1, 3, v1 bitop3:0x40
	v_dual_cndmask_b32 v1, v6, v1, vcc_lo :: v_dual_cndmask_b32 v7, v9, v7, vcc_lo
	s_delay_alu instid0(VALU_DEP_2) | instskip(NEXT) | instid1(VALU_DEP_2)
	v_and_b32_e32 v3, 0x80000000, v3
	v_lshlrev_b32_e32 v1, 21, v1
	s_delay_alu instid0(VALU_DEP_3) | instskip(NEXT) | instid1(VALU_DEP_1)
	v_lshl_add_u32 v6, v7, 23, 0x37800000
	v_or3_b32 v1, v3, v6, v1
	s_delay_alu instid0(VALU_DEP_1)
	v_cvt_i32_f32_e32 v1, v1
.LBB39_80:
	s_or_b32 exec_lo, exec_lo, s23
	s_mov_b32 s23, 0
	s_branch .LBB39_86
.LBB39_81:
	s_mov_b32 s24, -1
                                        ; implicit-def: $vgpr1
	s_branch .LBB39_92
.LBB39_82:
	s_and_not1_saveexec_b32 s23, s23
	s_cbranch_execz .LBB39_68
.LBB39_83:
	v_cmp_ne_u16_e32 vcc_lo, 0, v3
	s_and_not1_b32 s24, s24, exec_lo
	s_and_b32 s25, vcc_lo, exec_lo
	s_delay_alu instid0(SALU_CYCLE_1)
	s_or_b32 s24, s24, s25
	s_or_b32 exec_lo, exec_lo, s23
	v_mov_b32_e32 v1, 0
	s_and_saveexec_b32 s23, s24
	s_cbranch_execnz .LBB39_69
	s_branch .LBB39_70
.LBB39_84:
	s_mov_b32 s23, -1
                                        ; implicit-def: $vgpr1
	s_branch .LBB39_89
.LBB39_85:
	s_mov_b32 s23, -1
                                        ; implicit-def: $vgpr1
.LBB39_86:
	s_delay_alu instid0(SALU_CYCLE_1)
	s_and_b32 vcc_lo, exec_lo, s23
	s_cbranch_vccz .LBB39_88
; %bb.87:
	s_wait_loadcnt 0x0
	global_load_u8 v1, v[4:5], off
	s_wait_loadcnt 0x0
	v_lshlrev_b32_e32 v1, 24, v1
	s_delay_alu instid0(VALU_DEP_1) | instskip(NEXT) | instid1(VALU_DEP_1)
	v_and_b32_e32 v3, 0x7f000000, v1
	v_clz_i32_u32_e32 v6, v3
	v_cmp_ne_u32_e32 vcc_lo, 0, v3
	v_add_nc_u32_e32 v8, 0x1000000, v3
	s_delay_alu instid0(VALU_DEP_3) | instskip(NEXT) | instid1(VALU_DEP_1)
	v_min_u32_e32 v6, 32, v6
	v_sub_nc_u32_e64 v6, v6, 4 clamp
	s_delay_alu instid0(VALU_DEP_1) | instskip(NEXT) | instid1(VALU_DEP_1)
	v_dual_lshlrev_b32 v7, v6, v3 :: v_dual_lshlrev_b32 v6, 23, v6
	v_lshrrev_b32_e32 v7, 4, v7
	s_delay_alu instid0(VALU_DEP_1) | instskip(NEXT) | instid1(VALU_DEP_1)
	v_dual_sub_nc_u32 v6, v7, v6 :: v_dual_ashrrev_i32 v7, 8, v8
	v_add_nc_u32_e32 v6, 0x3c000000, v6
	s_delay_alu instid0(VALU_DEP_1) | instskip(NEXT) | instid1(VALU_DEP_1)
	v_and_or_b32 v6, 0x7f800000, v7, v6
	v_cndmask_b32_e32 v3, 0, v6, vcc_lo
	s_delay_alu instid0(VALU_DEP_1) | instskip(NEXT) | instid1(VALU_DEP_1)
	v_and_or_b32 v1, 0x80000000, v1, v3
	v_cvt_i32_f32_e32 v1, v1
.LBB39_88:
	s_mov_b32 s23, 0
.LBB39_89:
	s_delay_alu instid0(SALU_CYCLE_1)
	s_and_not1_b32 vcc_lo, exec_lo, s23
	s_cbranch_vccnz .LBB39_91
; %bb.90:
	s_wait_loadcnt 0x0
	global_load_u8 v1, v[4:5], off
	s_wait_loadcnt 0x0
	v_lshlrev_b32_e32 v3, 25, v1
	v_lshlrev_b16 v1, 8, v1
	s_delay_alu instid0(VALU_DEP_1) | instskip(SKIP_1) | instid1(VALU_DEP_2)
	v_and_or_b32 v7, 0x7f00, v1, 0.5
	v_bfe_i32 v1, v1, 0, 16
	v_add_f32_e32 v7, -0.5, v7
	v_lshrrev_b32_e32 v6, 4, v3
	v_cmp_gt_u32_e32 vcc_lo, 0x8000000, v3
	s_delay_alu instid0(VALU_DEP_2) | instskip(NEXT) | instid1(VALU_DEP_1)
	v_or_b32_e32 v6, 0x70000000, v6
	v_mul_f32_e32 v6, 0x7800000, v6
	s_delay_alu instid0(VALU_DEP_1) | instskip(NEXT) | instid1(VALU_DEP_1)
	v_cndmask_b32_e32 v3, v6, v7, vcc_lo
	v_and_or_b32 v1, 0x80000000, v1, v3
	s_delay_alu instid0(VALU_DEP_1)
	v_cvt_i32_f32_e32 v1, v1
.LBB39_91:
	s_mov_b32 s24, 0
	s_mov_b32 s23, -1
.LBB39_92:
	s_and_not1_b32 vcc_lo, exec_lo, s24
	s_cbranch_vccnz .LBB39_105
; %bb.93:
	s_cmp_gt_i32 s0, 14
	s_cbranch_scc0 .LBB39_96
; %bb.94:
	s_cmp_eq_u32 s0, 15
	s_cbranch_scc0 .LBB39_99
; %bb.95:
	s_wait_loadcnt 0x0
	global_load_u16 v1, v[4:5], off
	s_mov_b32 s23, -1
	s_mov_b32 s22, 0
	s_wait_loadcnt 0x0
	v_lshlrev_b32_e32 v1, 16, v1
	s_delay_alu instid0(VALU_DEP_1)
	v_cvt_i32_f32_e32 v1, v1
	s_branch .LBB39_100
.LBB39_96:
	s_mov_b32 s24, -1
                                        ; implicit-def: $vgpr1
	s_branch .LBB39_101
.LBB39_97:
	s_and_not1_saveexec_b32 s23, s23
	s_cbranch_execz .LBB39_78
.LBB39_98:
	v_cmp_ne_u16_e32 vcc_lo, 0, v3
	s_and_not1_b32 s24, s24, exec_lo
	s_and_b32 s25, vcc_lo, exec_lo
	s_delay_alu instid0(SALU_CYCLE_1)
	s_or_b32 s24, s24, s25
	s_or_b32 exec_lo, exec_lo, s23
	v_mov_b32_e32 v1, 0
	s_and_saveexec_b32 s23, s24
	s_cbranch_execnz .LBB39_79
	s_branch .LBB39_80
.LBB39_99:
	s_mov_b32 s22, -1
                                        ; implicit-def: $vgpr1
.LBB39_100:
	s_mov_b32 s24, 0
.LBB39_101:
	s_delay_alu instid0(SALU_CYCLE_1)
	s_and_b32 vcc_lo, exec_lo, s24
	s_cbranch_vccz .LBB39_105
; %bb.102:
	s_cmp_eq_u32 s0, 11
	s_cbranch_scc0 .LBB39_104
; %bb.103:
	s_wait_loadcnt 0x0
	global_load_u8 v1, v[4:5], off
	s_mov_b32 s22, 0
	s_mov_b32 s23, -1
	s_wait_loadcnt 0x0
	v_cmp_ne_u16_e32 vcc_lo, 0, v1
	v_cndmask_b32_e64 v1, 0, 1, vcc_lo
	s_branch .LBB39_105
.LBB39_104:
	s_mov_b32 s22, -1
                                        ; implicit-def: $vgpr1
.LBB39_105:
	s_branch .LBB39_25
.LBB39_106:
	s_cmp_lt_i32 s0, 5
	s_cbranch_scc1 .LBB39_111
; %bb.107:
	s_cmp_lt_i32 s0, 8
	s_cbranch_scc1 .LBB39_112
; %bb.108:
	;; [unrolled: 3-line block ×3, first 2 shown]
	s_cmp_gt_i32 s0, 9
	s_cbranch_scc0 .LBB39_114
; %bb.110:
	global_load_b64 v[6:7], v[4:5], off
	s_mov_b32 s23, 0
	s_wait_loadcnt 0x0
	v_cvt_i32_f64_e32 v1, v[6:7]
	s_branch .LBB39_115
.LBB39_111:
                                        ; implicit-def: $vgpr1
	s_branch .LBB39_133
.LBB39_112:
	s_mov_b32 s23, -1
                                        ; implicit-def: $vgpr1
	s_branch .LBB39_121
.LBB39_113:
	s_mov_b32 s23, -1
                                        ; implicit-def: $vgpr1
	s_branch .LBB39_118
.LBB39_114:
	s_mov_b32 s23, -1
                                        ; implicit-def: $vgpr1
.LBB39_115:
	s_delay_alu instid0(SALU_CYCLE_1)
	s_and_not1_b32 vcc_lo, exec_lo, s23
	s_cbranch_vccnz .LBB39_117
; %bb.116:
	s_wait_loadcnt 0x0
	global_load_b32 v1, v[4:5], off
	s_wait_loadcnt 0x0
	v_cvt_i32_f32_e32 v1, v1
.LBB39_117:
	s_mov_b32 s23, 0
.LBB39_118:
	s_delay_alu instid0(SALU_CYCLE_1)
	s_and_not1_b32 vcc_lo, exec_lo, s23
	s_cbranch_vccnz .LBB39_120
; %bb.119:
	s_wait_loadcnt 0x0
	global_load_b32 v1, v[4:5], off
	s_wait_loadcnt 0x0
	v_cvt_f32_f16_e32 v1, v1
	s_delay_alu instid0(VALU_DEP_1)
	v_cvt_i32_f32_e32 v1, v1
.LBB39_120:
	s_mov_b32 s23, 0
.LBB39_121:
	s_delay_alu instid0(SALU_CYCLE_1)
	s_and_not1_b32 vcc_lo, exec_lo, s23
	s_cbranch_vccnz .LBB39_132
; %bb.122:
	s_cmp_lt_i32 s0, 6
	s_cbranch_scc1 .LBB39_125
; %bb.123:
	s_cmp_gt_i32 s0, 6
	s_cbranch_scc0 .LBB39_126
; %bb.124:
	global_load_b64 v[6:7], v[4:5], off
	s_mov_b32 s23, 0
	s_wait_loadcnt 0x0
	v_cvt_i32_f64_e32 v1, v[6:7]
	s_branch .LBB39_127
.LBB39_125:
	s_mov_b32 s23, -1
                                        ; implicit-def: $vgpr1
	s_branch .LBB39_130
.LBB39_126:
	s_mov_b32 s23, -1
                                        ; implicit-def: $vgpr1
.LBB39_127:
	s_delay_alu instid0(SALU_CYCLE_1)
	s_and_not1_b32 vcc_lo, exec_lo, s23
	s_cbranch_vccnz .LBB39_129
; %bb.128:
	s_wait_loadcnt 0x0
	global_load_b32 v1, v[4:5], off
	s_wait_loadcnt 0x0
	v_cvt_i32_f32_e32 v1, v1
.LBB39_129:
	s_mov_b32 s23, 0
.LBB39_130:
	s_delay_alu instid0(SALU_CYCLE_1)
	s_and_not1_b32 vcc_lo, exec_lo, s23
	s_cbranch_vccnz .LBB39_132
; %bb.131:
	s_wait_loadcnt 0x0
	global_load_u16 v1, v[4:5], off
	s_wait_loadcnt 0x0
	v_cvt_f32_f16_e32 v1, v1
	s_delay_alu instid0(VALU_DEP_1)
	v_cvt_i32_f32_e32 v1, v1
.LBB39_132:
	s_cbranch_execnz .LBB39_152
.LBB39_133:
	s_cmp_lt_i32 s0, 2
	s_cbranch_scc1 .LBB39_137
; %bb.134:
	s_cmp_lt_i32 s0, 3
	s_cbranch_scc1 .LBB39_138
; %bb.135:
	s_cmp_gt_i32 s0, 3
	s_cbranch_scc0 .LBB39_139
; %bb.136:
	s_wait_loadcnt 0x0
	global_load_b32 v1, v[4:5], off
	s_mov_b32 s23, 0
	s_branch .LBB39_140
.LBB39_137:
	s_mov_b32 s23, -1
                                        ; implicit-def: $vgpr1
	s_branch .LBB39_146
.LBB39_138:
	s_mov_b32 s23, -1
                                        ; implicit-def: $vgpr1
	s_branch .LBB39_143
.LBB39_139:
	s_mov_b32 s23, -1
                                        ; implicit-def: $vgpr1
.LBB39_140:
	s_delay_alu instid0(SALU_CYCLE_1)
	s_and_not1_b32 vcc_lo, exec_lo, s23
	s_cbranch_vccnz .LBB39_142
; %bb.141:
	s_wait_loadcnt 0x0
	global_load_b32 v1, v[4:5], off
.LBB39_142:
	s_mov_b32 s23, 0
.LBB39_143:
	s_delay_alu instid0(SALU_CYCLE_1)
	s_and_not1_b32 vcc_lo, exec_lo, s23
	s_cbranch_vccnz .LBB39_145
; %bb.144:
	s_wait_loadcnt 0x0
	global_load_i16 v1, v[4:5], off
.LBB39_145:
	s_mov_b32 s23, 0
.LBB39_146:
	s_delay_alu instid0(SALU_CYCLE_1)
	s_and_not1_b32 vcc_lo, exec_lo, s23
	s_cbranch_vccnz .LBB39_152
; %bb.147:
	s_cmp_gt_i32 s0, 0
	s_mov_b32 s0, 0
	s_cbranch_scc0 .LBB39_149
; %bb.148:
	s_wait_loadcnt 0x0
	global_load_i8 v1, v[4:5], off
	s_branch .LBB39_150
.LBB39_149:
	s_mov_b32 s0, -1
                                        ; implicit-def: $vgpr1
.LBB39_150:
	s_delay_alu instid0(SALU_CYCLE_1)
	s_and_not1_b32 vcc_lo, exec_lo, s0
	s_cbranch_vccnz .LBB39_152
; %bb.151:
	s_wait_loadcnt 0x0
	global_load_u8 v1, v[4:5], off
.LBB39_152:
	s_branch .LBB39_26
.LBB39_153:
	s_mov_b32 s23, 0
	s_mov_b32 s24, 0
	;; [unrolled: 1-line block ×3, first 2 shown]
                                        ; implicit-def: $vgpr0
	s_branch .LBB39_235
.LBB39_154:
	s_mov_b32 s27, -1
	s_mov_b32 s26, 0
.LBB39_155:
	s_and_b32 vcc_lo, exec_lo, s27
	s_cbranch_vccz .LBB39_158
; %bb.156:
	s_cmp_eq_u32 s25, 44
	s_mov_b32 s23, -1
	s_cbranch_scc0 .LBB39_158
; %bb.157:
	s_wait_xcnt 0x0
	v_mov_b32_e32 v1, 0
	s_mov_b32 s26, -1
	s_mov_b32 s23, 0
	s_mov_b32 s27, 0
	global_store_b8 v[2:3], v1, off
	s_branch .LBB39_159
.LBB39_158:
	s_mov_b32 s27, 0
.LBB39_159:
	s_delay_alu instid0(SALU_CYCLE_1)
	s_and_b32 vcc_lo, exec_lo, s27
	s_cbranch_vccz .LBB39_162
; %bb.160:
	s_cmp_eq_u32 s25, 29
	s_mov_b32 s23, -1
	s_cbranch_scc0 .LBB39_162
; %bb.161:
	v_mov_b64_e32 v[4:5], 0
	s_mov_b32 s26, -1
	s_mov_b32 s23, 0
	s_mov_b32 s27, 0
	global_store_b64 v[2:3], v[4:5], off
	s_branch .LBB39_163
.LBB39_162:
	s_mov_b32 s27, 0
.LBB39_163:
	s_delay_alu instid0(SALU_CYCLE_1)
	s_and_b32 vcc_lo, exec_lo, s27
	s_cbranch_vccz .LBB39_173
; %bb.164:
	s_cmp_lt_i32 s25, 27
	s_mov_b32 s26, -1
	s_cbranch_scc1 .LBB39_170
; %bb.165:
	s_cmp_gt_i32 s25, 27
	s_cbranch_scc0 .LBB39_167
; %bb.166:
	s_wait_xcnt 0x0
	v_mov_b32_e32 v1, 0
	s_mov_b32 s26, 0
	global_store_b32 v[2:3], v1, off
.LBB39_167:
	s_and_not1_b32 vcc_lo, exec_lo, s26
	s_cbranch_vccnz .LBB39_169
; %bb.168:
	s_wait_xcnt 0x0
	v_mov_b32_e32 v1, 0
	global_store_b16 v[2:3], v1, off
.LBB39_169:
	s_mov_b32 s26, 0
.LBB39_170:
	s_delay_alu instid0(SALU_CYCLE_1)
	s_and_not1_b32 vcc_lo, exec_lo, s26
	s_cbranch_vccnz .LBB39_172
; %bb.171:
	s_wait_xcnt 0x0
	v_mov_b32_e32 v1, 0
	global_store_b8 v[2:3], v1, off
.LBB39_172:
	s_mov_b32 s26, -1
.LBB39_173:
	s_mov_b32 s27, 0
.LBB39_174:
	s_delay_alu instid0(SALU_CYCLE_1)
	s_and_b32 vcc_lo, exec_lo, s27
	s_cbranch_vccz .LBB39_193
; %bb.175:
	s_cmp_gt_i32 s25, 22
	s_mov_b32 s27, -1
	s_cbranch_scc0 .LBB39_185
; %bb.176:
	s_cmp_lt_i32 s25, 24
	s_mov_b32 s26, -1
	s_cbranch_scc1 .LBB39_182
; %bb.177:
	s_cmp_gt_i32 s25, 24
	s_cbranch_scc0 .LBB39_179
; %bb.178:
	s_wait_xcnt 0x0
	v_mov_b32_e32 v1, 0
	s_mov_b32 s26, 0
	global_store_b8 v[2:3], v1, off
.LBB39_179:
	s_and_not1_b32 vcc_lo, exec_lo, s26
	s_cbranch_vccnz .LBB39_181
; %bb.180:
	s_wait_xcnt 0x0
	v_mov_b32_e32 v1, 0
	global_store_b8 v[2:3], v1, off
.LBB39_181:
	s_mov_b32 s26, 0
.LBB39_182:
	s_delay_alu instid0(SALU_CYCLE_1)
	s_and_not1_b32 vcc_lo, exec_lo, s26
	s_cbranch_vccnz .LBB39_184
; %bb.183:
	s_wait_xcnt 0x0
	v_mov_b32_e32 v1, 0
	global_store_b8 v[2:3], v1, off
.LBB39_184:
	s_mov_b32 s27, 0
	s_mov_b32 s26, -1
.LBB39_185:
	s_and_not1_b32 vcc_lo, exec_lo, s27
	s_cbranch_vccnz .LBB39_193
; %bb.186:
	s_cmp_gt_i32 s25, 14
	s_mov_b32 s27, -1
	s_cbranch_scc0 .LBB39_190
; %bb.187:
	s_cmp_eq_u32 s25, 15
	s_mov_b32 s23, -1
	s_cbranch_scc0 .LBB39_189
; %bb.188:
	s_wait_xcnt 0x0
	v_mov_b32_e32 v1, 0
	s_mov_b32 s26, -1
	s_mov_b32 s23, 0
	global_store_b16 v[2:3], v1, off
.LBB39_189:
	s_mov_b32 s27, 0
.LBB39_190:
	s_delay_alu instid0(SALU_CYCLE_1)
	s_and_b32 vcc_lo, exec_lo, s27
	s_cbranch_vccz .LBB39_193
; %bb.191:
	s_cmp_eq_u32 s25, 11
	s_mov_b32 s23, -1
	s_cbranch_scc0 .LBB39_193
; %bb.192:
	s_wait_xcnt 0x0
	v_mov_b32_e32 v1, 0
	s_mov_b32 s26, -1
	s_mov_b32 s23, 0
	global_store_b8 v[2:3], v1, off
.LBB39_193:
	s_branch .LBB39_36
.LBB39_194:
	s_and_b32 s24, 0xffff, s24
	s_mov_b32 s25, -1
	s_cmp_lt_i32 s24, 5
	s_cbranch_scc1 .LBB39_215
; %bb.195:
	s_cmp_lt_i32 s24, 8
	s_cbranch_scc1 .LBB39_205
; %bb.196:
	s_cmp_lt_i32 s24, 9
	s_cbranch_scc1 .LBB39_202
; %bb.197:
	s_cmp_gt_i32 s24, 9
	s_cbranch_scc0 .LBB39_199
; %bb.198:
	s_wait_xcnt 0x0
	v_mov_b32_e32 v4, 0
	s_mov_b32 s25, 0
	s_delay_alu instid0(VALU_DEP_1)
	v_dual_mov_b32 v5, v4 :: v_dual_mov_b32 v6, v4
	v_mov_b32_e32 v7, v4
	global_store_b128 v[2:3], v[4:7], off
.LBB39_199:
	s_and_not1_b32 vcc_lo, exec_lo, s25
	s_cbranch_vccnz .LBB39_201
; %bb.200:
	s_wait_xcnt 0x0
	v_mov_b64_e32 v[4:5], 0
	global_store_b64 v[2:3], v[4:5], off
.LBB39_201:
	s_mov_b32 s25, 0
.LBB39_202:
	s_delay_alu instid0(SALU_CYCLE_1)
	s_and_not1_b32 vcc_lo, exec_lo, s25
	s_cbranch_vccnz .LBB39_204
; %bb.203:
	s_wait_xcnt 0x0
	v_mov_b32_e32 v1, 0
	global_store_b32 v[2:3], v1, off
.LBB39_204:
	s_mov_b32 s25, 0
.LBB39_205:
	s_delay_alu instid0(SALU_CYCLE_1)
	s_and_not1_b32 vcc_lo, exec_lo, s25
	s_cbranch_vccnz .LBB39_214
; %bb.206:
	s_cmp_lt_i32 s24, 6
	s_mov_b32 s25, -1
	s_cbranch_scc1 .LBB39_212
; %bb.207:
	s_cmp_gt_i32 s24, 6
	s_cbranch_scc0 .LBB39_209
; %bb.208:
	s_wait_xcnt 0x0
	v_mov_b64_e32 v[4:5], 0
	s_mov_b32 s25, 0
	global_store_b64 v[2:3], v[4:5], off
.LBB39_209:
	s_and_not1_b32 vcc_lo, exec_lo, s25
	s_cbranch_vccnz .LBB39_211
; %bb.210:
	s_wait_xcnt 0x0
	v_mov_b32_e32 v1, 0
	global_store_b32 v[2:3], v1, off
.LBB39_211:
	s_mov_b32 s25, 0
.LBB39_212:
	s_delay_alu instid0(SALU_CYCLE_1)
	s_and_not1_b32 vcc_lo, exec_lo, s25
	s_cbranch_vccnz .LBB39_214
; %bb.213:
	s_wait_xcnt 0x0
	v_mov_b32_e32 v1, 0
	global_store_b16 v[2:3], v1, off
.LBB39_214:
	s_mov_b32 s25, 0
.LBB39_215:
	s_delay_alu instid0(SALU_CYCLE_1)
	s_and_not1_b32 vcc_lo, exec_lo, s25
	s_cbranch_vccnz .LBB39_231
; %bb.216:
	s_cmp_lt_i32 s24, 2
	s_mov_b32 s25, -1
	s_cbranch_scc1 .LBB39_226
; %bb.217:
	s_cmp_lt_i32 s24, 3
	s_cbranch_scc1 .LBB39_223
; %bb.218:
	s_cmp_gt_i32 s24, 3
	s_cbranch_scc0 .LBB39_220
; %bb.219:
	s_wait_xcnt 0x0
	v_mov_b64_e32 v[4:5], 0
	s_mov_b32 s25, 0
	global_store_b64 v[2:3], v[4:5], off
.LBB39_220:
	s_and_not1_b32 vcc_lo, exec_lo, s25
	s_cbranch_vccnz .LBB39_222
; %bb.221:
	s_wait_xcnt 0x0
	v_mov_b32_e32 v1, 0
	global_store_b32 v[2:3], v1, off
.LBB39_222:
	s_mov_b32 s25, 0
.LBB39_223:
	s_delay_alu instid0(SALU_CYCLE_1)
	s_and_not1_b32 vcc_lo, exec_lo, s25
	s_cbranch_vccnz .LBB39_225
; %bb.224:
	s_wait_xcnt 0x0
	v_mov_b32_e32 v1, 0
	global_store_b16 v[2:3], v1, off
.LBB39_225:
	s_mov_b32 s25, 0
.LBB39_226:
	s_delay_alu instid0(SALU_CYCLE_1)
	s_and_not1_b32 vcc_lo, exec_lo, s25
	s_cbranch_vccnz .LBB39_231
; %bb.227:
	s_cmp_gt_i32 s24, 0
	s_mov_b32 s24, -1
	s_cbranch_scc0 .LBB39_229
; %bb.228:
	s_wait_xcnt 0x0
	v_mov_b32_e32 v1, 0
	s_mov_b32 s24, 0
	global_store_b8 v[2:3], v1, off
.LBB39_229:
	s_and_not1_b32 vcc_lo, exec_lo, s24
	s_cbranch_vccnz .LBB39_231
; %bb.230:
	s_wait_xcnt 0x0
	v_mov_b32_e32 v1, 0
	global_store_b8 v[2:3], v1, off
.LBB39_231:
	s_branch .LBB39_37
.LBB39_232:
	s_mov_b32 s26, 0
                                        ; implicit-def: $vgpr0
.LBB39_233:
	s_and_b32 s25, s23, exec_lo
	s_xor_b32 s24, exec_lo, -1
	s_and_b32 s23, s26, exec_lo
.LBB39_234:
	s_wait_xcnt 0x0
	s_or_b32 exec_lo, exec_lo, s0
.LBB39_235:
	s_delay_alu instid0(SALU_CYCLE_1)
	s_and_b32 s42, s25, exec_lo
	s_and_b32 s43, s24, exec_lo
	;; [unrolled: 1-line block ×3, first 2 shown]
	s_or_not1_b32 s22, s23, exec_lo
.LBB39_236:
	s_wait_xcnt 0x0
	s_or_b32 exec_lo, exec_lo, s45
	s_mov_b32 s23, 0
	s_mov_b32 s0, 0
                                        ; implicit-def: $vgpr4_vgpr5
                                        ; implicit-def: $vgpr2
                                        ; implicit-def: $vgpr1
	s_and_saveexec_b32 s45, s22
	s_cbranch_execz .LBB39_244
; %bb.237:
	s_mov_b32 s0, -1
	s_mov_b32 s46, s44
	s_mov_b32 s48, s43
	;; [unrolled: 1-line block ×3, first 2 shown]
	s_mov_b32 s49, exec_lo
	v_cmpx_gt_i32_e64 s39, v0
	s_cbranch_execz .LBB39_479
; %bb.238:
	s_and_not1_b32 vcc_lo, exec_lo, s31
	s_cbranch_vccnz .LBB39_247
; %bb.239:
	s_and_not1_b32 vcc_lo, exec_lo, s41
	s_cbranch_vccnz .LBB39_248
; %bb.240:
	s_add_co_i32 s0, s40, 1
	s_cmp_eq_u32 s29, 2
	s_cbranch_scc1 .LBB39_249
; %bb.241:
	v_dual_mov_b32 v2, 0 :: v_dual_mov_b32 v4, 0
	s_wait_loadcnt 0x0
	v_mov_b32_e32 v1, v0
	s_and_b32 s22, s0, 28
	s_mov_b64 s[24:25], s[2:3]
	s_mov_b64 s[26:27], s[20:21]
.LBB39_242:                             ; =>This Inner Loop Header: Depth=1
	s_clause 0x1
	s_load_b256 s[52:59], s[24:25], 0x4
	s_load_b128 s[68:71], s[24:25], 0x24
	s_load_b256 s[60:67], s[26:27], 0x0
	s_add_co_i32 s23, s23, 4
	s_wait_xcnt 0x0
	s_add_nc_u64 s[24:25], s[24:25], 48
	s_cmp_eq_u32 s22, s23
	s_add_nc_u64 s[26:27], s[26:27], 32
	s_wait_kmcnt 0x0
	v_mul_hi_u32 v3, s53, v1
	s_delay_alu instid0(VALU_DEP_1) | instskip(NEXT) | instid1(VALU_DEP_1)
	v_add_nc_u32_e32 v3, v1, v3
	v_lshrrev_b32_e32 v3, s54, v3
	s_delay_alu instid0(VALU_DEP_1) | instskip(NEXT) | instid1(VALU_DEP_1)
	v_mul_hi_u32 v5, s56, v3
	v_add_nc_u32_e32 v5, v3, v5
	s_delay_alu instid0(VALU_DEP_1) | instskip(NEXT) | instid1(VALU_DEP_1)
	v_lshrrev_b32_e32 v5, s57, v5
	v_mul_hi_u32 v6, s59, v5
	s_delay_alu instid0(VALU_DEP_1) | instskip(SKIP_1) | instid1(VALU_DEP_1)
	v_add_nc_u32_e32 v6, v5, v6
	v_mul_lo_u32 v7, v3, s52
	v_sub_nc_u32_e32 v1, v1, v7
	v_mul_lo_u32 v7, v5, s55
	s_delay_alu instid0(VALU_DEP_4) | instskip(NEXT) | instid1(VALU_DEP_3)
	v_lshrrev_b32_e32 v6, s68, v6
	v_mad_u32 v4, v1, s61, v4
	v_mad_u32 v1, v1, s60, v2
	s_delay_alu instid0(VALU_DEP_4) | instskip(NEXT) | instid1(VALU_DEP_4)
	v_sub_nc_u32_e32 v2, v3, v7
	v_mul_hi_u32 v8, s70, v6
	v_mul_lo_u32 v3, v6, s58
	s_delay_alu instid0(VALU_DEP_3) | instskip(SKIP_1) | instid1(VALU_DEP_3)
	v_mad_u32 v4, v2, s63, v4
	v_mad_u32 v2, v2, s62, v1
	v_dual_add_nc_u32 v7, v6, v8 :: v_dual_sub_nc_u32 v3, v5, v3
	s_delay_alu instid0(VALU_DEP_1) | instskip(NEXT) | instid1(VALU_DEP_2)
	v_lshrrev_b32_e32 v1, s71, v7
	v_mad_u32 v4, v3, s65, v4
	s_delay_alu instid0(VALU_DEP_4) | instskip(NEXT) | instid1(VALU_DEP_3)
	v_mad_u32 v2, v3, s64, v2
	v_mul_lo_u32 v5, v1, s69
	s_delay_alu instid0(VALU_DEP_1) | instskip(NEXT) | instid1(VALU_DEP_1)
	v_sub_nc_u32_e32 v3, v6, v5
	v_mad_u32 v4, v3, s67, v4
	s_delay_alu instid0(VALU_DEP_4)
	v_mad_u32 v2, v3, s66, v2
	s_cbranch_scc0 .LBB39_242
; %bb.243:
	s_delay_alu instid0(VALU_DEP_2)
	v_mov_b32_e32 v3, v4
	s_branch .LBB39_250
.LBB39_244:
	s_or_b32 exec_lo, exec_lo, s45
	s_mov_b32 s1, 0
	s_and_saveexec_b32 s6, s44
	s_cbranch_execnz .LBB39_817
.LBB39_245:
	s_or_b32 exec_lo, exec_lo, s6
	s_and_saveexec_b32 s6, s17
	s_delay_alu instid0(SALU_CYCLE_1)
	s_xor_b32 s6, exec_lo, s6
	s_cbranch_execz .LBB39_818
.LBB39_246:
	global_load_u8 v0, v[4:5], off
	s_or_b32 s0, s0, exec_lo
	s_wait_loadcnt 0x0
	v_cmp_ne_u16_e32 vcc_lo, 0, v0
	v_cndmask_b32_e64 v1, 0, 1, vcc_lo
	s_wait_xcnt 0x0
	s_or_b32 exec_lo, exec_lo, s6
	s_and_saveexec_b32 s6, s23
	s_cbranch_execz .LBB39_864
	s_branch .LBB39_819
.LBB39_247:
                                        ; implicit-def: $vgpr4
                                        ; implicit-def: $vgpr2
	s_and_not1_b32 vcc_lo, exec_lo, s0
	s_cbranch_vccnz .LBB39_257
	s_branch .LBB39_255
.LBB39_248:
	v_dual_mov_b32 v4, 0 :: v_dual_mov_b32 v2, 0
	s_branch .LBB39_254
.LBB39_249:
	v_mov_b64_e32 v[2:3], 0
	s_wait_loadcnt 0x0
	v_mov_b32_e32 v1, v0
	s_mov_b32 s22, 0
                                        ; implicit-def: $vgpr4
.LBB39_250:
	s_and_b32 s0, s0, 3
	s_mov_b32 s23, 0
	s_cmp_eq_u32 s0, 0
	s_cbranch_scc1 .LBB39_254
; %bb.251:
	s_lshl_b32 s24, s22, 3
	s_mov_b32 s25, s23
	s_mul_u64 s[26:27], s[22:23], 12
	s_add_nc_u64 s[24:25], s[2:3], s[24:25]
	s_delay_alu instid0(SALU_CYCLE_1)
	s_add_nc_u64 s[22:23], s[24:25], 0xc4
	s_add_nc_u64 s[24:25], s[2:3], s[26:27]
.LBB39_252:                             ; =>This Inner Loop Header: Depth=1
	s_load_b96 s[52:54], s[24:25], 0x4
	s_load_b64 s[26:27], s[22:23], 0x0
	s_add_co_i32 s0, s0, -1
	s_wait_xcnt 0x0
	s_add_nc_u64 s[24:25], s[24:25], 12
	s_cmp_lg_u32 s0, 0
	s_add_nc_u64 s[22:23], s[22:23], 8
	s_wait_kmcnt 0x0
	v_mul_hi_u32 v4, s53, v1
	s_delay_alu instid0(VALU_DEP_1) | instskip(NEXT) | instid1(VALU_DEP_1)
	v_add_nc_u32_e32 v4, v1, v4
	v_lshrrev_b32_e32 v4, s54, v4
	s_delay_alu instid0(VALU_DEP_1) | instskip(NEXT) | instid1(VALU_DEP_1)
	v_mul_lo_u32 v5, v4, s52
	v_sub_nc_u32_e32 v1, v1, v5
	s_delay_alu instid0(VALU_DEP_1)
	v_mad_u32 v3, v1, s27, v3
	v_mad_u32 v2, v1, s26, v2
	v_mov_b32_e32 v1, v4
	s_cbranch_scc1 .LBB39_252
; %bb.253:
	s_delay_alu instid0(VALU_DEP_3)
	v_mov_b32_e32 v4, v3
.LBB39_254:
	s_cbranch_execnz .LBB39_257
.LBB39_255:
	s_wait_loadcnt 0x0
	v_mov_b32_e32 v1, 0
	s_and_not1_b32 vcc_lo, exec_lo, s38
	s_delay_alu instid0(VALU_DEP_1) | instskip(NEXT) | instid1(VALU_DEP_1)
	v_mul_u64_e32 v[2:3], s[16:17], v[0:1]
	v_add_nc_u32_e32 v2, v0, v3
	s_delay_alu instid0(VALU_DEP_1) | instskip(NEXT) | instid1(VALU_DEP_1)
	v_lshrrev_b32_e32 v6, s10, v2
	v_mul_lo_u32 v2, v6, s8
	s_delay_alu instid0(VALU_DEP_1) | instskip(NEXT) | instid1(VALU_DEP_1)
	v_sub_nc_u32_e32 v2, v0, v2
	v_mul_lo_u32 v4, v2, s13
	v_mul_lo_u32 v2, v2, s12
	s_cbranch_vccnz .LBB39_257
; %bb.256:
	v_mov_b32_e32 v7, v1
	s_delay_alu instid0(VALU_DEP_1) | instskip(NEXT) | instid1(VALU_DEP_1)
	v_mul_u64_e32 v[8:9], s[18:19], v[6:7]
	v_add_nc_u32_e32 v1, v6, v9
	s_delay_alu instid0(VALU_DEP_1) | instskip(NEXT) | instid1(VALU_DEP_1)
	v_lshrrev_b32_e32 v1, s1, v1
	v_mul_lo_u32 v1, v1, s11
	s_delay_alu instid0(VALU_DEP_1) | instskip(NEXT) | instid1(VALU_DEP_1)
	v_sub_nc_u32_e32 v1, v6, v1
	v_mad_u32 v2, v1, s14, v2
	v_mad_u32 v4, v1, s15, v4
.LBB39_257:
	v_mov_b32_e32 v5, 0
	s_and_b32 s0, 0xffff, s37
	s_delay_alu instid0(SALU_CYCLE_1) | instskip(NEXT) | instid1(VALU_DEP_1)
	s_cmp_lt_i32 s0, 11
	v_add_nc_u64_e32 v[4:5], s[6:7], v[4:5]
	s_cbranch_scc1 .LBB39_264
; %bb.258:
	s_cmp_gt_i32 s0, 25
	s_cbranch_scc0 .LBB39_274
; %bb.259:
	s_cmp_gt_i32 s0, 28
	s_cbranch_scc0 .LBB39_276
	;; [unrolled: 3-line block ×4, first 2 shown]
; %bb.262:
	s_cmp_eq_u32 s0, 46
	s_mov_b32 s24, 0
	s_cbranch_scc0 .LBB39_282
; %bb.263:
	s_wait_loadcnt 0x0
	global_load_b32 v1, v[4:5], off
	s_mov_b32 s23, -1
	s_mov_b32 s22, 0
	s_wait_loadcnt 0x0
	v_lshlrev_b32_e32 v1, 16, v1
	s_delay_alu instid0(VALU_DEP_1)
	v_cvt_i32_f32_e32 v1, v1
	s_branch .LBB39_284
.LBB39_264:
	s_mov_b32 s23, 0
	s_mov_b32 s22, s44
                                        ; implicit-def: $vgpr1
	s_cbranch_execnz .LBB39_345
.LBB39_265:
	s_and_not1_b32 vcc_lo, exec_lo, s23
	s_cbranch_vccnz .LBB39_393
.LBB39_266:
	s_wait_loadcnt 0x0
	s_delay_alu instid0(VALU_DEP_1)
	v_cmp_le_i32_e32 vcc_lo, s35, v1
	v_cmp_gt_i32_e64 s0, s36, v1
	s_mov_b32 s23, 0
	s_mov_b32 s24, -1
	s_mov_b32 s25, s42
	s_and_b32 s0, vcc_lo, s0
	s_delay_alu instid0(SALU_CYCLE_1)
	s_and_b32 s26, s9, s0
	s_wait_xcnt 0x0
	s_and_saveexec_b32 s0, s26
	s_cbranch_execz .LBB39_477
; %bb.267:
	v_mov_b32_e32 v3, 0
	s_and_b32 s24, s34, 0xff
	s_delay_alu instid0(SALU_CYCLE_1) | instskip(NEXT) | instid1(VALU_DEP_1)
	s_cmp_lt_i32 s24, 11
	v_add_nc_u64_e32 v[2:3], s[4:5], v[2:3]
	s_cbranch_scc1 .LBB39_275
; %bb.268:
	s_and_b32 s25, 0xffff, s24
	s_delay_alu instid0(SALU_CYCLE_1)
	s_cmp_gt_i32 s25, 25
	s_cbranch_scc0 .LBB39_277
; %bb.269:
	s_cmp_gt_i32 s25, 28
	s_cbranch_scc0 .LBB39_279
; %bb.270:
	;; [unrolled: 3-line block ×4, first 2 shown]
	s_mov_b32 s27, 0
	s_mov_b32 s23, -1
	s_cmp_eq_u32 s25, 46
	s_mov_b32 s26, 0
	s_cbranch_scc0 .LBB39_395
; %bb.273:
	v_mov_b32_e32 v1, 0
	s_mov_b32 s26, -1
	s_mov_b32 s23, 0
	global_store_b32 v[2:3], v1, off
	s_branch .LBB39_395
.LBB39_274:
	s_mov_b32 s24, -1
	s_mov_b32 s23, 0
	s_mov_b32 s22, s44
                                        ; implicit-def: $vgpr1
	s_branch .LBB39_311
.LBB39_275:
	s_mov_b32 s25, -1
	s_mov_b32 s26, 0
	s_mov_b32 s23, s42
	s_branch .LBB39_434
.LBB39_276:
	s_mov_b32 s24, -1
	s_mov_b32 s23, 0
	s_mov_b32 s22, s44
                                        ; implicit-def: $vgpr1
	s_branch .LBB39_294
.LBB39_277:
	s_mov_b32 s27, -1
	s_mov_b32 s26, 0
	s_mov_b32 s23, s42
	s_branch .LBB39_414
.LBB39_278:
	s_mov_b32 s24, -1
	s_mov_b32 s23, 0
	s_mov_b32 s22, s44
                                        ; implicit-def: $vgpr1
	s_branch .LBB39_289
.LBB39_279:
	s_mov_b32 s27, -1
	s_mov_b32 s26, 0
	s_mov_b32 s23, s42
	s_branch .LBB39_403
.LBB39_280:
	s_mov_b32 s24, -1
	s_mov_b32 s23, 0
	s_mov_b32 s22, s44
	s_branch .LBB39_283
.LBB39_281:
	s_mov_b32 s27, -1
	s_mov_b32 s26, 0
	s_mov_b32 s23, s42
	s_branch .LBB39_399
.LBB39_282:
	s_mov_b32 s22, -1
	s_mov_b32 s23, 0
.LBB39_283:
                                        ; implicit-def: $vgpr1
.LBB39_284:
	s_and_b32 vcc_lo, exec_lo, s24
	s_cbranch_vccz .LBB39_288
; %bb.285:
	s_cmp_eq_u32 s0, 44
	s_cbranch_scc0 .LBB39_287
; %bb.286:
	s_wait_loadcnt 0x0
	global_load_u8 v1, v[4:5], off
	s_mov_b32 s22, 0
	s_mov_b32 s23, -1
	s_wait_loadcnt 0x0
	v_lshlrev_b32_e32 v3, 23, v1
	v_cmp_ne_u32_e32 vcc_lo, 0, v1
	s_delay_alu instid0(VALU_DEP_2) | instskip(NEXT) | instid1(VALU_DEP_1)
	v_cvt_i32_f32_e32 v3, v3
	v_cndmask_b32_e32 v1, 0, v3, vcc_lo
	s_branch .LBB39_288
.LBB39_287:
	s_mov_b32 s22, -1
                                        ; implicit-def: $vgpr1
.LBB39_288:
	s_mov_b32 s24, 0
.LBB39_289:
	s_delay_alu instid0(SALU_CYCLE_1)
	s_and_b32 vcc_lo, exec_lo, s24
	s_cbranch_vccz .LBB39_293
; %bb.290:
	s_cmp_eq_u32 s0, 29
	s_cbranch_scc0 .LBB39_292
; %bb.291:
	s_wait_loadcnt 0x0
	global_load_b32 v1, v[4:5], off
	s_mov_b32 s23, -1
	s_mov_b32 s22, 0
	s_branch .LBB39_293
.LBB39_292:
	s_mov_b32 s22, -1
                                        ; implicit-def: $vgpr1
.LBB39_293:
	s_mov_b32 s24, 0
.LBB39_294:
	s_delay_alu instid0(SALU_CYCLE_1)
	s_and_b32 vcc_lo, exec_lo, s24
	s_cbranch_vccz .LBB39_310
; %bb.295:
	s_cmp_lt_i32 s0, 27
	s_cbranch_scc1 .LBB39_298
; %bb.296:
	s_cmp_gt_i32 s0, 27
	s_cbranch_scc0 .LBB39_299
; %bb.297:
	s_wait_loadcnt 0x0
	global_load_b32 v1, v[4:5], off
	s_mov_b32 s23, 0
	s_branch .LBB39_300
.LBB39_298:
	s_mov_b32 s23, -1
                                        ; implicit-def: $vgpr1
	s_branch .LBB39_303
.LBB39_299:
	s_mov_b32 s23, -1
                                        ; implicit-def: $vgpr1
.LBB39_300:
	s_delay_alu instid0(SALU_CYCLE_1)
	s_and_not1_b32 vcc_lo, exec_lo, s23
	s_cbranch_vccnz .LBB39_302
; %bb.301:
	s_wait_loadcnt 0x0
	global_load_u16 v1, v[4:5], off
.LBB39_302:
	s_mov_b32 s23, 0
.LBB39_303:
	s_delay_alu instid0(SALU_CYCLE_1)
	s_and_not1_b32 vcc_lo, exec_lo, s23
	s_cbranch_vccnz .LBB39_309
; %bb.304:
	global_load_u8 v3, v[4:5], off
	s_mov_b32 s24, 0
	s_mov_b32 s23, exec_lo
	s_wait_loadcnt 0x0
	v_cmpx_lt_i16_e32 0x7f, v3
	s_xor_b32 s23, exec_lo, s23
	s_cbranch_execz .LBB39_321
; %bb.305:
	v_cmp_ne_u16_e32 vcc_lo, 0x80, v3
	s_and_b32 s24, vcc_lo, exec_lo
	s_and_not1_saveexec_b32 s23, s23
	s_cbranch_execnz .LBB39_322
.LBB39_306:
	s_or_b32 exec_lo, exec_lo, s23
	v_mov_b32_e32 v1, 0
	s_and_saveexec_b32 s23, s24
	s_cbranch_execz .LBB39_308
.LBB39_307:
	v_and_b32_e32 v1, 0xffff, v3
	s_delay_alu instid0(VALU_DEP_1) | instskip(SKIP_1) | instid1(VALU_DEP_2)
	v_and_b32_e32 v6, 7, v1
	v_bfe_u32 v9, v1, 3, 4
	v_clz_i32_u32_e32 v7, v6
	s_delay_alu instid0(VALU_DEP_2) | instskip(NEXT) | instid1(VALU_DEP_2)
	v_cmp_eq_u32_e32 vcc_lo, 0, v9
	v_min_u32_e32 v7, 32, v7
	s_delay_alu instid0(VALU_DEP_1) | instskip(NEXT) | instid1(VALU_DEP_1)
	v_subrev_nc_u32_e32 v8, 28, v7
	v_dual_lshlrev_b32 v1, v8, v1 :: v_dual_sub_nc_u32 v7, 29, v7
	s_delay_alu instid0(VALU_DEP_1) | instskip(NEXT) | instid1(VALU_DEP_1)
	v_dual_lshlrev_b32 v3, 24, v3 :: v_dual_bitop2_b32 v1, 7, v1 bitop3:0x40
	v_dual_cndmask_b32 v1, v6, v1, vcc_lo :: v_dual_cndmask_b32 v7, v9, v7, vcc_lo
	s_delay_alu instid0(VALU_DEP_2) | instskip(NEXT) | instid1(VALU_DEP_2)
	v_and_b32_e32 v3, 0x80000000, v3
	v_lshlrev_b32_e32 v1, 20, v1
	s_delay_alu instid0(VALU_DEP_3) | instskip(NEXT) | instid1(VALU_DEP_1)
	v_lshl_add_u32 v6, v7, 23, 0x3b800000
	v_or3_b32 v1, v3, v6, v1
	s_delay_alu instid0(VALU_DEP_1)
	v_cvt_i32_f32_e32 v1, v1
.LBB39_308:
	s_or_b32 exec_lo, exec_lo, s23
.LBB39_309:
	s_mov_b32 s23, -1
.LBB39_310:
	s_mov_b32 s24, 0
.LBB39_311:
	s_delay_alu instid0(SALU_CYCLE_1)
	s_and_b32 vcc_lo, exec_lo, s24
	s_cbranch_vccz .LBB39_344
; %bb.312:
	s_cmp_gt_i32 s0, 22
	s_cbranch_scc0 .LBB39_320
; %bb.313:
	s_cmp_lt_i32 s0, 24
	s_cbranch_scc1 .LBB39_323
; %bb.314:
	s_cmp_gt_i32 s0, 24
	s_cbranch_scc0 .LBB39_324
; %bb.315:
	global_load_u8 v3, v[4:5], off
	s_mov_b32 s24, 0
	s_mov_b32 s23, exec_lo
	s_wait_loadcnt 0x0
	v_cmpx_lt_i16_e32 0x7f, v3
	s_xor_b32 s23, exec_lo, s23
	s_cbranch_execz .LBB39_336
; %bb.316:
	v_cmp_ne_u16_e32 vcc_lo, 0x80, v3
	s_and_b32 s24, vcc_lo, exec_lo
	s_and_not1_saveexec_b32 s23, s23
	s_cbranch_execnz .LBB39_337
.LBB39_317:
	s_or_b32 exec_lo, exec_lo, s23
	v_mov_b32_e32 v1, 0
	s_and_saveexec_b32 s23, s24
	s_cbranch_execz .LBB39_319
.LBB39_318:
	v_and_b32_e32 v1, 0xffff, v3
	s_delay_alu instid0(VALU_DEP_1) | instskip(SKIP_1) | instid1(VALU_DEP_2)
	v_and_b32_e32 v6, 3, v1
	v_bfe_u32 v9, v1, 2, 5
	v_clz_i32_u32_e32 v7, v6
	s_delay_alu instid0(VALU_DEP_2) | instskip(NEXT) | instid1(VALU_DEP_2)
	v_cmp_eq_u32_e32 vcc_lo, 0, v9
	v_min_u32_e32 v7, 32, v7
	s_delay_alu instid0(VALU_DEP_1) | instskip(NEXT) | instid1(VALU_DEP_1)
	v_subrev_nc_u32_e32 v8, 29, v7
	v_dual_lshlrev_b32 v1, v8, v1 :: v_dual_sub_nc_u32 v7, 30, v7
	s_delay_alu instid0(VALU_DEP_1) | instskip(NEXT) | instid1(VALU_DEP_1)
	v_dual_lshlrev_b32 v3, 24, v3 :: v_dual_bitop2_b32 v1, 3, v1 bitop3:0x40
	v_dual_cndmask_b32 v1, v6, v1, vcc_lo :: v_dual_cndmask_b32 v7, v9, v7, vcc_lo
	s_delay_alu instid0(VALU_DEP_2) | instskip(NEXT) | instid1(VALU_DEP_2)
	v_and_b32_e32 v3, 0x80000000, v3
	v_lshlrev_b32_e32 v1, 21, v1
	s_delay_alu instid0(VALU_DEP_3) | instskip(NEXT) | instid1(VALU_DEP_1)
	v_lshl_add_u32 v6, v7, 23, 0x37800000
	v_or3_b32 v1, v3, v6, v1
	s_delay_alu instid0(VALU_DEP_1)
	v_cvt_i32_f32_e32 v1, v1
.LBB39_319:
	s_or_b32 exec_lo, exec_lo, s23
	s_mov_b32 s23, 0
	s_branch .LBB39_325
.LBB39_320:
	s_mov_b32 s24, -1
                                        ; implicit-def: $vgpr1
	s_branch .LBB39_331
.LBB39_321:
	s_and_not1_saveexec_b32 s23, s23
	s_cbranch_execz .LBB39_306
.LBB39_322:
	v_cmp_ne_u16_e32 vcc_lo, 0, v3
	s_and_not1_b32 s24, s24, exec_lo
	s_and_b32 s25, vcc_lo, exec_lo
	s_delay_alu instid0(SALU_CYCLE_1)
	s_or_b32 s24, s24, s25
	s_or_b32 exec_lo, exec_lo, s23
	v_mov_b32_e32 v1, 0
	s_and_saveexec_b32 s23, s24
	s_cbranch_execnz .LBB39_307
	s_branch .LBB39_308
.LBB39_323:
	s_mov_b32 s23, -1
                                        ; implicit-def: $vgpr1
	s_branch .LBB39_328
.LBB39_324:
	s_mov_b32 s23, -1
                                        ; implicit-def: $vgpr1
.LBB39_325:
	s_delay_alu instid0(SALU_CYCLE_1)
	s_and_b32 vcc_lo, exec_lo, s23
	s_cbranch_vccz .LBB39_327
; %bb.326:
	s_wait_loadcnt 0x0
	global_load_u8 v1, v[4:5], off
	s_wait_loadcnt 0x0
	v_lshlrev_b32_e32 v1, 24, v1
	s_delay_alu instid0(VALU_DEP_1) | instskip(NEXT) | instid1(VALU_DEP_1)
	v_and_b32_e32 v3, 0x7f000000, v1
	v_clz_i32_u32_e32 v6, v3
	v_cmp_ne_u32_e32 vcc_lo, 0, v3
	v_add_nc_u32_e32 v8, 0x1000000, v3
	s_delay_alu instid0(VALU_DEP_3) | instskip(NEXT) | instid1(VALU_DEP_1)
	v_min_u32_e32 v6, 32, v6
	v_sub_nc_u32_e64 v6, v6, 4 clamp
	s_delay_alu instid0(VALU_DEP_1) | instskip(NEXT) | instid1(VALU_DEP_1)
	v_dual_lshlrev_b32 v7, v6, v3 :: v_dual_lshlrev_b32 v6, 23, v6
	v_lshrrev_b32_e32 v7, 4, v7
	s_delay_alu instid0(VALU_DEP_1) | instskip(NEXT) | instid1(VALU_DEP_1)
	v_dual_sub_nc_u32 v6, v7, v6 :: v_dual_ashrrev_i32 v7, 8, v8
	v_add_nc_u32_e32 v6, 0x3c000000, v6
	s_delay_alu instid0(VALU_DEP_1) | instskip(NEXT) | instid1(VALU_DEP_1)
	v_and_or_b32 v6, 0x7f800000, v7, v6
	v_cndmask_b32_e32 v3, 0, v6, vcc_lo
	s_delay_alu instid0(VALU_DEP_1) | instskip(NEXT) | instid1(VALU_DEP_1)
	v_and_or_b32 v1, 0x80000000, v1, v3
	v_cvt_i32_f32_e32 v1, v1
.LBB39_327:
	s_mov_b32 s23, 0
.LBB39_328:
	s_delay_alu instid0(SALU_CYCLE_1)
	s_and_not1_b32 vcc_lo, exec_lo, s23
	s_cbranch_vccnz .LBB39_330
; %bb.329:
	s_wait_loadcnt 0x0
	global_load_u8 v1, v[4:5], off
	s_wait_loadcnt 0x0
	v_lshlrev_b32_e32 v3, 25, v1
	v_lshlrev_b16 v1, 8, v1
	s_delay_alu instid0(VALU_DEP_1) | instskip(SKIP_1) | instid1(VALU_DEP_2)
	v_and_or_b32 v7, 0x7f00, v1, 0.5
	v_bfe_i32 v1, v1, 0, 16
	v_add_f32_e32 v7, -0.5, v7
	v_lshrrev_b32_e32 v6, 4, v3
	v_cmp_gt_u32_e32 vcc_lo, 0x8000000, v3
	s_delay_alu instid0(VALU_DEP_2) | instskip(NEXT) | instid1(VALU_DEP_1)
	v_or_b32_e32 v6, 0x70000000, v6
	v_mul_f32_e32 v6, 0x7800000, v6
	s_delay_alu instid0(VALU_DEP_1) | instskip(NEXT) | instid1(VALU_DEP_1)
	v_cndmask_b32_e32 v3, v6, v7, vcc_lo
	v_and_or_b32 v1, 0x80000000, v1, v3
	s_delay_alu instid0(VALU_DEP_1)
	v_cvt_i32_f32_e32 v1, v1
.LBB39_330:
	s_mov_b32 s24, 0
	s_mov_b32 s23, -1
.LBB39_331:
	s_and_not1_b32 vcc_lo, exec_lo, s24
	s_cbranch_vccnz .LBB39_344
; %bb.332:
	s_cmp_gt_i32 s0, 14
	s_cbranch_scc0 .LBB39_335
; %bb.333:
	s_cmp_eq_u32 s0, 15
	s_cbranch_scc0 .LBB39_338
; %bb.334:
	s_wait_loadcnt 0x0
	global_load_u16 v1, v[4:5], off
	s_mov_b32 s23, -1
	s_mov_b32 s22, 0
	s_wait_loadcnt 0x0
	v_lshlrev_b32_e32 v1, 16, v1
	s_delay_alu instid0(VALU_DEP_1)
	v_cvt_i32_f32_e32 v1, v1
	s_branch .LBB39_339
.LBB39_335:
	s_mov_b32 s24, -1
                                        ; implicit-def: $vgpr1
	s_branch .LBB39_340
.LBB39_336:
	s_and_not1_saveexec_b32 s23, s23
	s_cbranch_execz .LBB39_317
.LBB39_337:
	v_cmp_ne_u16_e32 vcc_lo, 0, v3
	s_and_not1_b32 s24, s24, exec_lo
	s_and_b32 s25, vcc_lo, exec_lo
	s_delay_alu instid0(SALU_CYCLE_1)
	s_or_b32 s24, s24, s25
	s_or_b32 exec_lo, exec_lo, s23
	v_mov_b32_e32 v1, 0
	s_and_saveexec_b32 s23, s24
	s_cbranch_execnz .LBB39_318
	s_branch .LBB39_319
.LBB39_338:
	s_mov_b32 s22, -1
                                        ; implicit-def: $vgpr1
.LBB39_339:
	s_mov_b32 s24, 0
.LBB39_340:
	s_delay_alu instid0(SALU_CYCLE_1)
	s_and_b32 vcc_lo, exec_lo, s24
	s_cbranch_vccz .LBB39_344
; %bb.341:
	s_cmp_eq_u32 s0, 11
	s_cbranch_scc0 .LBB39_343
; %bb.342:
	s_wait_loadcnt 0x0
	global_load_u8 v1, v[4:5], off
	s_mov_b32 s22, 0
	s_mov_b32 s23, -1
	s_wait_loadcnt 0x0
	v_cmp_ne_u16_e32 vcc_lo, 0, v1
	v_cndmask_b32_e64 v1, 0, 1, vcc_lo
	s_branch .LBB39_344
.LBB39_343:
	s_mov_b32 s22, -1
                                        ; implicit-def: $vgpr1
.LBB39_344:
	s_branch .LBB39_265
.LBB39_345:
	s_cmp_lt_i32 s0, 5
	s_cbranch_scc1 .LBB39_350
; %bb.346:
	s_cmp_lt_i32 s0, 8
	s_cbranch_scc1 .LBB39_351
; %bb.347:
	;; [unrolled: 3-line block ×3, first 2 shown]
	s_cmp_gt_i32 s0, 9
	s_cbranch_scc0 .LBB39_353
; %bb.349:
	global_load_b64 v[6:7], v[4:5], off
	s_mov_b32 s23, 0
	s_wait_loadcnt 0x0
	v_cvt_i32_f64_e32 v1, v[6:7]
	s_branch .LBB39_354
.LBB39_350:
	s_mov_b32 s23, -1
                                        ; implicit-def: $vgpr1
	s_branch .LBB39_372
.LBB39_351:
	s_mov_b32 s23, -1
                                        ; implicit-def: $vgpr1
	s_branch .LBB39_360
.LBB39_352:
	s_mov_b32 s23, -1
                                        ; implicit-def: $vgpr1
	s_branch .LBB39_357
.LBB39_353:
	s_mov_b32 s23, -1
                                        ; implicit-def: $vgpr1
.LBB39_354:
	s_delay_alu instid0(SALU_CYCLE_1)
	s_and_not1_b32 vcc_lo, exec_lo, s23
	s_cbranch_vccnz .LBB39_356
; %bb.355:
	s_wait_loadcnt 0x0
	global_load_b32 v1, v[4:5], off
	s_wait_loadcnt 0x0
	v_cvt_i32_f32_e32 v1, v1
.LBB39_356:
	s_mov_b32 s23, 0
.LBB39_357:
	s_delay_alu instid0(SALU_CYCLE_1)
	s_and_not1_b32 vcc_lo, exec_lo, s23
	s_cbranch_vccnz .LBB39_359
; %bb.358:
	s_wait_loadcnt 0x0
	global_load_b32 v1, v[4:5], off
	s_wait_loadcnt 0x0
	v_cvt_f32_f16_e32 v1, v1
	s_delay_alu instid0(VALU_DEP_1)
	v_cvt_i32_f32_e32 v1, v1
.LBB39_359:
	s_mov_b32 s23, 0
.LBB39_360:
	s_delay_alu instid0(SALU_CYCLE_1)
	s_and_not1_b32 vcc_lo, exec_lo, s23
	s_cbranch_vccnz .LBB39_371
; %bb.361:
	s_cmp_lt_i32 s0, 6
	s_cbranch_scc1 .LBB39_364
; %bb.362:
	s_cmp_gt_i32 s0, 6
	s_cbranch_scc0 .LBB39_365
; %bb.363:
	global_load_b64 v[6:7], v[4:5], off
	s_mov_b32 s23, 0
	s_wait_loadcnt 0x0
	v_cvt_i32_f64_e32 v1, v[6:7]
	s_branch .LBB39_366
.LBB39_364:
	s_mov_b32 s23, -1
                                        ; implicit-def: $vgpr1
	s_branch .LBB39_369
.LBB39_365:
	s_mov_b32 s23, -1
                                        ; implicit-def: $vgpr1
.LBB39_366:
	s_delay_alu instid0(SALU_CYCLE_1)
	s_and_not1_b32 vcc_lo, exec_lo, s23
	s_cbranch_vccnz .LBB39_368
; %bb.367:
	s_wait_loadcnt 0x0
	global_load_b32 v1, v[4:5], off
	s_wait_loadcnt 0x0
	v_cvt_i32_f32_e32 v1, v1
.LBB39_368:
	s_mov_b32 s23, 0
.LBB39_369:
	s_delay_alu instid0(SALU_CYCLE_1)
	s_and_not1_b32 vcc_lo, exec_lo, s23
	s_cbranch_vccnz .LBB39_371
; %bb.370:
	s_wait_loadcnt 0x0
	global_load_u16 v1, v[4:5], off
	s_wait_loadcnt 0x0
	v_cvt_f32_f16_e32 v1, v1
	s_delay_alu instid0(VALU_DEP_1)
	v_cvt_i32_f32_e32 v1, v1
.LBB39_371:
	s_mov_b32 s23, 0
.LBB39_372:
	s_delay_alu instid0(SALU_CYCLE_1)
	s_and_not1_b32 vcc_lo, exec_lo, s23
	s_cbranch_vccnz .LBB39_392
; %bb.373:
	s_cmp_lt_i32 s0, 2
	s_cbranch_scc1 .LBB39_377
; %bb.374:
	s_cmp_lt_i32 s0, 3
	s_cbranch_scc1 .LBB39_378
; %bb.375:
	s_cmp_gt_i32 s0, 3
	s_cbranch_scc0 .LBB39_379
; %bb.376:
	s_wait_loadcnt 0x0
	global_load_b32 v1, v[4:5], off
	s_mov_b32 s23, 0
	s_branch .LBB39_380
.LBB39_377:
	s_mov_b32 s23, -1
                                        ; implicit-def: $vgpr1
	s_branch .LBB39_386
.LBB39_378:
	s_mov_b32 s23, -1
                                        ; implicit-def: $vgpr1
	s_branch .LBB39_383
.LBB39_379:
	s_mov_b32 s23, -1
                                        ; implicit-def: $vgpr1
.LBB39_380:
	s_delay_alu instid0(SALU_CYCLE_1)
	s_and_not1_b32 vcc_lo, exec_lo, s23
	s_cbranch_vccnz .LBB39_382
; %bb.381:
	s_wait_loadcnt 0x0
	global_load_b32 v1, v[4:5], off
.LBB39_382:
	s_mov_b32 s23, 0
.LBB39_383:
	s_delay_alu instid0(SALU_CYCLE_1)
	s_and_not1_b32 vcc_lo, exec_lo, s23
	s_cbranch_vccnz .LBB39_385
; %bb.384:
	s_wait_loadcnt 0x0
	global_load_i16 v1, v[4:5], off
.LBB39_385:
	s_mov_b32 s23, 0
.LBB39_386:
	s_delay_alu instid0(SALU_CYCLE_1)
	s_and_not1_b32 vcc_lo, exec_lo, s23
	s_cbranch_vccnz .LBB39_392
; %bb.387:
	s_cmp_gt_i32 s0, 0
	s_mov_b32 s0, 0
	s_cbranch_scc0 .LBB39_389
; %bb.388:
	s_wait_loadcnt 0x0
	global_load_i8 v1, v[4:5], off
	s_branch .LBB39_390
.LBB39_389:
	s_mov_b32 s0, -1
                                        ; implicit-def: $vgpr1
.LBB39_390:
	s_delay_alu instid0(SALU_CYCLE_1)
	s_and_not1_b32 vcc_lo, exec_lo, s0
	s_cbranch_vccnz .LBB39_392
; %bb.391:
	s_wait_loadcnt 0x0
	global_load_u8 v1, v[4:5], off
.LBB39_392:
	s_branch .LBB39_266
.LBB39_393:
	s_mov_b32 s23, 0
	s_mov_b32 s25, s42
	;; [unrolled: 1-line block ×3, first 2 shown]
                                        ; implicit-def: $vgpr0
	s_branch .LBB39_478
.LBB39_394:
	s_mov_b32 s27, -1
	s_mov_b32 s26, 0
	s_mov_b32 s23, s42
.LBB39_395:
	s_and_b32 vcc_lo, exec_lo, s27
	s_cbranch_vccz .LBB39_398
; %bb.396:
	s_cmp_eq_u32 s25, 44
	s_mov_b32 s23, -1
	s_cbranch_scc0 .LBB39_398
; %bb.397:
	s_wait_xcnt 0x0
	v_mov_b32_e32 v1, 0
	s_mov_b32 s26, -1
	s_mov_b32 s23, 0
	global_store_b8 v[2:3], v1, off
.LBB39_398:
	s_mov_b32 s27, 0
.LBB39_399:
	s_delay_alu instid0(SALU_CYCLE_1)
	s_and_b32 vcc_lo, exec_lo, s27
	s_cbranch_vccz .LBB39_402
; %bb.400:
	s_cmp_eq_u32 s25, 29
	s_mov_b32 s23, -1
	s_cbranch_scc0 .LBB39_402
; %bb.401:
	v_mov_b64_e32 v[4:5], 0
	s_mov_b32 s26, -1
	s_mov_b32 s23, 0
	s_mov_b32 s27, 0
	global_store_b64 v[2:3], v[4:5], off
	s_branch .LBB39_403
.LBB39_402:
	s_mov_b32 s27, 0
.LBB39_403:
	s_delay_alu instid0(SALU_CYCLE_1)
	s_and_b32 vcc_lo, exec_lo, s27
	s_cbranch_vccz .LBB39_413
; %bb.404:
	s_cmp_lt_i32 s25, 27
	s_mov_b32 s26, -1
	s_cbranch_scc1 .LBB39_410
; %bb.405:
	s_cmp_gt_i32 s25, 27
	s_cbranch_scc0 .LBB39_407
; %bb.406:
	s_wait_xcnt 0x0
	v_mov_b32_e32 v1, 0
	s_mov_b32 s26, 0
	global_store_b32 v[2:3], v1, off
.LBB39_407:
	s_and_not1_b32 vcc_lo, exec_lo, s26
	s_cbranch_vccnz .LBB39_409
; %bb.408:
	s_wait_xcnt 0x0
	v_mov_b32_e32 v1, 0
	global_store_b16 v[2:3], v1, off
.LBB39_409:
	s_mov_b32 s26, 0
.LBB39_410:
	s_delay_alu instid0(SALU_CYCLE_1)
	s_and_not1_b32 vcc_lo, exec_lo, s26
	s_cbranch_vccnz .LBB39_412
; %bb.411:
	s_wait_xcnt 0x0
	v_mov_b32_e32 v1, 0
	global_store_b8 v[2:3], v1, off
.LBB39_412:
	s_mov_b32 s26, -1
.LBB39_413:
	s_mov_b32 s27, 0
.LBB39_414:
	s_delay_alu instid0(SALU_CYCLE_1)
	s_and_b32 vcc_lo, exec_lo, s27
	s_cbranch_vccz .LBB39_433
; %bb.415:
	s_cmp_gt_i32 s25, 22
	s_mov_b32 s27, -1
	s_cbranch_scc0 .LBB39_425
; %bb.416:
	s_cmp_lt_i32 s25, 24
	s_mov_b32 s26, -1
	s_cbranch_scc1 .LBB39_422
; %bb.417:
	s_cmp_gt_i32 s25, 24
	s_cbranch_scc0 .LBB39_419
; %bb.418:
	s_wait_xcnt 0x0
	v_mov_b32_e32 v1, 0
	s_mov_b32 s26, 0
	global_store_b8 v[2:3], v1, off
.LBB39_419:
	s_and_not1_b32 vcc_lo, exec_lo, s26
	s_cbranch_vccnz .LBB39_421
; %bb.420:
	s_wait_xcnt 0x0
	v_mov_b32_e32 v1, 0
	global_store_b8 v[2:3], v1, off
.LBB39_421:
	s_mov_b32 s26, 0
.LBB39_422:
	s_delay_alu instid0(SALU_CYCLE_1)
	s_and_not1_b32 vcc_lo, exec_lo, s26
	s_cbranch_vccnz .LBB39_424
; %bb.423:
	s_wait_xcnt 0x0
	v_mov_b32_e32 v1, 0
	global_store_b8 v[2:3], v1, off
.LBB39_424:
	s_mov_b32 s27, 0
	s_mov_b32 s26, -1
.LBB39_425:
	s_and_not1_b32 vcc_lo, exec_lo, s27
	s_cbranch_vccnz .LBB39_433
; %bb.426:
	s_cmp_gt_i32 s25, 14
	s_mov_b32 s27, -1
	s_cbranch_scc0 .LBB39_430
; %bb.427:
	s_cmp_eq_u32 s25, 15
	s_mov_b32 s23, -1
	s_cbranch_scc0 .LBB39_429
; %bb.428:
	s_wait_xcnt 0x0
	v_mov_b32_e32 v1, 0
	s_mov_b32 s26, -1
	s_mov_b32 s23, 0
	global_store_b16 v[2:3], v1, off
.LBB39_429:
	s_mov_b32 s27, 0
.LBB39_430:
	s_delay_alu instid0(SALU_CYCLE_1)
	s_and_b32 vcc_lo, exec_lo, s27
	s_cbranch_vccz .LBB39_433
; %bb.431:
	s_cmp_eq_u32 s25, 11
	s_mov_b32 s23, -1
	s_cbranch_scc0 .LBB39_433
; %bb.432:
	s_wait_xcnt 0x0
	v_mov_b32_e32 v1, 0
	s_mov_b32 s26, -1
	s_mov_b32 s23, 0
	global_store_b8 v[2:3], v1, off
.LBB39_433:
	s_mov_b32 s25, 0
.LBB39_434:
	s_delay_alu instid0(SALU_CYCLE_1)
	s_and_b32 vcc_lo, exec_lo, s25
	s_cbranch_vccz .LBB39_473
; %bb.435:
	s_and_b32 s24, 0xffff, s24
	s_mov_b32 s25, -1
	s_cmp_lt_i32 s24, 5
	s_cbranch_scc1 .LBB39_456
; %bb.436:
	s_cmp_lt_i32 s24, 8
	s_cbranch_scc1 .LBB39_446
; %bb.437:
	;; [unrolled: 3-line block ×3, first 2 shown]
	s_cmp_gt_i32 s24, 9
	s_cbranch_scc0 .LBB39_440
; %bb.439:
	s_wait_xcnt 0x0
	v_mov_b32_e32 v4, 0
	s_mov_b32 s25, 0
	s_delay_alu instid0(VALU_DEP_1)
	v_dual_mov_b32 v5, v4 :: v_dual_mov_b32 v6, v4
	v_mov_b32_e32 v7, v4
	global_store_b128 v[2:3], v[4:7], off
.LBB39_440:
	s_and_not1_b32 vcc_lo, exec_lo, s25
	s_cbranch_vccnz .LBB39_442
; %bb.441:
	s_wait_xcnt 0x0
	v_mov_b64_e32 v[4:5], 0
	global_store_b64 v[2:3], v[4:5], off
.LBB39_442:
	s_mov_b32 s25, 0
.LBB39_443:
	s_delay_alu instid0(SALU_CYCLE_1)
	s_and_not1_b32 vcc_lo, exec_lo, s25
	s_cbranch_vccnz .LBB39_445
; %bb.444:
	s_wait_xcnt 0x0
	v_mov_b32_e32 v1, 0
	global_store_b32 v[2:3], v1, off
.LBB39_445:
	s_mov_b32 s25, 0
.LBB39_446:
	s_delay_alu instid0(SALU_CYCLE_1)
	s_and_not1_b32 vcc_lo, exec_lo, s25
	s_cbranch_vccnz .LBB39_455
; %bb.447:
	s_cmp_lt_i32 s24, 6
	s_mov_b32 s25, -1
	s_cbranch_scc1 .LBB39_453
; %bb.448:
	s_cmp_gt_i32 s24, 6
	s_cbranch_scc0 .LBB39_450
; %bb.449:
	s_wait_xcnt 0x0
	v_mov_b64_e32 v[4:5], 0
	s_mov_b32 s25, 0
	global_store_b64 v[2:3], v[4:5], off
.LBB39_450:
	s_and_not1_b32 vcc_lo, exec_lo, s25
	s_cbranch_vccnz .LBB39_452
; %bb.451:
	s_wait_xcnt 0x0
	v_mov_b32_e32 v1, 0
	global_store_b32 v[2:3], v1, off
.LBB39_452:
	s_mov_b32 s25, 0
.LBB39_453:
	s_delay_alu instid0(SALU_CYCLE_1)
	s_and_not1_b32 vcc_lo, exec_lo, s25
	s_cbranch_vccnz .LBB39_455
; %bb.454:
	s_wait_xcnt 0x0
	v_mov_b32_e32 v1, 0
	global_store_b16 v[2:3], v1, off
.LBB39_455:
	s_mov_b32 s25, 0
.LBB39_456:
	s_delay_alu instid0(SALU_CYCLE_1)
	s_and_not1_b32 vcc_lo, exec_lo, s25
	s_cbranch_vccnz .LBB39_472
; %bb.457:
	s_cmp_lt_i32 s24, 2
	s_mov_b32 s25, -1
	s_cbranch_scc1 .LBB39_467
; %bb.458:
	s_cmp_lt_i32 s24, 3
	s_cbranch_scc1 .LBB39_464
; %bb.459:
	s_cmp_gt_i32 s24, 3
	s_cbranch_scc0 .LBB39_461
; %bb.460:
	s_wait_xcnt 0x0
	v_mov_b64_e32 v[4:5], 0
	s_mov_b32 s25, 0
	global_store_b64 v[2:3], v[4:5], off
.LBB39_461:
	s_and_not1_b32 vcc_lo, exec_lo, s25
	s_cbranch_vccnz .LBB39_463
; %bb.462:
	s_wait_xcnt 0x0
	v_mov_b32_e32 v1, 0
	global_store_b32 v[2:3], v1, off
.LBB39_463:
	s_mov_b32 s25, 0
.LBB39_464:
	s_delay_alu instid0(SALU_CYCLE_1)
	s_and_not1_b32 vcc_lo, exec_lo, s25
	s_cbranch_vccnz .LBB39_466
; %bb.465:
	s_wait_xcnt 0x0
	v_mov_b32_e32 v1, 0
	global_store_b16 v[2:3], v1, off
.LBB39_466:
	s_mov_b32 s25, 0
.LBB39_467:
	s_delay_alu instid0(SALU_CYCLE_1)
	s_and_not1_b32 vcc_lo, exec_lo, s25
	s_cbranch_vccnz .LBB39_472
; %bb.468:
	s_cmp_gt_i32 s24, 0
	s_mov_b32 s24, -1
	s_cbranch_scc0 .LBB39_470
; %bb.469:
	s_wait_xcnt 0x0
	v_mov_b32_e32 v1, 0
	s_mov_b32 s24, 0
	global_store_b8 v[2:3], v1, off
.LBB39_470:
	s_and_not1_b32 vcc_lo, exec_lo, s24
	s_cbranch_vccnz .LBB39_472
; %bb.471:
	s_wait_xcnt 0x0
	v_mov_b32_e32 v1, 0
	global_store_b8 v[2:3], v1, off
.LBB39_472:
	s_mov_b32 s26, -1
.LBB39_473:
	s_delay_alu instid0(SALU_CYCLE_1)
	s_and_not1_b32 vcc_lo, exec_lo, s26
	s_cbranch_vccnz .LBB39_475
; %bb.474:
	v_add_nc_u32_e32 v0, 0x80, v0
	s_mov_b32 s26, -1
	s_branch .LBB39_476
.LBB39_475:
	s_mov_b32 s26, 0
                                        ; implicit-def: $vgpr0
.LBB39_476:
	s_and_not1_b32 s24, s42, exec_lo
	s_and_b32 s23, s23, exec_lo
	s_delay_alu instid0(SALU_CYCLE_1)
	s_or_b32 s25, s24, s23
	s_xor_b32 s24, exec_lo, -1
	s_and_b32 s23, s26, exec_lo
.LBB39_477:
	s_wait_xcnt 0x0
	s_or_b32 exec_lo, exec_lo, s0
.LBB39_478:
	s_delay_alu instid0(SALU_CYCLE_1)
	s_and_not1_b32 s0, s42, exec_lo
	s_and_b32 s25, s25, exec_lo
	s_and_b32 s24, s24, exec_lo
	s_or_b32 s47, s0, s25
	s_and_not1_b32 s0, s43, exec_lo
	s_and_not1_b32 s25, s44, exec_lo
	s_and_b32 s22, s22, exec_lo
	s_or_b32 s48, s0, s24
	s_or_b32 s46, s25, s22
	s_or_not1_b32 s0, s23, exec_lo
.LBB39_479:
	s_wait_xcnt 0x0
	s_or_b32 exec_lo, exec_lo, s49
	s_mov_b32 s22, 0
	s_mov_b32 s23, 0
	;; [unrolled: 1-line block ×3, first 2 shown]
                                        ; implicit-def: $vgpr4_vgpr5
                                        ; implicit-def: $vgpr2
                                        ; implicit-def: $vgpr1
	s_and_saveexec_b32 s49, s0
	s_cbranch_execz .LBB39_816
; %bb.480:
	s_mov_b32 s25, -1
	s_mov_b32 s0, s46
	s_mov_b32 s27, s48
	;; [unrolled: 1-line block ×3, first 2 shown]
	s_mov_b32 s50, exec_lo
	v_cmpx_gt_i32_e64 s39, v0
	s_cbranch_execz .LBB39_721
; %bb.481:
	s_and_not1_b32 vcc_lo, exec_lo, s31
	s_cbranch_vccnz .LBB39_487
; %bb.482:
	s_and_not1_b32 vcc_lo, exec_lo, s41
	s_cbranch_vccnz .LBB39_488
; %bb.483:
	s_add_co_i32 s0, s40, 1
	s_cmp_eq_u32 s29, 2
	s_cbranch_scc1 .LBB39_489
; %bb.484:
	v_dual_mov_b32 v2, 0 :: v_dual_mov_b32 v4, 0
	s_wait_loadcnt 0x0
	v_mov_b32_e32 v1, v0
	s_and_b32 s22, s0, 28
	s_mov_b64 s[24:25], s[2:3]
	s_mov_b64 s[26:27], s[20:21]
.LBB39_485:                             ; =>This Inner Loop Header: Depth=1
	s_clause 0x1
	s_load_b256 s[52:59], s[24:25], 0x4
	s_load_b128 s[68:71], s[24:25], 0x24
	s_load_b256 s[60:67], s[26:27], 0x0
	s_add_co_i32 s23, s23, 4
	s_wait_xcnt 0x0
	s_add_nc_u64 s[24:25], s[24:25], 48
	s_cmp_eq_u32 s22, s23
	s_add_nc_u64 s[26:27], s[26:27], 32
	s_wait_kmcnt 0x0
	v_mul_hi_u32 v3, s53, v1
	s_delay_alu instid0(VALU_DEP_1) | instskip(NEXT) | instid1(VALU_DEP_1)
	v_add_nc_u32_e32 v3, v1, v3
	v_lshrrev_b32_e32 v3, s54, v3
	s_delay_alu instid0(VALU_DEP_1) | instskip(NEXT) | instid1(VALU_DEP_1)
	v_mul_hi_u32 v5, s56, v3
	v_add_nc_u32_e32 v5, v3, v5
	s_delay_alu instid0(VALU_DEP_1) | instskip(NEXT) | instid1(VALU_DEP_1)
	v_lshrrev_b32_e32 v5, s57, v5
	v_mul_hi_u32 v6, s59, v5
	s_delay_alu instid0(VALU_DEP_1) | instskip(SKIP_1) | instid1(VALU_DEP_1)
	v_add_nc_u32_e32 v6, v5, v6
	v_mul_lo_u32 v7, v3, s52
	v_sub_nc_u32_e32 v1, v1, v7
	v_mul_lo_u32 v7, v5, s55
	s_delay_alu instid0(VALU_DEP_4) | instskip(NEXT) | instid1(VALU_DEP_3)
	v_lshrrev_b32_e32 v6, s68, v6
	v_mad_u32 v4, v1, s61, v4
	v_mad_u32 v1, v1, s60, v2
	s_delay_alu instid0(VALU_DEP_4) | instskip(NEXT) | instid1(VALU_DEP_4)
	v_sub_nc_u32_e32 v2, v3, v7
	v_mul_hi_u32 v8, s70, v6
	v_mul_lo_u32 v3, v6, s58
	s_delay_alu instid0(VALU_DEP_3) | instskip(SKIP_1) | instid1(VALU_DEP_3)
	v_mad_u32 v4, v2, s63, v4
	v_mad_u32 v2, v2, s62, v1
	v_dual_add_nc_u32 v7, v6, v8 :: v_dual_sub_nc_u32 v3, v5, v3
	s_delay_alu instid0(VALU_DEP_1) | instskip(NEXT) | instid1(VALU_DEP_2)
	v_lshrrev_b32_e32 v1, s71, v7
	v_mad_u32 v4, v3, s65, v4
	s_delay_alu instid0(VALU_DEP_4) | instskip(NEXT) | instid1(VALU_DEP_3)
	v_mad_u32 v2, v3, s64, v2
	v_mul_lo_u32 v5, v1, s69
	s_delay_alu instid0(VALU_DEP_1) | instskip(NEXT) | instid1(VALU_DEP_1)
	v_sub_nc_u32_e32 v3, v6, v5
	v_mad_u32 v4, v3, s67, v4
	s_delay_alu instid0(VALU_DEP_4)
	v_mad_u32 v2, v3, s66, v2
	s_cbranch_scc0 .LBB39_485
; %bb.486:
	s_delay_alu instid0(VALU_DEP_2)
	v_mov_b32_e32 v3, v4
	s_branch .LBB39_490
.LBB39_487:
	s_mov_b32 s0, -1
                                        ; implicit-def: $vgpr4
                                        ; implicit-def: $vgpr2
	s_branch .LBB39_495
.LBB39_488:
	v_dual_mov_b32 v4, 0 :: v_dual_mov_b32 v2, 0
	s_branch .LBB39_494
.LBB39_489:
	v_mov_b64_e32 v[2:3], 0
	s_wait_loadcnt 0x0
	v_mov_b32_e32 v1, v0
                                        ; implicit-def: $vgpr4
.LBB39_490:
	s_and_b32 s0, s0, 3
	s_mov_b32 s23, 0
	s_cmp_eq_u32 s0, 0
	s_cbranch_scc1 .LBB39_494
; %bb.491:
	s_lshl_b32 s24, s22, 3
	s_mov_b32 s25, s23
	s_mul_u64 s[26:27], s[22:23], 12
	s_add_nc_u64 s[24:25], s[2:3], s[24:25]
	s_delay_alu instid0(SALU_CYCLE_1)
	s_add_nc_u64 s[22:23], s[24:25], 0xc4
	s_add_nc_u64 s[24:25], s[2:3], s[26:27]
.LBB39_492:                             ; =>This Inner Loop Header: Depth=1
	s_load_b96 s[52:54], s[24:25], 0x4
	s_load_b64 s[26:27], s[22:23], 0x0
	s_add_co_i32 s0, s0, -1
	s_wait_xcnt 0x0
	s_add_nc_u64 s[24:25], s[24:25], 12
	s_cmp_lg_u32 s0, 0
	s_add_nc_u64 s[22:23], s[22:23], 8
	s_wait_kmcnt 0x0
	v_mul_hi_u32 v4, s53, v1
	s_delay_alu instid0(VALU_DEP_1) | instskip(NEXT) | instid1(VALU_DEP_1)
	v_add_nc_u32_e32 v4, v1, v4
	v_lshrrev_b32_e32 v4, s54, v4
	s_delay_alu instid0(VALU_DEP_1) | instskip(NEXT) | instid1(VALU_DEP_1)
	v_mul_lo_u32 v5, v4, s52
	v_sub_nc_u32_e32 v1, v1, v5
	s_delay_alu instid0(VALU_DEP_1)
	v_mad_u32 v3, v1, s27, v3
	v_mad_u32 v2, v1, s26, v2
	v_mov_b32_e32 v1, v4
	s_cbranch_scc1 .LBB39_492
; %bb.493:
	s_delay_alu instid0(VALU_DEP_3)
	v_mov_b32_e32 v4, v3
.LBB39_494:
	s_mov_b32 s0, 0
.LBB39_495:
	s_delay_alu instid0(SALU_CYCLE_1)
	s_and_not1_b32 vcc_lo, exec_lo, s0
	s_cbranch_vccnz .LBB39_498
; %bb.496:
	s_wait_loadcnt 0x0
	v_mov_b32_e32 v1, 0
	s_and_not1_b32 vcc_lo, exec_lo, s38
	s_delay_alu instid0(VALU_DEP_1) | instskip(NEXT) | instid1(VALU_DEP_1)
	v_mul_u64_e32 v[2:3], s[16:17], v[0:1]
	v_add_nc_u32_e32 v2, v0, v3
	s_delay_alu instid0(VALU_DEP_1) | instskip(NEXT) | instid1(VALU_DEP_1)
	v_lshrrev_b32_e32 v6, s10, v2
	v_mul_lo_u32 v2, v6, s8
	s_delay_alu instid0(VALU_DEP_1) | instskip(NEXT) | instid1(VALU_DEP_1)
	v_sub_nc_u32_e32 v2, v0, v2
	v_mul_lo_u32 v4, v2, s13
	v_mul_lo_u32 v2, v2, s12
	s_cbranch_vccnz .LBB39_498
; %bb.497:
	v_mov_b32_e32 v7, v1
	s_delay_alu instid0(VALU_DEP_1) | instskip(NEXT) | instid1(VALU_DEP_1)
	v_mul_u64_e32 v[8:9], s[18:19], v[6:7]
	v_add_nc_u32_e32 v1, v6, v9
	s_delay_alu instid0(VALU_DEP_1) | instskip(NEXT) | instid1(VALU_DEP_1)
	v_lshrrev_b32_e32 v1, s1, v1
	v_mul_lo_u32 v1, v1, s11
	s_delay_alu instid0(VALU_DEP_1) | instskip(NEXT) | instid1(VALU_DEP_1)
	v_sub_nc_u32_e32 v1, v6, v1
	v_mad_u32 v2, v1, s14, v2
	v_mad_u32 v4, v1, s15, v4
.LBB39_498:
	v_mov_b32_e32 v5, 0
	s_and_b32 s0, 0xffff, s37
	s_delay_alu instid0(SALU_CYCLE_1) | instskip(NEXT) | instid1(VALU_DEP_1)
	s_cmp_lt_i32 s0, 11
	v_add_nc_u64_e32 v[4:5], s[6:7], v[4:5]
	s_cbranch_scc1 .LBB39_505
; %bb.499:
	s_cmp_gt_i32 s0, 25
	s_cbranch_scc0 .LBB39_506
; %bb.500:
	s_cmp_gt_i32 s0, 28
	s_cbranch_scc0 .LBB39_507
	;; [unrolled: 3-line block ×4, first 2 shown]
; %bb.503:
	s_cmp_eq_u32 s0, 46
	s_mov_b32 s24, 0
	s_cbranch_scc0 .LBB39_510
; %bb.504:
	s_wait_loadcnt 0x0
	global_load_b32 v1, v[4:5], off
	s_mov_b32 s23, -1
	s_mov_b32 s22, 0
	s_wait_loadcnt 0x0
	v_lshlrev_b32_e32 v1, 16, v1
	s_delay_alu instid0(VALU_DEP_1)
	v_cvt_i32_f32_e32 v1, v1
	s_branch .LBB39_512
.LBB39_505:
	s_mov_b32 s24, -1
	s_mov_b32 s23, 0
	s_mov_b32 s22, s46
                                        ; implicit-def: $vgpr1
	s_branch .LBB39_573
.LBB39_506:
	s_mov_b32 s24, -1
	s_mov_b32 s23, 0
	s_mov_b32 s22, s46
                                        ; implicit-def: $vgpr1
	s_branch .LBB39_539
.LBB39_507:
	s_mov_b32 s24, -1
	s_mov_b32 s23, 0
	s_mov_b32 s22, s46
                                        ; implicit-def: $vgpr1
	s_branch .LBB39_522
.LBB39_508:
	s_mov_b32 s24, -1
	s_mov_b32 s23, 0
	s_mov_b32 s22, s46
                                        ; implicit-def: $vgpr1
	s_branch .LBB39_517
.LBB39_509:
	s_mov_b32 s24, -1
	s_mov_b32 s23, 0
	s_mov_b32 s22, s46
	s_branch .LBB39_511
.LBB39_510:
	s_mov_b32 s22, -1
	s_mov_b32 s23, 0
.LBB39_511:
                                        ; implicit-def: $vgpr1
.LBB39_512:
	s_and_b32 vcc_lo, exec_lo, s24
	s_cbranch_vccz .LBB39_516
; %bb.513:
	s_cmp_eq_u32 s0, 44
	s_cbranch_scc0 .LBB39_515
; %bb.514:
	s_wait_loadcnt 0x0
	global_load_u8 v1, v[4:5], off
	s_mov_b32 s22, 0
	s_mov_b32 s23, -1
	s_wait_loadcnt 0x0
	v_lshlrev_b32_e32 v3, 23, v1
	v_cmp_ne_u32_e32 vcc_lo, 0, v1
	s_delay_alu instid0(VALU_DEP_2) | instskip(NEXT) | instid1(VALU_DEP_1)
	v_cvt_i32_f32_e32 v3, v3
	v_cndmask_b32_e32 v1, 0, v3, vcc_lo
	s_branch .LBB39_516
.LBB39_515:
	s_mov_b32 s22, -1
                                        ; implicit-def: $vgpr1
.LBB39_516:
	s_mov_b32 s24, 0
.LBB39_517:
	s_delay_alu instid0(SALU_CYCLE_1)
	s_and_b32 vcc_lo, exec_lo, s24
	s_cbranch_vccz .LBB39_521
; %bb.518:
	s_cmp_eq_u32 s0, 29
	s_cbranch_scc0 .LBB39_520
; %bb.519:
	s_wait_loadcnt 0x0
	global_load_b32 v1, v[4:5], off
	s_mov_b32 s23, -1
	s_mov_b32 s22, 0
	s_branch .LBB39_521
.LBB39_520:
	s_mov_b32 s22, -1
                                        ; implicit-def: $vgpr1
.LBB39_521:
	s_mov_b32 s24, 0
.LBB39_522:
	s_delay_alu instid0(SALU_CYCLE_1)
	s_and_b32 vcc_lo, exec_lo, s24
	s_cbranch_vccz .LBB39_538
; %bb.523:
	s_cmp_lt_i32 s0, 27
	s_cbranch_scc1 .LBB39_526
; %bb.524:
	s_cmp_gt_i32 s0, 27
	s_cbranch_scc0 .LBB39_527
; %bb.525:
	s_wait_loadcnt 0x0
	global_load_b32 v1, v[4:5], off
	s_mov_b32 s23, 0
	s_branch .LBB39_528
.LBB39_526:
	s_mov_b32 s23, -1
                                        ; implicit-def: $vgpr1
	s_branch .LBB39_531
.LBB39_527:
	s_mov_b32 s23, -1
                                        ; implicit-def: $vgpr1
.LBB39_528:
	s_delay_alu instid0(SALU_CYCLE_1)
	s_and_not1_b32 vcc_lo, exec_lo, s23
	s_cbranch_vccnz .LBB39_530
; %bb.529:
	s_wait_loadcnt 0x0
	global_load_u16 v1, v[4:5], off
.LBB39_530:
	s_mov_b32 s23, 0
.LBB39_531:
	s_delay_alu instid0(SALU_CYCLE_1)
	s_and_not1_b32 vcc_lo, exec_lo, s23
	s_cbranch_vccnz .LBB39_537
; %bb.532:
	global_load_u8 v3, v[4:5], off
	s_mov_b32 s24, 0
	s_mov_b32 s23, exec_lo
	s_wait_loadcnt 0x0
	v_cmpx_lt_i16_e32 0x7f, v3
	s_xor_b32 s23, exec_lo, s23
	s_cbranch_execz .LBB39_549
; %bb.533:
	v_cmp_ne_u16_e32 vcc_lo, 0x80, v3
	s_and_b32 s24, vcc_lo, exec_lo
	s_and_not1_saveexec_b32 s23, s23
	s_cbranch_execnz .LBB39_550
.LBB39_534:
	s_or_b32 exec_lo, exec_lo, s23
	v_mov_b32_e32 v1, 0
	s_and_saveexec_b32 s23, s24
	s_cbranch_execz .LBB39_536
.LBB39_535:
	v_and_b32_e32 v1, 0xffff, v3
	s_delay_alu instid0(VALU_DEP_1) | instskip(SKIP_1) | instid1(VALU_DEP_2)
	v_and_b32_e32 v6, 7, v1
	v_bfe_u32 v9, v1, 3, 4
	v_clz_i32_u32_e32 v7, v6
	s_delay_alu instid0(VALU_DEP_2) | instskip(NEXT) | instid1(VALU_DEP_2)
	v_cmp_eq_u32_e32 vcc_lo, 0, v9
	v_min_u32_e32 v7, 32, v7
	s_delay_alu instid0(VALU_DEP_1) | instskip(NEXT) | instid1(VALU_DEP_1)
	v_subrev_nc_u32_e32 v8, 28, v7
	v_dual_lshlrev_b32 v1, v8, v1 :: v_dual_sub_nc_u32 v7, 29, v7
	s_delay_alu instid0(VALU_DEP_1) | instskip(NEXT) | instid1(VALU_DEP_1)
	v_dual_lshlrev_b32 v3, 24, v3 :: v_dual_bitop2_b32 v1, 7, v1 bitop3:0x40
	v_dual_cndmask_b32 v1, v6, v1, vcc_lo :: v_dual_cndmask_b32 v7, v9, v7, vcc_lo
	s_delay_alu instid0(VALU_DEP_2) | instskip(NEXT) | instid1(VALU_DEP_2)
	v_and_b32_e32 v3, 0x80000000, v3
	v_lshlrev_b32_e32 v1, 20, v1
	s_delay_alu instid0(VALU_DEP_3) | instskip(NEXT) | instid1(VALU_DEP_1)
	v_lshl_add_u32 v6, v7, 23, 0x3b800000
	v_or3_b32 v1, v3, v6, v1
	s_delay_alu instid0(VALU_DEP_1)
	v_cvt_i32_f32_e32 v1, v1
.LBB39_536:
	s_or_b32 exec_lo, exec_lo, s23
.LBB39_537:
	s_mov_b32 s23, -1
.LBB39_538:
	s_mov_b32 s24, 0
.LBB39_539:
	s_delay_alu instid0(SALU_CYCLE_1)
	s_and_b32 vcc_lo, exec_lo, s24
	s_cbranch_vccz .LBB39_572
; %bb.540:
	s_cmp_gt_i32 s0, 22
	s_cbranch_scc0 .LBB39_548
; %bb.541:
	s_cmp_lt_i32 s0, 24
	s_cbranch_scc1 .LBB39_551
; %bb.542:
	s_cmp_gt_i32 s0, 24
	s_cbranch_scc0 .LBB39_552
; %bb.543:
	global_load_u8 v3, v[4:5], off
	s_mov_b32 s24, 0
	s_mov_b32 s23, exec_lo
	s_wait_loadcnt 0x0
	v_cmpx_lt_i16_e32 0x7f, v3
	s_xor_b32 s23, exec_lo, s23
	s_cbranch_execz .LBB39_564
; %bb.544:
	v_cmp_ne_u16_e32 vcc_lo, 0x80, v3
	s_and_b32 s24, vcc_lo, exec_lo
	s_and_not1_saveexec_b32 s23, s23
	s_cbranch_execnz .LBB39_565
.LBB39_545:
	s_or_b32 exec_lo, exec_lo, s23
	v_mov_b32_e32 v1, 0
	s_and_saveexec_b32 s23, s24
	s_cbranch_execz .LBB39_547
.LBB39_546:
	v_and_b32_e32 v1, 0xffff, v3
	s_delay_alu instid0(VALU_DEP_1) | instskip(SKIP_1) | instid1(VALU_DEP_2)
	v_and_b32_e32 v6, 3, v1
	v_bfe_u32 v9, v1, 2, 5
	v_clz_i32_u32_e32 v7, v6
	s_delay_alu instid0(VALU_DEP_2) | instskip(NEXT) | instid1(VALU_DEP_2)
	v_cmp_eq_u32_e32 vcc_lo, 0, v9
	v_min_u32_e32 v7, 32, v7
	s_delay_alu instid0(VALU_DEP_1) | instskip(NEXT) | instid1(VALU_DEP_1)
	v_subrev_nc_u32_e32 v8, 29, v7
	v_dual_lshlrev_b32 v1, v8, v1 :: v_dual_sub_nc_u32 v7, 30, v7
	s_delay_alu instid0(VALU_DEP_1) | instskip(NEXT) | instid1(VALU_DEP_1)
	v_dual_lshlrev_b32 v3, 24, v3 :: v_dual_bitop2_b32 v1, 3, v1 bitop3:0x40
	v_dual_cndmask_b32 v1, v6, v1, vcc_lo :: v_dual_cndmask_b32 v7, v9, v7, vcc_lo
	s_delay_alu instid0(VALU_DEP_2) | instskip(NEXT) | instid1(VALU_DEP_2)
	v_and_b32_e32 v3, 0x80000000, v3
	v_lshlrev_b32_e32 v1, 21, v1
	s_delay_alu instid0(VALU_DEP_3) | instskip(NEXT) | instid1(VALU_DEP_1)
	v_lshl_add_u32 v6, v7, 23, 0x37800000
	v_or3_b32 v1, v3, v6, v1
	s_delay_alu instid0(VALU_DEP_1)
	v_cvt_i32_f32_e32 v1, v1
.LBB39_547:
	s_or_b32 exec_lo, exec_lo, s23
	s_mov_b32 s23, 0
	s_branch .LBB39_553
.LBB39_548:
	s_mov_b32 s24, -1
                                        ; implicit-def: $vgpr1
	s_branch .LBB39_559
.LBB39_549:
	s_and_not1_saveexec_b32 s23, s23
	s_cbranch_execz .LBB39_534
.LBB39_550:
	v_cmp_ne_u16_e32 vcc_lo, 0, v3
	s_and_not1_b32 s24, s24, exec_lo
	s_and_b32 s25, vcc_lo, exec_lo
	s_delay_alu instid0(SALU_CYCLE_1)
	s_or_b32 s24, s24, s25
	s_or_b32 exec_lo, exec_lo, s23
	v_mov_b32_e32 v1, 0
	s_and_saveexec_b32 s23, s24
	s_cbranch_execnz .LBB39_535
	s_branch .LBB39_536
.LBB39_551:
	s_mov_b32 s23, -1
                                        ; implicit-def: $vgpr1
	s_branch .LBB39_556
.LBB39_552:
	s_mov_b32 s23, -1
                                        ; implicit-def: $vgpr1
.LBB39_553:
	s_delay_alu instid0(SALU_CYCLE_1)
	s_and_b32 vcc_lo, exec_lo, s23
	s_cbranch_vccz .LBB39_555
; %bb.554:
	s_wait_loadcnt 0x0
	global_load_u8 v1, v[4:5], off
	s_wait_loadcnt 0x0
	v_lshlrev_b32_e32 v1, 24, v1
	s_delay_alu instid0(VALU_DEP_1) | instskip(NEXT) | instid1(VALU_DEP_1)
	v_and_b32_e32 v3, 0x7f000000, v1
	v_clz_i32_u32_e32 v6, v3
	v_cmp_ne_u32_e32 vcc_lo, 0, v3
	v_add_nc_u32_e32 v8, 0x1000000, v3
	s_delay_alu instid0(VALU_DEP_3) | instskip(NEXT) | instid1(VALU_DEP_1)
	v_min_u32_e32 v6, 32, v6
	v_sub_nc_u32_e64 v6, v6, 4 clamp
	s_delay_alu instid0(VALU_DEP_1) | instskip(NEXT) | instid1(VALU_DEP_1)
	v_dual_lshlrev_b32 v7, v6, v3 :: v_dual_lshlrev_b32 v6, 23, v6
	v_lshrrev_b32_e32 v7, 4, v7
	s_delay_alu instid0(VALU_DEP_1) | instskip(NEXT) | instid1(VALU_DEP_1)
	v_dual_sub_nc_u32 v6, v7, v6 :: v_dual_ashrrev_i32 v7, 8, v8
	v_add_nc_u32_e32 v6, 0x3c000000, v6
	s_delay_alu instid0(VALU_DEP_1) | instskip(NEXT) | instid1(VALU_DEP_1)
	v_and_or_b32 v6, 0x7f800000, v7, v6
	v_cndmask_b32_e32 v3, 0, v6, vcc_lo
	s_delay_alu instid0(VALU_DEP_1) | instskip(NEXT) | instid1(VALU_DEP_1)
	v_and_or_b32 v1, 0x80000000, v1, v3
	v_cvt_i32_f32_e32 v1, v1
.LBB39_555:
	s_mov_b32 s23, 0
.LBB39_556:
	s_delay_alu instid0(SALU_CYCLE_1)
	s_and_not1_b32 vcc_lo, exec_lo, s23
	s_cbranch_vccnz .LBB39_558
; %bb.557:
	s_wait_loadcnt 0x0
	global_load_u8 v1, v[4:5], off
	s_wait_loadcnt 0x0
	v_lshlrev_b32_e32 v3, 25, v1
	v_lshlrev_b16 v1, 8, v1
	s_delay_alu instid0(VALU_DEP_1) | instskip(SKIP_1) | instid1(VALU_DEP_2)
	v_and_or_b32 v7, 0x7f00, v1, 0.5
	v_bfe_i32 v1, v1, 0, 16
	v_add_f32_e32 v7, -0.5, v7
	v_lshrrev_b32_e32 v6, 4, v3
	v_cmp_gt_u32_e32 vcc_lo, 0x8000000, v3
	s_delay_alu instid0(VALU_DEP_2) | instskip(NEXT) | instid1(VALU_DEP_1)
	v_or_b32_e32 v6, 0x70000000, v6
	v_mul_f32_e32 v6, 0x7800000, v6
	s_delay_alu instid0(VALU_DEP_1) | instskip(NEXT) | instid1(VALU_DEP_1)
	v_cndmask_b32_e32 v3, v6, v7, vcc_lo
	v_and_or_b32 v1, 0x80000000, v1, v3
	s_delay_alu instid0(VALU_DEP_1)
	v_cvt_i32_f32_e32 v1, v1
.LBB39_558:
	s_mov_b32 s24, 0
	s_mov_b32 s23, -1
.LBB39_559:
	s_and_not1_b32 vcc_lo, exec_lo, s24
	s_cbranch_vccnz .LBB39_572
; %bb.560:
	s_cmp_gt_i32 s0, 14
	s_cbranch_scc0 .LBB39_563
; %bb.561:
	s_cmp_eq_u32 s0, 15
	s_cbranch_scc0 .LBB39_566
; %bb.562:
	s_wait_loadcnt 0x0
	global_load_u16 v1, v[4:5], off
	s_mov_b32 s23, -1
	s_mov_b32 s22, 0
	s_wait_loadcnt 0x0
	v_lshlrev_b32_e32 v1, 16, v1
	s_delay_alu instid0(VALU_DEP_1)
	v_cvt_i32_f32_e32 v1, v1
	s_branch .LBB39_567
.LBB39_563:
	s_mov_b32 s24, -1
                                        ; implicit-def: $vgpr1
	s_branch .LBB39_568
.LBB39_564:
	s_and_not1_saveexec_b32 s23, s23
	s_cbranch_execz .LBB39_545
.LBB39_565:
	v_cmp_ne_u16_e32 vcc_lo, 0, v3
	s_and_not1_b32 s24, s24, exec_lo
	s_and_b32 s25, vcc_lo, exec_lo
	s_delay_alu instid0(SALU_CYCLE_1)
	s_or_b32 s24, s24, s25
	s_or_b32 exec_lo, exec_lo, s23
	v_mov_b32_e32 v1, 0
	s_and_saveexec_b32 s23, s24
	s_cbranch_execnz .LBB39_546
	s_branch .LBB39_547
.LBB39_566:
	s_mov_b32 s22, -1
                                        ; implicit-def: $vgpr1
.LBB39_567:
	s_mov_b32 s24, 0
.LBB39_568:
	s_delay_alu instid0(SALU_CYCLE_1)
	s_and_b32 vcc_lo, exec_lo, s24
	s_cbranch_vccz .LBB39_572
; %bb.569:
	s_cmp_eq_u32 s0, 11
	s_cbranch_scc0 .LBB39_571
; %bb.570:
	s_wait_loadcnt 0x0
	global_load_u8 v1, v[4:5], off
	s_mov_b32 s22, 0
	s_mov_b32 s23, -1
	s_wait_loadcnt 0x0
	v_cmp_ne_u16_e32 vcc_lo, 0, v1
	v_cndmask_b32_e64 v1, 0, 1, vcc_lo
	s_branch .LBB39_572
.LBB39_571:
	s_mov_b32 s22, -1
                                        ; implicit-def: $vgpr1
.LBB39_572:
	s_mov_b32 s24, 0
.LBB39_573:
	s_delay_alu instid0(SALU_CYCLE_1)
	s_and_b32 vcc_lo, exec_lo, s24
	s_cbranch_vccz .LBB39_622
; %bb.574:
	s_cmp_lt_i32 s0, 5
	s_cbranch_scc1 .LBB39_579
; %bb.575:
	s_cmp_lt_i32 s0, 8
	s_cbranch_scc1 .LBB39_580
	;; [unrolled: 3-line block ×3, first 2 shown]
; %bb.577:
	s_cmp_gt_i32 s0, 9
	s_cbranch_scc0 .LBB39_582
; %bb.578:
	global_load_b64 v[6:7], v[4:5], off
	s_mov_b32 s23, 0
	s_wait_loadcnt 0x0
	v_cvt_i32_f64_e32 v1, v[6:7]
	s_branch .LBB39_583
.LBB39_579:
	s_mov_b32 s23, -1
                                        ; implicit-def: $vgpr1
	s_branch .LBB39_601
.LBB39_580:
	s_mov_b32 s23, -1
                                        ; implicit-def: $vgpr1
	s_branch .LBB39_589
.LBB39_581:
	s_mov_b32 s23, -1
                                        ; implicit-def: $vgpr1
	s_branch .LBB39_586
.LBB39_582:
	s_mov_b32 s23, -1
                                        ; implicit-def: $vgpr1
.LBB39_583:
	s_delay_alu instid0(SALU_CYCLE_1)
	s_and_not1_b32 vcc_lo, exec_lo, s23
	s_cbranch_vccnz .LBB39_585
; %bb.584:
	s_wait_loadcnt 0x0
	global_load_b32 v1, v[4:5], off
	s_wait_loadcnt 0x0
	v_cvt_i32_f32_e32 v1, v1
.LBB39_585:
	s_mov_b32 s23, 0
.LBB39_586:
	s_delay_alu instid0(SALU_CYCLE_1)
	s_and_not1_b32 vcc_lo, exec_lo, s23
	s_cbranch_vccnz .LBB39_588
; %bb.587:
	s_wait_loadcnt 0x0
	global_load_b32 v1, v[4:5], off
	s_wait_loadcnt 0x0
	v_cvt_f32_f16_e32 v1, v1
	s_delay_alu instid0(VALU_DEP_1)
	v_cvt_i32_f32_e32 v1, v1
.LBB39_588:
	s_mov_b32 s23, 0
.LBB39_589:
	s_delay_alu instid0(SALU_CYCLE_1)
	s_and_not1_b32 vcc_lo, exec_lo, s23
	s_cbranch_vccnz .LBB39_600
; %bb.590:
	s_cmp_lt_i32 s0, 6
	s_cbranch_scc1 .LBB39_593
; %bb.591:
	s_cmp_gt_i32 s0, 6
	s_cbranch_scc0 .LBB39_594
; %bb.592:
	global_load_b64 v[6:7], v[4:5], off
	s_mov_b32 s23, 0
	s_wait_loadcnt 0x0
	v_cvt_i32_f64_e32 v1, v[6:7]
	s_branch .LBB39_595
.LBB39_593:
	s_mov_b32 s23, -1
                                        ; implicit-def: $vgpr1
	s_branch .LBB39_598
.LBB39_594:
	s_mov_b32 s23, -1
                                        ; implicit-def: $vgpr1
.LBB39_595:
	s_delay_alu instid0(SALU_CYCLE_1)
	s_and_not1_b32 vcc_lo, exec_lo, s23
	s_cbranch_vccnz .LBB39_597
; %bb.596:
	s_wait_loadcnt 0x0
	global_load_b32 v1, v[4:5], off
	s_wait_loadcnt 0x0
	v_cvt_i32_f32_e32 v1, v1
.LBB39_597:
	s_mov_b32 s23, 0
.LBB39_598:
	s_delay_alu instid0(SALU_CYCLE_1)
	s_and_not1_b32 vcc_lo, exec_lo, s23
	s_cbranch_vccnz .LBB39_600
; %bb.599:
	s_wait_loadcnt 0x0
	global_load_u16 v1, v[4:5], off
	s_wait_loadcnt 0x0
	v_cvt_f32_f16_e32 v1, v1
	s_delay_alu instid0(VALU_DEP_1)
	v_cvt_i32_f32_e32 v1, v1
.LBB39_600:
	s_mov_b32 s23, 0
.LBB39_601:
	s_delay_alu instid0(SALU_CYCLE_1)
	s_and_not1_b32 vcc_lo, exec_lo, s23
	s_cbranch_vccnz .LBB39_621
; %bb.602:
	s_cmp_lt_i32 s0, 2
	s_cbranch_scc1 .LBB39_606
; %bb.603:
	s_cmp_lt_i32 s0, 3
	s_cbranch_scc1 .LBB39_607
; %bb.604:
	s_cmp_gt_i32 s0, 3
	s_cbranch_scc0 .LBB39_608
; %bb.605:
	s_wait_loadcnt 0x0
	global_load_b32 v1, v[4:5], off
	s_mov_b32 s23, 0
	s_branch .LBB39_609
.LBB39_606:
	s_mov_b32 s23, -1
                                        ; implicit-def: $vgpr1
	s_branch .LBB39_615
.LBB39_607:
	s_mov_b32 s23, -1
                                        ; implicit-def: $vgpr1
	s_branch .LBB39_612
.LBB39_608:
	s_mov_b32 s23, -1
                                        ; implicit-def: $vgpr1
.LBB39_609:
	s_delay_alu instid0(SALU_CYCLE_1)
	s_and_not1_b32 vcc_lo, exec_lo, s23
	s_cbranch_vccnz .LBB39_611
; %bb.610:
	s_wait_loadcnt 0x0
	global_load_b32 v1, v[4:5], off
.LBB39_611:
	s_mov_b32 s23, 0
.LBB39_612:
	s_delay_alu instid0(SALU_CYCLE_1)
	s_and_not1_b32 vcc_lo, exec_lo, s23
	s_cbranch_vccnz .LBB39_614
; %bb.613:
	s_wait_loadcnt 0x0
	global_load_i16 v1, v[4:5], off
.LBB39_614:
	s_mov_b32 s23, 0
.LBB39_615:
	s_delay_alu instid0(SALU_CYCLE_1)
	s_and_not1_b32 vcc_lo, exec_lo, s23
	s_cbranch_vccnz .LBB39_621
; %bb.616:
	s_cmp_gt_i32 s0, 0
	s_mov_b32 s0, 0
	s_cbranch_scc0 .LBB39_618
; %bb.617:
	s_wait_loadcnt 0x0
	global_load_i8 v1, v[4:5], off
	s_branch .LBB39_619
.LBB39_618:
	s_mov_b32 s0, -1
                                        ; implicit-def: $vgpr1
.LBB39_619:
	s_delay_alu instid0(SALU_CYCLE_1)
	s_and_not1_b32 vcc_lo, exec_lo, s0
	s_cbranch_vccnz .LBB39_621
; %bb.620:
	s_wait_loadcnt 0x0
	global_load_u8 v1, v[4:5], off
.LBB39_621:
	s_mov_b32 s23, -1
.LBB39_622:
	s_delay_alu instid0(SALU_CYCLE_1)
	s_and_not1_b32 vcc_lo, exec_lo, s23
	s_cbranch_vccnz .LBB39_631
; %bb.623:
	s_wait_loadcnt 0x0
	s_delay_alu instid0(VALU_DEP_1)
	v_cmp_le_i32_e32 vcc_lo, s35, v1
	v_cmp_gt_i32_e64 s0, s36, v1
	s_mov_b32 s23, 0
	s_mov_b32 s24, -1
	s_mov_b32 s25, s47
	s_and_b32 s0, vcc_lo, s0
	s_delay_alu instid0(SALU_CYCLE_1)
	s_and_b32 s26, s9, s0
	s_wait_xcnt 0x0
	s_and_saveexec_b32 s0, s26
	s_cbranch_execz .LBB39_719
; %bb.624:
	v_mov_b32_e32 v3, 0
	s_and_b32 s24, s34, 0xff
	s_delay_alu instid0(SALU_CYCLE_1) | instskip(NEXT) | instid1(VALU_DEP_1)
	s_cmp_lt_i32 s24, 11
	v_add_nc_u64_e32 v[2:3], s[4:5], v[2:3]
	s_cbranch_scc1 .LBB39_632
; %bb.625:
	s_and_b32 s25, 0xffff, s24
	s_delay_alu instid0(SALU_CYCLE_1)
	s_cmp_gt_i32 s25, 25
	s_cbranch_scc0 .LBB39_633
; %bb.626:
	s_cmp_gt_i32 s25, 28
	s_cbranch_scc0 .LBB39_634
; %bb.627:
	;; [unrolled: 3-line block ×4, first 2 shown]
	s_mov_b32 s27, 0
	s_mov_b32 s23, -1
	s_cmp_eq_u32 s25, 46
	s_mov_b32 s26, 0
	s_cbranch_scc0 .LBB39_637
; %bb.630:
	v_mov_b32_e32 v1, 0
	s_mov_b32 s26, -1
	s_mov_b32 s23, 0
	global_store_b32 v[2:3], v1, off
	s_branch .LBB39_637
.LBB39_631:
	s_mov_b32 s23, 0
	s_mov_b32 s25, s47
	;; [unrolled: 1-line block ×3, first 2 shown]
                                        ; implicit-def: $vgpr0
	s_branch .LBB39_720
.LBB39_632:
	s_mov_b32 s25, -1
	s_mov_b32 s26, 0
	s_mov_b32 s23, s47
	s_branch .LBB39_676
.LBB39_633:
	s_mov_b32 s27, -1
	s_mov_b32 s26, 0
	s_mov_b32 s23, s47
	s_branch .LBB39_656
.LBB39_634:
	s_mov_b32 s27, -1
	s_mov_b32 s26, 0
	s_mov_b32 s23, s47
	s_branch .LBB39_645
.LBB39_635:
	s_mov_b32 s27, -1
	s_mov_b32 s26, 0
	s_mov_b32 s23, s47
	s_branch .LBB39_641
.LBB39_636:
	s_mov_b32 s27, -1
	s_mov_b32 s26, 0
	s_mov_b32 s23, s47
.LBB39_637:
	s_and_b32 vcc_lo, exec_lo, s27
	s_cbranch_vccz .LBB39_640
; %bb.638:
	s_cmp_eq_u32 s25, 44
	s_mov_b32 s23, -1
	s_cbranch_scc0 .LBB39_640
; %bb.639:
	s_wait_xcnt 0x0
	v_mov_b32_e32 v1, 0
	s_mov_b32 s26, -1
	s_mov_b32 s23, 0
	global_store_b8 v[2:3], v1, off
.LBB39_640:
	s_mov_b32 s27, 0
.LBB39_641:
	s_delay_alu instid0(SALU_CYCLE_1)
	s_and_b32 vcc_lo, exec_lo, s27
	s_cbranch_vccz .LBB39_644
; %bb.642:
	s_cmp_eq_u32 s25, 29
	s_mov_b32 s23, -1
	s_cbranch_scc0 .LBB39_644
; %bb.643:
	v_mov_b64_e32 v[4:5], 0
	s_mov_b32 s26, -1
	s_mov_b32 s23, 0
	s_mov_b32 s27, 0
	global_store_b64 v[2:3], v[4:5], off
	s_branch .LBB39_645
.LBB39_644:
	s_mov_b32 s27, 0
.LBB39_645:
	s_delay_alu instid0(SALU_CYCLE_1)
	s_and_b32 vcc_lo, exec_lo, s27
	s_cbranch_vccz .LBB39_655
; %bb.646:
	s_cmp_lt_i32 s25, 27
	s_mov_b32 s26, -1
	s_cbranch_scc1 .LBB39_652
; %bb.647:
	s_cmp_gt_i32 s25, 27
	s_cbranch_scc0 .LBB39_649
; %bb.648:
	s_wait_xcnt 0x0
	v_mov_b32_e32 v1, 0
	s_mov_b32 s26, 0
	global_store_b32 v[2:3], v1, off
.LBB39_649:
	s_and_not1_b32 vcc_lo, exec_lo, s26
	s_cbranch_vccnz .LBB39_651
; %bb.650:
	s_wait_xcnt 0x0
	v_mov_b32_e32 v1, 0
	global_store_b16 v[2:3], v1, off
.LBB39_651:
	s_mov_b32 s26, 0
.LBB39_652:
	s_delay_alu instid0(SALU_CYCLE_1)
	s_and_not1_b32 vcc_lo, exec_lo, s26
	s_cbranch_vccnz .LBB39_654
; %bb.653:
	s_wait_xcnt 0x0
	v_mov_b32_e32 v1, 0
	global_store_b8 v[2:3], v1, off
.LBB39_654:
	s_mov_b32 s26, -1
.LBB39_655:
	s_mov_b32 s27, 0
.LBB39_656:
	s_delay_alu instid0(SALU_CYCLE_1)
	s_and_b32 vcc_lo, exec_lo, s27
	s_cbranch_vccz .LBB39_675
; %bb.657:
	s_cmp_gt_i32 s25, 22
	s_mov_b32 s27, -1
	s_cbranch_scc0 .LBB39_667
; %bb.658:
	s_cmp_lt_i32 s25, 24
	s_mov_b32 s26, -1
	s_cbranch_scc1 .LBB39_664
; %bb.659:
	s_cmp_gt_i32 s25, 24
	s_cbranch_scc0 .LBB39_661
; %bb.660:
	s_wait_xcnt 0x0
	v_mov_b32_e32 v1, 0
	s_mov_b32 s26, 0
	global_store_b8 v[2:3], v1, off
.LBB39_661:
	s_and_not1_b32 vcc_lo, exec_lo, s26
	s_cbranch_vccnz .LBB39_663
; %bb.662:
	s_wait_xcnt 0x0
	v_mov_b32_e32 v1, 0
	global_store_b8 v[2:3], v1, off
.LBB39_663:
	s_mov_b32 s26, 0
.LBB39_664:
	s_delay_alu instid0(SALU_CYCLE_1)
	s_and_not1_b32 vcc_lo, exec_lo, s26
	s_cbranch_vccnz .LBB39_666
; %bb.665:
	s_wait_xcnt 0x0
	v_mov_b32_e32 v1, 0
	global_store_b8 v[2:3], v1, off
.LBB39_666:
	s_mov_b32 s27, 0
	s_mov_b32 s26, -1
.LBB39_667:
	s_and_not1_b32 vcc_lo, exec_lo, s27
	s_cbranch_vccnz .LBB39_675
; %bb.668:
	s_cmp_gt_i32 s25, 14
	s_mov_b32 s27, -1
	s_cbranch_scc0 .LBB39_672
; %bb.669:
	s_cmp_eq_u32 s25, 15
	s_mov_b32 s23, -1
	s_cbranch_scc0 .LBB39_671
; %bb.670:
	s_wait_xcnt 0x0
	v_mov_b32_e32 v1, 0
	s_mov_b32 s26, -1
	s_mov_b32 s23, 0
	global_store_b16 v[2:3], v1, off
.LBB39_671:
	s_mov_b32 s27, 0
.LBB39_672:
	s_delay_alu instid0(SALU_CYCLE_1)
	s_and_b32 vcc_lo, exec_lo, s27
	s_cbranch_vccz .LBB39_675
; %bb.673:
	s_cmp_eq_u32 s25, 11
	s_mov_b32 s23, -1
	s_cbranch_scc0 .LBB39_675
; %bb.674:
	s_wait_xcnt 0x0
	v_mov_b32_e32 v1, 0
	s_mov_b32 s26, -1
	s_mov_b32 s23, 0
	global_store_b8 v[2:3], v1, off
.LBB39_675:
	s_mov_b32 s25, 0
.LBB39_676:
	s_delay_alu instid0(SALU_CYCLE_1)
	s_and_b32 vcc_lo, exec_lo, s25
	s_cbranch_vccz .LBB39_715
; %bb.677:
	s_and_b32 s24, 0xffff, s24
	s_mov_b32 s25, -1
	s_cmp_lt_i32 s24, 5
	s_cbranch_scc1 .LBB39_698
; %bb.678:
	s_cmp_lt_i32 s24, 8
	s_cbranch_scc1 .LBB39_688
; %bb.679:
	s_cmp_lt_i32 s24, 9
	s_cbranch_scc1 .LBB39_685
; %bb.680:
	s_cmp_gt_i32 s24, 9
	s_cbranch_scc0 .LBB39_682
; %bb.681:
	s_wait_xcnt 0x0
	v_mov_b32_e32 v4, 0
	s_mov_b32 s25, 0
	s_delay_alu instid0(VALU_DEP_1)
	v_dual_mov_b32 v5, v4 :: v_dual_mov_b32 v6, v4
	v_mov_b32_e32 v7, v4
	global_store_b128 v[2:3], v[4:7], off
.LBB39_682:
	s_and_not1_b32 vcc_lo, exec_lo, s25
	s_cbranch_vccnz .LBB39_684
; %bb.683:
	s_wait_xcnt 0x0
	v_mov_b64_e32 v[4:5], 0
	global_store_b64 v[2:3], v[4:5], off
.LBB39_684:
	s_mov_b32 s25, 0
.LBB39_685:
	s_delay_alu instid0(SALU_CYCLE_1)
	s_and_not1_b32 vcc_lo, exec_lo, s25
	s_cbranch_vccnz .LBB39_687
; %bb.686:
	s_wait_xcnt 0x0
	v_mov_b32_e32 v1, 0
	global_store_b32 v[2:3], v1, off
.LBB39_687:
	s_mov_b32 s25, 0
.LBB39_688:
	s_delay_alu instid0(SALU_CYCLE_1)
	s_and_not1_b32 vcc_lo, exec_lo, s25
	s_cbranch_vccnz .LBB39_697
; %bb.689:
	s_cmp_lt_i32 s24, 6
	s_mov_b32 s25, -1
	s_cbranch_scc1 .LBB39_695
; %bb.690:
	s_cmp_gt_i32 s24, 6
	s_cbranch_scc0 .LBB39_692
; %bb.691:
	s_wait_xcnt 0x0
	v_mov_b64_e32 v[4:5], 0
	s_mov_b32 s25, 0
	global_store_b64 v[2:3], v[4:5], off
.LBB39_692:
	s_and_not1_b32 vcc_lo, exec_lo, s25
	s_cbranch_vccnz .LBB39_694
; %bb.693:
	s_wait_xcnt 0x0
	v_mov_b32_e32 v1, 0
	global_store_b32 v[2:3], v1, off
.LBB39_694:
	s_mov_b32 s25, 0
.LBB39_695:
	s_delay_alu instid0(SALU_CYCLE_1)
	s_and_not1_b32 vcc_lo, exec_lo, s25
	s_cbranch_vccnz .LBB39_697
; %bb.696:
	s_wait_xcnt 0x0
	v_mov_b32_e32 v1, 0
	global_store_b16 v[2:3], v1, off
.LBB39_697:
	s_mov_b32 s25, 0
.LBB39_698:
	s_delay_alu instid0(SALU_CYCLE_1)
	s_and_not1_b32 vcc_lo, exec_lo, s25
	s_cbranch_vccnz .LBB39_714
; %bb.699:
	s_cmp_lt_i32 s24, 2
	s_mov_b32 s25, -1
	s_cbranch_scc1 .LBB39_709
; %bb.700:
	s_cmp_lt_i32 s24, 3
	s_cbranch_scc1 .LBB39_706
; %bb.701:
	s_cmp_gt_i32 s24, 3
	s_cbranch_scc0 .LBB39_703
; %bb.702:
	s_wait_xcnt 0x0
	v_mov_b64_e32 v[4:5], 0
	s_mov_b32 s25, 0
	global_store_b64 v[2:3], v[4:5], off
.LBB39_703:
	s_and_not1_b32 vcc_lo, exec_lo, s25
	s_cbranch_vccnz .LBB39_705
; %bb.704:
	s_wait_xcnt 0x0
	v_mov_b32_e32 v1, 0
	global_store_b32 v[2:3], v1, off
.LBB39_705:
	s_mov_b32 s25, 0
.LBB39_706:
	s_delay_alu instid0(SALU_CYCLE_1)
	s_and_not1_b32 vcc_lo, exec_lo, s25
	s_cbranch_vccnz .LBB39_708
; %bb.707:
	s_wait_xcnt 0x0
	v_mov_b32_e32 v1, 0
	global_store_b16 v[2:3], v1, off
.LBB39_708:
	s_mov_b32 s25, 0
.LBB39_709:
	s_delay_alu instid0(SALU_CYCLE_1)
	s_and_not1_b32 vcc_lo, exec_lo, s25
	s_cbranch_vccnz .LBB39_714
; %bb.710:
	s_cmp_gt_i32 s24, 0
	s_mov_b32 s24, -1
	s_cbranch_scc0 .LBB39_712
; %bb.711:
	s_wait_xcnt 0x0
	v_mov_b32_e32 v1, 0
	s_mov_b32 s24, 0
	global_store_b8 v[2:3], v1, off
.LBB39_712:
	s_and_not1_b32 vcc_lo, exec_lo, s24
	s_cbranch_vccnz .LBB39_714
; %bb.713:
	s_wait_xcnt 0x0
	v_mov_b32_e32 v1, 0
	global_store_b8 v[2:3], v1, off
.LBB39_714:
	s_mov_b32 s26, -1
.LBB39_715:
	s_delay_alu instid0(SALU_CYCLE_1)
	s_and_not1_b32 vcc_lo, exec_lo, s26
	s_cbranch_vccnz .LBB39_717
; %bb.716:
	v_add_nc_u32_e32 v0, 0x80, v0
	s_mov_b32 s26, -1
	s_branch .LBB39_718
.LBB39_717:
	s_mov_b32 s26, 0
                                        ; implicit-def: $vgpr0
.LBB39_718:
	s_and_not1_b32 s24, s47, exec_lo
	s_and_b32 s23, s23, exec_lo
	s_delay_alu instid0(SALU_CYCLE_1)
	s_or_b32 s25, s24, s23
	s_xor_b32 s24, exec_lo, -1
	s_and_b32 s23, s26, exec_lo
.LBB39_719:
	s_wait_xcnt 0x0
	s_or_b32 exec_lo, exec_lo, s0
.LBB39_720:
	s_delay_alu instid0(SALU_CYCLE_1)
	s_and_not1_b32 s0, s47, exec_lo
	s_and_b32 s25, s25, exec_lo
	s_and_b32 s24, s24, exec_lo
	s_or_b32 s26, s0, s25
	s_and_not1_b32 s0, s48, exec_lo
	s_and_not1_b32 s25, s46, exec_lo
	s_and_b32 s22, s22, exec_lo
	s_or_b32 s27, s0, s24
	s_or_b32 s0, s25, s22
	s_or_not1_b32 s25, s23, exec_lo
.LBB39_721:
	s_wait_xcnt 0x0
	s_or_b32 exec_lo, exec_lo, s50
	s_mov_b32 s22, 0
	s_mov_b32 s23, 0
	;; [unrolled: 1-line block ×3, first 2 shown]
                                        ; implicit-def: $vgpr4_vgpr5
                                        ; implicit-def: $vgpr2
                                        ; implicit-def: $vgpr1
	s_and_saveexec_b32 s50, s25
	s_cbranch_execz .LBB39_815
; %bb.722:
	v_cmp_gt_i32_e32 vcc_lo, s39, v0
	s_mov_b32 s25, s0
                                        ; implicit-def: $vgpr4_vgpr5
                                        ; implicit-def: $vgpr2
                                        ; implicit-def: $vgpr1
	s_and_saveexec_b32 s39, vcc_lo
	s_cbranch_execz .LBB39_814
; %bb.723:
	s_and_not1_b32 vcc_lo, exec_lo, s31
	s_cbranch_vccnz .LBB39_729
; %bb.724:
	s_and_not1_b32 vcc_lo, exec_lo, s41
	s_cbranch_vccnz .LBB39_730
; %bb.725:
	s_add_co_i32 s40, s40, 1
	s_cmp_eq_u32 s29, 2
	s_cbranch_scc1 .LBB39_731
; %bb.726:
	v_dual_mov_b32 v2, 0 :: v_dual_mov_b32 v4, 0
	s_wait_loadcnt 0x0
	v_mov_b32_e32 v1, v0
	s_and_b32 s22, s40, 28
	s_mov_b64 s[24:25], s[2:3]
.LBB39_727:                             ; =>This Inner Loop Header: Depth=1
	s_clause 0x1
	s_load_b256 s[52:59], s[24:25], 0x4
	s_load_b128 s[68:71], s[24:25], 0x24
	s_load_b256 s[60:67], s[20:21], 0x0
	s_add_co_i32 s23, s23, 4
	s_wait_xcnt 0x0
	s_add_nc_u64 s[24:25], s[24:25], 48
	s_cmp_eq_u32 s22, s23
	s_add_nc_u64 s[20:21], s[20:21], 32
	s_wait_kmcnt 0x0
	v_mul_hi_u32 v3, s53, v1
	s_delay_alu instid0(VALU_DEP_1) | instskip(NEXT) | instid1(VALU_DEP_1)
	v_add_nc_u32_e32 v3, v1, v3
	v_lshrrev_b32_e32 v3, s54, v3
	s_delay_alu instid0(VALU_DEP_1) | instskip(NEXT) | instid1(VALU_DEP_1)
	v_mul_hi_u32 v5, s56, v3
	v_add_nc_u32_e32 v5, v3, v5
	s_delay_alu instid0(VALU_DEP_1) | instskip(NEXT) | instid1(VALU_DEP_1)
	v_lshrrev_b32_e32 v5, s57, v5
	v_mul_hi_u32 v6, s59, v5
	s_delay_alu instid0(VALU_DEP_1) | instskip(SKIP_1) | instid1(VALU_DEP_1)
	v_add_nc_u32_e32 v6, v5, v6
	v_mul_lo_u32 v7, v3, s52
	v_sub_nc_u32_e32 v1, v1, v7
	v_mul_lo_u32 v7, v5, s55
	s_delay_alu instid0(VALU_DEP_4) | instskip(NEXT) | instid1(VALU_DEP_3)
	v_lshrrev_b32_e32 v6, s68, v6
	v_mad_u32 v4, v1, s61, v4
	v_mad_u32 v1, v1, s60, v2
	s_delay_alu instid0(VALU_DEP_4) | instskip(NEXT) | instid1(VALU_DEP_4)
	v_sub_nc_u32_e32 v2, v3, v7
	v_mul_hi_u32 v8, s70, v6
	v_mul_lo_u32 v3, v6, s58
	s_delay_alu instid0(VALU_DEP_3) | instskip(SKIP_1) | instid1(VALU_DEP_3)
	v_mad_u32 v4, v2, s63, v4
	v_mad_u32 v2, v2, s62, v1
	v_dual_add_nc_u32 v7, v6, v8 :: v_dual_sub_nc_u32 v3, v5, v3
	s_delay_alu instid0(VALU_DEP_1) | instskip(NEXT) | instid1(VALU_DEP_2)
	v_lshrrev_b32_e32 v1, s71, v7
	v_mad_u32 v4, v3, s65, v4
	s_delay_alu instid0(VALU_DEP_4) | instskip(NEXT) | instid1(VALU_DEP_3)
	v_mad_u32 v2, v3, s64, v2
	v_mul_lo_u32 v5, v1, s69
	s_delay_alu instid0(VALU_DEP_1) | instskip(NEXT) | instid1(VALU_DEP_1)
	v_sub_nc_u32_e32 v3, v6, v5
	v_mad_u32 v4, v3, s67, v4
	s_delay_alu instid0(VALU_DEP_4)
	v_mad_u32 v2, v3, s66, v2
	s_cbranch_scc0 .LBB39_727
; %bb.728:
	s_delay_alu instid0(VALU_DEP_2)
	v_mov_b32_e32 v3, v4
	s_branch .LBB39_732
.LBB39_729:
	s_mov_b32 s20, -1
                                        ; implicit-def: $vgpr4
                                        ; implicit-def: $vgpr2
	s_branch .LBB39_737
.LBB39_730:
	v_dual_mov_b32 v4, 0 :: v_dual_mov_b32 v2, 0
	s_branch .LBB39_736
.LBB39_731:
	v_mov_b64_e32 v[2:3], 0
	s_wait_loadcnt 0x0
	v_mov_b32_e32 v1, v0
                                        ; implicit-def: $vgpr4
.LBB39_732:
	s_and_b32 s24, s40, 3
	s_mov_b32 s23, 0
	s_cmp_eq_u32 s24, 0
	s_cbranch_scc1 .LBB39_736
; %bb.733:
	s_lshl_b32 s20, s22, 3
	s_mov_b32 s21, s23
	s_mul_u64 s[22:23], s[22:23], 12
	s_add_nc_u64 s[20:21], s[2:3], s[20:21]
	s_add_nc_u64 s[22:23], s[2:3], s[22:23]
	;; [unrolled: 1-line block ×3, first 2 shown]
.LBB39_734:                             ; =>This Inner Loop Header: Depth=1
	s_load_b96 s[52:54], s[22:23], 0x4
	s_load_b64 s[40:41], s[20:21], 0x0
	s_add_co_i32 s24, s24, -1
	s_wait_xcnt 0x0
	s_add_nc_u64 s[22:23], s[22:23], 12
	s_cmp_lg_u32 s24, 0
	s_add_nc_u64 s[20:21], s[20:21], 8
	s_wait_kmcnt 0x0
	v_mul_hi_u32 v4, s53, v1
	s_delay_alu instid0(VALU_DEP_1) | instskip(NEXT) | instid1(VALU_DEP_1)
	v_add_nc_u32_e32 v4, v1, v4
	v_lshrrev_b32_e32 v4, s54, v4
	s_delay_alu instid0(VALU_DEP_1) | instskip(NEXT) | instid1(VALU_DEP_1)
	v_mul_lo_u32 v5, v4, s52
	v_sub_nc_u32_e32 v1, v1, v5
	s_delay_alu instid0(VALU_DEP_1)
	v_mad_u32 v3, v1, s41, v3
	v_mad_u32 v2, v1, s40, v2
	v_mov_b32_e32 v1, v4
	s_cbranch_scc1 .LBB39_734
; %bb.735:
	s_delay_alu instid0(VALU_DEP_3)
	v_mov_b32_e32 v4, v3
.LBB39_736:
	s_mov_b32 s20, 0
.LBB39_737:
	s_delay_alu instid0(SALU_CYCLE_1)
	s_and_not1_b32 vcc_lo, exec_lo, s20
	s_cbranch_vccnz .LBB39_740
; %bb.738:
	s_wait_loadcnt 0x0
	v_mov_b32_e32 v1, 0
	s_and_not1_b32 vcc_lo, exec_lo, s38
	s_delay_alu instid0(VALU_DEP_1) | instskip(NEXT) | instid1(VALU_DEP_1)
	v_mul_u64_e32 v[2:3], s[16:17], v[0:1]
	v_add_nc_u32_e32 v2, v0, v3
	s_delay_alu instid0(VALU_DEP_1) | instskip(NEXT) | instid1(VALU_DEP_1)
	v_lshrrev_b32_e32 v6, s10, v2
	v_mul_lo_u32 v2, v6, s8
	s_delay_alu instid0(VALU_DEP_1) | instskip(NEXT) | instid1(VALU_DEP_1)
	v_sub_nc_u32_e32 v0, v0, v2
	v_mul_lo_u32 v4, v0, s13
	v_mul_lo_u32 v2, v0, s12
	s_cbranch_vccnz .LBB39_740
; %bb.739:
	v_mov_b32_e32 v7, v1
	s_delay_alu instid0(VALU_DEP_1) | instskip(NEXT) | instid1(VALU_DEP_1)
	v_mul_u64_e32 v[0:1], s[18:19], v[6:7]
	v_add_nc_u32_e32 v0, v6, v1
	s_delay_alu instid0(VALU_DEP_1) | instskip(NEXT) | instid1(VALU_DEP_1)
	v_lshrrev_b32_e32 v0, s1, v0
	v_mul_lo_u32 v0, v0, s11
	s_delay_alu instid0(VALU_DEP_1) | instskip(NEXT) | instid1(VALU_DEP_1)
	v_sub_nc_u32_e32 v0, v6, v0
	v_mad_u32 v2, v0, s14, v2
	v_mad_u32 v4, v0, s15, v4
.LBB39_740:
	v_mov_b32_e32 v5, 0
	s_and_b32 s1, 0xffff, s37
	s_delay_alu instid0(SALU_CYCLE_1) | instskip(NEXT) | instid1(VALU_DEP_1)
	s_cmp_lt_i32 s1, 11
	v_add_nc_u64_e32 v[4:5], s[6:7], v[4:5]
	s_cbranch_scc1 .LBB39_747
; %bb.741:
	s_cmp_gt_i32 s1, 25
	s_mov_b32 s7, 0
	s_cbranch_scc0 .LBB39_748
; %bb.742:
	s_cmp_gt_i32 s1, 28
	s_cbranch_scc0 .LBB39_749
; %bb.743:
	s_cmp_gt_i32 s1, 43
	;; [unrolled: 3-line block ×3, first 2 shown]
	s_cbranch_scc0 .LBB39_751
; %bb.745:
	s_cmp_eq_u32 s1, 46
	s_mov_b32 s10, 0
	s_cbranch_scc0 .LBB39_752
; %bb.746:
	global_load_b32 v0, v[4:5], off
	s_mov_b32 s6, 0
	s_mov_b32 s8, -1
	s_wait_loadcnt 0x0
	v_lshlrev_b32_e32 v0, 16, v0
	s_delay_alu instid0(VALU_DEP_1)
	v_cvt_i32_f32_e32 v1, v0
	s_branch .LBB39_754
.LBB39_747:
	s_mov_b32 s1, -1
	s_mov_b32 s8, 0
	s_mov_b32 s7, 0
	;; [unrolled: 1-line block ×3, first 2 shown]
                                        ; implicit-def: $vgpr1
	s_branch .LBB39_813
.LBB39_748:
	s_mov_b32 s10, -1
	s_mov_b32 s8, 0
	s_mov_b32 s6, s0
                                        ; implicit-def: $vgpr1
	s_branch .LBB39_781
.LBB39_749:
	s_mov_b32 s10, -1
	s_mov_b32 s8, 0
	s_mov_b32 s6, s0
                                        ; implicit-def: $vgpr1
	s_branch .LBB39_764
.LBB39_750:
	s_mov_b32 s10, -1
	s_mov_b32 s8, 0
	s_mov_b32 s6, s0
                                        ; implicit-def: $vgpr1
	s_branch .LBB39_759
.LBB39_751:
	s_mov_b32 s10, -1
	s_mov_b32 s8, 0
	s_mov_b32 s6, s0
	s_branch .LBB39_753
.LBB39_752:
	s_mov_b32 s6, -1
	s_mov_b32 s8, 0
.LBB39_753:
                                        ; implicit-def: $vgpr1
.LBB39_754:
	s_and_b32 vcc_lo, exec_lo, s10
	s_cbranch_vccz .LBB39_758
; %bb.755:
	s_cmp_eq_u32 s1, 44
	s_cbranch_scc0 .LBB39_757
; %bb.756:
	global_load_u8 v0, v[4:5], off
	s_mov_b32 s6, 0
	s_mov_b32 s8, -1
	s_wait_loadcnt 0x0
	v_lshlrev_b32_e32 v1, 23, v0
	v_cmp_ne_u32_e32 vcc_lo, 0, v0
	s_delay_alu instid0(VALU_DEP_2) | instskip(NEXT) | instid1(VALU_DEP_1)
	v_cvt_i32_f32_e32 v1, v1
	v_cndmask_b32_e32 v1, 0, v1, vcc_lo
	s_branch .LBB39_758
.LBB39_757:
	s_mov_b32 s6, -1
                                        ; implicit-def: $vgpr1
.LBB39_758:
	s_mov_b32 s10, 0
.LBB39_759:
	s_delay_alu instid0(SALU_CYCLE_1)
	s_and_b32 vcc_lo, exec_lo, s10
	s_cbranch_vccz .LBB39_763
; %bb.760:
	s_cmp_eq_u32 s1, 29
	s_cbranch_scc0 .LBB39_762
; %bb.761:
	s_wait_loadcnt 0x0
	global_load_b32 v1, v[4:5], off
	s_mov_b32 s6, 0
	s_mov_b32 s8, -1
	s_branch .LBB39_763
.LBB39_762:
	s_mov_b32 s6, -1
                                        ; implicit-def: $vgpr1
.LBB39_763:
	s_mov_b32 s10, 0
.LBB39_764:
	s_delay_alu instid0(SALU_CYCLE_1)
	s_and_b32 vcc_lo, exec_lo, s10
	s_cbranch_vccz .LBB39_780
; %bb.765:
	s_cmp_lt_i32 s1, 27
	s_cbranch_scc1 .LBB39_768
; %bb.766:
	s_cmp_gt_i32 s1, 27
	s_cbranch_scc0 .LBB39_769
; %bb.767:
	s_wait_loadcnt 0x0
	global_load_b32 v1, v[4:5], off
	s_mov_b32 s8, 0
	s_branch .LBB39_770
.LBB39_768:
	s_mov_b32 s8, -1
                                        ; implicit-def: $vgpr1
	s_branch .LBB39_773
.LBB39_769:
	s_mov_b32 s8, -1
                                        ; implicit-def: $vgpr1
.LBB39_770:
	s_delay_alu instid0(SALU_CYCLE_1)
	s_and_not1_b32 vcc_lo, exec_lo, s8
	s_cbranch_vccnz .LBB39_772
; %bb.771:
	s_wait_loadcnt 0x0
	global_load_u16 v1, v[4:5], off
.LBB39_772:
	s_mov_b32 s8, 0
.LBB39_773:
	s_delay_alu instid0(SALU_CYCLE_1)
	s_and_not1_b32 vcc_lo, exec_lo, s8
	s_cbranch_vccnz .LBB39_779
; %bb.774:
	global_load_u8 v0, v[4:5], off
	s_mov_b32 s10, 0
	s_mov_b32 s8, exec_lo
	s_wait_loadcnt 0x0
	v_cmpx_lt_i16_e32 0x7f, v0
	s_xor_b32 s8, exec_lo, s8
	s_cbranch_execz .LBB39_791
; %bb.775:
	v_cmp_ne_u16_e32 vcc_lo, 0x80, v0
	s_and_b32 s10, vcc_lo, exec_lo
	s_and_not1_saveexec_b32 s8, s8
	s_cbranch_execnz .LBB39_792
.LBB39_776:
	s_or_b32 exec_lo, exec_lo, s8
	v_mov_b32_e32 v1, 0
	s_and_saveexec_b32 s8, s10
	s_cbranch_execz .LBB39_778
.LBB39_777:
	v_and_b32_e32 v1, 0xffff, v0
	s_delay_alu instid0(VALU_DEP_1) | instskip(SKIP_1) | instid1(VALU_DEP_2)
	v_and_b32_e32 v3, 7, v1
	v_bfe_u32 v8, v1, 3, 4
	v_clz_i32_u32_e32 v6, v3
	s_delay_alu instid0(VALU_DEP_2) | instskip(NEXT) | instid1(VALU_DEP_2)
	v_cmp_eq_u32_e32 vcc_lo, 0, v8
	v_min_u32_e32 v6, 32, v6
	s_delay_alu instid0(VALU_DEP_1) | instskip(NEXT) | instid1(VALU_DEP_1)
	v_subrev_nc_u32_e32 v7, 28, v6
	v_dual_lshlrev_b32 v1, v7, v1 :: v_dual_sub_nc_u32 v6, 29, v6
	s_delay_alu instid0(VALU_DEP_1) | instskip(NEXT) | instid1(VALU_DEP_1)
	v_dual_lshlrev_b32 v0, 24, v0 :: v_dual_bitop2_b32 v1, 7, v1 bitop3:0x40
	v_dual_cndmask_b32 v6, v8, v6 :: v_dual_cndmask_b32 v1, v3, v1
	s_delay_alu instid0(VALU_DEP_2) | instskip(NEXT) | instid1(VALU_DEP_2)
	v_and_b32_e32 v0, 0x80000000, v0
	v_lshl_add_u32 v3, v6, 23, 0x3b800000
	s_delay_alu instid0(VALU_DEP_3) | instskip(NEXT) | instid1(VALU_DEP_1)
	v_lshlrev_b32_e32 v1, 20, v1
	v_or3_b32 v0, v0, v3, v1
	s_delay_alu instid0(VALU_DEP_1)
	v_cvt_i32_f32_e32 v1, v0
.LBB39_778:
	s_or_b32 exec_lo, exec_lo, s8
.LBB39_779:
	s_mov_b32 s8, -1
.LBB39_780:
	s_mov_b32 s10, 0
.LBB39_781:
	s_delay_alu instid0(SALU_CYCLE_1)
	s_and_b32 vcc_lo, exec_lo, s10
	s_cbranch_vccz .LBB39_812
; %bb.782:
	s_cmp_gt_i32 s1, 22
	s_cbranch_scc0 .LBB39_790
; %bb.783:
	s_cmp_lt_i32 s1, 24
	s_cbranch_scc1 .LBB39_793
; %bb.784:
	s_cmp_gt_i32 s1, 24
	s_cbranch_scc0 .LBB39_794
; %bb.785:
	global_load_u8 v0, v[4:5], off
	s_mov_b32 s8, 0
	s_mov_b32 s7, exec_lo
	s_wait_loadcnt 0x0
	v_cmpx_lt_i16_e32 0x7f, v0
	s_xor_b32 s7, exec_lo, s7
	s_cbranch_execz .LBB39_806
; %bb.786:
	v_cmp_ne_u16_e32 vcc_lo, 0x80, v0
	s_and_b32 s8, vcc_lo, exec_lo
	s_and_not1_saveexec_b32 s7, s7
	s_cbranch_execnz .LBB39_807
.LBB39_787:
	s_or_b32 exec_lo, exec_lo, s7
	v_mov_b32_e32 v1, 0
	s_and_saveexec_b32 s7, s8
	s_cbranch_execz .LBB39_789
.LBB39_788:
	v_and_b32_e32 v1, 0xffff, v0
	s_delay_alu instid0(VALU_DEP_1) | instskip(SKIP_1) | instid1(VALU_DEP_2)
	v_and_b32_e32 v3, 3, v1
	v_bfe_u32 v8, v1, 2, 5
	v_clz_i32_u32_e32 v6, v3
	s_delay_alu instid0(VALU_DEP_2) | instskip(NEXT) | instid1(VALU_DEP_2)
	v_cmp_eq_u32_e32 vcc_lo, 0, v8
	v_min_u32_e32 v6, 32, v6
	s_delay_alu instid0(VALU_DEP_1) | instskip(NEXT) | instid1(VALU_DEP_1)
	v_subrev_nc_u32_e32 v7, 29, v6
	v_dual_lshlrev_b32 v1, v7, v1 :: v_dual_sub_nc_u32 v6, 30, v6
	s_delay_alu instid0(VALU_DEP_1) | instskip(NEXT) | instid1(VALU_DEP_1)
	v_dual_lshlrev_b32 v0, 24, v0 :: v_dual_bitop2_b32 v1, 3, v1 bitop3:0x40
	v_dual_cndmask_b32 v6, v8, v6 :: v_dual_cndmask_b32 v1, v3, v1
	s_delay_alu instid0(VALU_DEP_2) | instskip(NEXT) | instid1(VALU_DEP_2)
	v_and_b32_e32 v0, 0x80000000, v0
	v_lshl_add_u32 v3, v6, 23, 0x37800000
	s_delay_alu instid0(VALU_DEP_3) | instskip(NEXT) | instid1(VALU_DEP_1)
	v_lshlrev_b32_e32 v1, 21, v1
	v_or3_b32 v0, v0, v3, v1
	s_delay_alu instid0(VALU_DEP_1)
	v_cvt_i32_f32_e32 v1, v0
.LBB39_789:
	s_or_b32 exec_lo, exec_lo, s7
	s_mov_b32 s7, 0
	s_branch .LBB39_795
.LBB39_790:
	s_mov_b32 s7, -1
                                        ; implicit-def: $vgpr1
	s_branch .LBB39_801
.LBB39_791:
	s_and_not1_saveexec_b32 s8, s8
	s_cbranch_execz .LBB39_776
.LBB39_792:
	v_cmp_ne_u16_e32 vcc_lo, 0, v0
	s_and_not1_b32 s10, s10, exec_lo
	s_and_b32 s11, vcc_lo, exec_lo
	s_delay_alu instid0(SALU_CYCLE_1)
	s_or_b32 s10, s10, s11
	s_or_b32 exec_lo, exec_lo, s8
	v_mov_b32_e32 v1, 0
	s_and_saveexec_b32 s8, s10
	s_cbranch_execnz .LBB39_777
	s_branch .LBB39_778
.LBB39_793:
	s_mov_b32 s7, -1
                                        ; implicit-def: $vgpr1
	s_branch .LBB39_798
.LBB39_794:
	s_mov_b32 s7, -1
                                        ; implicit-def: $vgpr1
.LBB39_795:
	s_delay_alu instid0(SALU_CYCLE_1)
	s_and_b32 vcc_lo, exec_lo, s7
	s_cbranch_vccz .LBB39_797
; %bb.796:
	global_load_u8 v0, v[4:5], off
	s_wait_loadcnt 0x0
	v_lshlrev_b32_e32 v0, 24, v0
	s_delay_alu instid0(VALU_DEP_1) | instskip(NEXT) | instid1(VALU_DEP_1)
	v_and_b32_e32 v1, 0x7f000000, v0
	v_clz_i32_u32_e32 v3, v1
	v_add_nc_u32_e32 v7, 0x1000000, v1
	v_cmp_ne_u32_e32 vcc_lo, 0, v1
	s_delay_alu instid0(VALU_DEP_3) | instskip(NEXT) | instid1(VALU_DEP_1)
	v_min_u32_e32 v3, 32, v3
	v_sub_nc_u32_e64 v3, v3, 4 clamp
	s_delay_alu instid0(VALU_DEP_1) | instskip(NEXT) | instid1(VALU_DEP_1)
	v_dual_lshlrev_b32 v6, v3, v1 :: v_dual_lshlrev_b32 v3, 23, v3
	v_lshrrev_b32_e32 v6, 4, v6
	s_delay_alu instid0(VALU_DEP_1) | instskip(SKIP_1) | instid1(VALU_DEP_2)
	v_sub_nc_u32_e32 v3, v6, v3
	v_ashrrev_i32_e32 v6, 8, v7
	v_add_nc_u32_e32 v3, 0x3c000000, v3
	s_delay_alu instid0(VALU_DEP_1) | instskip(NEXT) | instid1(VALU_DEP_1)
	v_and_or_b32 v3, 0x7f800000, v6, v3
	v_cndmask_b32_e32 v1, 0, v3, vcc_lo
	s_delay_alu instid0(VALU_DEP_1) | instskip(NEXT) | instid1(VALU_DEP_1)
	v_and_or_b32 v0, 0x80000000, v0, v1
	v_cvt_i32_f32_e32 v1, v0
.LBB39_797:
	s_mov_b32 s7, 0
.LBB39_798:
	s_delay_alu instid0(SALU_CYCLE_1)
	s_and_not1_b32 vcc_lo, exec_lo, s7
	s_cbranch_vccnz .LBB39_800
; %bb.799:
	global_load_u8 v0, v[4:5], off
	s_wait_loadcnt 0x0
	v_lshlrev_b32_e32 v1, 25, v0
	v_lshlrev_b16 v0, 8, v0
	s_delay_alu instid0(VALU_DEP_1) | instskip(SKIP_1) | instid1(VALU_DEP_2)
	v_and_or_b32 v6, 0x7f00, v0, 0.5
	v_bfe_i32 v0, v0, 0, 16
	v_dual_add_f32 v6, -0.5, v6 :: v_dual_lshrrev_b32 v3, 4, v1
	v_cmp_gt_u32_e32 vcc_lo, 0x8000000, v1
	s_delay_alu instid0(VALU_DEP_2) | instskip(NEXT) | instid1(VALU_DEP_1)
	v_or_b32_e32 v3, 0x70000000, v3
	v_mul_f32_e32 v3, 0x7800000, v3
	s_delay_alu instid0(VALU_DEP_1) | instskip(NEXT) | instid1(VALU_DEP_1)
	v_cndmask_b32_e32 v1, v3, v6, vcc_lo
	v_and_or_b32 v0, 0x80000000, v0, v1
	s_delay_alu instid0(VALU_DEP_1)
	v_cvt_i32_f32_e32 v1, v0
.LBB39_800:
	s_mov_b32 s7, 0
	s_mov_b32 s8, -1
.LBB39_801:
	s_and_not1_b32 vcc_lo, exec_lo, s7
	s_mov_b32 s7, 0
	s_cbranch_vccnz .LBB39_812
; %bb.802:
	s_cmp_gt_i32 s1, 14
	s_cbranch_scc0 .LBB39_805
; %bb.803:
	s_cmp_eq_u32 s1, 15
	s_cbranch_scc0 .LBB39_808
; %bb.804:
	global_load_u16 v0, v[4:5], off
	s_mov_b32 s6, 0
	s_mov_b32 s8, -1
	s_wait_loadcnt 0x0
	v_lshlrev_b32_e32 v0, 16, v0
	s_delay_alu instid0(VALU_DEP_1)
	v_cvt_i32_f32_e32 v1, v0
	s_branch .LBB39_810
.LBB39_805:
	s_mov_b32 s7, -1
	s_branch .LBB39_809
.LBB39_806:
	s_and_not1_saveexec_b32 s7, s7
	s_cbranch_execz .LBB39_787
.LBB39_807:
	v_cmp_ne_u16_e32 vcc_lo, 0, v0
	s_and_not1_b32 s8, s8, exec_lo
	s_and_b32 s10, vcc_lo, exec_lo
	s_delay_alu instid0(SALU_CYCLE_1)
	s_or_b32 s8, s8, s10
	s_or_b32 exec_lo, exec_lo, s7
	v_mov_b32_e32 v1, 0
	s_and_saveexec_b32 s7, s8
	s_cbranch_execnz .LBB39_788
	s_branch .LBB39_789
.LBB39_808:
	s_mov_b32 s6, -1
.LBB39_809:
                                        ; implicit-def: $vgpr1
.LBB39_810:
	s_and_b32 vcc_lo, exec_lo, s7
	s_mov_b32 s7, 0
	s_cbranch_vccz .LBB39_812
; %bb.811:
	s_cmp_lg_u32 s1, 11
	s_mov_b32 s7, -1
	s_cselect_b32 s1, -1, 0
	s_and_not1_b32 s6, s6, exec_lo
	s_and_b32 s1, s1, exec_lo
	s_delay_alu instid0(SALU_CYCLE_1)
	s_or_b32 s6, s6, s1
.LBB39_812:
	s_mov_b32 s1, 0
.LBB39_813:
	s_delay_alu instid0(SALU_CYCLE_1)
	s_and_b32 s23, s1, exec_lo
	s_and_not1_b32 s1, s0, exec_lo
	s_and_b32 s6, s6, exec_lo
	s_and_b32 s24, s8, exec_lo
	;; [unrolled: 1-line block ×3, first 2 shown]
	s_or_b32 s25, s1, s6
.LBB39_814:
	s_wait_xcnt 0x0
	s_or_b32 exec_lo, exec_lo, s39
	s_delay_alu instid0(SALU_CYCLE_1)
	s_and_not1_b32 s0, s0, exec_lo
	s_and_b32 s1, s25, exec_lo
	s_and_b32 s24, s24, exec_lo
	;; [unrolled: 1-line block ×4, first 2 shown]
	s_or_b32 s0, s0, s1
.LBB39_815:
	s_or_b32 exec_lo, exec_lo, s50
	s_delay_alu instid0(SALU_CYCLE_1)
	s_and_not1_b32 s1, s47, exec_lo
	s_and_b32 s6, s26, exec_lo
	s_and_not1_b32 s7, s48, exec_lo
	s_and_b32 s8, s27, exec_lo
	s_or_b32 s47, s1, s6
	s_and_not1_b32 s1, s46, exec_lo
	s_and_b32 s0, s0, exec_lo
	s_or_b32 s48, s7, s8
	s_and_b32 s24, s24, exec_lo
	s_and_b32 s23, s23, exec_lo
	;; [unrolled: 1-line block ×3, first 2 shown]
	s_or_b32 s46, s1, s0
.LBB39_816:
	s_or_b32 exec_lo, exec_lo, s49
	s_delay_alu instid0(SALU_CYCLE_1)
	s_and_not1_b32 s0, s42, exec_lo
	s_and_b32 s1, s47, exec_lo
	s_and_not1_b32 s6, s43, exec_lo
	s_and_b32 s7, s48, exec_lo
	s_or_b32 s42, s0, s1
	s_or_b32 s43, s6, s7
	s_and_not1_b32 s1, s44, exec_lo
	s_and_b32 s6, s46, exec_lo
	s_and_b32 s0, s24, exec_lo
	;; [unrolled: 1-line block ×4, first 2 shown]
	s_or_b32 s44, s1, s6
	s_or_b32 exec_lo, exec_lo, s45
	s_mov_b32 s1, 0
	s_and_saveexec_b32 s6, s44
	s_cbranch_execz .LBB39_245
.LBB39_817:
	s_mov_b32 s1, exec_lo
	s_and_not1_b32 s17, s17, exec_lo
	s_trap 2
	s_or_b32 exec_lo, exec_lo, s6
	s_and_saveexec_b32 s6, s17
	s_delay_alu instid0(SALU_CYCLE_1)
	s_xor_b32 s6, exec_lo, s6
	s_cbranch_execnz .LBB39_246
.LBB39_818:
	s_or_b32 exec_lo, exec_lo, s6
	s_and_saveexec_b32 s6, s23
	s_cbranch_execz .LBB39_864
.LBB39_819:
	s_sext_i32_i16 s7, s37
	s_delay_alu instid0(SALU_CYCLE_1)
	s_cmp_lt_i32 s7, 5
	s_cbranch_scc1 .LBB39_824
; %bb.820:
	s_cmp_lt_i32 s7, 8
	s_cbranch_scc1 .LBB39_825
; %bb.821:
	;; [unrolled: 3-line block ×3, first 2 shown]
	s_cmp_gt_i32 s7, 9
	s_cbranch_scc0 .LBB39_827
; %bb.823:
	s_wait_loadcnt 0x0
	global_load_b64 v[0:1], v[4:5], off
	s_mov_b32 s7, 0
	s_wait_loadcnt 0x0
	v_cvt_i32_f64_e32 v1, v[0:1]
	s_branch .LBB39_828
.LBB39_824:
                                        ; implicit-def: $vgpr1
	s_branch .LBB39_845
.LBB39_825:
                                        ; implicit-def: $vgpr1
	s_branch .LBB39_834
.LBB39_826:
	s_mov_b32 s7, -1
                                        ; implicit-def: $vgpr1
	s_branch .LBB39_831
.LBB39_827:
	s_mov_b32 s7, -1
                                        ; implicit-def: $vgpr1
.LBB39_828:
	s_delay_alu instid0(SALU_CYCLE_1)
	s_and_not1_b32 vcc_lo, exec_lo, s7
	s_cbranch_vccnz .LBB39_830
; %bb.829:
	global_load_b32 v0, v[4:5], off
	s_wait_loadcnt 0x0
	v_cvt_i32_f32_e32 v1, v0
.LBB39_830:
	s_mov_b32 s7, 0
.LBB39_831:
	s_delay_alu instid0(SALU_CYCLE_1)
	s_and_not1_b32 vcc_lo, exec_lo, s7
	s_cbranch_vccnz .LBB39_833
; %bb.832:
	global_load_b32 v0, v[4:5], off
	s_wait_loadcnt 0x0
	v_cvt_f32_f16_e32 v0, v0
	s_delay_alu instid0(VALU_DEP_1)
	v_cvt_i32_f32_e32 v1, v0
.LBB39_833:
	s_cbranch_execnz .LBB39_844
.LBB39_834:
	s_sext_i32_i16 s7, s37
	s_delay_alu instid0(SALU_CYCLE_1)
	s_cmp_lt_i32 s7, 6
	s_cbranch_scc1 .LBB39_837
; %bb.835:
	s_cmp_gt_i32 s7, 6
	s_cbranch_scc0 .LBB39_838
; %bb.836:
	s_wait_loadcnt 0x0
	global_load_b64 v[0:1], v[4:5], off
	s_mov_b32 s7, 0
	s_wait_loadcnt 0x0
	v_cvt_i32_f64_e32 v1, v[0:1]
	s_branch .LBB39_839
.LBB39_837:
	s_mov_b32 s7, -1
                                        ; implicit-def: $vgpr1
	s_branch .LBB39_842
.LBB39_838:
	s_mov_b32 s7, -1
                                        ; implicit-def: $vgpr1
.LBB39_839:
	s_delay_alu instid0(SALU_CYCLE_1)
	s_and_not1_b32 vcc_lo, exec_lo, s7
	s_cbranch_vccnz .LBB39_841
; %bb.840:
	global_load_b32 v0, v[4:5], off
	s_wait_loadcnt 0x0
	v_cvt_i32_f32_e32 v1, v0
.LBB39_841:
	s_mov_b32 s7, 0
.LBB39_842:
	s_delay_alu instid0(SALU_CYCLE_1)
	s_and_not1_b32 vcc_lo, exec_lo, s7
	s_cbranch_vccnz .LBB39_844
; %bb.843:
	global_load_u16 v0, v[4:5], off
	s_wait_loadcnt 0x0
	v_cvt_f32_f16_e32 v0, v0
	s_delay_alu instid0(VALU_DEP_1)
	v_cvt_i32_f32_e32 v1, v0
.LBB39_844:
	s_cbranch_execnz .LBB39_863
.LBB39_845:
	s_sext_i32_i16 s7, s37
	s_delay_alu instid0(SALU_CYCLE_1)
	s_cmp_lt_i32 s7, 2
	s_cbranch_scc1 .LBB39_849
; %bb.846:
	s_cmp_lt_i32 s7, 3
	s_cbranch_scc1 .LBB39_850
; %bb.847:
	s_cmp_gt_i32 s7, 3
	s_cbranch_scc0 .LBB39_851
; %bb.848:
	s_wait_loadcnt 0x0
	global_load_b32 v1, v[4:5], off
	s_mov_b32 s7, 0
	s_branch .LBB39_852
.LBB39_849:
                                        ; implicit-def: $vgpr1
	s_branch .LBB39_858
.LBB39_850:
	s_mov_b32 s7, -1
                                        ; implicit-def: $vgpr1
	s_branch .LBB39_855
.LBB39_851:
	s_mov_b32 s7, -1
                                        ; implicit-def: $vgpr1
.LBB39_852:
	s_delay_alu instid0(SALU_CYCLE_1)
	s_and_not1_b32 vcc_lo, exec_lo, s7
	s_cbranch_vccnz .LBB39_854
; %bb.853:
	s_wait_loadcnt 0x0
	global_load_b32 v1, v[4:5], off
.LBB39_854:
	s_mov_b32 s7, 0
.LBB39_855:
	s_delay_alu instid0(SALU_CYCLE_1)
	s_and_not1_b32 vcc_lo, exec_lo, s7
	s_cbranch_vccnz .LBB39_857
; %bb.856:
	s_wait_loadcnt 0x0
	global_load_i16 v1, v[4:5], off
.LBB39_857:
	s_cbranch_execnz .LBB39_863
.LBB39_858:
	s_sext_i32_i16 s7, s37
	s_delay_alu instid0(SALU_CYCLE_1)
	s_cmp_gt_i32 s7, 0
	s_mov_b32 s7, 0
	s_cbranch_scc0 .LBB39_860
; %bb.859:
	s_wait_loadcnt 0x0
	global_load_i8 v1, v[4:5], off
	s_branch .LBB39_861
.LBB39_860:
	s_mov_b32 s7, -1
                                        ; implicit-def: $vgpr1
.LBB39_861:
	s_delay_alu instid0(SALU_CYCLE_1)
	s_and_not1_b32 vcc_lo, exec_lo, s7
	s_cbranch_vccnz .LBB39_863
; %bb.862:
	s_wait_loadcnt 0x0
	global_load_u8 v1, v[4:5], off
.LBB39_863:
	s_or_b32 s0, s0, exec_lo
.LBB39_864:
	s_wait_xcnt 0x0
	s_or_b32 exec_lo, exec_lo, s6
	s_mov_b32 s8, 0
	s_and_saveexec_b32 s6, s0
	s_delay_alu instid0(SALU_CYCLE_1)
	s_xor_b32 s6, exec_lo, s6
	s_cbranch_execz .LBB39_866
; %bb.865:
	s_wait_loadcnt 0x0
	s_delay_alu instid0(VALU_DEP_1) | instskip(SKIP_4) | instid1(SALU_CYCLE_1)
	v_cmp_le_i32_e32 vcc_lo, s35, v1
	v_cmp_gt_i32_e64 s0, s36, v1
	s_and_not1_b32 s7, s43, exec_lo
	s_mov_b32 s8, exec_lo
	s_and_b32 s0, vcc_lo, s0
	s_and_b32 s0, s9, s0
	s_delay_alu instid0(SALU_CYCLE_1) | instskip(NEXT) | instid1(SALU_CYCLE_1)
	s_xor_b32 s0, s0, -1
	s_and_b32 s0, s0, exec_lo
	s_delay_alu instid0(SALU_CYCLE_1)
	s_or_b32 s43, s7, s0
.LBB39_866:
	s_or_b32 exec_lo, exec_lo, s6
	s_and_saveexec_b32 s0, s43
	s_cbranch_execnz .LBB39_879
.LBB39_867:
	s_or_b32 exec_lo, exec_lo, s0
	s_mov_b32 s9, 0
	s_mov_b32 s7, 0
                                        ; implicit-def: $sgpr0
                                        ; implicit-def: $vgpr0_vgpr1
	s_and_saveexec_b32 s6, s8
	s_cbranch_execz .LBB39_875
; %bb.868:
	v_mov_b32_e32 v3, 0
	s_and_b32 s0, s34, 0xff
	s_delay_alu instid0(SALU_CYCLE_1) | instskip(SKIP_1) | instid1(VALU_DEP_1)
	s_cmp_lt_i32 s0, 11
	s_wait_loadcnt 0x0
	v_add_nc_u64_e32 v[0:1], s[4:5], v[2:3]
	s_cbranch_scc1 .LBB39_878
; %bb.869:
	s_and_b32 s5, 0xffff, s0
	s_mov_b32 s7, -1
	s_cmp_gt_i32 s5, 25
	s_mov_b32 s4, s42
	s_cbranch_scc0 .LBB39_899
; %bb.870:
	s_cmp_gt_i32 s5, 28
	s_mov_b32 s4, s42
	s_cbranch_scc0 .LBB39_889
; %bb.871:
	;; [unrolled: 4-line block ×4, first 2 shown]
	s_cmp_eq_u32 s5, 46
	s_mov_b32 s4, -1
	s_cbranch_scc0 .LBB39_880
; %bb.874:
	v_mov_b32_e32 v2, 0
	s_mov_b32 s4, 0
	s_mov_b32 s7, 0
	global_store_b32 v[0:1], v2, off
	s_branch .LBB39_881
.LBB39_875:
	s_or_b32 exec_lo, exec_lo, s6
	s_and_saveexec_b32 s4, s42
	s_cbranch_execnz .LBB39_919
.LBB39_876:
	s_or_b32 exec_lo, exec_lo, s4
	s_and_saveexec_b32 s4, s9
	s_delay_alu instid0(SALU_CYCLE_1)
	s_xor_b32 s4, exec_lo, s4
	s_cbranch_execz .LBB39_920
.LBB39_877:
	v_mov_b32_e32 v2, 0
	s_wait_loadcnt 0x0
	global_store_b8 v[0:1], v2, off
	s_wait_xcnt 0x0
	s_or_b32 exec_lo, exec_lo, s4
	s_and_saveexec_b32 s4, s7
	s_delay_alu instid0(SALU_CYCLE_1)
	s_xor_b32 s4, exec_lo, s4
	s_cbranch_execz .LBB39_958
	s_branch .LBB39_921
.LBB39_878:
	s_mov_b32 s8, 0
	s_mov_b32 s7, -1
	s_mov_b32 s4, s42
	s_branch .LBB39_918
.LBB39_879:
	s_or_b32 s1, s1, exec_lo
	s_and_not1_b32 s8, s8, exec_lo
	s_trap 2
	s_branch .LBB39_867
.LBB39_880:
	s_mov_b32 s7, 0
.LBB39_881:
	s_delay_alu instid0(SALU_CYCLE_1)
	s_and_b32 vcc_lo, exec_lo, s7
	s_cbranch_vccz .LBB39_884
; %bb.882:
	s_cmp_eq_u32 s5, 44
	s_mov_b32 s4, -1
	s_cbranch_scc0 .LBB39_884
; %bb.883:
	s_wait_xcnt 0x0
	v_mov_b32_e32 v2, 0
	s_mov_b32 s4, 0
	s_mov_b32 s7, 0
	global_store_b8 v[0:1], v2, off
	s_branch .LBB39_885
.LBB39_884:
	s_mov_b32 s7, 0
.LBB39_885:
	s_delay_alu instid0(SALU_CYCLE_1)
	s_and_b32 vcc_lo, exec_lo, s7
	s_cbranch_vccz .LBB39_888
; %bb.886:
	s_cmp_eq_u32 s5, 29
	s_mov_b32 s4, -1
	s_cbranch_scc0 .LBB39_888
; %bb.887:
	s_wait_xcnt 0x0
	v_mov_b64_e32 v[2:3], 0
	s_mov_b32 s4, 0
	s_mov_b32 s7, 0
	global_store_b64 v[0:1], v[2:3], off
	s_branch .LBB39_889
.LBB39_888:
	s_mov_b32 s7, 0
.LBB39_889:
	s_delay_alu instid0(SALU_CYCLE_1)
	s_and_b32 vcc_lo, exec_lo, s7
	s_cbranch_vccz .LBB39_898
; %bb.890:
	s_cmp_lt_i32 s5, 27
	s_mov_b32 s7, -1
	s_cbranch_scc1 .LBB39_896
; %bb.891:
	s_cmp_gt_i32 s5, 27
	s_cbranch_scc0 .LBB39_893
; %bb.892:
	s_wait_xcnt 0x0
	v_mov_b32_e32 v2, 0
	s_mov_b32 s7, 0
	global_store_b32 v[0:1], v2, off
.LBB39_893:
	s_and_not1_b32 vcc_lo, exec_lo, s7
	s_cbranch_vccnz .LBB39_895
; %bb.894:
	s_wait_xcnt 0x0
	v_mov_b32_e32 v2, 0
	global_store_b16 v[0:1], v2, off
.LBB39_895:
	s_mov_b32 s7, 0
.LBB39_896:
	s_delay_alu instid0(SALU_CYCLE_1)
	s_and_not1_b32 vcc_lo, exec_lo, s7
	s_cbranch_vccnz .LBB39_898
; %bb.897:
	s_wait_xcnt 0x0
	v_mov_b32_e32 v2, 0
	global_store_b8 v[0:1], v2, off
.LBB39_898:
	s_mov_b32 s7, 0
.LBB39_899:
	s_delay_alu instid0(SALU_CYCLE_1)
	s_and_b32 vcc_lo, exec_lo, s7
	s_mov_b32 s7, 0
	s_cbranch_vccz .LBB39_917
; %bb.900:
	s_cmp_gt_i32 s5, 22
	s_mov_b32 s8, -1
	s_cbranch_scc0 .LBB39_910
; %bb.901:
	s_cmp_lt_i32 s5, 24
	s_cbranch_scc1 .LBB39_907
; %bb.902:
	s_cmp_gt_i32 s5, 24
	s_cbranch_scc0 .LBB39_904
; %bb.903:
	s_wait_xcnt 0x0
	v_mov_b32_e32 v2, 0
	s_mov_b32 s8, 0
	global_store_b8 v[0:1], v2, off
.LBB39_904:
	s_and_not1_b32 vcc_lo, exec_lo, s8
	s_cbranch_vccnz .LBB39_906
; %bb.905:
	s_wait_xcnt 0x0
	v_mov_b32_e32 v2, 0
	global_store_b8 v[0:1], v2, off
.LBB39_906:
	s_mov_b32 s8, 0
.LBB39_907:
	s_delay_alu instid0(SALU_CYCLE_1)
	s_and_not1_b32 vcc_lo, exec_lo, s8
	s_cbranch_vccnz .LBB39_909
; %bb.908:
	s_wait_xcnt 0x0
	v_mov_b32_e32 v2, 0
	global_store_b8 v[0:1], v2, off
.LBB39_909:
	s_mov_b32 s8, 0
.LBB39_910:
	s_delay_alu instid0(SALU_CYCLE_1)
	s_and_not1_b32 vcc_lo, exec_lo, s8
	s_mov_b32 s8, 0
	s_cbranch_vccnz .LBB39_918
; %bb.911:
	s_cmp_gt_i32 s5, 14
	s_mov_b32 s8, -1
	s_cbranch_scc0 .LBB39_915
; %bb.912:
	s_cmp_eq_u32 s5, 15
	s_mov_b32 s4, -1
	s_cbranch_scc0 .LBB39_914
; %bb.913:
	s_wait_xcnt 0x0
	v_mov_b32_e32 v2, 0
	s_mov_b32 s4, 0
	global_store_b16 v[0:1], v2, off
.LBB39_914:
	s_mov_b32 s8, 0
.LBB39_915:
	s_delay_alu instid0(SALU_CYCLE_1)
	s_and_b32 vcc_lo, exec_lo, s8
	s_mov_b32 s8, 0
	s_cbranch_vccz .LBB39_918
; %bb.916:
	s_cmp_lg_u32 s5, 11
	s_mov_b32 s8, -1
	s_cselect_b32 s5, -1, 0
	s_and_not1_b32 s4, s4, exec_lo
	s_and_b32 s5, s5, exec_lo
	s_delay_alu instid0(SALU_CYCLE_1)
	s_or_b32 s4, s4, s5
	s_branch .LBB39_918
.LBB39_917:
	s_mov_b32 s8, 0
.LBB39_918:
	s_and_not1_b32 s5, s42, exec_lo
	s_and_b32 s4, s4, exec_lo
	s_and_b32 s7, s7, exec_lo
	;; [unrolled: 1-line block ×3, first 2 shown]
	s_or_b32 s42, s5, s4
	s_wait_xcnt 0x0
	s_or_b32 exec_lo, exec_lo, s6
	s_and_saveexec_b32 s4, s42
	s_cbranch_execz .LBB39_876
.LBB39_919:
	s_or_b32 s1, s1, exec_lo
	s_and_not1_b32 s9, s9, exec_lo
	s_trap 2
	s_or_b32 exec_lo, exec_lo, s4
	s_and_saveexec_b32 s4, s9
	s_delay_alu instid0(SALU_CYCLE_1)
	s_xor_b32 s4, exec_lo, s4
	s_cbranch_execnz .LBB39_877
.LBB39_920:
	s_or_b32 exec_lo, exec_lo, s4
	s_and_saveexec_b32 s4, s7
	s_delay_alu instid0(SALU_CYCLE_1)
	s_xor_b32 s4, exec_lo, s4
	s_cbranch_execz .LBB39_958
.LBB39_921:
	s_sext_i32_i16 s6, s0
	s_mov_b32 s5, -1
	s_cmp_lt_i32 s6, 5
	s_cbranch_scc1 .LBB39_942
; %bb.922:
	s_cmp_lt_i32 s6, 8
	s_cbranch_scc1 .LBB39_932
; %bb.923:
	;; [unrolled: 3-line block ×3, first 2 shown]
	s_cmp_gt_i32 s6, 9
	s_cbranch_scc0 .LBB39_926
; %bb.925:
	v_mov_b32_e32 v2, 0
	s_mov_b32 s5, 0
	s_delay_alu instid0(VALU_DEP_1)
	v_dual_mov_b32 v3, v2 :: v_dual_mov_b32 v4, v2
	v_mov_b32_e32 v5, v2
	s_wait_loadcnt 0x0
	global_store_b128 v[0:1], v[2:5], off
.LBB39_926:
	s_and_not1_b32 vcc_lo, exec_lo, s5
	s_cbranch_vccnz .LBB39_928
; %bb.927:
	s_wait_xcnt 0x0
	v_mov_b64_e32 v[2:3], 0
	s_wait_loadcnt 0x0
	global_store_b64 v[0:1], v[2:3], off
.LBB39_928:
	s_mov_b32 s5, 0
.LBB39_929:
	s_delay_alu instid0(SALU_CYCLE_1)
	s_and_not1_b32 vcc_lo, exec_lo, s5
	s_cbranch_vccnz .LBB39_931
; %bb.930:
	s_wait_xcnt 0x0
	v_mov_b32_e32 v2, 0
	s_wait_loadcnt 0x0
	global_store_b32 v[0:1], v2, off
.LBB39_931:
	s_mov_b32 s5, 0
.LBB39_932:
	s_delay_alu instid0(SALU_CYCLE_1)
	s_and_not1_b32 vcc_lo, exec_lo, s5
	s_cbranch_vccnz .LBB39_941
; %bb.933:
	s_sext_i32_i16 s6, s0
	s_mov_b32 s5, -1
	s_cmp_lt_i32 s6, 6
	s_cbranch_scc1 .LBB39_939
; %bb.934:
	s_cmp_gt_i32 s6, 6
	s_cbranch_scc0 .LBB39_936
; %bb.935:
	s_wait_xcnt 0x0
	v_mov_b64_e32 v[2:3], 0
	s_mov_b32 s5, 0
	s_wait_loadcnt 0x0
	global_store_b64 v[0:1], v[2:3], off
.LBB39_936:
	s_and_not1_b32 vcc_lo, exec_lo, s5
	s_cbranch_vccnz .LBB39_938
; %bb.937:
	s_wait_xcnt 0x0
	v_mov_b32_e32 v2, 0
	s_wait_loadcnt 0x0
	global_store_b32 v[0:1], v2, off
.LBB39_938:
	s_mov_b32 s5, 0
.LBB39_939:
	s_delay_alu instid0(SALU_CYCLE_1)
	s_and_not1_b32 vcc_lo, exec_lo, s5
	s_cbranch_vccnz .LBB39_941
; %bb.940:
	s_wait_xcnt 0x0
	v_mov_b32_e32 v2, 0
	s_wait_loadcnt 0x0
	global_store_b16 v[0:1], v2, off
.LBB39_941:
	s_mov_b32 s5, 0
.LBB39_942:
	s_delay_alu instid0(SALU_CYCLE_1)
	s_and_not1_b32 vcc_lo, exec_lo, s5
	s_cbranch_vccnz .LBB39_958
; %bb.943:
	s_sext_i32_i16 s6, s0
	s_mov_b32 s5, -1
	s_cmp_lt_i32 s6, 2
	s_cbranch_scc1 .LBB39_953
; %bb.944:
	s_cmp_lt_i32 s6, 3
	s_cbranch_scc1 .LBB39_950
; %bb.945:
	s_cmp_gt_i32 s6, 3
	s_cbranch_scc0 .LBB39_947
; %bb.946:
	s_wait_xcnt 0x0
	v_mov_b64_e32 v[2:3], 0
	s_mov_b32 s5, 0
	s_wait_loadcnt 0x0
	global_store_b64 v[0:1], v[2:3], off
.LBB39_947:
	s_and_not1_b32 vcc_lo, exec_lo, s5
	s_cbranch_vccnz .LBB39_949
; %bb.948:
	s_wait_xcnt 0x0
	v_mov_b32_e32 v2, 0
	s_wait_loadcnt 0x0
	global_store_b32 v[0:1], v2, off
.LBB39_949:
	s_mov_b32 s5, 0
.LBB39_950:
	s_delay_alu instid0(SALU_CYCLE_1)
	s_and_not1_b32 vcc_lo, exec_lo, s5
	s_cbranch_vccnz .LBB39_952
; %bb.951:
	s_wait_xcnt 0x0
	v_mov_b32_e32 v2, 0
	s_wait_loadcnt 0x0
	global_store_b16 v[0:1], v2, off
.LBB39_952:
	s_mov_b32 s5, 0
.LBB39_953:
	s_delay_alu instid0(SALU_CYCLE_1)
	s_and_not1_b32 vcc_lo, exec_lo, s5
	s_cbranch_vccnz .LBB39_958
; %bb.954:
	s_sext_i32_i16 s0, s0
	s_delay_alu instid0(SALU_CYCLE_1)
	s_cmp_gt_i32 s0, 0
	s_mov_b32 s0, -1
	s_cbranch_scc0 .LBB39_956
; %bb.955:
	s_wait_xcnt 0x0
	v_mov_b32_e32 v2, 0
	s_mov_b32 s0, 0
	s_wait_loadcnt 0x0
	global_store_b8 v[0:1], v2, off
.LBB39_956:
	s_and_not1_b32 vcc_lo, exec_lo, s0
	s_cbranch_vccnz .LBB39_958
; %bb.957:
	s_wait_xcnt 0x0
	v_mov_b32_e32 v2, 0
	s_wait_loadcnt 0x0
	global_store_b8 v[0:1], v2, off
.LBB39_958:
	s_wait_xcnt 0x0
	s_or_b32 exec_lo, exec_lo, s4
	s_delay_alu instid0(SALU_CYCLE_1)
	s_and_b32 s10, s1, exec_lo
                                        ; implicit-def: $vgpr9
                                        ; implicit-def: $vgpr0
.LBB39_959:
	s_or_saveexec_b32 s11, s33
	s_mov_b32 s4, 0
                                        ; implicit-def: $vgpr14_vgpr15
                                        ; implicit-def: $sgpr0
	s_xor_b32 exec_lo, exec_lo, s11
	s_cbranch_execz .LBB39_1854
; %bb.960:
	s_wait_loadcnt 0x0
	v_cndmask_b32_e64 v1, 0, 1, s31
	s_and_not1_b32 vcc_lo, exec_lo, s31
	s_cbranch_vccnz .LBB39_966
; %bb.961:
	s_cmp_lg_u32 s28, 0
	s_mov_b32 s8, 0
	s_cbranch_scc0 .LBB39_967
; %bb.962:
	s_min_u32 s1, s29, 15
	s_delay_alu instid0(SALU_CYCLE_1)
	s_add_co_i32 s1, s1, 1
	s_cmp_eq_u32 s29, 2
	s_cbranch_scc1 .LBB39_968
; %bb.963:
	v_dual_mov_b32 v6, 0 :: v_dual_mov_b32 v14, 0
	v_mov_b32_e32 v2, v0
	s_and_b32 s0, s1, 28
	s_add_nc_u64 s[4:5], s[2:3], 0xc4
	s_mov_b32 s9, 0
	s_mov_b64 s[6:7], s[2:3]
.LBB39_964:                             ; =>This Inner Loop Header: Depth=1
	s_clause 0x1
	s_load_b256 s[12:19], s[6:7], 0x4
	s_load_b128 s[36:39], s[6:7], 0x24
	s_load_b256 s[20:27], s[4:5], 0x0
	s_add_co_i32 s9, s9, 4
	s_wait_xcnt 0x0
	s_add_nc_u64 s[6:7], s[6:7], 48
	s_cmp_lg_u32 s0, s9
	s_add_nc_u64 s[4:5], s[4:5], 32
	s_wait_kmcnt 0x0
	v_mul_hi_u32 v3, s13, v2
	s_delay_alu instid0(VALU_DEP_1) | instskip(NEXT) | instid1(VALU_DEP_1)
	v_add_nc_u32_e32 v3, v2, v3
	v_lshrrev_b32_e32 v3, s14, v3
	s_delay_alu instid0(VALU_DEP_1) | instskip(NEXT) | instid1(VALU_DEP_1)
	v_mul_hi_u32 v4, s16, v3
	v_add_nc_u32_e32 v4, v3, v4
	s_delay_alu instid0(VALU_DEP_1) | instskip(NEXT) | instid1(VALU_DEP_1)
	v_lshrrev_b32_e32 v4, s17, v4
	v_mul_hi_u32 v5, s19, v4
	s_delay_alu instid0(VALU_DEP_1) | instskip(SKIP_1) | instid1(VALU_DEP_1)
	v_add_nc_u32_e32 v5, v4, v5
	v_mul_lo_u32 v7, v3, s12
	v_sub_nc_u32_e32 v2, v2, v7
	v_mul_lo_u32 v7, v4, s15
	s_delay_alu instid0(VALU_DEP_4) | instskip(NEXT) | instid1(VALU_DEP_3)
	v_lshrrev_b32_e32 v5, s36, v5
	v_mad_u32 v10, v2, s21, v14
	v_mad_u32 v2, v2, s20, v6
	s_delay_alu instid0(VALU_DEP_4) | instskip(NEXT) | instid1(VALU_DEP_4)
	v_sub_nc_u32_e32 v3, v3, v7
	v_mul_hi_u32 v8, s38, v5
	v_mul_lo_u32 v6, v5, s18
	s_delay_alu instid0(VALU_DEP_1) | instskip(NEXT) | instid1(VALU_DEP_4)
	v_dual_add_nc_u32 v7, v5, v8 :: v_dual_sub_nc_u32 v4, v4, v6
	v_mad_u32 v8, v3, s23, v10
	v_mad_u32 v3, v3, s22, v2
	s_delay_alu instid0(VALU_DEP_3) | instskip(NEXT) | instid1(VALU_DEP_1)
	v_lshrrev_b32_e32 v2, s39, v7
	v_mul_lo_u32 v6, v2, s37
	s_delay_alu instid0(VALU_DEP_4) | instskip(NEXT) | instid1(VALU_DEP_4)
	v_mad_u32 v7, v4, s25, v8
	v_mad_u32 v3, v4, s24, v3
	s_delay_alu instid0(VALU_DEP_3) | instskip(NEXT) | instid1(VALU_DEP_1)
	v_sub_nc_u32_e32 v4, v5, v6
	v_mad_u32 v14, v4, s27, v7
	s_delay_alu instid0(VALU_DEP_3)
	v_mad_u32 v6, v4, s26, v3
	s_cbranch_scc1 .LBB39_964
; %bb.965:
	s_delay_alu instid0(VALU_DEP_2)
	v_mov_b32_e32 v7, v14
	s_and_b32 s6, s1, 3
	s_mov_b32 s1, 0
	s_cmp_eq_u32 s6, 0
	s_cbranch_scc0 .LBB39_969
	s_branch .LBB39_972
.LBB39_966:
	s_mov_b32 s8, -1
                                        ; implicit-def: $vgpr14
                                        ; implicit-def: $vgpr6
	s_branch .LBB39_972
.LBB39_967:
	v_dual_mov_b32 v14, 0 :: v_dual_mov_b32 v6, 0
	s_branch .LBB39_972
.LBB39_968:
	v_mov_b64_e32 v[6:7], 0
	v_mov_b32_e32 v2, v0
	s_mov_b32 s0, 0
                                        ; implicit-def: $vgpr14
	s_and_b32 s6, s1, 3
	s_mov_b32 s1, 0
	s_cmp_eq_u32 s6, 0
	s_cbranch_scc1 .LBB39_972
.LBB39_969:
	s_lshl_b32 s4, s0, 3
	s_mov_b32 s5, s1
	s_mul_u64 s[12:13], s[0:1], 12
	s_add_nc_u64 s[4:5], s[2:3], s[4:5]
	s_delay_alu instid0(SALU_CYCLE_1)
	s_add_nc_u64 s[0:1], s[4:5], 0xc4
	s_add_nc_u64 s[4:5], s[2:3], s[12:13]
.LBB39_970:                             ; =>This Inner Loop Header: Depth=1
	s_load_b96 s[12:14], s[4:5], 0x4
	s_add_co_i32 s6, s6, -1
	s_wait_xcnt 0x0
	s_add_nc_u64 s[4:5], s[4:5], 12
	s_cmp_lg_u32 s6, 0
	s_wait_kmcnt 0x0
	v_mul_hi_u32 v3, s13, v2
	s_delay_alu instid0(VALU_DEP_1) | instskip(NEXT) | instid1(VALU_DEP_1)
	v_add_nc_u32_e32 v3, v2, v3
	v_lshrrev_b32_e32 v3, s14, v3
	s_load_b64 s[14:15], s[0:1], 0x0
	s_wait_xcnt 0x0
	s_add_nc_u64 s[0:1], s[0:1], 8
	s_delay_alu instid0(VALU_DEP_1) | instskip(NEXT) | instid1(VALU_DEP_1)
	v_mul_lo_u32 v4, v3, s12
	v_sub_nc_u32_e32 v2, v2, v4
	s_wait_kmcnt 0x0
	s_delay_alu instid0(VALU_DEP_1)
	v_mad_u32 v7, v2, s15, v7
	v_mad_u32 v6, v2, s14, v6
	v_mov_b32_e32 v2, v3
	s_cbranch_scc1 .LBB39_970
; %bb.971:
	s_delay_alu instid0(VALU_DEP_3)
	v_mov_b32_e32 v14, v7
.LBB39_972:
	s_and_not1_b32 vcc_lo, exec_lo, s8
	s_cbranch_vccnz .LBB39_975
; %bb.973:
	s_clause 0x1
	s_load_b96 s[4:6], s[2:3], 0x4
	s_load_b64 s[0:1], s[2:3], 0xc4
	s_cmp_lt_u32 s28, 2
	s_wait_kmcnt 0x0
	v_mul_hi_u32 v2, s5, v0
	s_delay_alu instid0(VALU_DEP_1) | instskip(NEXT) | instid1(VALU_DEP_1)
	v_add_nc_u32_e32 v2, v0, v2
	v_lshrrev_b32_e32 v2, s6, v2
	s_delay_alu instid0(VALU_DEP_1) | instskip(NEXT) | instid1(VALU_DEP_1)
	v_mul_lo_u32 v3, v2, s4
	v_sub_nc_u32_e32 v3, v0, v3
	s_delay_alu instid0(VALU_DEP_1)
	v_mul_lo_u32 v14, v3, s1
	v_mul_lo_u32 v6, v3, s0
	s_cbranch_scc1 .LBB39_975
; %bb.974:
	s_clause 0x1
	s_load_b96 s[4:6], s[2:3], 0x10
	s_load_b64 s[0:1], s[2:3], 0xcc
	s_wait_kmcnt 0x0
	v_mul_hi_u32 v3, s5, v2
	s_delay_alu instid0(VALU_DEP_1) | instskip(NEXT) | instid1(VALU_DEP_1)
	v_add_nc_u32_e32 v3, v2, v3
	v_lshrrev_b32_e32 v3, s6, v3
	s_delay_alu instid0(VALU_DEP_1) | instskip(NEXT) | instid1(VALU_DEP_1)
	v_mul_lo_u32 v3, v3, s4
	v_sub_nc_u32_e32 v2, v2, v3
	s_delay_alu instid0(VALU_DEP_1)
	v_mad_u32 v6, v2, s0, v6
	v_mad_u32 v14, v2, s1, v14
.LBB39_975:
	v_cmp_ne_u32_e32 vcc_lo, 1, v1
	v_add_nc_u32_e32 v2, 0x80, v0
	s_cbranch_vccnz .LBB39_981
; %bb.976:
	s_cmp_lg_u32 s28, 0
	s_mov_b32 s8, 0
	s_cbranch_scc0 .LBB39_982
; %bb.977:
	s_min_u32 s1, s29, 15
	s_delay_alu instid0(SALU_CYCLE_1)
	s_add_co_i32 s1, s1, 1
	s_cmp_eq_u32 s29, 2
	s_cbranch_scc1 .LBB39_983
; %bb.978:
	v_dual_mov_b32 v4, 0 :: v_dual_mov_b32 v12, 0
	v_mov_b32_e32 v3, v2
	s_and_b32 s0, s1, 28
	s_add_nc_u64 s[4:5], s[2:3], 0xc4
	s_mov_b32 s9, 0
	s_mov_b64 s[6:7], s[2:3]
.LBB39_979:                             ; =>This Inner Loop Header: Depth=1
	s_clause 0x1
	s_load_b256 s[12:19], s[6:7], 0x4
	s_load_b128 s[36:39], s[6:7], 0x24
	s_load_b256 s[20:27], s[4:5], 0x0
	s_add_co_i32 s9, s9, 4
	s_wait_xcnt 0x0
	s_add_nc_u64 s[6:7], s[6:7], 48
	s_cmp_lg_u32 s0, s9
	s_add_nc_u64 s[4:5], s[4:5], 32
	s_wait_kmcnt 0x0
	v_mul_hi_u32 v5, s13, v3
	s_delay_alu instid0(VALU_DEP_1) | instskip(NEXT) | instid1(VALU_DEP_1)
	v_add_nc_u32_e32 v5, v3, v5
	v_lshrrev_b32_e32 v5, s14, v5
	s_delay_alu instid0(VALU_DEP_1) | instskip(NEXT) | instid1(VALU_DEP_1)
	v_mul_hi_u32 v7, s16, v5
	v_add_nc_u32_e32 v7, v5, v7
	s_delay_alu instid0(VALU_DEP_1) | instskip(NEXT) | instid1(VALU_DEP_1)
	v_lshrrev_b32_e32 v7, s17, v7
	v_mul_hi_u32 v8, s19, v7
	s_delay_alu instid0(VALU_DEP_1) | instskip(SKIP_1) | instid1(VALU_DEP_1)
	v_add_nc_u32_e32 v8, v7, v8
	v_mul_lo_u32 v10, v5, s12
	v_sub_nc_u32_e32 v3, v3, v10
	v_mul_lo_u32 v10, v7, s15
	s_delay_alu instid0(VALU_DEP_4) | instskip(NEXT) | instid1(VALU_DEP_3)
	v_lshrrev_b32_e32 v8, s36, v8
	v_mad_u32 v12, v3, s21, v12
	v_mad_u32 v3, v3, s20, v4
	s_delay_alu instid0(VALU_DEP_4) | instskip(NEXT) | instid1(VALU_DEP_4)
	v_sub_nc_u32_e32 v4, v5, v10
	v_mul_hi_u32 v11, s38, v8
	v_mul_lo_u32 v5, v8, s18
	s_delay_alu instid0(VALU_DEP_1) | instskip(NEXT) | instid1(VALU_DEP_4)
	v_dual_add_nc_u32 v10, v8, v11 :: v_dual_sub_nc_u32 v5, v7, v5
	v_mad_u32 v11, v4, s23, v12
	v_mad_u32 v4, v4, s22, v3
	s_delay_alu instid0(VALU_DEP_3) | instskip(NEXT) | instid1(VALU_DEP_1)
	v_lshrrev_b32_e32 v3, s39, v10
	v_mul_lo_u32 v7, v3, s37
	s_delay_alu instid0(VALU_DEP_4) | instskip(NEXT) | instid1(VALU_DEP_4)
	v_mad_u32 v10, v5, s25, v11
	v_mad_u32 v4, v5, s24, v4
	s_delay_alu instid0(VALU_DEP_3) | instskip(NEXT) | instid1(VALU_DEP_1)
	v_sub_nc_u32_e32 v5, v8, v7
	v_mad_u32 v12, v5, s27, v10
	s_delay_alu instid0(VALU_DEP_3)
	v_mad_u32 v4, v5, s26, v4
	s_cbranch_scc1 .LBB39_979
; %bb.980:
	s_delay_alu instid0(VALU_DEP_2)
	v_mov_b32_e32 v5, v12
	s_and_b32 s6, s1, 3
	s_mov_b32 s1, 0
	s_cmp_eq_u32 s6, 0
	s_cbranch_scc0 .LBB39_984
	s_branch .LBB39_987
.LBB39_981:
	s_mov_b32 s8, -1
                                        ; implicit-def: $vgpr12
                                        ; implicit-def: $vgpr4
	s_branch .LBB39_987
.LBB39_982:
	v_dual_mov_b32 v12, 0 :: v_dual_mov_b32 v4, 0
	s_branch .LBB39_987
.LBB39_983:
	v_mov_b64_e32 v[4:5], 0
	v_mov_b32_e32 v3, v2
	s_mov_b32 s0, 0
                                        ; implicit-def: $vgpr12
	s_and_b32 s6, s1, 3
	s_mov_b32 s1, 0
	s_cmp_eq_u32 s6, 0
	s_cbranch_scc1 .LBB39_987
.LBB39_984:
	s_lshl_b32 s4, s0, 3
	s_mov_b32 s5, s1
	s_mul_u64 s[12:13], s[0:1], 12
	s_add_nc_u64 s[4:5], s[2:3], s[4:5]
	s_delay_alu instid0(SALU_CYCLE_1)
	s_add_nc_u64 s[0:1], s[4:5], 0xc4
	s_add_nc_u64 s[4:5], s[2:3], s[12:13]
.LBB39_985:                             ; =>This Inner Loop Header: Depth=1
	s_load_b96 s[12:14], s[4:5], 0x4
	s_add_co_i32 s6, s6, -1
	s_wait_xcnt 0x0
	s_add_nc_u64 s[4:5], s[4:5], 12
	s_cmp_lg_u32 s6, 0
	s_wait_kmcnt 0x0
	v_mul_hi_u32 v7, s13, v3
	s_delay_alu instid0(VALU_DEP_1) | instskip(NEXT) | instid1(VALU_DEP_1)
	v_add_nc_u32_e32 v7, v3, v7
	v_lshrrev_b32_e32 v7, s14, v7
	s_load_b64 s[14:15], s[0:1], 0x0
	s_wait_xcnt 0x0
	s_add_nc_u64 s[0:1], s[0:1], 8
	s_delay_alu instid0(VALU_DEP_1) | instskip(NEXT) | instid1(VALU_DEP_1)
	v_mul_lo_u32 v8, v7, s12
	v_sub_nc_u32_e32 v3, v3, v8
	s_wait_kmcnt 0x0
	s_delay_alu instid0(VALU_DEP_1)
	v_mad_u32 v5, v3, s15, v5
	v_mad_u32 v4, v3, s14, v4
	v_mov_b32_e32 v3, v7
	s_cbranch_scc1 .LBB39_985
; %bb.986:
	s_delay_alu instid0(VALU_DEP_3)
	v_mov_b32_e32 v12, v5
.LBB39_987:
	s_and_not1_b32 vcc_lo, exec_lo, s8
	s_cbranch_vccnz .LBB39_990
; %bb.988:
	s_clause 0x1
	s_load_b96 s[4:6], s[2:3], 0x4
	s_load_b64 s[0:1], s[2:3], 0xc4
	s_cmp_lt_u32 s28, 2
	s_wait_kmcnt 0x0
	v_mul_hi_u32 v3, s5, v2
	s_delay_alu instid0(VALU_DEP_1) | instskip(NEXT) | instid1(VALU_DEP_1)
	v_add_nc_u32_e32 v3, v2, v3
	v_lshrrev_b32_e32 v3, s6, v3
	s_delay_alu instid0(VALU_DEP_1) | instskip(NEXT) | instid1(VALU_DEP_1)
	v_mul_lo_u32 v4, v3, s4
	v_sub_nc_u32_e32 v2, v2, v4
	s_delay_alu instid0(VALU_DEP_1)
	v_mul_lo_u32 v12, v2, s1
	v_mul_lo_u32 v4, v2, s0
	s_cbranch_scc1 .LBB39_990
; %bb.989:
	s_clause 0x1
	s_load_b96 s[4:6], s[2:3], 0x10
	s_load_b64 s[0:1], s[2:3], 0xcc
	s_wait_kmcnt 0x0
	v_mul_hi_u32 v2, s5, v3
	s_delay_alu instid0(VALU_DEP_1) | instskip(NEXT) | instid1(VALU_DEP_1)
	v_add_nc_u32_e32 v2, v3, v2
	v_lshrrev_b32_e32 v2, s6, v2
	s_delay_alu instid0(VALU_DEP_1) | instskip(NEXT) | instid1(VALU_DEP_1)
	v_mul_lo_u32 v2, v2, s4
	v_sub_nc_u32_e32 v2, v3, v2
	s_delay_alu instid0(VALU_DEP_1)
	v_mad_u32 v4, v2, s0, v4
	v_mad_u32 v12, v2, s1, v12
.LBB39_990:
	v_cmp_ne_u32_e32 vcc_lo, 1, v1
	v_add_nc_u32_e32 v0, 0x100, v0
	s_cbranch_vccnz .LBB39_996
; %bb.991:
	s_cmp_lg_u32 s28, 0
	s_mov_b32 s8, 0
	s_cbranch_scc0 .LBB39_997
; %bb.992:
	s_min_u32 s1, s29, 15
	s_delay_alu instid0(SALU_CYCLE_1)
	s_add_co_i32 s1, s1, 1
	s_cmp_eq_u32 s29, 2
	s_cbranch_scc1 .LBB39_998
; %bb.993:
	v_dual_mov_b32 v2, 0 :: v_dual_mov_b32 v10, 0
	v_mov_b32_e32 v5, v0
	s_and_b32 s0, s1, 28
	s_add_nc_u64 s[4:5], s[2:3], 0xc4
	s_mov_b32 s9, 0
	s_mov_b64 s[6:7], s[2:3]
.LBB39_994:                             ; =>This Inner Loop Header: Depth=1
	s_clause 0x1
	s_load_b256 s[12:19], s[6:7], 0x4
	s_load_b128 s[36:39], s[6:7], 0x24
	s_load_b256 s[20:27], s[4:5], 0x0
	s_add_co_i32 s9, s9, 4
	s_wait_xcnt 0x0
	s_add_nc_u64 s[6:7], s[6:7], 48
	s_cmp_lg_u32 s0, s9
	s_add_nc_u64 s[4:5], s[4:5], 32
	s_wait_kmcnt 0x0
	v_mul_hi_u32 v3, s13, v5
	s_delay_alu instid0(VALU_DEP_1) | instskip(NEXT) | instid1(VALU_DEP_1)
	v_add_nc_u32_e32 v3, v5, v3
	v_lshrrev_b32_e32 v3, s14, v3
	s_delay_alu instid0(VALU_DEP_1) | instskip(NEXT) | instid1(VALU_DEP_1)
	v_mul_hi_u32 v7, s16, v3
	v_add_nc_u32_e32 v7, v3, v7
	s_delay_alu instid0(VALU_DEP_1) | instskip(NEXT) | instid1(VALU_DEP_1)
	v_lshrrev_b32_e32 v7, s17, v7
	v_mul_hi_u32 v8, s19, v7
	s_delay_alu instid0(VALU_DEP_1) | instskip(NEXT) | instid1(VALU_DEP_1)
	v_add_nc_u32_e32 v8, v7, v8
	v_lshrrev_b32_e32 v8, s36, v8
	v_mul_lo_u32 v11, v3, s12
	s_delay_alu instid0(VALU_DEP_2) | instskip(NEXT) | instid1(VALU_DEP_2)
	v_mul_hi_u32 v13, s38, v8
	v_sub_nc_u32_e32 v5, v5, v11
	s_delay_alu instid0(VALU_DEP_1) | instskip(SKIP_1) | instid1(VALU_DEP_4)
	v_mad_u32 v10, v5, s21, v10
	v_mad_u32 v2, v5, s20, v2
	v_add_nc_u32_e32 v5, v8, v13
	s_delay_alu instid0(VALU_DEP_1) | instskip(SKIP_1) | instid1(VALU_DEP_1)
	v_lshrrev_b32_e32 v5, s39, v5
	v_mul_lo_u32 v11, v7, s15
	v_sub_nc_u32_e32 v3, v3, v11
	v_mul_lo_u32 v11, v8, s18
	s_delay_alu instid0(VALU_DEP_2) | instskip(SKIP_1) | instid1(VALU_DEP_3)
	v_mad_u32 v10, v3, s23, v10
	v_mad_u32 v2, v3, s22, v2
	v_sub_nc_u32_e32 v3, v7, v11
	v_mul_lo_u32 v7, v5, s37
	s_delay_alu instid0(VALU_DEP_2) | instskip(NEXT) | instid1(VALU_DEP_4)
	v_mad_u32 v10, v3, s25, v10
	v_mad_u32 v2, v3, s24, v2
	s_delay_alu instid0(VALU_DEP_3) | instskip(NEXT) | instid1(VALU_DEP_1)
	v_sub_nc_u32_e32 v3, v8, v7
	v_mad_u32 v10, v3, s27, v10
	s_delay_alu instid0(VALU_DEP_3)
	v_mad_u32 v2, v3, s26, v2
	s_cbranch_scc1 .LBB39_994
; %bb.995:
	s_delay_alu instid0(VALU_DEP_2)
	v_mov_b32_e32 v3, v10
	s_and_b32 s6, s1, 3
	s_mov_b32 s1, 0
	s_cmp_eq_u32 s6, 0
	s_cbranch_scc0 .LBB39_999
	s_branch .LBB39_1002
.LBB39_996:
	s_mov_b32 s8, -1
                                        ; implicit-def: $vgpr10
                                        ; implicit-def: $vgpr2
	s_branch .LBB39_1002
.LBB39_997:
	v_dual_mov_b32 v10, 0 :: v_dual_mov_b32 v2, 0
	s_branch .LBB39_1002
.LBB39_998:
	v_mov_b64_e32 v[2:3], 0
	v_mov_b32_e32 v5, v0
	s_mov_b32 s0, 0
                                        ; implicit-def: $vgpr10
	s_and_b32 s6, s1, 3
	s_mov_b32 s1, 0
	s_cmp_eq_u32 s6, 0
	s_cbranch_scc1 .LBB39_1002
.LBB39_999:
	s_lshl_b32 s4, s0, 3
	s_mov_b32 s5, s1
	s_mul_u64 s[12:13], s[0:1], 12
	s_add_nc_u64 s[4:5], s[2:3], s[4:5]
	s_delay_alu instid0(SALU_CYCLE_1)
	s_add_nc_u64 s[0:1], s[4:5], 0xc4
	s_add_nc_u64 s[4:5], s[2:3], s[12:13]
.LBB39_1000:                            ; =>This Inner Loop Header: Depth=1
	s_load_b96 s[12:14], s[4:5], 0x4
	s_add_co_i32 s6, s6, -1
	s_wait_xcnt 0x0
	s_add_nc_u64 s[4:5], s[4:5], 12
	s_cmp_lg_u32 s6, 0
	s_wait_kmcnt 0x0
	v_mul_hi_u32 v7, s13, v5
	s_delay_alu instid0(VALU_DEP_1) | instskip(NEXT) | instid1(VALU_DEP_1)
	v_add_nc_u32_e32 v7, v5, v7
	v_lshrrev_b32_e32 v7, s14, v7
	s_load_b64 s[14:15], s[0:1], 0x0
	s_wait_xcnt 0x0
	s_add_nc_u64 s[0:1], s[0:1], 8
	s_delay_alu instid0(VALU_DEP_1) | instskip(NEXT) | instid1(VALU_DEP_1)
	v_mul_lo_u32 v8, v7, s12
	v_sub_nc_u32_e32 v5, v5, v8
	s_wait_kmcnt 0x0
	s_delay_alu instid0(VALU_DEP_1)
	v_mad_u32 v3, v5, s15, v3
	v_mad_u32 v2, v5, s14, v2
	v_mov_b32_e32 v5, v7
	s_cbranch_scc1 .LBB39_1000
; %bb.1001:
	s_delay_alu instid0(VALU_DEP_3)
	v_mov_b32_e32 v10, v3
.LBB39_1002:
	s_and_not1_b32 vcc_lo, exec_lo, s8
	s_cbranch_vccnz .LBB39_1005
; %bb.1003:
	s_clause 0x1
	s_load_b96 s[4:6], s[2:3], 0x4
	s_load_b64 s[0:1], s[2:3], 0xc4
	s_cmp_lt_u32 s28, 2
	s_wait_kmcnt 0x0
	v_mul_hi_u32 v2, s5, v0
	s_delay_alu instid0(VALU_DEP_1) | instskip(NEXT) | instid1(VALU_DEP_1)
	v_add_nc_u32_e32 v2, v0, v2
	v_lshrrev_b32_e32 v3, s6, v2
	s_delay_alu instid0(VALU_DEP_1) | instskip(NEXT) | instid1(VALU_DEP_1)
	v_mul_lo_u32 v2, v3, s4
	v_sub_nc_u32_e32 v0, v0, v2
	s_delay_alu instid0(VALU_DEP_1)
	v_mul_lo_u32 v10, v0, s1
	v_mul_lo_u32 v2, v0, s0
	s_cbranch_scc1 .LBB39_1005
; %bb.1004:
	s_clause 0x1
	s_load_b96 s[4:6], s[2:3], 0x10
	s_load_b64 s[0:1], s[2:3], 0xcc
	s_wait_kmcnt 0x0
	v_mul_hi_u32 v0, s5, v3
	s_delay_alu instid0(VALU_DEP_1) | instskip(NEXT) | instid1(VALU_DEP_1)
	v_add_nc_u32_e32 v0, v3, v0
	v_lshrrev_b32_e32 v0, s6, v0
	s_delay_alu instid0(VALU_DEP_1) | instskip(NEXT) | instid1(VALU_DEP_1)
	v_mul_lo_u32 v0, v0, s4
	v_sub_nc_u32_e32 v0, v3, v0
	s_delay_alu instid0(VALU_DEP_1)
	v_mad_u32 v2, v0, s0, v2
	v_mad_u32 v10, v0, s1, v10
.LBB39_1005:
	v_cmp_ne_u32_e32 vcc_lo, 1, v1
	s_cbranch_vccnz .LBB39_1011
; %bb.1006:
	s_cmp_lg_u32 s28, 0
	s_mov_b32 s8, 0
	s_cbranch_scc0 .LBB39_1012
; %bb.1007:
	s_min_u32 s1, s29, 15
	s_delay_alu instid0(SALU_CYCLE_1)
	s_add_co_i32 s1, s1, 1
	s_cmp_eq_u32 s29, 2
	s_cbranch_scc1 .LBB39_1013
; %bb.1008:
	v_dual_mov_b32 v0, 0 :: v_dual_mov_b32 v8, 0
	v_mov_b32_e32 v3, v9
	s_and_b32 s0, s1, 28
	s_add_nc_u64 s[4:5], s[2:3], 0xc4
	s_mov_b32 s9, 0
	s_mov_b64 s[6:7], s[2:3]
.LBB39_1009:                            ; =>This Inner Loop Header: Depth=1
	s_clause 0x1
	s_load_b256 s[12:19], s[6:7], 0x4
	s_load_b128 s[36:39], s[6:7], 0x24
	s_load_b256 s[20:27], s[4:5], 0x0
	s_add_co_i32 s9, s9, 4
	s_wait_xcnt 0x0
	s_add_nc_u64 s[6:7], s[6:7], 48
	s_cmp_lg_u32 s0, s9
	s_add_nc_u64 s[4:5], s[4:5], 32
	s_wait_kmcnt 0x0
	v_mul_hi_u32 v1, s13, v3
	s_delay_alu instid0(VALU_DEP_1) | instskip(NEXT) | instid1(VALU_DEP_1)
	v_add_nc_u32_e32 v1, v3, v1
	v_lshrrev_b32_e32 v1, s14, v1
	s_delay_alu instid0(VALU_DEP_1) | instskip(NEXT) | instid1(VALU_DEP_1)
	v_mul_lo_u32 v11, v1, s12
	v_sub_nc_u32_e32 v3, v3, v11
	v_mul_hi_u32 v5, s16, v1
	s_delay_alu instid0(VALU_DEP_2) | instskip(SKIP_1) | instid1(VALU_DEP_3)
	v_mad_u32 v8, v3, s21, v8
	v_mad_u32 v0, v3, s20, v0
	v_add_nc_u32_e32 v5, v1, v5
	s_delay_alu instid0(VALU_DEP_1) | instskip(NEXT) | instid1(VALU_DEP_1)
	v_lshrrev_b32_e32 v5, s17, v5
	v_mul_lo_u32 v11, v5, s15
	s_delay_alu instid0(VALU_DEP_1) | instskip(SKIP_1) | instid1(VALU_DEP_2)
	v_sub_nc_u32_e32 v1, v1, v11
	v_mul_hi_u32 v7, s19, v5
	v_mad_u32 v8, v1, s23, v8
	v_mad_u32 v0, v1, s22, v0
	s_delay_alu instid0(VALU_DEP_3) | instskip(NEXT) | instid1(VALU_DEP_1)
	v_add_nc_u32_e32 v7, v5, v7
	v_lshrrev_b32_e32 v7, s36, v7
	s_delay_alu instid0(VALU_DEP_1) | instskip(SKIP_1) | instid1(VALU_DEP_1)
	v_mul_hi_u32 v13, s38, v7
	v_mul_lo_u32 v11, v7, s18
	v_dual_add_nc_u32 v3, v7, v13 :: v_dual_sub_nc_u32 v1, v5, v11
	s_delay_alu instid0(VALU_DEP_1) | instskip(NEXT) | instid1(VALU_DEP_2)
	v_lshrrev_b32_e32 v3, s39, v3
	v_mad_u32 v8, v1, s25, v8
	v_mad_u32 v0, v1, s24, v0
	s_delay_alu instid0(VALU_DEP_3) | instskip(NEXT) | instid1(VALU_DEP_1)
	v_mul_lo_u32 v5, v3, s37
	v_sub_nc_u32_e32 v1, v7, v5
	s_delay_alu instid0(VALU_DEP_1) | instskip(NEXT) | instid1(VALU_DEP_4)
	v_mad_u32 v8, v1, s27, v8
	v_mad_u32 v0, v1, s26, v0
	s_cbranch_scc1 .LBB39_1009
; %bb.1010:
	s_delay_alu instid0(VALU_DEP_2)
	v_mov_b32_e32 v1, v8
	s_and_b32 s6, s1, 3
	s_mov_b32 s1, 0
	s_cmp_eq_u32 s6, 0
	s_cbranch_scc0 .LBB39_1014
	s_branch .LBB39_1017
.LBB39_1011:
	s_mov_b32 s8, -1
                                        ; implicit-def: $vgpr8
                                        ; implicit-def: $vgpr0
	s_branch .LBB39_1017
.LBB39_1012:
	v_dual_mov_b32 v8, 0 :: v_dual_mov_b32 v0, 0
	s_branch .LBB39_1017
.LBB39_1013:
	v_mov_b64_e32 v[0:1], 0
	v_mov_b32_e32 v3, v9
	s_mov_b32 s0, 0
                                        ; implicit-def: $vgpr8
	s_and_b32 s6, s1, 3
	s_mov_b32 s1, 0
	s_cmp_eq_u32 s6, 0
	s_cbranch_scc1 .LBB39_1017
.LBB39_1014:
	s_lshl_b32 s4, s0, 3
	s_mov_b32 s5, s1
	s_mul_u64 s[12:13], s[0:1], 12
	s_add_nc_u64 s[4:5], s[2:3], s[4:5]
	s_delay_alu instid0(SALU_CYCLE_1)
	s_add_nc_u64 s[0:1], s[4:5], 0xc4
	s_add_nc_u64 s[4:5], s[2:3], s[12:13]
.LBB39_1015:                            ; =>This Inner Loop Header: Depth=1
	s_load_b96 s[12:14], s[4:5], 0x4
	s_add_co_i32 s6, s6, -1
	s_wait_xcnt 0x0
	s_add_nc_u64 s[4:5], s[4:5], 12
	s_cmp_lg_u32 s6, 0
	s_wait_kmcnt 0x0
	v_mul_hi_u32 v5, s13, v3
	s_delay_alu instid0(VALU_DEP_1) | instskip(NEXT) | instid1(VALU_DEP_1)
	v_add_nc_u32_e32 v5, v3, v5
	v_lshrrev_b32_e32 v5, s14, v5
	s_load_b64 s[14:15], s[0:1], 0x0
	s_wait_xcnt 0x0
	s_add_nc_u64 s[0:1], s[0:1], 8
	s_delay_alu instid0(VALU_DEP_1) | instskip(NEXT) | instid1(VALU_DEP_1)
	v_mul_lo_u32 v7, v5, s12
	v_sub_nc_u32_e32 v3, v3, v7
	s_wait_kmcnt 0x0
	s_delay_alu instid0(VALU_DEP_1)
	v_mad_u32 v1, v3, s15, v1
	v_mad_u32 v0, v3, s14, v0
	v_mov_b32_e32 v3, v5
	s_cbranch_scc1 .LBB39_1015
; %bb.1016:
	s_delay_alu instid0(VALU_DEP_3)
	v_mov_b32_e32 v8, v1
.LBB39_1017:
	s_and_not1_b32 vcc_lo, exec_lo, s8
	s_cbranch_vccnz .LBB39_1020
; %bb.1018:
	s_clause 0x1
	s_load_b96 s[4:6], s[2:3], 0x4
	s_load_b64 s[0:1], s[2:3], 0xc4
	s_cmp_lt_u32 s28, 2
	s_wait_kmcnt 0x0
	v_mul_hi_u32 v0, s5, v9
	s_delay_alu instid0(VALU_DEP_1) | instskip(NEXT) | instid1(VALU_DEP_1)
	v_add_nc_u32_e32 v0, v9, v0
	v_lshrrev_b32_e32 v1, s6, v0
	s_delay_alu instid0(VALU_DEP_1) | instskip(NEXT) | instid1(VALU_DEP_1)
	v_mul_lo_u32 v0, v1, s4
	v_sub_nc_u32_e32 v0, v9, v0
	s_delay_alu instid0(VALU_DEP_1)
	v_mul_lo_u32 v8, v0, s1
	v_mul_lo_u32 v0, v0, s0
	s_cbranch_scc1 .LBB39_1020
; %bb.1019:
	s_clause 0x1
	s_load_b96 s[4:6], s[2:3], 0x10
	s_load_b64 s[0:1], s[2:3], 0xcc
	s_wait_kmcnt 0x0
	v_mul_hi_u32 v3, s5, v1
	s_delay_alu instid0(VALU_DEP_1) | instskip(NEXT) | instid1(VALU_DEP_1)
	v_add_nc_u32_e32 v3, v1, v3
	v_lshrrev_b32_e32 v3, s6, v3
	s_delay_alu instid0(VALU_DEP_1) | instskip(NEXT) | instid1(VALU_DEP_1)
	v_mul_lo_u32 v3, v3, s4
	v_sub_nc_u32_e32 v1, v1, v3
	s_delay_alu instid0(VALU_DEP_1)
	v_mad_u32 v0, v1, s0, v0
	v_mad_u32 v8, v1, s1, v8
.LBB39_1020:
	v_mov_b32_e32 v15, 0
	s_load_b128 s[4:7], s[2:3], 0x148
	global_load_u8 v1, v15, s[2:3] offset:361
	s_wait_kmcnt 0x0
	v_add_nc_u64_e32 v[14:15], s[6:7], v[14:15]
	s_wait_loadcnt 0x0
	v_and_b32_e32 v3, 0xffff, v1
	v_readfirstlane_b32 s12, v1
	s_delay_alu instid0(VALU_DEP_2)
	v_cmp_gt_i32_e32 vcc_lo, 11, v3
	s_cbranch_vccnz .LBB39_1027
; %bb.1021:
	s_and_b32 s0, 0xffff, s12
	s_mov_b32 s8, 0
	s_cmp_gt_i32 s0, 25
	s_cbranch_scc0 .LBB39_1038
; %bb.1022:
	s_cmp_gt_i32 s0, 28
	s_cbranch_scc0 .LBB39_1039
; %bb.1023:
	;; [unrolled: 3-line block ×4, first 2 shown]
	s_cmp_eq_u32 s0, 46
	s_mov_b32 s13, 0
	s_cbranch_scc0 .LBB39_1056
; %bb.1026:
	global_load_b32 v1, v[14:15], off
	s_mov_b32 s1, 0
	s_mov_b32 s9, -1
	s_wait_loadcnt 0x0
	v_lshlrev_b32_e32 v1, 16, v1
	s_delay_alu instid0(VALU_DEP_1)
	v_cvt_i32_f32_e32 v1, v1
	s_branch .LBB39_1058
.LBB39_1027:
	s_mov_b32 s9, 0
	s_mov_b32 s1, s10
                                        ; implicit-def: $vgpr1
	s_cbranch_execnz .LBB39_1118
.LBB39_1028:
	s_and_not1_b32 vcc_lo, exec_lo, s9
	s_cbranch_vccnz .LBB39_1163
.LBB39_1029:
	s_clause 0x1
	s_load_b32 s16, s[2:3], 0x158
	s_load_b64 s[8:9], s[2:3], 0x160
	s_get_pc_i64 s[14:15]
	s_add_nc_u64 s[14:15], s[14:15], .str@rel64+4
	s_wait_loadcnt 0x0
	s_wait_kmcnt 0x0
	s_delay_alu instid0(VALU_DEP_1) | instskip(SKIP_4) | instid1(SALU_CYCLE_1)
	v_cmp_gt_i32_e32 vcc_lo, s16, v1
	v_cmp_le_i32_e64 s0, s8, v1
	s_or_b32 s0, vcc_lo, s0
	s_cmp_eq_u64 s[14:15], 0
	s_cselect_b32 s9, -1, 0
	s_or_b32 s0, s9, s0
	s_delay_alu instid0(SALU_CYCLE_1) | instskip(NEXT) | instid1(SALU_CYCLE_1)
	s_and_saveexec_b32 s9, s0
	s_xor_b32 s0, exec_lo, s9
	s_cbranch_execnz .LBB39_1413
.LBB39_1030:
	s_or_saveexec_b32 s9, s0
	s_mov_b32 s13, 0
	s_mov_b32 s15, 0
                                        ; implicit-def: $vgpr14_vgpr15
                                        ; implicit-def: $sgpr0
	s_xor_b32 exec_lo, exec_lo, s9
	s_cbranch_execz .LBB39_1852
; %bb.1031:
	v_mov_b32_e32 v13, 0
	s_and_b32 s17, 0xffff, s12
	s_delay_alu instid0(SALU_CYCLE_1) | instskip(NEXT) | instid1(VALU_DEP_1)
	s_cmp_lt_i32 s17, 11
	v_add_nc_u64_e32 v[12:13], s[6:7], v[12:13]
	s_cbranch_scc1 .LBB39_1040
; %bb.1032:
	s_cmp_gt_i32 s17, 25
	s_cbranch_scc0 .LBB39_1052
; %bb.1033:
	s_cmp_gt_i32 s17, 28
	s_cbranch_scc0 .LBB39_1054
	;; [unrolled: 3-line block ×4, first 2 shown]
; %bb.1036:
	s_cmp_eq_u32 s17, 46
	s_mov_b32 s12, 0
	s_cbranch_scc0 .LBB39_1167
; %bb.1037:
	global_load_b32 v1, v[12:13], off
	s_mov_b32 s0, 0
	s_mov_b32 s14, -1
	s_wait_loadcnt 0x0
	v_lshlrev_b32_e32 v1, 16, v1
	s_delay_alu instid0(VALU_DEP_1)
	v_cvt_i32_f32_e32 v1, v1
	s_branch .LBB39_1169
.LBB39_1038:
	s_mov_b32 s9, 0
	s_mov_b32 s1, 0
                                        ; implicit-def: $vgpr1
	s_cbranch_execnz .LBB39_1085
	s_branch .LBB39_1114
.LBB39_1039:
	s_mov_b32 s9, 0
	s_mov_b32 s1, 0
                                        ; implicit-def: $vgpr1
	s_cbranch_execz .LBB39_1084
	s_branch .LBB39_1069
.LBB39_1040:
	s_mov_b32 s14, 0
	s_mov_b32 s12, s1
                                        ; implicit-def: $vgpr1
	s_cbranch_execnz .LBB39_1232
.LBB39_1041:
	s_and_not1_b32 vcc_lo, exec_lo, s14
	s_cbranch_vccnz .LBB39_1280
.LBB39_1042:
	s_wait_loadcnt 0x0
	s_delay_alu instid0(VALU_DEP_1) | instskip(SKIP_4) | instid1(SALU_CYCLE_1)
	v_cmp_gt_i32_e32 vcc_lo, s16, v1
	v_cmp_le_i32_e64 s0, s8, v1
	s_or_b32 s0, vcc_lo, s0
	s_wait_xcnt 0x0
	s_and_saveexec_b32 s13, s0
	s_xor_b32 s0, exec_lo, s13
	s_cbranch_execnz .LBB39_1900
.LBB39_1043:
	s_or_saveexec_b32 s13, s0
	s_mov_b32 s14, 0
	s_mov_b32 s15, 0
                                        ; implicit-def: $vgpr14_vgpr15
                                        ; implicit-def: $sgpr0
	s_xor_b32 exec_lo, exec_lo, s13
	s_cbranch_execz .LBB39_1850
; %bb.1044:
	v_mov_b32_e32 v11, 0
	s_cmp_lt_i32 s17, 11
	s_delay_alu instid0(VALU_DEP_1)
	v_add_nc_u64_e32 v[10:11], s[6:7], v[10:11]
	s_cbranch_scc1 .LBB39_1055
; %bb.1045:
	s_cmp_gt_i32 s17, 25
	s_cbranch_scc0 .LBB39_1063
; %bb.1046:
	s_cmp_gt_i32 s17, 28
	s_cbranch_scc0 .LBB39_1166
	;; [unrolled: 3-line block ×4, first 2 shown]
; %bb.1049:
	s_cmp_eq_u32 s17, 46
	s_cbranch_scc0 .LBB39_1283
; %bb.1050:
	global_load_b32 v1, v[10:11], off
	s_mov_b32 s0, 0
	s_mov_b32 s18, -1
	s_wait_loadcnt 0x0
	v_lshlrev_b32_e32 v1, 16, v1
	s_delay_alu instid0(VALU_DEP_1)
	v_cvt_i32_f32_e32 v1, v1
	s_branch .LBB39_1285
.LBB39_1051:
	s_mov_b32 s9, 0
	s_mov_b32 s1, 0
                                        ; implicit-def: $vgpr1
	s_cbranch_execnz .LBB39_1065
	s_branch .LBB39_1068
.LBB39_1052:
	s_mov_b32 s12, -1
	s_mov_b32 s14, 0
	s_mov_b32 s0, 0
                                        ; implicit-def: $vgpr1
	s_branch .LBB39_1197
.LBB39_1053:
	s_mov_b32 s13, -1
	s_mov_b32 s9, 0
	s_mov_b32 s1, 0
	s_branch .LBB39_1057
.LBB39_1054:
	s_mov_b32 s12, -1
	s_mov_b32 s14, 0
	s_mov_b32 s0, 0
                                        ; implicit-def: $vgpr1
	s_branch .LBB39_1180
.LBB39_1055:
	s_mov_b32 s0, -1
	s_mov_b32 s18, 0
	s_mov_b32 s14, s12
                                        ; implicit-def: $vgpr1
	s_branch .LBB39_1347
.LBB39_1056:
	s_mov_b32 s1, -1
	s_mov_b32 s9, 0
.LBB39_1057:
                                        ; implicit-def: $vgpr1
.LBB39_1058:
	s_and_b32 vcc_lo, exec_lo, s13
	s_cbranch_vccz .LBB39_1061
; %bb.1059:
	s_cmp_eq_u32 s0, 44
	s_cbranch_scc0 .LBB39_1064
; %bb.1060:
	global_load_u8 v1, v[14:15], off
	s_mov_b32 s1, 0
	s_mov_b32 s9, -1
	s_wait_loadcnt 0x0
	v_lshlrev_b32_e32 v3, 23, v1
	v_cmp_ne_u32_e32 vcc_lo, 0, v1
	s_delay_alu instid0(VALU_DEP_2) | instskip(NEXT) | instid1(VALU_DEP_1)
	v_cvt_i32_f32_e32 v3, v3
	v_cndmask_b32_e32 v1, 0, v3, vcc_lo
.LBB39_1061:
	s_branch .LBB39_1068
.LBB39_1062:
	s_mov_b32 s12, -1
	s_mov_b32 s14, 0
	s_mov_b32 s0, 0
                                        ; implicit-def: $vgpr1
	s_branch .LBB39_1175
.LBB39_1063:
	s_mov_b32 s14, -1
	s_mov_b32 s18, 0
	s_mov_b32 s0, 0
                                        ; implicit-def: $vgpr1
	s_branch .LBB39_1312
.LBB39_1064:
	s_mov_b32 s1, -1
                                        ; implicit-def: $vgpr1
	s_branch .LBB39_1068
.LBB39_1065:
	s_cmp_eq_u32 s0, 29
	s_cbranch_scc0 .LBB39_1067
; %bb.1066:
	global_load_b32 v1, v[14:15], off
	s_mov_b32 s1, 0
	s_mov_b32 s9, -1
	s_branch .LBB39_1068
.LBB39_1067:
	s_mov_b32 s1, -1
                                        ; implicit-def: $vgpr1
.LBB39_1068:
	s_branch .LBB39_1084
.LBB39_1069:
	s_cmp_lt_i32 s0, 27
	s_cbranch_scc1 .LBB39_1072
; %bb.1070:
	s_cmp_gt_i32 s0, 27
	s_cbranch_scc0 .LBB39_1073
; %bb.1071:
	s_wait_loadcnt 0x0
	global_load_b32 v1, v[14:15], off
	s_mov_b32 s9, 0
	s_branch .LBB39_1074
.LBB39_1072:
	s_mov_b32 s9, -1
                                        ; implicit-def: $vgpr1
	s_branch .LBB39_1077
.LBB39_1073:
	s_mov_b32 s9, -1
                                        ; implicit-def: $vgpr1
.LBB39_1074:
	s_delay_alu instid0(SALU_CYCLE_1)
	s_and_not1_b32 vcc_lo, exec_lo, s9
	s_cbranch_vccnz .LBB39_1076
; %bb.1075:
	s_wait_loadcnt 0x0
	global_load_u16 v1, v[14:15], off
.LBB39_1076:
	s_mov_b32 s9, 0
.LBB39_1077:
	s_delay_alu instid0(SALU_CYCLE_1)
	s_and_not1_b32 vcc_lo, exec_lo, s9
	s_cbranch_vccnz .LBB39_1083
; %bb.1078:
	global_load_u8 v3, v[14:15], off
	s_mov_b32 s13, 0
	s_mov_b32 s9, exec_lo
	s_wait_loadcnt 0x0
	v_cmpx_lt_i16_e32 0x7f, v3
	s_xor_b32 s9, exec_lo, s9
	s_cbranch_execz .LBB39_1094
; %bb.1079:
	v_cmp_ne_u16_e32 vcc_lo, 0x80, v3
	s_and_b32 s13, vcc_lo, exec_lo
	s_and_not1_saveexec_b32 s9, s9
	s_cbranch_execnz .LBB39_1095
.LBB39_1080:
	s_or_b32 exec_lo, exec_lo, s9
	v_mov_b32_e32 v1, 0
	s_and_saveexec_b32 s9, s13
	s_cbranch_execz .LBB39_1082
.LBB39_1081:
	v_and_b32_e32 v1, 0xffff, v3
	s_delay_alu instid0(VALU_DEP_1) | instskip(SKIP_1) | instid1(VALU_DEP_2)
	v_and_b32_e32 v5, 7, v1
	v_bfe_u32 v11, v1, 3, 4
	v_clz_i32_u32_e32 v7, v5
	s_delay_alu instid0(VALU_DEP_2) | instskip(NEXT) | instid1(VALU_DEP_2)
	v_cmp_eq_u32_e32 vcc_lo, 0, v11
	v_min_u32_e32 v7, 32, v7
	s_delay_alu instid0(VALU_DEP_1) | instskip(NEXT) | instid1(VALU_DEP_1)
	v_subrev_nc_u32_e32 v9, 28, v7
	v_dual_lshlrev_b32 v1, v9, v1 :: v_dual_sub_nc_u32 v7, 29, v7
	s_delay_alu instid0(VALU_DEP_1) | instskip(NEXT) | instid1(VALU_DEP_1)
	v_dual_lshlrev_b32 v3, 24, v3 :: v_dual_bitop2_b32 v1, 7, v1 bitop3:0x40
	v_dual_cndmask_b32 v1, v5, v1, vcc_lo :: v_dual_cndmask_b32 v7, v11, v7, vcc_lo
	s_delay_alu instid0(VALU_DEP_2) | instskip(NEXT) | instid1(VALU_DEP_2)
	v_and_b32_e32 v3, 0x80000000, v3
	v_lshlrev_b32_e32 v1, 20, v1
	s_delay_alu instid0(VALU_DEP_3) | instskip(NEXT) | instid1(VALU_DEP_1)
	v_lshl_add_u32 v5, v7, 23, 0x3b800000
	v_or3_b32 v1, v3, v5, v1
	s_delay_alu instid0(VALU_DEP_1)
	v_cvt_i32_f32_e32 v1, v1
.LBB39_1082:
	s_or_b32 exec_lo, exec_lo, s9
.LBB39_1083:
	s_mov_b32 s9, -1
.LBB39_1084:
	s_branch .LBB39_1114
.LBB39_1085:
	s_cmp_gt_i32 s0, 22
	s_cbranch_scc0 .LBB39_1093
; %bb.1086:
	s_cmp_lt_i32 s0, 24
	s_cbranch_scc1 .LBB39_1096
; %bb.1087:
	s_cmp_gt_i32 s0, 24
	s_cbranch_scc0 .LBB39_1097
; %bb.1088:
	global_load_u8 v3, v[14:15], off
	s_mov_b32 s9, 0
	s_mov_b32 s8, exec_lo
	s_wait_loadcnt 0x0
	v_cmpx_lt_i16_e32 0x7f, v3
	s_xor_b32 s8, exec_lo, s8
	s_cbranch_execz .LBB39_1108
; %bb.1089:
	v_cmp_ne_u16_e32 vcc_lo, 0x80, v3
	s_and_b32 s9, vcc_lo, exec_lo
	s_and_not1_saveexec_b32 s8, s8
	s_cbranch_execnz .LBB39_1109
.LBB39_1090:
	s_or_b32 exec_lo, exec_lo, s8
	v_mov_b32_e32 v1, 0
	s_and_saveexec_b32 s8, s9
	s_cbranch_execz .LBB39_1092
.LBB39_1091:
	v_and_b32_e32 v1, 0xffff, v3
	s_delay_alu instid0(VALU_DEP_1) | instskip(SKIP_1) | instid1(VALU_DEP_2)
	v_and_b32_e32 v5, 3, v1
	v_bfe_u32 v11, v1, 2, 5
	v_clz_i32_u32_e32 v7, v5
	s_delay_alu instid0(VALU_DEP_2) | instskip(NEXT) | instid1(VALU_DEP_2)
	v_cmp_eq_u32_e32 vcc_lo, 0, v11
	v_min_u32_e32 v7, 32, v7
	s_delay_alu instid0(VALU_DEP_1) | instskip(NEXT) | instid1(VALU_DEP_1)
	v_subrev_nc_u32_e32 v9, 29, v7
	v_dual_lshlrev_b32 v1, v9, v1 :: v_dual_sub_nc_u32 v7, 30, v7
	s_delay_alu instid0(VALU_DEP_1) | instskip(NEXT) | instid1(VALU_DEP_1)
	v_dual_lshlrev_b32 v3, 24, v3 :: v_dual_bitop2_b32 v1, 3, v1 bitop3:0x40
	v_dual_cndmask_b32 v1, v5, v1, vcc_lo :: v_dual_cndmask_b32 v7, v11, v7, vcc_lo
	s_delay_alu instid0(VALU_DEP_2) | instskip(NEXT) | instid1(VALU_DEP_2)
	v_and_b32_e32 v3, 0x80000000, v3
	v_lshlrev_b32_e32 v1, 21, v1
	s_delay_alu instid0(VALU_DEP_3) | instskip(NEXT) | instid1(VALU_DEP_1)
	v_lshl_add_u32 v5, v7, 23, 0x37800000
	v_or3_b32 v1, v3, v5, v1
	s_delay_alu instid0(VALU_DEP_1)
	v_cvt_i32_f32_e32 v1, v1
.LBB39_1092:
	s_or_b32 exec_lo, exec_lo, s8
	s_mov_b32 s8, 0
	s_branch .LBB39_1098
.LBB39_1093:
                                        ; implicit-def: $vgpr1
	s_mov_b32 s8, 0
	s_branch .LBB39_1104
.LBB39_1094:
	s_and_not1_saveexec_b32 s9, s9
	s_cbranch_execz .LBB39_1080
.LBB39_1095:
	v_cmp_ne_u16_e32 vcc_lo, 0, v3
	s_and_not1_b32 s13, s13, exec_lo
	s_and_b32 s14, vcc_lo, exec_lo
	s_delay_alu instid0(SALU_CYCLE_1)
	s_or_b32 s13, s13, s14
	s_or_b32 exec_lo, exec_lo, s9
	v_mov_b32_e32 v1, 0
	s_and_saveexec_b32 s9, s13
	s_cbranch_execnz .LBB39_1081
	s_branch .LBB39_1082
.LBB39_1096:
	s_mov_b32 s8, -1
                                        ; implicit-def: $vgpr1
	s_branch .LBB39_1101
.LBB39_1097:
	s_mov_b32 s8, -1
                                        ; implicit-def: $vgpr1
.LBB39_1098:
	s_delay_alu instid0(SALU_CYCLE_1)
	s_and_b32 vcc_lo, exec_lo, s8
	s_cbranch_vccz .LBB39_1100
; %bb.1099:
	s_wait_loadcnt 0x0
	global_load_u8 v1, v[14:15], off
	s_wait_loadcnt 0x0
	v_lshlrev_b32_e32 v1, 24, v1
	s_delay_alu instid0(VALU_DEP_1) | instskip(NEXT) | instid1(VALU_DEP_1)
	v_and_b32_e32 v3, 0x7f000000, v1
	v_clz_i32_u32_e32 v5, v3
	v_add_nc_u32_e32 v9, 0x1000000, v3
	v_cmp_ne_u32_e32 vcc_lo, 0, v3
	s_delay_alu instid0(VALU_DEP_3) | instskip(NEXT) | instid1(VALU_DEP_1)
	v_min_u32_e32 v5, 32, v5
	v_sub_nc_u32_e64 v5, v5, 4 clamp
	s_delay_alu instid0(VALU_DEP_1) | instskip(NEXT) | instid1(VALU_DEP_1)
	v_dual_lshlrev_b32 v7, v5, v3 :: v_dual_lshlrev_b32 v5, 23, v5
	v_lshrrev_b32_e32 v7, 4, v7
	s_delay_alu instid0(VALU_DEP_1) | instskip(SKIP_1) | instid1(VALU_DEP_2)
	v_sub_nc_u32_e32 v5, v7, v5
	v_ashrrev_i32_e32 v7, 8, v9
	v_add_nc_u32_e32 v5, 0x3c000000, v5
	s_delay_alu instid0(VALU_DEP_1) | instskip(NEXT) | instid1(VALU_DEP_1)
	v_and_or_b32 v5, 0x7f800000, v7, v5
	v_cndmask_b32_e32 v3, 0, v5, vcc_lo
	s_delay_alu instid0(VALU_DEP_1) | instskip(NEXT) | instid1(VALU_DEP_1)
	v_and_or_b32 v1, 0x80000000, v1, v3
	v_cvt_i32_f32_e32 v1, v1
.LBB39_1100:
	s_mov_b32 s8, 0
.LBB39_1101:
	s_delay_alu instid0(SALU_CYCLE_1)
	s_and_not1_b32 vcc_lo, exec_lo, s8
	s_cbranch_vccnz .LBB39_1103
; %bb.1102:
	s_wait_loadcnt 0x0
	global_load_u8 v1, v[14:15], off
	s_wait_loadcnt 0x0
	v_lshlrev_b32_e32 v3, 25, v1
	v_lshlrev_b16 v1, 8, v1
	s_delay_alu instid0(VALU_DEP_1) | instskip(SKIP_1) | instid1(VALU_DEP_2)
	v_and_or_b32 v7, 0x7f00, v1, 0.5
	v_bfe_i32 v1, v1, 0, 16
	v_add_f32_e32 v7, -0.5, v7
	v_lshrrev_b32_e32 v5, 4, v3
	v_cmp_gt_u32_e32 vcc_lo, 0x8000000, v3
	s_delay_alu instid0(VALU_DEP_2) | instskip(NEXT) | instid1(VALU_DEP_1)
	v_or_b32_e32 v5, 0x70000000, v5
	v_mul_f32_e32 v5, 0x7800000, v5
	s_delay_alu instid0(VALU_DEP_1) | instskip(NEXT) | instid1(VALU_DEP_1)
	v_cndmask_b32_e32 v3, v5, v7, vcc_lo
	v_and_or_b32 v1, 0x80000000, v1, v3
	s_delay_alu instid0(VALU_DEP_1)
	v_cvt_i32_f32_e32 v1, v1
.LBB39_1103:
	s_mov_b32 s9, -1
	s_mov_b32 s8, 0
	s_cbranch_execnz .LBB39_1114
.LBB39_1104:
	s_cmp_gt_i32 s0, 14
	s_cbranch_scc0 .LBB39_1107
; %bb.1105:
	s_cmp_eq_u32 s0, 15
	s_cbranch_scc0 .LBB39_1110
; %bb.1106:
	s_wait_loadcnt 0x0
	global_load_u16 v1, v[14:15], off
	s_mov_b32 s1, 0
	s_mov_b32 s9, -1
	s_wait_loadcnt 0x0
	v_lshlrev_b32_e32 v1, 16, v1
	s_delay_alu instid0(VALU_DEP_1)
	v_cvt_i32_f32_e32 v1, v1
	s_branch .LBB39_1112
.LBB39_1107:
	s_mov_b32 s8, -1
	s_branch .LBB39_1111
.LBB39_1108:
	s_and_not1_saveexec_b32 s8, s8
	s_cbranch_execz .LBB39_1090
.LBB39_1109:
	v_cmp_ne_u16_e32 vcc_lo, 0, v3
	s_and_not1_b32 s9, s9, exec_lo
	s_and_b32 s13, vcc_lo, exec_lo
	s_delay_alu instid0(SALU_CYCLE_1)
	s_or_b32 s9, s9, s13
	s_or_b32 exec_lo, exec_lo, s8
	v_mov_b32_e32 v1, 0
	s_and_saveexec_b32 s8, s9
	s_cbranch_execnz .LBB39_1091
	s_branch .LBB39_1092
.LBB39_1110:
	s_mov_b32 s1, -1
.LBB39_1111:
                                        ; implicit-def: $vgpr1
.LBB39_1112:
	s_and_b32 vcc_lo, exec_lo, s8
	s_mov_b32 s8, 0
	s_cbranch_vccz .LBB39_1114
; %bb.1113:
	s_cmp_lg_u32 s0, 11
	s_mov_b32 s8, -1
	s_cselect_b32 s1, -1, 0
.LBB39_1114:
	s_delay_alu instid0(SALU_CYCLE_1)
	s_and_b32 vcc_lo, exec_lo, s1
	s_mov_b32 s1, s10
	s_cbranch_vccnz .LBB39_1164
; %bb.1115:
	s_and_not1_b32 vcc_lo, exec_lo, s8
	s_cbranch_vccnz .LBB39_1117
.LBB39_1116:
	s_wait_loadcnt 0x0
	global_load_u8 v1, v[14:15], off
	s_mov_b32 s9, -1
	s_wait_loadcnt 0x0
	v_cmp_ne_u16_e32 vcc_lo, 0, v1
	v_cndmask_b32_e64 v1, 0, 1, vcc_lo
.LBB39_1117:
	s_branch .LBB39_1028
.LBB39_1118:
	s_and_b32 s0, 0xffff, s12
	s_delay_alu instid0(SALU_CYCLE_1)
	s_cmp_lt_i32 s0, 5
	s_cbranch_scc1 .LBB39_1123
; %bb.1119:
	s_cmp_lt_i32 s0, 8
	s_cbranch_scc1 .LBB39_1124
; %bb.1120:
	;; [unrolled: 3-line block ×3, first 2 shown]
	s_cmp_gt_i32 s0, 9
	s_cbranch_scc0 .LBB39_1126
; %bb.1122:
	global_load_b64 v[16:17], v[14:15], off
	s_mov_b32 s8, 0
	s_wait_loadcnt 0x0
	v_cvt_i32_f64_e32 v1, v[16:17]
	s_branch .LBB39_1127
.LBB39_1123:
                                        ; implicit-def: $vgpr1
	s_branch .LBB39_1144
.LBB39_1124:
                                        ; implicit-def: $vgpr1
	s_branch .LBB39_1133
.LBB39_1125:
	s_mov_b32 s8, -1
                                        ; implicit-def: $vgpr1
	s_branch .LBB39_1130
.LBB39_1126:
	s_mov_b32 s8, -1
                                        ; implicit-def: $vgpr1
.LBB39_1127:
	s_delay_alu instid0(SALU_CYCLE_1)
	s_and_not1_b32 vcc_lo, exec_lo, s8
	s_cbranch_vccnz .LBB39_1129
; %bb.1128:
	s_wait_loadcnt 0x0
	global_load_b32 v1, v[14:15], off
	s_wait_loadcnt 0x0
	v_cvt_i32_f32_e32 v1, v1
.LBB39_1129:
	s_mov_b32 s8, 0
.LBB39_1130:
	s_delay_alu instid0(SALU_CYCLE_1)
	s_and_not1_b32 vcc_lo, exec_lo, s8
	s_cbranch_vccnz .LBB39_1132
; %bb.1131:
	s_wait_loadcnt 0x0
	global_load_b32 v1, v[14:15], off
	s_wait_loadcnt 0x0
	v_cvt_f32_f16_e32 v1, v1
	s_delay_alu instid0(VALU_DEP_1)
	v_cvt_i32_f32_e32 v1, v1
.LBB39_1132:
	s_cbranch_execnz .LBB39_1143
.LBB39_1133:
	s_cmp_lt_i32 s0, 6
	s_cbranch_scc1 .LBB39_1136
; %bb.1134:
	s_cmp_gt_i32 s0, 6
	s_cbranch_scc0 .LBB39_1137
; %bb.1135:
	global_load_b64 v[16:17], v[14:15], off
	s_mov_b32 s8, 0
	s_wait_loadcnt 0x0
	v_cvt_i32_f64_e32 v1, v[16:17]
	s_branch .LBB39_1138
.LBB39_1136:
	s_mov_b32 s8, -1
                                        ; implicit-def: $vgpr1
	s_branch .LBB39_1141
.LBB39_1137:
	s_mov_b32 s8, -1
                                        ; implicit-def: $vgpr1
.LBB39_1138:
	s_delay_alu instid0(SALU_CYCLE_1)
	s_and_not1_b32 vcc_lo, exec_lo, s8
	s_cbranch_vccnz .LBB39_1140
; %bb.1139:
	s_wait_loadcnt 0x0
	global_load_b32 v1, v[14:15], off
	s_wait_loadcnt 0x0
	v_cvt_i32_f32_e32 v1, v1
.LBB39_1140:
	s_mov_b32 s8, 0
.LBB39_1141:
	s_delay_alu instid0(SALU_CYCLE_1)
	s_and_not1_b32 vcc_lo, exec_lo, s8
	s_cbranch_vccnz .LBB39_1143
; %bb.1142:
	s_wait_loadcnt 0x0
	global_load_u16 v1, v[14:15], off
	s_wait_loadcnt 0x0
	v_cvt_f32_f16_e32 v1, v1
	s_delay_alu instid0(VALU_DEP_1)
	v_cvt_i32_f32_e32 v1, v1
.LBB39_1143:
	s_cbranch_execnz .LBB39_1162
.LBB39_1144:
	s_cmp_lt_i32 s0, 2
	s_cbranch_scc1 .LBB39_1148
; %bb.1145:
	s_cmp_lt_i32 s0, 3
	s_cbranch_scc1 .LBB39_1149
; %bb.1146:
	s_cmp_gt_i32 s0, 3
	s_cbranch_scc0 .LBB39_1150
; %bb.1147:
	s_wait_loadcnt 0x0
	global_load_b32 v1, v[14:15], off
	s_mov_b32 s8, 0
	s_branch .LBB39_1151
.LBB39_1148:
                                        ; implicit-def: $vgpr1
	s_branch .LBB39_1157
.LBB39_1149:
	s_mov_b32 s8, -1
                                        ; implicit-def: $vgpr1
	s_branch .LBB39_1154
.LBB39_1150:
	s_mov_b32 s8, -1
                                        ; implicit-def: $vgpr1
.LBB39_1151:
	s_delay_alu instid0(SALU_CYCLE_1)
	s_and_not1_b32 vcc_lo, exec_lo, s8
	s_cbranch_vccnz .LBB39_1153
; %bb.1152:
	s_wait_loadcnt 0x0
	global_load_b32 v1, v[14:15], off
.LBB39_1153:
	s_mov_b32 s8, 0
.LBB39_1154:
	s_delay_alu instid0(SALU_CYCLE_1)
	s_and_not1_b32 vcc_lo, exec_lo, s8
	s_cbranch_vccnz .LBB39_1156
; %bb.1155:
	s_wait_loadcnt 0x0
	global_load_i16 v1, v[14:15], off
.LBB39_1156:
	s_cbranch_execnz .LBB39_1162
.LBB39_1157:
	s_cmp_gt_i32 s0, 0
	s_mov_b32 s0, 0
	s_cbranch_scc0 .LBB39_1159
; %bb.1158:
	s_wait_loadcnt 0x0
	global_load_i8 v1, v[14:15], off
	s_branch .LBB39_1160
.LBB39_1159:
	s_mov_b32 s0, -1
                                        ; implicit-def: $vgpr1
.LBB39_1160:
	s_delay_alu instid0(SALU_CYCLE_1)
	s_and_not1_b32 vcc_lo, exec_lo, s0
	s_cbranch_vccnz .LBB39_1162
; %bb.1161:
	s_wait_loadcnt 0x0
	global_load_u8 v1, v[14:15], off
.LBB39_1162:
	s_branch .LBB39_1029
.LBB39_1163:
	s_mov_b32 s13, 0
	s_mov_b32 s15, 0
                                        ; implicit-def: $vgpr14_vgpr15
                                        ; implicit-def: $sgpr0
	s_branch .LBB39_1853
.LBB39_1164:
	s_or_b32 s1, s10, exec_lo
	s_trap 2
	s_cbranch_execz .LBB39_1116
	s_branch .LBB39_1117
.LBB39_1165:
	s_mov_b32 s12, -1
	s_mov_b32 s14, 0
	s_mov_b32 s0, 0
	s_branch .LBB39_1168
.LBB39_1166:
	s_mov_b32 s14, -1
	s_mov_b32 s18, 0
	s_mov_b32 s0, 0
                                        ; implicit-def: $vgpr1
	s_branch .LBB39_1295
.LBB39_1167:
	s_mov_b32 s0, -1
	s_mov_b32 s14, 0
.LBB39_1168:
                                        ; implicit-def: $vgpr1
.LBB39_1169:
	s_and_b32 vcc_lo, exec_lo, s12
	s_cbranch_vccz .LBB39_1174
; %bb.1170:
	s_cmp_eq_u32 s17, 44
	s_cbranch_scc0 .LBB39_1173
; %bb.1171:
	global_load_u8 v1, v[12:13], off
	s_mov_b32 s0, 0
	s_mov_b32 s14, -1
	s_wait_loadcnt 0x0
	v_lshlrev_b32_e32 v3, 23, v1
	v_cmp_ne_u32_e32 vcc_lo, 0, v1
	s_delay_alu instid0(VALU_DEP_2) | instskip(NEXT) | instid1(VALU_DEP_1)
	v_cvt_i32_f32_e32 v3, v3
	v_cndmask_b32_e32 v1, 0, v3, vcc_lo
	s_branch .LBB39_1174
.LBB39_1172:
	s_mov_b32 s14, -1
	s_mov_b32 s18, 0
	s_mov_b32 s0, 0
                                        ; implicit-def: $vgpr1
	s_branch .LBB39_1290
.LBB39_1173:
	s_mov_b32 s0, -1
                                        ; implicit-def: $vgpr1
.LBB39_1174:
	s_mov_b32 s12, 0
.LBB39_1175:
	s_delay_alu instid0(SALU_CYCLE_1)
	s_and_b32 vcc_lo, exec_lo, s12
	s_cbranch_vccz .LBB39_1179
; %bb.1176:
	s_cmp_eq_u32 s17, 29
	s_cbranch_scc0 .LBB39_1178
; %bb.1177:
	global_load_b32 v1, v[12:13], off
	s_mov_b32 s0, 0
	s_mov_b32 s14, -1
	s_branch .LBB39_1179
.LBB39_1178:
	s_mov_b32 s0, -1
                                        ; implicit-def: $vgpr1
.LBB39_1179:
	s_mov_b32 s12, 0
.LBB39_1180:
	s_delay_alu instid0(SALU_CYCLE_1)
	s_and_b32 vcc_lo, exec_lo, s12
	s_cbranch_vccz .LBB39_1196
; %bb.1181:
	s_cmp_lt_i32 s17, 27
	s_cbranch_scc1 .LBB39_1184
; %bb.1182:
	s_cmp_gt_i32 s17, 27
	s_cbranch_scc0 .LBB39_1185
; %bb.1183:
	s_wait_loadcnt 0x0
	global_load_b32 v1, v[12:13], off
	s_mov_b32 s12, 0
	s_branch .LBB39_1186
.LBB39_1184:
	s_mov_b32 s12, -1
                                        ; implicit-def: $vgpr1
	s_branch .LBB39_1189
.LBB39_1185:
	s_mov_b32 s12, -1
                                        ; implicit-def: $vgpr1
.LBB39_1186:
	s_delay_alu instid0(SALU_CYCLE_1)
	s_and_not1_b32 vcc_lo, exec_lo, s12
	s_cbranch_vccnz .LBB39_1188
; %bb.1187:
	s_wait_loadcnt 0x0
	global_load_u16 v1, v[12:13], off
.LBB39_1188:
	s_mov_b32 s12, 0
.LBB39_1189:
	s_delay_alu instid0(SALU_CYCLE_1)
	s_and_not1_b32 vcc_lo, exec_lo, s12
	s_cbranch_vccnz .LBB39_1195
; %bb.1190:
	global_load_u8 v3, v[12:13], off
	s_mov_b32 s14, 0
	s_mov_b32 s12, exec_lo
	s_wait_loadcnt 0x0
	v_cmpx_lt_i16_e32 0x7f, v3
	s_xor_b32 s12, exec_lo, s12
	s_cbranch_execz .LBB39_1207
; %bb.1191:
	v_cmp_ne_u16_e32 vcc_lo, 0x80, v3
	s_and_b32 s14, vcc_lo, exec_lo
	s_and_not1_saveexec_b32 s12, s12
	s_cbranch_execnz .LBB39_1208
.LBB39_1192:
	s_or_b32 exec_lo, exec_lo, s12
	v_mov_b32_e32 v1, 0
	s_and_saveexec_b32 s12, s14
	s_cbranch_execz .LBB39_1194
.LBB39_1193:
	v_and_b32_e32 v1, 0xffff, v3
	s_delay_alu instid0(VALU_DEP_1) | instskip(SKIP_1) | instid1(VALU_DEP_2)
	v_and_b32_e32 v5, 7, v1
	v_bfe_u32 v11, v1, 3, 4
	v_clz_i32_u32_e32 v7, v5
	s_delay_alu instid0(VALU_DEP_2) | instskip(NEXT) | instid1(VALU_DEP_2)
	v_cmp_eq_u32_e32 vcc_lo, 0, v11
	v_min_u32_e32 v7, 32, v7
	s_delay_alu instid0(VALU_DEP_1) | instskip(NEXT) | instid1(VALU_DEP_1)
	v_subrev_nc_u32_e32 v9, 28, v7
	v_dual_lshlrev_b32 v1, v9, v1 :: v_dual_sub_nc_u32 v7, 29, v7
	s_delay_alu instid0(VALU_DEP_1) | instskip(NEXT) | instid1(VALU_DEP_1)
	v_dual_lshlrev_b32 v3, 24, v3 :: v_dual_bitop2_b32 v1, 7, v1 bitop3:0x40
	v_dual_cndmask_b32 v1, v5, v1, vcc_lo :: v_dual_cndmask_b32 v7, v11, v7, vcc_lo
	s_delay_alu instid0(VALU_DEP_2) | instskip(NEXT) | instid1(VALU_DEP_2)
	v_and_b32_e32 v3, 0x80000000, v3
	v_lshlrev_b32_e32 v1, 20, v1
	s_delay_alu instid0(VALU_DEP_3) | instskip(NEXT) | instid1(VALU_DEP_1)
	v_lshl_add_u32 v5, v7, 23, 0x3b800000
	v_or3_b32 v1, v3, v5, v1
	s_delay_alu instid0(VALU_DEP_1)
	v_cvt_i32_f32_e32 v1, v1
.LBB39_1194:
	s_or_b32 exec_lo, exec_lo, s12
.LBB39_1195:
	s_mov_b32 s14, -1
.LBB39_1196:
	s_mov_b32 s12, 0
.LBB39_1197:
	s_delay_alu instid0(SALU_CYCLE_1)
	s_and_b32 vcc_lo, exec_lo, s12
	s_cbranch_vccz .LBB39_1228
; %bb.1198:
	s_cmp_gt_i32 s17, 22
	s_cbranch_scc0 .LBB39_1206
; %bb.1199:
	s_cmp_lt_i32 s17, 24
	s_cbranch_scc1 .LBB39_1209
; %bb.1200:
	s_cmp_gt_i32 s17, 24
	s_cbranch_scc0 .LBB39_1210
; %bb.1201:
	global_load_u8 v3, v[12:13], off
	s_mov_b32 s12, exec_lo
	s_wait_loadcnt 0x0
	v_cmpx_lt_i16_e32 0x7f, v3
	s_xor_b32 s12, exec_lo, s12
	s_cbranch_execz .LBB39_1222
; %bb.1202:
	v_cmp_ne_u16_e32 vcc_lo, 0x80, v3
	s_and_b32 s13, vcc_lo, exec_lo
	s_and_not1_saveexec_b32 s12, s12
	s_cbranch_execnz .LBB39_1223
.LBB39_1203:
	s_or_b32 exec_lo, exec_lo, s12
	v_mov_b32_e32 v1, 0
	s_and_saveexec_b32 s12, s13
	s_cbranch_execz .LBB39_1205
.LBB39_1204:
	v_and_b32_e32 v1, 0xffff, v3
	s_delay_alu instid0(VALU_DEP_1) | instskip(SKIP_1) | instid1(VALU_DEP_2)
	v_and_b32_e32 v5, 3, v1
	v_bfe_u32 v11, v1, 2, 5
	v_clz_i32_u32_e32 v7, v5
	s_delay_alu instid0(VALU_DEP_2) | instskip(NEXT) | instid1(VALU_DEP_2)
	v_cmp_eq_u32_e32 vcc_lo, 0, v11
	v_min_u32_e32 v7, 32, v7
	s_delay_alu instid0(VALU_DEP_1) | instskip(NEXT) | instid1(VALU_DEP_1)
	v_subrev_nc_u32_e32 v9, 29, v7
	v_dual_lshlrev_b32 v1, v9, v1 :: v_dual_sub_nc_u32 v7, 30, v7
	s_delay_alu instid0(VALU_DEP_1) | instskip(NEXT) | instid1(VALU_DEP_1)
	v_dual_lshlrev_b32 v3, 24, v3 :: v_dual_bitop2_b32 v1, 3, v1 bitop3:0x40
	v_dual_cndmask_b32 v1, v5, v1, vcc_lo :: v_dual_cndmask_b32 v7, v11, v7, vcc_lo
	s_delay_alu instid0(VALU_DEP_2) | instskip(NEXT) | instid1(VALU_DEP_2)
	v_and_b32_e32 v3, 0x80000000, v3
	v_lshlrev_b32_e32 v1, 21, v1
	s_delay_alu instid0(VALU_DEP_3) | instskip(NEXT) | instid1(VALU_DEP_1)
	v_lshl_add_u32 v5, v7, 23, 0x37800000
	v_or3_b32 v1, v3, v5, v1
	s_delay_alu instid0(VALU_DEP_1)
	v_cvt_i32_f32_e32 v1, v1
.LBB39_1205:
	s_or_b32 exec_lo, exec_lo, s12
	s_mov_b32 s12, 0
	s_branch .LBB39_1211
.LBB39_1206:
	s_mov_b32 s12, -1
                                        ; implicit-def: $vgpr1
	s_branch .LBB39_1217
.LBB39_1207:
	s_and_not1_saveexec_b32 s12, s12
	s_cbranch_execz .LBB39_1192
.LBB39_1208:
	v_cmp_ne_u16_e32 vcc_lo, 0, v3
	s_and_not1_b32 s14, s14, exec_lo
	s_and_b32 s15, vcc_lo, exec_lo
	s_delay_alu instid0(SALU_CYCLE_1)
	s_or_b32 s14, s14, s15
	s_or_b32 exec_lo, exec_lo, s12
	v_mov_b32_e32 v1, 0
	s_and_saveexec_b32 s12, s14
	s_cbranch_execnz .LBB39_1193
	s_branch .LBB39_1194
.LBB39_1209:
	s_mov_b32 s12, -1
                                        ; implicit-def: $vgpr1
	s_branch .LBB39_1214
.LBB39_1210:
	s_mov_b32 s12, -1
                                        ; implicit-def: $vgpr1
.LBB39_1211:
	s_delay_alu instid0(SALU_CYCLE_1)
	s_and_b32 vcc_lo, exec_lo, s12
	s_cbranch_vccz .LBB39_1213
; %bb.1212:
	s_wait_loadcnt 0x0
	global_load_u8 v1, v[12:13], off
	s_wait_loadcnt 0x0
	v_lshlrev_b32_e32 v1, 24, v1
	s_delay_alu instid0(VALU_DEP_1) | instskip(NEXT) | instid1(VALU_DEP_1)
	v_and_b32_e32 v3, 0x7f000000, v1
	v_clz_i32_u32_e32 v5, v3
	v_add_nc_u32_e32 v9, 0x1000000, v3
	v_cmp_ne_u32_e32 vcc_lo, 0, v3
	s_delay_alu instid0(VALU_DEP_3) | instskip(NEXT) | instid1(VALU_DEP_1)
	v_min_u32_e32 v5, 32, v5
	v_sub_nc_u32_e64 v5, v5, 4 clamp
	s_delay_alu instid0(VALU_DEP_1) | instskip(NEXT) | instid1(VALU_DEP_1)
	v_dual_lshlrev_b32 v7, v5, v3 :: v_dual_lshlrev_b32 v5, 23, v5
	v_lshrrev_b32_e32 v7, 4, v7
	s_delay_alu instid0(VALU_DEP_1) | instskip(SKIP_1) | instid1(VALU_DEP_2)
	v_sub_nc_u32_e32 v5, v7, v5
	v_ashrrev_i32_e32 v7, 8, v9
	v_add_nc_u32_e32 v5, 0x3c000000, v5
	s_delay_alu instid0(VALU_DEP_1) | instskip(NEXT) | instid1(VALU_DEP_1)
	v_and_or_b32 v5, 0x7f800000, v7, v5
	v_cndmask_b32_e32 v3, 0, v5, vcc_lo
	s_delay_alu instid0(VALU_DEP_1) | instskip(NEXT) | instid1(VALU_DEP_1)
	v_and_or_b32 v1, 0x80000000, v1, v3
	v_cvt_i32_f32_e32 v1, v1
.LBB39_1213:
	s_mov_b32 s12, 0
.LBB39_1214:
	s_delay_alu instid0(SALU_CYCLE_1)
	s_and_not1_b32 vcc_lo, exec_lo, s12
	s_cbranch_vccnz .LBB39_1216
; %bb.1215:
	s_wait_loadcnt 0x0
	global_load_u8 v1, v[12:13], off
	s_wait_loadcnt 0x0
	v_lshlrev_b32_e32 v3, 25, v1
	v_lshlrev_b16 v1, 8, v1
	s_delay_alu instid0(VALU_DEP_1) | instskip(SKIP_1) | instid1(VALU_DEP_2)
	v_and_or_b32 v7, 0x7f00, v1, 0.5
	v_bfe_i32 v1, v1, 0, 16
	v_add_f32_e32 v7, -0.5, v7
	v_lshrrev_b32_e32 v5, 4, v3
	v_cmp_gt_u32_e32 vcc_lo, 0x8000000, v3
	s_delay_alu instid0(VALU_DEP_2) | instskip(NEXT) | instid1(VALU_DEP_1)
	v_or_b32_e32 v5, 0x70000000, v5
	v_mul_f32_e32 v5, 0x7800000, v5
	s_delay_alu instid0(VALU_DEP_1) | instskip(NEXT) | instid1(VALU_DEP_1)
	v_cndmask_b32_e32 v3, v5, v7, vcc_lo
	v_and_or_b32 v1, 0x80000000, v1, v3
	s_delay_alu instid0(VALU_DEP_1)
	v_cvt_i32_f32_e32 v1, v1
.LBB39_1216:
	s_mov_b32 s12, 0
	s_mov_b32 s14, -1
.LBB39_1217:
	s_and_not1_b32 vcc_lo, exec_lo, s12
	s_mov_b32 s13, 0
	s_cbranch_vccnz .LBB39_1228
; %bb.1218:
	s_cmp_gt_i32 s17, 14
	s_cbranch_scc0 .LBB39_1221
; %bb.1219:
	s_cmp_eq_u32 s17, 15
	s_cbranch_scc0 .LBB39_1224
; %bb.1220:
	s_wait_loadcnt 0x0
	global_load_u16 v1, v[12:13], off
	s_mov_b32 s0, 0
	s_mov_b32 s14, -1
	s_wait_loadcnt 0x0
	v_lshlrev_b32_e32 v1, 16, v1
	s_delay_alu instid0(VALU_DEP_1)
	v_cvt_i32_f32_e32 v1, v1
	s_branch .LBB39_1225
.LBB39_1221:
	s_mov_b32 s12, -1
                                        ; implicit-def: $vgpr1
	s_branch .LBB39_1226
.LBB39_1222:
	s_and_not1_saveexec_b32 s12, s12
	s_cbranch_execz .LBB39_1203
.LBB39_1223:
	v_cmp_ne_u16_e32 vcc_lo, 0, v3
	s_and_not1_b32 s13, s13, exec_lo
	s_and_b32 s14, vcc_lo, exec_lo
	s_delay_alu instid0(SALU_CYCLE_1)
	s_or_b32 s13, s13, s14
	s_or_b32 exec_lo, exec_lo, s12
	v_mov_b32_e32 v1, 0
	s_and_saveexec_b32 s12, s13
	s_cbranch_execnz .LBB39_1204
	s_branch .LBB39_1205
.LBB39_1224:
	s_mov_b32 s0, -1
                                        ; implicit-def: $vgpr1
.LBB39_1225:
	s_mov_b32 s12, 0
.LBB39_1226:
	s_delay_alu instid0(SALU_CYCLE_1)
	s_and_b32 vcc_lo, exec_lo, s12
	s_cbranch_vccz .LBB39_1228
; %bb.1227:
	s_cmp_lg_u32 s17, 11
	s_mov_b32 s13, -1
	s_cselect_b32 s0, -1, 0
.LBB39_1228:
	s_delay_alu instid0(SALU_CYCLE_1)
	s_and_b32 vcc_lo, exec_lo, s0
	s_mov_b32 s12, s1
	s_cbranch_vccnz .LBB39_1281
; %bb.1229:
	s_and_not1_b32 vcc_lo, exec_lo, s13
	s_cbranch_vccnz .LBB39_1231
.LBB39_1230:
	s_wait_loadcnt 0x0
	global_load_u8 v1, v[12:13], off
	s_mov_b32 s14, -1
	s_wait_loadcnt 0x0
	v_cmp_ne_u16_e32 vcc_lo, 0, v1
	v_cndmask_b32_e64 v1, 0, 1, vcc_lo
.LBB39_1231:
	s_branch .LBB39_1041
.LBB39_1232:
	s_cmp_lt_i32 s17, 5
	s_cbranch_scc1 .LBB39_1237
; %bb.1233:
	s_cmp_lt_i32 s17, 8
	s_cbranch_scc1 .LBB39_1238
; %bb.1234:
	;; [unrolled: 3-line block ×3, first 2 shown]
	s_cmp_gt_i32 s17, 9
	s_cbranch_scc0 .LBB39_1240
; %bb.1236:
	global_load_b64 v[14:15], v[12:13], off
	s_mov_b32 s0, 0
	s_wait_loadcnt 0x0
	v_cvt_i32_f64_e32 v1, v[14:15]
	s_branch .LBB39_1241
.LBB39_1237:
	s_mov_b32 s0, -1
                                        ; implicit-def: $vgpr1
	s_branch .LBB39_1259
.LBB39_1238:
	s_mov_b32 s0, -1
                                        ; implicit-def: $vgpr1
	s_branch .LBB39_1247
.LBB39_1239:
	s_mov_b32 s0, -1
                                        ; implicit-def: $vgpr1
	s_branch .LBB39_1244
.LBB39_1240:
	s_mov_b32 s0, -1
                                        ; implicit-def: $vgpr1
.LBB39_1241:
	s_delay_alu instid0(SALU_CYCLE_1)
	s_and_not1_b32 vcc_lo, exec_lo, s0
	s_cbranch_vccnz .LBB39_1243
; %bb.1242:
	s_wait_loadcnt 0x0
	global_load_b32 v1, v[12:13], off
	s_wait_loadcnt 0x0
	v_cvt_i32_f32_e32 v1, v1
.LBB39_1243:
	s_mov_b32 s0, 0
.LBB39_1244:
	s_delay_alu instid0(SALU_CYCLE_1)
	s_and_not1_b32 vcc_lo, exec_lo, s0
	s_cbranch_vccnz .LBB39_1246
; %bb.1245:
	s_wait_loadcnt 0x0
	global_load_b32 v1, v[12:13], off
	s_wait_loadcnt 0x0
	v_cvt_f32_f16_e32 v1, v1
	s_delay_alu instid0(VALU_DEP_1)
	v_cvt_i32_f32_e32 v1, v1
.LBB39_1246:
	s_mov_b32 s0, 0
.LBB39_1247:
	s_delay_alu instid0(SALU_CYCLE_1)
	s_and_not1_b32 vcc_lo, exec_lo, s0
	s_cbranch_vccnz .LBB39_1258
; %bb.1248:
	s_cmp_lt_i32 s17, 6
	s_cbranch_scc1 .LBB39_1251
; %bb.1249:
	s_cmp_gt_i32 s17, 6
	s_cbranch_scc0 .LBB39_1252
; %bb.1250:
	global_load_b64 v[14:15], v[12:13], off
	s_mov_b32 s0, 0
	s_wait_loadcnt 0x0
	v_cvt_i32_f64_e32 v1, v[14:15]
	s_branch .LBB39_1253
.LBB39_1251:
	s_mov_b32 s0, -1
                                        ; implicit-def: $vgpr1
	s_branch .LBB39_1256
.LBB39_1252:
	s_mov_b32 s0, -1
                                        ; implicit-def: $vgpr1
.LBB39_1253:
	s_delay_alu instid0(SALU_CYCLE_1)
	s_and_not1_b32 vcc_lo, exec_lo, s0
	s_cbranch_vccnz .LBB39_1255
; %bb.1254:
	s_wait_loadcnt 0x0
	global_load_b32 v1, v[12:13], off
	s_wait_loadcnt 0x0
	v_cvt_i32_f32_e32 v1, v1
.LBB39_1255:
	s_mov_b32 s0, 0
.LBB39_1256:
	s_delay_alu instid0(SALU_CYCLE_1)
	s_and_not1_b32 vcc_lo, exec_lo, s0
	s_cbranch_vccnz .LBB39_1258
; %bb.1257:
	s_wait_loadcnt 0x0
	global_load_u16 v1, v[12:13], off
	s_wait_loadcnt 0x0
	v_cvt_f32_f16_e32 v1, v1
	s_delay_alu instid0(VALU_DEP_1)
	v_cvt_i32_f32_e32 v1, v1
.LBB39_1258:
	s_mov_b32 s0, 0
.LBB39_1259:
	s_delay_alu instid0(SALU_CYCLE_1)
	s_and_not1_b32 vcc_lo, exec_lo, s0
	s_cbranch_vccnz .LBB39_1279
; %bb.1260:
	s_cmp_lt_i32 s17, 2
	s_cbranch_scc1 .LBB39_1264
; %bb.1261:
	s_cmp_lt_i32 s17, 3
	s_cbranch_scc1 .LBB39_1265
; %bb.1262:
	s_cmp_gt_i32 s17, 3
	s_cbranch_scc0 .LBB39_1266
; %bb.1263:
	s_wait_loadcnt 0x0
	global_load_b32 v1, v[12:13], off
	s_mov_b32 s0, 0
	s_branch .LBB39_1267
.LBB39_1264:
	s_mov_b32 s0, -1
                                        ; implicit-def: $vgpr1
	s_branch .LBB39_1273
.LBB39_1265:
	s_mov_b32 s0, -1
                                        ; implicit-def: $vgpr1
	s_branch .LBB39_1270
.LBB39_1266:
	s_mov_b32 s0, -1
                                        ; implicit-def: $vgpr1
.LBB39_1267:
	s_delay_alu instid0(SALU_CYCLE_1)
	s_and_not1_b32 vcc_lo, exec_lo, s0
	s_cbranch_vccnz .LBB39_1269
; %bb.1268:
	s_wait_loadcnt 0x0
	global_load_b32 v1, v[12:13], off
.LBB39_1269:
	s_mov_b32 s0, 0
.LBB39_1270:
	s_delay_alu instid0(SALU_CYCLE_1)
	s_and_not1_b32 vcc_lo, exec_lo, s0
	s_cbranch_vccnz .LBB39_1272
; %bb.1271:
	s_wait_loadcnt 0x0
	global_load_i16 v1, v[12:13], off
.LBB39_1272:
	s_mov_b32 s0, 0
.LBB39_1273:
	s_delay_alu instid0(SALU_CYCLE_1)
	s_and_not1_b32 vcc_lo, exec_lo, s0
	s_cbranch_vccnz .LBB39_1279
; %bb.1274:
	s_cmp_gt_i32 s17, 0
	s_mov_b32 s0, 0
	s_cbranch_scc0 .LBB39_1276
; %bb.1275:
	s_wait_loadcnt 0x0
	global_load_i8 v1, v[12:13], off
	s_branch .LBB39_1277
.LBB39_1276:
	s_mov_b32 s0, -1
                                        ; implicit-def: $vgpr1
.LBB39_1277:
	s_delay_alu instid0(SALU_CYCLE_1)
	s_and_not1_b32 vcc_lo, exec_lo, s0
	s_cbranch_vccnz .LBB39_1279
; %bb.1278:
	s_wait_loadcnt 0x0
	global_load_u8 v1, v[12:13], off
.LBB39_1279:
	s_branch .LBB39_1042
.LBB39_1280:
	s_mov_b32 s14, 0
	s_mov_b32 s15, 0
                                        ; implicit-def: $vgpr14_vgpr15
                                        ; implicit-def: $sgpr0
	s_branch .LBB39_1851
.LBB39_1281:
	s_or_b32 s12, s1, exec_lo
	s_trap 2
	s_cbranch_execz .LBB39_1230
	s_branch .LBB39_1231
.LBB39_1282:
	s_mov_b32 s14, -1
	s_mov_b32 s18, 0
	s_mov_b32 s0, 0
	s_branch .LBB39_1284
.LBB39_1283:
	s_mov_b32 s0, -1
	s_mov_b32 s18, 0
.LBB39_1284:
                                        ; implicit-def: $vgpr1
.LBB39_1285:
	s_and_b32 vcc_lo, exec_lo, s14
	s_cbranch_vccz .LBB39_1289
; %bb.1286:
	s_cmp_eq_u32 s17, 44
	s_cbranch_scc0 .LBB39_1288
; %bb.1287:
	global_load_u8 v1, v[10:11], off
	s_mov_b32 s0, 0
	s_mov_b32 s18, -1
	s_wait_loadcnt 0x0
	v_lshlrev_b32_e32 v3, 23, v1
	v_cmp_ne_u32_e32 vcc_lo, 0, v1
	s_delay_alu instid0(VALU_DEP_2) | instskip(NEXT) | instid1(VALU_DEP_1)
	v_cvt_i32_f32_e32 v3, v3
	v_cndmask_b32_e32 v1, 0, v3, vcc_lo
	s_branch .LBB39_1289
.LBB39_1288:
	s_mov_b32 s0, -1
                                        ; implicit-def: $vgpr1
.LBB39_1289:
	s_mov_b32 s14, 0
.LBB39_1290:
	s_delay_alu instid0(SALU_CYCLE_1)
	s_and_b32 vcc_lo, exec_lo, s14
	s_cbranch_vccz .LBB39_1294
; %bb.1291:
	s_cmp_eq_u32 s17, 29
	s_cbranch_scc0 .LBB39_1293
; %bb.1292:
	global_load_b32 v1, v[10:11], off
	s_mov_b32 s0, 0
	s_mov_b32 s18, -1
	s_branch .LBB39_1294
.LBB39_1293:
	s_mov_b32 s0, -1
                                        ; implicit-def: $vgpr1
.LBB39_1294:
	s_mov_b32 s14, 0
.LBB39_1295:
	s_delay_alu instid0(SALU_CYCLE_1)
	s_and_b32 vcc_lo, exec_lo, s14
	s_cbranch_vccz .LBB39_1311
; %bb.1296:
	s_cmp_lt_i32 s17, 27
	s_cbranch_scc1 .LBB39_1299
; %bb.1297:
	s_cmp_gt_i32 s17, 27
	s_cbranch_scc0 .LBB39_1300
; %bb.1298:
	s_wait_loadcnt 0x0
	global_load_b32 v1, v[10:11], off
	s_mov_b32 s14, 0
	s_branch .LBB39_1301
.LBB39_1299:
	s_mov_b32 s14, -1
                                        ; implicit-def: $vgpr1
	s_branch .LBB39_1304
.LBB39_1300:
	s_mov_b32 s14, -1
                                        ; implicit-def: $vgpr1
.LBB39_1301:
	s_delay_alu instid0(SALU_CYCLE_1)
	s_and_not1_b32 vcc_lo, exec_lo, s14
	s_cbranch_vccnz .LBB39_1303
; %bb.1302:
	s_wait_loadcnt 0x0
	global_load_u16 v1, v[10:11], off
.LBB39_1303:
	s_mov_b32 s14, 0
.LBB39_1304:
	s_delay_alu instid0(SALU_CYCLE_1)
	s_and_not1_b32 vcc_lo, exec_lo, s14
	s_cbranch_vccnz .LBB39_1310
; %bb.1305:
	global_load_u8 v3, v[10:11], off
	s_mov_b32 s18, 0
	s_mov_b32 s14, exec_lo
	s_wait_loadcnt 0x0
	v_cmpx_lt_i16_e32 0x7f, v3
	s_xor_b32 s14, exec_lo, s14
	s_cbranch_execz .LBB39_1322
; %bb.1306:
	v_cmp_ne_u16_e32 vcc_lo, 0x80, v3
	s_and_b32 s18, vcc_lo, exec_lo
	s_and_not1_saveexec_b32 s14, s14
	s_cbranch_execnz .LBB39_1323
.LBB39_1307:
	s_or_b32 exec_lo, exec_lo, s14
	v_mov_b32_e32 v1, 0
	s_and_saveexec_b32 s14, s18
	s_cbranch_execz .LBB39_1309
.LBB39_1308:
	v_and_b32_e32 v1, 0xffff, v3
	s_delay_alu instid0(VALU_DEP_1) | instskip(SKIP_1) | instid1(VALU_DEP_2)
	v_and_b32_e32 v5, 7, v1
	v_bfe_u32 v12, v1, 3, 4
	v_clz_i32_u32_e32 v7, v5
	s_delay_alu instid0(VALU_DEP_2) | instskip(NEXT) | instid1(VALU_DEP_2)
	v_cmp_eq_u32_e32 vcc_lo, 0, v12
	v_min_u32_e32 v7, 32, v7
	s_delay_alu instid0(VALU_DEP_1) | instskip(NEXT) | instid1(VALU_DEP_1)
	v_subrev_nc_u32_e32 v9, 28, v7
	v_dual_lshlrev_b32 v1, v9, v1 :: v_dual_sub_nc_u32 v7, 29, v7
	s_delay_alu instid0(VALU_DEP_1) | instskip(NEXT) | instid1(VALU_DEP_1)
	v_dual_lshlrev_b32 v3, 24, v3 :: v_dual_bitop2_b32 v1, 7, v1 bitop3:0x40
	v_dual_cndmask_b32 v1, v5, v1, vcc_lo :: v_dual_cndmask_b32 v7, v12, v7, vcc_lo
	s_delay_alu instid0(VALU_DEP_2) | instskip(NEXT) | instid1(VALU_DEP_2)
	v_and_b32_e32 v3, 0x80000000, v3
	v_lshlrev_b32_e32 v1, 20, v1
	s_delay_alu instid0(VALU_DEP_3) | instskip(NEXT) | instid1(VALU_DEP_1)
	v_lshl_add_u32 v5, v7, 23, 0x3b800000
	v_or3_b32 v1, v3, v5, v1
	s_delay_alu instid0(VALU_DEP_1)
	v_cvt_i32_f32_e32 v1, v1
.LBB39_1309:
	s_or_b32 exec_lo, exec_lo, s14
.LBB39_1310:
	s_mov_b32 s18, -1
.LBB39_1311:
	s_mov_b32 s14, 0
.LBB39_1312:
	s_delay_alu instid0(SALU_CYCLE_1)
	s_and_b32 vcc_lo, exec_lo, s14
	s_cbranch_vccz .LBB39_1343
; %bb.1313:
	s_cmp_gt_i32 s17, 22
	s_cbranch_scc0 .LBB39_1321
; %bb.1314:
	s_cmp_lt_i32 s17, 24
	s_cbranch_scc1 .LBB39_1324
; %bb.1315:
	s_cmp_gt_i32 s17, 24
	s_cbranch_scc0 .LBB39_1325
; %bb.1316:
	global_load_u8 v3, v[10:11], off
	s_mov_b32 s14, exec_lo
	s_wait_loadcnt 0x0
	v_cmpx_lt_i16_e32 0x7f, v3
	s_xor_b32 s14, exec_lo, s14
	s_cbranch_execz .LBB39_1337
; %bb.1317:
	v_cmp_ne_u16_e32 vcc_lo, 0x80, v3
	s_and_b32 s15, vcc_lo, exec_lo
	s_and_not1_saveexec_b32 s14, s14
	s_cbranch_execnz .LBB39_1338
.LBB39_1318:
	s_or_b32 exec_lo, exec_lo, s14
	v_mov_b32_e32 v1, 0
	s_and_saveexec_b32 s14, s15
	s_cbranch_execz .LBB39_1320
.LBB39_1319:
	v_and_b32_e32 v1, 0xffff, v3
	s_delay_alu instid0(VALU_DEP_1) | instskip(SKIP_1) | instid1(VALU_DEP_2)
	v_and_b32_e32 v5, 3, v1
	v_bfe_u32 v12, v1, 2, 5
	v_clz_i32_u32_e32 v7, v5
	s_delay_alu instid0(VALU_DEP_2) | instskip(NEXT) | instid1(VALU_DEP_2)
	v_cmp_eq_u32_e32 vcc_lo, 0, v12
	v_min_u32_e32 v7, 32, v7
	s_delay_alu instid0(VALU_DEP_1) | instskip(NEXT) | instid1(VALU_DEP_1)
	v_subrev_nc_u32_e32 v9, 29, v7
	v_dual_lshlrev_b32 v1, v9, v1 :: v_dual_sub_nc_u32 v7, 30, v7
	s_delay_alu instid0(VALU_DEP_1) | instskip(NEXT) | instid1(VALU_DEP_1)
	v_dual_lshlrev_b32 v3, 24, v3 :: v_dual_bitop2_b32 v1, 3, v1 bitop3:0x40
	v_dual_cndmask_b32 v1, v5, v1, vcc_lo :: v_dual_cndmask_b32 v7, v12, v7, vcc_lo
	s_delay_alu instid0(VALU_DEP_2) | instskip(NEXT) | instid1(VALU_DEP_2)
	v_and_b32_e32 v3, 0x80000000, v3
	v_lshlrev_b32_e32 v1, 21, v1
	s_delay_alu instid0(VALU_DEP_3) | instskip(NEXT) | instid1(VALU_DEP_1)
	v_lshl_add_u32 v5, v7, 23, 0x37800000
	v_or3_b32 v1, v3, v5, v1
	s_delay_alu instid0(VALU_DEP_1)
	v_cvt_i32_f32_e32 v1, v1
.LBB39_1320:
	s_or_b32 exec_lo, exec_lo, s14
	s_mov_b32 s14, 0
	s_branch .LBB39_1326
.LBB39_1321:
	s_mov_b32 s14, -1
                                        ; implicit-def: $vgpr1
	s_branch .LBB39_1332
.LBB39_1322:
	s_and_not1_saveexec_b32 s14, s14
	s_cbranch_execz .LBB39_1307
.LBB39_1323:
	v_cmp_ne_u16_e32 vcc_lo, 0, v3
	s_and_not1_b32 s18, s18, exec_lo
	s_and_b32 s19, vcc_lo, exec_lo
	s_delay_alu instid0(SALU_CYCLE_1)
	s_or_b32 s18, s18, s19
	s_or_b32 exec_lo, exec_lo, s14
	v_mov_b32_e32 v1, 0
	s_and_saveexec_b32 s14, s18
	s_cbranch_execnz .LBB39_1308
	s_branch .LBB39_1309
.LBB39_1324:
	s_mov_b32 s14, -1
                                        ; implicit-def: $vgpr1
	s_branch .LBB39_1329
.LBB39_1325:
	s_mov_b32 s14, -1
                                        ; implicit-def: $vgpr1
.LBB39_1326:
	s_delay_alu instid0(SALU_CYCLE_1)
	s_and_b32 vcc_lo, exec_lo, s14
	s_cbranch_vccz .LBB39_1328
; %bb.1327:
	s_wait_loadcnt 0x0
	global_load_u8 v1, v[10:11], off
	s_wait_loadcnt 0x0
	v_lshlrev_b32_e32 v1, 24, v1
	s_delay_alu instid0(VALU_DEP_1) | instskip(NEXT) | instid1(VALU_DEP_1)
	v_and_b32_e32 v3, 0x7f000000, v1
	v_clz_i32_u32_e32 v5, v3
	v_add_nc_u32_e32 v9, 0x1000000, v3
	v_cmp_ne_u32_e32 vcc_lo, 0, v3
	s_delay_alu instid0(VALU_DEP_3) | instskip(NEXT) | instid1(VALU_DEP_1)
	v_min_u32_e32 v5, 32, v5
	v_sub_nc_u32_e64 v5, v5, 4 clamp
	s_delay_alu instid0(VALU_DEP_1) | instskip(NEXT) | instid1(VALU_DEP_1)
	v_dual_lshlrev_b32 v7, v5, v3 :: v_dual_lshlrev_b32 v5, 23, v5
	v_lshrrev_b32_e32 v7, 4, v7
	s_delay_alu instid0(VALU_DEP_1) | instskip(SKIP_1) | instid1(VALU_DEP_2)
	v_sub_nc_u32_e32 v5, v7, v5
	v_ashrrev_i32_e32 v7, 8, v9
	v_add_nc_u32_e32 v5, 0x3c000000, v5
	s_delay_alu instid0(VALU_DEP_1) | instskip(NEXT) | instid1(VALU_DEP_1)
	v_and_or_b32 v5, 0x7f800000, v7, v5
	v_cndmask_b32_e32 v3, 0, v5, vcc_lo
	s_delay_alu instid0(VALU_DEP_1) | instskip(NEXT) | instid1(VALU_DEP_1)
	v_and_or_b32 v1, 0x80000000, v1, v3
	v_cvt_i32_f32_e32 v1, v1
.LBB39_1328:
	s_mov_b32 s14, 0
.LBB39_1329:
	s_delay_alu instid0(SALU_CYCLE_1)
	s_and_not1_b32 vcc_lo, exec_lo, s14
	s_cbranch_vccnz .LBB39_1331
; %bb.1330:
	s_wait_loadcnt 0x0
	global_load_u8 v1, v[10:11], off
	s_wait_loadcnt 0x0
	v_lshlrev_b32_e32 v3, 25, v1
	v_lshlrev_b16 v1, 8, v1
	s_delay_alu instid0(VALU_DEP_1) | instskip(SKIP_1) | instid1(VALU_DEP_2)
	v_and_or_b32 v7, 0x7f00, v1, 0.5
	v_bfe_i32 v1, v1, 0, 16
	v_add_f32_e32 v7, -0.5, v7
	v_lshrrev_b32_e32 v5, 4, v3
	v_cmp_gt_u32_e32 vcc_lo, 0x8000000, v3
	s_delay_alu instid0(VALU_DEP_2) | instskip(NEXT) | instid1(VALU_DEP_1)
	v_or_b32_e32 v5, 0x70000000, v5
	v_mul_f32_e32 v5, 0x7800000, v5
	s_delay_alu instid0(VALU_DEP_1) | instskip(NEXT) | instid1(VALU_DEP_1)
	v_cndmask_b32_e32 v3, v5, v7, vcc_lo
	v_and_or_b32 v1, 0x80000000, v1, v3
	s_delay_alu instid0(VALU_DEP_1)
	v_cvt_i32_f32_e32 v1, v1
.LBB39_1331:
	s_mov_b32 s14, 0
	s_mov_b32 s18, -1
.LBB39_1332:
	s_and_not1_b32 vcc_lo, exec_lo, s14
	s_mov_b32 s15, 0
	s_cbranch_vccnz .LBB39_1343
; %bb.1333:
	s_cmp_gt_i32 s17, 14
	s_cbranch_scc0 .LBB39_1336
; %bb.1334:
	s_cmp_eq_u32 s17, 15
	s_cbranch_scc0 .LBB39_1339
; %bb.1335:
	s_wait_loadcnt 0x0
	global_load_u16 v1, v[10:11], off
	s_mov_b32 s0, 0
	s_mov_b32 s18, -1
	s_wait_loadcnt 0x0
	v_lshlrev_b32_e32 v1, 16, v1
	s_delay_alu instid0(VALU_DEP_1)
	v_cvt_i32_f32_e32 v1, v1
	s_branch .LBB39_1340
.LBB39_1336:
	s_mov_b32 s14, -1
                                        ; implicit-def: $vgpr1
	s_branch .LBB39_1341
.LBB39_1337:
	s_and_not1_saveexec_b32 s14, s14
	s_cbranch_execz .LBB39_1318
.LBB39_1338:
	v_cmp_ne_u16_e32 vcc_lo, 0, v3
	s_and_not1_b32 s15, s15, exec_lo
	s_and_b32 s18, vcc_lo, exec_lo
	s_delay_alu instid0(SALU_CYCLE_1)
	s_or_b32 s15, s15, s18
	s_or_b32 exec_lo, exec_lo, s14
	v_mov_b32_e32 v1, 0
	s_and_saveexec_b32 s14, s15
	s_cbranch_execnz .LBB39_1319
	s_branch .LBB39_1320
.LBB39_1339:
	s_mov_b32 s0, -1
                                        ; implicit-def: $vgpr1
.LBB39_1340:
	s_mov_b32 s14, 0
.LBB39_1341:
	s_delay_alu instid0(SALU_CYCLE_1)
	s_and_b32 vcc_lo, exec_lo, s14
	s_cbranch_vccz .LBB39_1343
; %bb.1342:
	s_cmp_lg_u32 s17, 11
	s_mov_b32 s15, -1
	s_cselect_b32 s0, -1, 0
.LBB39_1343:
	s_delay_alu instid0(SALU_CYCLE_1)
	s_and_b32 vcc_lo, exec_lo, s0
	s_mov_b32 s14, s12
	s_cbranch_vccnz .LBB39_1410
; %bb.1344:
	s_and_not1_b32 vcc_lo, exec_lo, s15
	s_cbranch_vccnz .LBB39_1346
.LBB39_1345:
	s_wait_loadcnt 0x0
	global_load_u8 v1, v[10:11], off
	s_mov_b32 s18, -1
	s_wait_loadcnt 0x0
	v_cmp_ne_u16_e32 vcc_lo, 0, v1
	v_cndmask_b32_e64 v1, 0, 1, vcc_lo
.LBB39_1346:
	s_mov_b32 s0, 0
.LBB39_1347:
	s_delay_alu instid0(SALU_CYCLE_1)
	s_and_b32 vcc_lo, exec_lo, s0
	s_cbranch_vccz .LBB39_1396
; %bb.1348:
	s_cmp_lt_i32 s17, 5
	s_cbranch_scc1 .LBB39_1353
; %bb.1349:
	s_cmp_lt_i32 s17, 8
	s_cbranch_scc1 .LBB39_1354
	;; [unrolled: 3-line block ×3, first 2 shown]
; %bb.1351:
	s_cmp_gt_i32 s17, 9
	s_cbranch_scc0 .LBB39_1356
; %bb.1352:
	global_load_b64 v[12:13], v[10:11], off
	s_mov_b32 s0, 0
	s_wait_loadcnt 0x0
	v_cvt_i32_f64_e32 v1, v[12:13]
	s_branch .LBB39_1357
.LBB39_1353:
	s_mov_b32 s0, -1
                                        ; implicit-def: $vgpr1
	s_branch .LBB39_1375
.LBB39_1354:
	s_mov_b32 s0, -1
                                        ; implicit-def: $vgpr1
	s_branch .LBB39_1363
.LBB39_1355:
	s_mov_b32 s0, -1
                                        ; implicit-def: $vgpr1
	s_branch .LBB39_1360
.LBB39_1356:
	s_mov_b32 s0, -1
                                        ; implicit-def: $vgpr1
.LBB39_1357:
	s_delay_alu instid0(SALU_CYCLE_1)
	s_and_not1_b32 vcc_lo, exec_lo, s0
	s_cbranch_vccnz .LBB39_1359
; %bb.1358:
	s_wait_loadcnt 0x0
	global_load_b32 v1, v[10:11], off
	s_wait_loadcnt 0x0
	v_cvt_i32_f32_e32 v1, v1
.LBB39_1359:
	s_mov_b32 s0, 0
.LBB39_1360:
	s_delay_alu instid0(SALU_CYCLE_1)
	s_and_not1_b32 vcc_lo, exec_lo, s0
	s_cbranch_vccnz .LBB39_1362
; %bb.1361:
	s_wait_loadcnt 0x0
	global_load_b32 v1, v[10:11], off
	s_wait_loadcnt 0x0
	v_cvt_f32_f16_e32 v1, v1
	s_delay_alu instid0(VALU_DEP_1)
	v_cvt_i32_f32_e32 v1, v1
.LBB39_1362:
	s_mov_b32 s0, 0
.LBB39_1363:
	s_delay_alu instid0(SALU_CYCLE_1)
	s_and_not1_b32 vcc_lo, exec_lo, s0
	s_cbranch_vccnz .LBB39_1374
; %bb.1364:
	s_cmp_lt_i32 s17, 6
	s_cbranch_scc1 .LBB39_1367
; %bb.1365:
	s_cmp_gt_i32 s17, 6
	s_cbranch_scc0 .LBB39_1368
; %bb.1366:
	global_load_b64 v[12:13], v[10:11], off
	s_mov_b32 s0, 0
	s_wait_loadcnt 0x0
	v_cvt_i32_f64_e32 v1, v[12:13]
	s_branch .LBB39_1369
.LBB39_1367:
	s_mov_b32 s0, -1
                                        ; implicit-def: $vgpr1
	s_branch .LBB39_1372
.LBB39_1368:
	s_mov_b32 s0, -1
                                        ; implicit-def: $vgpr1
.LBB39_1369:
	s_delay_alu instid0(SALU_CYCLE_1)
	s_and_not1_b32 vcc_lo, exec_lo, s0
	s_cbranch_vccnz .LBB39_1371
; %bb.1370:
	s_wait_loadcnt 0x0
	global_load_b32 v1, v[10:11], off
	s_wait_loadcnt 0x0
	v_cvt_i32_f32_e32 v1, v1
.LBB39_1371:
	s_mov_b32 s0, 0
.LBB39_1372:
	s_delay_alu instid0(SALU_CYCLE_1)
	s_and_not1_b32 vcc_lo, exec_lo, s0
	s_cbranch_vccnz .LBB39_1374
; %bb.1373:
	s_wait_loadcnt 0x0
	global_load_u16 v1, v[10:11], off
	s_wait_loadcnt 0x0
	v_cvt_f32_f16_e32 v1, v1
	s_delay_alu instid0(VALU_DEP_1)
	v_cvt_i32_f32_e32 v1, v1
.LBB39_1374:
	s_mov_b32 s0, 0
.LBB39_1375:
	s_delay_alu instid0(SALU_CYCLE_1)
	s_and_not1_b32 vcc_lo, exec_lo, s0
	s_cbranch_vccnz .LBB39_1395
; %bb.1376:
	s_cmp_lt_i32 s17, 2
	s_cbranch_scc1 .LBB39_1380
; %bb.1377:
	s_cmp_lt_i32 s17, 3
	s_cbranch_scc1 .LBB39_1381
; %bb.1378:
	s_cmp_gt_i32 s17, 3
	s_cbranch_scc0 .LBB39_1382
; %bb.1379:
	s_wait_loadcnt 0x0
	global_load_b32 v1, v[10:11], off
	s_mov_b32 s0, 0
	s_branch .LBB39_1383
.LBB39_1380:
	s_mov_b32 s0, -1
                                        ; implicit-def: $vgpr1
	s_branch .LBB39_1389
.LBB39_1381:
	s_mov_b32 s0, -1
                                        ; implicit-def: $vgpr1
	s_branch .LBB39_1386
.LBB39_1382:
	s_mov_b32 s0, -1
                                        ; implicit-def: $vgpr1
.LBB39_1383:
	s_delay_alu instid0(SALU_CYCLE_1)
	s_and_not1_b32 vcc_lo, exec_lo, s0
	s_cbranch_vccnz .LBB39_1385
; %bb.1384:
	s_wait_loadcnt 0x0
	global_load_b32 v1, v[10:11], off
.LBB39_1385:
	s_mov_b32 s0, 0
.LBB39_1386:
	s_delay_alu instid0(SALU_CYCLE_1)
	s_and_not1_b32 vcc_lo, exec_lo, s0
	s_cbranch_vccnz .LBB39_1388
; %bb.1387:
	s_wait_loadcnt 0x0
	global_load_i16 v1, v[10:11], off
.LBB39_1388:
	s_mov_b32 s0, 0
.LBB39_1389:
	s_delay_alu instid0(SALU_CYCLE_1)
	s_and_not1_b32 vcc_lo, exec_lo, s0
	s_cbranch_vccnz .LBB39_1395
; %bb.1390:
	s_cmp_gt_i32 s17, 0
	s_mov_b32 s0, 0
	s_cbranch_scc0 .LBB39_1392
; %bb.1391:
	s_wait_loadcnt 0x0
	global_load_i8 v1, v[10:11], off
	s_branch .LBB39_1393
.LBB39_1392:
	s_mov_b32 s0, -1
                                        ; implicit-def: $vgpr1
.LBB39_1393:
	s_delay_alu instid0(SALU_CYCLE_1)
	s_and_not1_b32 vcc_lo, exec_lo, s0
	s_cbranch_vccnz .LBB39_1395
; %bb.1394:
	s_wait_loadcnt 0x0
	global_load_u8 v1, v[10:11], off
.LBB39_1395:
	s_mov_b32 s18, -1
.LBB39_1396:
	s_delay_alu instid0(SALU_CYCLE_1)
	s_and_not1_b32 vcc_lo, exec_lo, s18
	s_cbranch_vccnz .LBB39_1406
; %bb.1397:
	s_wait_loadcnt 0x0
	s_delay_alu instid0(VALU_DEP_1) | instskip(SKIP_4) | instid1(SALU_CYCLE_1)
	v_cmp_gt_i32_e32 vcc_lo, s16, v1
	v_cmp_le_i32_e64 s0, s8, v1
	s_or_b32 s0, vcc_lo, s0
	s_wait_xcnt 0x0
	s_and_saveexec_b32 s15, s0
	s_xor_b32 s0, exec_lo, s15
	s_cbranch_execnz .LBB39_1903
.LBB39_1398:
	s_or_saveexec_b32 s15, s0
	s_mov_b32 s18, 0
	s_mov_b32 s19, 0
                                        ; implicit-def: $vgpr14_vgpr15
                                        ; implicit-def: $sgpr0
	s_xor_b32 exec_lo, exec_lo, s15
	s_cbranch_execz .LBB39_1848
; %bb.1399:
	v_mov_b32_e32 v9, 0
	s_cmp_lt_i32 s17, 11
	s_delay_alu instid0(VALU_DEP_1)
	v_add_nc_u64_e32 v[8:9], s[6:7], v[8:9]
	s_cbranch_scc1 .LBB39_1407
; %bb.1400:
	s_cmp_gt_i32 s17, 25
	s_mov_b32 s7, 0
	s_cbranch_scc0 .LBB39_1408
; %bb.1401:
	s_cmp_gt_i32 s17, 28
	s_cbranch_scc0 .LBB39_1409
; %bb.1402:
	s_cmp_gt_i32 s17, 43
	;; [unrolled: 3-line block ×3, first 2 shown]
	s_cbranch_scc0 .LBB39_1412
; %bb.1404:
	s_cmp_eq_u32 s17, 46
	s_mov_b32 s6, 0
	s_cbranch_scc0 .LBB39_1414
; %bb.1405:
	global_load_b32 v1, v[8:9], off
	s_mov_b32 s0, 0
	s_mov_b32 s18, -1
	s_wait_loadcnt 0x0
	v_lshlrev_b32_e32 v1, 16, v1
	s_delay_alu instid0(VALU_DEP_1)
	v_cvt_i32_f32_e32 v1, v1
	s_branch .LBB39_1416
.LBB39_1406:
	s_mov_b32 s18, 0
	s_mov_b32 s19, 0
                                        ; implicit-def: $vgpr14_vgpr15
                                        ; implicit-def: $sgpr0
	s_branch .LBB39_1849
.LBB39_1407:
	s_mov_b32 s0, -1
	s_mov_b32 s6, s14
                                        ; implicit-def: $vgpr1
	s_branch .LBB39_1478
.LBB39_1408:
	s_mov_b32 s6, -1
	s_mov_b32 s0, 0
                                        ; implicit-def: $vgpr1
	s_branch .LBB39_1443
.LBB39_1409:
	s_mov_b32 s6, -1
	s_mov_b32 s0, 0
                                        ; implicit-def: $vgpr1
	s_branch .LBB39_1426
.LBB39_1410:
	s_or_b32 s14, s12, exec_lo
	s_trap 2
	s_cbranch_execz .LBB39_1345
	s_branch .LBB39_1346
.LBB39_1411:
	s_mov_b32 s6, -1
	s_mov_b32 s0, 0
                                        ; implicit-def: $vgpr1
	s_branch .LBB39_1421
.LBB39_1412:
	s_mov_b32 s6, -1
	s_mov_b32 s0, 0
	s_branch .LBB39_1415
.LBB39_1413:
	s_or_b32 s1, s1, exec_lo
	s_trap 2
                                        ; implicit-def: $vgpr12
                                        ; implicit-def: $vgpr10
                                        ; implicit-def: $vgpr8
                                        ; implicit-def: $vgpr0
                                        ; implicit-def: $vgpr6
                                        ; implicit-def: $vgpr4
                                        ; implicit-def: $vgpr2
	s_branch .LBB39_1030
.LBB39_1414:
	s_mov_b32 s0, -1
.LBB39_1415:
                                        ; implicit-def: $vgpr1
.LBB39_1416:
	s_and_b32 vcc_lo, exec_lo, s6
	s_cbranch_vccz .LBB39_1420
; %bb.1417:
	s_cmp_eq_u32 s17, 44
	s_cbranch_scc0 .LBB39_1419
; %bb.1418:
	global_load_u8 v1, v[8:9], off
	s_mov_b32 s0, 0
	s_mov_b32 s18, -1
	s_wait_loadcnt 0x0
	v_lshlrev_b32_e32 v3, 23, v1
	v_cmp_ne_u32_e32 vcc_lo, 0, v1
	s_delay_alu instid0(VALU_DEP_2) | instskip(NEXT) | instid1(VALU_DEP_1)
	v_cvt_i32_f32_e32 v3, v3
	v_cndmask_b32_e32 v1, 0, v3, vcc_lo
	s_branch .LBB39_1420
.LBB39_1419:
	s_mov_b32 s0, -1
                                        ; implicit-def: $vgpr1
.LBB39_1420:
	s_mov_b32 s6, 0
.LBB39_1421:
	s_delay_alu instid0(SALU_CYCLE_1)
	s_and_b32 vcc_lo, exec_lo, s6
	s_cbranch_vccz .LBB39_1425
; %bb.1422:
	s_cmp_eq_u32 s17, 29
	s_cbranch_scc0 .LBB39_1424
; %bb.1423:
	global_load_b32 v1, v[8:9], off
	s_mov_b32 s0, 0
	s_mov_b32 s18, -1
	s_branch .LBB39_1425
.LBB39_1424:
	s_mov_b32 s0, -1
                                        ; implicit-def: $vgpr1
.LBB39_1425:
	s_mov_b32 s6, 0
.LBB39_1426:
	s_delay_alu instid0(SALU_CYCLE_1)
	s_and_b32 vcc_lo, exec_lo, s6
	s_cbranch_vccz .LBB39_1442
; %bb.1427:
	s_cmp_lt_i32 s17, 27
	s_cbranch_scc1 .LBB39_1430
; %bb.1428:
	s_cmp_gt_i32 s17, 27
	s_cbranch_scc0 .LBB39_1431
; %bb.1429:
	s_wait_loadcnt 0x0
	global_load_b32 v1, v[8:9], off
	s_mov_b32 s6, 0
	s_branch .LBB39_1432
.LBB39_1430:
	s_mov_b32 s6, -1
                                        ; implicit-def: $vgpr1
	s_branch .LBB39_1435
.LBB39_1431:
	s_mov_b32 s6, -1
                                        ; implicit-def: $vgpr1
.LBB39_1432:
	s_delay_alu instid0(SALU_CYCLE_1)
	s_and_not1_b32 vcc_lo, exec_lo, s6
	s_cbranch_vccnz .LBB39_1434
; %bb.1433:
	s_wait_loadcnt 0x0
	global_load_u16 v1, v[8:9], off
.LBB39_1434:
	s_mov_b32 s6, 0
.LBB39_1435:
	s_delay_alu instid0(SALU_CYCLE_1)
	s_and_not1_b32 vcc_lo, exec_lo, s6
	s_cbranch_vccnz .LBB39_1441
; %bb.1436:
	global_load_u8 v3, v[8:9], off
	s_mov_b32 s18, 0
	s_mov_b32 s6, exec_lo
	s_wait_loadcnt 0x0
	v_cmpx_lt_i16_e32 0x7f, v3
	s_xor_b32 s6, exec_lo, s6
	s_cbranch_execz .LBB39_1453
; %bb.1437:
	v_cmp_ne_u16_e32 vcc_lo, 0x80, v3
	s_and_b32 s18, vcc_lo, exec_lo
	s_and_not1_saveexec_b32 s6, s6
	s_cbranch_execnz .LBB39_1454
.LBB39_1438:
	s_or_b32 exec_lo, exec_lo, s6
	v_mov_b32_e32 v1, 0
	s_and_saveexec_b32 s6, s18
	s_cbranch_execz .LBB39_1440
.LBB39_1439:
	v_and_b32_e32 v1, 0xffff, v3
	s_delay_alu instid0(VALU_DEP_1) | instskip(SKIP_1) | instid1(VALU_DEP_2)
	v_and_b32_e32 v5, 7, v1
	v_bfe_u32 v11, v1, 3, 4
	v_clz_i32_u32_e32 v7, v5
	s_delay_alu instid0(VALU_DEP_2) | instskip(NEXT) | instid1(VALU_DEP_2)
	v_cmp_eq_u32_e32 vcc_lo, 0, v11
	v_min_u32_e32 v7, 32, v7
	s_delay_alu instid0(VALU_DEP_1) | instskip(NEXT) | instid1(VALU_DEP_1)
	v_subrev_nc_u32_e32 v10, 28, v7
	v_dual_lshlrev_b32 v1, v10, v1 :: v_dual_sub_nc_u32 v7, 29, v7
	s_delay_alu instid0(VALU_DEP_1) | instskip(NEXT) | instid1(VALU_DEP_1)
	v_dual_lshlrev_b32 v3, 24, v3 :: v_dual_bitop2_b32 v1, 7, v1 bitop3:0x40
	v_dual_cndmask_b32 v1, v5, v1, vcc_lo :: v_dual_cndmask_b32 v7, v11, v7, vcc_lo
	s_delay_alu instid0(VALU_DEP_2) | instskip(NEXT) | instid1(VALU_DEP_2)
	v_and_b32_e32 v3, 0x80000000, v3
	v_lshlrev_b32_e32 v1, 20, v1
	s_delay_alu instid0(VALU_DEP_3) | instskip(NEXT) | instid1(VALU_DEP_1)
	v_lshl_add_u32 v5, v7, 23, 0x3b800000
	v_or3_b32 v1, v3, v5, v1
	s_delay_alu instid0(VALU_DEP_1)
	v_cvt_i32_f32_e32 v1, v1
.LBB39_1440:
	s_or_b32 exec_lo, exec_lo, s6
.LBB39_1441:
	s_mov_b32 s18, -1
.LBB39_1442:
	s_mov_b32 s6, 0
.LBB39_1443:
	s_delay_alu instid0(SALU_CYCLE_1)
	s_and_b32 vcc_lo, exec_lo, s6
	s_cbranch_vccz .LBB39_1474
; %bb.1444:
	s_cmp_gt_i32 s17, 22
	s_cbranch_scc0 .LBB39_1452
; %bb.1445:
	s_cmp_lt_i32 s17, 24
	s_cbranch_scc1 .LBB39_1455
; %bb.1446:
	s_cmp_gt_i32 s17, 24
	s_cbranch_scc0 .LBB39_1456
; %bb.1447:
	global_load_u8 v3, v[8:9], off
	s_mov_b32 s6, exec_lo
	s_wait_loadcnt 0x0
	v_cmpx_lt_i16_e32 0x7f, v3
	s_xor_b32 s6, exec_lo, s6
	s_cbranch_execz .LBB39_1468
; %bb.1448:
	v_cmp_ne_u16_e32 vcc_lo, 0x80, v3
	s_and_b32 s7, vcc_lo, exec_lo
	s_and_not1_saveexec_b32 s6, s6
	s_cbranch_execnz .LBB39_1469
.LBB39_1449:
	s_or_b32 exec_lo, exec_lo, s6
	v_mov_b32_e32 v1, 0
	s_and_saveexec_b32 s6, s7
	s_cbranch_execz .LBB39_1451
.LBB39_1450:
	v_and_b32_e32 v1, 0xffff, v3
	s_delay_alu instid0(VALU_DEP_1) | instskip(SKIP_1) | instid1(VALU_DEP_2)
	v_and_b32_e32 v5, 3, v1
	v_bfe_u32 v11, v1, 2, 5
	v_clz_i32_u32_e32 v7, v5
	s_delay_alu instid0(VALU_DEP_2) | instskip(NEXT) | instid1(VALU_DEP_2)
	v_cmp_eq_u32_e32 vcc_lo, 0, v11
	v_min_u32_e32 v7, 32, v7
	s_delay_alu instid0(VALU_DEP_1) | instskip(NEXT) | instid1(VALU_DEP_1)
	v_subrev_nc_u32_e32 v10, 29, v7
	v_dual_lshlrev_b32 v1, v10, v1 :: v_dual_sub_nc_u32 v7, 30, v7
	s_delay_alu instid0(VALU_DEP_1) | instskip(NEXT) | instid1(VALU_DEP_1)
	v_dual_lshlrev_b32 v3, 24, v3 :: v_dual_bitop2_b32 v1, 3, v1 bitop3:0x40
	v_dual_cndmask_b32 v1, v5, v1, vcc_lo :: v_dual_cndmask_b32 v7, v11, v7, vcc_lo
	s_delay_alu instid0(VALU_DEP_2) | instskip(NEXT) | instid1(VALU_DEP_2)
	v_and_b32_e32 v3, 0x80000000, v3
	v_lshlrev_b32_e32 v1, 21, v1
	s_delay_alu instid0(VALU_DEP_3) | instskip(NEXT) | instid1(VALU_DEP_1)
	v_lshl_add_u32 v5, v7, 23, 0x37800000
	v_or3_b32 v1, v3, v5, v1
	s_delay_alu instid0(VALU_DEP_1)
	v_cvt_i32_f32_e32 v1, v1
.LBB39_1451:
	s_or_b32 exec_lo, exec_lo, s6
	s_mov_b32 s6, 0
	s_branch .LBB39_1457
.LBB39_1452:
	s_mov_b32 s6, -1
                                        ; implicit-def: $vgpr1
	s_branch .LBB39_1463
.LBB39_1453:
	s_and_not1_saveexec_b32 s6, s6
	s_cbranch_execz .LBB39_1438
.LBB39_1454:
	v_cmp_ne_u16_e32 vcc_lo, 0, v3
	s_and_not1_b32 s18, s18, exec_lo
	s_and_b32 s19, vcc_lo, exec_lo
	s_delay_alu instid0(SALU_CYCLE_1)
	s_or_b32 s18, s18, s19
	s_or_b32 exec_lo, exec_lo, s6
	v_mov_b32_e32 v1, 0
	s_and_saveexec_b32 s6, s18
	s_cbranch_execnz .LBB39_1439
	s_branch .LBB39_1440
.LBB39_1455:
	s_mov_b32 s6, -1
                                        ; implicit-def: $vgpr1
	s_branch .LBB39_1460
.LBB39_1456:
	s_mov_b32 s6, -1
                                        ; implicit-def: $vgpr1
.LBB39_1457:
	s_delay_alu instid0(SALU_CYCLE_1)
	s_and_b32 vcc_lo, exec_lo, s6
	s_cbranch_vccz .LBB39_1459
; %bb.1458:
	s_wait_loadcnt 0x0
	global_load_u8 v1, v[8:9], off
	s_wait_loadcnt 0x0
	v_lshlrev_b32_e32 v1, 24, v1
	s_delay_alu instid0(VALU_DEP_1) | instskip(NEXT) | instid1(VALU_DEP_1)
	v_and_b32_e32 v3, 0x7f000000, v1
	v_clz_i32_u32_e32 v5, v3
	v_cmp_ne_u32_e32 vcc_lo, 0, v3
	v_add_nc_u32_e32 v10, 0x1000000, v3
	s_delay_alu instid0(VALU_DEP_3) | instskip(NEXT) | instid1(VALU_DEP_1)
	v_min_u32_e32 v5, 32, v5
	v_sub_nc_u32_e64 v5, v5, 4 clamp
	s_delay_alu instid0(VALU_DEP_1) | instskip(NEXT) | instid1(VALU_DEP_1)
	v_dual_lshlrev_b32 v7, v5, v3 :: v_dual_lshlrev_b32 v5, 23, v5
	v_lshrrev_b32_e32 v7, 4, v7
	s_delay_alu instid0(VALU_DEP_1) | instskip(NEXT) | instid1(VALU_DEP_1)
	v_dual_sub_nc_u32 v5, v7, v5 :: v_dual_ashrrev_i32 v7, 8, v10
	v_add_nc_u32_e32 v5, 0x3c000000, v5
	s_delay_alu instid0(VALU_DEP_1) | instskip(NEXT) | instid1(VALU_DEP_1)
	v_and_or_b32 v5, 0x7f800000, v7, v5
	v_cndmask_b32_e32 v3, 0, v5, vcc_lo
	s_delay_alu instid0(VALU_DEP_1) | instskip(NEXT) | instid1(VALU_DEP_1)
	v_and_or_b32 v1, 0x80000000, v1, v3
	v_cvt_i32_f32_e32 v1, v1
.LBB39_1459:
	s_mov_b32 s6, 0
.LBB39_1460:
	s_delay_alu instid0(SALU_CYCLE_1)
	s_and_not1_b32 vcc_lo, exec_lo, s6
	s_cbranch_vccnz .LBB39_1462
; %bb.1461:
	s_wait_loadcnt 0x0
	global_load_u8 v1, v[8:9], off
	s_wait_loadcnt 0x0
	v_lshlrev_b32_e32 v3, 25, v1
	v_lshlrev_b16 v1, 8, v1
	s_delay_alu instid0(VALU_DEP_1) | instskip(SKIP_1) | instid1(VALU_DEP_2)
	v_and_or_b32 v7, 0x7f00, v1, 0.5
	v_bfe_i32 v1, v1, 0, 16
	v_add_f32_e32 v7, -0.5, v7
	v_lshrrev_b32_e32 v5, 4, v3
	v_cmp_gt_u32_e32 vcc_lo, 0x8000000, v3
	s_delay_alu instid0(VALU_DEP_2) | instskip(NEXT) | instid1(VALU_DEP_1)
	v_or_b32_e32 v5, 0x70000000, v5
	v_mul_f32_e32 v5, 0x7800000, v5
	s_delay_alu instid0(VALU_DEP_1) | instskip(NEXT) | instid1(VALU_DEP_1)
	v_cndmask_b32_e32 v3, v5, v7, vcc_lo
	v_and_or_b32 v1, 0x80000000, v1, v3
	s_delay_alu instid0(VALU_DEP_1)
	v_cvt_i32_f32_e32 v1, v1
.LBB39_1462:
	s_mov_b32 s6, 0
	s_mov_b32 s18, -1
.LBB39_1463:
	s_and_not1_b32 vcc_lo, exec_lo, s6
	s_mov_b32 s7, 0
	s_cbranch_vccnz .LBB39_1474
; %bb.1464:
	s_cmp_gt_i32 s17, 14
	s_cbranch_scc0 .LBB39_1467
; %bb.1465:
	s_cmp_eq_u32 s17, 15
	s_cbranch_scc0 .LBB39_1470
; %bb.1466:
	s_wait_loadcnt 0x0
	global_load_u16 v1, v[8:9], off
	s_mov_b32 s0, 0
	s_mov_b32 s18, -1
	s_wait_loadcnt 0x0
	v_lshlrev_b32_e32 v1, 16, v1
	s_delay_alu instid0(VALU_DEP_1)
	v_cvt_i32_f32_e32 v1, v1
	s_branch .LBB39_1471
.LBB39_1467:
	s_mov_b32 s6, -1
                                        ; implicit-def: $vgpr1
	s_branch .LBB39_1472
.LBB39_1468:
	s_and_not1_saveexec_b32 s6, s6
	s_cbranch_execz .LBB39_1449
.LBB39_1469:
	v_cmp_ne_u16_e32 vcc_lo, 0, v3
	s_and_not1_b32 s7, s7, exec_lo
	s_and_b32 s18, vcc_lo, exec_lo
	s_delay_alu instid0(SALU_CYCLE_1)
	s_or_b32 s7, s7, s18
	s_or_b32 exec_lo, exec_lo, s6
	v_mov_b32_e32 v1, 0
	s_and_saveexec_b32 s6, s7
	s_cbranch_execnz .LBB39_1450
	s_branch .LBB39_1451
.LBB39_1470:
	s_mov_b32 s0, -1
                                        ; implicit-def: $vgpr1
.LBB39_1471:
	s_mov_b32 s6, 0
.LBB39_1472:
	s_delay_alu instid0(SALU_CYCLE_1)
	s_and_b32 vcc_lo, exec_lo, s6
	s_cbranch_vccz .LBB39_1474
; %bb.1473:
	s_cmp_lg_u32 s17, 11
	s_mov_b32 s7, -1
	s_cselect_b32 s0, -1, 0
.LBB39_1474:
	s_delay_alu instid0(SALU_CYCLE_1)
	s_and_b32 vcc_lo, exec_lo, s0
	s_mov_b32 s6, s14
	s_cbranch_vccnz .LBB39_1897
; %bb.1475:
	s_and_not1_b32 vcc_lo, exec_lo, s7
	s_cbranch_vccnz .LBB39_1477
.LBB39_1476:
	s_wait_loadcnt 0x0
	global_load_u8 v1, v[8:9], off
	s_mov_b32 s18, -1
	s_wait_loadcnt 0x0
	v_cmp_ne_u16_e32 vcc_lo, 0, v1
	v_cndmask_b32_e64 v1, 0, 1, vcc_lo
.LBB39_1477:
	s_mov_b32 s0, 0
.LBB39_1478:
	s_delay_alu instid0(SALU_CYCLE_1)
	s_and_b32 vcc_lo, exec_lo, s0
	s_cbranch_vccz .LBB39_1527
; %bb.1479:
	s_cmp_lt_i32 s17, 5
	s_cbranch_scc1 .LBB39_1484
; %bb.1480:
	s_cmp_lt_i32 s17, 8
	s_cbranch_scc1 .LBB39_1485
; %bb.1481:
	s_cmp_lt_i32 s17, 9
	s_cbranch_scc1 .LBB39_1486
; %bb.1482:
	s_cmp_gt_i32 s17, 9
	s_cbranch_scc0 .LBB39_1487
; %bb.1483:
	global_load_b64 v[10:11], v[8:9], off
	s_mov_b32 s0, 0
	s_wait_loadcnt 0x0
	v_cvt_i32_f64_e32 v1, v[10:11]
	s_branch .LBB39_1488
.LBB39_1484:
	s_mov_b32 s0, -1
                                        ; implicit-def: $vgpr1
	s_branch .LBB39_1506
.LBB39_1485:
	s_mov_b32 s0, -1
                                        ; implicit-def: $vgpr1
	s_branch .LBB39_1494
.LBB39_1486:
	s_mov_b32 s0, -1
                                        ; implicit-def: $vgpr1
	s_branch .LBB39_1491
.LBB39_1487:
	s_mov_b32 s0, -1
                                        ; implicit-def: $vgpr1
.LBB39_1488:
	s_delay_alu instid0(SALU_CYCLE_1)
	s_and_not1_b32 vcc_lo, exec_lo, s0
	s_cbranch_vccnz .LBB39_1490
; %bb.1489:
	s_wait_loadcnt 0x0
	global_load_b32 v1, v[8:9], off
	s_wait_loadcnt 0x0
	v_cvt_i32_f32_e32 v1, v1
.LBB39_1490:
	s_mov_b32 s0, 0
.LBB39_1491:
	s_delay_alu instid0(SALU_CYCLE_1)
	s_and_not1_b32 vcc_lo, exec_lo, s0
	s_cbranch_vccnz .LBB39_1493
; %bb.1492:
	s_wait_loadcnt 0x0
	global_load_b32 v1, v[8:9], off
	s_wait_loadcnt 0x0
	v_cvt_f32_f16_e32 v1, v1
	s_delay_alu instid0(VALU_DEP_1)
	v_cvt_i32_f32_e32 v1, v1
.LBB39_1493:
	s_mov_b32 s0, 0
.LBB39_1494:
	s_delay_alu instid0(SALU_CYCLE_1)
	s_and_not1_b32 vcc_lo, exec_lo, s0
	s_cbranch_vccnz .LBB39_1505
; %bb.1495:
	s_cmp_lt_i32 s17, 6
	s_cbranch_scc1 .LBB39_1498
; %bb.1496:
	s_cmp_gt_i32 s17, 6
	s_cbranch_scc0 .LBB39_1499
; %bb.1497:
	global_load_b64 v[10:11], v[8:9], off
	s_mov_b32 s0, 0
	s_wait_loadcnt 0x0
	v_cvt_i32_f64_e32 v1, v[10:11]
	s_branch .LBB39_1500
.LBB39_1498:
	s_mov_b32 s0, -1
                                        ; implicit-def: $vgpr1
	s_branch .LBB39_1503
.LBB39_1499:
	s_mov_b32 s0, -1
                                        ; implicit-def: $vgpr1
.LBB39_1500:
	s_delay_alu instid0(SALU_CYCLE_1)
	s_and_not1_b32 vcc_lo, exec_lo, s0
	s_cbranch_vccnz .LBB39_1502
; %bb.1501:
	s_wait_loadcnt 0x0
	global_load_b32 v1, v[8:9], off
	s_wait_loadcnt 0x0
	v_cvt_i32_f32_e32 v1, v1
.LBB39_1502:
	s_mov_b32 s0, 0
.LBB39_1503:
	s_delay_alu instid0(SALU_CYCLE_1)
	s_and_not1_b32 vcc_lo, exec_lo, s0
	s_cbranch_vccnz .LBB39_1505
; %bb.1504:
	s_wait_loadcnt 0x0
	global_load_u16 v1, v[8:9], off
	s_wait_loadcnt 0x0
	v_cvt_f32_f16_e32 v1, v1
	s_delay_alu instid0(VALU_DEP_1)
	v_cvt_i32_f32_e32 v1, v1
.LBB39_1505:
	s_mov_b32 s0, 0
.LBB39_1506:
	s_delay_alu instid0(SALU_CYCLE_1)
	s_and_not1_b32 vcc_lo, exec_lo, s0
	s_cbranch_vccnz .LBB39_1526
; %bb.1507:
	s_cmp_lt_i32 s17, 2
	s_cbranch_scc1 .LBB39_1511
; %bb.1508:
	s_cmp_lt_i32 s17, 3
	s_cbranch_scc1 .LBB39_1512
; %bb.1509:
	s_cmp_gt_i32 s17, 3
	s_cbranch_scc0 .LBB39_1513
; %bb.1510:
	s_wait_loadcnt 0x0
	global_load_b32 v1, v[8:9], off
	s_mov_b32 s0, 0
	s_branch .LBB39_1514
.LBB39_1511:
	s_mov_b32 s0, -1
                                        ; implicit-def: $vgpr1
	s_branch .LBB39_1520
.LBB39_1512:
	s_mov_b32 s0, -1
                                        ; implicit-def: $vgpr1
	s_branch .LBB39_1517
.LBB39_1513:
	s_mov_b32 s0, -1
                                        ; implicit-def: $vgpr1
.LBB39_1514:
	s_delay_alu instid0(SALU_CYCLE_1)
	s_and_not1_b32 vcc_lo, exec_lo, s0
	s_cbranch_vccnz .LBB39_1516
; %bb.1515:
	s_wait_loadcnt 0x0
	global_load_b32 v1, v[8:9], off
.LBB39_1516:
	s_mov_b32 s0, 0
.LBB39_1517:
	s_delay_alu instid0(SALU_CYCLE_1)
	s_and_not1_b32 vcc_lo, exec_lo, s0
	s_cbranch_vccnz .LBB39_1519
; %bb.1518:
	s_wait_loadcnt 0x0
	global_load_i16 v1, v[8:9], off
.LBB39_1519:
	s_mov_b32 s0, 0
.LBB39_1520:
	s_delay_alu instid0(SALU_CYCLE_1)
	s_and_not1_b32 vcc_lo, exec_lo, s0
	s_cbranch_vccnz .LBB39_1526
; %bb.1521:
	s_cmp_gt_i32 s17, 0
	s_mov_b32 s0, 0
	s_cbranch_scc0 .LBB39_1523
; %bb.1522:
	s_wait_loadcnt 0x0
	global_load_i8 v1, v[8:9], off
	s_branch .LBB39_1524
.LBB39_1523:
	s_mov_b32 s0, -1
                                        ; implicit-def: $vgpr1
.LBB39_1524:
	s_delay_alu instid0(SALU_CYCLE_1)
	s_and_not1_b32 vcc_lo, exec_lo, s0
	s_cbranch_vccnz .LBB39_1526
; %bb.1525:
	s_wait_loadcnt 0x0
	global_load_u8 v1, v[8:9], off
.LBB39_1526:
	s_mov_b32 s18, -1
.LBB39_1527:
	s_delay_alu instid0(SALU_CYCLE_1)
	s_and_not1_b32 vcc_lo, exec_lo, s18
	s_cbranch_vccnz .LBB39_1578
; %bb.1528:
	s_wait_loadcnt 0x0
	s_delay_alu instid0(VALU_DEP_1) | instskip(SKIP_4) | instid1(SALU_CYCLE_1)
	v_cmp_gt_i32_e32 vcc_lo, s16, v1
	v_cmp_le_i32_e64 s0, s8, v1
	s_or_b32 s0, vcc_lo, s0
	s_wait_xcnt 0x0
	s_and_saveexec_b32 s7, s0
	s_xor_b32 s0, exec_lo, s7
	s_cbranch_execnz .LBB39_1905
.LBB39_1529:
	s_or_saveexec_b32 s7, s0
	s_mov_b32 s8, 0
	s_mov_b32 s16, 0
                                        ; implicit-def: $vgpr14_vgpr15
                                        ; implicit-def: $sgpr0
	s_xor_b32 exec_lo, exec_lo, s7
	s_cbranch_execz .LBB39_1846
; %bb.1530:
	s_load_b32 s0, s[2:3], 0x168
	v_mov_b32_e32 v7, 0
	s_delay_alu instid0(VALU_DEP_1) | instskip(SKIP_2) | instid1(SALU_CYCLE_1)
	v_add_nc_u64_e32 v[6:7], s[4:5], v[6:7]
	s_wait_kmcnt 0x0
	s_and_b32 s0, s0, 0xff
	s_cmp_lt_i32 s0, 11
	s_cbranch_scc1 .LBB39_1579
; %bb.1531:
	s_and_b32 s2, 0xffff, s0
	s_mov_b32 s17, -1
	s_cmp_gt_i32 s2, 25
	s_mov_b32 s3, 0
	s_cbranch_scc0 .LBB39_1556
; %bb.1532:
	s_cmp_gt_i32 s2, 28
	s_cbranch_scc0 .LBB39_1545
; %bb.1533:
	s_cmp_gt_i32 s2, 43
	;; [unrolled: 3-line block ×3, first 2 shown]
	s_cbranch_scc0 .LBB39_1537
; %bb.1535:
	s_mov_b32 s3, -1
	s_mov_b32 s17, 0
	s_cmp_eq_u32 s2, 46
	s_cbranch_scc0 .LBB39_1537
; %bb.1536:
	v_mov_b32_e32 v1, 0
	s_mov_b32 s3, 0
	s_mov_b32 s8, -1
	global_store_b32 v[6:7], v1, off
.LBB39_1537:
	s_and_b32 vcc_lo, exec_lo, s17
	s_cbranch_vccz .LBB39_1540
; %bb.1538:
	s_cmp_eq_u32 s2, 44
	s_mov_b32 s3, -1
	s_cbranch_scc0 .LBB39_1540
; %bb.1539:
	s_wait_xcnt 0x0
	v_mov_b32_e32 v1, 0
	s_mov_b32 s3, 0
	s_mov_b32 s8, -1
	global_store_b8 v[6:7], v1, off
.LBB39_1540:
	s_mov_b32 s17, 0
.LBB39_1541:
	s_delay_alu instid0(SALU_CYCLE_1)
	s_and_b32 vcc_lo, exec_lo, s17
	s_cbranch_vccz .LBB39_1544
; %bb.1542:
	s_cmp_eq_u32 s2, 29
	s_mov_b32 s3, -1
	s_cbranch_scc0 .LBB39_1544
; %bb.1543:
	v_mov_b64_e32 v[8:9], 0
	s_mov_b32 s3, 0
	s_mov_b32 s8, -1
	global_store_b64 v[6:7], v[8:9], off
.LBB39_1544:
	s_mov_b32 s17, 0
.LBB39_1545:
	s_delay_alu instid0(SALU_CYCLE_1)
	s_and_b32 vcc_lo, exec_lo, s17
	s_cbranch_vccz .LBB39_1555
; %bb.1546:
	s_cmp_lt_i32 s2, 27
	s_mov_b32 s8, -1
	s_cbranch_scc1 .LBB39_1552
; %bb.1547:
	s_cmp_gt_i32 s2, 27
	s_cbranch_scc0 .LBB39_1549
; %bb.1548:
	s_wait_xcnt 0x0
	v_mov_b32_e32 v1, 0
	s_mov_b32 s8, 0
	global_store_b32 v[6:7], v1, off
.LBB39_1549:
	s_and_not1_b32 vcc_lo, exec_lo, s8
	s_cbranch_vccnz .LBB39_1551
; %bb.1550:
	s_wait_xcnt 0x0
	v_mov_b32_e32 v1, 0
	global_store_b16 v[6:7], v1, off
.LBB39_1551:
	s_mov_b32 s8, 0
.LBB39_1552:
	s_delay_alu instid0(SALU_CYCLE_1)
	s_and_not1_b32 vcc_lo, exec_lo, s8
	s_cbranch_vccnz .LBB39_1554
; %bb.1553:
	s_wait_xcnt 0x0
	v_mov_b32_e32 v1, 0
	global_store_b8 v[6:7], v1, off
.LBB39_1554:
	s_mov_b32 s8, -1
.LBB39_1555:
	s_mov_b32 s17, 0
.LBB39_1556:
	s_delay_alu instid0(SALU_CYCLE_1)
	s_and_b32 vcc_lo, exec_lo, s17
	s_cbranch_vccz .LBB39_1574
; %bb.1557:
	s_cmp_gt_i32 s2, 22
	s_mov_b32 s16, -1
	s_cbranch_scc0 .LBB39_1567
; %bb.1558:
	s_cmp_lt_i32 s2, 24
	s_mov_b32 s8, -1
	s_cbranch_scc1 .LBB39_1564
; %bb.1559:
	s_cmp_gt_i32 s2, 24
	s_cbranch_scc0 .LBB39_1561
; %bb.1560:
	s_wait_xcnt 0x0
	v_mov_b32_e32 v1, 0
	s_mov_b32 s8, 0
	global_store_b8 v[6:7], v1, off
.LBB39_1561:
	s_and_not1_b32 vcc_lo, exec_lo, s8
	s_cbranch_vccnz .LBB39_1563
; %bb.1562:
	s_wait_xcnt 0x0
	v_mov_b32_e32 v1, 0
	global_store_b8 v[6:7], v1, off
.LBB39_1563:
	s_mov_b32 s8, 0
.LBB39_1564:
	s_delay_alu instid0(SALU_CYCLE_1)
	s_and_not1_b32 vcc_lo, exec_lo, s8
	s_cbranch_vccnz .LBB39_1566
; %bb.1565:
	s_wait_xcnt 0x0
	v_mov_b32_e32 v1, 0
	global_store_b8 v[6:7], v1, off
.LBB39_1566:
	s_mov_b32 s16, 0
	s_mov_b32 s8, -1
.LBB39_1567:
	s_and_not1_b32 vcc_lo, exec_lo, s16
	s_mov_b32 s16, 0
	s_cbranch_vccnz .LBB39_1574
; %bb.1568:
	s_cmp_gt_i32 s2, 14
	s_mov_b32 s16, -1
	s_cbranch_scc0 .LBB39_1572
; %bb.1569:
	s_cmp_eq_u32 s2, 15
	s_mov_b32 s3, -1
	s_cbranch_scc0 .LBB39_1571
; %bb.1570:
	s_wait_xcnt 0x0
	v_mov_b32_e32 v1, 0
	s_mov_b32 s3, 0
	s_mov_b32 s8, -1
	global_store_b16 v[6:7], v1, off
.LBB39_1571:
	s_mov_b32 s16, 0
.LBB39_1572:
	s_delay_alu instid0(SALU_CYCLE_1)
	s_and_b32 vcc_lo, exec_lo, s16
	s_mov_b32 s16, 0
	s_cbranch_vccz .LBB39_1574
; %bb.1573:
	s_cmp_lg_u32 s2, 11
	s_mov_b32 s16, -1
	s_cselect_b32 s3, -1, 0
.LBB39_1574:
	s_delay_alu instid0(SALU_CYCLE_1)
	s_and_b32 vcc_lo, exec_lo, s3
	s_mov_b32 s2, s6
	s_cbranch_vccnz .LBB39_1899
; %bb.1575:
	s_and_not1_b32 vcc_lo, exec_lo, s16
	s_cbranch_vccnz .LBB39_1577
.LBB39_1576:
	s_wait_xcnt 0x0
	v_mov_b32_e32 v1, 0
	s_mov_b32 s8, -1
	global_store_b8 v[6:7], v1, off
.LBB39_1577:
	s_mov_b32 s3, 0
	s_branch .LBB39_1580
.LBB39_1578:
	s_mov_b32 s8, 0
	s_mov_b32 s16, 0
                                        ; implicit-def: $vgpr14_vgpr15
                                        ; implicit-def: $sgpr0
	s_branch .LBB39_1847
.LBB39_1579:
	s_mov_b32 s3, -1
	s_mov_b32 s2, s6
.LBB39_1580:
	s_and_b32 vcc_lo, exec_lo, s3
	s_cbranch_vccz .LBB39_1619
; %bb.1581:
	s_and_b32 s3, 0xffff, s0
	s_mov_b32 s8, -1
	s_cmp_lt_i32 s3, 5
	s_cbranch_scc1 .LBB39_1602
; %bb.1582:
	s_cmp_lt_i32 s3, 8
	s_cbranch_scc1 .LBB39_1592
; %bb.1583:
	;; [unrolled: 3-line block ×3, first 2 shown]
	s_cmp_gt_i32 s3, 9
	s_cbranch_scc0 .LBB39_1586
; %bb.1585:
	s_wait_xcnt 0x0
	v_mov_b32_e32 v8, 0
	s_mov_b32 s8, 0
	s_delay_alu instid0(VALU_DEP_1)
	v_dual_mov_b32 v9, v8 :: v_dual_mov_b32 v10, v8
	v_mov_b32_e32 v11, v8
	global_store_b128 v[6:7], v[8:11], off
.LBB39_1586:
	s_and_not1_b32 vcc_lo, exec_lo, s8
	s_cbranch_vccnz .LBB39_1588
; %bb.1587:
	s_wait_xcnt 0x0
	v_mov_b64_e32 v[8:9], 0
	global_store_b64 v[6:7], v[8:9], off
.LBB39_1588:
	s_mov_b32 s8, 0
.LBB39_1589:
	s_delay_alu instid0(SALU_CYCLE_1)
	s_and_not1_b32 vcc_lo, exec_lo, s8
	s_cbranch_vccnz .LBB39_1591
; %bb.1590:
	s_wait_xcnt 0x0
	v_mov_b32_e32 v1, 0
	global_store_b32 v[6:7], v1, off
.LBB39_1591:
	s_mov_b32 s8, 0
.LBB39_1592:
	s_delay_alu instid0(SALU_CYCLE_1)
	s_and_not1_b32 vcc_lo, exec_lo, s8
	s_cbranch_vccnz .LBB39_1601
; %bb.1593:
	s_cmp_lt_i32 s3, 6
	s_mov_b32 s8, -1
	s_cbranch_scc1 .LBB39_1599
; %bb.1594:
	s_cmp_gt_i32 s3, 6
	s_cbranch_scc0 .LBB39_1596
; %bb.1595:
	s_wait_xcnt 0x0
	v_mov_b64_e32 v[8:9], 0
	s_mov_b32 s8, 0
	global_store_b64 v[6:7], v[8:9], off
.LBB39_1596:
	s_and_not1_b32 vcc_lo, exec_lo, s8
	s_cbranch_vccnz .LBB39_1598
; %bb.1597:
	s_wait_xcnt 0x0
	v_mov_b32_e32 v1, 0
	global_store_b32 v[6:7], v1, off
.LBB39_1598:
	s_mov_b32 s8, 0
.LBB39_1599:
	s_delay_alu instid0(SALU_CYCLE_1)
	s_and_not1_b32 vcc_lo, exec_lo, s8
	s_cbranch_vccnz .LBB39_1601
; %bb.1600:
	s_wait_xcnt 0x0
	v_mov_b32_e32 v1, 0
	global_store_b16 v[6:7], v1, off
.LBB39_1601:
	s_mov_b32 s8, 0
.LBB39_1602:
	s_delay_alu instid0(SALU_CYCLE_1)
	s_and_not1_b32 vcc_lo, exec_lo, s8
	s_cbranch_vccnz .LBB39_1618
; %bb.1603:
	s_cmp_lt_i32 s3, 2
	s_mov_b32 s8, -1
	s_cbranch_scc1 .LBB39_1613
; %bb.1604:
	s_cmp_lt_i32 s3, 3
	s_cbranch_scc1 .LBB39_1610
; %bb.1605:
	s_cmp_gt_i32 s3, 3
	s_cbranch_scc0 .LBB39_1607
; %bb.1606:
	s_wait_xcnt 0x0
	v_mov_b64_e32 v[8:9], 0
	s_mov_b32 s8, 0
	global_store_b64 v[6:7], v[8:9], off
.LBB39_1607:
	s_and_not1_b32 vcc_lo, exec_lo, s8
	s_cbranch_vccnz .LBB39_1609
; %bb.1608:
	s_wait_xcnt 0x0
	v_mov_b32_e32 v1, 0
	global_store_b32 v[6:7], v1, off
.LBB39_1609:
	s_mov_b32 s8, 0
.LBB39_1610:
	s_delay_alu instid0(SALU_CYCLE_1)
	s_and_not1_b32 vcc_lo, exec_lo, s8
	s_cbranch_vccnz .LBB39_1612
; %bb.1611:
	s_wait_xcnt 0x0
	v_mov_b32_e32 v1, 0
	global_store_b16 v[6:7], v1, off
.LBB39_1612:
	s_mov_b32 s8, 0
.LBB39_1613:
	s_delay_alu instid0(SALU_CYCLE_1)
	s_and_not1_b32 vcc_lo, exec_lo, s8
	s_cbranch_vccnz .LBB39_1618
; %bb.1614:
	s_cmp_gt_i32 s3, 0
	s_mov_b32 s3, -1
	s_cbranch_scc0 .LBB39_1616
; %bb.1615:
	s_wait_xcnt 0x0
	v_mov_b32_e32 v1, 0
	s_mov_b32 s3, 0
	global_store_b8 v[6:7], v1, off
.LBB39_1616:
	s_and_not1_b32 vcc_lo, exec_lo, s3
	s_cbranch_vccnz .LBB39_1618
; %bb.1617:
	s_wait_xcnt 0x0
	v_mov_b32_e32 v1, 0
	global_store_b8 v[6:7], v1, off
.LBB39_1618:
	s_mov_b32 s8, -1
.LBB39_1619:
	s_delay_alu instid0(SALU_CYCLE_1)
	s_and_not1_b32 vcc_lo, exec_lo, s8
	s_cbranch_vccnz .LBB39_1844
; %bb.1620:
	v_mov_b32_e32 v5, 0
	s_and_b32 s3, 0xffff, s0
	s_delay_alu instid0(SALU_CYCLE_1) | instskip(NEXT) | instid1(VALU_DEP_1)
	s_cmp_lt_i32 s3, 11
	v_add_nc_u64_e32 v[4:5], s[4:5], v[4:5]
	s_cbranch_scc1 .LBB39_1668
; %bb.1621:
	s_mov_b32 s18, -1
	s_mov_b32 s17, 0
	s_cmp_gt_i32 s3, 25
	s_mov_b32 s16, 0
	s_mov_b32 s8, 0
	s_cbranch_scc0 .LBB39_1646
; %bb.1622:
	s_cmp_gt_i32 s3, 28
	s_cbranch_scc0 .LBB39_1635
; %bb.1623:
	s_cmp_gt_i32 s3, 43
	;; [unrolled: 3-line block ×3, first 2 shown]
	s_cbranch_scc0 .LBB39_1627
; %bb.1625:
	s_mov_b32 s8, -1
	s_mov_b32 s18, 0
	s_cmp_eq_u32 s3, 46
	s_cbranch_scc0 .LBB39_1627
; %bb.1626:
	s_wait_xcnt 0x0
	v_mov_b32_e32 v1, 0
	s_mov_b32 s8, 0
	s_mov_b32 s16, -1
	global_store_b32 v[4:5], v1, off
.LBB39_1627:
	s_and_b32 vcc_lo, exec_lo, s18
	s_cbranch_vccz .LBB39_1630
; %bb.1628:
	s_cmp_eq_u32 s3, 44
	s_mov_b32 s8, -1
	s_cbranch_scc0 .LBB39_1630
; %bb.1629:
	s_wait_xcnt 0x0
	v_mov_b32_e32 v1, 0
	s_mov_b32 s8, 0
	s_mov_b32 s16, -1
	global_store_b8 v[4:5], v1, off
.LBB39_1630:
	s_mov_b32 s18, 0
.LBB39_1631:
	s_delay_alu instid0(SALU_CYCLE_1)
	s_and_b32 vcc_lo, exec_lo, s18
	s_cbranch_vccz .LBB39_1634
; %bb.1632:
	s_cmp_eq_u32 s3, 29
	s_mov_b32 s8, -1
	s_cbranch_scc0 .LBB39_1634
; %bb.1633:
	s_wait_xcnt 0x0
	v_mov_b64_e32 v[6:7], 0
	s_mov_b32 s8, 0
	s_mov_b32 s16, -1
	global_store_b64 v[4:5], v[6:7], off
.LBB39_1634:
	s_mov_b32 s18, 0
.LBB39_1635:
	s_delay_alu instid0(SALU_CYCLE_1)
	s_and_b32 vcc_lo, exec_lo, s18
	s_cbranch_vccz .LBB39_1645
; %bb.1636:
	s_cmp_lt_i32 s3, 27
	s_mov_b32 s16, -1
	s_cbranch_scc1 .LBB39_1642
; %bb.1637:
	s_cmp_gt_i32 s3, 27
	s_cbranch_scc0 .LBB39_1639
; %bb.1638:
	s_wait_xcnt 0x0
	v_mov_b32_e32 v1, 0
	s_mov_b32 s16, 0
	global_store_b32 v[4:5], v1, off
.LBB39_1639:
	s_and_not1_b32 vcc_lo, exec_lo, s16
	s_cbranch_vccnz .LBB39_1641
; %bb.1640:
	s_wait_xcnt 0x0
	v_mov_b32_e32 v1, 0
	global_store_b16 v[4:5], v1, off
.LBB39_1641:
	s_mov_b32 s16, 0
.LBB39_1642:
	s_delay_alu instid0(SALU_CYCLE_1)
	s_and_not1_b32 vcc_lo, exec_lo, s16
	s_cbranch_vccnz .LBB39_1644
; %bb.1643:
	s_wait_xcnt 0x0
	v_mov_b32_e32 v1, 0
	global_store_b8 v[4:5], v1, off
.LBB39_1644:
	s_mov_b32 s16, -1
.LBB39_1645:
	s_mov_b32 s18, 0
.LBB39_1646:
	s_delay_alu instid0(SALU_CYCLE_1)
	s_and_b32 vcc_lo, exec_lo, s18
	s_cbranch_vccz .LBB39_1664
; %bb.1647:
	s_cmp_gt_i32 s3, 22
	s_mov_b32 s17, -1
	s_cbranch_scc0 .LBB39_1657
; %bb.1648:
	s_cmp_lt_i32 s3, 24
	s_mov_b32 s16, -1
	s_cbranch_scc1 .LBB39_1654
; %bb.1649:
	s_cmp_gt_i32 s3, 24
	s_cbranch_scc0 .LBB39_1651
; %bb.1650:
	s_wait_xcnt 0x0
	v_mov_b32_e32 v1, 0
	s_mov_b32 s16, 0
	global_store_b8 v[4:5], v1, off
.LBB39_1651:
	s_and_not1_b32 vcc_lo, exec_lo, s16
	s_cbranch_vccnz .LBB39_1653
; %bb.1652:
	s_wait_xcnt 0x0
	v_mov_b32_e32 v1, 0
	global_store_b8 v[4:5], v1, off
.LBB39_1653:
	s_mov_b32 s16, 0
.LBB39_1654:
	s_delay_alu instid0(SALU_CYCLE_1)
	s_and_not1_b32 vcc_lo, exec_lo, s16
	s_cbranch_vccnz .LBB39_1656
; %bb.1655:
	s_wait_xcnt 0x0
	v_mov_b32_e32 v1, 0
	global_store_b8 v[4:5], v1, off
.LBB39_1656:
	s_mov_b32 s17, 0
	s_mov_b32 s16, -1
.LBB39_1657:
	s_and_not1_b32 vcc_lo, exec_lo, s17
	s_mov_b32 s17, 0
	s_cbranch_vccnz .LBB39_1664
; %bb.1658:
	s_cmp_gt_i32 s3, 14
	s_mov_b32 s17, -1
	s_cbranch_scc0 .LBB39_1662
; %bb.1659:
	s_cmp_eq_u32 s3, 15
	s_mov_b32 s8, -1
	s_cbranch_scc0 .LBB39_1661
; %bb.1660:
	s_wait_xcnt 0x0
	v_mov_b32_e32 v1, 0
	s_mov_b32 s8, 0
	s_mov_b32 s16, -1
	global_store_b16 v[4:5], v1, off
.LBB39_1661:
	s_mov_b32 s17, 0
.LBB39_1662:
	s_delay_alu instid0(SALU_CYCLE_1)
	s_and_b32 vcc_lo, exec_lo, s17
	s_mov_b32 s17, 0
	s_cbranch_vccz .LBB39_1664
; %bb.1663:
	s_cmp_lg_u32 s3, 11
	s_mov_b32 s17, -1
	s_cselect_b32 s8, -1, 0
.LBB39_1664:
	s_delay_alu instid0(SALU_CYCLE_1)
	s_and_b32 vcc_lo, exec_lo, s8
	s_cbranch_vccnz .LBB39_1901
; %bb.1665:
	s_and_not1_b32 vcc_lo, exec_lo, s17
	s_cbranch_vccnz .LBB39_1667
.LBB39_1666:
	s_wait_xcnt 0x0
	v_mov_b32_e32 v1, 0
	s_mov_b32 s16, -1
	global_store_b8 v[4:5], v1, off
.LBB39_1667:
	s_mov_b32 s8, 0
	s_branch .LBB39_1669
.LBB39_1668:
	s_mov_b32 s8, -1
	s_mov_b32 s16, 0
.LBB39_1669:
	s_and_b32 vcc_lo, exec_lo, s8
	s_cbranch_vccz .LBB39_1708
; %bb.1670:
	s_cmp_lt_i32 s3, 5
	s_mov_b32 s8, -1
	s_cbranch_scc1 .LBB39_1691
; %bb.1671:
	s_cmp_lt_i32 s3, 8
	s_cbranch_scc1 .LBB39_1681
; %bb.1672:
	s_cmp_lt_i32 s3, 9
	s_cbranch_scc1 .LBB39_1678
; %bb.1673:
	s_cmp_gt_i32 s3, 9
	s_cbranch_scc0 .LBB39_1675
; %bb.1674:
	s_wait_xcnt 0x0
	v_mov_b32_e32 v6, 0
	s_mov_b32 s8, 0
	s_delay_alu instid0(VALU_DEP_1)
	v_dual_mov_b32 v7, v6 :: v_dual_mov_b32 v8, v6
	v_mov_b32_e32 v9, v6
	global_store_b128 v[4:5], v[6:9], off
.LBB39_1675:
	s_and_not1_b32 vcc_lo, exec_lo, s8
	s_cbranch_vccnz .LBB39_1677
; %bb.1676:
	s_wait_xcnt 0x0
	v_mov_b64_e32 v[6:7], 0
	global_store_b64 v[4:5], v[6:7], off
.LBB39_1677:
	s_mov_b32 s8, 0
.LBB39_1678:
	s_delay_alu instid0(SALU_CYCLE_1)
	s_and_not1_b32 vcc_lo, exec_lo, s8
	s_cbranch_vccnz .LBB39_1680
; %bb.1679:
	s_wait_xcnt 0x0
	v_mov_b32_e32 v1, 0
	global_store_b32 v[4:5], v1, off
.LBB39_1680:
	s_mov_b32 s8, 0
.LBB39_1681:
	s_delay_alu instid0(SALU_CYCLE_1)
	s_and_not1_b32 vcc_lo, exec_lo, s8
	s_cbranch_vccnz .LBB39_1690
; %bb.1682:
	s_cmp_lt_i32 s3, 6
	s_mov_b32 s8, -1
	s_cbranch_scc1 .LBB39_1688
; %bb.1683:
	s_cmp_gt_i32 s3, 6
	s_cbranch_scc0 .LBB39_1685
; %bb.1684:
	s_wait_xcnt 0x0
	v_mov_b64_e32 v[6:7], 0
	s_mov_b32 s8, 0
	global_store_b64 v[4:5], v[6:7], off
.LBB39_1685:
	s_and_not1_b32 vcc_lo, exec_lo, s8
	s_cbranch_vccnz .LBB39_1687
; %bb.1686:
	s_wait_xcnt 0x0
	v_mov_b32_e32 v1, 0
	global_store_b32 v[4:5], v1, off
.LBB39_1687:
	s_mov_b32 s8, 0
.LBB39_1688:
	s_delay_alu instid0(SALU_CYCLE_1)
	s_and_not1_b32 vcc_lo, exec_lo, s8
	s_cbranch_vccnz .LBB39_1690
; %bb.1689:
	s_wait_xcnt 0x0
	v_mov_b32_e32 v1, 0
	global_store_b16 v[4:5], v1, off
.LBB39_1690:
	s_mov_b32 s8, 0
.LBB39_1691:
	s_delay_alu instid0(SALU_CYCLE_1)
	s_and_not1_b32 vcc_lo, exec_lo, s8
	s_cbranch_vccnz .LBB39_1707
; %bb.1692:
	s_cmp_lt_i32 s3, 2
	s_mov_b32 s8, -1
	s_cbranch_scc1 .LBB39_1702
; %bb.1693:
	s_cmp_lt_i32 s3, 3
	s_cbranch_scc1 .LBB39_1699
; %bb.1694:
	s_cmp_gt_i32 s3, 3
	s_cbranch_scc0 .LBB39_1696
; %bb.1695:
	s_wait_xcnt 0x0
	v_mov_b64_e32 v[6:7], 0
	s_mov_b32 s8, 0
	global_store_b64 v[4:5], v[6:7], off
.LBB39_1696:
	s_and_not1_b32 vcc_lo, exec_lo, s8
	s_cbranch_vccnz .LBB39_1698
; %bb.1697:
	s_wait_xcnt 0x0
	v_mov_b32_e32 v1, 0
	global_store_b32 v[4:5], v1, off
.LBB39_1698:
	s_mov_b32 s8, 0
.LBB39_1699:
	s_delay_alu instid0(SALU_CYCLE_1)
	s_and_not1_b32 vcc_lo, exec_lo, s8
	s_cbranch_vccnz .LBB39_1701
; %bb.1700:
	s_wait_xcnt 0x0
	v_mov_b32_e32 v1, 0
	global_store_b16 v[4:5], v1, off
.LBB39_1701:
	s_mov_b32 s8, 0
.LBB39_1702:
	s_delay_alu instid0(SALU_CYCLE_1)
	s_and_not1_b32 vcc_lo, exec_lo, s8
	s_cbranch_vccnz .LBB39_1707
; %bb.1703:
	s_cmp_gt_i32 s3, 0
	s_mov_b32 s8, -1
	s_cbranch_scc0 .LBB39_1705
; %bb.1704:
	s_wait_xcnt 0x0
	v_mov_b32_e32 v1, 0
	s_mov_b32 s8, 0
	global_store_b8 v[4:5], v1, off
.LBB39_1705:
	s_and_not1_b32 vcc_lo, exec_lo, s8
	s_cbranch_vccnz .LBB39_1707
; %bb.1706:
	s_wait_xcnt 0x0
	v_mov_b32_e32 v1, 0
	global_store_b8 v[4:5], v1, off
.LBB39_1707:
	s_mov_b32 s16, -1
.LBB39_1708:
	s_delay_alu instid0(SALU_CYCLE_1)
	s_and_not1_b32 vcc_lo, exec_lo, s16
	s_cbranch_vccnz .LBB39_1844
; %bb.1709:
	v_mov_b32_e32 v3, 0
	s_cmp_lt_i32 s3, 11
	s_delay_alu instid0(VALU_DEP_1)
	v_add_nc_u64_e32 v[2:3], s[4:5], v[2:3]
	s_cbranch_scc1 .LBB39_1757
; %bb.1710:
	s_mov_b32 s18, -1
	s_mov_b32 s17, 0
	s_cmp_gt_i32 s3, 25
	s_mov_b32 s16, 0
	s_mov_b32 s8, 0
	s_cbranch_scc0 .LBB39_1735
; %bb.1711:
	s_cmp_gt_i32 s3, 28
	s_cbranch_scc0 .LBB39_1724
; %bb.1712:
	s_cmp_gt_i32 s3, 43
	s_cbranch_scc0 .LBB39_1720
; %bb.1713:
	s_cmp_gt_i32 s3, 45
	s_cbranch_scc0 .LBB39_1716
; %bb.1714:
	s_mov_b32 s8, -1
	s_mov_b32 s18, 0
	s_cmp_eq_u32 s3, 46
	s_cbranch_scc0 .LBB39_1716
; %bb.1715:
	s_wait_xcnt 0x0
	v_mov_b32_e32 v1, 0
	s_mov_b32 s8, 0
	s_mov_b32 s16, -1
	global_store_b32 v[2:3], v1, off
.LBB39_1716:
	s_and_b32 vcc_lo, exec_lo, s18
	s_cbranch_vccz .LBB39_1719
; %bb.1717:
	s_cmp_eq_u32 s3, 44
	s_mov_b32 s8, -1
	s_cbranch_scc0 .LBB39_1719
; %bb.1718:
	s_wait_xcnt 0x0
	v_mov_b32_e32 v1, 0
	s_mov_b32 s8, 0
	s_mov_b32 s16, -1
	global_store_b8 v[2:3], v1, off
.LBB39_1719:
	s_mov_b32 s18, 0
.LBB39_1720:
	s_delay_alu instid0(SALU_CYCLE_1)
	s_and_b32 vcc_lo, exec_lo, s18
	s_cbranch_vccz .LBB39_1723
; %bb.1721:
	s_cmp_eq_u32 s3, 29
	s_mov_b32 s8, -1
	s_cbranch_scc0 .LBB39_1723
; %bb.1722:
	s_wait_xcnt 0x0
	v_mov_b64_e32 v[4:5], 0
	s_mov_b32 s8, 0
	s_mov_b32 s16, -1
	global_store_b64 v[2:3], v[4:5], off
.LBB39_1723:
	s_mov_b32 s18, 0
.LBB39_1724:
	s_delay_alu instid0(SALU_CYCLE_1)
	s_and_b32 vcc_lo, exec_lo, s18
	s_cbranch_vccz .LBB39_1734
; %bb.1725:
	s_cmp_lt_i32 s3, 27
	s_mov_b32 s16, -1
	s_cbranch_scc1 .LBB39_1731
; %bb.1726:
	s_cmp_gt_i32 s3, 27
	s_cbranch_scc0 .LBB39_1728
; %bb.1727:
	s_wait_xcnt 0x0
	v_mov_b32_e32 v1, 0
	s_mov_b32 s16, 0
	global_store_b32 v[2:3], v1, off
.LBB39_1728:
	s_and_not1_b32 vcc_lo, exec_lo, s16
	s_cbranch_vccnz .LBB39_1730
; %bb.1729:
	s_wait_xcnt 0x0
	v_mov_b32_e32 v1, 0
	global_store_b16 v[2:3], v1, off
.LBB39_1730:
	s_mov_b32 s16, 0
.LBB39_1731:
	s_delay_alu instid0(SALU_CYCLE_1)
	s_and_not1_b32 vcc_lo, exec_lo, s16
	s_cbranch_vccnz .LBB39_1733
; %bb.1732:
	s_wait_xcnt 0x0
	v_mov_b32_e32 v1, 0
	global_store_b8 v[2:3], v1, off
.LBB39_1733:
	s_mov_b32 s16, -1
.LBB39_1734:
	s_mov_b32 s18, 0
.LBB39_1735:
	s_delay_alu instid0(SALU_CYCLE_1)
	s_and_b32 vcc_lo, exec_lo, s18
	s_cbranch_vccz .LBB39_1753
; %bb.1736:
	s_cmp_gt_i32 s3, 22
	s_mov_b32 s17, -1
	s_cbranch_scc0 .LBB39_1746
; %bb.1737:
	s_cmp_lt_i32 s3, 24
	s_mov_b32 s16, -1
	s_cbranch_scc1 .LBB39_1743
; %bb.1738:
	s_cmp_gt_i32 s3, 24
	s_cbranch_scc0 .LBB39_1740
; %bb.1739:
	s_wait_xcnt 0x0
	v_mov_b32_e32 v1, 0
	s_mov_b32 s16, 0
	global_store_b8 v[2:3], v1, off
.LBB39_1740:
	s_and_not1_b32 vcc_lo, exec_lo, s16
	s_cbranch_vccnz .LBB39_1742
; %bb.1741:
	s_wait_xcnt 0x0
	v_mov_b32_e32 v1, 0
	global_store_b8 v[2:3], v1, off
.LBB39_1742:
	s_mov_b32 s16, 0
.LBB39_1743:
	s_delay_alu instid0(SALU_CYCLE_1)
	s_and_not1_b32 vcc_lo, exec_lo, s16
	s_cbranch_vccnz .LBB39_1745
; %bb.1744:
	s_wait_xcnt 0x0
	v_mov_b32_e32 v1, 0
	global_store_b8 v[2:3], v1, off
.LBB39_1745:
	s_mov_b32 s17, 0
	s_mov_b32 s16, -1
.LBB39_1746:
	s_and_not1_b32 vcc_lo, exec_lo, s17
	s_mov_b32 s17, 0
	s_cbranch_vccnz .LBB39_1753
; %bb.1747:
	s_cmp_gt_i32 s3, 14
	s_mov_b32 s17, -1
	s_cbranch_scc0 .LBB39_1751
; %bb.1748:
	s_cmp_eq_u32 s3, 15
	s_mov_b32 s8, -1
	s_cbranch_scc0 .LBB39_1750
; %bb.1749:
	s_wait_xcnt 0x0
	v_mov_b32_e32 v1, 0
	s_mov_b32 s8, 0
	s_mov_b32 s16, -1
	global_store_b16 v[2:3], v1, off
.LBB39_1750:
	s_mov_b32 s17, 0
.LBB39_1751:
	s_delay_alu instid0(SALU_CYCLE_1)
	s_and_b32 vcc_lo, exec_lo, s17
	s_mov_b32 s17, 0
	s_cbranch_vccz .LBB39_1753
; %bb.1752:
	s_cmp_lg_u32 s3, 11
	s_mov_b32 s17, -1
	s_cselect_b32 s8, -1, 0
.LBB39_1753:
	s_delay_alu instid0(SALU_CYCLE_1)
	s_and_b32 vcc_lo, exec_lo, s8
	s_cbranch_vccnz .LBB39_1902
; %bb.1754:
	s_and_not1_b32 vcc_lo, exec_lo, s17
	s_cbranch_vccnz .LBB39_1756
.LBB39_1755:
	s_wait_xcnt 0x0
	v_mov_b32_e32 v1, 0
	s_mov_b32 s16, -1
	global_store_b8 v[2:3], v1, off
.LBB39_1756:
	s_mov_b32 s8, 0
	s_branch .LBB39_1758
.LBB39_1757:
	s_mov_b32 s8, -1
	s_mov_b32 s16, 0
.LBB39_1758:
	s_and_b32 vcc_lo, exec_lo, s8
	s_cbranch_vccz .LBB39_1797
; %bb.1759:
	s_cmp_lt_i32 s3, 5
	s_mov_b32 s8, -1
	s_cbranch_scc1 .LBB39_1780
; %bb.1760:
	s_cmp_lt_i32 s3, 8
	s_cbranch_scc1 .LBB39_1770
; %bb.1761:
	s_cmp_lt_i32 s3, 9
	s_cbranch_scc1 .LBB39_1767
; %bb.1762:
	s_cmp_gt_i32 s3, 9
	s_cbranch_scc0 .LBB39_1764
; %bb.1763:
	s_wait_xcnt 0x0
	v_mov_b32_e32 v4, 0
	s_mov_b32 s8, 0
	s_delay_alu instid0(VALU_DEP_1)
	v_dual_mov_b32 v5, v4 :: v_dual_mov_b32 v6, v4
	v_mov_b32_e32 v7, v4
	global_store_b128 v[2:3], v[4:7], off
.LBB39_1764:
	s_and_not1_b32 vcc_lo, exec_lo, s8
	s_cbranch_vccnz .LBB39_1766
; %bb.1765:
	s_wait_xcnt 0x0
	v_mov_b64_e32 v[4:5], 0
	global_store_b64 v[2:3], v[4:5], off
.LBB39_1766:
	s_mov_b32 s8, 0
.LBB39_1767:
	s_delay_alu instid0(SALU_CYCLE_1)
	s_and_not1_b32 vcc_lo, exec_lo, s8
	s_cbranch_vccnz .LBB39_1769
; %bb.1768:
	s_wait_xcnt 0x0
	v_mov_b32_e32 v1, 0
	global_store_b32 v[2:3], v1, off
.LBB39_1769:
	s_mov_b32 s8, 0
.LBB39_1770:
	s_delay_alu instid0(SALU_CYCLE_1)
	s_and_not1_b32 vcc_lo, exec_lo, s8
	s_cbranch_vccnz .LBB39_1779
; %bb.1771:
	s_cmp_lt_i32 s3, 6
	s_mov_b32 s8, -1
	s_cbranch_scc1 .LBB39_1777
; %bb.1772:
	s_cmp_gt_i32 s3, 6
	s_cbranch_scc0 .LBB39_1774
; %bb.1773:
	s_wait_xcnt 0x0
	v_mov_b64_e32 v[4:5], 0
	s_mov_b32 s8, 0
	global_store_b64 v[2:3], v[4:5], off
.LBB39_1774:
	s_and_not1_b32 vcc_lo, exec_lo, s8
	s_cbranch_vccnz .LBB39_1776
; %bb.1775:
	s_wait_xcnt 0x0
	v_mov_b32_e32 v1, 0
	global_store_b32 v[2:3], v1, off
.LBB39_1776:
	s_mov_b32 s8, 0
.LBB39_1777:
	s_delay_alu instid0(SALU_CYCLE_1)
	s_and_not1_b32 vcc_lo, exec_lo, s8
	s_cbranch_vccnz .LBB39_1779
; %bb.1778:
	s_wait_xcnt 0x0
	v_mov_b32_e32 v1, 0
	global_store_b16 v[2:3], v1, off
.LBB39_1779:
	s_mov_b32 s8, 0
.LBB39_1780:
	s_delay_alu instid0(SALU_CYCLE_1)
	s_and_not1_b32 vcc_lo, exec_lo, s8
	s_cbranch_vccnz .LBB39_1796
; %bb.1781:
	s_cmp_lt_i32 s3, 2
	s_mov_b32 s8, -1
	s_cbranch_scc1 .LBB39_1791
; %bb.1782:
	s_cmp_lt_i32 s3, 3
	s_cbranch_scc1 .LBB39_1788
; %bb.1783:
	s_cmp_gt_i32 s3, 3
	s_cbranch_scc0 .LBB39_1785
; %bb.1784:
	s_wait_xcnt 0x0
	v_mov_b64_e32 v[4:5], 0
	s_mov_b32 s8, 0
	global_store_b64 v[2:3], v[4:5], off
.LBB39_1785:
	s_and_not1_b32 vcc_lo, exec_lo, s8
	s_cbranch_vccnz .LBB39_1787
; %bb.1786:
	s_wait_xcnt 0x0
	v_mov_b32_e32 v1, 0
	global_store_b32 v[2:3], v1, off
.LBB39_1787:
	s_mov_b32 s8, 0
.LBB39_1788:
	s_delay_alu instid0(SALU_CYCLE_1)
	s_and_not1_b32 vcc_lo, exec_lo, s8
	s_cbranch_vccnz .LBB39_1790
; %bb.1789:
	s_wait_xcnt 0x0
	v_mov_b32_e32 v1, 0
	global_store_b16 v[2:3], v1, off
.LBB39_1790:
	s_mov_b32 s8, 0
.LBB39_1791:
	s_delay_alu instid0(SALU_CYCLE_1)
	s_and_not1_b32 vcc_lo, exec_lo, s8
	s_cbranch_vccnz .LBB39_1796
; %bb.1792:
	s_cmp_gt_i32 s3, 0
	s_mov_b32 s8, -1
	s_cbranch_scc0 .LBB39_1794
; %bb.1793:
	s_wait_xcnt 0x0
	v_mov_b32_e32 v1, 0
	s_mov_b32 s8, 0
	global_store_b8 v[2:3], v1, off
.LBB39_1794:
	s_and_not1_b32 vcc_lo, exec_lo, s8
	s_cbranch_vccnz .LBB39_1796
; %bb.1795:
	s_wait_xcnt 0x0
	v_mov_b32_e32 v1, 0
	global_store_b8 v[2:3], v1, off
.LBB39_1796:
	s_mov_b32 s16, -1
.LBB39_1797:
	s_delay_alu instid0(SALU_CYCLE_1)
	s_and_not1_b32 vcc_lo, exec_lo, s16
	s_cbranch_vccnz .LBB39_1844
; %bb.1798:
	s_wait_xcnt 0x0
	v_mov_b32_e32 v1, 0
	s_cmp_lt_i32 s3, 11
	s_delay_alu instid0(VALU_DEP_1)
	v_add_nc_u64_e32 v[14:15], s[4:5], v[0:1]
	s_cbranch_scc1 .LBB39_1898
; %bb.1799:
	s_mov_b32 s8, -1
	s_mov_b32 s4, 0
	s_cmp_gt_i32 s3, 25
	s_mov_b32 s5, 0
	s_cbranch_scc0 .LBB39_1824
; %bb.1800:
	s_cmp_gt_i32 s3, 28
	s_cbranch_scc0 .LBB39_1814
; %bb.1801:
	s_cmp_gt_i32 s3, 43
	;; [unrolled: 3-line block ×3, first 2 shown]
	s_cbranch_scc0 .LBB39_1806
; %bb.1803:
	s_cmp_eq_u32 s3, 46
	s_mov_b32 s5, -1
	s_cbranch_scc0 .LBB39_1805
; %bb.1804:
	v_mov_b32_e32 v0, 0
	s_mov_b32 s5, 0
	global_store_b32 v[14:15], v0, off
.LBB39_1805:
	s_mov_b32 s8, 0
.LBB39_1806:
	s_delay_alu instid0(SALU_CYCLE_1)
	s_and_b32 vcc_lo, exec_lo, s8
	s_cbranch_vccz .LBB39_1809
; %bb.1807:
	s_cmp_eq_u32 s3, 44
	s_mov_b32 s5, -1
	s_cbranch_scc0 .LBB39_1809
; %bb.1808:
	s_wait_xcnt 0x0
	v_mov_b32_e32 v0, 0
	s_mov_b32 s5, 0
	global_store_b8 v[14:15], v0, off
.LBB39_1809:
	s_mov_b32 s8, 0
.LBB39_1810:
	s_delay_alu instid0(SALU_CYCLE_1)
	s_and_b32 vcc_lo, exec_lo, s8
	s_cbranch_vccz .LBB39_1813
; %bb.1811:
	s_cmp_eq_u32 s3, 29
	s_mov_b32 s5, -1
	s_cbranch_scc0 .LBB39_1813
; %bb.1812:
	s_wait_xcnt 0x0
	v_mov_b64_e32 v[0:1], 0
	s_mov_b32 s5, 0
	global_store_b64 v[14:15], v[0:1], off
.LBB39_1813:
	s_mov_b32 s8, 0
.LBB39_1814:
	s_delay_alu instid0(SALU_CYCLE_1)
	s_and_b32 vcc_lo, exec_lo, s8
	s_cbranch_vccz .LBB39_1823
; %bb.1815:
	s_cmp_lt_i32 s3, 27
	s_mov_b32 s8, -1
	s_cbranch_scc1 .LBB39_1821
; %bb.1816:
	s_cmp_gt_i32 s3, 27
	s_cbranch_scc0 .LBB39_1818
; %bb.1817:
	s_wait_xcnt 0x0
	v_mov_b32_e32 v0, 0
	s_mov_b32 s8, 0
	global_store_b32 v[14:15], v0, off
.LBB39_1818:
	s_and_not1_b32 vcc_lo, exec_lo, s8
	s_cbranch_vccnz .LBB39_1820
; %bb.1819:
	s_wait_xcnt 0x0
	v_mov_b32_e32 v0, 0
	global_store_b16 v[14:15], v0, off
.LBB39_1820:
	s_mov_b32 s8, 0
.LBB39_1821:
	s_delay_alu instid0(SALU_CYCLE_1)
	s_and_not1_b32 vcc_lo, exec_lo, s8
	s_cbranch_vccnz .LBB39_1823
; %bb.1822:
	s_wait_xcnt 0x0
	v_mov_b32_e32 v0, 0
	global_store_b8 v[14:15], v0, off
.LBB39_1823:
	s_mov_b32 s8, 0
.LBB39_1824:
	s_delay_alu instid0(SALU_CYCLE_1)
	s_and_b32 vcc_lo, exec_lo, s8
	s_cbranch_vccz .LBB39_1842
; %bb.1825:
	s_cmp_gt_i32 s3, 22
	s_mov_b32 s4, -1
	s_cbranch_scc0 .LBB39_1835
; %bb.1826:
	s_cmp_lt_i32 s3, 24
	s_cbranch_scc1 .LBB39_1832
; %bb.1827:
	s_cmp_gt_i32 s3, 24
	s_cbranch_scc0 .LBB39_1829
; %bb.1828:
	s_wait_xcnt 0x0
	v_mov_b32_e32 v0, 0
	s_mov_b32 s4, 0
	global_store_b8 v[14:15], v0, off
.LBB39_1829:
	s_and_not1_b32 vcc_lo, exec_lo, s4
	s_cbranch_vccnz .LBB39_1831
; %bb.1830:
	s_wait_xcnt 0x0
	v_mov_b32_e32 v0, 0
	global_store_b8 v[14:15], v0, off
.LBB39_1831:
	s_mov_b32 s4, 0
.LBB39_1832:
	s_delay_alu instid0(SALU_CYCLE_1)
	s_and_not1_b32 vcc_lo, exec_lo, s4
	s_cbranch_vccnz .LBB39_1834
; %bb.1833:
	s_wait_xcnt 0x0
	v_mov_b32_e32 v0, 0
	global_store_b8 v[14:15], v0, off
.LBB39_1834:
	s_mov_b32 s4, 0
.LBB39_1835:
	s_delay_alu instid0(SALU_CYCLE_1)
	s_and_not1_b32 vcc_lo, exec_lo, s4
	s_mov_b32 s4, 0
	s_cbranch_vccnz .LBB39_1842
; %bb.1836:
	s_cmp_gt_i32 s3, 14
	s_mov_b32 s4, -1
	s_cbranch_scc0 .LBB39_1840
; %bb.1837:
	s_cmp_eq_u32 s3, 15
	s_mov_b32 s5, -1
	s_cbranch_scc0 .LBB39_1839
; %bb.1838:
	s_wait_xcnt 0x0
	v_mov_b32_e32 v0, 0
	s_mov_b32 s5, 0
	global_store_b16 v[14:15], v0, off
.LBB39_1839:
	s_mov_b32 s4, 0
.LBB39_1840:
	s_delay_alu instid0(SALU_CYCLE_1)
	s_and_b32 vcc_lo, exec_lo, s4
	s_mov_b32 s4, 0
	s_cbranch_vccz .LBB39_1842
; %bb.1841:
	s_cmp_lg_u32 s3, 11
	s_mov_b32 s4, -1
	s_cselect_b32 s5, -1, 0
.LBB39_1842:
	s_delay_alu instid0(SALU_CYCLE_1)
	s_and_b32 vcc_lo, exec_lo, s5
	s_cbranch_vccnz .LBB39_1904
.LBB39_1843:
	s_mov_b32 s3, 0
	s_branch .LBB39_1845
.LBB39_1844:
	s_mov_b32 s3, 0
	s_mov_b32 s4, 0
                                        ; implicit-def: $vgpr14_vgpr15
                                        ; implicit-def: $sgpr0
.LBB39_1845:
	s_and_b32 s16, s3, exec_lo
	s_and_not1_b32 s3, s6, exec_lo
	s_and_b32 s2, s2, exec_lo
	s_and_b32 s8, s4, exec_lo
	s_or_b32 s6, s3, s2
.LBB39_1846:
	s_wait_xcnt 0x0
	s_or_b32 exec_lo, exec_lo, s7
.LBB39_1847:
	s_delay_alu instid0(SALU_CYCLE_1)
	s_and_not1_b32 s2, s14, exec_lo
	s_and_b32 s3, s6, exec_lo
	s_and_b32 s19, s16, exec_lo
	;; [unrolled: 1-line block ×3, first 2 shown]
	s_or_b32 s14, s2, s3
.LBB39_1848:
	s_wait_xcnt 0x0
	s_or_b32 exec_lo, exec_lo, s15
.LBB39_1849:
	s_delay_alu instid0(SALU_CYCLE_1)
	s_and_not1_b32 s2, s12, exec_lo
	s_and_b32 s3, s14, exec_lo
	s_and_b32 s15, s19, exec_lo
	s_and_b32 s14, s18, exec_lo
	s_or_b32 s12, s2, s3
.LBB39_1850:
	s_wait_xcnt 0x0
	s_or_b32 exec_lo, exec_lo, s13
.LBB39_1851:
	s_delay_alu instid0(SALU_CYCLE_1)
	s_and_not1_b32 s1, s1, exec_lo
	s_and_b32 s2, s12, exec_lo
	s_and_b32 s15, s15, exec_lo
	;; [unrolled: 1-line block ×3, first 2 shown]
	s_or_b32 s1, s1, s2
.LBB39_1852:
	s_wait_xcnt 0x0
	s_or_b32 exec_lo, exec_lo, s9
.LBB39_1853:
	s_delay_alu instid0(SALU_CYCLE_1)
	s_and_not1_b32 s2, s10, exec_lo
	s_and_b32 s1, s1, exec_lo
	s_and_b32 s4, s15, exec_lo
	;; [unrolled: 1-line block ×3, first 2 shown]
	s_or_b32 s10, s2, s1
.LBB39_1854:
	s_wait_xcnt 0x0
	s_or_b32 exec_lo, exec_lo, s11
	s_and_saveexec_b32 s1, s10
	s_cbranch_execz .LBB39_1857
; %bb.1855:
	; divergent unreachable
	s_or_b32 exec_lo, exec_lo, s1
	s_and_saveexec_b32 s1, s30
	s_delay_alu instid0(SALU_CYCLE_1)
	s_xor_b32 s1, exec_lo, s1
	s_cbranch_execnz .LBB39_1858
.LBB39_1856:
	s_or_b32 exec_lo, exec_lo, s1
	s_and_saveexec_b32 s1, s4
	s_cbranch_execnz .LBB39_1859
	s_branch .LBB39_1896
.LBB39_1857:
	s_or_b32 exec_lo, exec_lo, s1
	s_and_saveexec_b32 s1, s30
	s_delay_alu instid0(SALU_CYCLE_1)
	s_xor_b32 s1, exec_lo, s1
	s_cbranch_execz .LBB39_1856
.LBB39_1858:
	v_mov_b32_e32 v0, 0
	global_store_b8 v[14:15], v0, off
	s_wait_xcnt 0x0
	s_or_b32 exec_lo, exec_lo, s1
	s_and_saveexec_b32 s1, s4
	s_cbranch_execz .LBB39_1896
.LBB39_1859:
	s_sext_i32_i16 s2, s0
	s_mov_b32 s1, -1
	s_cmp_lt_i32 s2, 5
	s_cbranch_scc1 .LBB39_1880
; %bb.1860:
	s_cmp_lt_i32 s2, 8
	s_cbranch_scc1 .LBB39_1870
; %bb.1861:
	;; [unrolled: 3-line block ×3, first 2 shown]
	s_cmp_gt_i32 s2, 9
	s_cbranch_scc0 .LBB39_1864
; %bb.1863:
	v_mov_b32_e32 v0, 0
	s_mov_b32 s1, 0
	s_wait_loadcnt 0x0
	s_delay_alu instid0(VALU_DEP_1)
	v_dual_mov_b32 v1, v0 :: v_dual_mov_b32 v2, v0
	v_mov_b32_e32 v3, v0
	global_store_b128 v[14:15], v[0:3], off
.LBB39_1864:
	s_and_not1_b32 vcc_lo, exec_lo, s1
	s_cbranch_vccnz .LBB39_1866
; %bb.1865:
	s_wait_loadcnt 0x0
	v_mov_b64_e32 v[0:1], 0
	global_store_b64 v[14:15], v[0:1], off
.LBB39_1866:
	s_mov_b32 s1, 0
.LBB39_1867:
	s_delay_alu instid0(SALU_CYCLE_1)
	s_and_not1_b32 vcc_lo, exec_lo, s1
	s_cbranch_vccnz .LBB39_1869
; %bb.1868:
	s_wait_xcnt 0x0
	v_mov_b32_e32 v0, 0
	global_store_b32 v[14:15], v0, off
.LBB39_1869:
	s_mov_b32 s1, 0
.LBB39_1870:
	s_delay_alu instid0(SALU_CYCLE_1)
	s_and_not1_b32 vcc_lo, exec_lo, s1
	s_cbranch_vccnz .LBB39_1879
; %bb.1871:
	s_sext_i32_i16 s2, s0
	s_mov_b32 s1, -1
	s_cmp_lt_i32 s2, 6
	s_cbranch_scc1 .LBB39_1877
; %bb.1872:
	s_cmp_gt_i32 s2, 6
	s_cbranch_scc0 .LBB39_1874
; %bb.1873:
	s_wait_loadcnt 0x0
	v_mov_b64_e32 v[0:1], 0
	s_mov_b32 s1, 0
	global_store_b64 v[14:15], v[0:1], off
.LBB39_1874:
	s_and_not1_b32 vcc_lo, exec_lo, s1
	s_cbranch_vccnz .LBB39_1876
; %bb.1875:
	s_wait_xcnt 0x0
	v_mov_b32_e32 v0, 0
	global_store_b32 v[14:15], v0, off
.LBB39_1876:
	s_mov_b32 s1, 0
.LBB39_1877:
	s_delay_alu instid0(SALU_CYCLE_1)
	s_and_not1_b32 vcc_lo, exec_lo, s1
	s_cbranch_vccnz .LBB39_1879
; %bb.1878:
	s_wait_xcnt 0x0
	v_mov_b32_e32 v0, 0
	global_store_b16 v[14:15], v0, off
.LBB39_1879:
	s_mov_b32 s1, 0
.LBB39_1880:
	s_delay_alu instid0(SALU_CYCLE_1)
	s_and_not1_b32 vcc_lo, exec_lo, s1
	s_cbranch_vccnz .LBB39_1896
; %bb.1881:
	s_sext_i32_i16 s2, s0
	s_mov_b32 s1, -1
	s_cmp_lt_i32 s2, 2
	s_cbranch_scc1 .LBB39_1891
; %bb.1882:
	s_cmp_lt_i32 s2, 3
	s_cbranch_scc1 .LBB39_1888
; %bb.1883:
	s_cmp_gt_i32 s2, 3
	s_cbranch_scc0 .LBB39_1885
; %bb.1884:
	s_wait_loadcnt 0x0
	v_mov_b64_e32 v[0:1], 0
	s_mov_b32 s1, 0
	global_store_b64 v[14:15], v[0:1], off
.LBB39_1885:
	s_and_not1_b32 vcc_lo, exec_lo, s1
	s_cbranch_vccnz .LBB39_1887
; %bb.1886:
	s_wait_xcnt 0x0
	v_mov_b32_e32 v0, 0
	global_store_b32 v[14:15], v0, off
.LBB39_1887:
	s_mov_b32 s1, 0
.LBB39_1888:
	s_delay_alu instid0(SALU_CYCLE_1)
	s_and_not1_b32 vcc_lo, exec_lo, s1
	s_cbranch_vccnz .LBB39_1890
; %bb.1889:
	s_wait_xcnt 0x0
	v_mov_b32_e32 v0, 0
	global_store_b16 v[14:15], v0, off
.LBB39_1890:
	s_mov_b32 s1, 0
.LBB39_1891:
	s_delay_alu instid0(SALU_CYCLE_1)
	s_and_not1_b32 vcc_lo, exec_lo, s1
	s_cbranch_vccnz .LBB39_1896
; %bb.1892:
	s_sext_i32_i16 s0, s0
	s_delay_alu instid0(SALU_CYCLE_1)
	s_cmp_gt_i32 s0, 0
	s_mov_b32 s0, -1
	s_cbranch_scc0 .LBB39_1894
; %bb.1893:
	s_wait_xcnt 0x0
	v_mov_b32_e32 v0, 0
	s_mov_b32 s0, 0
	global_store_b8 v[14:15], v0, off
.LBB39_1894:
	s_and_not1_b32 vcc_lo, exec_lo, s0
	s_cbranch_vccnz .LBB39_1896
; %bb.1895:
	s_wait_xcnt 0x0
	v_mov_b32_e32 v0, 0
	global_store_b8 v[14:15], v0, off
	s_endpgm
.LBB39_1896:
	s_endpgm
.LBB39_1897:
	s_or_b32 s6, s14, exec_lo
	s_trap 2
	s_cbranch_execz .LBB39_1476
	s_branch .LBB39_1477
.LBB39_1898:
	s_mov_b32 s4, 0
	s_mov_b32 s3, -1
	s_branch .LBB39_1845
.LBB39_1899:
	s_or_b32 s2, s6, exec_lo
	s_trap 2
	s_cbranch_execz .LBB39_1576
	s_branch .LBB39_1577
.LBB39_1900:
	s_or_b32 s12, s12, exec_lo
	s_trap 2
                                        ; implicit-def: $vgpr10
                                        ; implicit-def: $vgpr8
                                        ; implicit-def: $vgpr0
                                        ; implicit-def: $vgpr6
                                        ; implicit-def: $vgpr4
                                        ; implicit-def: $vgpr2
	s_branch .LBB39_1043
.LBB39_1901:
	s_or_b32 s2, s2, exec_lo
	s_trap 2
	s_cbranch_execz .LBB39_1666
	s_branch .LBB39_1667
.LBB39_1902:
	s_or_b32 s2, s2, exec_lo
	s_trap 2
	s_cbranch_execz .LBB39_1755
	s_branch .LBB39_1756
.LBB39_1903:
	s_or_b32 s14, s14, exec_lo
	s_trap 2
                                        ; implicit-def: $vgpr8
                                        ; implicit-def: $vgpr0
                                        ; implicit-def: $vgpr6
                                        ; implicit-def: $vgpr4
                                        ; implicit-def: $vgpr2
	s_branch .LBB39_1398
.LBB39_1904:
	s_mov_b32 s4, 0
	s_or_b32 s2, s2, exec_lo
	s_trap 2
	s_branch .LBB39_1843
.LBB39_1905:
	s_or_b32 s6, s6, exec_lo
	s_trap 2
                                        ; implicit-def: $vgpr0
                                        ; implicit-def: $vgpr6
                                        ; implicit-def: $vgpr4
                                        ; implicit-def: $vgpr2
	s_branch .LBB39_1529
	.section	.rodata,"a",@progbits
	.p2align	6, 0x0
	.amdhsa_kernel _ZN2at6native32elementwise_kernel_manual_unrollILi128ELi4EZNS0_15gpu_kernel_implIZZZNS0_12_GLOBAL__N_142_validate_compressed_sparse_indices_kernelILNS3_8CDimNameE0ENS3_18CUDAKernelLauncherENS3_14EmptyVecKernelENS3_8DummyVecELm0EEEvRKNS_6TensorESB_lllENKUlvE0_clEvENKUlvE_clEvEUliE_EEvRNS_18TensorIteratorBaseERKT_EUlibE0_EEviT1_
		.amdhsa_group_segment_fixed_size 0
		.amdhsa_private_segment_fixed_size 0
		.amdhsa_kernarg_size 376
		.amdhsa_user_sgpr_count 2
		.amdhsa_user_sgpr_dispatch_ptr 0
		.amdhsa_user_sgpr_queue_ptr 0
		.amdhsa_user_sgpr_kernarg_segment_ptr 1
		.amdhsa_user_sgpr_dispatch_id 0
		.amdhsa_user_sgpr_kernarg_preload_length 0
		.amdhsa_user_sgpr_kernarg_preload_offset 0
		.amdhsa_user_sgpr_private_segment_size 0
		.amdhsa_wavefront_size32 1
		.amdhsa_uses_dynamic_stack 0
		.amdhsa_enable_private_segment 0
		.amdhsa_system_sgpr_workgroup_id_x 1
		.amdhsa_system_sgpr_workgroup_id_y 0
		.amdhsa_system_sgpr_workgroup_id_z 0
		.amdhsa_system_sgpr_workgroup_info 0
		.amdhsa_system_vgpr_workitem_id 0
		.amdhsa_next_free_vgpr 18
		.amdhsa_next_free_sgpr 72
		.amdhsa_named_barrier_count 0
		.amdhsa_reserve_vcc 1
		.amdhsa_float_round_mode_32 0
		.amdhsa_float_round_mode_16_64 0
		.amdhsa_float_denorm_mode_32 3
		.amdhsa_float_denorm_mode_16_64 3
		.amdhsa_fp16_overflow 0
		.amdhsa_memory_ordered 1
		.amdhsa_forward_progress 1
		.amdhsa_inst_pref_size 255
		.amdhsa_round_robin_scheduling 0
		.amdhsa_exception_fp_ieee_invalid_op 0
		.amdhsa_exception_fp_denorm_src 0
		.amdhsa_exception_fp_ieee_div_zero 0
		.amdhsa_exception_fp_ieee_overflow 0
		.amdhsa_exception_fp_ieee_underflow 0
		.amdhsa_exception_fp_ieee_inexact 0
		.amdhsa_exception_int_div_zero 0
	.end_amdhsa_kernel
	.section	.text._ZN2at6native32elementwise_kernel_manual_unrollILi128ELi4EZNS0_15gpu_kernel_implIZZZNS0_12_GLOBAL__N_142_validate_compressed_sparse_indices_kernelILNS3_8CDimNameE0ENS3_18CUDAKernelLauncherENS3_14EmptyVecKernelENS3_8DummyVecELm0EEEvRKNS_6TensorESB_lllENKUlvE0_clEvENKUlvE_clEvEUliE_EEvRNS_18TensorIteratorBaseERKT_EUlibE0_EEviT1_,"axG",@progbits,_ZN2at6native32elementwise_kernel_manual_unrollILi128ELi4EZNS0_15gpu_kernel_implIZZZNS0_12_GLOBAL__N_142_validate_compressed_sparse_indices_kernelILNS3_8CDimNameE0ENS3_18CUDAKernelLauncherENS3_14EmptyVecKernelENS3_8DummyVecELm0EEEvRKNS_6TensorESB_lllENKUlvE0_clEvENKUlvE_clEvEUliE_EEvRNS_18TensorIteratorBaseERKT_EUlibE0_EEviT1_,comdat
.Lfunc_end39:
	.size	_ZN2at6native32elementwise_kernel_manual_unrollILi128ELi4EZNS0_15gpu_kernel_implIZZZNS0_12_GLOBAL__N_142_validate_compressed_sparse_indices_kernelILNS3_8CDimNameE0ENS3_18CUDAKernelLauncherENS3_14EmptyVecKernelENS3_8DummyVecELm0EEEvRKNS_6TensorESB_lllENKUlvE0_clEvENKUlvE_clEvEUliE_EEvRNS_18TensorIteratorBaseERKT_EUlibE0_EEviT1_, .Lfunc_end39-_ZN2at6native32elementwise_kernel_manual_unrollILi128ELi4EZNS0_15gpu_kernel_implIZZZNS0_12_GLOBAL__N_142_validate_compressed_sparse_indices_kernelILNS3_8CDimNameE0ENS3_18CUDAKernelLauncherENS3_14EmptyVecKernelENS3_8DummyVecELm0EEEvRKNS_6TensorESB_lllENKUlvE0_clEvENKUlvE_clEvEUliE_EEvRNS_18TensorIteratorBaseERKT_EUlibE0_EEviT1_
                                        ; -- End function
	.set _ZN2at6native32elementwise_kernel_manual_unrollILi128ELi4EZNS0_15gpu_kernel_implIZZZNS0_12_GLOBAL__N_142_validate_compressed_sparse_indices_kernelILNS3_8CDimNameE0ENS3_18CUDAKernelLauncherENS3_14EmptyVecKernelENS3_8DummyVecELm0EEEvRKNS_6TensorESB_lllENKUlvE0_clEvENKUlvE_clEvEUliE_EEvRNS_18TensorIteratorBaseERKT_EUlibE0_EEviT1_.num_vgpr, 18
	.set _ZN2at6native32elementwise_kernel_manual_unrollILi128ELi4EZNS0_15gpu_kernel_implIZZZNS0_12_GLOBAL__N_142_validate_compressed_sparse_indices_kernelILNS3_8CDimNameE0ENS3_18CUDAKernelLauncherENS3_14EmptyVecKernelENS3_8DummyVecELm0EEEvRKNS_6TensorESB_lllENKUlvE0_clEvENKUlvE_clEvEUliE_EEvRNS_18TensorIteratorBaseERKT_EUlibE0_EEviT1_.num_agpr, 0
	.set _ZN2at6native32elementwise_kernel_manual_unrollILi128ELi4EZNS0_15gpu_kernel_implIZZZNS0_12_GLOBAL__N_142_validate_compressed_sparse_indices_kernelILNS3_8CDimNameE0ENS3_18CUDAKernelLauncherENS3_14EmptyVecKernelENS3_8DummyVecELm0EEEvRKNS_6TensorESB_lllENKUlvE0_clEvENKUlvE_clEvEUliE_EEvRNS_18TensorIteratorBaseERKT_EUlibE0_EEviT1_.numbered_sgpr, 72
	.set _ZN2at6native32elementwise_kernel_manual_unrollILi128ELi4EZNS0_15gpu_kernel_implIZZZNS0_12_GLOBAL__N_142_validate_compressed_sparse_indices_kernelILNS3_8CDimNameE0ENS3_18CUDAKernelLauncherENS3_14EmptyVecKernelENS3_8DummyVecELm0EEEvRKNS_6TensorESB_lllENKUlvE0_clEvENKUlvE_clEvEUliE_EEvRNS_18TensorIteratorBaseERKT_EUlibE0_EEviT1_.num_named_barrier, 0
	.set _ZN2at6native32elementwise_kernel_manual_unrollILi128ELi4EZNS0_15gpu_kernel_implIZZZNS0_12_GLOBAL__N_142_validate_compressed_sparse_indices_kernelILNS3_8CDimNameE0ENS3_18CUDAKernelLauncherENS3_14EmptyVecKernelENS3_8DummyVecELm0EEEvRKNS_6TensorESB_lllENKUlvE0_clEvENKUlvE_clEvEUliE_EEvRNS_18TensorIteratorBaseERKT_EUlibE0_EEviT1_.private_seg_size, 0
	.set _ZN2at6native32elementwise_kernel_manual_unrollILi128ELi4EZNS0_15gpu_kernel_implIZZZNS0_12_GLOBAL__N_142_validate_compressed_sparse_indices_kernelILNS3_8CDimNameE0ENS3_18CUDAKernelLauncherENS3_14EmptyVecKernelENS3_8DummyVecELm0EEEvRKNS_6TensorESB_lllENKUlvE0_clEvENKUlvE_clEvEUliE_EEvRNS_18TensorIteratorBaseERKT_EUlibE0_EEviT1_.uses_vcc, 1
	.set _ZN2at6native32elementwise_kernel_manual_unrollILi128ELi4EZNS0_15gpu_kernel_implIZZZNS0_12_GLOBAL__N_142_validate_compressed_sparse_indices_kernelILNS3_8CDimNameE0ENS3_18CUDAKernelLauncherENS3_14EmptyVecKernelENS3_8DummyVecELm0EEEvRKNS_6TensorESB_lllENKUlvE0_clEvENKUlvE_clEvEUliE_EEvRNS_18TensorIteratorBaseERKT_EUlibE0_EEviT1_.uses_flat_scratch, 0
	.set _ZN2at6native32elementwise_kernel_manual_unrollILi128ELi4EZNS0_15gpu_kernel_implIZZZNS0_12_GLOBAL__N_142_validate_compressed_sparse_indices_kernelILNS3_8CDimNameE0ENS3_18CUDAKernelLauncherENS3_14EmptyVecKernelENS3_8DummyVecELm0EEEvRKNS_6TensorESB_lllENKUlvE0_clEvENKUlvE_clEvEUliE_EEvRNS_18TensorIteratorBaseERKT_EUlibE0_EEviT1_.has_dyn_sized_stack, 0
	.set _ZN2at6native32elementwise_kernel_manual_unrollILi128ELi4EZNS0_15gpu_kernel_implIZZZNS0_12_GLOBAL__N_142_validate_compressed_sparse_indices_kernelILNS3_8CDimNameE0ENS3_18CUDAKernelLauncherENS3_14EmptyVecKernelENS3_8DummyVecELm0EEEvRKNS_6TensorESB_lllENKUlvE0_clEvENKUlvE_clEvEUliE_EEvRNS_18TensorIteratorBaseERKT_EUlibE0_EEviT1_.has_recursion, 0
	.set _ZN2at6native32elementwise_kernel_manual_unrollILi128ELi4EZNS0_15gpu_kernel_implIZZZNS0_12_GLOBAL__N_142_validate_compressed_sparse_indices_kernelILNS3_8CDimNameE0ENS3_18CUDAKernelLauncherENS3_14EmptyVecKernelENS3_8DummyVecELm0EEEvRKNS_6TensorESB_lllENKUlvE0_clEvENKUlvE_clEvEUliE_EEvRNS_18TensorIteratorBaseERKT_EUlibE0_EEviT1_.has_indirect_call, 0
	.section	.AMDGPU.csdata,"",@progbits
; Kernel info:
; codeLenInByte = 33916
; TotalNumSgprs: 74
; NumVgprs: 18
; ScratchSize: 0
; MemoryBound: 1
; FloatMode: 240
; IeeeMode: 1
; LDSByteSize: 0 bytes/workgroup (compile time only)
; SGPRBlocks: 0
; VGPRBlocks: 1
; NumSGPRsForWavesPerEU: 74
; NumVGPRsForWavesPerEU: 18
; NamedBarCnt: 0
; Occupancy: 16
; WaveLimiterHint : 1
; COMPUTE_PGM_RSRC2:SCRATCH_EN: 0
; COMPUTE_PGM_RSRC2:USER_SGPR: 2
; COMPUTE_PGM_RSRC2:TRAP_HANDLER: 0
; COMPUTE_PGM_RSRC2:TGID_X_EN: 1
; COMPUTE_PGM_RSRC2:TGID_Y_EN: 0
; COMPUTE_PGM_RSRC2:TGID_Z_EN: 0
; COMPUTE_PGM_RSRC2:TIDIG_COMP_CNT: 0
	.section	.text._ZN2at6native29vectorized_elementwise_kernelILi16EZZZNS0_12_GLOBAL__N_142_validate_compressed_sparse_indices_kernelILNS2_8CDimNameE0ENS2_18CUDAKernelLauncherENS2_14EmptyVecKernelENS2_8DummyVecELm0EEEvRKNS_6TensorESA_lllENKUlvE0_clEvENKUlvE0_clEvEUllE_St5arrayIPcLm2EEEEviT0_T1_,"axG",@progbits,_ZN2at6native29vectorized_elementwise_kernelILi16EZZZNS0_12_GLOBAL__N_142_validate_compressed_sparse_indices_kernelILNS2_8CDimNameE0ENS2_18CUDAKernelLauncherENS2_14EmptyVecKernelENS2_8DummyVecELm0EEEvRKNS_6TensorESA_lllENKUlvE0_clEvENKUlvE0_clEvEUllE_St5arrayIPcLm2EEEEviT0_T1_,comdat
	.globl	_ZN2at6native29vectorized_elementwise_kernelILi16EZZZNS0_12_GLOBAL__N_142_validate_compressed_sparse_indices_kernelILNS2_8CDimNameE0ENS2_18CUDAKernelLauncherENS2_14EmptyVecKernelENS2_8DummyVecELm0EEEvRKNS_6TensorESA_lllENKUlvE0_clEvENKUlvE0_clEvEUllE_St5arrayIPcLm2EEEEviT0_T1_ ; -- Begin function _ZN2at6native29vectorized_elementwise_kernelILi16EZZZNS0_12_GLOBAL__N_142_validate_compressed_sparse_indices_kernelILNS2_8CDimNameE0ENS2_18CUDAKernelLauncherENS2_14EmptyVecKernelENS2_8DummyVecELm0EEEvRKNS_6TensorESA_lllENKUlvE0_clEvENKUlvE0_clEvEUllE_St5arrayIPcLm2EEEEviT0_T1_
	.p2align	8
	.type	_ZN2at6native29vectorized_elementwise_kernelILi16EZZZNS0_12_GLOBAL__N_142_validate_compressed_sparse_indices_kernelILNS2_8CDimNameE0ENS2_18CUDAKernelLauncherENS2_14EmptyVecKernelENS2_8DummyVecELm0EEEvRKNS_6TensorESA_lllENKUlvE0_clEvENKUlvE0_clEvEUllE_St5arrayIPcLm2EEEEviT0_T1_,@function
_ZN2at6native29vectorized_elementwise_kernelILi16EZZZNS0_12_GLOBAL__N_142_validate_compressed_sparse_indices_kernelILNS2_8CDimNameE0ENS2_18CUDAKernelLauncherENS2_14EmptyVecKernelENS2_8DummyVecELm0EEEvRKNS_6TensorESA_lllENKUlvE0_clEvENKUlvE0_clEvEUllE_St5arrayIPcLm2EEEEviT0_T1_: ; @_ZN2at6native29vectorized_elementwise_kernelILi16EZZZNS0_12_GLOBAL__N_142_validate_compressed_sparse_indices_kernelILNS2_8CDimNameE0ENS2_18CUDAKernelLauncherENS2_14EmptyVecKernelENS2_8DummyVecELm0EEEvRKNS_6TensorESA_lllENKUlvE0_clEvENKUlvE0_clEvEUllE_St5arrayIPcLm2EEEEviT0_T1_
; %bb.0:
	s_clause 0x1
	s_load_b32 s3, s[0:1], 0x0
	s_load_b256 s[4:11], s[0:1], 0x8
	s_wait_xcnt 0x0
	s_bfe_u32 s0, ttmp6, 0x4000c
	s_and_b32 s1, ttmp6, 15
	s_add_co_i32 s0, s0, 1
	s_getreg_b32 s2, hwreg(HW_REG_IB_STS2, 6, 4)
	s_mul_i32 s0, ttmp9, s0
	s_mov_b32 s18, 0
	s_add_co_i32 s1, s1, s0
	s_cmp_eq_u32 s2, 0
	s_get_pc_i64 s[12:13]
	s_add_nc_u64 s[12:13], s[12:13], .str@rel64+4
	s_cselect_b32 s0, ttmp9, s1
	s_delay_alu instid0(SALU_CYCLE_1)
	s_lshl_b32 s2, s0, 10
	s_mov_b32 s0, -1
	s_wait_kmcnt 0x0
	s_sub_co_i32 s1, s3, s2
	s_mov_b32 s3, 0
	s_cmp_gt_i32 s1, 0x3ff
	s_cbranch_scc0 .LBB40_13
; %bb.1:
	s_cmp_eq_u64 s[12:13], 0
	s_cselect_b32 s19, -1, 0
	s_cmp_lg_u64 s[12:13], 0
	s_cbranch_scc0 .LBB40_11
; %bb.2:
	s_ashr_i32 s3, s2, 31
	v_lshlrev_b32_e32 v6, 5, v0
	s_lshl_b64 s[14:15], s[2:3], 3
	s_delay_alu instid0(SALU_CYCLE_1)
	s_add_nc_u64 s[16:17], s[10:11], s[14:15]
	global_load_b64 v[2:3], v6, s[16:17]
	s_wait_loadcnt 0x0
	v_cmp_le_i64_e32 vcc_lo, s[4:5], v[2:3]
	v_cmp_gt_i64_e64 s0, s[6:7], v[2:3]
	s_and_b32 s0, vcc_lo, s0
	s_delay_alu instid0(SALU_CYCLE_1)
	s_xor_b32 s19, s0, -1
	s_and_saveexec_b32 s3, s0
	s_cbranch_execz .LBB40_10
; %bb.3:
	v_mov_b32_e32 v7, 0
	s_delay_alu instid0(VALU_DEP_1)
	v_add_nc_u64_e32 v[10:11], s[16:17], v[6:7]
	s_clause 0x1
	global_load_b128 v[2:5], v[10:11], off offset:8
	global_load_b64 v[8:9], v[10:11], off offset:24
	s_wait_loadcnt 0x1
	v_cmp_le_i64_e32 vcc_lo, s[4:5], v[2:3]
	v_cmp_gt_i64_e64 s0, s[6:7], v[2:3]
	s_and_b32 s0, vcc_lo, s0
	s_delay_alu instid0(SALU_CYCLE_1)
	s_xor_b32 s16, s0, -1
	s_wait_xcnt 0x0
	s_and_saveexec_b32 s17, s0
	s_cbranch_execz .LBB40_9
; %bb.4:
	v_cmp_le_i64_e32 vcc_lo, s[4:5], v[4:5]
	v_cmp_gt_i64_e64 s0, s[6:7], v[4:5]
	s_mov_b32 s22, -1
	s_and_b32 s0, vcc_lo, s0
	s_delay_alu instid0(SALU_CYCLE_1)
	s_xor_b32 s20, s0, -1
	s_and_saveexec_b32 s21, s0
	s_cbranch_execz .LBB40_8
; %bb.5:
	s_wait_loadcnt 0x0
	v_cmp_le_i64_e32 vcc_lo, s[4:5], v[8:9]
	v_cmp_gt_i64_e64 s0, s[6:7], v[8:9]
	s_and_b32 s0, vcc_lo, s0
	s_delay_alu instid0(SALU_CYCLE_1) | instskip(NEXT) | instid1(SALU_CYCLE_1)
	s_and_saveexec_b32 s23, s0
	s_xor_b32 s0, exec_lo, s23
; %bb.6:
	s_mov_b32 s24, 0
	s_add_nc_u64 s[14:15], s[8:9], s[14:15]
	s_mov_b32 s25, s24
	s_mov_b32 s26, s24
	;; [unrolled: 1-line block ×3, first 2 shown]
	v_mov_b64_e32 v[2:3], s[24:25]
	v_mov_b64_e32 v[4:5], s[26:27]
	s_xor_b32 s22, exec_lo, -1
	s_clause 0x1
	global_store_b128 v6, v[2:5], s[14:15]
	global_store_b128 v6, v[2:5], s[14:15] offset:16
; %bb.7:
	s_wait_xcnt 0x0
	s_or_b32 exec_lo, exec_lo, s0
	s_delay_alu instid0(SALU_CYCLE_1) | instskip(SKIP_1) | instid1(SALU_CYCLE_1)
	s_and_not1_b32 s0, s20, exec_lo
	s_and_b32 s14, s22, exec_lo
	s_or_b32 s20, s0, s14
.LBB40_8:
	s_or_b32 exec_lo, exec_lo, s21
	s_delay_alu instid0(SALU_CYCLE_1) | instskip(SKIP_1) | instid1(SALU_CYCLE_1)
	s_and_not1_b32 s0, s16, exec_lo
	s_and_b32 s14, s20, exec_lo
	s_or_b32 s16, s0, s14
.LBB40_9:
	s_or_b32 exec_lo, exec_lo, s17
	s_delay_alu instid0(SALU_CYCLE_1) | instskip(SKIP_1) | instid1(SALU_CYCLE_1)
	s_and_not1_b32 s0, s19, exec_lo
	s_and_b32 s14, s16, exec_lo
	s_or_b32 s19, s0, s14
.LBB40_10:
	s_or_b32 exec_lo, exec_lo, s3
.LBB40_11:
	s_mov_b32 s0, 0
	s_mov_b32 s3, 0
	s_and_saveexec_b32 s14, s19
	s_delay_alu instid0(SALU_CYCLE_1)
	s_xor_b32 s14, exec_lo, s14
	s_cbranch_execnz .LBB40_51
.LBB40_12:
	s_or_b32 exec_lo, exec_lo, s14
.LBB40_13:
	s_delay_alu instid0(SALU_CYCLE_1)
	s_and_b32 vcc_lo, exec_lo, s0
	s_cbranch_vccz .LBB40_26
; %bb.14:
	v_mov_b64_e32 v[4:5], 0
	s_wait_loadcnt 0x0
	v_mov_b64_e32 v[8:9], 0
	v_cmp_le_i32_e64 s15, s1, v0
	v_cmp_gt_i32_e64 s14, s1, v0
	v_or_b32_e32 v1, 0x100, v0
	v_mov_b32_e32 v10, v0
	s_and_saveexec_b32 s0, s14
	s_cbranch_execz .LBB40_16
; %bb.15:
	v_or_b32_e32 v2, s2, v0
	v_or_b32_e32 v10, 0x100, v0
	global_load_b64 v[8:9], v2, s[10:11] scale_offset
.LBB40_16:
	s_wait_xcnt 0x0
	s_or_b32 exec_lo, exec_lo, s0
	s_delay_alu instid0(SALU_CYCLE_1)
	s_mov_b32 s0, exec_lo
	v_cmpx_gt_i32_e64 s1, v10
	s_cbranch_execz .LBB40_18
; %bb.17:
	v_add_nc_u32_e32 v2, s2, v10
	v_add_nc_u32_e32 v10, 0x100, v10
	global_load_b64 v[4:5], v2, s[10:11] scale_offset
.LBB40_18:
	s_wait_xcnt 0x0
	s_or_b32 exec_lo, exec_lo, s0
	v_mov_b64_e32 v[2:3], 0
	v_mov_b64_e32 v[6:7], 0
	s_mov_b32 s0, exec_lo
	v_cmpx_gt_i32_e64 s1, v10
	s_cbranch_execz .LBB40_20
; %bb.19:
	v_add_nc_u32_e32 v6, s2, v10
	v_add_nc_u32_e32 v10, 0x100, v10
	global_load_b64 v[6:7], v6, s[10:11] scale_offset
.LBB40_20:
	s_wait_xcnt 0x0
	s_or_b32 exec_lo, exec_lo, s0
	s_delay_alu instid0(SALU_CYCLE_1)
	s_mov_b32 s0, exec_lo
	v_cmpx_gt_i32_e64 s1, v10
	s_cbranch_execz .LBB40_22
; %bb.21:
	v_add_nc_u32_e32 v2, s2, v10
	global_load_b64 v[2:3], v2, s[10:11] scale_offset
.LBB40_22:
	s_wait_xcnt 0x0
	s_or_b32 exec_lo, exec_lo, s0
	s_cmp_lg_u64 s[12:13], 0
	s_mov_b32 s10, 0
	s_cselect_b32 s12, -1, 0
	s_and_saveexec_b32 s11, s14
	s_cbranch_execnz .LBB40_35
; %bb.23:
	s_or_b32 exec_lo, exec_lo, s11
	s_and_saveexec_b32 s11, s15
	s_cbranch_execnz .LBB40_36
.LBB40_24:
	s_or_b32 exec_lo, exec_lo, s11
	s_and_saveexec_b32 s0, s10
	s_cbranch_execnz .LBB40_47
.LBB40_25:
	s_or_b32 exec_lo, exec_lo, s0
	s_and_saveexec_b32 s0, s3
	s_cbranch_execnz .LBB40_27
	s_branch .LBB40_28
.LBB40_26:
                                        ; implicit-def: $sgpr14
                                        ; implicit-def: $vgpr1
                                        ; implicit-def: $vgpr0
	s_and_saveexec_b32 s0, s3
.LBB40_27:
	; divergent unreachable
.LBB40_28:
	s_delay_alu instid0(SALU_CYCLE_1) | instskip(SKIP_1) | instid1(SALU_CYCLE_1)
	s_or_b32 exec_lo, exec_lo, s0
	s_and_saveexec_b32 s0, s18
	s_xor_b32 s0, exec_lo, s0
	s_cbranch_execz .LBB40_34
; %bb.29:
	s_and_saveexec_b32 s0, s14
	s_delay_alu instid0(SALU_CYCLE_1)
	s_xor_b32 s0, exec_lo, s0
	s_cbranch_execnz .LBB40_48
; %bb.30:
	s_or_b32 exec_lo, exec_lo, s0
	s_delay_alu instid0(SALU_CYCLE_1)
	s_mov_b32 s0, exec_lo
	v_cmpx_gt_i32_e64 s1, v0
	s_cbranch_execnz .LBB40_49
.LBB40_31:
	s_or_b32 exec_lo, exec_lo, s0
	s_delay_alu instid0(SALU_CYCLE_1)
	s_mov_b32 s0, exec_lo
	v_cmpx_gt_i32_e64 s1, v0
	s_cbranch_execnz .LBB40_50
.LBB40_32:
	s_or_b32 exec_lo, exec_lo, s0
	s_delay_alu instid0(SALU_CYCLE_1)
	s_mov_b32 s0, exec_lo
	v_cmpx_gt_i32_e64 s1, v0
	s_cbranch_execz .LBB40_34
.LBB40_33:
	s_wait_loadcnt 0x0
	v_mov_b64_e32 v[2:3], 0
	v_add_nc_u32_e32 v0, s2, v0
	global_store_b64 v0, v[2:3], s[8:9] scale_offset
.LBB40_34:
	s_endpgm
.LBB40_35:
	s_wait_loadcnt 0x0
	v_cmp_le_i64_e32 vcc_lo, s[4:5], v[8:9]
	v_cmp_gt_i64_e64 s0, s[6:7], v[8:9]
	s_and_not1_b32 s13, s15, exec_lo
	s_mov_b32 s10, exec_lo
	s_and_b32 s0, vcc_lo, s0
	s_delay_alu instid0(SALU_CYCLE_1) | instskip(NEXT) | instid1(SALU_CYCLE_1)
	s_and_b32 s0, s12, s0
	s_and_b32 s0, s0, exec_lo
	s_delay_alu instid0(SALU_CYCLE_1)
	s_or_b32 s15, s13, s0
	s_or_b32 exec_lo, exec_lo, s11
	s_and_saveexec_b32 s11, s15
	s_cbranch_execz .LBB40_24
.LBB40_36:
	v_cmp_le_i32_e64 s17, s1, v1
	s_mov_b32 s16, 0
	s_mov_b32 s13, 0
	s_mov_b32 s15, exec_lo
	v_cmpx_gt_i32_e64 s1, v1
	s_cbranch_execz .LBB40_38
; %bb.37:
	s_wait_loadcnt 0x0
	v_cmp_le_i64_e32 vcc_lo, s[4:5], v[4:5]
	v_cmp_gt_i64_e64 s0, s[6:7], v[4:5]
	s_and_not1_b32 s17, s17, exec_lo
	s_mov_b32 s13, exec_lo
	s_and_b32 s0, vcc_lo, s0
	s_delay_alu instid0(SALU_CYCLE_1) | instskip(NEXT) | instid1(SALU_CYCLE_1)
	s_and_b32 s0, s12, s0
	s_and_b32 s0, s0, exec_lo
	s_delay_alu instid0(SALU_CYCLE_1)
	s_or_b32 s17, s17, s0
.LBB40_38:
	s_or_b32 exec_lo, exec_lo, s15
	s_and_saveexec_b32 s15, s17
	s_cbranch_execz .LBB40_46
; %bb.39:
	s_wait_loadcnt 0x0
	v_or_b32_e32 v4, 0x200, v0
	s_mov_b32 s17, exec_lo
	s_delay_alu instid0(VALU_DEP_1)
	v_cmp_le_i32_e64 s19, s1, v4
	v_cmpx_gt_i32_e64 s1, v4
; %bb.40:
	v_cmp_le_i64_e32 vcc_lo, s[4:5], v[6:7]
	v_cmp_gt_i64_e64 s0, s[6:7], v[6:7]
	s_and_not1_b32 s19, s19, exec_lo
	s_mov_b32 s16, exec_lo
	s_and_b32 s0, vcc_lo, s0
	s_delay_alu instid0(SALU_CYCLE_1) | instskip(NEXT) | instid1(SALU_CYCLE_1)
	s_and_b32 s0, s12, s0
	s_and_b32 s0, s0, exec_lo
	s_delay_alu instid0(SALU_CYCLE_1)
	s_or_b32 s19, s19, s0
; %bb.41:
	s_or_b32 exec_lo, exec_lo, s17
	s_and_saveexec_b32 s17, s19
	s_cbranch_execz .LBB40_45
; %bb.42:
	v_or_b32_e32 v4, 0x300, v0
	s_mov_b32 s0, 0
	s_mov_b32 s19, exec_lo
	s_delay_alu instid0(VALU_DEP_1)
	v_cmp_le_i32_e64 s18, s1, v4
	v_cmpx_gt_i32_e64 s1, v4
	s_xor_b32 s19, exec_lo, s19
; %bb.43:
	v_cmp_le_i64_e32 vcc_lo, s[4:5], v[2:3]
	v_cmp_gt_i64_e64 s0, s[6:7], v[2:3]
	s_or_b32 s18, s18, exec_lo
	s_and_b32 s0, vcc_lo, s0
	s_delay_alu instid0(SALU_CYCLE_1) | instskip(NEXT) | instid1(SALU_CYCLE_1)
	s_and_b32 s0, s12, s0
	s_xor_b32 s0, s0, -1
	s_delay_alu instid0(SALU_CYCLE_1)
	s_and_b32 s0, s0, exec_lo
; %bb.44:
	s_or_b32 exec_lo, exec_lo, s19
	s_delay_alu instid0(SALU_CYCLE_1)
	s_and_not1_b32 s4, s16, exec_lo
	s_and_b32 s0, s0, exec_lo
	s_and_b32 s18, s18, exec_lo
	s_or_b32 s16, s4, s0
.LBB40_45:
	s_or_b32 exec_lo, exec_lo, s17
	s_delay_alu instid0(SALU_CYCLE_1)
	s_and_not1_b32 s0, s13, exec_lo
	s_and_b32 s4, s16, exec_lo
	s_and_b32 s16, s18, exec_lo
	s_or_b32 s13, s0, s4
.LBB40_46:
	s_or_b32 exec_lo, exec_lo, s15
	s_delay_alu instid0(SALU_CYCLE_1)
	s_and_not1_b32 s0, s10, exec_lo
	s_and_b32 s4, s13, exec_lo
	s_and_b32 s18, s16, exec_lo
	s_or_b32 s10, s0, s4
	s_or_b32 exec_lo, exec_lo, s11
	s_and_saveexec_b32 s0, s10
	s_cbranch_execz .LBB40_25
.LBB40_47:
	s_and_not1_b32 s18, s18, exec_lo
	s_or_b32 s3, s3, exec_lo
	s_trap 2
	s_or_b32 exec_lo, exec_lo, s0
	s_and_saveexec_b32 s0, s3
	s_cbranch_execnz .LBB40_27
	s_branch .LBB40_28
.LBB40_48:
	s_wait_loadcnt 0x0
	v_mov_b64_e32 v[2:3], 0
	v_dual_mov_b32 v0, v1 :: v_dual_bitop2_b32 v4, s2, v0 bitop3:0x54
	global_store_b64 v4, v[2:3], s[8:9] scale_offset
	s_wait_xcnt 0x0
	s_or_b32 exec_lo, exec_lo, s0
	s_delay_alu instid0(SALU_CYCLE_1)
	s_mov_b32 s0, exec_lo
	v_cmpx_gt_i32_e64 s1, v0
	s_cbranch_execz .LBB40_31
.LBB40_49:
	s_wait_loadcnt 0x0
	v_mov_b64_e32 v[2:3], 0
	v_add_nc_u32_e32 v1, s2, v0
	v_add_nc_u32_e32 v0, 0x100, v0
	global_store_b64 v1, v[2:3], s[8:9] scale_offset
	s_wait_xcnt 0x0
	s_or_b32 exec_lo, exec_lo, s0
	s_delay_alu instid0(SALU_CYCLE_1)
	s_mov_b32 s0, exec_lo
	v_cmpx_gt_i32_e64 s1, v0
	s_cbranch_execz .LBB40_32
.LBB40_50:
	s_wait_loadcnt 0x0
	v_mov_b64_e32 v[2:3], 0
	v_add_nc_u32_e32 v1, s2, v0
	v_add_nc_u32_e32 v0, 0x100, v0
	global_store_b64 v1, v[2:3], s[8:9] scale_offset
	s_wait_xcnt 0x0
	s_or_b32 exec_lo, exec_lo, s0
	s_delay_alu instid0(SALU_CYCLE_1)
	s_mov_b32 s0, exec_lo
	v_cmpx_gt_i32_e64 s1, v0
	s_cbranch_execnz .LBB40_33
	s_branch .LBB40_34
.LBB40_51:
	s_mov_b32 s3, exec_lo
	s_trap 2
	s_branch .LBB40_12
	.section	.rodata,"a",@progbits
	.p2align	6, 0x0
	.amdhsa_kernel _ZN2at6native29vectorized_elementwise_kernelILi16EZZZNS0_12_GLOBAL__N_142_validate_compressed_sparse_indices_kernelILNS2_8CDimNameE0ENS2_18CUDAKernelLauncherENS2_14EmptyVecKernelENS2_8DummyVecELm0EEEvRKNS_6TensorESA_lllENKUlvE0_clEvENKUlvE0_clEvEUllE_St5arrayIPcLm2EEEEviT0_T1_
		.amdhsa_group_segment_fixed_size 0
		.amdhsa_private_segment_fixed_size 0
		.amdhsa_kernarg_size 40
		.amdhsa_user_sgpr_count 2
		.amdhsa_user_sgpr_dispatch_ptr 0
		.amdhsa_user_sgpr_queue_ptr 0
		.amdhsa_user_sgpr_kernarg_segment_ptr 1
		.amdhsa_user_sgpr_dispatch_id 0
		.amdhsa_user_sgpr_kernarg_preload_length 0
		.amdhsa_user_sgpr_kernarg_preload_offset 0
		.amdhsa_user_sgpr_private_segment_size 0
		.amdhsa_wavefront_size32 1
		.amdhsa_uses_dynamic_stack 0
		.amdhsa_enable_private_segment 0
		.amdhsa_system_sgpr_workgroup_id_x 1
		.amdhsa_system_sgpr_workgroup_id_y 0
		.amdhsa_system_sgpr_workgroup_id_z 0
		.amdhsa_system_sgpr_workgroup_info 0
		.amdhsa_system_vgpr_workitem_id 0
		.amdhsa_next_free_vgpr 12
		.amdhsa_next_free_sgpr 28
		.amdhsa_named_barrier_count 0
		.amdhsa_reserve_vcc 1
		.amdhsa_float_round_mode_32 0
		.amdhsa_float_round_mode_16_64 0
		.amdhsa_float_denorm_mode_32 3
		.amdhsa_float_denorm_mode_16_64 3
		.amdhsa_fp16_overflow 0
		.amdhsa_memory_ordered 1
		.amdhsa_forward_progress 1
		.amdhsa_inst_pref_size 13
		.amdhsa_round_robin_scheduling 0
		.amdhsa_exception_fp_ieee_invalid_op 0
		.amdhsa_exception_fp_denorm_src 0
		.amdhsa_exception_fp_ieee_div_zero 0
		.amdhsa_exception_fp_ieee_overflow 0
		.amdhsa_exception_fp_ieee_underflow 0
		.amdhsa_exception_fp_ieee_inexact 0
		.amdhsa_exception_int_div_zero 0
	.end_amdhsa_kernel
	.section	.text._ZN2at6native29vectorized_elementwise_kernelILi16EZZZNS0_12_GLOBAL__N_142_validate_compressed_sparse_indices_kernelILNS2_8CDimNameE0ENS2_18CUDAKernelLauncherENS2_14EmptyVecKernelENS2_8DummyVecELm0EEEvRKNS_6TensorESA_lllENKUlvE0_clEvENKUlvE0_clEvEUllE_St5arrayIPcLm2EEEEviT0_T1_,"axG",@progbits,_ZN2at6native29vectorized_elementwise_kernelILi16EZZZNS0_12_GLOBAL__N_142_validate_compressed_sparse_indices_kernelILNS2_8CDimNameE0ENS2_18CUDAKernelLauncherENS2_14EmptyVecKernelENS2_8DummyVecELm0EEEvRKNS_6TensorESA_lllENKUlvE0_clEvENKUlvE0_clEvEUllE_St5arrayIPcLm2EEEEviT0_T1_,comdat
.Lfunc_end40:
	.size	_ZN2at6native29vectorized_elementwise_kernelILi16EZZZNS0_12_GLOBAL__N_142_validate_compressed_sparse_indices_kernelILNS2_8CDimNameE0ENS2_18CUDAKernelLauncherENS2_14EmptyVecKernelENS2_8DummyVecELm0EEEvRKNS_6TensorESA_lllENKUlvE0_clEvENKUlvE0_clEvEUllE_St5arrayIPcLm2EEEEviT0_T1_, .Lfunc_end40-_ZN2at6native29vectorized_elementwise_kernelILi16EZZZNS0_12_GLOBAL__N_142_validate_compressed_sparse_indices_kernelILNS2_8CDimNameE0ENS2_18CUDAKernelLauncherENS2_14EmptyVecKernelENS2_8DummyVecELm0EEEvRKNS_6TensorESA_lllENKUlvE0_clEvENKUlvE0_clEvEUllE_St5arrayIPcLm2EEEEviT0_T1_
                                        ; -- End function
	.set _ZN2at6native29vectorized_elementwise_kernelILi16EZZZNS0_12_GLOBAL__N_142_validate_compressed_sparse_indices_kernelILNS2_8CDimNameE0ENS2_18CUDAKernelLauncherENS2_14EmptyVecKernelENS2_8DummyVecELm0EEEvRKNS_6TensorESA_lllENKUlvE0_clEvENKUlvE0_clEvEUllE_St5arrayIPcLm2EEEEviT0_T1_.num_vgpr, 12
	.set _ZN2at6native29vectorized_elementwise_kernelILi16EZZZNS0_12_GLOBAL__N_142_validate_compressed_sparse_indices_kernelILNS2_8CDimNameE0ENS2_18CUDAKernelLauncherENS2_14EmptyVecKernelENS2_8DummyVecELm0EEEvRKNS_6TensorESA_lllENKUlvE0_clEvENKUlvE0_clEvEUllE_St5arrayIPcLm2EEEEviT0_T1_.num_agpr, 0
	.set _ZN2at6native29vectorized_elementwise_kernelILi16EZZZNS0_12_GLOBAL__N_142_validate_compressed_sparse_indices_kernelILNS2_8CDimNameE0ENS2_18CUDAKernelLauncherENS2_14EmptyVecKernelENS2_8DummyVecELm0EEEvRKNS_6TensorESA_lllENKUlvE0_clEvENKUlvE0_clEvEUllE_St5arrayIPcLm2EEEEviT0_T1_.numbered_sgpr, 28
	.set _ZN2at6native29vectorized_elementwise_kernelILi16EZZZNS0_12_GLOBAL__N_142_validate_compressed_sparse_indices_kernelILNS2_8CDimNameE0ENS2_18CUDAKernelLauncherENS2_14EmptyVecKernelENS2_8DummyVecELm0EEEvRKNS_6TensorESA_lllENKUlvE0_clEvENKUlvE0_clEvEUllE_St5arrayIPcLm2EEEEviT0_T1_.num_named_barrier, 0
	.set _ZN2at6native29vectorized_elementwise_kernelILi16EZZZNS0_12_GLOBAL__N_142_validate_compressed_sparse_indices_kernelILNS2_8CDimNameE0ENS2_18CUDAKernelLauncherENS2_14EmptyVecKernelENS2_8DummyVecELm0EEEvRKNS_6TensorESA_lllENKUlvE0_clEvENKUlvE0_clEvEUllE_St5arrayIPcLm2EEEEviT0_T1_.private_seg_size, 0
	.set _ZN2at6native29vectorized_elementwise_kernelILi16EZZZNS0_12_GLOBAL__N_142_validate_compressed_sparse_indices_kernelILNS2_8CDimNameE0ENS2_18CUDAKernelLauncherENS2_14EmptyVecKernelENS2_8DummyVecELm0EEEvRKNS_6TensorESA_lllENKUlvE0_clEvENKUlvE0_clEvEUllE_St5arrayIPcLm2EEEEviT0_T1_.uses_vcc, 1
	.set _ZN2at6native29vectorized_elementwise_kernelILi16EZZZNS0_12_GLOBAL__N_142_validate_compressed_sparse_indices_kernelILNS2_8CDimNameE0ENS2_18CUDAKernelLauncherENS2_14EmptyVecKernelENS2_8DummyVecELm0EEEvRKNS_6TensorESA_lllENKUlvE0_clEvENKUlvE0_clEvEUllE_St5arrayIPcLm2EEEEviT0_T1_.uses_flat_scratch, 0
	.set _ZN2at6native29vectorized_elementwise_kernelILi16EZZZNS0_12_GLOBAL__N_142_validate_compressed_sparse_indices_kernelILNS2_8CDimNameE0ENS2_18CUDAKernelLauncherENS2_14EmptyVecKernelENS2_8DummyVecELm0EEEvRKNS_6TensorESA_lllENKUlvE0_clEvENKUlvE0_clEvEUllE_St5arrayIPcLm2EEEEviT0_T1_.has_dyn_sized_stack, 0
	.set _ZN2at6native29vectorized_elementwise_kernelILi16EZZZNS0_12_GLOBAL__N_142_validate_compressed_sparse_indices_kernelILNS2_8CDimNameE0ENS2_18CUDAKernelLauncherENS2_14EmptyVecKernelENS2_8DummyVecELm0EEEvRKNS_6TensorESA_lllENKUlvE0_clEvENKUlvE0_clEvEUllE_St5arrayIPcLm2EEEEviT0_T1_.has_recursion, 0
	.set _ZN2at6native29vectorized_elementwise_kernelILi16EZZZNS0_12_GLOBAL__N_142_validate_compressed_sparse_indices_kernelILNS2_8CDimNameE0ENS2_18CUDAKernelLauncherENS2_14EmptyVecKernelENS2_8DummyVecELm0EEEvRKNS_6TensorESA_lllENKUlvE0_clEvENKUlvE0_clEvEUllE_St5arrayIPcLm2EEEEviT0_T1_.has_indirect_call, 0
	.section	.AMDGPU.csdata,"",@progbits
; Kernel info:
; codeLenInByte = 1580
; TotalNumSgprs: 30
; NumVgprs: 12
; ScratchSize: 0
; MemoryBound: 1
; FloatMode: 240
; IeeeMode: 1
; LDSByteSize: 0 bytes/workgroup (compile time only)
; SGPRBlocks: 0
; VGPRBlocks: 0
; NumSGPRsForWavesPerEU: 30
; NumVGPRsForWavesPerEU: 12
; NamedBarCnt: 0
; Occupancy: 16
; WaveLimiterHint : 0
; COMPUTE_PGM_RSRC2:SCRATCH_EN: 0
; COMPUTE_PGM_RSRC2:USER_SGPR: 2
; COMPUTE_PGM_RSRC2:TRAP_HANDLER: 0
; COMPUTE_PGM_RSRC2:TGID_X_EN: 1
; COMPUTE_PGM_RSRC2:TGID_Y_EN: 0
; COMPUTE_PGM_RSRC2:TGID_Z_EN: 0
; COMPUTE_PGM_RSRC2:TIDIG_COMP_CNT: 0
	.section	.text._ZN2at6native29vectorized_elementwise_kernelILi8EZZZNS0_12_GLOBAL__N_142_validate_compressed_sparse_indices_kernelILNS2_8CDimNameE0ENS2_18CUDAKernelLauncherENS2_14EmptyVecKernelENS2_8DummyVecELm0EEEvRKNS_6TensorESA_lllENKUlvE0_clEvENKUlvE0_clEvEUllE_St5arrayIPcLm2EEEEviT0_T1_,"axG",@progbits,_ZN2at6native29vectorized_elementwise_kernelILi8EZZZNS0_12_GLOBAL__N_142_validate_compressed_sparse_indices_kernelILNS2_8CDimNameE0ENS2_18CUDAKernelLauncherENS2_14EmptyVecKernelENS2_8DummyVecELm0EEEvRKNS_6TensorESA_lllENKUlvE0_clEvENKUlvE0_clEvEUllE_St5arrayIPcLm2EEEEviT0_T1_,comdat
	.globl	_ZN2at6native29vectorized_elementwise_kernelILi8EZZZNS0_12_GLOBAL__N_142_validate_compressed_sparse_indices_kernelILNS2_8CDimNameE0ENS2_18CUDAKernelLauncherENS2_14EmptyVecKernelENS2_8DummyVecELm0EEEvRKNS_6TensorESA_lllENKUlvE0_clEvENKUlvE0_clEvEUllE_St5arrayIPcLm2EEEEviT0_T1_ ; -- Begin function _ZN2at6native29vectorized_elementwise_kernelILi8EZZZNS0_12_GLOBAL__N_142_validate_compressed_sparse_indices_kernelILNS2_8CDimNameE0ENS2_18CUDAKernelLauncherENS2_14EmptyVecKernelENS2_8DummyVecELm0EEEvRKNS_6TensorESA_lllENKUlvE0_clEvENKUlvE0_clEvEUllE_St5arrayIPcLm2EEEEviT0_T1_
	.p2align	8
	.type	_ZN2at6native29vectorized_elementwise_kernelILi8EZZZNS0_12_GLOBAL__N_142_validate_compressed_sparse_indices_kernelILNS2_8CDimNameE0ENS2_18CUDAKernelLauncherENS2_14EmptyVecKernelENS2_8DummyVecELm0EEEvRKNS_6TensorESA_lllENKUlvE0_clEvENKUlvE0_clEvEUllE_St5arrayIPcLm2EEEEviT0_T1_,@function
_ZN2at6native29vectorized_elementwise_kernelILi8EZZZNS0_12_GLOBAL__N_142_validate_compressed_sparse_indices_kernelILNS2_8CDimNameE0ENS2_18CUDAKernelLauncherENS2_14EmptyVecKernelENS2_8DummyVecELm0EEEvRKNS_6TensorESA_lllENKUlvE0_clEvENKUlvE0_clEvEUllE_St5arrayIPcLm2EEEEviT0_T1_: ; @_ZN2at6native29vectorized_elementwise_kernelILi8EZZZNS0_12_GLOBAL__N_142_validate_compressed_sparse_indices_kernelILNS2_8CDimNameE0ENS2_18CUDAKernelLauncherENS2_14EmptyVecKernelENS2_8DummyVecELm0EEEvRKNS_6TensorESA_lllENKUlvE0_clEvENKUlvE0_clEvEUllE_St5arrayIPcLm2EEEEviT0_T1_
; %bb.0:
	s_clause 0x1
	s_load_b32 s3, s[0:1], 0x0
	s_load_b256 s[4:11], s[0:1], 0x8
	s_wait_xcnt 0x0
	s_bfe_u32 s0, ttmp6, 0x4000c
	s_and_b32 s1, ttmp6, 15
	s_add_co_i32 s0, s0, 1
	s_getreg_b32 s2, hwreg(HW_REG_IB_STS2, 6, 4)
	s_mul_i32 s0, ttmp9, s0
	s_mov_b32 s18, 0
	s_add_co_i32 s1, s1, s0
	s_cmp_eq_u32 s2, 0
	s_get_pc_i64 s[12:13]
	s_add_nc_u64 s[12:13], s[12:13], .str@rel64+4
	s_cselect_b32 s0, ttmp9, s1
	s_delay_alu instid0(SALU_CYCLE_1)
	s_lshl_b32 s2, s0, 10
	s_mov_b32 s0, -1
	s_wait_kmcnt 0x0
	s_sub_co_i32 s1, s3, s2
	s_mov_b32 s3, 0
	s_cmp_gt_i32 s1, 0x3ff
	s_cbranch_scc0 .LBB41_13
; %bb.1:
	s_cmp_eq_u64 s[12:13], 0
	s_cselect_b32 s19, -1, 0
	s_cmp_lg_u64 s[12:13], 0
	s_cbranch_scc0 .LBB41_11
; %bb.2:
	s_ashr_i32 s3, s2, 31
	v_lshlrev_b32_e32 v6, 5, v0
	s_lshl_b64 s[14:15], s[2:3], 3
	s_delay_alu instid0(SALU_CYCLE_1)
	s_add_nc_u64 s[16:17], s[10:11], s[14:15]
	global_load_b64 v[2:3], v6, s[16:17]
	s_wait_loadcnt 0x0
	v_cmp_le_i64_e32 vcc_lo, s[4:5], v[2:3]
	v_cmp_gt_i64_e64 s0, s[6:7], v[2:3]
	s_and_b32 s0, vcc_lo, s0
	s_delay_alu instid0(SALU_CYCLE_1)
	s_xor_b32 s19, s0, -1
	s_and_saveexec_b32 s3, s0
	s_cbranch_execz .LBB41_10
; %bb.3:
	v_mov_b32_e32 v7, 0
	s_delay_alu instid0(VALU_DEP_1)
	v_add_nc_u64_e32 v[10:11], s[16:17], v[6:7]
	s_clause 0x1
	global_load_b128 v[2:5], v[10:11], off offset:8
	global_load_b64 v[8:9], v[10:11], off offset:24
	s_wait_loadcnt 0x1
	v_cmp_le_i64_e32 vcc_lo, s[4:5], v[2:3]
	v_cmp_gt_i64_e64 s0, s[6:7], v[2:3]
	s_and_b32 s0, vcc_lo, s0
	s_delay_alu instid0(SALU_CYCLE_1)
	s_xor_b32 s16, s0, -1
	s_wait_xcnt 0x0
	s_and_saveexec_b32 s17, s0
	s_cbranch_execz .LBB41_9
; %bb.4:
	v_cmp_le_i64_e32 vcc_lo, s[4:5], v[4:5]
	v_cmp_gt_i64_e64 s0, s[6:7], v[4:5]
	s_mov_b32 s22, -1
	s_and_b32 s0, vcc_lo, s0
	s_delay_alu instid0(SALU_CYCLE_1)
	s_xor_b32 s20, s0, -1
	s_and_saveexec_b32 s21, s0
	s_cbranch_execz .LBB41_8
; %bb.5:
	s_wait_loadcnt 0x0
	v_cmp_le_i64_e32 vcc_lo, s[4:5], v[8:9]
	v_cmp_gt_i64_e64 s0, s[6:7], v[8:9]
	s_and_b32 s0, vcc_lo, s0
	s_delay_alu instid0(SALU_CYCLE_1) | instskip(NEXT) | instid1(SALU_CYCLE_1)
	s_and_saveexec_b32 s23, s0
	s_xor_b32 s0, exec_lo, s23
; %bb.6:
	s_mov_b32 s24, 0
	s_add_nc_u64 s[14:15], s[8:9], s[14:15]
	s_mov_b32 s25, s24
	s_mov_b32 s26, s24
	s_mov_b32 s27, s24
	v_mov_b64_e32 v[2:3], s[24:25]
	v_mov_b64_e32 v[4:5], s[26:27]
	s_xor_b32 s22, exec_lo, -1
	s_clause 0x1
	global_store_b128 v6, v[2:5], s[14:15]
	global_store_b128 v6, v[2:5], s[14:15] offset:16
; %bb.7:
	s_wait_xcnt 0x0
	s_or_b32 exec_lo, exec_lo, s0
	s_delay_alu instid0(SALU_CYCLE_1) | instskip(SKIP_1) | instid1(SALU_CYCLE_1)
	s_and_not1_b32 s0, s20, exec_lo
	s_and_b32 s14, s22, exec_lo
	s_or_b32 s20, s0, s14
.LBB41_8:
	s_or_b32 exec_lo, exec_lo, s21
	s_delay_alu instid0(SALU_CYCLE_1) | instskip(SKIP_1) | instid1(SALU_CYCLE_1)
	s_and_not1_b32 s0, s16, exec_lo
	s_and_b32 s14, s20, exec_lo
	s_or_b32 s16, s0, s14
.LBB41_9:
	s_or_b32 exec_lo, exec_lo, s17
	s_delay_alu instid0(SALU_CYCLE_1) | instskip(SKIP_1) | instid1(SALU_CYCLE_1)
	s_and_not1_b32 s0, s19, exec_lo
	s_and_b32 s14, s16, exec_lo
	s_or_b32 s19, s0, s14
.LBB41_10:
	s_or_b32 exec_lo, exec_lo, s3
.LBB41_11:
	s_mov_b32 s0, 0
	s_mov_b32 s3, 0
	s_and_saveexec_b32 s14, s19
	s_delay_alu instid0(SALU_CYCLE_1)
	s_xor_b32 s14, exec_lo, s14
	s_cbranch_execnz .LBB41_51
.LBB41_12:
	s_or_b32 exec_lo, exec_lo, s14
.LBB41_13:
	s_delay_alu instid0(SALU_CYCLE_1)
	s_and_b32 vcc_lo, exec_lo, s0
	s_cbranch_vccz .LBB41_26
; %bb.14:
	v_mov_b64_e32 v[4:5], 0
	s_wait_loadcnt 0x0
	v_mov_b64_e32 v[8:9], 0
	v_cmp_le_i32_e64 s15, s1, v0
	v_cmp_gt_i32_e64 s14, s1, v0
	v_or_b32_e32 v1, 0x100, v0
	v_mov_b32_e32 v10, v0
	s_and_saveexec_b32 s0, s14
	s_cbranch_execz .LBB41_16
; %bb.15:
	v_or_b32_e32 v2, s2, v0
	v_or_b32_e32 v10, 0x100, v0
	global_load_b64 v[8:9], v2, s[10:11] scale_offset
.LBB41_16:
	s_wait_xcnt 0x0
	s_or_b32 exec_lo, exec_lo, s0
	s_delay_alu instid0(SALU_CYCLE_1)
	s_mov_b32 s0, exec_lo
	v_cmpx_gt_i32_e64 s1, v10
	s_cbranch_execz .LBB41_18
; %bb.17:
	v_add_nc_u32_e32 v2, s2, v10
	v_add_nc_u32_e32 v10, 0x100, v10
	global_load_b64 v[4:5], v2, s[10:11] scale_offset
.LBB41_18:
	s_wait_xcnt 0x0
	s_or_b32 exec_lo, exec_lo, s0
	v_mov_b64_e32 v[2:3], 0
	v_mov_b64_e32 v[6:7], 0
	s_mov_b32 s0, exec_lo
	v_cmpx_gt_i32_e64 s1, v10
	s_cbranch_execz .LBB41_20
; %bb.19:
	v_add_nc_u32_e32 v6, s2, v10
	v_add_nc_u32_e32 v10, 0x100, v10
	global_load_b64 v[6:7], v6, s[10:11] scale_offset
.LBB41_20:
	s_wait_xcnt 0x0
	s_or_b32 exec_lo, exec_lo, s0
	s_delay_alu instid0(SALU_CYCLE_1)
	s_mov_b32 s0, exec_lo
	v_cmpx_gt_i32_e64 s1, v10
	s_cbranch_execz .LBB41_22
; %bb.21:
	v_add_nc_u32_e32 v2, s2, v10
	global_load_b64 v[2:3], v2, s[10:11] scale_offset
.LBB41_22:
	s_wait_xcnt 0x0
	s_or_b32 exec_lo, exec_lo, s0
	s_cmp_lg_u64 s[12:13], 0
	s_mov_b32 s10, 0
	s_cselect_b32 s12, -1, 0
	s_and_saveexec_b32 s11, s14
	s_cbranch_execnz .LBB41_35
; %bb.23:
	s_or_b32 exec_lo, exec_lo, s11
	s_and_saveexec_b32 s11, s15
	s_cbranch_execnz .LBB41_36
.LBB41_24:
	s_or_b32 exec_lo, exec_lo, s11
	s_and_saveexec_b32 s0, s10
	s_cbranch_execnz .LBB41_47
.LBB41_25:
	s_or_b32 exec_lo, exec_lo, s0
	s_and_saveexec_b32 s0, s3
	s_cbranch_execnz .LBB41_27
	s_branch .LBB41_28
.LBB41_26:
                                        ; implicit-def: $sgpr14
                                        ; implicit-def: $vgpr1
                                        ; implicit-def: $vgpr0
	s_and_saveexec_b32 s0, s3
.LBB41_27:
	; divergent unreachable
.LBB41_28:
	s_delay_alu instid0(SALU_CYCLE_1) | instskip(SKIP_1) | instid1(SALU_CYCLE_1)
	s_or_b32 exec_lo, exec_lo, s0
	s_and_saveexec_b32 s0, s18
	s_xor_b32 s0, exec_lo, s0
	s_cbranch_execz .LBB41_34
; %bb.29:
	s_and_saveexec_b32 s0, s14
	s_delay_alu instid0(SALU_CYCLE_1)
	s_xor_b32 s0, exec_lo, s0
	s_cbranch_execnz .LBB41_48
; %bb.30:
	s_or_b32 exec_lo, exec_lo, s0
	s_delay_alu instid0(SALU_CYCLE_1)
	s_mov_b32 s0, exec_lo
	v_cmpx_gt_i32_e64 s1, v0
	s_cbranch_execnz .LBB41_49
.LBB41_31:
	s_or_b32 exec_lo, exec_lo, s0
	s_delay_alu instid0(SALU_CYCLE_1)
	s_mov_b32 s0, exec_lo
	v_cmpx_gt_i32_e64 s1, v0
	s_cbranch_execnz .LBB41_50
.LBB41_32:
	s_or_b32 exec_lo, exec_lo, s0
	s_delay_alu instid0(SALU_CYCLE_1)
	s_mov_b32 s0, exec_lo
	v_cmpx_gt_i32_e64 s1, v0
	s_cbranch_execz .LBB41_34
.LBB41_33:
	s_wait_loadcnt 0x0
	v_mov_b64_e32 v[2:3], 0
	v_add_nc_u32_e32 v0, s2, v0
	global_store_b64 v0, v[2:3], s[8:9] scale_offset
.LBB41_34:
	s_endpgm
.LBB41_35:
	s_wait_loadcnt 0x0
	v_cmp_le_i64_e32 vcc_lo, s[4:5], v[8:9]
	v_cmp_gt_i64_e64 s0, s[6:7], v[8:9]
	s_and_not1_b32 s13, s15, exec_lo
	s_mov_b32 s10, exec_lo
	s_and_b32 s0, vcc_lo, s0
	s_delay_alu instid0(SALU_CYCLE_1) | instskip(NEXT) | instid1(SALU_CYCLE_1)
	s_and_b32 s0, s12, s0
	s_and_b32 s0, s0, exec_lo
	s_delay_alu instid0(SALU_CYCLE_1)
	s_or_b32 s15, s13, s0
	s_or_b32 exec_lo, exec_lo, s11
	s_and_saveexec_b32 s11, s15
	s_cbranch_execz .LBB41_24
.LBB41_36:
	v_cmp_le_i32_e64 s17, s1, v1
	s_mov_b32 s16, 0
	s_mov_b32 s13, 0
	s_mov_b32 s15, exec_lo
	v_cmpx_gt_i32_e64 s1, v1
	s_cbranch_execz .LBB41_38
; %bb.37:
	s_wait_loadcnt 0x0
	v_cmp_le_i64_e32 vcc_lo, s[4:5], v[4:5]
	v_cmp_gt_i64_e64 s0, s[6:7], v[4:5]
	s_and_not1_b32 s17, s17, exec_lo
	s_mov_b32 s13, exec_lo
	s_and_b32 s0, vcc_lo, s0
	s_delay_alu instid0(SALU_CYCLE_1) | instskip(NEXT) | instid1(SALU_CYCLE_1)
	s_and_b32 s0, s12, s0
	s_and_b32 s0, s0, exec_lo
	s_delay_alu instid0(SALU_CYCLE_1)
	s_or_b32 s17, s17, s0
.LBB41_38:
	s_or_b32 exec_lo, exec_lo, s15
	s_and_saveexec_b32 s15, s17
	s_cbranch_execz .LBB41_46
; %bb.39:
	s_wait_loadcnt 0x0
	v_or_b32_e32 v4, 0x200, v0
	s_mov_b32 s17, exec_lo
	s_delay_alu instid0(VALU_DEP_1)
	v_cmp_le_i32_e64 s19, s1, v4
	v_cmpx_gt_i32_e64 s1, v4
; %bb.40:
	v_cmp_le_i64_e32 vcc_lo, s[4:5], v[6:7]
	v_cmp_gt_i64_e64 s0, s[6:7], v[6:7]
	s_and_not1_b32 s19, s19, exec_lo
	s_mov_b32 s16, exec_lo
	s_and_b32 s0, vcc_lo, s0
	s_delay_alu instid0(SALU_CYCLE_1) | instskip(NEXT) | instid1(SALU_CYCLE_1)
	s_and_b32 s0, s12, s0
	s_and_b32 s0, s0, exec_lo
	s_delay_alu instid0(SALU_CYCLE_1)
	s_or_b32 s19, s19, s0
; %bb.41:
	s_or_b32 exec_lo, exec_lo, s17
	s_and_saveexec_b32 s17, s19
	s_cbranch_execz .LBB41_45
; %bb.42:
	v_or_b32_e32 v4, 0x300, v0
	s_mov_b32 s0, 0
	s_mov_b32 s19, exec_lo
	s_delay_alu instid0(VALU_DEP_1)
	v_cmp_le_i32_e64 s18, s1, v4
	v_cmpx_gt_i32_e64 s1, v4
	s_xor_b32 s19, exec_lo, s19
; %bb.43:
	v_cmp_le_i64_e32 vcc_lo, s[4:5], v[2:3]
	v_cmp_gt_i64_e64 s0, s[6:7], v[2:3]
	s_or_b32 s18, s18, exec_lo
	s_and_b32 s0, vcc_lo, s0
	s_delay_alu instid0(SALU_CYCLE_1) | instskip(NEXT) | instid1(SALU_CYCLE_1)
	s_and_b32 s0, s12, s0
	s_xor_b32 s0, s0, -1
	s_delay_alu instid0(SALU_CYCLE_1)
	s_and_b32 s0, s0, exec_lo
; %bb.44:
	s_or_b32 exec_lo, exec_lo, s19
	s_delay_alu instid0(SALU_CYCLE_1)
	s_and_not1_b32 s4, s16, exec_lo
	s_and_b32 s0, s0, exec_lo
	s_and_b32 s18, s18, exec_lo
	s_or_b32 s16, s4, s0
.LBB41_45:
	s_or_b32 exec_lo, exec_lo, s17
	s_delay_alu instid0(SALU_CYCLE_1)
	s_and_not1_b32 s0, s13, exec_lo
	s_and_b32 s4, s16, exec_lo
	s_and_b32 s16, s18, exec_lo
	s_or_b32 s13, s0, s4
.LBB41_46:
	s_or_b32 exec_lo, exec_lo, s15
	s_delay_alu instid0(SALU_CYCLE_1)
	s_and_not1_b32 s0, s10, exec_lo
	s_and_b32 s4, s13, exec_lo
	s_and_b32 s18, s16, exec_lo
	s_or_b32 s10, s0, s4
	s_or_b32 exec_lo, exec_lo, s11
	s_and_saveexec_b32 s0, s10
	s_cbranch_execz .LBB41_25
.LBB41_47:
	s_and_not1_b32 s18, s18, exec_lo
	s_or_b32 s3, s3, exec_lo
	s_trap 2
	s_or_b32 exec_lo, exec_lo, s0
	s_and_saveexec_b32 s0, s3
	s_cbranch_execnz .LBB41_27
	s_branch .LBB41_28
.LBB41_48:
	s_wait_loadcnt 0x0
	v_mov_b64_e32 v[2:3], 0
	v_dual_mov_b32 v0, v1 :: v_dual_bitop2_b32 v4, s2, v0 bitop3:0x54
	global_store_b64 v4, v[2:3], s[8:9] scale_offset
	s_wait_xcnt 0x0
	s_or_b32 exec_lo, exec_lo, s0
	s_delay_alu instid0(SALU_CYCLE_1)
	s_mov_b32 s0, exec_lo
	v_cmpx_gt_i32_e64 s1, v0
	s_cbranch_execz .LBB41_31
.LBB41_49:
	s_wait_loadcnt 0x0
	v_mov_b64_e32 v[2:3], 0
	v_add_nc_u32_e32 v1, s2, v0
	v_add_nc_u32_e32 v0, 0x100, v0
	global_store_b64 v1, v[2:3], s[8:9] scale_offset
	s_wait_xcnt 0x0
	s_or_b32 exec_lo, exec_lo, s0
	s_delay_alu instid0(SALU_CYCLE_1)
	s_mov_b32 s0, exec_lo
	v_cmpx_gt_i32_e64 s1, v0
	s_cbranch_execz .LBB41_32
.LBB41_50:
	s_wait_loadcnt 0x0
	v_mov_b64_e32 v[2:3], 0
	v_add_nc_u32_e32 v1, s2, v0
	v_add_nc_u32_e32 v0, 0x100, v0
	global_store_b64 v1, v[2:3], s[8:9] scale_offset
	s_wait_xcnt 0x0
	s_or_b32 exec_lo, exec_lo, s0
	s_delay_alu instid0(SALU_CYCLE_1)
	s_mov_b32 s0, exec_lo
	v_cmpx_gt_i32_e64 s1, v0
	s_cbranch_execnz .LBB41_33
	s_branch .LBB41_34
.LBB41_51:
	s_mov_b32 s3, exec_lo
	s_trap 2
	s_branch .LBB41_12
	.section	.rodata,"a",@progbits
	.p2align	6, 0x0
	.amdhsa_kernel _ZN2at6native29vectorized_elementwise_kernelILi8EZZZNS0_12_GLOBAL__N_142_validate_compressed_sparse_indices_kernelILNS2_8CDimNameE0ENS2_18CUDAKernelLauncherENS2_14EmptyVecKernelENS2_8DummyVecELm0EEEvRKNS_6TensorESA_lllENKUlvE0_clEvENKUlvE0_clEvEUllE_St5arrayIPcLm2EEEEviT0_T1_
		.amdhsa_group_segment_fixed_size 0
		.amdhsa_private_segment_fixed_size 0
		.amdhsa_kernarg_size 40
		.amdhsa_user_sgpr_count 2
		.amdhsa_user_sgpr_dispatch_ptr 0
		.amdhsa_user_sgpr_queue_ptr 0
		.amdhsa_user_sgpr_kernarg_segment_ptr 1
		.amdhsa_user_sgpr_dispatch_id 0
		.amdhsa_user_sgpr_kernarg_preload_length 0
		.amdhsa_user_sgpr_kernarg_preload_offset 0
		.amdhsa_user_sgpr_private_segment_size 0
		.amdhsa_wavefront_size32 1
		.amdhsa_uses_dynamic_stack 0
		.amdhsa_enable_private_segment 0
		.amdhsa_system_sgpr_workgroup_id_x 1
		.amdhsa_system_sgpr_workgroup_id_y 0
		.amdhsa_system_sgpr_workgroup_id_z 0
		.amdhsa_system_sgpr_workgroup_info 0
		.amdhsa_system_vgpr_workitem_id 0
		.amdhsa_next_free_vgpr 12
		.amdhsa_next_free_sgpr 28
		.amdhsa_named_barrier_count 0
		.amdhsa_reserve_vcc 1
		.amdhsa_float_round_mode_32 0
		.amdhsa_float_round_mode_16_64 0
		.amdhsa_float_denorm_mode_32 3
		.amdhsa_float_denorm_mode_16_64 3
		.amdhsa_fp16_overflow 0
		.amdhsa_memory_ordered 1
		.amdhsa_forward_progress 1
		.amdhsa_inst_pref_size 13
		.amdhsa_round_robin_scheduling 0
		.amdhsa_exception_fp_ieee_invalid_op 0
		.amdhsa_exception_fp_denorm_src 0
		.amdhsa_exception_fp_ieee_div_zero 0
		.amdhsa_exception_fp_ieee_overflow 0
		.amdhsa_exception_fp_ieee_underflow 0
		.amdhsa_exception_fp_ieee_inexact 0
		.amdhsa_exception_int_div_zero 0
	.end_amdhsa_kernel
	.section	.text._ZN2at6native29vectorized_elementwise_kernelILi8EZZZNS0_12_GLOBAL__N_142_validate_compressed_sparse_indices_kernelILNS2_8CDimNameE0ENS2_18CUDAKernelLauncherENS2_14EmptyVecKernelENS2_8DummyVecELm0EEEvRKNS_6TensorESA_lllENKUlvE0_clEvENKUlvE0_clEvEUllE_St5arrayIPcLm2EEEEviT0_T1_,"axG",@progbits,_ZN2at6native29vectorized_elementwise_kernelILi8EZZZNS0_12_GLOBAL__N_142_validate_compressed_sparse_indices_kernelILNS2_8CDimNameE0ENS2_18CUDAKernelLauncherENS2_14EmptyVecKernelENS2_8DummyVecELm0EEEvRKNS_6TensorESA_lllENKUlvE0_clEvENKUlvE0_clEvEUllE_St5arrayIPcLm2EEEEviT0_T1_,comdat
.Lfunc_end41:
	.size	_ZN2at6native29vectorized_elementwise_kernelILi8EZZZNS0_12_GLOBAL__N_142_validate_compressed_sparse_indices_kernelILNS2_8CDimNameE0ENS2_18CUDAKernelLauncherENS2_14EmptyVecKernelENS2_8DummyVecELm0EEEvRKNS_6TensorESA_lllENKUlvE0_clEvENKUlvE0_clEvEUllE_St5arrayIPcLm2EEEEviT0_T1_, .Lfunc_end41-_ZN2at6native29vectorized_elementwise_kernelILi8EZZZNS0_12_GLOBAL__N_142_validate_compressed_sparse_indices_kernelILNS2_8CDimNameE0ENS2_18CUDAKernelLauncherENS2_14EmptyVecKernelENS2_8DummyVecELm0EEEvRKNS_6TensorESA_lllENKUlvE0_clEvENKUlvE0_clEvEUllE_St5arrayIPcLm2EEEEviT0_T1_
                                        ; -- End function
	.set _ZN2at6native29vectorized_elementwise_kernelILi8EZZZNS0_12_GLOBAL__N_142_validate_compressed_sparse_indices_kernelILNS2_8CDimNameE0ENS2_18CUDAKernelLauncherENS2_14EmptyVecKernelENS2_8DummyVecELm0EEEvRKNS_6TensorESA_lllENKUlvE0_clEvENKUlvE0_clEvEUllE_St5arrayIPcLm2EEEEviT0_T1_.num_vgpr, 12
	.set _ZN2at6native29vectorized_elementwise_kernelILi8EZZZNS0_12_GLOBAL__N_142_validate_compressed_sparse_indices_kernelILNS2_8CDimNameE0ENS2_18CUDAKernelLauncherENS2_14EmptyVecKernelENS2_8DummyVecELm0EEEvRKNS_6TensorESA_lllENKUlvE0_clEvENKUlvE0_clEvEUllE_St5arrayIPcLm2EEEEviT0_T1_.num_agpr, 0
	.set _ZN2at6native29vectorized_elementwise_kernelILi8EZZZNS0_12_GLOBAL__N_142_validate_compressed_sparse_indices_kernelILNS2_8CDimNameE0ENS2_18CUDAKernelLauncherENS2_14EmptyVecKernelENS2_8DummyVecELm0EEEvRKNS_6TensorESA_lllENKUlvE0_clEvENKUlvE0_clEvEUllE_St5arrayIPcLm2EEEEviT0_T1_.numbered_sgpr, 28
	.set _ZN2at6native29vectorized_elementwise_kernelILi8EZZZNS0_12_GLOBAL__N_142_validate_compressed_sparse_indices_kernelILNS2_8CDimNameE0ENS2_18CUDAKernelLauncherENS2_14EmptyVecKernelENS2_8DummyVecELm0EEEvRKNS_6TensorESA_lllENKUlvE0_clEvENKUlvE0_clEvEUllE_St5arrayIPcLm2EEEEviT0_T1_.num_named_barrier, 0
	.set _ZN2at6native29vectorized_elementwise_kernelILi8EZZZNS0_12_GLOBAL__N_142_validate_compressed_sparse_indices_kernelILNS2_8CDimNameE0ENS2_18CUDAKernelLauncherENS2_14EmptyVecKernelENS2_8DummyVecELm0EEEvRKNS_6TensorESA_lllENKUlvE0_clEvENKUlvE0_clEvEUllE_St5arrayIPcLm2EEEEviT0_T1_.private_seg_size, 0
	.set _ZN2at6native29vectorized_elementwise_kernelILi8EZZZNS0_12_GLOBAL__N_142_validate_compressed_sparse_indices_kernelILNS2_8CDimNameE0ENS2_18CUDAKernelLauncherENS2_14EmptyVecKernelENS2_8DummyVecELm0EEEvRKNS_6TensorESA_lllENKUlvE0_clEvENKUlvE0_clEvEUllE_St5arrayIPcLm2EEEEviT0_T1_.uses_vcc, 1
	.set _ZN2at6native29vectorized_elementwise_kernelILi8EZZZNS0_12_GLOBAL__N_142_validate_compressed_sparse_indices_kernelILNS2_8CDimNameE0ENS2_18CUDAKernelLauncherENS2_14EmptyVecKernelENS2_8DummyVecELm0EEEvRKNS_6TensorESA_lllENKUlvE0_clEvENKUlvE0_clEvEUllE_St5arrayIPcLm2EEEEviT0_T1_.uses_flat_scratch, 0
	.set _ZN2at6native29vectorized_elementwise_kernelILi8EZZZNS0_12_GLOBAL__N_142_validate_compressed_sparse_indices_kernelILNS2_8CDimNameE0ENS2_18CUDAKernelLauncherENS2_14EmptyVecKernelENS2_8DummyVecELm0EEEvRKNS_6TensorESA_lllENKUlvE0_clEvENKUlvE0_clEvEUllE_St5arrayIPcLm2EEEEviT0_T1_.has_dyn_sized_stack, 0
	.set _ZN2at6native29vectorized_elementwise_kernelILi8EZZZNS0_12_GLOBAL__N_142_validate_compressed_sparse_indices_kernelILNS2_8CDimNameE0ENS2_18CUDAKernelLauncherENS2_14EmptyVecKernelENS2_8DummyVecELm0EEEvRKNS_6TensorESA_lllENKUlvE0_clEvENKUlvE0_clEvEUllE_St5arrayIPcLm2EEEEviT0_T1_.has_recursion, 0
	.set _ZN2at6native29vectorized_elementwise_kernelILi8EZZZNS0_12_GLOBAL__N_142_validate_compressed_sparse_indices_kernelILNS2_8CDimNameE0ENS2_18CUDAKernelLauncherENS2_14EmptyVecKernelENS2_8DummyVecELm0EEEvRKNS_6TensorESA_lllENKUlvE0_clEvENKUlvE0_clEvEUllE_St5arrayIPcLm2EEEEviT0_T1_.has_indirect_call, 0
	.section	.AMDGPU.csdata,"",@progbits
; Kernel info:
; codeLenInByte = 1580
; TotalNumSgprs: 30
; NumVgprs: 12
; ScratchSize: 0
; MemoryBound: 1
; FloatMode: 240
; IeeeMode: 1
; LDSByteSize: 0 bytes/workgroup (compile time only)
; SGPRBlocks: 0
; VGPRBlocks: 0
; NumSGPRsForWavesPerEU: 30
; NumVGPRsForWavesPerEU: 12
; NamedBarCnt: 0
; Occupancy: 16
; WaveLimiterHint : 0
; COMPUTE_PGM_RSRC2:SCRATCH_EN: 0
; COMPUTE_PGM_RSRC2:USER_SGPR: 2
; COMPUTE_PGM_RSRC2:TRAP_HANDLER: 0
; COMPUTE_PGM_RSRC2:TGID_X_EN: 1
; COMPUTE_PGM_RSRC2:TGID_Y_EN: 0
; COMPUTE_PGM_RSRC2:TGID_Z_EN: 0
; COMPUTE_PGM_RSRC2:TIDIG_COMP_CNT: 0
	.section	.text._ZN2at6native29vectorized_elementwise_kernelILi4EZZZNS0_12_GLOBAL__N_142_validate_compressed_sparse_indices_kernelILNS2_8CDimNameE0ENS2_18CUDAKernelLauncherENS2_14EmptyVecKernelENS2_8DummyVecELm0EEEvRKNS_6TensorESA_lllENKUlvE0_clEvENKUlvE0_clEvEUllE_St5arrayIPcLm2EEEEviT0_T1_,"axG",@progbits,_ZN2at6native29vectorized_elementwise_kernelILi4EZZZNS0_12_GLOBAL__N_142_validate_compressed_sparse_indices_kernelILNS2_8CDimNameE0ENS2_18CUDAKernelLauncherENS2_14EmptyVecKernelENS2_8DummyVecELm0EEEvRKNS_6TensorESA_lllENKUlvE0_clEvENKUlvE0_clEvEUllE_St5arrayIPcLm2EEEEviT0_T1_,comdat
	.globl	_ZN2at6native29vectorized_elementwise_kernelILi4EZZZNS0_12_GLOBAL__N_142_validate_compressed_sparse_indices_kernelILNS2_8CDimNameE0ENS2_18CUDAKernelLauncherENS2_14EmptyVecKernelENS2_8DummyVecELm0EEEvRKNS_6TensorESA_lllENKUlvE0_clEvENKUlvE0_clEvEUllE_St5arrayIPcLm2EEEEviT0_T1_ ; -- Begin function _ZN2at6native29vectorized_elementwise_kernelILi4EZZZNS0_12_GLOBAL__N_142_validate_compressed_sparse_indices_kernelILNS2_8CDimNameE0ENS2_18CUDAKernelLauncherENS2_14EmptyVecKernelENS2_8DummyVecELm0EEEvRKNS_6TensorESA_lllENKUlvE0_clEvENKUlvE0_clEvEUllE_St5arrayIPcLm2EEEEviT0_T1_
	.p2align	8
	.type	_ZN2at6native29vectorized_elementwise_kernelILi4EZZZNS0_12_GLOBAL__N_142_validate_compressed_sparse_indices_kernelILNS2_8CDimNameE0ENS2_18CUDAKernelLauncherENS2_14EmptyVecKernelENS2_8DummyVecELm0EEEvRKNS_6TensorESA_lllENKUlvE0_clEvENKUlvE0_clEvEUllE_St5arrayIPcLm2EEEEviT0_T1_,@function
_ZN2at6native29vectorized_elementwise_kernelILi4EZZZNS0_12_GLOBAL__N_142_validate_compressed_sparse_indices_kernelILNS2_8CDimNameE0ENS2_18CUDAKernelLauncherENS2_14EmptyVecKernelENS2_8DummyVecELm0EEEvRKNS_6TensorESA_lllENKUlvE0_clEvENKUlvE0_clEvEUllE_St5arrayIPcLm2EEEEviT0_T1_: ; @_ZN2at6native29vectorized_elementwise_kernelILi4EZZZNS0_12_GLOBAL__N_142_validate_compressed_sparse_indices_kernelILNS2_8CDimNameE0ENS2_18CUDAKernelLauncherENS2_14EmptyVecKernelENS2_8DummyVecELm0EEEvRKNS_6TensorESA_lllENKUlvE0_clEvENKUlvE0_clEvEUllE_St5arrayIPcLm2EEEEviT0_T1_
; %bb.0:
	s_clause 0x1
	s_load_b32 s3, s[0:1], 0x0
	s_load_b256 s[4:11], s[0:1], 0x8
	s_wait_xcnt 0x0
	s_bfe_u32 s0, ttmp6, 0x4000c
	s_and_b32 s1, ttmp6, 15
	s_add_co_i32 s0, s0, 1
	s_getreg_b32 s2, hwreg(HW_REG_IB_STS2, 6, 4)
	s_mul_i32 s0, ttmp9, s0
	s_mov_b32 s18, 0
	s_add_co_i32 s1, s1, s0
	s_cmp_eq_u32 s2, 0
	s_get_pc_i64 s[12:13]
	s_add_nc_u64 s[12:13], s[12:13], .str@rel64+4
	s_cselect_b32 s0, ttmp9, s1
	s_delay_alu instid0(SALU_CYCLE_1)
	s_lshl_b32 s2, s0, 10
	s_mov_b32 s0, -1
	s_wait_kmcnt 0x0
	s_sub_co_i32 s1, s3, s2
	s_mov_b32 s3, 0
	s_cmp_gt_i32 s1, 0x3ff
	s_cbranch_scc0 .LBB42_13
; %bb.1:
	s_cmp_eq_u64 s[12:13], 0
	s_cselect_b32 s19, -1, 0
	s_cmp_lg_u64 s[12:13], 0
	s_cbranch_scc0 .LBB42_11
; %bb.2:
	s_ashr_i32 s3, s2, 31
	v_lshlrev_b32_e32 v6, 5, v0
	s_lshl_b64 s[14:15], s[2:3], 3
	s_delay_alu instid0(SALU_CYCLE_1)
	s_add_nc_u64 s[16:17], s[10:11], s[14:15]
	global_load_b64 v[2:3], v6, s[16:17]
	s_wait_loadcnt 0x0
	v_cmp_le_i64_e32 vcc_lo, s[4:5], v[2:3]
	v_cmp_gt_i64_e64 s0, s[6:7], v[2:3]
	s_and_b32 s0, vcc_lo, s0
	s_delay_alu instid0(SALU_CYCLE_1)
	s_xor_b32 s19, s0, -1
	s_and_saveexec_b32 s3, s0
	s_cbranch_execz .LBB42_10
; %bb.3:
	v_mov_b32_e32 v7, 0
	s_delay_alu instid0(VALU_DEP_1)
	v_add_nc_u64_e32 v[10:11], s[16:17], v[6:7]
	s_clause 0x1
	global_load_b128 v[2:5], v[10:11], off offset:8
	global_load_b64 v[8:9], v[10:11], off offset:24
	s_wait_loadcnt 0x1
	v_cmp_le_i64_e32 vcc_lo, s[4:5], v[2:3]
	v_cmp_gt_i64_e64 s0, s[6:7], v[2:3]
	s_and_b32 s0, vcc_lo, s0
	s_delay_alu instid0(SALU_CYCLE_1)
	s_xor_b32 s16, s0, -1
	s_wait_xcnt 0x0
	s_and_saveexec_b32 s17, s0
	s_cbranch_execz .LBB42_9
; %bb.4:
	v_cmp_le_i64_e32 vcc_lo, s[4:5], v[4:5]
	v_cmp_gt_i64_e64 s0, s[6:7], v[4:5]
	s_mov_b32 s22, -1
	s_and_b32 s0, vcc_lo, s0
	s_delay_alu instid0(SALU_CYCLE_1)
	s_xor_b32 s20, s0, -1
	s_and_saveexec_b32 s21, s0
	s_cbranch_execz .LBB42_8
; %bb.5:
	s_wait_loadcnt 0x0
	v_cmp_le_i64_e32 vcc_lo, s[4:5], v[8:9]
	v_cmp_gt_i64_e64 s0, s[6:7], v[8:9]
	s_and_b32 s0, vcc_lo, s0
	s_delay_alu instid0(SALU_CYCLE_1) | instskip(NEXT) | instid1(SALU_CYCLE_1)
	s_and_saveexec_b32 s23, s0
	s_xor_b32 s0, exec_lo, s23
; %bb.6:
	s_mov_b32 s24, 0
	s_add_nc_u64 s[14:15], s[8:9], s[14:15]
	s_mov_b32 s25, s24
	s_mov_b32 s26, s24
	;; [unrolled: 1-line block ×3, first 2 shown]
	v_mov_b64_e32 v[2:3], s[24:25]
	v_mov_b64_e32 v[4:5], s[26:27]
	s_xor_b32 s22, exec_lo, -1
	s_clause 0x1
	global_store_b128 v6, v[2:5], s[14:15]
	global_store_b128 v6, v[2:5], s[14:15] offset:16
; %bb.7:
	s_wait_xcnt 0x0
	s_or_b32 exec_lo, exec_lo, s0
	s_delay_alu instid0(SALU_CYCLE_1) | instskip(SKIP_1) | instid1(SALU_CYCLE_1)
	s_and_not1_b32 s0, s20, exec_lo
	s_and_b32 s14, s22, exec_lo
	s_or_b32 s20, s0, s14
.LBB42_8:
	s_or_b32 exec_lo, exec_lo, s21
	s_delay_alu instid0(SALU_CYCLE_1) | instskip(SKIP_1) | instid1(SALU_CYCLE_1)
	s_and_not1_b32 s0, s16, exec_lo
	s_and_b32 s14, s20, exec_lo
	s_or_b32 s16, s0, s14
.LBB42_9:
	s_or_b32 exec_lo, exec_lo, s17
	s_delay_alu instid0(SALU_CYCLE_1) | instskip(SKIP_1) | instid1(SALU_CYCLE_1)
	s_and_not1_b32 s0, s19, exec_lo
	s_and_b32 s14, s16, exec_lo
	s_or_b32 s19, s0, s14
.LBB42_10:
	s_or_b32 exec_lo, exec_lo, s3
.LBB42_11:
	s_mov_b32 s0, 0
	s_mov_b32 s3, 0
	s_and_saveexec_b32 s14, s19
	s_delay_alu instid0(SALU_CYCLE_1)
	s_xor_b32 s14, exec_lo, s14
	s_cbranch_execnz .LBB42_51
.LBB42_12:
	s_or_b32 exec_lo, exec_lo, s14
.LBB42_13:
	s_delay_alu instid0(SALU_CYCLE_1)
	s_and_b32 vcc_lo, exec_lo, s0
	s_cbranch_vccz .LBB42_26
; %bb.14:
	v_mov_b64_e32 v[4:5], 0
	s_wait_loadcnt 0x0
	v_mov_b64_e32 v[8:9], 0
	v_cmp_le_i32_e64 s15, s1, v0
	v_cmp_gt_i32_e64 s14, s1, v0
	v_or_b32_e32 v1, 0x100, v0
	v_mov_b32_e32 v10, v0
	s_and_saveexec_b32 s0, s14
	s_cbranch_execz .LBB42_16
; %bb.15:
	v_or_b32_e32 v2, s2, v0
	v_or_b32_e32 v10, 0x100, v0
	global_load_b64 v[8:9], v2, s[10:11] scale_offset
.LBB42_16:
	s_wait_xcnt 0x0
	s_or_b32 exec_lo, exec_lo, s0
	s_delay_alu instid0(SALU_CYCLE_1)
	s_mov_b32 s0, exec_lo
	v_cmpx_gt_i32_e64 s1, v10
	s_cbranch_execz .LBB42_18
; %bb.17:
	v_add_nc_u32_e32 v2, s2, v10
	v_add_nc_u32_e32 v10, 0x100, v10
	global_load_b64 v[4:5], v2, s[10:11] scale_offset
.LBB42_18:
	s_wait_xcnt 0x0
	s_or_b32 exec_lo, exec_lo, s0
	v_mov_b64_e32 v[2:3], 0
	v_mov_b64_e32 v[6:7], 0
	s_mov_b32 s0, exec_lo
	v_cmpx_gt_i32_e64 s1, v10
	s_cbranch_execz .LBB42_20
; %bb.19:
	v_add_nc_u32_e32 v6, s2, v10
	v_add_nc_u32_e32 v10, 0x100, v10
	global_load_b64 v[6:7], v6, s[10:11] scale_offset
.LBB42_20:
	s_wait_xcnt 0x0
	s_or_b32 exec_lo, exec_lo, s0
	s_delay_alu instid0(SALU_CYCLE_1)
	s_mov_b32 s0, exec_lo
	v_cmpx_gt_i32_e64 s1, v10
	s_cbranch_execz .LBB42_22
; %bb.21:
	v_add_nc_u32_e32 v2, s2, v10
	global_load_b64 v[2:3], v2, s[10:11] scale_offset
.LBB42_22:
	s_wait_xcnt 0x0
	s_or_b32 exec_lo, exec_lo, s0
	s_cmp_lg_u64 s[12:13], 0
	s_mov_b32 s10, 0
	s_cselect_b32 s12, -1, 0
	s_and_saveexec_b32 s11, s14
	s_cbranch_execnz .LBB42_35
; %bb.23:
	s_or_b32 exec_lo, exec_lo, s11
	s_and_saveexec_b32 s11, s15
	s_cbranch_execnz .LBB42_36
.LBB42_24:
	s_or_b32 exec_lo, exec_lo, s11
	s_and_saveexec_b32 s0, s10
	s_cbranch_execnz .LBB42_47
.LBB42_25:
	s_or_b32 exec_lo, exec_lo, s0
	s_and_saveexec_b32 s0, s3
	s_cbranch_execnz .LBB42_27
	s_branch .LBB42_28
.LBB42_26:
                                        ; implicit-def: $sgpr14
                                        ; implicit-def: $vgpr1
                                        ; implicit-def: $vgpr0
	s_and_saveexec_b32 s0, s3
.LBB42_27:
	; divergent unreachable
.LBB42_28:
	s_delay_alu instid0(SALU_CYCLE_1) | instskip(SKIP_1) | instid1(SALU_CYCLE_1)
	s_or_b32 exec_lo, exec_lo, s0
	s_and_saveexec_b32 s0, s18
	s_xor_b32 s0, exec_lo, s0
	s_cbranch_execz .LBB42_34
; %bb.29:
	s_and_saveexec_b32 s0, s14
	s_delay_alu instid0(SALU_CYCLE_1)
	s_xor_b32 s0, exec_lo, s0
	s_cbranch_execnz .LBB42_48
; %bb.30:
	s_or_b32 exec_lo, exec_lo, s0
	s_delay_alu instid0(SALU_CYCLE_1)
	s_mov_b32 s0, exec_lo
	v_cmpx_gt_i32_e64 s1, v0
	s_cbranch_execnz .LBB42_49
.LBB42_31:
	s_or_b32 exec_lo, exec_lo, s0
	s_delay_alu instid0(SALU_CYCLE_1)
	s_mov_b32 s0, exec_lo
	v_cmpx_gt_i32_e64 s1, v0
	s_cbranch_execnz .LBB42_50
.LBB42_32:
	s_or_b32 exec_lo, exec_lo, s0
	s_delay_alu instid0(SALU_CYCLE_1)
	s_mov_b32 s0, exec_lo
	v_cmpx_gt_i32_e64 s1, v0
	s_cbranch_execz .LBB42_34
.LBB42_33:
	s_wait_loadcnt 0x0
	v_mov_b64_e32 v[2:3], 0
	v_add_nc_u32_e32 v0, s2, v0
	global_store_b64 v0, v[2:3], s[8:9] scale_offset
.LBB42_34:
	s_endpgm
.LBB42_35:
	s_wait_loadcnt 0x0
	v_cmp_le_i64_e32 vcc_lo, s[4:5], v[8:9]
	v_cmp_gt_i64_e64 s0, s[6:7], v[8:9]
	s_and_not1_b32 s13, s15, exec_lo
	s_mov_b32 s10, exec_lo
	s_and_b32 s0, vcc_lo, s0
	s_delay_alu instid0(SALU_CYCLE_1) | instskip(NEXT) | instid1(SALU_CYCLE_1)
	s_and_b32 s0, s12, s0
	s_and_b32 s0, s0, exec_lo
	s_delay_alu instid0(SALU_CYCLE_1)
	s_or_b32 s15, s13, s0
	s_or_b32 exec_lo, exec_lo, s11
	s_and_saveexec_b32 s11, s15
	s_cbranch_execz .LBB42_24
.LBB42_36:
	v_cmp_le_i32_e64 s17, s1, v1
	s_mov_b32 s16, 0
	s_mov_b32 s13, 0
	s_mov_b32 s15, exec_lo
	v_cmpx_gt_i32_e64 s1, v1
	s_cbranch_execz .LBB42_38
; %bb.37:
	s_wait_loadcnt 0x0
	v_cmp_le_i64_e32 vcc_lo, s[4:5], v[4:5]
	v_cmp_gt_i64_e64 s0, s[6:7], v[4:5]
	s_and_not1_b32 s17, s17, exec_lo
	s_mov_b32 s13, exec_lo
	s_and_b32 s0, vcc_lo, s0
	s_delay_alu instid0(SALU_CYCLE_1) | instskip(NEXT) | instid1(SALU_CYCLE_1)
	s_and_b32 s0, s12, s0
	s_and_b32 s0, s0, exec_lo
	s_delay_alu instid0(SALU_CYCLE_1)
	s_or_b32 s17, s17, s0
.LBB42_38:
	s_or_b32 exec_lo, exec_lo, s15
	s_and_saveexec_b32 s15, s17
	s_cbranch_execz .LBB42_46
; %bb.39:
	s_wait_loadcnt 0x0
	v_or_b32_e32 v4, 0x200, v0
	s_mov_b32 s17, exec_lo
	s_delay_alu instid0(VALU_DEP_1)
	v_cmp_le_i32_e64 s19, s1, v4
	v_cmpx_gt_i32_e64 s1, v4
; %bb.40:
	v_cmp_le_i64_e32 vcc_lo, s[4:5], v[6:7]
	v_cmp_gt_i64_e64 s0, s[6:7], v[6:7]
	s_and_not1_b32 s19, s19, exec_lo
	s_mov_b32 s16, exec_lo
	s_and_b32 s0, vcc_lo, s0
	s_delay_alu instid0(SALU_CYCLE_1) | instskip(NEXT) | instid1(SALU_CYCLE_1)
	s_and_b32 s0, s12, s0
	s_and_b32 s0, s0, exec_lo
	s_delay_alu instid0(SALU_CYCLE_1)
	s_or_b32 s19, s19, s0
; %bb.41:
	s_or_b32 exec_lo, exec_lo, s17
	s_and_saveexec_b32 s17, s19
	s_cbranch_execz .LBB42_45
; %bb.42:
	v_or_b32_e32 v4, 0x300, v0
	s_mov_b32 s0, 0
	s_mov_b32 s19, exec_lo
	s_delay_alu instid0(VALU_DEP_1)
	v_cmp_le_i32_e64 s18, s1, v4
	v_cmpx_gt_i32_e64 s1, v4
	s_xor_b32 s19, exec_lo, s19
; %bb.43:
	v_cmp_le_i64_e32 vcc_lo, s[4:5], v[2:3]
	v_cmp_gt_i64_e64 s0, s[6:7], v[2:3]
	s_or_b32 s18, s18, exec_lo
	s_and_b32 s0, vcc_lo, s0
	s_delay_alu instid0(SALU_CYCLE_1) | instskip(NEXT) | instid1(SALU_CYCLE_1)
	s_and_b32 s0, s12, s0
	s_xor_b32 s0, s0, -1
	s_delay_alu instid0(SALU_CYCLE_1)
	s_and_b32 s0, s0, exec_lo
; %bb.44:
	s_or_b32 exec_lo, exec_lo, s19
	s_delay_alu instid0(SALU_CYCLE_1)
	s_and_not1_b32 s4, s16, exec_lo
	s_and_b32 s0, s0, exec_lo
	s_and_b32 s18, s18, exec_lo
	s_or_b32 s16, s4, s0
.LBB42_45:
	s_or_b32 exec_lo, exec_lo, s17
	s_delay_alu instid0(SALU_CYCLE_1)
	s_and_not1_b32 s0, s13, exec_lo
	s_and_b32 s4, s16, exec_lo
	s_and_b32 s16, s18, exec_lo
	s_or_b32 s13, s0, s4
.LBB42_46:
	s_or_b32 exec_lo, exec_lo, s15
	s_delay_alu instid0(SALU_CYCLE_1)
	s_and_not1_b32 s0, s10, exec_lo
	s_and_b32 s4, s13, exec_lo
	s_and_b32 s18, s16, exec_lo
	s_or_b32 s10, s0, s4
	s_or_b32 exec_lo, exec_lo, s11
	s_and_saveexec_b32 s0, s10
	s_cbranch_execz .LBB42_25
.LBB42_47:
	s_and_not1_b32 s18, s18, exec_lo
	s_or_b32 s3, s3, exec_lo
	s_trap 2
	s_or_b32 exec_lo, exec_lo, s0
	s_and_saveexec_b32 s0, s3
	s_cbranch_execnz .LBB42_27
	s_branch .LBB42_28
.LBB42_48:
	s_wait_loadcnt 0x0
	v_mov_b64_e32 v[2:3], 0
	v_dual_mov_b32 v0, v1 :: v_dual_bitop2_b32 v4, s2, v0 bitop3:0x54
	global_store_b64 v4, v[2:3], s[8:9] scale_offset
	s_wait_xcnt 0x0
	s_or_b32 exec_lo, exec_lo, s0
	s_delay_alu instid0(SALU_CYCLE_1)
	s_mov_b32 s0, exec_lo
	v_cmpx_gt_i32_e64 s1, v0
	s_cbranch_execz .LBB42_31
.LBB42_49:
	s_wait_loadcnt 0x0
	v_mov_b64_e32 v[2:3], 0
	v_add_nc_u32_e32 v1, s2, v0
	v_add_nc_u32_e32 v0, 0x100, v0
	global_store_b64 v1, v[2:3], s[8:9] scale_offset
	s_wait_xcnt 0x0
	s_or_b32 exec_lo, exec_lo, s0
	s_delay_alu instid0(SALU_CYCLE_1)
	s_mov_b32 s0, exec_lo
	v_cmpx_gt_i32_e64 s1, v0
	s_cbranch_execz .LBB42_32
.LBB42_50:
	s_wait_loadcnt 0x0
	v_mov_b64_e32 v[2:3], 0
	v_add_nc_u32_e32 v1, s2, v0
	v_add_nc_u32_e32 v0, 0x100, v0
	global_store_b64 v1, v[2:3], s[8:9] scale_offset
	s_wait_xcnt 0x0
	s_or_b32 exec_lo, exec_lo, s0
	s_delay_alu instid0(SALU_CYCLE_1)
	s_mov_b32 s0, exec_lo
	v_cmpx_gt_i32_e64 s1, v0
	s_cbranch_execnz .LBB42_33
	s_branch .LBB42_34
.LBB42_51:
	s_mov_b32 s3, exec_lo
	s_trap 2
	s_branch .LBB42_12
	.section	.rodata,"a",@progbits
	.p2align	6, 0x0
	.amdhsa_kernel _ZN2at6native29vectorized_elementwise_kernelILi4EZZZNS0_12_GLOBAL__N_142_validate_compressed_sparse_indices_kernelILNS2_8CDimNameE0ENS2_18CUDAKernelLauncherENS2_14EmptyVecKernelENS2_8DummyVecELm0EEEvRKNS_6TensorESA_lllENKUlvE0_clEvENKUlvE0_clEvEUllE_St5arrayIPcLm2EEEEviT0_T1_
		.amdhsa_group_segment_fixed_size 0
		.amdhsa_private_segment_fixed_size 0
		.amdhsa_kernarg_size 40
		.amdhsa_user_sgpr_count 2
		.amdhsa_user_sgpr_dispatch_ptr 0
		.amdhsa_user_sgpr_queue_ptr 0
		.amdhsa_user_sgpr_kernarg_segment_ptr 1
		.amdhsa_user_sgpr_dispatch_id 0
		.amdhsa_user_sgpr_kernarg_preload_length 0
		.amdhsa_user_sgpr_kernarg_preload_offset 0
		.amdhsa_user_sgpr_private_segment_size 0
		.amdhsa_wavefront_size32 1
		.amdhsa_uses_dynamic_stack 0
		.amdhsa_enable_private_segment 0
		.amdhsa_system_sgpr_workgroup_id_x 1
		.amdhsa_system_sgpr_workgroup_id_y 0
		.amdhsa_system_sgpr_workgroup_id_z 0
		.amdhsa_system_sgpr_workgroup_info 0
		.amdhsa_system_vgpr_workitem_id 0
		.amdhsa_next_free_vgpr 12
		.amdhsa_next_free_sgpr 28
		.amdhsa_named_barrier_count 0
		.amdhsa_reserve_vcc 1
		.amdhsa_float_round_mode_32 0
		.amdhsa_float_round_mode_16_64 0
		.amdhsa_float_denorm_mode_32 3
		.amdhsa_float_denorm_mode_16_64 3
		.amdhsa_fp16_overflow 0
		.amdhsa_memory_ordered 1
		.amdhsa_forward_progress 1
		.amdhsa_inst_pref_size 13
		.amdhsa_round_robin_scheduling 0
		.amdhsa_exception_fp_ieee_invalid_op 0
		.amdhsa_exception_fp_denorm_src 0
		.amdhsa_exception_fp_ieee_div_zero 0
		.amdhsa_exception_fp_ieee_overflow 0
		.amdhsa_exception_fp_ieee_underflow 0
		.amdhsa_exception_fp_ieee_inexact 0
		.amdhsa_exception_int_div_zero 0
	.end_amdhsa_kernel
	.section	.text._ZN2at6native29vectorized_elementwise_kernelILi4EZZZNS0_12_GLOBAL__N_142_validate_compressed_sparse_indices_kernelILNS2_8CDimNameE0ENS2_18CUDAKernelLauncherENS2_14EmptyVecKernelENS2_8DummyVecELm0EEEvRKNS_6TensorESA_lllENKUlvE0_clEvENKUlvE0_clEvEUllE_St5arrayIPcLm2EEEEviT0_T1_,"axG",@progbits,_ZN2at6native29vectorized_elementwise_kernelILi4EZZZNS0_12_GLOBAL__N_142_validate_compressed_sparse_indices_kernelILNS2_8CDimNameE0ENS2_18CUDAKernelLauncherENS2_14EmptyVecKernelENS2_8DummyVecELm0EEEvRKNS_6TensorESA_lllENKUlvE0_clEvENKUlvE0_clEvEUllE_St5arrayIPcLm2EEEEviT0_T1_,comdat
.Lfunc_end42:
	.size	_ZN2at6native29vectorized_elementwise_kernelILi4EZZZNS0_12_GLOBAL__N_142_validate_compressed_sparse_indices_kernelILNS2_8CDimNameE0ENS2_18CUDAKernelLauncherENS2_14EmptyVecKernelENS2_8DummyVecELm0EEEvRKNS_6TensorESA_lllENKUlvE0_clEvENKUlvE0_clEvEUllE_St5arrayIPcLm2EEEEviT0_T1_, .Lfunc_end42-_ZN2at6native29vectorized_elementwise_kernelILi4EZZZNS0_12_GLOBAL__N_142_validate_compressed_sparse_indices_kernelILNS2_8CDimNameE0ENS2_18CUDAKernelLauncherENS2_14EmptyVecKernelENS2_8DummyVecELm0EEEvRKNS_6TensorESA_lllENKUlvE0_clEvENKUlvE0_clEvEUllE_St5arrayIPcLm2EEEEviT0_T1_
                                        ; -- End function
	.set _ZN2at6native29vectorized_elementwise_kernelILi4EZZZNS0_12_GLOBAL__N_142_validate_compressed_sparse_indices_kernelILNS2_8CDimNameE0ENS2_18CUDAKernelLauncherENS2_14EmptyVecKernelENS2_8DummyVecELm0EEEvRKNS_6TensorESA_lllENKUlvE0_clEvENKUlvE0_clEvEUllE_St5arrayIPcLm2EEEEviT0_T1_.num_vgpr, 12
	.set _ZN2at6native29vectorized_elementwise_kernelILi4EZZZNS0_12_GLOBAL__N_142_validate_compressed_sparse_indices_kernelILNS2_8CDimNameE0ENS2_18CUDAKernelLauncherENS2_14EmptyVecKernelENS2_8DummyVecELm0EEEvRKNS_6TensorESA_lllENKUlvE0_clEvENKUlvE0_clEvEUllE_St5arrayIPcLm2EEEEviT0_T1_.num_agpr, 0
	.set _ZN2at6native29vectorized_elementwise_kernelILi4EZZZNS0_12_GLOBAL__N_142_validate_compressed_sparse_indices_kernelILNS2_8CDimNameE0ENS2_18CUDAKernelLauncherENS2_14EmptyVecKernelENS2_8DummyVecELm0EEEvRKNS_6TensorESA_lllENKUlvE0_clEvENKUlvE0_clEvEUllE_St5arrayIPcLm2EEEEviT0_T1_.numbered_sgpr, 28
	.set _ZN2at6native29vectorized_elementwise_kernelILi4EZZZNS0_12_GLOBAL__N_142_validate_compressed_sparse_indices_kernelILNS2_8CDimNameE0ENS2_18CUDAKernelLauncherENS2_14EmptyVecKernelENS2_8DummyVecELm0EEEvRKNS_6TensorESA_lllENKUlvE0_clEvENKUlvE0_clEvEUllE_St5arrayIPcLm2EEEEviT0_T1_.num_named_barrier, 0
	.set _ZN2at6native29vectorized_elementwise_kernelILi4EZZZNS0_12_GLOBAL__N_142_validate_compressed_sparse_indices_kernelILNS2_8CDimNameE0ENS2_18CUDAKernelLauncherENS2_14EmptyVecKernelENS2_8DummyVecELm0EEEvRKNS_6TensorESA_lllENKUlvE0_clEvENKUlvE0_clEvEUllE_St5arrayIPcLm2EEEEviT0_T1_.private_seg_size, 0
	.set _ZN2at6native29vectorized_elementwise_kernelILi4EZZZNS0_12_GLOBAL__N_142_validate_compressed_sparse_indices_kernelILNS2_8CDimNameE0ENS2_18CUDAKernelLauncherENS2_14EmptyVecKernelENS2_8DummyVecELm0EEEvRKNS_6TensorESA_lllENKUlvE0_clEvENKUlvE0_clEvEUllE_St5arrayIPcLm2EEEEviT0_T1_.uses_vcc, 1
	.set _ZN2at6native29vectorized_elementwise_kernelILi4EZZZNS0_12_GLOBAL__N_142_validate_compressed_sparse_indices_kernelILNS2_8CDimNameE0ENS2_18CUDAKernelLauncherENS2_14EmptyVecKernelENS2_8DummyVecELm0EEEvRKNS_6TensorESA_lllENKUlvE0_clEvENKUlvE0_clEvEUllE_St5arrayIPcLm2EEEEviT0_T1_.uses_flat_scratch, 0
	.set _ZN2at6native29vectorized_elementwise_kernelILi4EZZZNS0_12_GLOBAL__N_142_validate_compressed_sparse_indices_kernelILNS2_8CDimNameE0ENS2_18CUDAKernelLauncherENS2_14EmptyVecKernelENS2_8DummyVecELm0EEEvRKNS_6TensorESA_lllENKUlvE0_clEvENKUlvE0_clEvEUllE_St5arrayIPcLm2EEEEviT0_T1_.has_dyn_sized_stack, 0
	.set _ZN2at6native29vectorized_elementwise_kernelILi4EZZZNS0_12_GLOBAL__N_142_validate_compressed_sparse_indices_kernelILNS2_8CDimNameE0ENS2_18CUDAKernelLauncherENS2_14EmptyVecKernelENS2_8DummyVecELm0EEEvRKNS_6TensorESA_lllENKUlvE0_clEvENKUlvE0_clEvEUllE_St5arrayIPcLm2EEEEviT0_T1_.has_recursion, 0
	.set _ZN2at6native29vectorized_elementwise_kernelILi4EZZZNS0_12_GLOBAL__N_142_validate_compressed_sparse_indices_kernelILNS2_8CDimNameE0ENS2_18CUDAKernelLauncherENS2_14EmptyVecKernelENS2_8DummyVecELm0EEEvRKNS_6TensorESA_lllENKUlvE0_clEvENKUlvE0_clEvEUllE_St5arrayIPcLm2EEEEviT0_T1_.has_indirect_call, 0
	.section	.AMDGPU.csdata,"",@progbits
; Kernel info:
; codeLenInByte = 1580
; TotalNumSgprs: 30
; NumVgprs: 12
; ScratchSize: 0
; MemoryBound: 1
; FloatMode: 240
; IeeeMode: 1
; LDSByteSize: 0 bytes/workgroup (compile time only)
; SGPRBlocks: 0
; VGPRBlocks: 0
; NumSGPRsForWavesPerEU: 30
; NumVGPRsForWavesPerEU: 12
; NamedBarCnt: 0
; Occupancy: 16
; WaveLimiterHint : 0
; COMPUTE_PGM_RSRC2:SCRATCH_EN: 0
; COMPUTE_PGM_RSRC2:USER_SGPR: 2
; COMPUTE_PGM_RSRC2:TRAP_HANDLER: 0
; COMPUTE_PGM_RSRC2:TGID_X_EN: 1
; COMPUTE_PGM_RSRC2:TGID_Y_EN: 0
; COMPUTE_PGM_RSRC2:TGID_Z_EN: 0
; COMPUTE_PGM_RSRC2:TIDIG_COMP_CNT: 0
	.section	.text._ZN2at6native29vectorized_elementwise_kernelILi2EZZZNS0_12_GLOBAL__N_142_validate_compressed_sparse_indices_kernelILNS2_8CDimNameE0ENS2_18CUDAKernelLauncherENS2_14EmptyVecKernelENS2_8DummyVecELm0EEEvRKNS_6TensorESA_lllENKUlvE0_clEvENKUlvE0_clEvEUllE_St5arrayIPcLm2EEEEviT0_T1_,"axG",@progbits,_ZN2at6native29vectorized_elementwise_kernelILi2EZZZNS0_12_GLOBAL__N_142_validate_compressed_sparse_indices_kernelILNS2_8CDimNameE0ENS2_18CUDAKernelLauncherENS2_14EmptyVecKernelENS2_8DummyVecELm0EEEvRKNS_6TensorESA_lllENKUlvE0_clEvENKUlvE0_clEvEUllE_St5arrayIPcLm2EEEEviT0_T1_,comdat
	.globl	_ZN2at6native29vectorized_elementwise_kernelILi2EZZZNS0_12_GLOBAL__N_142_validate_compressed_sparse_indices_kernelILNS2_8CDimNameE0ENS2_18CUDAKernelLauncherENS2_14EmptyVecKernelENS2_8DummyVecELm0EEEvRKNS_6TensorESA_lllENKUlvE0_clEvENKUlvE0_clEvEUllE_St5arrayIPcLm2EEEEviT0_T1_ ; -- Begin function _ZN2at6native29vectorized_elementwise_kernelILi2EZZZNS0_12_GLOBAL__N_142_validate_compressed_sparse_indices_kernelILNS2_8CDimNameE0ENS2_18CUDAKernelLauncherENS2_14EmptyVecKernelENS2_8DummyVecELm0EEEvRKNS_6TensorESA_lllENKUlvE0_clEvENKUlvE0_clEvEUllE_St5arrayIPcLm2EEEEviT0_T1_
	.p2align	8
	.type	_ZN2at6native29vectorized_elementwise_kernelILi2EZZZNS0_12_GLOBAL__N_142_validate_compressed_sparse_indices_kernelILNS2_8CDimNameE0ENS2_18CUDAKernelLauncherENS2_14EmptyVecKernelENS2_8DummyVecELm0EEEvRKNS_6TensorESA_lllENKUlvE0_clEvENKUlvE0_clEvEUllE_St5arrayIPcLm2EEEEviT0_T1_,@function
_ZN2at6native29vectorized_elementwise_kernelILi2EZZZNS0_12_GLOBAL__N_142_validate_compressed_sparse_indices_kernelILNS2_8CDimNameE0ENS2_18CUDAKernelLauncherENS2_14EmptyVecKernelENS2_8DummyVecELm0EEEvRKNS_6TensorESA_lllENKUlvE0_clEvENKUlvE0_clEvEUllE_St5arrayIPcLm2EEEEviT0_T1_: ; @_ZN2at6native29vectorized_elementwise_kernelILi2EZZZNS0_12_GLOBAL__N_142_validate_compressed_sparse_indices_kernelILNS2_8CDimNameE0ENS2_18CUDAKernelLauncherENS2_14EmptyVecKernelENS2_8DummyVecELm0EEEvRKNS_6TensorESA_lllENKUlvE0_clEvENKUlvE0_clEvEUllE_St5arrayIPcLm2EEEEviT0_T1_
; %bb.0:
	s_clause 0x1
	s_load_b32 s3, s[0:1], 0x0
	s_load_b256 s[4:11], s[0:1], 0x8
	s_wait_xcnt 0x0
	s_bfe_u32 s0, ttmp6, 0x4000c
	s_and_b32 s1, ttmp6, 15
	s_add_co_i32 s0, s0, 1
	s_getreg_b32 s2, hwreg(HW_REG_IB_STS2, 6, 4)
	s_mul_i32 s0, ttmp9, s0
	s_mov_b32 s18, 0
	s_add_co_i32 s1, s1, s0
	s_cmp_eq_u32 s2, 0
	s_get_pc_i64 s[12:13]
	s_add_nc_u64 s[12:13], s[12:13], .str@rel64+4
	s_cselect_b32 s0, ttmp9, s1
	s_delay_alu instid0(SALU_CYCLE_1)
	s_lshl_b32 s2, s0, 10
	s_mov_b32 s0, -1
	s_wait_kmcnt 0x0
	s_sub_co_i32 s1, s3, s2
	s_mov_b32 s3, 0
	s_cmp_gt_i32 s1, 0x3ff
	s_cbranch_scc0 .LBB43_13
; %bb.1:
	s_cmp_eq_u64 s[12:13], 0
	s_cselect_b32 s19, -1, 0
	s_cmp_lg_u64 s[12:13], 0
	s_cbranch_scc0 .LBB43_11
; %bb.2:
	s_ashr_i32 s3, s2, 31
	v_lshlrev_b32_e32 v2, 4, v0
	s_lshl_b64 s[14:15], s[2:3], 3
	s_delay_alu instid0(SALU_CYCLE_1)
	s_add_nc_u64 s[16:17], s[10:11], s[14:15]
	global_load_b64 v[4:5], v2, s[16:17]
	s_wait_loadcnt 0x0
	v_cmp_le_i64_e32 vcc_lo, s[4:5], v[4:5]
	v_cmp_gt_i64_e64 s0, s[6:7], v[4:5]
	s_and_b32 s0, vcc_lo, s0
	s_delay_alu instid0(SALU_CYCLE_1)
	s_xor_b32 s19, s0, -1
	s_and_saveexec_b32 s3, s0
	s_cbranch_execz .LBB43_10
; %bb.3:
	v_mov_b32_e32 v3, 0
	s_delay_alu instid0(VALU_DEP_1)
	v_add_nc_u64_e32 v[2:3], s[16:17], v[2:3]
	global_load_b64 v[4:5], v[2:3], off offset:8
	s_wait_loadcnt 0x0
	v_cmp_le_i64_e32 vcc_lo, s[4:5], v[4:5]
	v_cmp_gt_i64_e64 s0, s[6:7], v[4:5]
	s_and_b32 s0, vcc_lo, s0
	s_delay_alu instid0(SALU_CYCLE_1)
	s_xor_b32 s16, s0, -1
	s_and_saveexec_b32 s17, s0
	s_cbranch_execz .LBB43_9
; %bb.4:
	global_load_b128 v[2:5], v[2:3], off offset:4096
	s_mov_b32 s22, -1
	s_wait_loadcnt 0x0
	v_cmp_le_i64_e32 vcc_lo, s[4:5], v[2:3]
	v_cmp_gt_i64_e64 s0, s[6:7], v[2:3]
	s_and_b32 s0, vcc_lo, s0
	s_delay_alu instid0(SALU_CYCLE_1)
	s_xor_b32 s20, s0, -1
	s_and_saveexec_b32 s21, s0
	s_cbranch_execz .LBB43_8
; %bb.5:
	v_cmp_le_i64_e32 vcc_lo, s[4:5], v[4:5]
	v_cmp_gt_i64_e64 s0, s[6:7], v[4:5]
	s_and_b32 s0, vcc_lo, s0
	s_delay_alu instid0(SALU_CYCLE_1) | instskip(NEXT) | instid1(SALU_CYCLE_1)
	s_and_saveexec_b32 s23, s0
	s_xor_b32 s0, exec_lo, s23
; %bb.6:
	s_mov_b32 s24, 0
	s_add_nc_u64 s[14:15], s[8:9], s[14:15]
	s_mov_b32 s25, s24
	s_mov_b32 s26, s24
	;; [unrolled: 1-line block ×3, first 2 shown]
	v_mov_b64_e32 v[2:3], s[24:25]
	v_mov_b64_e32 v[4:5], s[26:27]
	s_xor_b32 s22, exec_lo, -1
	s_clause 0x1
	global_store_b128 v0, v[2:5], s[14:15] scale_offset
	global_store_b128 v0, v[2:5], s[14:15] offset:4096 scale_offset
; %bb.7:
	s_wait_xcnt 0x0
	s_or_b32 exec_lo, exec_lo, s0
	s_delay_alu instid0(SALU_CYCLE_1) | instskip(SKIP_1) | instid1(SALU_CYCLE_1)
	s_and_not1_b32 s0, s20, exec_lo
	s_and_b32 s14, s22, exec_lo
	s_or_b32 s20, s0, s14
.LBB43_8:
	s_or_b32 exec_lo, exec_lo, s21
	s_delay_alu instid0(SALU_CYCLE_1) | instskip(SKIP_1) | instid1(SALU_CYCLE_1)
	s_and_not1_b32 s0, s16, exec_lo
	s_and_b32 s14, s20, exec_lo
	s_or_b32 s16, s0, s14
.LBB43_9:
	s_or_b32 exec_lo, exec_lo, s17
	s_delay_alu instid0(SALU_CYCLE_1) | instskip(SKIP_1) | instid1(SALU_CYCLE_1)
	s_and_not1_b32 s0, s19, exec_lo
	s_and_b32 s14, s16, exec_lo
	s_or_b32 s19, s0, s14
.LBB43_10:
	s_or_b32 exec_lo, exec_lo, s3
.LBB43_11:
	s_mov_b32 s0, 0
	s_mov_b32 s3, 0
	s_and_saveexec_b32 s14, s19
	s_delay_alu instid0(SALU_CYCLE_1)
	s_xor_b32 s14, exec_lo, s14
	s_cbranch_execnz .LBB43_51
.LBB43_12:
	s_or_b32 exec_lo, exec_lo, s14
.LBB43_13:
	s_delay_alu instid0(SALU_CYCLE_1)
	s_and_b32 vcc_lo, exec_lo, s0
	s_cbranch_vccz .LBB43_26
; %bb.14:
	v_mov_b64_e32 v[4:5], 0
	v_mov_b64_e32 v[8:9], 0
	v_cmp_le_i32_e64 s15, s1, v0
	v_cmp_gt_i32_e64 s14, s1, v0
	v_or_b32_e32 v1, 0x100, v0
	v_mov_b32_e32 v10, v0
	s_and_saveexec_b32 s0, s14
	s_cbranch_execz .LBB43_16
; %bb.15:
	v_or_b32_e32 v2, s2, v0
	v_or_b32_e32 v10, 0x100, v0
	global_load_b64 v[8:9], v2, s[10:11] scale_offset
.LBB43_16:
	s_wait_xcnt 0x0
	s_or_b32 exec_lo, exec_lo, s0
	s_delay_alu instid0(SALU_CYCLE_1)
	s_mov_b32 s0, exec_lo
	v_cmpx_gt_i32_e64 s1, v10
	s_cbranch_execz .LBB43_18
; %bb.17:
	v_add_nc_u32_e32 v2, s2, v10
	v_add_nc_u32_e32 v10, 0x100, v10
	global_load_b64 v[4:5], v2, s[10:11] scale_offset
.LBB43_18:
	s_wait_xcnt 0x0
	s_or_b32 exec_lo, exec_lo, s0
	v_mov_b64_e32 v[2:3], 0
	v_mov_b64_e32 v[6:7], 0
	s_mov_b32 s0, exec_lo
	v_cmpx_gt_i32_e64 s1, v10
	s_cbranch_execz .LBB43_20
; %bb.19:
	v_add_nc_u32_e32 v6, s2, v10
	v_add_nc_u32_e32 v10, 0x100, v10
	global_load_b64 v[6:7], v6, s[10:11] scale_offset
.LBB43_20:
	s_wait_xcnt 0x0
	s_or_b32 exec_lo, exec_lo, s0
	s_delay_alu instid0(SALU_CYCLE_1)
	s_mov_b32 s0, exec_lo
	v_cmpx_gt_i32_e64 s1, v10
	s_cbranch_execz .LBB43_22
; %bb.21:
	v_add_nc_u32_e32 v2, s2, v10
	global_load_b64 v[2:3], v2, s[10:11] scale_offset
.LBB43_22:
	s_wait_xcnt 0x0
	s_or_b32 exec_lo, exec_lo, s0
	s_cmp_lg_u64 s[12:13], 0
	s_mov_b32 s10, 0
	s_cselect_b32 s12, -1, 0
	s_and_saveexec_b32 s11, s14
	s_cbranch_execnz .LBB43_35
; %bb.23:
	s_or_b32 exec_lo, exec_lo, s11
	s_and_saveexec_b32 s11, s15
	s_cbranch_execnz .LBB43_36
.LBB43_24:
	s_or_b32 exec_lo, exec_lo, s11
	s_and_saveexec_b32 s0, s10
	s_cbranch_execnz .LBB43_47
.LBB43_25:
	s_or_b32 exec_lo, exec_lo, s0
	s_and_saveexec_b32 s0, s3
	s_cbranch_execnz .LBB43_27
	s_branch .LBB43_28
.LBB43_26:
                                        ; implicit-def: $sgpr14
                                        ; implicit-def: $vgpr1
                                        ; implicit-def: $vgpr0
	s_and_saveexec_b32 s0, s3
.LBB43_27:
	; divergent unreachable
.LBB43_28:
	s_delay_alu instid0(SALU_CYCLE_1) | instskip(SKIP_1) | instid1(SALU_CYCLE_1)
	s_or_b32 exec_lo, exec_lo, s0
	s_and_saveexec_b32 s0, s18
	s_xor_b32 s0, exec_lo, s0
	s_cbranch_execz .LBB43_34
; %bb.29:
	s_and_saveexec_b32 s0, s14
	s_delay_alu instid0(SALU_CYCLE_1)
	s_xor_b32 s0, exec_lo, s0
	s_cbranch_execnz .LBB43_48
; %bb.30:
	s_or_b32 exec_lo, exec_lo, s0
	s_delay_alu instid0(SALU_CYCLE_1)
	s_mov_b32 s0, exec_lo
	v_cmpx_gt_i32_e64 s1, v0
	s_cbranch_execnz .LBB43_49
.LBB43_31:
	s_or_b32 exec_lo, exec_lo, s0
	s_delay_alu instid0(SALU_CYCLE_1)
	s_mov_b32 s0, exec_lo
	v_cmpx_gt_i32_e64 s1, v0
	s_cbranch_execnz .LBB43_50
.LBB43_32:
	s_or_b32 exec_lo, exec_lo, s0
	s_delay_alu instid0(SALU_CYCLE_1)
	s_mov_b32 s0, exec_lo
	v_cmpx_gt_i32_e64 s1, v0
	s_cbranch_execz .LBB43_34
.LBB43_33:
	s_wait_loadcnt 0x0
	v_mov_b64_e32 v[2:3], 0
	v_add_nc_u32_e32 v0, s2, v0
	global_store_b64 v0, v[2:3], s[8:9] scale_offset
.LBB43_34:
	s_endpgm
.LBB43_35:
	s_wait_loadcnt 0x0
	v_cmp_le_i64_e32 vcc_lo, s[4:5], v[8:9]
	v_cmp_gt_i64_e64 s0, s[6:7], v[8:9]
	s_and_not1_b32 s13, s15, exec_lo
	s_mov_b32 s10, exec_lo
	s_and_b32 s0, vcc_lo, s0
	s_delay_alu instid0(SALU_CYCLE_1) | instskip(NEXT) | instid1(SALU_CYCLE_1)
	s_and_b32 s0, s12, s0
	s_and_b32 s0, s0, exec_lo
	s_delay_alu instid0(SALU_CYCLE_1)
	s_or_b32 s15, s13, s0
	s_or_b32 exec_lo, exec_lo, s11
	s_and_saveexec_b32 s11, s15
	s_cbranch_execz .LBB43_24
.LBB43_36:
	v_cmp_le_i32_e64 s17, s1, v1
	s_mov_b32 s16, 0
	s_mov_b32 s13, 0
	s_mov_b32 s15, exec_lo
	v_cmpx_gt_i32_e64 s1, v1
	s_cbranch_execz .LBB43_38
; %bb.37:
	s_wait_loadcnt 0x0
	v_cmp_le_i64_e32 vcc_lo, s[4:5], v[4:5]
	v_cmp_gt_i64_e64 s0, s[6:7], v[4:5]
	s_and_not1_b32 s17, s17, exec_lo
	s_mov_b32 s13, exec_lo
	s_and_b32 s0, vcc_lo, s0
	s_delay_alu instid0(SALU_CYCLE_1) | instskip(NEXT) | instid1(SALU_CYCLE_1)
	s_and_b32 s0, s12, s0
	s_and_b32 s0, s0, exec_lo
	s_delay_alu instid0(SALU_CYCLE_1)
	s_or_b32 s17, s17, s0
.LBB43_38:
	s_or_b32 exec_lo, exec_lo, s15
	s_and_saveexec_b32 s15, s17
	s_cbranch_execz .LBB43_46
; %bb.39:
	s_wait_loadcnt 0x0
	v_or_b32_e32 v4, 0x200, v0
	s_mov_b32 s17, exec_lo
	s_delay_alu instid0(VALU_DEP_1)
	v_cmp_le_i32_e64 s19, s1, v4
	v_cmpx_gt_i32_e64 s1, v4
; %bb.40:
	v_cmp_le_i64_e32 vcc_lo, s[4:5], v[6:7]
	v_cmp_gt_i64_e64 s0, s[6:7], v[6:7]
	s_and_not1_b32 s19, s19, exec_lo
	s_mov_b32 s16, exec_lo
	s_and_b32 s0, vcc_lo, s0
	s_delay_alu instid0(SALU_CYCLE_1) | instskip(NEXT) | instid1(SALU_CYCLE_1)
	s_and_b32 s0, s12, s0
	s_and_b32 s0, s0, exec_lo
	s_delay_alu instid0(SALU_CYCLE_1)
	s_or_b32 s19, s19, s0
; %bb.41:
	s_or_b32 exec_lo, exec_lo, s17
	s_and_saveexec_b32 s17, s19
	s_cbranch_execz .LBB43_45
; %bb.42:
	v_or_b32_e32 v4, 0x300, v0
	s_mov_b32 s0, 0
	s_mov_b32 s19, exec_lo
	s_delay_alu instid0(VALU_DEP_1)
	v_cmp_le_i32_e64 s18, s1, v4
	v_cmpx_gt_i32_e64 s1, v4
	s_xor_b32 s19, exec_lo, s19
; %bb.43:
	v_cmp_le_i64_e32 vcc_lo, s[4:5], v[2:3]
	v_cmp_gt_i64_e64 s0, s[6:7], v[2:3]
	s_or_b32 s18, s18, exec_lo
	s_and_b32 s0, vcc_lo, s0
	s_delay_alu instid0(SALU_CYCLE_1) | instskip(NEXT) | instid1(SALU_CYCLE_1)
	s_and_b32 s0, s12, s0
	s_xor_b32 s0, s0, -1
	s_delay_alu instid0(SALU_CYCLE_1)
	s_and_b32 s0, s0, exec_lo
; %bb.44:
	s_or_b32 exec_lo, exec_lo, s19
	s_delay_alu instid0(SALU_CYCLE_1)
	s_and_not1_b32 s4, s16, exec_lo
	s_and_b32 s0, s0, exec_lo
	s_and_b32 s18, s18, exec_lo
	s_or_b32 s16, s4, s0
.LBB43_45:
	s_or_b32 exec_lo, exec_lo, s17
	s_delay_alu instid0(SALU_CYCLE_1)
	s_and_not1_b32 s0, s13, exec_lo
	s_and_b32 s4, s16, exec_lo
	s_and_b32 s16, s18, exec_lo
	s_or_b32 s13, s0, s4
.LBB43_46:
	s_or_b32 exec_lo, exec_lo, s15
	s_delay_alu instid0(SALU_CYCLE_1)
	s_and_not1_b32 s0, s10, exec_lo
	s_and_b32 s4, s13, exec_lo
	s_and_b32 s18, s16, exec_lo
	s_or_b32 s10, s0, s4
	s_or_b32 exec_lo, exec_lo, s11
	s_and_saveexec_b32 s0, s10
	s_cbranch_execz .LBB43_25
.LBB43_47:
	s_and_not1_b32 s18, s18, exec_lo
	s_or_b32 s3, s3, exec_lo
	s_trap 2
	s_or_b32 exec_lo, exec_lo, s0
	s_and_saveexec_b32 s0, s3
	s_cbranch_execnz .LBB43_27
	s_branch .LBB43_28
.LBB43_48:
	s_wait_loadcnt 0x0
	v_mov_b64_e32 v[2:3], 0
	v_dual_mov_b32 v0, v1 :: v_dual_bitop2_b32 v4, s2, v0 bitop3:0x54
	global_store_b64 v4, v[2:3], s[8:9] scale_offset
	s_wait_xcnt 0x0
	s_or_b32 exec_lo, exec_lo, s0
	s_delay_alu instid0(SALU_CYCLE_1)
	s_mov_b32 s0, exec_lo
	v_cmpx_gt_i32_e64 s1, v0
	s_cbranch_execz .LBB43_31
.LBB43_49:
	s_wait_loadcnt 0x0
	v_mov_b64_e32 v[2:3], 0
	v_add_nc_u32_e32 v1, s2, v0
	v_add_nc_u32_e32 v0, 0x100, v0
	global_store_b64 v1, v[2:3], s[8:9] scale_offset
	s_wait_xcnt 0x0
	s_or_b32 exec_lo, exec_lo, s0
	s_delay_alu instid0(SALU_CYCLE_1)
	s_mov_b32 s0, exec_lo
	v_cmpx_gt_i32_e64 s1, v0
	s_cbranch_execz .LBB43_32
.LBB43_50:
	s_wait_loadcnt 0x0
	v_mov_b64_e32 v[2:3], 0
	v_add_nc_u32_e32 v1, s2, v0
	v_add_nc_u32_e32 v0, 0x100, v0
	global_store_b64 v1, v[2:3], s[8:9] scale_offset
	s_wait_xcnt 0x0
	s_or_b32 exec_lo, exec_lo, s0
	s_delay_alu instid0(SALU_CYCLE_1)
	s_mov_b32 s0, exec_lo
	v_cmpx_gt_i32_e64 s1, v0
	s_cbranch_execnz .LBB43_33
	s_branch .LBB43_34
.LBB43_51:
	s_mov_b32 s3, exec_lo
	s_trap 2
	s_branch .LBB43_12
	.section	.rodata,"a",@progbits
	.p2align	6, 0x0
	.amdhsa_kernel _ZN2at6native29vectorized_elementwise_kernelILi2EZZZNS0_12_GLOBAL__N_142_validate_compressed_sparse_indices_kernelILNS2_8CDimNameE0ENS2_18CUDAKernelLauncherENS2_14EmptyVecKernelENS2_8DummyVecELm0EEEvRKNS_6TensorESA_lllENKUlvE0_clEvENKUlvE0_clEvEUllE_St5arrayIPcLm2EEEEviT0_T1_
		.amdhsa_group_segment_fixed_size 0
		.amdhsa_private_segment_fixed_size 0
		.amdhsa_kernarg_size 40
		.amdhsa_user_sgpr_count 2
		.amdhsa_user_sgpr_dispatch_ptr 0
		.amdhsa_user_sgpr_queue_ptr 0
		.amdhsa_user_sgpr_kernarg_segment_ptr 1
		.amdhsa_user_sgpr_dispatch_id 0
		.amdhsa_user_sgpr_kernarg_preload_length 0
		.amdhsa_user_sgpr_kernarg_preload_offset 0
		.amdhsa_user_sgpr_private_segment_size 0
		.amdhsa_wavefront_size32 1
		.amdhsa_uses_dynamic_stack 0
		.amdhsa_enable_private_segment 0
		.amdhsa_system_sgpr_workgroup_id_x 1
		.amdhsa_system_sgpr_workgroup_id_y 0
		.amdhsa_system_sgpr_workgroup_id_z 0
		.amdhsa_system_sgpr_workgroup_info 0
		.amdhsa_system_vgpr_workitem_id 0
		.amdhsa_next_free_vgpr 11
		.amdhsa_next_free_sgpr 28
		.amdhsa_named_barrier_count 0
		.amdhsa_reserve_vcc 1
		.amdhsa_float_round_mode_32 0
		.amdhsa_float_round_mode_16_64 0
		.amdhsa_float_denorm_mode_32 3
		.amdhsa_float_denorm_mode_16_64 3
		.amdhsa_fp16_overflow 0
		.amdhsa_memory_ordered 1
		.amdhsa_forward_progress 1
		.amdhsa_inst_pref_size 13
		.amdhsa_round_robin_scheduling 0
		.amdhsa_exception_fp_ieee_invalid_op 0
		.amdhsa_exception_fp_denorm_src 0
		.amdhsa_exception_fp_ieee_div_zero 0
		.amdhsa_exception_fp_ieee_overflow 0
		.amdhsa_exception_fp_ieee_underflow 0
		.amdhsa_exception_fp_ieee_inexact 0
		.amdhsa_exception_int_div_zero 0
	.end_amdhsa_kernel
	.section	.text._ZN2at6native29vectorized_elementwise_kernelILi2EZZZNS0_12_GLOBAL__N_142_validate_compressed_sparse_indices_kernelILNS2_8CDimNameE0ENS2_18CUDAKernelLauncherENS2_14EmptyVecKernelENS2_8DummyVecELm0EEEvRKNS_6TensorESA_lllENKUlvE0_clEvENKUlvE0_clEvEUllE_St5arrayIPcLm2EEEEviT0_T1_,"axG",@progbits,_ZN2at6native29vectorized_elementwise_kernelILi2EZZZNS0_12_GLOBAL__N_142_validate_compressed_sparse_indices_kernelILNS2_8CDimNameE0ENS2_18CUDAKernelLauncherENS2_14EmptyVecKernelENS2_8DummyVecELm0EEEvRKNS_6TensorESA_lllENKUlvE0_clEvENKUlvE0_clEvEUllE_St5arrayIPcLm2EEEEviT0_T1_,comdat
.Lfunc_end43:
	.size	_ZN2at6native29vectorized_elementwise_kernelILi2EZZZNS0_12_GLOBAL__N_142_validate_compressed_sparse_indices_kernelILNS2_8CDimNameE0ENS2_18CUDAKernelLauncherENS2_14EmptyVecKernelENS2_8DummyVecELm0EEEvRKNS_6TensorESA_lllENKUlvE0_clEvENKUlvE0_clEvEUllE_St5arrayIPcLm2EEEEviT0_T1_, .Lfunc_end43-_ZN2at6native29vectorized_elementwise_kernelILi2EZZZNS0_12_GLOBAL__N_142_validate_compressed_sparse_indices_kernelILNS2_8CDimNameE0ENS2_18CUDAKernelLauncherENS2_14EmptyVecKernelENS2_8DummyVecELm0EEEvRKNS_6TensorESA_lllENKUlvE0_clEvENKUlvE0_clEvEUllE_St5arrayIPcLm2EEEEviT0_T1_
                                        ; -- End function
	.set _ZN2at6native29vectorized_elementwise_kernelILi2EZZZNS0_12_GLOBAL__N_142_validate_compressed_sparse_indices_kernelILNS2_8CDimNameE0ENS2_18CUDAKernelLauncherENS2_14EmptyVecKernelENS2_8DummyVecELm0EEEvRKNS_6TensorESA_lllENKUlvE0_clEvENKUlvE0_clEvEUllE_St5arrayIPcLm2EEEEviT0_T1_.num_vgpr, 11
	.set _ZN2at6native29vectorized_elementwise_kernelILi2EZZZNS0_12_GLOBAL__N_142_validate_compressed_sparse_indices_kernelILNS2_8CDimNameE0ENS2_18CUDAKernelLauncherENS2_14EmptyVecKernelENS2_8DummyVecELm0EEEvRKNS_6TensorESA_lllENKUlvE0_clEvENKUlvE0_clEvEUllE_St5arrayIPcLm2EEEEviT0_T1_.num_agpr, 0
	.set _ZN2at6native29vectorized_elementwise_kernelILi2EZZZNS0_12_GLOBAL__N_142_validate_compressed_sparse_indices_kernelILNS2_8CDimNameE0ENS2_18CUDAKernelLauncherENS2_14EmptyVecKernelENS2_8DummyVecELm0EEEvRKNS_6TensorESA_lllENKUlvE0_clEvENKUlvE0_clEvEUllE_St5arrayIPcLm2EEEEviT0_T1_.numbered_sgpr, 28
	.set _ZN2at6native29vectorized_elementwise_kernelILi2EZZZNS0_12_GLOBAL__N_142_validate_compressed_sparse_indices_kernelILNS2_8CDimNameE0ENS2_18CUDAKernelLauncherENS2_14EmptyVecKernelENS2_8DummyVecELm0EEEvRKNS_6TensorESA_lllENKUlvE0_clEvENKUlvE0_clEvEUllE_St5arrayIPcLm2EEEEviT0_T1_.num_named_barrier, 0
	.set _ZN2at6native29vectorized_elementwise_kernelILi2EZZZNS0_12_GLOBAL__N_142_validate_compressed_sparse_indices_kernelILNS2_8CDimNameE0ENS2_18CUDAKernelLauncherENS2_14EmptyVecKernelENS2_8DummyVecELm0EEEvRKNS_6TensorESA_lllENKUlvE0_clEvENKUlvE0_clEvEUllE_St5arrayIPcLm2EEEEviT0_T1_.private_seg_size, 0
	.set _ZN2at6native29vectorized_elementwise_kernelILi2EZZZNS0_12_GLOBAL__N_142_validate_compressed_sparse_indices_kernelILNS2_8CDimNameE0ENS2_18CUDAKernelLauncherENS2_14EmptyVecKernelENS2_8DummyVecELm0EEEvRKNS_6TensorESA_lllENKUlvE0_clEvENKUlvE0_clEvEUllE_St5arrayIPcLm2EEEEviT0_T1_.uses_vcc, 1
	.set _ZN2at6native29vectorized_elementwise_kernelILi2EZZZNS0_12_GLOBAL__N_142_validate_compressed_sparse_indices_kernelILNS2_8CDimNameE0ENS2_18CUDAKernelLauncherENS2_14EmptyVecKernelENS2_8DummyVecELm0EEEvRKNS_6TensorESA_lllENKUlvE0_clEvENKUlvE0_clEvEUllE_St5arrayIPcLm2EEEEviT0_T1_.uses_flat_scratch, 0
	.set _ZN2at6native29vectorized_elementwise_kernelILi2EZZZNS0_12_GLOBAL__N_142_validate_compressed_sparse_indices_kernelILNS2_8CDimNameE0ENS2_18CUDAKernelLauncherENS2_14EmptyVecKernelENS2_8DummyVecELm0EEEvRKNS_6TensorESA_lllENKUlvE0_clEvENKUlvE0_clEvEUllE_St5arrayIPcLm2EEEEviT0_T1_.has_dyn_sized_stack, 0
	.set _ZN2at6native29vectorized_elementwise_kernelILi2EZZZNS0_12_GLOBAL__N_142_validate_compressed_sparse_indices_kernelILNS2_8CDimNameE0ENS2_18CUDAKernelLauncherENS2_14EmptyVecKernelENS2_8DummyVecELm0EEEvRKNS_6TensorESA_lllENKUlvE0_clEvENKUlvE0_clEvEUllE_St5arrayIPcLm2EEEEviT0_T1_.has_recursion, 0
	.set _ZN2at6native29vectorized_elementwise_kernelILi2EZZZNS0_12_GLOBAL__N_142_validate_compressed_sparse_indices_kernelILNS2_8CDimNameE0ENS2_18CUDAKernelLauncherENS2_14EmptyVecKernelENS2_8DummyVecELm0EEEvRKNS_6TensorESA_lllENKUlvE0_clEvENKUlvE0_clEvEUllE_St5arrayIPcLm2EEEEviT0_T1_.has_indirect_call, 0
	.section	.AMDGPU.csdata,"",@progbits
; Kernel info:
; codeLenInByte = 1568
; TotalNumSgprs: 30
; NumVgprs: 11
; ScratchSize: 0
; MemoryBound: 0
; FloatMode: 240
; IeeeMode: 1
; LDSByteSize: 0 bytes/workgroup (compile time only)
; SGPRBlocks: 0
; VGPRBlocks: 0
; NumSGPRsForWavesPerEU: 30
; NumVGPRsForWavesPerEU: 11
; NamedBarCnt: 0
; Occupancy: 16
; WaveLimiterHint : 1
; COMPUTE_PGM_RSRC2:SCRATCH_EN: 0
; COMPUTE_PGM_RSRC2:USER_SGPR: 2
; COMPUTE_PGM_RSRC2:TRAP_HANDLER: 0
; COMPUTE_PGM_RSRC2:TGID_X_EN: 1
; COMPUTE_PGM_RSRC2:TGID_Y_EN: 0
; COMPUTE_PGM_RSRC2:TGID_Z_EN: 0
; COMPUTE_PGM_RSRC2:TIDIG_COMP_CNT: 0
	.section	.text._ZN2at6native27unrolled_elementwise_kernelIZZZNS0_12_GLOBAL__N_142_validate_compressed_sparse_indices_kernelILNS2_8CDimNameE0ENS2_18CUDAKernelLauncherENS2_14EmptyVecKernelENS2_8DummyVecELm0EEEvRKNS_6TensorESA_lllENKUlvE0_clEvENKUlvE0_clEvEUllE_St5arrayIPcLm2EELi4E23TrivialOffsetCalculatorILi1EjESI_NS0_6memory15LoadWithoutCastENSJ_16StoreWithoutCastEEEviT_T0_T2_T3_T4_T5_,"axG",@progbits,_ZN2at6native27unrolled_elementwise_kernelIZZZNS0_12_GLOBAL__N_142_validate_compressed_sparse_indices_kernelILNS2_8CDimNameE0ENS2_18CUDAKernelLauncherENS2_14EmptyVecKernelENS2_8DummyVecELm0EEEvRKNS_6TensorESA_lllENKUlvE0_clEvENKUlvE0_clEvEUllE_St5arrayIPcLm2EELi4E23TrivialOffsetCalculatorILi1EjESI_NS0_6memory15LoadWithoutCastENSJ_16StoreWithoutCastEEEviT_T0_T2_T3_T4_T5_,comdat
	.globl	_ZN2at6native27unrolled_elementwise_kernelIZZZNS0_12_GLOBAL__N_142_validate_compressed_sparse_indices_kernelILNS2_8CDimNameE0ENS2_18CUDAKernelLauncherENS2_14EmptyVecKernelENS2_8DummyVecELm0EEEvRKNS_6TensorESA_lllENKUlvE0_clEvENKUlvE0_clEvEUllE_St5arrayIPcLm2EELi4E23TrivialOffsetCalculatorILi1EjESI_NS0_6memory15LoadWithoutCastENSJ_16StoreWithoutCastEEEviT_T0_T2_T3_T4_T5_ ; -- Begin function _ZN2at6native27unrolled_elementwise_kernelIZZZNS0_12_GLOBAL__N_142_validate_compressed_sparse_indices_kernelILNS2_8CDimNameE0ENS2_18CUDAKernelLauncherENS2_14EmptyVecKernelENS2_8DummyVecELm0EEEvRKNS_6TensorESA_lllENKUlvE0_clEvENKUlvE0_clEvEUllE_St5arrayIPcLm2EELi4E23TrivialOffsetCalculatorILi1EjESI_NS0_6memory15LoadWithoutCastENSJ_16StoreWithoutCastEEEviT_T0_T2_T3_T4_T5_
	.p2align	8
	.type	_ZN2at6native27unrolled_elementwise_kernelIZZZNS0_12_GLOBAL__N_142_validate_compressed_sparse_indices_kernelILNS2_8CDimNameE0ENS2_18CUDAKernelLauncherENS2_14EmptyVecKernelENS2_8DummyVecELm0EEEvRKNS_6TensorESA_lllENKUlvE0_clEvENKUlvE0_clEvEUllE_St5arrayIPcLm2EELi4E23TrivialOffsetCalculatorILi1EjESI_NS0_6memory15LoadWithoutCastENSJ_16StoreWithoutCastEEEviT_T0_T2_T3_T4_T5_,@function
_ZN2at6native27unrolled_elementwise_kernelIZZZNS0_12_GLOBAL__N_142_validate_compressed_sparse_indices_kernelILNS2_8CDimNameE0ENS2_18CUDAKernelLauncherENS2_14EmptyVecKernelENS2_8DummyVecELm0EEEvRKNS_6TensorESA_lllENKUlvE0_clEvENKUlvE0_clEvEUllE_St5arrayIPcLm2EELi4E23TrivialOffsetCalculatorILi1EjESI_NS0_6memory15LoadWithoutCastENSJ_16StoreWithoutCastEEEviT_T0_T2_T3_T4_T5_: ; @_ZN2at6native27unrolled_elementwise_kernelIZZZNS0_12_GLOBAL__N_142_validate_compressed_sparse_indices_kernelILNS2_8CDimNameE0ENS2_18CUDAKernelLauncherENS2_14EmptyVecKernelENS2_8DummyVecELm0EEEvRKNS_6TensorESA_lllENKUlvE0_clEvENKUlvE0_clEvEUllE_St5arrayIPcLm2EELi4E23TrivialOffsetCalculatorILi1EjESI_NS0_6memory15LoadWithoutCastENSJ_16StoreWithoutCastEEEviT_T0_T2_T3_T4_T5_
; %bb.0:
	s_load_b32 s3, s[0:1], 0x0
	s_bfe_u32 s2, ttmp6, 0x4000c
	s_load_b256 s[4:11], s[0:1], 0x8
	s_add_co_i32 s2, s2, 1
	s_wait_xcnt 0x0
	s_and_b32 s0, ttmp6, 15
	s_mul_i32 s1, ttmp9, s2
	s_getreg_b32 s2, hwreg(HW_REG_IB_STS2, 6, 4)
	s_add_co_i32 s0, s0, s1
	s_cmp_eq_u32 s2, 0
	v_mov_b64_e32 v[4:5], 0
	s_cselect_b32 s0, ttmp9, s0
	v_mov_b64_e32 v[8:9], 0
	s_lshl_b32 s2, s0, 10
	v_or_b32_e32 v1, 0x100, v0
	v_mov_b32_e32 v10, v0
	s_wait_kmcnt 0x0
	s_sub_co_i32 s3, s3, s2
	s_delay_alu instid0(SALU_CYCLE_1)
	v_cmp_le_i32_e64 s13, s3, v0
	v_cmp_gt_i32_e32 vcc_lo, s3, v0
	s_and_saveexec_b32 s0, vcc_lo
	s_cbranch_execz .LBB44_2
; %bb.1:
	v_or_b32_e32 v2, s2, v0
	v_or_b32_e32 v10, 0x100, v0
	global_load_b64 v[8:9], v2, s[10:11] scale_offset
.LBB44_2:
	s_wait_xcnt 0x0
	s_or_b32 exec_lo, exec_lo, s0
	s_delay_alu instid0(SALU_CYCLE_1)
	s_mov_b32 s1, exec_lo
	v_cmpx_gt_i32_e64 s3, v10
	s_cbranch_execz .LBB44_4
; %bb.3:
	v_add_nc_u32_e32 v2, s2, v10
	v_add_nc_u32_e32 v10, 0x100, v10
	global_load_b64 v[4:5], v2, s[10:11] scale_offset
.LBB44_4:
	s_wait_xcnt 0x0
	s_or_b32 exec_lo, exec_lo, s1
	v_mov_b64_e32 v[2:3], 0
	v_mov_b64_e32 v[6:7], 0
	s_mov_b32 s1, exec_lo
	v_cmpx_gt_i32_e64 s3, v10
	s_cbranch_execz .LBB44_6
; %bb.5:
	v_add_nc_u32_e32 v6, s2, v10
	v_add_nc_u32_e32 v10, 0x100, v10
	global_load_b64 v[6:7], v6, s[10:11] scale_offset
.LBB44_6:
	s_wait_xcnt 0x0
	s_or_b32 exec_lo, exec_lo, s1
	s_delay_alu instid0(SALU_CYCLE_1)
	s_mov_b32 s1, exec_lo
	v_cmpx_gt_i32_e64 s3, v10
	s_cbranch_execz .LBB44_8
; %bb.7:
	v_add_nc_u32_e32 v2, s2, v10
	global_load_b64 v[2:3], v2, s[10:11] scale_offset
.LBB44_8:
	s_wait_xcnt 0x0
	s_or_b32 exec_lo, exec_lo, s1
	s_get_pc_i64 s[0:1]
	s_add_nc_u64 s[0:1], s[0:1], .str@rel64+4
	s_mov_b32 s14, 0
	s_cmp_lg_u64 s[0:1], 0
	s_mov_b32 s10, 0
	s_cselect_b32 s12, -1, 0
	s_and_saveexec_b32 s11, vcc_lo
	s_cbranch_execnz .LBB44_17
; %bb.9:
	s_or_b32 exec_lo, exec_lo, s11
	s_and_saveexec_b32 s11, s13
	s_cbranch_execnz .LBB44_18
.LBB44_10:
	s_or_b32 exec_lo, exec_lo, s11
	s_and_saveexec_b32 s0, s10
	s_cbranch_execnz .LBB44_29
.LBB44_11:
	s_or_b32 exec_lo, exec_lo, s0
	s_and_saveexec_b32 s0, s14
	s_delay_alu instid0(SALU_CYCLE_1)
	s_xor_b32 s0, exec_lo, s0
	s_cbranch_execz .LBB44_16
.LBB44_12:
	s_and_saveexec_b32 s0, vcc_lo
	s_delay_alu instid0(SALU_CYCLE_1)
	s_xor_b32 s0, exec_lo, s0
	s_cbranch_execnz .LBB44_30
; %bb.13:
	s_or_b32 exec_lo, exec_lo, s0
	s_delay_alu instid0(SALU_CYCLE_1)
	s_mov_b32 s0, exec_lo
	v_cmpx_gt_i32_e64 s3, v0
	s_cbranch_execnz .LBB44_31
.LBB44_14:
	s_or_b32 exec_lo, exec_lo, s0
	s_delay_alu instid0(SALU_CYCLE_1)
	s_mov_b32 s0, exec_lo
	v_cmpx_gt_i32_e64 s3, v0
	s_cbranch_execnz .LBB44_32
.LBB44_15:
	s_or_b32 exec_lo, exec_lo, s0
	s_delay_alu instid0(SALU_CYCLE_1)
	s_mov_b32 s0, exec_lo
	v_cmpx_gt_i32_e64 s3, v0
	s_cbranch_execnz .LBB44_33
.LBB44_16:
	s_endpgm
.LBB44_17:
	s_wait_loadcnt 0x0
	v_cmp_le_i64_e64 s0, s[4:5], v[8:9]
	v_cmp_gt_i64_e64 s1, s[6:7], v[8:9]
	s_mov_b32 s10, exec_lo
	s_and_b32 s0, s0, s1
	s_and_not1_b32 s1, s13, exec_lo
	s_and_b32 s0, s12, s0
	s_delay_alu instid0(SALU_CYCLE_1) | instskip(NEXT) | instid1(SALU_CYCLE_1)
	s_and_b32 s0, s0, exec_lo
	s_or_b32 s13, s1, s0
	s_or_b32 exec_lo, exec_lo, s11
	s_and_saveexec_b32 s11, s13
	s_cbranch_execz .LBB44_10
.LBB44_18:
	v_cmp_le_i32_e64 s16, s3, v1
	s_mov_b32 s15, 0
	s_mov_b32 s13, 0
	s_mov_b32 s14, exec_lo
	v_cmpx_gt_i32_e64 s3, v1
	s_cbranch_execz .LBB44_20
; %bb.19:
	s_wait_loadcnt 0x0
	v_cmp_le_i64_e64 s0, s[4:5], v[4:5]
	v_cmp_gt_i64_e64 s1, s[6:7], v[4:5]
	s_mov_b32 s13, exec_lo
	s_and_b32 s0, s0, s1
	s_and_not1_b32 s1, s16, exec_lo
	s_and_b32 s0, s12, s0
	s_delay_alu instid0(SALU_CYCLE_1) | instskip(NEXT) | instid1(SALU_CYCLE_1)
	s_and_b32 s0, s0, exec_lo
	s_or_b32 s16, s1, s0
.LBB44_20:
	s_or_b32 exec_lo, exec_lo, s14
	s_and_saveexec_b32 s14, s16
	s_cbranch_execz .LBB44_28
; %bb.21:
	s_wait_loadcnt 0x0
	v_or_b32_e32 v4, 0x200, v0
	s_mov_b32 s17, 0
	s_mov_b32 s16, exec_lo
	s_delay_alu instid0(VALU_DEP_1)
	v_cmp_le_i32_e64 s18, s3, v4
	v_cmpx_gt_i32_e64 s3, v4
; %bb.22:
	v_cmp_le_i64_e64 s0, s[4:5], v[6:7]
	v_cmp_gt_i64_e64 s1, s[6:7], v[6:7]
	s_mov_b32 s15, exec_lo
	s_and_b32 s0, s0, s1
	s_and_not1_b32 s1, s18, exec_lo
	s_and_b32 s0, s12, s0
	s_delay_alu instid0(SALU_CYCLE_1) | instskip(NEXT) | instid1(SALU_CYCLE_1)
	s_and_b32 s0, s0, exec_lo
	s_or_b32 s18, s1, s0
; %bb.23:
	s_or_b32 exec_lo, exec_lo, s16
	s_and_saveexec_b32 s16, s18
	s_cbranch_execz .LBB44_27
; %bb.24:
	v_or_b32_e32 v4, 0x300, v0
	s_mov_b32 s1, 0
	s_mov_b32 s18, exec_lo
	s_delay_alu instid0(VALU_DEP_1)
	v_cmp_le_i32_e64 s17, s3, v4
	v_cmpx_gt_i32_e64 s3, v4
	s_xor_b32 s18, exec_lo, s18
; %bb.25:
	v_cmp_le_i64_e64 s0, s[4:5], v[2:3]
	v_cmp_gt_i64_e64 s1, s[6:7], v[2:3]
	s_or_b32 s17, s17, exec_lo
	s_and_b32 s0, s0, s1
	s_delay_alu instid0(SALU_CYCLE_1) | instskip(NEXT) | instid1(SALU_CYCLE_1)
	s_and_b32 s0, s12, s0
	s_xor_b32 s0, s0, -1
	s_delay_alu instid0(SALU_CYCLE_1)
	s_and_b32 s1, s0, exec_lo
; %bb.26:
	s_or_b32 exec_lo, exec_lo, s18
	s_delay_alu instid0(SALU_CYCLE_1)
	s_and_not1_b32 s0, s15, exec_lo
	s_and_b32 s1, s1, exec_lo
	s_and_b32 s17, s17, exec_lo
	s_or_b32 s15, s0, s1
.LBB44_27:
	s_or_b32 exec_lo, exec_lo, s16
	s_delay_alu instid0(SALU_CYCLE_1)
	s_and_not1_b32 s0, s13, exec_lo
	s_and_b32 s1, s15, exec_lo
	s_and_b32 s15, s17, exec_lo
	s_or_b32 s13, s0, s1
.LBB44_28:
	s_or_b32 exec_lo, exec_lo, s14
	s_delay_alu instid0(SALU_CYCLE_1)
	s_and_not1_b32 s0, s10, exec_lo
	s_and_b32 s1, s13, exec_lo
	s_and_b32 s14, s15, exec_lo
	s_or_b32 s10, s0, s1
	s_or_b32 exec_lo, exec_lo, s11
	s_and_saveexec_b32 s0, s10
	s_cbranch_execz .LBB44_11
.LBB44_29:
	s_trap 2
	; divergent unreachable
	s_and_not1_b32 s14, s14, exec_lo
	s_or_b32 exec_lo, exec_lo, s0
	s_and_saveexec_b32 s0, s14
	s_delay_alu instid0(SALU_CYCLE_1)
	s_xor_b32 s0, exec_lo, s0
	s_cbranch_execnz .LBB44_12
	s_branch .LBB44_16
.LBB44_30:
	s_wait_loadcnt 0x0
	v_mov_b64_e32 v[2:3], 0
	v_dual_mov_b32 v0, v1 :: v_dual_bitop2_b32 v4, s2, v0 bitop3:0x54
	global_store_b64 v4, v[2:3], s[8:9] scale_offset
	s_wait_xcnt 0x0
	s_or_b32 exec_lo, exec_lo, s0
	s_delay_alu instid0(SALU_CYCLE_1)
	s_mov_b32 s0, exec_lo
	v_cmpx_gt_i32_e64 s3, v0
	s_cbranch_execz .LBB44_14
.LBB44_31:
	v_add_nc_u32_e32 v1, 0x100, v0
	s_wait_loadcnt 0x0
	v_mov_b64_e32 v[2:3], 0
	s_delay_alu instid0(VALU_DEP_2) | instskip(SKIP_3) | instid1(SALU_CYCLE_1)
	v_dual_add_nc_u32 v4, s2, v0 :: v_dual_mov_b32 v0, v1
	global_store_b64 v4, v[2:3], s[8:9] scale_offset
	s_wait_xcnt 0x0
	s_or_b32 exec_lo, exec_lo, s0
	s_mov_b32 s0, exec_lo
	v_cmpx_gt_i32_e64 s3, v0
	s_cbranch_execz .LBB44_15
.LBB44_32:
	v_add_nc_u32_e32 v1, 0x100, v0
	s_wait_loadcnt 0x0
	v_mov_b64_e32 v[2:3], 0
	s_delay_alu instid0(VALU_DEP_2) | instskip(SKIP_3) | instid1(SALU_CYCLE_1)
	v_dual_add_nc_u32 v4, s2, v0 :: v_dual_mov_b32 v0, v1
	global_store_b64 v4, v[2:3], s[8:9] scale_offset
	s_wait_xcnt 0x0
	s_or_b32 exec_lo, exec_lo, s0
	s_mov_b32 s0, exec_lo
	v_cmpx_gt_i32_e64 s3, v0
	s_cbranch_execz .LBB44_16
.LBB44_33:
	s_wait_loadcnt 0x0
	v_mov_b64_e32 v[2:3], 0
	v_add_nc_u32_e32 v0, s2, v0
	global_store_b64 v0, v[2:3], s[8:9] scale_offset
	s_endpgm
	.section	.rodata,"a",@progbits
	.p2align	6, 0x0
	.amdhsa_kernel _ZN2at6native27unrolled_elementwise_kernelIZZZNS0_12_GLOBAL__N_142_validate_compressed_sparse_indices_kernelILNS2_8CDimNameE0ENS2_18CUDAKernelLauncherENS2_14EmptyVecKernelENS2_8DummyVecELm0EEEvRKNS_6TensorESA_lllENKUlvE0_clEvENKUlvE0_clEvEUllE_St5arrayIPcLm2EELi4E23TrivialOffsetCalculatorILi1EjESI_NS0_6memory15LoadWithoutCastENSJ_16StoreWithoutCastEEEviT_T0_T2_T3_T4_T5_
		.amdhsa_group_segment_fixed_size 0
		.amdhsa_private_segment_fixed_size 0
		.amdhsa_kernarg_size 44
		.amdhsa_user_sgpr_count 2
		.amdhsa_user_sgpr_dispatch_ptr 0
		.amdhsa_user_sgpr_queue_ptr 0
		.amdhsa_user_sgpr_kernarg_segment_ptr 1
		.amdhsa_user_sgpr_dispatch_id 0
		.amdhsa_user_sgpr_kernarg_preload_length 0
		.amdhsa_user_sgpr_kernarg_preload_offset 0
		.amdhsa_user_sgpr_private_segment_size 0
		.amdhsa_wavefront_size32 1
		.amdhsa_uses_dynamic_stack 0
		.amdhsa_enable_private_segment 0
		.amdhsa_system_sgpr_workgroup_id_x 1
		.amdhsa_system_sgpr_workgroup_id_y 0
		.amdhsa_system_sgpr_workgroup_id_z 0
		.amdhsa_system_sgpr_workgroup_info 0
		.amdhsa_system_vgpr_workitem_id 0
		.amdhsa_next_free_vgpr 11
		.amdhsa_next_free_sgpr 19
		.amdhsa_named_barrier_count 0
		.amdhsa_reserve_vcc 1
		.amdhsa_float_round_mode_32 0
		.amdhsa_float_round_mode_16_64 0
		.amdhsa_float_denorm_mode_32 3
		.amdhsa_float_denorm_mode_16_64 3
		.amdhsa_fp16_overflow 0
		.amdhsa_memory_ordered 1
		.amdhsa_forward_progress 1
		.amdhsa_inst_pref_size 9
		.amdhsa_round_robin_scheduling 0
		.amdhsa_exception_fp_ieee_invalid_op 0
		.amdhsa_exception_fp_denorm_src 0
		.amdhsa_exception_fp_ieee_div_zero 0
		.amdhsa_exception_fp_ieee_overflow 0
		.amdhsa_exception_fp_ieee_underflow 0
		.amdhsa_exception_fp_ieee_inexact 0
		.amdhsa_exception_int_div_zero 0
	.end_amdhsa_kernel
	.section	.text._ZN2at6native27unrolled_elementwise_kernelIZZZNS0_12_GLOBAL__N_142_validate_compressed_sparse_indices_kernelILNS2_8CDimNameE0ENS2_18CUDAKernelLauncherENS2_14EmptyVecKernelENS2_8DummyVecELm0EEEvRKNS_6TensorESA_lllENKUlvE0_clEvENKUlvE0_clEvEUllE_St5arrayIPcLm2EELi4E23TrivialOffsetCalculatorILi1EjESI_NS0_6memory15LoadWithoutCastENSJ_16StoreWithoutCastEEEviT_T0_T2_T3_T4_T5_,"axG",@progbits,_ZN2at6native27unrolled_elementwise_kernelIZZZNS0_12_GLOBAL__N_142_validate_compressed_sparse_indices_kernelILNS2_8CDimNameE0ENS2_18CUDAKernelLauncherENS2_14EmptyVecKernelENS2_8DummyVecELm0EEEvRKNS_6TensorESA_lllENKUlvE0_clEvENKUlvE0_clEvEUllE_St5arrayIPcLm2EELi4E23TrivialOffsetCalculatorILi1EjESI_NS0_6memory15LoadWithoutCastENSJ_16StoreWithoutCastEEEviT_T0_T2_T3_T4_T5_,comdat
.Lfunc_end44:
	.size	_ZN2at6native27unrolled_elementwise_kernelIZZZNS0_12_GLOBAL__N_142_validate_compressed_sparse_indices_kernelILNS2_8CDimNameE0ENS2_18CUDAKernelLauncherENS2_14EmptyVecKernelENS2_8DummyVecELm0EEEvRKNS_6TensorESA_lllENKUlvE0_clEvENKUlvE0_clEvEUllE_St5arrayIPcLm2EELi4E23TrivialOffsetCalculatorILi1EjESI_NS0_6memory15LoadWithoutCastENSJ_16StoreWithoutCastEEEviT_T0_T2_T3_T4_T5_, .Lfunc_end44-_ZN2at6native27unrolled_elementwise_kernelIZZZNS0_12_GLOBAL__N_142_validate_compressed_sparse_indices_kernelILNS2_8CDimNameE0ENS2_18CUDAKernelLauncherENS2_14EmptyVecKernelENS2_8DummyVecELm0EEEvRKNS_6TensorESA_lllENKUlvE0_clEvENKUlvE0_clEvEUllE_St5arrayIPcLm2EELi4E23TrivialOffsetCalculatorILi1EjESI_NS0_6memory15LoadWithoutCastENSJ_16StoreWithoutCastEEEviT_T0_T2_T3_T4_T5_
                                        ; -- End function
	.set _ZN2at6native27unrolled_elementwise_kernelIZZZNS0_12_GLOBAL__N_142_validate_compressed_sparse_indices_kernelILNS2_8CDimNameE0ENS2_18CUDAKernelLauncherENS2_14EmptyVecKernelENS2_8DummyVecELm0EEEvRKNS_6TensorESA_lllENKUlvE0_clEvENKUlvE0_clEvEUllE_St5arrayIPcLm2EELi4E23TrivialOffsetCalculatorILi1EjESI_NS0_6memory15LoadWithoutCastENSJ_16StoreWithoutCastEEEviT_T0_T2_T3_T4_T5_.num_vgpr, 11
	.set _ZN2at6native27unrolled_elementwise_kernelIZZZNS0_12_GLOBAL__N_142_validate_compressed_sparse_indices_kernelILNS2_8CDimNameE0ENS2_18CUDAKernelLauncherENS2_14EmptyVecKernelENS2_8DummyVecELm0EEEvRKNS_6TensorESA_lllENKUlvE0_clEvENKUlvE0_clEvEUllE_St5arrayIPcLm2EELi4E23TrivialOffsetCalculatorILi1EjESI_NS0_6memory15LoadWithoutCastENSJ_16StoreWithoutCastEEEviT_T0_T2_T3_T4_T5_.num_agpr, 0
	.set _ZN2at6native27unrolled_elementwise_kernelIZZZNS0_12_GLOBAL__N_142_validate_compressed_sparse_indices_kernelILNS2_8CDimNameE0ENS2_18CUDAKernelLauncherENS2_14EmptyVecKernelENS2_8DummyVecELm0EEEvRKNS_6TensorESA_lllENKUlvE0_clEvENKUlvE0_clEvEUllE_St5arrayIPcLm2EELi4E23TrivialOffsetCalculatorILi1EjESI_NS0_6memory15LoadWithoutCastENSJ_16StoreWithoutCastEEEviT_T0_T2_T3_T4_T5_.numbered_sgpr, 19
	.set _ZN2at6native27unrolled_elementwise_kernelIZZZNS0_12_GLOBAL__N_142_validate_compressed_sparse_indices_kernelILNS2_8CDimNameE0ENS2_18CUDAKernelLauncherENS2_14EmptyVecKernelENS2_8DummyVecELm0EEEvRKNS_6TensorESA_lllENKUlvE0_clEvENKUlvE0_clEvEUllE_St5arrayIPcLm2EELi4E23TrivialOffsetCalculatorILi1EjESI_NS0_6memory15LoadWithoutCastENSJ_16StoreWithoutCastEEEviT_T0_T2_T3_T4_T5_.num_named_barrier, 0
	.set _ZN2at6native27unrolled_elementwise_kernelIZZZNS0_12_GLOBAL__N_142_validate_compressed_sparse_indices_kernelILNS2_8CDimNameE0ENS2_18CUDAKernelLauncherENS2_14EmptyVecKernelENS2_8DummyVecELm0EEEvRKNS_6TensorESA_lllENKUlvE0_clEvENKUlvE0_clEvEUllE_St5arrayIPcLm2EELi4E23TrivialOffsetCalculatorILi1EjESI_NS0_6memory15LoadWithoutCastENSJ_16StoreWithoutCastEEEviT_T0_T2_T3_T4_T5_.private_seg_size, 0
	.set _ZN2at6native27unrolled_elementwise_kernelIZZZNS0_12_GLOBAL__N_142_validate_compressed_sparse_indices_kernelILNS2_8CDimNameE0ENS2_18CUDAKernelLauncherENS2_14EmptyVecKernelENS2_8DummyVecELm0EEEvRKNS_6TensorESA_lllENKUlvE0_clEvENKUlvE0_clEvEUllE_St5arrayIPcLm2EELi4E23TrivialOffsetCalculatorILi1EjESI_NS0_6memory15LoadWithoutCastENSJ_16StoreWithoutCastEEEviT_T0_T2_T3_T4_T5_.uses_vcc, 1
	.set _ZN2at6native27unrolled_elementwise_kernelIZZZNS0_12_GLOBAL__N_142_validate_compressed_sparse_indices_kernelILNS2_8CDimNameE0ENS2_18CUDAKernelLauncherENS2_14EmptyVecKernelENS2_8DummyVecELm0EEEvRKNS_6TensorESA_lllENKUlvE0_clEvENKUlvE0_clEvEUllE_St5arrayIPcLm2EELi4E23TrivialOffsetCalculatorILi1EjESI_NS0_6memory15LoadWithoutCastENSJ_16StoreWithoutCastEEEviT_T0_T2_T3_T4_T5_.uses_flat_scratch, 0
	.set _ZN2at6native27unrolled_elementwise_kernelIZZZNS0_12_GLOBAL__N_142_validate_compressed_sparse_indices_kernelILNS2_8CDimNameE0ENS2_18CUDAKernelLauncherENS2_14EmptyVecKernelENS2_8DummyVecELm0EEEvRKNS_6TensorESA_lllENKUlvE0_clEvENKUlvE0_clEvEUllE_St5arrayIPcLm2EELi4E23TrivialOffsetCalculatorILi1EjESI_NS0_6memory15LoadWithoutCastENSJ_16StoreWithoutCastEEEviT_T0_T2_T3_T4_T5_.has_dyn_sized_stack, 0
	.set _ZN2at6native27unrolled_elementwise_kernelIZZZNS0_12_GLOBAL__N_142_validate_compressed_sparse_indices_kernelILNS2_8CDimNameE0ENS2_18CUDAKernelLauncherENS2_14EmptyVecKernelENS2_8DummyVecELm0EEEvRKNS_6TensorESA_lllENKUlvE0_clEvENKUlvE0_clEvEUllE_St5arrayIPcLm2EELi4E23TrivialOffsetCalculatorILi1EjESI_NS0_6memory15LoadWithoutCastENSJ_16StoreWithoutCastEEEviT_T0_T2_T3_T4_T5_.has_recursion, 0
	.set _ZN2at6native27unrolled_elementwise_kernelIZZZNS0_12_GLOBAL__N_142_validate_compressed_sparse_indices_kernelILNS2_8CDimNameE0ENS2_18CUDAKernelLauncherENS2_14EmptyVecKernelENS2_8DummyVecELm0EEEvRKNS_6TensorESA_lllENKUlvE0_clEvENKUlvE0_clEvEUllE_St5arrayIPcLm2EELi4E23TrivialOffsetCalculatorILi1EjESI_NS0_6memory15LoadWithoutCastENSJ_16StoreWithoutCastEEEviT_T0_T2_T3_T4_T5_.has_indirect_call, 0
	.section	.AMDGPU.csdata,"",@progbits
; Kernel info:
; codeLenInByte = 1144
; TotalNumSgprs: 21
; NumVgprs: 11
; ScratchSize: 0
; MemoryBound: 0
; FloatMode: 240
; IeeeMode: 1
; LDSByteSize: 0 bytes/workgroup (compile time only)
; SGPRBlocks: 0
; VGPRBlocks: 0
; NumSGPRsForWavesPerEU: 21
; NumVGPRsForWavesPerEU: 11
; NamedBarCnt: 0
; Occupancy: 16
; WaveLimiterHint : 0
; COMPUTE_PGM_RSRC2:SCRATCH_EN: 0
; COMPUTE_PGM_RSRC2:USER_SGPR: 2
; COMPUTE_PGM_RSRC2:TRAP_HANDLER: 0
; COMPUTE_PGM_RSRC2:TGID_X_EN: 1
; COMPUTE_PGM_RSRC2:TGID_Y_EN: 0
; COMPUTE_PGM_RSRC2:TGID_Z_EN: 0
; COMPUTE_PGM_RSRC2:TIDIG_COMP_CNT: 0
	.section	.text._ZN2at6native32elementwise_kernel_manual_unrollILi128ELi4EZNS0_22gpu_kernel_impl_nocastIZZZNS0_12_GLOBAL__N_142_validate_compressed_sparse_indices_kernelILNS3_8CDimNameE0ENS3_18CUDAKernelLauncherENS3_14EmptyVecKernelENS3_8DummyVecELm0EEEvRKNS_6TensorESB_lllENKUlvE0_clEvENKUlvE0_clEvEUllE_EEvRNS_18TensorIteratorBaseERKT_EUlibE_EEviT1_,"axG",@progbits,_ZN2at6native32elementwise_kernel_manual_unrollILi128ELi4EZNS0_22gpu_kernel_impl_nocastIZZZNS0_12_GLOBAL__N_142_validate_compressed_sparse_indices_kernelILNS3_8CDimNameE0ENS3_18CUDAKernelLauncherENS3_14EmptyVecKernelENS3_8DummyVecELm0EEEvRKNS_6TensorESB_lllENKUlvE0_clEvENKUlvE0_clEvEUllE_EEvRNS_18TensorIteratorBaseERKT_EUlibE_EEviT1_,comdat
	.globl	_ZN2at6native32elementwise_kernel_manual_unrollILi128ELi4EZNS0_22gpu_kernel_impl_nocastIZZZNS0_12_GLOBAL__N_142_validate_compressed_sparse_indices_kernelILNS3_8CDimNameE0ENS3_18CUDAKernelLauncherENS3_14EmptyVecKernelENS3_8DummyVecELm0EEEvRKNS_6TensorESB_lllENKUlvE0_clEvENKUlvE0_clEvEUllE_EEvRNS_18TensorIteratorBaseERKT_EUlibE_EEviT1_ ; -- Begin function _ZN2at6native32elementwise_kernel_manual_unrollILi128ELi4EZNS0_22gpu_kernel_impl_nocastIZZZNS0_12_GLOBAL__N_142_validate_compressed_sparse_indices_kernelILNS3_8CDimNameE0ENS3_18CUDAKernelLauncherENS3_14EmptyVecKernelENS3_8DummyVecELm0EEEvRKNS_6TensorESB_lllENKUlvE0_clEvENKUlvE0_clEvEUllE_EEvRNS_18TensorIteratorBaseERKT_EUlibE_EEviT1_
	.p2align	8
	.type	_ZN2at6native32elementwise_kernel_manual_unrollILi128ELi4EZNS0_22gpu_kernel_impl_nocastIZZZNS0_12_GLOBAL__N_142_validate_compressed_sparse_indices_kernelILNS3_8CDimNameE0ENS3_18CUDAKernelLauncherENS3_14EmptyVecKernelENS3_8DummyVecELm0EEEvRKNS_6TensorESB_lllENKUlvE0_clEvENKUlvE0_clEvEUllE_EEvRNS_18TensorIteratorBaseERKT_EUlibE_EEviT1_,@function
_ZN2at6native32elementwise_kernel_manual_unrollILi128ELi4EZNS0_22gpu_kernel_impl_nocastIZZZNS0_12_GLOBAL__N_142_validate_compressed_sparse_indices_kernelILNS3_8CDimNameE0ENS3_18CUDAKernelLauncherENS3_14EmptyVecKernelENS3_8DummyVecELm0EEEvRKNS_6TensorESB_lllENKUlvE0_clEvENKUlvE0_clEvEUllE_EEvRNS_18TensorIteratorBaseERKT_EUlibE_EEviT1_: ; @_ZN2at6native32elementwise_kernel_manual_unrollILi128ELi4EZNS0_22gpu_kernel_impl_nocastIZZZNS0_12_GLOBAL__N_142_validate_compressed_sparse_indices_kernelILNS3_8CDimNameE0ENS3_18CUDAKernelLauncherENS3_14EmptyVecKernelENS3_8DummyVecELm0EEEvRKNS_6TensorESB_lllENKUlvE0_clEvENKUlvE0_clEvEUllE_EEvRNS_18TensorIteratorBaseERKT_EUlibE_EEviT1_
; %bb.0:
	s_clause 0x1
	s_load_b32 s33, s[0:1], 0x8
	s_load_b32 s42, s[0:1], 0x0
	s_bfe_u32 s2, ttmp6, 0x4000c
	s_and_b32 s3, ttmp6, 15
	s_add_co_i32 s2, s2, 1
	s_getreg_b32 s4, hwreg(HW_REG_IB_STS2, 6, 4)
	s_mul_i32 s2, ttmp9, s2
	s_mov_b32 s37, 0
	s_add_co_i32 s3, s3, s2
	s_cmp_eq_u32 s4, 0
	s_mov_b32 s28, -1
	s_cselect_b32 s2, ttmp9, s3
	s_add_nc_u64 s[20:21], s[0:1], 8
	v_lshl_or_b32 v0, s2, 9, v0
	s_mov_b32 s12, 0
	s_get_pc_i64 s[2:3]
	s_add_nc_u64 s[2:3], s[2:3], .str@rel64+4
	s_wait_xcnt 0x0
	s_mov_b32 s0, exec_lo
	v_or_b32_e32 v1, 0x180, v0
	s_wait_kmcnt 0x0
	s_add_co_i32 s36, s33, -1
	s_delay_alu instid0(SALU_CYCLE_1)
	s_cmp_gt_u32 s36, 1
	s_cselect_b32 s38, -1, 0
	v_cmpx_le_i32_e64 s42, v1
	s_xor_b32 s39, exec_lo, s0
	s_cbranch_execz .LBB45_31
; %bb.1:
	s_clause 0x3
	s_load_b128 s[12:15], s[20:21], 0x4
	s_load_b64 s[0:1], s[20:21], 0x14
	s_load_b128 s[16:19], s[20:21], 0xc4
	s_load_b256 s[4:11], s[20:21], 0x148
	s_cmp_lg_u32 s33, 0
	s_mov_b32 s23, 0
	s_cselect_b32 s44, -1, 0
	s_min_u32 s43, s36, 15
	s_cmp_gt_u32 s33, 1
	s_add_nc_u64 s[26:27], s[20:21], 0xc4
	s_cselect_b32 s41, -1, 0
	s_cmp_lg_u64 s[2:3], 0
	s_mov_b32 s25, s23
	s_cselect_b32 s40, -1, 0
	s_mov_b32 s45, exec_lo
	s_wait_kmcnt 0x0
	s_mov_b32 s22, s13
	s_mov_b32 s24, s0
	;; [unrolled: 1-line block ×3, first 2 shown]
	v_cmpx_gt_i32_e64 s42, v0
	s_cbranch_execz .LBB45_7
; %bb.2:
	s_and_not1_b32 vcc_lo, exec_lo, s38
	s_cbranch_vccnz .LBB45_14
; %bb.3:
	s_and_not1_b32 vcc_lo, exec_lo, s44
	s_cbranch_vccnz .LBB45_16
; %bb.4:
	s_add_co_i32 s0, s43, 1
	s_cmp_eq_u32 s36, 2
	s_cbranch_scc1 .LBB45_17
; %bb.5:
	v_dual_mov_b32 v2, 0 :: v_dual_mov_b32 v3, 0
	v_mov_b32_e32 v1, v0
	s_and_b32 s28, s0, 28
	s_mov_b32 s13, 0
	s_mov_b64 s[30:31], s[20:21]
	s_mov_b64 s[34:35], s[26:27]
.LBB45_6:                               ; =>This Inner Loop Header: Depth=1
	s_clause 0x1
	s_load_b256 s[48:55], s[30:31], 0x4
	s_load_b128 s[64:67], s[30:31], 0x24
	s_load_b256 s[56:63], s[34:35], 0x0
	s_add_co_i32 s13, s13, 4
	s_wait_xcnt 0x0
	s_add_nc_u64 s[30:31], s[30:31], 48
	s_cmp_lg_u32 s28, s13
	s_add_nc_u64 s[34:35], s[34:35], 32
	s_wait_kmcnt 0x0
	v_mul_hi_u32 v4, s49, v1
	s_delay_alu instid0(VALU_DEP_1) | instskip(NEXT) | instid1(VALU_DEP_1)
	v_add_nc_u32_e32 v4, v1, v4
	v_lshrrev_b32_e32 v4, s50, v4
	s_delay_alu instid0(VALU_DEP_1) | instskip(NEXT) | instid1(VALU_DEP_1)
	v_mul_hi_u32 v5, s52, v4
	v_add_nc_u32_e32 v5, v4, v5
	s_delay_alu instid0(VALU_DEP_1) | instskip(NEXT) | instid1(VALU_DEP_1)
	v_lshrrev_b32_e32 v5, s53, v5
	v_mul_hi_u32 v6, s55, v5
	s_delay_alu instid0(VALU_DEP_1) | instskip(SKIP_1) | instid1(VALU_DEP_1)
	v_add_nc_u32_e32 v6, v5, v6
	v_mul_lo_u32 v7, v4, s48
	v_sub_nc_u32_e32 v1, v1, v7
	v_mul_lo_u32 v7, v5, s51
	s_delay_alu instid0(VALU_DEP_4) | instskip(NEXT) | instid1(VALU_DEP_3)
	v_lshrrev_b32_e32 v6, s64, v6
	v_mad_u32 v3, v1, s57, v3
	v_mad_u32 v1, v1, s56, v2
	s_delay_alu instid0(VALU_DEP_4) | instskip(NEXT) | instid1(VALU_DEP_4)
	v_sub_nc_u32_e32 v2, v4, v7
	v_mul_hi_u32 v8, s66, v6
	v_mul_lo_u32 v4, v6, s54
	s_delay_alu instid0(VALU_DEP_3) | instskip(SKIP_1) | instid1(VALU_DEP_4)
	v_mad_u32 v3, v2, s59, v3
	v_mad_u32 v2, v2, s58, v1
	v_add_nc_u32_e32 v7, v6, v8
	s_delay_alu instid0(VALU_DEP_1) | instskip(NEXT) | instid1(VALU_DEP_1)
	v_dual_sub_nc_u32 v4, v5, v4 :: v_dual_lshrrev_b32 v1, s67, v7
	v_mad_u32 v3, v4, s61, v3
	s_delay_alu instid0(VALU_DEP_4) | instskip(NEXT) | instid1(VALU_DEP_3)
	v_mad_u32 v2, v4, s60, v2
	v_mul_lo_u32 v5, v1, s65
	s_delay_alu instid0(VALU_DEP_1) | instskip(NEXT) | instid1(VALU_DEP_1)
	v_sub_nc_u32_e32 v4, v6, v5
	v_mad_u32 v3, v4, s63, v3
	s_delay_alu instid0(VALU_DEP_4)
	v_mad_u32 v2, v4, s62, v2
	s_cbranch_scc1 .LBB45_6
	s_branch .LBB45_18
.LBB45_7:
	s_or_b32 exec_lo, exec_lo, s45
                                        ; implicit-def: $vgpr2
	s_and_saveexec_b32 s45, s28
	s_cbranch_execz .LBB45_27
.LBB45_8:
	s_mov_b32 s0, -1
	s_mov_b32 s46, s13
	s_mov_b32 s47, exec_lo
	v_cmpx_gt_i32_e64 s42, v0
	s_cbranch_execz .LBB45_115
; %bb.9:
	s_and_not1_b32 vcc_lo, exec_lo, s38
	s_cbranch_vccnz .LBB45_15
; %bb.10:
	s_and_not1_b32 vcc_lo, exec_lo, s44
	s_cbranch_vccnz .LBB45_104
; %bb.11:
	s_add_co_i32 s0, s43, 1
	s_cmp_eq_u32 s36, 2
	s_cbranch_scc1 .LBB45_105
; %bb.12:
	v_dual_mov_b32 v2, 0 :: v_dual_mov_b32 v3, 0
	v_mov_b32_e32 v1, v0
	s_and_b32 s28, s0, 28
	s_mov_b32 s29, 0
	s_mov_b64 s[30:31], s[20:21]
	s_mov_b64 s[34:35], s[26:27]
.LBB45_13:                              ; =>This Inner Loop Header: Depth=1
	s_clause 0x1
	s_load_b256 s[48:55], s[30:31], 0x4
	s_load_b128 s[64:67], s[30:31], 0x24
	s_load_b256 s[56:63], s[34:35], 0x0
	s_add_co_i32 s29, s29, 4
	s_wait_xcnt 0x0
	s_add_nc_u64 s[30:31], s[30:31], 48
	s_cmp_eq_u32 s28, s29
	s_add_nc_u64 s[34:35], s[34:35], 32
	s_wait_kmcnt 0x0
	v_mul_hi_u32 v4, s49, v1
	s_delay_alu instid0(VALU_DEP_1) | instskip(NEXT) | instid1(VALU_DEP_1)
	v_add_nc_u32_e32 v4, v1, v4
	v_lshrrev_b32_e32 v4, s50, v4
	s_delay_alu instid0(VALU_DEP_1) | instskip(NEXT) | instid1(VALU_DEP_1)
	v_mul_hi_u32 v5, s52, v4
	v_add_nc_u32_e32 v5, v4, v5
	s_delay_alu instid0(VALU_DEP_1) | instskip(NEXT) | instid1(VALU_DEP_1)
	v_lshrrev_b32_e32 v5, s53, v5
	v_mul_hi_u32 v6, s55, v5
	s_delay_alu instid0(VALU_DEP_1) | instskip(SKIP_1) | instid1(VALU_DEP_1)
	v_add_nc_u32_e32 v6, v5, v6
	v_mul_lo_u32 v7, v4, s48
	v_sub_nc_u32_e32 v1, v1, v7
	v_mul_lo_u32 v7, v5, s51
	s_delay_alu instid0(VALU_DEP_4) | instskip(NEXT) | instid1(VALU_DEP_3)
	v_lshrrev_b32_e32 v6, s64, v6
	v_mad_u32 v3, v1, s57, v3
	v_mad_u32 v1, v1, s56, v2
	s_delay_alu instid0(VALU_DEP_4) | instskip(NEXT) | instid1(VALU_DEP_4)
	v_sub_nc_u32_e32 v2, v4, v7
	v_mul_hi_u32 v8, s66, v6
	v_mul_lo_u32 v4, v6, s54
	s_delay_alu instid0(VALU_DEP_3) | instskip(SKIP_1) | instid1(VALU_DEP_4)
	v_mad_u32 v3, v2, s59, v3
	v_mad_u32 v2, v2, s58, v1
	v_add_nc_u32_e32 v7, v6, v8
	s_delay_alu instid0(VALU_DEP_1) | instskip(NEXT) | instid1(VALU_DEP_1)
	v_dual_sub_nc_u32 v4, v5, v4 :: v_dual_lshrrev_b32 v1, s67, v7
	v_mad_u32 v3, v4, s61, v3
	s_delay_alu instid0(VALU_DEP_4) | instskip(NEXT) | instid1(VALU_DEP_3)
	v_mad_u32 v2, v4, s60, v2
	v_mul_lo_u32 v5, v1, s65
	s_delay_alu instid0(VALU_DEP_1) | instskip(NEXT) | instid1(VALU_DEP_1)
	v_sub_nc_u32_e32 v4, v6, v5
	v_mad_u32 v3, v4, s63, v3
	s_delay_alu instid0(VALU_DEP_4)
	v_mad_u32 v2, v4, s62, v2
	s_cbranch_scc0 .LBB45_13
	s_branch .LBB45_106
.LBB45_14:
                                        ; implicit-def: $vgpr3
	s_branch .LBB45_22
.LBB45_15:
                                        ; implicit-def: $vgpr3
	s_and_not1_b32 vcc_lo, exec_lo, s0
	s_cbranch_vccz .LBB45_110
	s_branch .LBB45_112
.LBB45_16:
	v_dual_mov_b32 v3, 0 :: v_dual_mov_b32 v2, 0
	s_branch .LBB45_21
.LBB45_17:
	v_mov_b64_e32 v[2:3], 0
	v_mov_b32_e32 v1, v0
	s_mov_b32 s28, 0
.LBB45_18:
	s_and_b32 s0, s0, 3
	s_mov_b32 s29, 0
	s_cmp_eq_u32 s0, 0
	s_cbranch_scc1 .LBB45_21
; %bb.19:
	s_lshl_b32 s30, s28, 3
	s_mov_b32 s31, s29
	s_mul_u64 s[34:35], s[28:29], 12
	s_add_nc_u64 s[30:31], s[20:21], s[30:31]
	s_delay_alu instid0(SALU_CYCLE_1)
	s_add_nc_u64 s[28:29], s[30:31], 0xc4
	s_add_nc_u64 s[30:31], s[20:21], s[34:35]
.LBB45_20:                              ; =>This Inner Loop Header: Depth=1
	s_load_b96 s[48:50], s[30:31], 0x4
	s_load_b64 s[34:35], s[28:29], 0x0
	s_add_co_i32 s0, s0, -1
	s_wait_xcnt 0x0
	s_add_nc_u64 s[30:31], s[30:31], 12
	s_cmp_lg_u32 s0, 0
	s_add_nc_u64 s[28:29], s[28:29], 8
	s_wait_kmcnt 0x0
	v_mul_hi_u32 v4, s49, v1
	s_delay_alu instid0(VALU_DEP_1) | instskip(NEXT) | instid1(VALU_DEP_1)
	v_add_nc_u32_e32 v4, v1, v4
	v_lshrrev_b32_e32 v4, s50, v4
	s_delay_alu instid0(VALU_DEP_1) | instskip(NEXT) | instid1(VALU_DEP_1)
	v_mul_lo_u32 v5, v4, s48
	v_sub_nc_u32_e32 v1, v1, v5
	s_delay_alu instid0(VALU_DEP_1)
	v_mad_u32 v3, v1, s35, v3
	v_mad_u32 v2, v1, s34, v2
	v_mov_b32_e32 v1, v4
	s_cbranch_scc1 .LBB45_20
.LBB45_21:
	s_cbranch_execnz .LBB45_24
.LBB45_22:
	v_mov_b32_e32 v1, 0
	s_and_not1_b32 vcc_lo, exec_lo, s41
	s_delay_alu instid0(VALU_DEP_1) | instskip(NEXT) | instid1(VALU_DEP_1)
	v_mul_u64_e32 v[2:3], s[22:23], v[0:1]
	v_add_nc_u32_e32 v2, v0, v3
	s_delay_alu instid0(VALU_DEP_1) | instskip(NEXT) | instid1(VALU_DEP_1)
	v_lshrrev_b32_e32 v4, s14, v2
	v_mul_lo_u32 v2, v4, s12
	s_delay_alu instid0(VALU_DEP_1) | instskip(NEXT) | instid1(VALU_DEP_1)
	v_sub_nc_u32_e32 v2, v0, v2
	v_mul_lo_u32 v3, v2, s17
	v_mul_lo_u32 v2, v2, s16
	s_cbranch_vccnz .LBB45_24
; %bb.23:
	v_mov_b32_e32 v5, v1
	s_delay_alu instid0(VALU_DEP_1) | instskip(NEXT) | instid1(VALU_DEP_1)
	v_mul_u64_e32 v[6:7], s[24:25], v[4:5]
	v_add_nc_u32_e32 v1, v4, v7
	s_delay_alu instid0(VALU_DEP_1) | instskip(NEXT) | instid1(VALU_DEP_1)
	v_lshrrev_b32_e32 v1, s1, v1
	v_mul_lo_u32 v1, v1, s15
	s_delay_alu instid0(VALU_DEP_1) | instskip(NEXT) | instid1(VALU_DEP_1)
	v_sub_nc_u32_e32 v1, v4, v1
	v_mad_u32 v2, v1, s18, v2
	v_mad_u32 v3, v1, s19, v3
.LBB45_24:
	global_load_b64 v[4:5], v3, s[6:7]
	s_wait_loadcnt 0x0
	v_cmp_le_i64_e32 vcc_lo, s[8:9], v[4:5]
	v_cmp_gt_i64_e64 s0, s[10:11], v[4:5]
	s_and_b32 s13, vcc_lo, s0
	s_mov_b32 s0, 0
	s_and_b32 s29, s40, s13
	s_mov_b32 s13, -1
	s_and_saveexec_b32 s28, s29
; %bb.25:
	v_mov_b64_e32 v[4:5], 0
	v_add_nc_u32_e32 v0, 0x80, v0
	s_mov_b32 s0, exec_lo
	s_xor_b32 s13, exec_lo, -1
	global_store_b64 v2, v[4:5], s[4:5]
; %bb.26:
	s_wait_xcnt 0x0
	s_or_b32 exec_lo, exec_lo, s28
	s_delay_alu instid0(SALU_CYCLE_1)
	s_and_b32 s13, s13, exec_lo
	s_or_not1_b32 s28, s0, exec_lo
	s_or_b32 exec_lo, exec_lo, s45
                                        ; implicit-def: $vgpr2
	s_and_saveexec_b32 s45, s28
	s_cbranch_execnz .LBB45_8
.LBB45_27:
	s_or_b32 exec_lo, exec_lo, s45
	s_mov_b32 s0, 0
	s_and_saveexec_b32 s1, s13
	s_cbranch_execnz .LBB45_156
.LBB45_28:
	s_or_b32 exec_lo, exec_lo, s1
	s_and_saveexec_b32 s1, s23
	s_delay_alu instid0(SALU_CYCLE_1)
	s_xor_b32 s1, exec_lo, s1
	s_cbranch_execz .LBB45_30
.LBB45_29:
	v_mov_b64_e32 v[0:1], 0
	global_store_b64 v2, v[0:1], s[4:5]
.LBB45_30:
	s_wait_xcnt 0x0
	s_or_b32 exec_lo, exec_lo, s1
	s_delay_alu instid0(SALU_CYCLE_1)
	s_and_b32 s12, s0, exec_lo
                                        ; implicit-def: $vgpr1
                                        ; implicit-def: $vgpr0
.LBB45_31:
	s_or_saveexec_b32 s13, s39
                                        ; implicit-def: $sgpr4_sgpr5_sgpr6_sgpr7_sgpr8_sgpr9_sgpr10_sgpr11
                                        ; implicit-def: $vgpr8
                                        ; implicit-def: $vgpr6
                                        ; implicit-def: $vgpr4
                                        ; implicit-def: $vgpr2
	s_delay_alu instid0(SALU_CYCLE_1)
	s_xor_b32 exec_lo, exec_lo, s13
	s_cbranch_execz .LBB45_38
; %bb.32:
	v_cndmask_b32_e64 v8, 0, 1, s38
	s_and_not1_b32 vcc_lo, exec_lo, s38
	s_cbranch_vccnz .LBB45_41
; %bb.33:
	s_cmp_lg_u32 s33, 0
	s_mov_b32 s8, 0
	s_cbranch_scc0 .LBB45_42
; %bb.34:
	s_min_u32 s1, s36, 15
	s_delay_alu instid0(SALU_CYCLE_1)
	s_add_co_i32 s1, s1, 1
	s_cmp_eq_u32 s36, 2
	s_cbranch_scc1 .LBB45_43
; %bb.35:
	v_dual_mov_b32 v2, 0 :: v_dual_mov_b32 v3, 0
	v_mov_b32_e32 v4, v0
	s_and_b32 s0, s1, 28
	s_add_nc_u64 s[4:5], s[20:21], 0xc4
	s_mov_b32 s9, 0
	s_mov_b64 s[6:7], s[20:21]
.LBB45_36:                              ; =>This Inner Loop Header: Depth=1
	s_clause 0x1
	s_load_b256 s[24:31], s[6:7], 0x4
	s_load_b128 s[16:19], s[6:7], 0x24
	s_load_b256 s[40:47], s[4:5], 0x0
	s_add_co_i32 s9, s9, 4
	s_wait_xcnt 0x0
	s_add_nc_u64 s[6:7], s[6:7], 48
	s_cmp_lg_u32 s0, s9
	s_add_nc_u64 s[4:5], s[4:5], 32
	s_wait_kmcnt 0x0
	v_mul_hi_u32 v5, s25, v4
	s_delay_alu instid0(VALU_DEP_1) | instskip(NEXT) | instid1(VALU_DEP_1)
	v_add_nc_u32_e32 v5, v4, v5
	v_lshrrev_b32_e32 v5, s26, v5
	s_delay_alu instid0(VALU_DEP_1) | instskip(NEXT) | instid1(VALU_DEP_1)
	v_mul_hi_u32 v6, s28, v5
	v_add_nc_u32_e32 v6, v5, v6
	s_delay_alu instid0(VALU_DEP_1) | instskip(NEXT) | instid1(VALU_DEP_1)
	v_lshrrev_b32_e32 v6, s29, v6
	v_mul_hi_u32 v7, s31, v6
	s_delay_alu instid0(VALU_DEP_1) | instskip(SKIP_1) | instid1(VALU_DEP_1)
	v_add_nc_u32_e32 v7, v6, v7
	v_mul_lo_u32 v9, v5, s24
	v_sub_nc_u32_e32 v4, v4, v9
	v_mul_lo_u32 v9, v6, s27
	s_delay_alu instid0(VALU_DEP_4) | instskip(NEXT) | instid1(VALU_DEP_3)
	v_lshrrev_b32_e32 v7, s16, v7
	v_mad_u32 v3, v4, s41, v3
	v_mad_u32 v2, v4, s40, v2
	s_delay_alu instid0(VALU_DEP_4) | instskip(NEXT) | instid1(VALU_DEP_4)
	v_sub_nc_u32_e32 v4, v5, v9
	v_mul_hi_u32 v10, s18, v7
	v_mul_lo_u32 v5, v7, s30
	s_delay_alu instid0(VALU_DEP_3) | instskip(SKIP_1) | instid1(VALU_DEP_3)
	v_mad_u32 v3, v4, s43, v3
	v_mad_u32 v2, v4, s42, v2
	v_dual_add_nc_u32 v9, v7, v10 :: v_dual_sub_nc_u32 v5, v6, v5
	s_delay_alu instid0(VALU_DEP_1) | instskip(NEXT) | instid1(VALU_DEP_2)
	v_lshrrev_b32_e32 v4, s19, v9
	v_mad_u32 v3, v5, s45, v3
	s_delay_alu instid0(VALU_DEP_4) | instskip(NEXT) | instid1(VALU_DEP_3)
	v_mad_u32 v2, v5, s44, v2
	v_mul_lo_u32 v6, v4, s17
	s_delay_alu instid0(VALU_DEP_1) | instskip(NEXT) | instid1(VALU_DEP_1)
	v_sub_nc_u32_e32 v5, v7, v6
	v_mad_u32 v3, v5, s47, v3
	s_delay_alu instid0(VALU_DEP_4)
	v_mad_u32 v2, v5, s46, v2
	s_cbranch_scc1 .LBB45_36
; %bb.37:
	s_and_b32 s6, s1, 3
	s_mov_b32 s1, 0
	s_cmp_eq_u32 s6, 0
	s_cbranch_scc0 .LBB45_44
	s_branch .LBB45_46
.LBB45_38:
	s_or_b32 exec_lo, exec_lo, s13
	s_and_saveexec_b32 s0, s12
	s_cbranch_execz .LBB45_102
.LBB45_39:
	; divergent unreachable
	s_or_b32 exec_lo, exec_lo, s0
	s_and_saveexec_b32 s0, s37
	s_cbranch_execnz .LBB45_103
.LBB45_40:
	s_endpgm
.LBB45_41:
	s_mov_b32 s8, -1
                                        ; implicit-def: $vgpr3
	s_branch .LBB45_46
.LBB45_42:
	v_dual_mov_b32 v3, 0 :: v_dual_mov_b32 v2, 0
	s_branch .LBB45_46
.LBB45_43:
	v_mov_b64_e32 v[2:3], 0
	v_mov_b32_e32 v4, v0
	s_mov_b32 s0, 0
	s_and_b32 s6, s1, 3
	s_mov_b32 s1, 0
	s_cmp_eq_u32 s6, 0
	s_cbranch_scc1 .LBB45_46
.LBB45_44:
	s_lshl_b32 s4, s0, 3
	s_mov_b32 s5, s1
	s_mul_u64 s[10:11], s[0:1], 12
	s_add_nc_u64 s[4:5], s[20:21], s[4:5]
	s_delay_alu instid0(SALU_CYCLE_1)
	s_add_nc_u64 s[0:1], s[4:5], 0xc4
	s_add_nc_u64 s[4:5], s[20:21], s[10:11]
.LBB45_45:                              ; =>This Inner Loop Header: Depth=1
	s_load_b96 s[16:18], s[4:5], 0x4
	s_load_b64 s[10:11], s[0:1], 0x0
	s_add_co_i32 s6, s6, -1
	s_wait_xcnt 0x0
	s_add_nc_u64 s[4:5], s[4:5], 12
	s_cmp_lg_u32 s6, 0
	s_add_nc_u64 s[0:1], s[0:1], 8
	s_wait_kmcnt 0x0
	v_mul_hi_u32 v5, s17, v4
	s_delay_alu instid0(VALU_DEP_1) | instskip(NEXT) | instid1(VALU_DEP_1)
	v_add_nc_u32_e32 v5, v4, v5
	v_lshrrev_b32_e32 v5, s18, v5
	s_delay_alu instid0(VALU_DEP_1) | instskip(NEXT) | instid1(VALU_DEP_1)
	v_mul_lo_u32 v6, v5, s16
	v_sub_nc_u32_e32 v4, v4, v6
	s_delay_alu instid0(VALU_DEP_1)
	v_mad_u32 v3, v4, s11, v3
	v_mad_u32 v2, v4, s10, v2
	v_mov_b32_e32 v4, v5
	s_cbranch_scc1 .LBB45_45
.LBB45_46:
	s_and_not1_b32 vcc_lo, exec_lo, s8
	s_cbranch_vccnz .LBB45_49
; %bb.47:
	s_clause 0x1
	s_load_b96 s[4:6], s[20:21], 0x4
	s_load_b64 s[0:1], s[20:21], 0xc4
	s_cmp_lt_u32 s33, 2
	s_wait_kmcnt 0x0
	v_mul_hi_u32 v2, s5, v0
	s_delay_alu instid0(VALU_DEP_1) | instskip(NEXT) | instid1(VALU_DEP_1)
	v_add_nc_u32_e32 v2, v0, v2
	v_lshrrev_b32_e32 v4, s6, v2
	s_delay_alu instid0(VALU_DEP_1) | instskip(NEXT) | instid1(VALU_DEP_1)
	v_mul_lo_u32 v2, v4, s4
	v_sub_nc_u32_e32 v2, v0, v2
	s_delay_alu instid0(VALU_DEP_1)
	v_mul_lo_u32 v3, v2, s1
	v_mul_lo_u32 v2, v2, s0
	s_cbranch_scc1 .LBB45_49
; %bb.48:
	s_clause 0x1
	s_load_b96 s[4:6], s[20:21], 0x10
	s_load_b64 s[0:1], s[20:21], 0xcc
	s_wait_kmcnt 0x0
	v_mul_hi_u32 v5, s5, v4
	s_delay_alu instid0(VALU_DEP_1) | instskip(NEXT) | instid1(VALU_DEP_1)
	v_add_nc_u32_e32 v5, v4, v5
	v_lshrrev_b32_e32 v5, s6, v5
	s_delay_alu instid0(VALU_DEP_1) | instskip(NEXT) | instid1(VALU_DEP_1)
	v_mul_lo_u32 v5, v5, s4
	v_sub_nc_u32_e32 v4, v4, v5
	s_delay_alu instid0(VALU_DEP_1)
	v_mad_u32 v2, v4, s0, v2
	v_mad_u32 v3, v4, s1, v3
.LBB45_49:
	v_cmp_ne_u32_e32 vcc_lo, 1, v8
	v_add_nc_u32_e32 v6, 0x80, v0
	s_cbranch_vccnz .LBB45_55
; %bb.50:
	s_cmp_lg_u32 s33, 0
	s_mov_b32 s8, 0
	s_cbranch_scc0 .LBB45_56
; %bb.51:
	s_min_u32 s1, s36, 15
	s_delay_alu instid0(SALU_CYCLE_1)
	s_add_co_i32 s1, s1, 1
	s_cmp_eq_u32 s36, 2
	s_cbranch_scc1 .LBB45_57
; %bb.52:
	v_dual_mov_b32 v4, 0 :: v_dual_mov_b32 v5, 0
	v_mov_b32_e32 v7, v6
	s_and_b32 s0, s1, 28
	s_add_nc_u64 s[4:5], s[20:21], 0xc4
	s_mov_b32 s9, 0
	s_mov_b64 s[6:7], s[20:21]
.LBB45_53:                              ; =>This Inner Loop Header: Depth=1
	s_clause 0x1
	s_load_b256 s[24:31], s[6:7], 0x4
	s_load_b128 s[16:19], s[6:7], 0x24
	s_load_b256 s[40:47], s[4:5], 0x0
	s_add_co_i32 s9, s9, 4
	s_wait_xcnt 0x0
	s_add_nc_u64 s[6:7], s[6:7], 48
	s_cmp_lg_u32 s0, s9
	s_add_nc_u64 s[4:5], s[4:5], 32
	s_wait_kmcnt 0x0
	v_mul_hi_u32 v9, s25, v7
	s_delay_alu instid0(VALU_DEP_1) | instskip(NEXT) | instid1(VALU_DEP_1)
	v_add_nc_u32_e32 v9, v7, v9
	v_lshrrev_b32_e32 v9, s26, v9
	s_delay_alu instid0(VALU_DEP_1) | instskip(NEXT) | instid1(VALU_DEP_1)
	v_mul_hi_u32 v10, s28, v9
	v_add_nc_u32_e32 v10, v9, v10
	s_delay_alu instid0(VALU_DEP_1) | instskip(NEXT) | instid1(VALU_DEP_1)
	v_lshrrev_b32_e32 v10, s29, v10
	v_mul_hi_u32 v11, s31, v10
	s_delay_alu instid0(VALU_DEP_1) | instskip(SKIP_1) | instid1(VALU_DEP_1)
	v_add_nc_u32_e32 v11, v10, v11
	v_mul_lo_u32 v12, v9, s24
	v_sub_nc_u32_e32 v7, v7, v12
	v_mul_lo_u32 v12, v10, s27
	s_delay_alu instid0(VALU_DEP_4) | instskip(NEXT) | instid1(VALU_DEP_3)
	v_lshrrev_b32_e32 v11, s16, v11
	v_mad_u32 v5, v7, s41, v5
	v_mad_u32 v4, v7, s40, v4
	s_delay_alu instid0(VALU_DEP_4) | instskip(NEXT) | instid1(VALU_DEP_4)
	v_sub_nc_u32_e32 v7, v9, v12
	v_mul_hi_u32 v13, s18, v11
	v_mul_lo_u32 v9, v11, s30
	s_delay_alu instid0(VALU_DEP_3) | instskip(SKIP_1) | instid1(VALU_DEP_4)
	v_mad_u32 v5, v7, s43, v5
	v_mad_u32 v4, v7, s42, v4
	v_add_nc_u32_e32 v12, v11, v13
	s_delay_alu instid0(VALU_DEP_1) | instskip(NEXT) | instid1(VALU_DEP_1)
	v_dual_sub_nc_u32 v9, v10, v9 :: v_dual_lshrrev_b32 v7, s19, v12
	v_mad_u32 v5, v9, s45, v5
	s_delay_alu instid0(VALU_DEP_4) | instskip(NEXT) | instid1(VALU_DEP_3)
	v_mad_u32 v4, v9, s44, v4
	v_mul_lo_u32 v10, v7, s17
	s_delay_alu instid0(VALU_DEP_1) | instskip(NEXT) | instid1(VALU_DEP_1)
	v_sub_nc_u32_e32 v9, v11, v10
	v_mad_u32 v5, v9, s47, v5
	s_delay_alu instid0(VALU_DEP_4)
	v_mad_u32 v4, v9, s46, v4
	s_cbranch_scc1 .LBB45_53
; %bb.54:
	s_and_b32 s6, s1, 3
	s_mov_b32 s1, 0
	s_cmp_eq_u32 s6, 0
	s_cbranch_scc0 .LBB45_58
	s_branch .LBB45_60
.LBB45_55:
	s_mov_b32 s8, -1
                                        ; implicit-def: $vgpr5
	s_branch .LBB45_60
.LBB45_56:
	v_dual_mov_b32 v5, 0 :: v_dual_mov_b32 v4, 0
	s_branch .LBB45_60
.LBB45_57:
	v_mov_b64_e32 v[4:5], 0
	v_mov_b32_e32 v7, v6
	s_mov_b32 s0, 0
	s_and_b32 s6, s1, 3
	s_mov_b32 s1, 0
	s_cmp_eq_u32 s6, 0
	s_cbranch_scc1 .LBB45_60
.LBB45_58:
	s_lshl_b32 s4, s0, 3
	s_mov_b32 s5, s1
	s_mul_u64 s[10:11], s[0:1], 12
	s_add_nc_u64 s[4:5], s[20:21], s[4:5]
	s_delay_alu instid0(SALU_CYCLE_1)
	s_add_nc_u64 s[0:1], s[4:5], 0xc4
	s_add_nc_u64 s[4:5], s[20:21], s[10:11]
.LBB45_59:                              ; =>This Inner Loop Header: Depth=1
	s_load_b96 s[16:18], s[4:5], 0x4
	s_load_b64 s[10:11], s[0:1], 0x0
	s_add_co_i32 s6, s6, -1
	s_wait_xcnt 0x0
	s_add_nc_u64 s[4:5], s[4:5], 12
	s_cmp_lg_u32 s6, 0
	s_add_nc_u64 s[0:1], s[0:1], 8
	s_wait_kmcnt 0x0
	v_mul_hi_u32 v9, s17, v7
	s_delay_alu instid0(VALU_DEP_1) | instskip(NEXT) | instid1(VALU_DEP_1)
	v_add_nc_u32_e32 v9, v7, v9
	v_lshrrev_b32_e32 v9, s18, v9
	s_delay_alu instid0(VALU_DEP_1) | instskip(NEXT) | instid1(VALU_DEP_1)
	v_mul_lo_u32 v10, v9, s16
	v_sub_nc_u32_e32 v7, v7, v10
	s_delay_alu instid0(VALU_DEP_1)
	v_mad_u32 v5, v7, s11, v5
	v_mad_u32 v4, v7, s10, v4
	v_mov_b32_e32 v7, v9
	s_cbranch_scc1 .LBB45_59
.LBB45_60:
	s_and_not1_b32 vcc_lo, exec_lo, s8
	s_cbranch_vccnz .LBB45_63
; %bb.61:
	s_clause 0x1
	s_load_b96 s[4:6], s[20:21], 0x4
	s_load_b64 s[0:1], s[20:21], 0xc4
	s_cmp_lt_u32 s33, 2
	s_wait_kmcnt 0x0
	v_mul_hi_u32 v4, s5, v6
	s_delay_alu instid0(VALU_DEP_1) | instskip(NEXT) | instid1(VALU_DEP_1)
	v_add_nc_u32_e32 v4, v6, v4
	v_lshrrev_b32_e32 v7, s6, v4
	s_delay_alu instid0(VALU_DEP_1) | instskip(NEXT) | instid1(VALU_DEP_1)
	v_mul_lo_u32 v4, v7, s4
	v_sub_nc_u32_e32 v4, v6, v4
	s_delay_alu instid0(VALU_DEP_1)
	v_mul_lo_u32 v5, v4, s1
	v_mul_lo_u32 v4, v4, s0
	s_cbranch_scc1 .LBB45_63
; %bb.62:
	s_clause 0x1
	s_load_b96 s[4:6], s[20:21], 0x10
	s_load_b64 s[0:1], s[20:21], 0xcc
	s_wait_kmcnt 0x0
	v_mul_hi_u32 v6, s5, v7
	s_delay_alu instid0(VALU_DEP_1) | instskip(NEXT) | instid1(VALU_DEP_1)
	v_add_nc_u32_e32 v6, v7, v6
	v_lshrrev_b32_e32 v6, s6, v6
	s_delay_alu instid0(VALU_DEP_1) | instskip(NEXT) | instid1(VALU_DEP_1)
	v_mul_lo_u32 v6, v6, s4
	v_sub_nc_u32_e32 v6, v7, v6
	s_delay_alu instid0(VALU_DEP_1)
	v_mad_u32 v4, v6, s0, v4
	v_mad_u32 v5, v6, s1, v5
.LBB45_63:
	v_cmp_ne_u32_e32 vcc_lo, 1, v8
	v_add_nc_u32_e32 v0, 0x100, v0
	s_cbranch_vccnz .LBB45_69
; %bb.64:
	s_cmp_lg_u32 s33, 0
	s_mov_b32 s8, 0
	s_cbranch_scc0 .LBB45_70
; %bb.65:
	s_min_u32 s1, s36, 15
	s_delay_alu instid0(SALU_CYCLE_1)
	s_add_co_i32 s1, s1, 1
	s_cmp_eq_u32 s36, 2
	s_cbranch_scc1 .LBB45_71
; %bb.66:
	v_dual_mov_b32 v6, 0 :: v_dual_mov_b32 v7, 0
	v_mov_b32_e32 v9, v0
	s_and_b32 s0, s1, 28
	s_add_nc_u64 s[4:5], s[20:21], 0xc4
	s_mov_b32 s9, 0
	s_mov_b64 s[6:7], s[20:21]
.LBB45_67:                              ; =>This Inner Loop Header: Depth=1
	s_clause 0x1
	s_load_b256 s[24:31], s[6:7], 0x4
	s_load_b128 s[16:19], s[6:7], 0x24
	s_load_b256 s[40:47], s[4:5], 0x0
	s_add_co_i32 s9, s9, 4
	s_wait_xcnt 0x0
	s_add_nc_u64 s[6:7], s[6:7], 48
	s_cmp_lg_u32 s0, s9
	s_add_nc_u64 s[4:5], s[4:5], 32
	s_wait_kmcnt 0x0
	v_mul_hi_u32 v10, s25, v9
	s_delay_alu instid0(VALU_DEP_1) | instskip(NEXT) | instid1(VALU_DEP_1)
	v_add_nc_u32_e32 v10, v9, v10
	v_lshrrev_b32_e32 v10, s26, v10
	s_delay_alu instid0(VALU_DEP_1) | instskip(NEXT) | instid1(VALU_DEP_1)
	v_mul_hi_u32 v11, s28, v10
	v_add_nc_u32_e32 v11, v10, v11
	s_delay_alu instid0(VALU_DEP_1) | instskip(NEXT) | instid1(VALU_DEP_1)
	v_lshrrev_b32_e32 v11, s29, v11
	v_mul_hi_u32 v12, s31, v11
	s_delay_alu instid0(VALU_DEP_1) | instskip(SKIP_1) | instid1(VALU_DEP_1)
	v_add_nc_u32_e32 v12, v11, v12
	v_mul_lo_u32 v13, v10, s24
	v_sub_nc_u32_e32 v9, v9, v13
	v_mul_lo_u32 v13, v11, s27
	s_delay_alu instid0(VALU_DEP_4) | instskip(NEXT) | instid1(VALU_DEP_3)
	v_lshrrev_b32_e32 v12, s16, v12
	v_mad_u32 v7, v9, s41, v7
	v_mad_u32 v6, v9, s40, v6
	s_delay_alu instid0(VALU_DEP_4) | instskip(NEXT) | instid1(VALU_DEP_4)
	v_sub_nc_u32_e32 v9, v10, v13
	v_mul_hi_u32 v14, s18, v12
	v_mul_lo_u32 v10, v12, s30
	s_delay_alu instid0(VALU_DEP_3) | instskip(SKIP_1) | instid1(VALU_DEP_4)
	v_mad_u32 v7, v9, s43, v7
	v_mad_u32 v6, v9, s42, v6
	v_add_nc_u32_e32 v13, v12, v14
	s_delay_alu instid0(VALU_DEP_1) | instskip(NEXT) | instid1(VALU_DEP_1)
	v_dual_sub_nc_u32 v10, v11, v10 :: v_dual_lshrrev_b32 v9, s19, v13
	v_mad_u32 v7, v10, s45, v7
	s_delay_alu instid0(VALU_DEP_4) | instskip(NEXT) | instid1(VALU_DEP_3)
	v_mad_u32 v6, v10, s44, v6
	v_mul_lo_u32 v11, v9, s17
	s_delay_alu instid0(VALU_DEP_1) | instskip(NEXT) | instid1(VALU_DEP_1)
	v_sub_nc_u32_e32 v10, v12, v11
	v_mad_u32 v7, v10, s47, v7
	s_delay_alu instid0(VALU_DEP_4)
	v_mad_u32 v6, v10, s46, v6
	s_cbranch_scc1 .LBB45_67
; %bb.68:
	s_and_b32 s6, s1, 3
	s_mov_b32 s1, 0
	s_cmp_eq_u32 s6, 0
	s_cbranch_scc0 .LBB45_72
	s_branch .LBB45_74
.LBB45_69:
	s_mov_b32 s8, -1
                                        ; implicit-def: $vgpr7
	s_branch .LBB45_74
.LBB45_70:
	v_dual_mov_b32 v7, 0 :: v_dual_mov_b32 v6, 0
	s_branch .LBB45_74
.LBB45_71:
	v_mov_b64_e32 v[6:7], 0
	v_mov_b32_e32 v9, v0
	s_mov_b32 s0, 0
	s_and_b32 s6, s1, 3
	s_mov_b32 s1, 0
	s_cmp_eq_u32 s6, 0
	s_cbranch_scc1 .LBB45_74
.LBB45_72:
	s_lshl_b32 s4, s0, 3
	s_mov_b32 s5, s1
	s_mul_u64 s[10:11], s[0:1], 12
	s_add_nc_u64 s[4:5], s[20:21], s[4:5]
	s_delay_alu instid0(SALU_CYCLE_1)
	s_add_nc_u64 s[0:1], s[4:5], 0xc4
	s_add_nc_u64 s[4:5], s[20:21], s[10:11]
.LBB45_73:                              ; =>This Inner Loop Header: Depth=1
	s_load_b96 s[16:18], s[4:5], 0x4
	s_load_b64 s[10:11], s[0:1], 0x0
	s_add_co_i32 s6, s6, -1
	s_wait_xcnt 0x0
	s_add_nc_u64 s[4:5], s[4:5], 12
	s_cmp_lg_u32 s6, 0
	s_add_nc_u64 s[0:1], s[0:1], 8
	s_wait_kmcnt 0x0
	v_mul_hi_u32 v10, s17, v9
	s_delay_alu instid0(VALU_DEP_1) | instskip(NEXT) | instid1(VALU_DEP_1)
	v_add_nc_u32_e32 v10, v9, v10
	v_lshrrev_b32_e32 v10, s18, v10
	s_delay_alu instid0(VALU_DEP_1) | instskip(NEXT) | instid1(VALU_DEP_1)
	v_mul_lo_u32 v11, v10, s16
	v_sub_nc_u32_e32 v9, v9, v11
	s_delay_alu instid0(VALU_DEP_1)
	v_mad_u32 v7, v9, s11, v7
	v_mad_u32 v6, v9, s10, v6
	v_mov_b32_e32 v9, v10
	s_cbranch_scc1 .LBB45_73
.LBB45_74:
	s_and_not1_b32 vcc_lo, exec_lo, s8
	s_cbranch_vccnz .LBB45_77
; %bb.75:
	s_clause 0x1
	s_load_b96 s[4:6], s[20:21], 0x4
	s_load_b64 s[0:1], s[20:21], 0xc4
	s_cmp_lt_u32 s33, 2
	s_wait_kmcnt 0x0
	v_mul_hi_u32 v6, s5, v0
	s_delay_alu instid0(VALU_DEP_1) | instskip(NEXT) | instid1(VALU_DEP_1)
	v_add_nc_u32_e32 v6, v0, v6
	v_lshrrev_b32_e32 v9, s6, v6
	s_delay_alu instid0(VALU_DEP_1) | instskip(NEXT) | instid1(VALU_DEP_1)
	v_mul_lo_u32 v6, v9, s4
	v_sub_nc_u32_e32 v0, v0, v6
	s_delay_alu instid0(VALU_DEP_1)
	v_mul_lo_u32 v7, v0, s1
	v_mul_lo_u32 v6, v0, s0
	s_cbranch_scc1 .LBB45_77
; %bb.76:
	s_clause 0x1
	s_load_b96 s[4:6], s[20:21], 0x10
	s_load_b64 s[0:1], s[20:21], 0xcc
	s_wait_kmcnt 0x0
	v_mul_hi_u32 v0, s5, v9
	s_delay_alu instid0(VALU_DEP_1) | instskip(NEXT) | instid1(VALU_DEP_1)
	v_add_nc_u32_e32 v0, v9, v0
	v_lshrrev_b32_e32 v0, s6, v0
	s_delay_alu instid0(VALU_DEP_1) | instskip(NEXT) | instid1(VALU_DEP_1)
	v_mul_lo_u32 v0, v0, s4
	v_sub_nc_u32_e32 v0, v9, v0
	s_delay_alu instid0(VALU_DEP_1)
	v_mad_u32 v6, v0, s0, v6
	v_mad_u32 v7, v0, s1, v7
.LBB45_77:
	v_cmp_ne_u32_e32 vcc_lo, 1, v8
	s_cbranch_vccnz .LBB45_83
; %bb.78:
	s_cmp_lg_u32 s33, 0
	s_mov_b32 s8, 0
	s_cbranch_scc0 .LBB45_84
; %bb.79:
	s_min_u32 s1, s36, 15
	s_delay_alu instid0(SALU_CYCLE_1)
	s_add_co_i32 s1, s1, 1
	s_cmp_eq_u32 s36, 2
	s_cbranch_scc1 .LBB45_85
; %bb.80:
	v_dual_mov_b32 v8, 0 :: v_dual_mov_b32 v9, 0
	v_mov_b32_e32 v0, v1
	s_and_b32 s0, s1, 28
	s_add_nc_u64 s[4:5], s[20:21], 0xc4
	s_mov_b32 s9, 0
	s_mov_b64 s[6:7], s[20:21]
.LBB45_81:                              ; =>This Inner Loop Header: Depth=1
	s_clause 0x1
	s_load_b256 s[24:31], s[6:7], 0x4
	s_load_b128 s[16:19], s[6:7], 0x24
	s_load_b256 s[36:43], s[4:5], 0x0
	s_add_co_i32 s9, s9, 4
	s_wait_xcnt 0x0
	s_add_nc_u64 s[6:7], s[6:7], 48
	s_cmp_lg_u32 s0, s9
	s_add_nc_u64 s[4:5], s[4:5], 32
	s_wait_kmcnt 0x0
	v_mul_hi_u32 v10, s25, v0
	s_delay_alu instid0(VALU_DEP_1) | instskip(NEXT) | instid1(VALU_DEP_1)
	v_add_nc_u32_e32 v10, v0, v10
	v_lshrrev_b32_e32 v10, s26, v10
	s_delay_alu instid0(VALU_DEP_1) | instskip(NEXT) | instid1(VALU_DEP_1)
	v_mul_hi_u32 v11, s28, v10
	v_add_nc_u32_e32 v11, v10, v11
	s_delay_alu instid0(VALU_DEP_1) | instskip(NEXT) | instid1(VALU_DEP_1)
	v_lshrrev_b32_e32 v11, s29, v11
	v_mul_hi_u32 v12, s31, v11
	s_delay_alu instid0(VALU_DEP_1) | instskip(SKIP_1) | instid1(VALU_DEP_1)
	v_add_nc_u32_e32 v12, v11, v12
	v_mul_lo_u32 v13, v10, s24
	v_sub_nc_u32_e32 v0, v0, v13
	v_mul_lo_u32 v13, v11, s27
	s_delay_alu instid0(VALU_DEP_4) | instskip(NEXT) | instid1(VALU_DEP_3)
	v_lshrrev_b32_e32 v12, s16, v12
	v_mad_u32 v9, v0, s37, v9
	v_mad_u32 v0, v0, s36, v8
	s_delay_alu instid0(VALU_DEP_4) | instskip(NEXT) | instid1(VALU_DEP_4)
	v_sub_nc_u32_e32 v8, v10, v13
	v_mul_hi_u32 v14, s18, v12
	v_mul_lo_u32 v10, v12, s30
	s_delay_alu instid0(VALU_DEP_3) | instskip(SKIP_1) | instid1(VALU_DEP_4)
	v_mad_u32 v9, v8, s39, v9
	v_mad_u32 v8, v8, s38, v0
	v_add_nc_u32_e32 v13, v12, v14
	s_delay_alu instid0(VALU_DEP_1) | instskip(NEXT) | instid1(VALU_DEP_1)
	v_dual_sub_nc_u32 v10, v11, v10 :: v_dual_lshrrev_b32 v0, s19, v13
	v_mad_u32 v9, v10, s41, v9
	s_delay_alu instid0(VALU_DEP_4) | instskip(NEXT) | instid1(VALU_DEP_3)
	v_mad_u32 v8, v10, s40, v8
	v_mul_lo_u32 v11, v0, s17
	s_delay_alu instid0(VALU_DEP_1) | instskip(NEXT) | instid1(VALU_DEP_1)
	v_sub_nc_u32_e32 v10, v12, v11
	v_mad_u32 v9, v10, s43, v9
	s_delay_alu instid0(VALU_DEP_4)
	v_mad_u32 v8, v10, s42, v8
	s_cbranch_scc1 .LBB45_81
; %bb.82:
	s_and_b32 s6, s1, 3
	s_mov_b32 s1, 0
	s_cmp_eq_u32 s6, 0
	s_cbranch_scc0 .LBB45_86
	s_branch .LBB45_88
.LBB45_83:
	s_mov_b32 s8, -1
                                        ; implicit-def: $vgpr9
	s_branch .LBB45_88
.LBB45_84:
	v_dual_mov_b32 v9, 0 :: v_dual_mov_b32 v8, 0
	s_branch .LBB45_88
.LBB45_85:
	v_mov_b64_e32 v[8:9], 0
	v_mov_b32_e32 v0, v1
	s_mov_b32 s0, 0
	s_and_b32 s6, s1, 3
	s_mov_b32 s1, 0
	s_cmp_eq_u32 s6, 0
	s_cbranch_scc1 .LBB45_88
.LBB45_86:
	s_lshl_b32 s4, s0, 3
	s_mov_b32 s5, s1
	s_mul_u64 s[10:11], s[0:1], 12
	s_add_nc_u64 s[4:5], s[20:21], s[4:5]
	s_delay_alu instid0(SALU_CYCLE_1)
	s_add_nc_u64 s[0:1], s[4:5], 0xc4
	s_add_nc_u64 s[4:5], s[20:21], s[10:11]
.LBB45_87:                              ; =>This Inner Loop Header: Depth=1
	s_load_b96 s[16:18], s[4:5], 0x4
	s_load_b64 s[10:11], s[0:1], 0x0
	s_add_co_i32 s6, s6, -1
	s_wait_xcnt 0x0
	s_add_nc_u64 s[4:5], s[4:5], 12
	s_cmp_lg_u32 s6, 0
	s_add_nc_u64 s[0:1], s[0:1], 8
	s_wait_kmcnt 0x0
	v_mul_hi_u32 v10, s17, v0
	s_delay_alu instid0(VALU_DEP_1) | instskip(NEXT) | instid1(VALU_DEP_1)
	v_add_nc_u32_e32 v10, v0, v10
	v_lshrrev_b32_e32 v10, s18, v10
	s_delay_alu instid0(VALU_DEP_1) | instskip(NEXT) | instid1(VALU_DEP_1)
	v_mul_lo_u32 v11, v10, s16
	v_sub_nc_u32_e32 v0, v0, v11
	s_delay_alu instid0(VALU_DEP_1)
	v_mad_u32 v9, v0, s11, v9
	v_mad_u32 v8, v0, s10, v8
	v_mov_b32_e32 v0, v10
	s_cbranch_scc1 .LBB45_87
.LBB45_88:
	s_and_not1_b32 vcc_lo, exec_lo, s8
	s_cbranch_vccnz .LBB45_91
; %bb.89:
	s_clause 0x1
	s_load_b96 s[4:6], s[20:21], 0x4
	s_load_b64 s[0:1], s[20:21], 0xc4
	s_cmp_lt_u32 s33, 2
	s_wait_kmcnt 0x0
	v_mul_hi_u32 v0, s5, v1
	s_delay_alu instid0(VALU_DEP_1) | instskip(NEXT) | instid1(VALU_DEP_1)
	v_add_nc_u32_e32 v0, v1, v0
	v_lshrrev_b32_e32 v0, s6, v0
	s_delay_alu instid0(VALU_DEP_1) | instskip(NEXT) | instid1(VALU_DEP_1)
	v_mul_lo_u32 v8, v0, s4
	v_sub_nc_u32_e32 v1, v1, v8
	s_delay_alu instid0(VALU_DEP_1)
	v_mul_lo_u32 v9, v1, s1
	v_mul_lo_u32 v8, v1, s0
	s_cbranch_scc1 .LBB45_91
; %bb.90:
	s_clause 0x1
	s_load_b96 s[4:6], s[20:21], 0x10
	s_load_b64 s[0:1], s[20:21], 0xcc
	s_wait_kmcnt 0x0
	v_mul_hi_u32 v1, s5, v0
	s_delay_alu instid0(VALU_DEP_1) | instskip(NEXT) | instid1(VALU_DEP_1)
	v_add_nc_u32_e32 v1, v0, v1
	v_lshrrev_b32_e32 v1, s6, v1
	s_delay_alu instid0(VALU_DEP_1) | instskip(NEXT) | instid1(VALU_DEP_1)
	v_mul_lo_u32 v1, v1, s4
	v_sub_nc_u32_e32 v0, v0, v1
	s_delay_alu instid0(VALU_DEP_1)
	v_mad_u32 v8, v0, s0, v8
	v_mad_u32 v9, v0, s1, v9
.LBB45_91:
	s_load_b256 s[4:11], s[20:21], 0x148
	s_wait_kmcnt 0x0
	global_load_b64 v[0:1], v3, s[6:7]
	s_wait_loadcnt 0x0
	v_cmp_gt_i64_e32 vcc_lo, s[8:9], v[0:1]
	v_cmp_le_i64_e64 s0, s[10:11], v[0:1]
	s_or_b32 s0, vcc_lo, s0
	s_cmp_eq_u64 s[2:3], 0
	s_cselect_b32 s1, -1, 0
	s_delay_alu instid0(SALU_CYCLE_1) | instskip(SKIP_3) | instid1(SALU_CYCLE_1)
	s_or_b32 s0, s1, s0
	s_mov_b32 s1, s12
	s_wait_xcnt 0x0
	s_and_saveexec_b32 s2, s0
	s_xor_b32 s0, exec_lo, s2
	s_cbranch_execnz .LBB45_157
; %bb.92:
	s_or_saveexec_b32 s2, s0
	s_mov_b32 s0, 0
	s_xor_b32 exec_lo, exec_lo, s2
	s_cbranch_execz .LBB45_101
.LBB45_93:
	global_load_b64 v[0:1], v5, s[6:7]
	s_mov_b32 s3, s1
	s_wait_loadcnt 0x0
	v_cmp_gt_i64_e32 vcc_lo, s[8:9], v[0:1]
	v_cmp_le_i64_e64 s0, s[10:11], v[0:1]
	s_or_b32 s0, vcc_lo, s0
	s_wait_xcnt 0x0
	s_and_saveexec_b32 s14, s0
	s_delay_alu instid0(SALU_CYCLE_1)
	s_xor_b32 s0, exec_lo, s14
	s_cbranch_execnz .LBB45_158
; %bb.94:
	s_or_saveexec_b32 s14, s0
	s_mov_b32 s0, 0
	s_xor_b32 exec_lo, exec_lo, s14
	s_cbranch_execz .LBB45_100
.LBB45_95:
	global_load_b64 v[0:1], v7, s[6:7]
	s_mov_b32 s15, s3
	s_wait_loadcnt 0x0
	v_cmp_gt_i64_e32 vcc_lo, s[8:9], v[0:1]
	v_cmp_le_i64_e64 s0, s[10:11], v[0:1]
	s_or_b32 s0, vcc_lo, s0
	s_wait_xcnt 0x0
	s_and_saveexec_b32 s16, s0
	s_delay_alu instid0(SALU_CYCLE_1)
	s_xor_b32 s0, exec_lo, s16
	s_cbranch_execnz .LBB45_159
; %bb.96:
	s_or_saveexec_b32 s16, s0
	s_mov_b32 s0, 0
	s_xor_b32 exec_lo, exec_lo, s16
	s_cbranch_execz .LBB45_99
.LBB45_97:
	global_load_b64 v[0:1], v9, s[6:7]
	s_wait_xcnt 0x0
	s_mov_b32 s6, -1
	s_wait_loadcnt 0x0
	v_cmp_gt_i64_e32 vcc_lo, s[8:9], v[0:1]
	v_cmp_le_i64_e64 s0, s[10:11], v[0:1]
	s_or_b32 s8, vcc_lo, s0
	s_mov_b32 s0, s15
	s_and_saveexec_b32 s7, s8
	s_cbranch_execnz .LBB45_160
.LBB45_98:
	s_or_b32 exec_lo, exec_lo, s7
	s_delay_alu instid0(SALU_CYCLE_1)
	s_and_not1_b32 s7, s15, exec_lo
	s_and_b32 s8, s0, exec_lo
	s_and_b32 s0, s6, exec_lo
	s_or_b32 s15, s7, s8
.LBB45_99:
	s_or_b32 exec_lo, exec_lo, s16
	s_delay_alu instid0(SALU_CYCLE_1)
	s_and_not1_b32 s3, s3, exec_lo
	s_and_b32 s6, s15, exec_lo
	s_and_b32 s0, s0, exec_lo
	s_or_b32 s3, s3, s6
.LBB45_100:
	s_or_b32 exec_lo, exec_lo, s14
	s_delay_alu instid0(SALU_CYCLE_1)
	s_and_not1_b32 s1, s1, exec_lo
	s_and_b32 s3, s3, exec_lo
	s_and_b32 s0, s0, exec_lo
	s_or_b32 s1, s1, s3
.LBB45_101:
	s_or_b32 exec_lo, exec_lo, s2
	s_delay_alu instid0(SALU_CYCLE_1)
	s_and_not1_b32 s2, s12, exec_lo
	s_and_b32 s1, s1, exec_lo
	s_and_b32 s37, s0, exec_lo
	s_or_b32 s12, s2, s1
	s_or_b32 exec_lo, exec_lo, s13
	s_and_saveexec_b32 s0, s12
	s_cbranch_execnz .LBB45_39
.LBB45_102:
	s_or_b32 exec_lo, exec_lo, s0
	s_and_saveexec_b32 s0, s37
	s_cbranch_execz .LBB45_40
.LBB45_103:
	v_mov_b64_e32 v[0:1], 0
	s_clause 0x3
	global_store_b64 v2, v[0:1], s[4:5]
	global_store_b64 v4, v[0:1], s[4:5]
	;; [unrolled: 1-line block ×4, first 2 shown]
	s_endpgm
.LBB45_104:
	v_dual_mov_b32 v3, 0 :: v_dual_mov_b32 v2, 0
	s_branch .LBB45_109
.LBB45_105:
	v_mov_b64_e32 v[2:3], 0
	v_mov_b32_e32 v1, v0
	s_mov_b32 s28, 0
.LBB45_106:
	s_and_b32 s0, s0, 3
	s_mov_b32 s29, 0
	s_cmp_eq_u32 s0, 0
	s_cbranch_scc1 .LBB45_109
; %bb.107:
	s_lshl_b32 s30, s28, 3
	s_mov_b32 s31, s29
	s_mul_u64 s[34:35], s[28:29], 12
	s_add_nc_u64 s[30:31], s[20:21], s[30:31]
	s_delay_alu instid0(SALU_CYCLE_1)
	s_add_nc_u64 s[28:29], s[30:31], 0xc4
	s_add_nc_u64 s[30:31], s[20:21], s[34:35]
.LBB45_108:                             ; =>This Inner Loop Header: Depth=1
	s_load_b96 s[48:50], s[30:31], 0x4
	s_load_b64 s[34:35], s[28:29], 0x0
	s_add_co_i32 s0, s0, -1
	s_wait_xcnt 0x0
	s_add_nc_u64 s[30:31], s[30:31], 12
	s_cmp_lg_u32 s0, 0
	s_add_nc_u64 s[28:29], s[28:29], 8
	s_wait_kmcnt 0x0
	v_mul_hi_u32 v4, s49, v1
	s_delay_alu instid0(VALU_DEP_1) | instskip(NEXT) | instid1(VALU_DEP_1)
	v_add_nc_u32_e32 v4, v1, v4
	v_lshrrev_b32_e32 v4, s50, v4
	s_delay_alu instid0(VALU_DEP_1) | instskip(NEXT) | instid1(VALU_DEP_1)
	v_mul_lo_u32 v5, v4, s48
	v_sub_nc_u32_e32 v1, v1, v5
	s_delay_alu instid0(VALU_DEP_1)
	v_mad_u32 v3, v1, s35, v3
	v_mad_u32 v2, v1, s34, v2
	v_mov_b32_e32 v1, v4
	s_cbranch_scc1 .LBB45_108
.LBB45_109:
	s_cbranch_execnz .LBB45_112
.LBB45_110:
	v_mov_b32_e32 v1, 0
	s_and_not1_b32 vcc_lo, exec_lo, s41
	s_delay_alu instid0(VALU_DEP_1) | instskip(NEXT) | instid1(VALU_DEP_1)
	v_mul_u64_e32 v[2:3], s[22:23], v[0:1]
	v_add_nc_u32_e32 v2, v0, v3
	s_delay_alu instid0(VALU_DEP_1) | instskip(NEXT) | instid1(VALU_DEP_1)
	v_lshrrev_b32_e32 v4, s14, v2
	v_mul_lo_u32 v2, v4, s12
	s_delay_alu instid0(VALU_DEP_1) | instskip(NEXT) | instid1(VALU_DEP_1)
	v_sub_nc_u32_e32 v2, v0, v2
	v_mul_lo_u32 v3, v2, s17
	v_mul_lo_u32 v2, v2, s16
	s_cbranch_vccnz .LBB45_112
; %bb.111:
	v_mov_b32_e32 v5, v1
	s_delay_alu instid0(VALU_DEP_1) | instskip(NEXT) | instid1(VALU_DEP_1)
	v_mul_u64_e32 v[6:7], s[24:25], v[4:5]
	v_add_nc_u32_e32 v1, v4, v7
	s_delay_alu instid0(VALU_DEP_1) | instskip(NEXT) | instid1(VALU_DEP_1)
	v_lshrrev_b32_e32 v1, s1, v1
	v_mul_lo_u32 v1, v1, s15
	s_delay_alu instid0(VALU_DEP_1) | instskip(NEXT) | instid1(VALU_DEP_1)
	v_sub_nc_u32_e32 v1, v4, v1
	v_mad_u32 v2, v1, s18, v2
	v_mad_u32 v3, v1, s19, v3
.LBB45_112:
	global_load_b64 v[4:5], v3, s[6:7]
	s_wait_loadcnt 0x0
	v_cmp_le_i64_e32 vcc_lo, s[8:9], v[4:5]
	v_cmp_gt_i64_e64 s0, s[10:11], v[4:5]
	s_and_b32 s28, vcc_lo, s0
	s_mov_b32 s0, 0
	s_and_b32 s30, s40, s28
	s_mov_b32 s28, -1
	s_wait_xcnt 0x0
	s_and_saveexec_b32 s29, s30
; %bb.113:
	v_mov_b64_e32 v[4:5], 0
	v_add_nc_u32_e32 v0, 0x80, v0
	s_mov_b32 s0, exec_lo
	s_xor_b32 s28, exec_lo, -1
	global_store_b64 v2, v[4:5], s[4:5]
; %bb.114:
	s_wait_xcnt 0x0
	s_or_b32 exec_lo, exec_lo, s29
	s_delay_alu instid0(SALU_CYCLE_1)
	s_and_not1_b32 s29, s13, exec_lo
	s_and_b32 s28, s28, exec_lo
	s_or_not1_b32 s0, s0, exec_lo
	s_or_b32 s46, s29, s28
.LBB45_115:
	s_or_b32 exec_lo, exec_lo, s47
	s_mov_b32 s28, 0
                                        ; implicit-def: $vgpr2
	s_and_saveexec_b32 s47, s0
	s_cbranch_execz .LBB45_155
; %bb.116:
	s_mov_b32 s0, -1
	s_mov_b32 s34, s46
	s_mov_b32 s48, exec_lo
	v_cmpx_gt_i32_e64 s42, v0
	s_cbranch_execz .LBB45_135
; %bb.117:
	s_and_not1_b32 vcc_lo, exec_lo, s38
	s_cbranch_vccnz .LBB45_122
; %bb.118:
	s_and_not1_b32 vcc_lo, exec_lo, s44
	s_cbranch_vccnz .LBB45_123
; %bb.119:
	s_add_co_i32 s0, s43, 1
	s_cmp_eq_u32 s36, 2
	s_cbranch_scc1 .LBB45_124
; %bb.120:
	v_dual_mov_b32 v2, 0 :: v_dual_mov_b32 v3, 0
	v_mov_b32_e32 v1, v0
	s_and_b32 s28, s0, 28
	s_mov_b32 s29, 0
	s_mov_b64 s[30:31], s[20:21]
	s_mov_b64 s[34:35], s[26:27]
.LBB45_121:                             ; =>This Inner Loop Header: Depth=1
	s_clause 0x1
	s_load_b256 s[52:59], s[30:31], 0x4
	s_load_b128 s[68:71], s[30:31], 0x24
	s_load_b256 s[60:67], s[34:35], 0x0
	s_add_co_i32 s29, s29, 4
	s_wait_xcnt 0x0
	s_add_nc_u64 s[30:31], s[30:31], 48
	s_cmp_eq_u32 s28, s29
	s_add_nc_u64 s[34:35], s[34:35], 32
	s_wait_kmcnt 0x0
	v_mul_hi_u32 v4, s53, v1
	s_delay_alu instid0(VALU_DEP_1) | instskip(NEXT) | instid1(VALU_DEP_1)
	v_add_nc_u32_e32 v4, v1, v4
	v_lshrrev_b32_e32 v4, s54, v4
	s_delay_alu instid0(VALU_DEP_1) | instskip(NEXT) | instid1(VALU_DEP_1)
	v_mul_hi_u32 v5, s56, v4
	v_add_nc_u32_e32 v5, v4, v5
	s_delay_alu instid0(VALU_DEP_1) | instskip(NEXT) | instid1(VALU_DEP_1)
	v_lshrrev_b32_e32 v5, s57, v5
	v_mul_hi_u32 v6, s59, v5
	s_delay_alu instid0(VALU_DEP_1) | instskip(SKIP_1) | instid1(VALU_DEP_1)
	v_add_nc_u32_e32 v6, v5, v6
	v_mul_lo_u32 v7, v4, s52
	v_sub_nc_u32_e32 v1, v1, v7
	v_mul_lo_u32 v7, v5, s55
	s_delay_alu instid0(VALU_DEP_4) | instskip(NEXT) | instid1(VALU_DEP_3)
	v_lshrrev_b32_e32 v6, s68, v6
	v_mad_u32 v3, v1, s61, v3
	v_mad_u32 v1, v1, s60, v2
	s_delay_alu instid0(VALU_DEP_4) | instskip(NEXT) | instid1(VALU_DEP_4)
	v_sub_nc_u32_e32 v2, v4, v7
	v_mul_hi_u32 v8, s70, v6
	v_mul_lo_u32 v4, v6, s58
	s_delay_alu instid0(VALU_DEP_3) | instskip(SKIP_1) | instid1(VALU_DEP_4)
	v_mad_u32 v3, v2, s63, v3
	v_mad_u32 v2, v2, s62, v1
	v_add_nc_u32_e32 v7, v6, v8
	s_delay_alu instid0(VALU_DEP_1) | instskip(NEXT) | instid1(VALU_DEP_1)
	v_dual_sub_nc_u32 v4, v5, v4 :: v_dual_lshrrev_b32 v1, s71, v7
	v_mad_u32 v3, v4, s65, v3
	s_delay_alu instid0(VALU_DEP_4) | instskip(NEXT) | instid1(VALU_DEP_3)
	v_mad_u32 v2, v4, s64, v2
	v_mul_lo_u32 v5, v1, s69
	s_delay_alu instid0(VALU_DEP_1) | instskip(NEXT) | instid1(VALU_DEP_1)
	v_sub_nc_u32_e32 v4, v6, v5
	v_mad_u32 v3, v4, s67, v3
	s_delay_alu instid0(VALU_DEP_4)
	v_mad_u32 v2, v4, s66, v2
	s_cbranch_scc0 .LBB45_121
	s_branch .LBB45_125
.LBB45_122:
                                        ; implicit-def: $vgpr3
	s_branch .LBB45_129
.LBB45_123:
	v_dual_mov_b32 v3, 0 :: v_dual_mov_b32 v2, 0
	s_branch .LBB45_128
.LBB45_124:
	v_mov_b64_e32 v[2:3], 0
	v_mov_b32_e32 v1, v0
.LBB45_125:
	s_and_b32 s0, s0, 3
	s_mov_b32 s29, 0
	s_cmp_eq_u32 s0, 0
	s_cbranch_scc1 .LBB45_128
; %bb.126:
	s_lshl_b32 s30, s28, 3
	s_mov_b32 s31, s29
	s_mul_u64 s[34:35], s[28:29], 12
	s_add_nc_u64 s[30:31], s[20:21], s[30:31]
	s_delay_alu instid0(SALU_CYCLE_1)
	s_add_nc_u64 s[28:29], s[30:31], 0xc4
	s_add_nc_u64 s[30:31], s[20:21], s[34:35]
.LBB45_127:                             ; =>This Inner Loop Header: Depth=1
	s_load_b96 s[52:54], s[30:31], 0x4
	s_load_b64 s[34:35], s[28:29], 0x0
	s_add_co_i32 s0, s0, -1
	s_wait_xcnt 0x0
	s_add_nc_u64 s[30:31], s[30:31], 12
	s_cmp_lg_u32 s0, 0
	s_add_nc_u64 s[28:29], s[28:29], 8
	s_wait_kmcnt 0x0
	v_mul_hi_u32 v4, s53, v1
	s_delay_alu instid0(VALU_DEP_1) | instskip(NEXT) | instid1(VALU_DEP_1)
	v_add_nc_u32_e32 v4, v1, v4
	v_lshrrev_b32_e32 v4, s54, v4
	s_delay_alu instid0(VALU_DEP_1) | instskip(NEXT) | instid1(VALU_DEP_1)
	v_mul_lo_u32 v5, v4, s52
	v_sub_nc_u32_e32 v1, v1, v5
	s_delay_alu instid0(VALU_DEP_1)
	v_mad_u32 v3, v1, s35, v3
	v_mad_u32 v2, v1, s34, v2
	v_mov_b32_e32 v1, v4
	s_cbranch_scc1 .LBB45_127
.LBB45_128:
	s_mov_b32 s0, 0
.LBB45_129:
	s_delay_alu instid0(SALU_CYCLE_1)
	s_and_not1_b32 vcc_lo, exec_lo, s0
	s_cbranch_vccnz .LBB45_132
; %bb.130:
	v_mov_b32_e32 v1, 0
	s_and_not1_b32 vcc_lo, exec_lo, s41
	s_delay_alu instid0(VALU_DEP_1) | instskip(NEXT) | instid1(VALU_DEP_1)
	v_mul_u64_e32 v[2:3], s[22:23], v[0:1]
	v_add_nc_u32_e32 v2, v0, v3
	s_delay_alu instid0(VALU_DEP_1) | instskip(NEXT) | instid1(VALU_DEP_1)
	v_lshrrev_b32_e32 v4, s14, v2
	v_mul_lo_u32 v2, v4, s12
	s_delay_alu instid0(VALU_DEP_1) | instskip(NEXT) | instid1(VALU_DEP_1)
	v_sub_nc_u32_e32 v2, v0, v2
	v_mul_lo_u32 v3, v2, s17
	v_mul_lo_u32 v2, v2, s16
	s_cbranch_vccnz .LBB45_132
; %bb.131:
	v_mov_b32_e32 v5, v1
	s_delay_alu instid0(VALU_DEP_1) | instskip(NEXT) | instid1(VALU_DEP_1)
	v_mul_u64_e32 v[6:7], s[24:25], v[4:5]
	v_add_nc_u32_e32 v1, v4, v7
	s_delay_alu instid0(VALU_DEP_1) | instskip(NEXT) | instid1(VALU_DEP_1)
	v_lshrrev_b32_e32 v1, s1, v1
	v_mul_lo_u32 v1, v1, s15
	s_delay_alu instid0(VALU_DEP_1) | instskip(NEXT) | instid1(VALU_DEP_1)
	v_sub_nc_u32_e32 v1, v4, v1
	v_mad_u32 v2, v1, s18, v2
	v_mad_u32 v3, v1, s19, v3
.LBB45_132:
	global_load_b64 v[4:5], v3, s[6:7]
	s_wait_loadcnt 0x0
	v_cmp_le_i64_e32 vcc_lo, s[8:9], v[4:5]
	v_cmp_gt_i64_e64 s0, s[10:11], v[4:5]
	s_and_b32 s28, vcc_lo, s0
	s_mov_b32 s0, 0
	s_and_b32 s30, s40, s28
	s_mov_b32 s28, -1
	s_wait_xcnt 0x0
	s_and_saveexec_b32 s29, s30
; %bb.133:
	v_mov_b64_e32 v[4:5], 0
	v_add_nc_u32_e32 v0, 0x80, v0
	s_mov_b32 s0, exec_lo
	s_xor_b32 s28, exec_lo, -1
	global_store_b64 v2, v[4:5], s[4:5]
; %bb.134:
	s_wait_xcnt 0x0
	s_or_b32 exec_lo, exec_lo, s29
	s_delay_alu instid0(SALU_CYCLE_1)
	s_and_not1_b32 s29, s46, exec_lo
	s_and_b32 s28, s28, exec_lo
	s_or_not1_b32 s0, s0, exec_lo
	s_or_b32 s34, s29, s28
.LBB45_135:
	s_or_b32 exec_lo, exec_lo, s48
	s_mov_b32 s28, 0
                                        ; implicit-def: $vgpr2
	s_and_saveexec_b32 s35, s0
	s_cbranch_execz .LBB45_154
; %bb.136:
	v_cmp_gt_i32_e32 vcc_lo, s42, v0
	s_mov_b32 s0, s34
                                        ; implicit-def: $vgpr2
	s_and_saveexec_b32 s42, vcc_lo
	s_cbranch_execz .LBB45_153
; %bb.137:
	s_and_not1_b32 vcc_lo, exec_lo, s38
	s_cbranch_vccnz .LBB45_142
; %bb.138:
	s_and_not1_b32 vcc_lo, exec_lo, s44
	s_cbranch_vccnz .LBB45_143
; %bb.139:
	s_add_co_i32 s43, s43, 1
	s_cmp_eq_u32 s36, 2
	s_cbranch_scc1 .LBB45_144
; %bb.140:
	v_dual_mov_b32 v2, 0 :: v_dual_mov_b32 v3, 0
	v_mov_b32_e32 v1, v0
	s_and_b32 s28, s43, 28
	s_mov_b32 s0, 0
	s_mov_b64 s[30:31], s[20:21]
.LBB45_141:                             ; =>This Inner Loop Header: Depth=1
	s_clause 0x1
	s_load_b256 s[48:55], s[30:31], 0x4
	s_load_b128 s[64:67], s[30:31], 0x24
	s_load_b256 s[56:63], s[26:27], 0x0
	s_add_co_i32 s0, s0, 4
	s_wait_xcnt 0x0
	s_add_nc_u64 s[30:31], s[30:31], 48
	s_cmp_eq_u32 s28, s0
	s_add_nc_u64 s[26:27], s[26:27], 32
	s_wait_kmcnt 0x0
	v_mul_hi_u32 v4, s49, v1
	s_delay_alu instid0(VALU_DEP_1) | instskip(NEXT) | instid1(VALU_DEP_1)
	v_add_nc_u32_e32 v4, v1, v4
	v_lshrrev_b32_e32 v4, s50, v4
	s_delay_alu instid0(VALU_DEP_1) | instskip(NEXT) | instid1(VALU_DEP_1)
	v_mul_hi_u32 v5, s52, v4
	v_add_nc_u32_e32 v5, v4, v5
	s_delay_alu instid0(VALU_DEP_1) | instskip(NEXT) | instid1(VALU_DEP_1)
	v_lshrrev_b32_e32 v5, s53, v5
	v_mul_hi_u32 v6, s55, v5
	s_delay_alu instid0(VALU_DEP_1) | instskip(SKIP_1) | instid1(VALU_DEP_1)
	v_add_nc_u32_e32 v6, v5, v6
	v_mul_lo_u32 v7, v4, s48
	v_sub_nc_u32_e32 v1, v1, v7
	v_mul_lo_u32 v7, v5, s51
	s_delay_alu instid0(VALU_DEP_4) | instskip(NEXT) | instid1(VALU_DEP_3)
	v_lshrrev_b32_e32 v6, s64, v6
	v_mad_u32 v3, v1, s57, v3
	v_mad_u32 v1, v1, s56, v2
	s_delay_alu instid0(VALU_DEP_4) | instskip(NEXT) | instid1(VALU_DEP_4)
	v_sub_nc_u32_e32 v2, v4, v7
	v_mul_hi_u32 v8, s66, v6
	v_mul_lo_u32 v4, v6, s54
	s_delay_alu instid0(VALU_DEP_3) | instskip(SKIP_1) | instid1(VALU_DEP_4)
	v_mad_u32 v3, v2, s59, v3
	v_mad_u32 v2, v2, s58, v1
	v_add_nc_u32_e32 v7, v6, v8
	s_delay_alu instid0(VALU_DEP_1) | instskip(NEXT) | instid1(VALU_DEP_1)
	v_dual_sub_nc_u32 v4, v5, v4 :: v_dual_lshrrev_b32 v1, s67, v7
	v_mad_u32 v3, v4, s61, v3
	s_delay_alu instid0(VALU_DEP_4) | instskip(NEXT) | instid1(VALU_DEP_3)
	v_mad_u32 v2, v4, s60, v2
	v_mul_lo_u32 v5, v1, s65
	s_delay_alu instid0(VALU_DEP_1) | instskip(NEXT) | instid1(VALU_DEP_1)
	v_sub_nc_u32_e32 v4, v6, v5
	v_mad_u32 v3, v4, s63, v3
	s_delay_alu instid0(VALU_DEP_4)
	v_mad_u32 v2, v4, s62, v2
	s_cbranch_scc0 .LBB45_141
	s_branch .LBB45_145
.LBB45_142:
	s_mov_b32 s0, -1
                                        ; implicit-def: $vgpr3
	s_branch .LBB45_149
.LBB45_143:
	v_dual_mov_b32 v3, 0 :: v_dual_mov_b32 v2, 0
	s_branch .LBB45_148
.LBB45_144:
	v_mov_b64_e32 v[2:3], 0
	v_mov_b32_e32 v1, v0
.LBB45_145:
	s_and_b32 s0, s43, 3
	s_mov_b32 s29, 0
	s_cmp_eq_u32 s0, 0
	s_cbranch_scc1 .LBB45_148
; %bb.146:
	s_lshl_b32 s26, s28, 3
	s_mov_b32 s27, s29
	s_mul_u64 s[28:29], s[28:29], 12
	s_add_nc_u64 s[26:27], s[20:21], s[26:27]
	s_add_nc_u64 s[28:29], s[20:21], s[28:29]
	s_add_nc_u64 s[26:27], s[26:27], 0xc4
.LBB45_147:                             ; =>This Inner Loop Header: Depth=1
	s_load_b96 s[48:50], s[28:29], 0x4
	s_load_b64 s[30:31], s[26:27], 0x0
	s_add_co_i32 s0, s0, -1
	s_wait_xcnt 0x0
	s_add_nc_u64 s[28:29], s[28:29], 12
	s_cmp_lg_u32 s0, 0
	s_add_nc_u64 s[26:27], s[26:27], 8
	s_wait_kmcnt 0x0
	v_mul_hi_u32 v4, s49, v1
	s_delay_alu instid0(VALU_DEP_1) | instskip(NEXT) | instid1(VALU_DEP_1)
	v_add_nc_u32_e32 v4, v1, v4
	v_lshrrev_b32_e32 v4, s50, v4
	s_delay_alu instid0(VALU_DEP_1) | instskip(NEXT) | instid1(VALU_DEP_1)
	v_mul_lo_u32 v5, v4, s48
	v_sub_nc_u32_e32 v1, v1, v5
	s_delay_alu instid0(VALU_DEP_1)
	v_mad_u32 v3, v1, s31, v3
	v_mad_u32 v2, v1, s30, v2
	v_mov_b32_e32 v1, v4
	s_cbranch_scc1 .LBB45_147
.LBB45_148:
	s_mov_b32 s0, 0
.LBB45_149:
	s_delay_alu instid0(SALU_CYCLE_1)
	s_and_not1_b32 vcc_lo, exec_lo, s0
	s_cbranch_vccnz .LBB45_152
; %bb.150:
	v_mov_b32_e32 v1, 0
	s_and_not1_b32 vcc_lo, exec_lo, s41
	s_delay_alu instid0(VALU_DEP_1) | instskip(NEXT) | instid1(VALU_DEP_1)
	v_mul_u64_e32 v[2:3], s[22:23], v[0:1]
	v_add_nc_u32_e32 v2, v0, v3
	s_delay_alu instid0(VALU_DEP_1) | instskip(NEXT) | instid1(VALU_DEP_1)
	v_lshrrev_b32_e32 v4, s14, v2
	v_mul_lo_u32 v2, v4, s12
	s_delay_alu instid0(VALU_DEP_1) | instskip(NEXT) | instid1(VALU_DEP_1)
	v_sub_nc_u32_e32 v0, v0, v2
	v_mul_lo_u32 v3, v0, s17
	v_mul_lo_u32 v2, v0, s16
	s_cbranch_vccnz .LBB45_152
; %bb.151:
	v_mov_b32_e32 v5, v1
	s_delay_alu instid0(VALU_DEP_1) | instskip(NEXT) | instid1(VALU_DEP_1)
	v_mul_u64_e32 v[0:1], s[24:25], v[4:5]
	v_add_nc_u32_e32 v0, v4, v1
	s_delay_alu instid0(VALU_DEP_1) | instskip(NEXT) | instid1(VALU_DEP_1)
	v_lshrrev_b32_e32 v0, s1, v0
	v_mul_lo_u32 v0, v0, s15
	s_delay_alu instid0(VALU_DEP_1) | instskip(NEXT) | instid1(VALU_DEP_1)
	v_sub_nc_u32_e32 v0, v4, v0
	v_mad_u32 v2, v0, s18, v2
	v_mad_u32 v3, v0, s19, v3
.LBB45_152:
	global_load_b64 v[0:1], v3, s[6:7]
	s_and_not1_b32 s1, s34, exec_lo
	s_mov_b32 s28, exec_lo
	s_wait_loadcnt 0x0
	v_cmp_le_i64_e32 vcc_lo, s[8:9], v[0:1]
	v_cmp_gt_i64_e64 s0, s[10:11], v[0:1]
	s_and_b32 s0, vcc_lo, s0
	s_delay_alu instid0(SALU_CYCLE_1) | instskip(NEXT) | instid1(SALU_CYCLE_1)
	s_and_b32 s0, s40, s0
	s_xor_b32 s0, s0, -1
	s_delay_alu instid0(SALU_CYCLE_1) | instskip(NEXT) | instid1(SALU_CYCLE_1)
	s_and_b32 s0, s0, exec_lo
	s_or_b32 s0, s1, s0
.LBB45_153:
	s_wait_xcnt 0x0
	s_or_b32 exec_lo, exec_lo, s42
	s_delay_alu instid0(SALU_CYCLE_1)
	s_and_not1_b32 s1, s34, exec_lo
	s_and_b32 s0, s0, exec_lo
	s_and_b32 s28, s28, exec_lo
	s_or_b32 s34, s1, s0
.LBB45_154:
	s_or_b32 exec_lo, exec_lo, s35
	s_delay_alu instid0(SALU_CYCLE_1)
	s_and_not1_b32 s0, s46, exec_lo
	s_and_b32 s1, s34, exec_lo
	s_and_b32 s28, s28, exec_lo
	s_or_b32 s46, s0, s1
.LBB45_155:
	s_or_b32 exec_lo, exec_lo, s47
	s_delay_alu instid0(SALU_CYCLE_1)
	s_and_not1_b32 s0, s13, exec_lo
	s_and_b32 s1, s46, exec_lo
	s_and_b32 s23, s28, exec_lo
	s_or_b32 s13, s0, s1
	s_or_b32 exec_lo, exec_lo, s45
	s_mov_b32 s0, 0
	s_and_saveexec_b32 s1, s13
	s_cbranch_execz .LBB45_28
.LBB45_156:
	s_mov_b32 s0, exec_lo
	s_and_not1_b32 s23, s23, exec_lo
	s_trap 2
	s_or_b32 exec_lo, exec_lo, s1
	s_and_saveexec_b32 s1, s23
	s_delay_alu instid0(SALU_CYCLE_1)
	s_xor_b32 s1, exec_lo, s1
	s_cbranch_execnz .LBB45_29
	s_branch .LBB45_30
.LBB45_157:
	s_or_b32 s1, s12, exec_lo
	s_trap 2
	s_or_saveexec_b32 s2, s0
	s_mov_b32 s0, 0
	s_xor_b32 exec_lo, exec_lo, s2
	s_cbranch_execnz .LBB45_93
	s_branch .LBB45_101
.LBB45_158:
	s_or_b32 s3, s1, exec_lo
	s_trap 2
	s_or_saveexec_b32 s14, s0
	s_mov_b32 s0, 0
	s_xor_b32 exec_lo, exec_lo, s14
	s_cbranch_execnz .LBB45_95
	s_branch .LBB45_100
.LBB45_159:
	s_or_b32 s15, s3, exec_lo
	s_trap 2
	s_or_saveexec_b32 s16, s0
	s_mov_b32 s0, 0
	s_xor_b32 exec_lo, exec_lo, s16
	s_cbranch_execnz .LBB45_97
	s_branch .LBB45_99
.LBB45_160:
	s_xor_b32 s6, exec_lo, -1
	s_or_b32 s0, s15, exec_lo
	s_trap 2
	s_branch .LBB45_98
	.section	.rodata,"a",@progbits
	.p2align	6, 0x0
	.amdhsa_kernel _ZN2at6native32elementwise_kernel_manual_unrollILi128ELi4EZNS0_22gpu_kernel_impl_nocastIZZZNS0_12_GLOBAL__N_142_validate_compressed_sparse_indices_kernelILNS3_8CDimNameE0ENS3_18CUDAKernelLauncherENS3_14EmptyVecKernelENS3_8DummyVecELm0EEEvRKNS_6TensorESB_lllENKUlvE0_clEvENKUlvE0_clEvEUllE_EEvRNS_18TensorIteratorBaseERKT_EUlibE_EEviT1_
		.amdhsa_group_segment_fixed_size 0
		.amdhsa_private_segment_fixed_size 0
		.amdhsa_kernarg_size 368
		.amdhsa_user_sgpr_count 2
		.amdhsa_user_sgpr_dispatch_ptr 0
		.amdhsa_user_sgpr_queue_ptr 0
		.amdhsa_user_sgpr_kernarg_segment_ptr 1
		.amdhsa_user_sgpr_dispatch_id 0
		.amdhsa_user_sgpr_kernarg_preload_length 0
		.amdhsa_user_sgpr_kernarg_preload_offset 0
		.amdhsa_user_sgpr_private_segment_size 0
		.amdhsa_wavefront_size32 1
		.amdhsa_uses_dynamic_stack 0
		.amdhsa_enable_private_segment 0
		.amdhsa_system_sgpr_workgroup_id_x 1
		.amdhsa_system_sgpr_workgroup_id_y 0
		.amdhsa_system_sgpr_workgroup_id_z 0
		.amdhsa_system_sgpr_workgroup_info 0
		.amdhsa_system_vgpr_workitem_id 0
		.amdhsa_next_free_vgpr 15
		.amdhsa_next_free_sgpr 72
		.amdhsa_named_barrier_count 0
		.amdhsa_reserve_vcc 1
		.amdhsa_float_round_mode_32 0
		.amdhsa_float_round_mode_16_64 0
		.amdhsa_float_denorm_mode_32 3
		.amdhsa_float_denorm_mode_16_64 3
		.amdhsa_fp16_overflow 0
		.amdhsa_memory_ordered 1
		.amdhsa_forward_progress 1
		.amdhsa_inst_pref_size 56
		.amdhsa_round_robin_scheduling 0
		.amdhsa_exception_fp_ieee_invalid_op 0
		.amdhsa_exception_fp_denorm_src 0
		.amdhsa_exception_fp_ieee_div_zero 0
		.amdhsa_exception_fp_ieee_overflow 0
		.amdhsa_exception_fp_ieee_underflow 0
		.amdhsa_exception_fp_ieee_inexact 0
		.amdhsa_exception_int_div_zero 0
	.end_amdhsa_kernel
	.section	.text._ZN2at6native32elementwise_kernel_manual_unrollILi128ELi4EZNS0_22gpu_kernel_impl_nocastIZZZNS0_12_GLOBAL__N_142_validate_compressed_sparse_indices_kernelILNS3_8CDimNameE0ENS3_18CUDAKernelLauncherENS3_14EmptyVecKernelENS3_8DummyVecELm0EEEvRKNS_6TensorESB_lllENKUlvE0_clEvENKUlvE0_clEvEUllE_EEvRNS_18TensorIteratorBaseERKT_EUlibE_EEviT1_,"axG",@progbits,_ZN2at6native32elementwise_kernel_manual_unrollILi128ELi4EZNS0_22gpu_kernel_impl_nocastIZZZNS0_12_GLOBAL__N_142_validate_compressed_sparse_indices_kernelILNS3_8CDimNameE0ENS3_18CUDAKernelLauncherENS3_14EmptyVecKernelENS3_8DummyVecELm0EEEvRKNS_6TensorESB_lllENKUlvE0_clEvENKUlvE0_clEvEUllE_EEvRNS_18TensorIteratorBaseERKT_EUlibE_EEviT1_,comdat
.Lfunc_end45:
	.size	_ZN2at6native32elementwise_kernel_manual_unrollILi128ELi4EZNS0_22gpu_kernel_impl_nocastIZZZNS0_12_GLOBAL__N_142_validate_compressed_sparse_indices_kernelILNS3_8CDimNameE0ENS3_18CUDAKernelLauncherENS3_14EmptyVecKernelENS3_8DummyVecELm0EEEvRKNS_6TensorESB_lllENKUlvE0_clEvENKUlvE0_clEvEUllE_EEvRNS_18TensorIteratorBaseERKT_EUlibE_EEviT1_, .Lfunc_end45-_ZN2at6native32elementwise_kernel_manual_unrollILi128ELi4EZNS0_22gpu_kernel_impl_nocastIZZZNS0_12_GLOBAL__N_142_validate_compressed_sparse_indices_kernelILNS3_8CDimNameE0ENS3_18CUDAKernelLauncherENS3_14EmptyVecKernelENS3_8DummyVecELm0EEEvRKNS_6TensorESB_lllENKUlvE0_clEvENKUlvE0_clEvEUllE_EEvRNS_18TensorIteratorBaseERKT_EUlibE_EEviT1_
                                        ; -- End function
	.set _ZN2at6native32elementwise_kernel_manual_unrollILi128ELi4EZNS0_22gpu_kernel_impl_nocastIZZZNS0_12_GLOBAL__N_142_validate_compressed_sparse_indices_kernelILNS3_8CDimNameE0ENS3_18CUDAKernelLauncherENS3_14EmptyVecKernelENS3_8DummyVecELm0EEEvRKNS_6TensorESB_lllENKUlvE0_clEvENKUlvE0_clEvEUllE_EEvRNS_18TensorIteratorBaseERKT_EUlibE_EEviT1_.num_vgpr, 15
	.set _ZN2at6native32elementwise_kernel_manual_unrollILi128ELi4EZNS0_22gpu_kernel_impl_nocastIZZZNS0_12_GLOBAL__N_142_validate_compressed_sparse_indices_kernelILNS3_8CDimNameE0ENS3_18CUDAKernelLauncherENS3_14EmptyVecKernelENS3_8DummyVecELm0EEEvRKNS_6TensorESB_lllENKUlvE0_clEvENKUlvE0_clEvEUllE_EEvRNS_18TensorIteratorBaseERKT_EUlibE_EEviT1_.num_agpr, 0
	.set _ZN2at6native32elementwise_kernel_manual_unrollILi128ELi4EZNS0_22gpu_kernel_impl_nocastIZZZNS0_12_GLOBAL__N_142_validate_compressed_sparse_indices_kernelILNS3_8CDimNameE0ENS3_18CUDAKernelLauncherENS3_14EmptyVecKernelENS3_8DummyVecELm0EEEvRKNS_6TensorESB_lllENKUlvE0_clEvENKUlvE0_clEvEUllE_EEvRNS_18TensorIteratorBaseERKT_EUlibE_EEviT1_.numbered_sgpr, 72
	.set _ZN2at6native32elementwise_kernel_manual_unrollILi128ELi4EZNS0_22gpu_kernel_impl_nocastIZZZNS0_12_GLOBAL__N_142_validate_compressed_sparse_indices_kernelILNS3_8CDimNameE0ENS3_18CUDAKernelLauncherENS3_14EmptyVecKernelENS3_8DummyVecELm0EEEvRKNS_6TensorESB_lllENKUlvE0_clEvENKUlvE0_clEvEUllE_EEvRNS_18TensorIteratorBaseERKT_EUlibE_EEviT1_.num_named_barrier, 0
	.set _ZN2at6native32elementwise_kernel_manual_unrollILi128ELi4EZNS0_22gpu_kernel_impl_nocastIZZZNS0_12_GLOBAL__N_142_validate_compressed_sparse_indices_kernelILNS3_8CDimNameE0ENS3_18CUDAKernelLauncherENS3_14EmptyVecKernelENS3_8DummyVecELm0EEEvRKNS_6TensorESB_lllENKUlvE0_clEvENKUlvE0_clEvEUllE_EEvRNS_18TensorIteratorBaseERKT_EUlibE_EEviT1_.private_seg_size, 0
	.set _ZN2at6native32elementwise_kernel_manual_unrollILi128ELi4EZNS0_22gpu_kernel_impl_nocastIZZZNS0_12_GLOBAL__N_142_validate_compressed_sparse_indices_kernelILNS3_8CDimNameE0ENS3_18CUDAKernelLauncherENS3_14EmptyVecKernelENS3_8DummyVecELm0EEEvRKNS_6TensorESB_lllENKUlvE0_clEvENKUlvE0_clEvEUllE_EEvRNS_18TensorIteratorBaseERKT_EUlibE_EEviT1_.uses_vcc, 1
	.set _ZN2at6native32elementwise_kernel_manual_unrollILi128ELi4EZNS0_22gpu_kernel_impl_nocastIZZZNS0_12_GLOBAL__N_142_validate_compressed_sparse_indices_kernelILNS3_8CDimNameE0ENS3_18CUDAKernelLauncherENS3_14EmptyVecKernelENS3_8DummyVecELm0EEEvRKNS_6TensorESB_lllENKUlvE0_clEvENKUlvE0_clEvEUllE_EEvRNS_18TensorIteratorBaseERKT_EUlibE_EEviT1_.uses_flat_scratch, 0
	.set _ZN2at6native32elementwise_kernel_manual_unrollILi128ELi4EZNS0_22gpu_kernel_impl_nocastIZZZNS0_12_GLOBAL__N_142_validate_compressed_sparse_indices_kernelILNS3_8CDimNameE0ENS3_18CUDAKernelLauncherENS3_14EmptyVecKernelENS3_8DummyVecELm0EEEvRKNS_6TensorESB_lllENKUlvE0_clEvENKUlvE0_clEvEUllE_EEvRNS_18TensorIteratorBaseERKT_EUlibE_EEviT1_.has_dyn_sized_stack, 0
	.set _ZN2at6native32elementwise_kernel_manual_unrollILi128ELi4EZNS0_22gpu_kernel_impl_nocastIZZZNS0_12_GLOBAL__N_142_validate_compressed_sparse_indices_kernelILNS3_8CDimNameE0ENS3_18CUDAKernelLauncherENS3_14EmptyVecKernelENS3_8DummyVecELm0EEEvRKNS_6TensorESB_lllENKUlvE0_clEvENKUlvE0_clEvEUllE_EEvRNS_18TensorIteratorBaseERKT_EUlibE_EEviT1_.has_recursion, 0
	.set _ZN2at6native32elementwise_kernel_manual_unrollILi128ELi4EZNS0_22gpu_kernel_impl_nocastIZZZNS0_12_GLOBAL__N_142_validate_compressed_sparse_indices_kernelILNS3_8CDimNameE0ENS3_18CUDAKernelLauncherENS3_14EmptyVecKernelENS3_8DummyVecELm0EEEvRKNS_6TensorESB_lllENKUlvE0_clEvENKUlvE0_clEvEUllE_EEvRNS_18TensorIteratorBaseERKT_EUlibE_EEviT1_.has_indirect_call, 0
	.section	.AMDGPU.csdata,"",@progbits
; Kernel info:
; codeLenInByte = 7128
; TotalNumSgprs: 74
; NumVgprs: 15
; ScratchSize: 0
; MemoryBound: 0
; FloatMode: 240
; IeeeMode: 1
; LDSByteSize: 0 bytes/workgroup (compile time only)
; SGPRBlocks: 0
; VGPRBlocks: 0
; NumSGPRsForWavesPerEU: 74
; NumVGPRsForWavesPerEU: 15
; NamedBarCnt: 0
; Occupancy: 16
; WaveLimiterHint : 1
; COMPUTE_PGM_RSRC2:SCRATCH_EN: 0
; COMPUTE_PGM_RSRC2:USER_SGPR: 2
; COMPUTE_PGM_RSRC2:TRAP_HANDLER: 0
; COMPUTE_PGM_RSRC2:TGID_X_EN: 1
; COMPUTE_PGM_RSRC2:TGID_Y_EN: 0
; COMPUTE_PGM_RSRC2:TGID_Z_EN: 0
; COMPUTE_PGM_RSRC2:TIDIG_COMP_CNT: 0
	.section	.text._ZN2at6native32elementwise_kernel_manual_unrollILi128ELi4EZNS0_15gpu_kernel_implIZZZNS0_12_GLOBAL__N_142_validate_compressed_sparse_indices_kernelILNS3_8CDimNameE0ENS3_18CUDAKernelLauncherENS3_14EmptyVecKernelENS3_8DummyVecELm0EEEvRKNS_6TensorESB_lllENKUlvE0_clEvENKUlvE0_clEvEUllE_EEvRNS_18TensorIteratorBaseERKT_EUlibE_EEviT1_,"axG",@progbits,_ZN2at6native32elementwise_kernel_manual_unrollILi128ELi4EZNS0_15gpu_kernel_implIZZZNS0_12_GLOBAL__N_142_validate_compressed_sparse_indices_kernelILNS3_8CDimNameE0ENS3_18CUDAKernelLauncherENS3_14EmptyVecKernelENS3_8DummyVecELm0EEEvRKNS_6TensorESB_lllENKUlvE0_clEvENKUlvE0_clEvEUllE_EEvRNS_18TensorIteratorBaseERKT_EUlibE_EEviT1_,comdat
	.globl	_ZN2at6native32elementwise_kernel_manual_unrollILi128ELi4EZNS0_15gpu_kernel_implIZZZNS0_12_GLOBAL__N_142_validate_compressed_sparse_indices_kernelILNS3_8CDimNameE0ENS3_18CUDAKernelLauncherENS3_14EmptyVecKernelENS3_8DummyVecELm0EEEvRKNS_6TensorESB_lllENKUlvE0_clEvENKUlvE0_clEvEUllE_EEvRNS_18TensorIteratorBaseERKT_EUlibE_EEviT1_ ; -- Begin function _ZN2at6native32elementwise_kernel_manual_unrollILi128ELi4EZNS0_15gpu_kernel_implIZZZNS0_12_GLOBAL__N_142_validate_compressed_sparse_indices_kernelILNS3_8CDimNameE0ENS3_18CUDAKernelLauncherENS3_14EmptyVecKernelENS3_8DummyVecELm0EEEvRKNS_6TensorESB_lllENKUlvE0_clEvENKUlvE0_clEvEUllE_EEvRNS_18TensorIteratorBaseERKT_EUlibE_EEviT1_
	.p2align	8
	.type	_ZN2at6native32elementwise_kernel_manual_unrollILi128ELi4EZNS0_15gpu_kernel_implIZZZNS0_12_GLOBAL__N_142_validate_compressed_sparse_indices_kernelILNS3_8CDimNameE0ENS3_18CUDAKernelLauncherENS3_14EmptyVecKernelENS3_8DummyVecELm0EEEvRKNS_6TensorESB_lllENKUlvE0_clEvENKUlvE0_clEvEUllE_EEvRNS_18TensorIteratorBaseERKT_EUlibE_EEviT1_,@function
_ZN2at6native32elementwise_kernel_manual_unrollILi128ELi4EZNS0_15gpu_kernel_implIZZZNS0_12_GLOBAL__N_142_validate_compressed_sparse_indices_kernelILNS3_8CDimNameE0ENS3_18CUDAKernelLauncherENS3_14EmptyVecKernelENS3_8DummyVecELm0EEEvRKNS_6TensorESB_lllENKUlvE0_clEvENKUlvE0_clEvEUllE_EEvRNS_18TensorIteratorBaseERKT_EUlibE_EEviT1_: ; @_ZN2at6native32elementwise_kernel_manual_unrollILi128ELi4EZNS0_15gpu_kernel_implIZZZNS0_12_GLOBAL__N_142_validate_compressed_sparse_indices_kernelILNS3_8CDimNameE0ENS3_18CUDAKernelLauncherENS3_14EmptyVecKernelENS3_8DummyVecELm0EEEvRKNS_6TensorESB_lllENKUlvE0_clEvENKUlvE0_clEvEUllE_EEvRNS_18TensorIteratorBaseERKT_EUlibE_EEviT1_
; %bb.0:
	s_load_b32 s12, s[0:1], 0x30
	s_bfe_u32 s2, ttmp6, 0x4000c
	s_clause 0x1
	s_load_b32 s16, s[0:1], 0x0
	s_load_b128 s[4:7], s[0:1], 0x8
	s_add_co_i32 s13, s2, 1
	s_clause 0x1
	s_load_b64 s[2:3], s[0:1], 0x18
	s_load_b128 s[8:11], s[0:1], 0x20
	s_and_b32 s14, ttmp6, 15
	s_wait_xcnt 0x0
	s_mul_i32 s0, ttmp9, s13
	s_getreg_b32 s15, hwreg(HW_REG_IB_STS2, 6, 4)
	s_add_co_i32 s14, s14, s0
	s_mov_b32 s1, 0
	s_wait_kmcnt 0x0
	s_bfe_u32 s13, s12, 0x80008
	s_cmp_eq_u32 s15, 0
	s_mov_b32 s15, 0
	s_cselect_b32 s0, ttmp9, s14
	s_delay_alu instid0(SALU_CYCLE_1) | instskip(SKIP_1) | instid1(VALU_DEP_1)
	v_lshl_or_b32 v6, s0, 9, v0
	s_mov_b32 s0, exec_lo
	v_or_b32_e32 v0, 0x180, v6
	s_delay_alu instid0(VALU_DEP_1)
	v_cmpx_le_i32_e64 s16, v0
	s_xor_b32 s14, exec_lo, s0
	s_cbranch_execz .LBB46_894
; %bb.1:
	s_get_pc_i64 s[24:25]
	s_add_nc_u64 s[24:25], s[24:25], .str@rel64+4
	s_mov_b32 s23, -1
	s_cmp_lg_u64 s[24:25], 0
	s_mov_b32 s21, 0
	s_mov_b32 s19, 0
	;; [unrolled: 1-line block ×3, first 2 shown]
	s_cselect_b32 s15, -1, 0
	s_mov_b32 s17, 0
	s_mov_b32 s20, exec_lo
	v_cmpx_gt_i32_e64 s16, v6
	s_cbranch_execz .LBB46_221
; %bb.2:
	v_mul_lo_u32 v0, v6, s3
	s_and_b32 s0, 0xffff, s13
	s_delay_alu instid0(SALU_CYCLE_1) | instskip(NEXT) | instid1(VALU_DEP_1)
	s_cmp_lt_i32 s0, 11
	v_ashrrev_i32_e32 v1, 31, v0
	s_delay_alu instid0(VALU_DEP_1)
	v_add_nc_u64_e32 v[0:1], s[6:7], v[0:1]
	s_cbranch_scc1 .LBB46_9
; %bb.3:
	s_cmp_gt_i32 s0, 25
	s_cbranch_scc0 .LBB46_19
; %bb.4:
	s_cmp_gt_i32 s0, 28
	s_cbranch_scc0 .LBB46_23
	;; [unrolled: 3-line block ×4, first 2 shown]
; %bb.7:
	s_cmp_eq_u32 s0, 46
	s_cbranch_scc0 .LBB46_29
; %bb.8:
	global_load_b32 v2, v[0:1], off
	s_mov_b32 s17, -1
	s_wait_loadcnt 0x0
	v_lshlrev_b32_e32 v2, 16, v2
	s_delay_alu instid0(VALU_DEP_1) | instskip(NEXT) | instid1(VALU_DEP_1)
	v_trunc_f32_e32 v2, v2
	v_mul_f32_e64 v3, 0x2f800000, |v2|
	s_delay_alu instid0(VALU_DEP_1) | instskip(NEXT) | instid1(VALU_DEP_1)
	v_floor_f32_e32 v3, v3
	v_fma_f32 v4, 0xcf800000, v3, |v2|
	v_ashrrev_i32_e32 v2, 31, v2
	v_cvt_u32_f32_e32 v5, v3
	s_delay_alu instid0(VALU_DEP_3) | instskip(NEXT) | instid1(VALU_DEP_2)
	v_cvt_u32_f32_e32 v4, v4
	v_dual_mov_b32 v3, v2 :: v_dual_bitop2_b32 v5, v5, v2 bitop3:0x14
	s_delay_alu instid0(VALU_DEP_2) | instskip(NEXT) | instid1(VALU_DEP_1)
	v_xor_b32_e32 v4, v4, v2
	v_sub_nc_u64_e32 v[2:3], v[4:5], v[2:3]
	s_branch .LBB46_31
.LBB46_9:
                                        ; implicit-def: $vgpr2_vgpr3
	s_cbranch_execnz .LBB46_91
.LBB46_10:
	s_and_not1_b32 vcc_lo, exec_lo, s17
	s_cbranch_vccnz .LBB46_138
.LBB46_11:
	s_wait_loadcnt 0x0
	s_delay_alu instid0(VALU_DEP_1)
	v_cmp_le_i64_e32 vcc_lo, s[8:9], v[2:3]
	v_cmp_gt_i64_e64 s0, s[10:11], v[2:3]
	s_mov_b32 s18, -1
	s_mov_b32 s22, 0
	s_mov_b32 s17, 0
	s_and_b32 s0, vcc_lo, s0
	s_delay_alu instid0(SALU_CYCLE_1) | instskip(NEXT) | instid1(SALU_CYCLE_1)
	s_and_b32 s23, s15, s0
	s_and_saveexec_b32 s0, s23
	s_cbranch_execz .LBB46_219
; %bb.12:
	v_mul_lo_u32 v0, v6, s2
	s_and_b32 s18, s12, 0xff
	s_delay_alu instid0(SALU_CYCLE_1) | instskip(NEXT) | instid1(VALU_DEP_1)
	s_cmp_lt_i32 s18, 11
	v_ashrrev_i32_e32 v1, 31, v0
	s_delay_alu instid0(VALU_DEP_1)
	v_add_nc_u64_e32 v[0:1], s[4:5], v[0:1]
	s_cbranch_scc1 .LBB46_20
; %bb.13:
	s_and_b32 s22, 0xffff, s18
	s_delay_alu instid0(SALU_CYCLE_1)
	s_cmp_gt_i32 s22, 25
	s_cbranch_scc0 .LBB46_24
; %bb.14:
	s_cmp_gt_i32 s22, 28
	s_cbranch_scc0 .LBB46_26
; %bb.15:
	;; [unrolled: 3-line block ×4, first 2 shown]
	s_mov_b32 s24, 0
	s_mov_b32 s17, -1
	s_cmp_eq_u32 s22, 46
	s_mov_b32 s23, 0
	s_cbranch_scc0 .LBB46_140
; %bb.18:
	v_mov_b32_e32 v2, 0
	s_mov_b32 s23, -1
	s_mov_b32 s17, 0
	global_store_b32 v[0:1], v2, off
	s_branch .LBB46_140
.LBB46_19:
                                        ; implicit-def: $vgpr2_vgpr3
	s_cbranch_execnz .LBB46_58
	s_branch .LBB46_90
.LBB46_20:
	s_mov_b32 s23, 0
	s_cbranch_execnz .LBB46_179
.LBB46_21:
	s_and_not1_b32 vcc_lo, exec_lo, s23
	s_cbranch_vccnz .LBB46_217
.LBB46_22:
	v_add_nc_u32_e32 v6, 0x80, v6
	s_mov_b32 s22, -1
	s_branch .LBB46_218
.LBB46_23:
	s_mov_b32 s18, -1
                                        ; implicit-def: $vgpr2_vgpr3
	s_branch .LBB46_41
.LBB46_24:
	s_mov_b32 s24, -1
	s_mov_b32 s23, 0
	s_branch .LBB46_159
.LBB46_25:
	s_mov_b32 s18, -1
                                        ; implicit-def: $vgpr2_vgpr3
	s_branch .LBB46_36
.LBB46_26:
	s_mov_b32 s24, -1
	s_mov_b32 s23, 0
	s_branch .LBB46_148
.LBB46_27:
	s_mov_b32 s18, -1
	s_branch .LBB46_30
.LBB46_28:
	s_mov_b32 s24, -1
	s_mov_b32 s23, 0
	s_branch .LBB46_144
.LBB46_29:
	s_mov_b32 s19, -1
.LBB46_30:
                                        ; implicit-def: $vgpr2_vgpr3
.LBB46_31:
	s_and_b32 vcc_lo, exec_lo, s18
	s_cbranch_vccz .LBB46_35
; %bb.32:
	s_cmp_eq_u32 s0, 44
	s_cbranch_scc0 .LBB46_34
; %bb.33:
	global_load_u8 v7, v[0:1], off
	s_mov_b32 s19, 0
	s_mov_b32 s17, -1
	s_wait_loadcnt 0x0
	v_lshlrev_b32_e32 v2, 23, v7
	v_cmp_ne_u32_e32 vcc_lo, 0, v7
	s_delay_alu instid0(VALU_DEP_2) | instskip(NEXT) | instid1(VALU_DEP_1)
	v_trunc_f32_e32 v2, v2
	v_mul_f32_e64 v3, 0x2f800000, |v2|
	s_delay_alu instid0(VALU_DEP_1) | instskip(NEXT) | instid1(VALU_DEP_1)
	v_floor_f32_e32 v3, v3
	v_fma_f32 v4, 0xcf800000, v3, |v2|
	v_ashrrev_i32_e32 v2, 31, v2
	v_cvt_u32_f32_e32 v5, v3
	s_delay_alu instid0(VALU_DEP_3) | instskip(NEXT) | instid1(VALU_DEP_2)
	v_cvt_u32_f32_e32 v4, v4
	v_dual_mov_b32 v3, v2 :: v_dual_bitop2_b32 v5, v5, v2 bitop3:0x14
	s_delay_alu instid0(VALU_DEP_2) | instskip(NEXT) | instid1(VALU_DEP_1)
	v_xor_b32_e32 v4, v4, v2
	v_sub_nc_u64_e32 v[2:3], v[4:5], v[2:3]
	s_delay_alu instid0(VALU_DEP_1)
	v_dual_cndmask_b32 v3, 0, v3 :: v_dual_cndmask_b32 v2, 0, v2
	s_branch .LBB46_35
.LBB46_34:
	s_mov_b32 s19, -1
                                        ; implicit-def: $vgpr2_vgpr3
.LBB46_35:
	s_mov_b32 s18, 0
.LBB46_36:
	s_delay_alu instid0(SALU_CYCLE_1)
	s_and_b32 vcc_lo, exec_lo, s18
	s_cbranch_vccz .LBB46_40
; %bb.37:
	s_cmp_eq_u32 s0, 29
	s_cbranch_scc0 .LBB46_39
; %bb.38:
	global_load_b64 v[2:3], v[0:1], off
	s_mov_b32 s17, -1
	s_mov_b32 s19, 0
	s_branch .LBB46_40
.LBB46_39:
	s_mov_b32 s19, -1
                                        ; implicit-def: $vgpr2_vgpr3
.LBB46_40:
	s_mov_b32 s18, 0
.LBB46_41:
	s_delay_alu instid0(SALU_CYCLE_1)
	s_and_b32 vcc_lo, exec_lo, s18
	s_cbranch_vccz .LBB46_57
; %bb.42:
	s_cmp_lt_i32 s0, 27
	s_cbranch_scc1 .LBB46_45
; %bb.43:
	s_cmp_gt_i32 s0, 27
	s_cbranch_scc0 .LBB46_46
; %bb.44:
	s_wait_loadcnt 0x0
	global_load_b32 v2, v[0:1], off
	v_mov_b32_e32 v3, 0
	s_mov_b32 s17, 0
	s_branch .LBB46_47
.LBB46_45:
	s_mov_b32 s17, -1
                                        ; implicit-def: $vgpr2_vgpr3
	s_branch .LBB46_50
.LBB46_46:
	s_mov_b32 s17, -1
                                        ; implicit-def: $vgpr2_vgpr3
.LBB46_47:
	s_delay_alu instid0(SALU_CYCLE_1)
	s_and_not1_b32 vcc_lo, exec_lo, s17
	s_cbranch_vccnz .LBB46_49
; %bb.48:
	s_wait_loadcnt 0x0
	global_load_u16 v2, v[0:1], off
	s_mov_b32 s17, 0
	s_delay_alu instid0(SALU_CYCLE_1)
	v_mov_b32_e32 v3, s17
	s_wait_loadcnt 0x0
	v_and_b32_e32 v2, 0xffff, v2
.LBB46_49:
	s_mov_b32 s17, 0
.LBB46_50:
	s_delay_alu instid0(SALU_CYCLE_1)
	s_and_not1_b32 vcc_lo, exec_lo, s17
	s_cbranch_vccnz .LBB46_56
; %bb.51:
	global_load_u8 v4, v[0:1], off
	s_mov_b32 s18, 0
	s_mov_b32 s17, exec_lo
	s_wait_loadcnt 0x0
	v_cmpx_lt_i16_e32 0x7f, v4
	s_xor_b32 s17, exec_lo, s17
	s_cbranch_execz .LBB46_67
; %bb.52:
	v_cmp_ne_u16_e32 vcc_lo, 0x80, v4
	s_and_b32 s18, vcc_lo, exec_lo
	s_and_not1_saveexec_b32 s17, s17
	s_cbranch_execnz .LBB46_68
.LBB46_53:
	s_or_b32 exec_lo, exec_lo, s17
	v_mov_b64_e32 v[2:3], 0
	s_and_saveexec_b32 s17, s18
	s_cbranch_execz .LBB46_55
.LBB46_54:
	v_and_b32_e32 v2, 0xffff, v4
	s_delay_alu instid0(VALU_DEP_1) | instskip(SKIP_1) | instid1(VALU_DEP_2)
	v_and_b32_e32 v3, 7, v2
	v_bfe_u32 v8, v2, 3, 4
	v_clz_i32_u32_e32 v5, v3
	s_delay_alu instid0(VALU_DEP_2) | instskip(NEXT) | instid1(VALU_DEP_2)
	v_cmp_eq_u32_e32 vcc_lo, 0, v8
	v_min_u32_e32 v5, 32, v5
	s_delay_alu instid0(VALU_DEP_1) | instskip(NEXT) | instid1(VALU_DEP_1)
	v_subrev_nc_u32_e32 v7, 28, v5
	v_dual_lshlrev_b32 v2, v7, v2 :: v_dual_sub_nc_u32 v5, 29, v5
	s_delay_alu instid0(VALU_DEP_1) | instskip(NEXT) | instid1(VALU_DEP_1)
	v_dual_lshlrev_b32 v4, 24, v4 :: v_dual_bitop2_b32 v2, 7, v2 bitop3:0x40
	v_dual_cndmask_b32 v5, v8, v5 :: v_dual_cndmask_b32 v2, v3, v2
	s_delay_alu instid0(VALU_DEP_2) | instskip(NEXT) | instid1(VALU_DEP_2)
	v_and_b32_e32 v3, 0x80000000, v4
	v_lshl_add_u32 v4, v5, 23, 0x3b800000
	s_delay_alu instid0(VALU_DEP_3) | instskip(NEXT) | instid1(VALU_DEP_1)
	v_lshlrev_b32_e32 v2, 20, v2
	v_or3_b32 v2, v3, v4, v2
	s_delay_alu instid0(VALU_DEP_1) | instskip(NEXT) | instid1(VALU_DEP_1)
	v_trunc_f32_e32 v2, v2
	v_mul_f32_e64 v3, 0x2f800000, |v2|
	s_delay_alu instid0(VALU_DEP_1) | instskip(NEXT) | instid1(VALU_DEP_1)
	v_floor_f32_e32 v3, v3
	v_fma_f32 v4, 0xcf800000, v3, |v2|
	v_ashrrev_i32_e32 v2, 31, v2
	v_cvt_u32_f32_e32 v5, v3
	s_delay_alu instid0(VALU_DEP_3) | instskip(NEXT) | instid1(VALU_DEP_2)
	v_cvt_u32_f32_e32 v4, v4
	v_dual_mov_b32 v3, v2 :: v_dual_bitop2_b32 v5, v5, v2 bitop3:0x14
	s_delay_alu instid0(VALU_DEP_2) | instskip(NEXT) | instid1(VALU_DEP_1)
	v_xor_b32_e32 v4, v4, v2
	v_sub_nc_u64_e32 v[2:3], v[4:5], v[2:3]
.LBB46_55:
	s_or_b32 exec_lo, exec_lo, s17
.LBB46_56:
	s_mov_b32 s17, -1
.LBB46_57:
	s_branch .LBB46_90
.LBB46_58:
	s_cmp_gt_i32 s0, 22
	s_cbranch_scc0 .LBB46_66
; %bb.59:
	s_cmp_lt_i32 s0, 24
	s_cbranch_scc1 .LBB46_69
; %bb.60:
	s_cmp_gt_i32 s0, 24
	s_cbranch_scc0 .LBB46_70
; %bb.61:
	global_load_u8 v4, v[0:1], off
	s_mov_b32 s18, 0
	s_mov_b32 s17, exec_lo
	s_wait_loadcnt 0x0
	v_cmpx_lt_i16_e32 0x7f, v4
	s_xor_b32 s17, exec_lo, s17
	s_cbranch_execz .LBB46_82
; %bb.62:
	v_cmp_ne_u16_e32 vcc_lo, 0x80, v4
	s_and_b32 s18, vcc_lo, exec_lo
	s_and_not1_saveexec_b32 s17, s17
	s_cbranch_execnz .LBB46_83
.LBB46_63:
	s_or_b32 exec_lo, exec_lo, s17
	v_mov_b64_e32 v[2:3], 0
	s_and_saveexec_b32 s17, s18
	s_cbranch_execz .LBB46_65
.LBB46_64:
	v_and_b32_e32 v2, 0xffff, v4
	s_delay_alu instid0(VALU_DEP_1) | instskip(SKIP_1) | instid1(VALU_DEP_2)
	v_and_b32_e32 v3, 3, v2
	v_bfe_u32 v8, v2, 2, 5
	v_clz_i32_u32_e32 v5, v3
	s_delay_alu instid0(VALU_DEP_2) | instskip(NEXT) | instid1(VALU_DEP_2)
	v_cmp_eq_u32_e32 vcc_lo, 0, v8
	v_min_u32_e32 v5, 32, v5
	s_delay_alu instid0(VALU_DEP_1) | instskip(NEXT) | instid1(VALU_DEP_1)
	v_subrev_nc_u32_e32 v7, 29, v5
	v_dual_lshlrev_b32 v2, v7, v2 :: v_dual_sub_nc_u32 v5, 30, v5
	s_delay_alu instid0(VALU_DEP_1) | instskip(NEXT) | instid1(VALU_DEP_1)
	v_dual_lshlrev_b32 v4, 24, v4 :: v_dual_bitop2_b32 v2, 3, v2 bitop3:0x40
	v_dual_cndmask_b32 v5, v8, v5 :: v_dual_cndmask_b32 v2, v3, v2
	s_delay_alu instid0(VALU_DEP_2) | instskip(NEXT) | instid1(VALU_DEP_2)
	v_and_b32_e32 v3, 0x80000000, v4
	v_lshl_add_u32 v4, v5, 23, 0x37800000
	s_delay_alu instid0(VALU_DEP_3) | instskip(NEXT) | instid1(VALU_DEP_1)
	v_lshlrev_b32_e32 v2, 21, v2
	v_or3_b32 v2, v3, v4, v2
	s_delay_alu instid0(VALU_DEP_1) | instskip(NEXT) | instid1(VALU_DEP_1)
	v_trunc_f32_e32 v2, v2
	v_mul_f32_e64 v3, 0x2f800000, |v2|
	s_delay_alu instid0(VALU_DEP_1) | instskip(NEXT) | instid1(VALU_DEP_1)
	v_floor_f32_e32 v3, v3
	v_fma_f32 v4, 0xcf800000, v3, |v2|
	v_ashrrev_i32_e32 v2, 31, v2
	v_cvt_u32_f32_e32 v5, v3
	s_delay_alu instid0(VALU_DEP_3) | instskip(NEXT) | instid1(VALU_DEP_2)
	v_cvt_u32_f32_e32 v4, v4
	v_dual_mov_b32 v3, v2 :: v_dual_bitop2_b32 v5, v5, v2 bitop3:0x14
	s_delay_alu instid0(VALU_DEP_2) | instskip(NEXT) | instid1(VALU_DEP_1)
	v_xor_b32_e32 v4, v4, v2
	v_sub_nc_u64_e32 v[2:3], v[4:5], v[2:3]
.LBB46_65:
	s_or_b32 exec_lo, exec_lo, s17
	s_mov_b32 s17, 0
	s_branch .LBB46_71
.LBB46_66:
	s_mov_b32 s18, -1
                                        ; implicit-def: $vgpr2_vgpr3
	s_branch .LBB46_77
.LBB46_67:
	s_and_not1_saveexec_b32 s17, s17
	s_cbranch_execz .LBB46_53
.LBB46_68:
	v_cmp_ne_u16_e32 vcc_lo, 0, v4
	s_and_not1_b32 s18, s18, exec_lo
	s_and_b32 s22, vcc_lo, exec_lo
	s_delay_alu instid0(SALU_CYCLE_1)
	s_or_b32 s18, s18, s22
	s_or_b32 exec_lo, exec_lo, s17
	v_mov_b64_e32 v[2:3], 0
	s_and_saveexec_b32 s17, s18
	s_cbranch_execnz .LBB46_54
	s_branch .LBB46_55
.LBB46_69:
	s_mov_b32 s17, -1
                                        ; implicit-def: $vgpr2_vgpr3
	s_branch .LBB46_74
.LBB46_70:
	s_mov_b32 s17, -1
                                        ; implicit-def: $vgpr2_vgpr3
.LBB46_71:
	s_delay_alu instid0(SALU_CYCLE_1)
	s_and_b32 vcc_lo, exec_lo, s17
	s_cbranch_vccz .LBB46_73
; %bb.72:
	s_wait_loadcnt 0x0
	global_load_u8 v2, v[0:1], off
	s_wait_loadcnt 0x0
	v_lshlrev_b32_e32 v2, 24, v2
	s_delay_alu instid0(VALU_DEP_1) | instskip(NEXT) | instid1(VALU_DEP_1)
	v_and_b32_e32 v3, 0x7f000000, v2
	v_clz_i32_u32_e32 v4, v3
	v_add_nc_u32_e32 v7, 0x1000000, v3
	v_cmp_ne_u32_e32 vcc_lo, 0, v3
	s_delay_alu instid0(VALU_DEP_3) | instskip(NEXT) | instid1(VALU_DEP_1)
	v_min_u32_e32 v4, 32, v4
	v_sub_nc_u32_e64 v4, v4, 4 clamp
	s_delay_alu instid0(VALU_DEP_1) | instskip(NEXT) | instid1(VALU_DEP_1)
	v_dual_lshlrev_b32 v5, v4, v3 :: v_dual_lshlrev_b32 v4, 23, v4
	v_lshrrev_b32_e32 v5, 4, v5
	s_delay_alu instid0(VALU_DEP_1) | instskip(NEXT) | instid1(VALU_DEP_1)
	v_dual_sub_nc_u32 v4, v5, v4 :: v_dual_ashrrev_i32 v5, 8, v7
	v_add_nc_u32_e32 v4, 0x3c000000, v4
	s_delay_alu instid0(VALU_DEP_1) | instskip(NEXT) | instid1(VALU_DEP_1)
	v_and_or_b32 v4, 0x7f800000, v5, v4
	v_cndmask_b32_e32 v3, 0, v4, vcc_lo
	s_delay_alu instid0(VALU_DEP_1) | instskip(NEXT) | instid1(VALU_DEP_1)
	v_and_or_b32 v2, 0x80000000, v2, v3
	v_trunc_f32_e32 v2, v2
	s_delay_alu instid0(VALU_DEP_1) | instskip(NEXT) | instid1(VALU_DEP_1)
	v_mul_f32_e64 v3, 0x2f800000, |v2|
	v_floor_f32_e32 v3, v3
	s_delay_alu instid0(VALU_DEP_1) | instskip(SKIP_2) | instid1(VALU_DEP_3)
	v_fma_f32 v4, 0xcf800000, v3, |v2|
	v_ashrrev_i32_e32 v2, 31, v2
	v_cvt_u32_f32_e32 v5, v3
	v_cvt_u32_f32_e32 v4, v4
	s_delay_alu instid0(VALU_DEP_2) | instskip(NEXT) | instid1(VALU_DEP_2)
	v_dual_mov_b32 v3, v2 :: v_dual_bitop2_b32 v5, v5, v2 bitop3:0x14
	v_xor_b32_e32 v4, v4, v2
	s_delay_alu instid0(VALU_DEP_1)
	v_sub_nc_u64_e32 v[2:3], v[4:5], v[2:3]
.LBB46_73:
	s_mov_b32 s17, 0
.LBB46_74:
	s_delay_alu instid0(SALU_CYCLE_1)
	s_and_not1_b32 vcc_lo, exec_lo, s17
	s_cbranch_vccnz .LBB46_76
; %bb.75:
	s_wait_loadcnt 0x0
	global_load_u8 v2, v[0:1], off
	s_wait_loadcnt 0x0
	v_lshlrev_b32_e32 v3, 25, v2
	v_lshlrev_b16 v2, 8, v2
	s_delay_alu instid0(VALU_DEP_1) | instskip(SKIP_1) | instid1(VALU_DEP_2)
	v_and_or_b32 v5, 0x7f00, v2, 0.5
	v_bfe_i32 v2, v2, 0, 16
	v_dual_add_f32 v5, -0.5, v5 :: v_dual_lshrrev_b32 v4, 4, v3
	v_cmp_gt_u32_e32 vcc_lo, 0x8000000, v3
	s_delay_alu instid0(VALU_DEP_2) | instskip(NEXT) | instid1(VALU_DEP_1)
	v_or_b32_e32 v4, 0x70000000, v4
	v_mul_f32_e32 v4, 0x7800000, v4
	s_delay_alu instid0(VALU_DEP_1) | instskip(NEXT) | instid1(VALU_DEP_1)
	v_cndmask_b32_e32 v3, v4, v5, vcc_lo
	v_and_or_b32 v2, 0x80000000, v2, v3
	s_delay_alu instid0(VALU_DEP_1) | instskip(NEXT) | instid1(VALU_DEP_1)
	v_trunc_f32_e32 v2, v2
	v_mul_f32_e64 v3, 0x2f800000, |v2|
	s_delay_alu instid0(VALU_DEP_1) | instskip(NEXT) | instid1(VALU_DEP_1)
	v_floor_f32_e32 v3, v3
	v_fma_f32 v4, 0xcf800000, v3, |v2|
	v_ashrrev_i32_e32 v2, 31, v2
	v_cvt_u32_f32_e32 v5, v3
	s_delay_alu instid0(VALU_DEP_3) | instskip(NEXT) | instid1(VALU_DEP_2)
	v_cvt_u32_f32_e32 v4, v4
	v_dual_mov_b32 v3, v2 :: v_dual_bitop2_b32 v5, v5, v2 bitop3:0x14
	s_delay_alu instid0(VALU_DEP_2) | instskip(NEXT) | instid1(VALU_DEP_1)
	v_xor_b32_e32 v4, v4, v2
	v_sub_nc_u64_e32 v[2:3], v[4:5], v[2:3]
.LBB46_76:
	s_mov_b32 s18, 0
	s_mov_b32 s17, -1
.LBB46_77:
	s_and_not1_b32 vcc_lo, exec_lo, s18
	s_cbranch_vccnz .LBB46_90
; %bb.78:
	s_cmp_gt_i32 s0, 14
	s_cbranch_scc0 .LBB46_81
; %bb.79:
	s_cmp_eq_u32 s0, 15
	s_cbranch_scc0 .LBB46_84
; %bb.80:
	s_wait_loadcnt 0x0
	global_load_u16 v2, v[0:1], off
	s_mov_b32 s17, -1
	s_mov_b32 s19, 0
	s_wait_loadcnt 0x0
	v_lshlrev_b32_e32 v2, 16, v2
	s_delay_alu instid0(VALU_DEP_1) | instskip(NEXT) | instid1(VALU_DEP_1)
	v_trunc_f32_e32 v2, v2
	v_mul_f32_e64 v3, 0x2f800000, |v2|
	s_delay_alu instid0(VALU_DEP_1) | instskip(NEXT) | instid1(VALU_DEP_1)
	v_floor_f32_e32 v3, v3
	v_fma_f32 v4, 0xcf800000, v3, |v2|
	v_ashrrev_i32_e32 v2, 31, v2
	v_cvt_u32_f32_e32 v5, v3
	s_delay_alu instid0(VALU_DEP_3) | instskip(NEXT) | instid1(VALU_DEP_2)
	v_cvt_u32_f32_e32 v4, v4
	v_dual_mov_b32 v3, v2 :: v_dual_bitop2_b32 v5, v5, v2 bitop3:0x14
	s_delay_alu instid0(VALU_DEP_2) | instskip(NEXT) | instid1(VALU_DEP_1)
	v_xor_b32_e32 v4, v4, v2
	v_sub_nc_u64_e32 v[2:3], v[4:5], v[2:3]
	s_branch .LBB46_85
.LBB46_81:
	s_mov_b32 s18, -1
                                        ; implicit-def: $vgpr2_vgpr3
	s_branch .LBB46_86
.LBB46_82:
	s_and_not1_saveexec_b32 s17, s17
	s_cbranch_execz .LBB46_63
.LBB46_83:
	v_cmp_ne_u16_e32 vcc_lo, 0, v4
	s_and_not1_b32 s18, s18, exec_lo
	s_and_b32 s22, vcc_lo, exec_lo
	s_delay_alu instid0(SALU_CYCLE_1)
	s_or_b32 s18, s18, s22
	s_or_b32 exec_lo, exec_lo, s17
	v_mov_b64_e32 v[2:3], 0
	s_and_saveexec_b32 s17, s18
	s_cbranch_execnz .LBB46_64
	s_branch .LBB46_65
.LBB46_84:
	s_mov_b32 s19, -1
                                        ; implicit-def: $vgpr2_vgpr3
.LBB46_85:
	s_mov_b32 s18, 0
.LBB46_86:
	s_delay_alu instid0(SALU_CYCLE_1)
	s_and_b32 vcc_lo, exec_lo, s18
	s_cbranch_vccz .LBB46_90
; %bb.87:
	s_cmp_eq_u32 s0, 11
	s_cbranch_scc0 .LBB46_89
; %bb.88:
	s_wait_loadcnt 0x0
	global_load_u8 v2, v[0:1], off
	s_mov_b32 s19, 0
	s_mov_b32 s17, -1
	v_mov_b32_e32 v3, s19
	s_wait_loadcnt 0x0
	v_cmp_ne_u16_e32 vcc_lo, 0, v2
	v_cndmask_b32_e64 v2, 0, 1, vcc_lo
	s_branch .LBB46_90
.LBB46_89:
	s_mov_b32 s19, -1
                                        ; implicit-def: $vgpr2_vgpr3
.LBB46_90:
	s_branch .LBB46_10
.LBB46_91:
	s_cmp_lt_i32 s0, 5
	s_cbranch_scc1 .LBB46_96
; %bb.92:
	s_cmp_lt_i32 s0, 8
	s_cbranch_scc1 .LBB46_97
; %bb.93:
	;; [unrolled: 3-line block ×3, first 2 shown]
	s_cmp_gt_i32 s0, 9
	s_cbranch_scc0 .LBB46_99
; %bb.95:
	s_wait_loadcnt 0x0
	global_load_b64 v[2:3], v[0:1], off
	s_mov_b32 s17, 0
	s_wait_loadcnt 0x0
	v_trunc_f64_e32 v[2:3], v[2:3]
	s_delay_alu instid0(VALU_DEP_1) | instskip(NEXT) | instid1(VALU_DEP_1)
	v_ldexp_f64 v[4:5], v[2:3], 0xffffffe0
	v_floor_f64_e32 v[4:5], v[4:5]
	s_delay_alu instid0(VALU_DEP_1) | instskip(SKIP_1) | instid1(VALU_DEP_2)
	v_fmamk_f64 v[8:9], v[4:5], 0xc1f00000, v[2:3]
	v_cvt_i32_f64_e32 v3, v[4:5]
	v_cvt_u32_f64_e32 v2, v[8:9]
	s_branch .LBB46_100
.LBB46_96:
                                        ; implicit-def: $vgpr2_vgpr3
	s_branch .LBB46_118
.LBB46_97:
	s_mov_b32 s17, -1
                                        ; implicit-def: $vgpr2_vgpr3
	s_branch .LBB46_106
.LBB46_98:
	s_mov_b32 s17, -1
                                        ; implicit-def: $vgpr2_vgpr3
	s_branch .LBB46_103
.LBB46_99:
	s_mov_b32 s17, -1
                                        ; implicit-def: $vgpr2_vgpr3
.LBB46_100:
	s_delay_alu instid0(SALU_CYCLE_1)
	s_and_not1_b32 vcc_lo, exec_lo, s17
	s_cbranch_vccnz .LBB46_102
; %bb.101:
	s_wait_loadcnt 0x0
	global_load_b32 v2, v[0:1], off
	s_wait_loadcnt 0x0
	v_trunc_f32_e32 v2, v2
	s_delay_alu instid0(VALU_DEP_1) | instskip(NEXT) | instid1(VALU_DEP_1)
	v_mul_f32_e64 v3, 0x2f800000, |v2|
	v_floor_f32_e32 v3, v3
	s_delay_alu instid0(VALU_DEP_1) | instskip(SKIP_2) | instid1(VALU_DEP_3)
	v_fma_f32 v4, 0xcf800000, v3, |v2|
	v_ashrrev_i32_e32 v2, 31, v2
	v_cvt_u32_f32_e32 v5, v3
	v_cvt_u32_f32_e32 v4, v4
	s_delay_alu instid0(VALU_DEP_2) | instskip(NEXT) | instid1(VALU_DEP_2)
	v_dual_mov_b32 v3, v2 :: v_dual_bitop2_b32 v5, v5, v2 bitop3:0x14
	v_xor_b32_e32 v4, v4, v2
	s_delay_alu instid0(VALU_DEP_1)
	v_sub_nc_u64_e32 v[2:3], v[4:5], v[2:3]
.LBB46_102:
	s_mov_b32 s17, 0
.LBB46_103:
	s_delay_alu instid0(SALU_CYCLE_1)
	s_and_not1_b32 vcc_lo, exec_lo, s17
	s_cbranch_vccnz .LBB46_105
; %bb.104:
	s_wait_loadcnt 0x0
	global_load_b32 v2, v[0:1], off
	s_wait_loadcnt 0x0
	v_cvt_f32_f16_e32 v2, v2
	s_delay_alu instid0(VALU_DEP_1) | instskip(NEXT) | instid1(VALU_DEP_1)
	v_cvt_i32_f32_e32 v2, v2
	v_ashrrev_i32_e32 v3, 31, v2
.LBB46_105:
	s_mov_b32 s17, 0
.LBB46_106:
	s_delay_alu instid0(SALU_CYCLE_1)
	s_and_not1_b32 vcc_lo, exec_lo, s17
	s_cbranch_vccnz .LBB46_117
; %bb.107:
	s_cmp_lt_i32 s0, 6
	s_cbranch_scc1 .LBB46_110
; %bb.108:
	s_cmp_gt_i32 s0, 6
	s_cbranch_scc0 .LBB46_111
; %bb.109:
	s_wait_loadcnt 0x0
	global_load_b64 v[2:3], v[0:1], off
	s_mov_b32 s17, 0
	s_wait_loadcnt 0x0
	v_trunc_f64_e32 v[2:3], v[2:3]
	s_delay_alu instid0(VALU_DEP_1) | instskip(NEXT) | instid1(VALU_DEP_1)
	v_ldexp_f64 v[4:5], v[2:3], 0xffffffe0
	v_floor_f64_e32 v[4:5], v[4:5]
	s_delay_alu instid0(VALU_DEP_1) | instskip(SKIP_1) | instid1(VALU_DEP_2)
	v_fmamk_f64 v[8:9], v[4:5], 0xc1f00000, v[2:3]
	v_cvt_i32_f64_e32 v3, v[4:5]
	v_cvt_u32_f64_e32 v2, v[8:9]
	s_branch .LBB46_112
.LBB46_110:
	s_mov_b32 s17, -1
                                        ; implicit-def: $vgpr2_vgpr3
	s_branch .LBB46_115
.LBB46_111:
	s_mov_b32 s17, -1
                                        ; implicit-def: $vgpr2_vgpr3
.LBB46_112:
	s_delay_alu instid0(SALU_CYCLE_1)
	s_and_not1_b32 vcc_lo, exec_lo, s17
	s_cbranch_vccnz .LBB46_114
; %bb.113:
	s_wait_loadcnt 0x0
	global_load_b32 v2, v[0:1], off
	s_wait_loadcnt 0x0
	v_trunc_f32_e32 v2, v2
	s_delay_alu instid0(VALU_DEP_1) | instskip(NEXT) | instid1(VALU_DEP_1)
	v_mul_f32_e64 v3, 0x2f800000, |v2|
	v_floor_f32_e32 v3, v3
	s_delay_alu instid0(VALU_DEP_1) | instskip(SKIP_2) | instid1(VALU_DEP_3)
	v_fma_f32 v4, 0xcf800000, v3, |v2|
	v_ashrrev_i32_e32 v2, 31, v2
	v_cvt_u32_f32_e32 v5, v3
	v_cvt_u32_f32_e32 v4, v4
	s_delay_alu instid0(VALU_DEP_2) | instskip(NEXT) | instid1(VALU_DEP_2)
	v_dual_mov_b32 v3, v2 :: v_dual_bitop2_b32 v5, v5, v2 bitop3:0x14
	v_xor_b32_e32 v4, v4, v2
	s_delay_alu instid0(VALU_DEP_1)
	v_sub_nc_u64_e32 v[2:3], v[4:5], v[2:3]
.LBB46_114:
	s_mov_b32 s17, 0
.LBB46_115:
	s_delay_alu instid0(SALU_CYCLE_1)
	s_and_not1_b32 vcc_lo, exec_lo, s17
	s_cbranch_vccnz .LBB46_117
; %bb.116:
	s_wait_loadcnt 0x0
	global_load_u16 v2, v[0:1], off
	s_wait_loadcnt 0x0
	v_cvt_f32_f16_e32 v2, v2
	s_delay_alu instid0(VALU_DEP_1) | instskip(NEXT) | instid1(VALU_DEP_1)
	v_cvt_i32_f32_e32 v2, v2
	v_ashrrev_i32_e32 v3, 31, v2
.LBB46_117:
	s_cbranch_execnz .LBB46_137
.LBB46_118:
	s_cmp_lt_i32 s0, 2
	s_cbranch_scc1 .LBB46_122
; %bb.119:
	s_cmp_lt_i32 s0, 3
	s_cbranch_scc1 .LBB46_123
; %bb.120:
	s_cmp_gt_i32 s0, 3
	s_cbranch_scc0 .LBB46_124
; %bb.121:
	s_wait_loadcnt 0x0
	global_load_b64 v[2:3], v[0:1], off
	s_mov_b32 s17, 0
	s_branch .LBB46_125
.LBB46_122:
	s_mov_b32 s17, -1
                                        ; implicit-def: $vgpr2_vgpr3
	s_branch .LBB46_131
.LBB46_123:
	s_mov_b32 s17, -1
                                        ; implicit-def: $vgpr2_vgpr3
	s_branch .LBB46_128
.LBB46_124:
	s_mov_b32 s17, -1
                                        ; implicit-def: $vgpr2_vgpr3
.LBB46_125:
	s_delay_alu instid0(SALU_CYCLE_1)
	s_and_not1_b32 vcc_lo, exec_lo, s17
	s_cbranch_vccnz .LBB46_127
; %bb.126:
	s_wait_loadcnt 0x0
	global_load_b32 v2, v[0:1], off
	s_wait_loadcnt 0x0
	v_ashrrev_i32_e32 v3, 31, v2
.LBB46_127:
	s_mov_b32 s17, 0
.LBB46_128:
	s_delay_alu instid0(SALU_CYCLE_1)
	s_and_not1_b32 vcc_lo, exec_lo, s17
	s_cbranch_vccnz .LBB46_130
; %bb.129:
	s_wait_loadcnt 0x0
	global_load_u16 v2, v[0:1], off
	s_wait_loadcnt 0x0
	v_bfe_i32 v2, v2, 0, 16
	s_delay_alu instid0(VALU_DEP_1)
	v_ashrrev_i32_e32 v3, 31, v2
.LBB46_130:
	s_mov_b32 s17, 0
.LBB46_131:
	s_delay_alu instid0(SALU_CYCLE_1)
	s_and_not1_b32 vcc_lo, exec_lo, s17
	s_cbranch_vccnz .LBB46_137
; %bb.132:
	s_cmp_gt_i32 s0, 0
	s_mov_b32 s0, 0
	s_cbranch_scc0 .LBB46_134
; %bb.133:
	s_wait_loadcnt 0x0
	global_load_i8 v2, v[0:1], off
	s_wait_loadcnt 0x0
	v_bfe_i32 v2, v2, 0, 16
	s_delay_alu instid0(VALU_DEP_1)
	v_ashrrev_i32_e32 v3, 31, v2
	s_branch .LBB46_135
.LBB46_134:
	s_mov_b32 s0, -1
                                        ; implicit-def: $vgpr2_vgpr3
.LBB46_135:
	s_delay_alu instid0(SALU_CYCLE_1)
	s_and_not1_b32 vcc_lo, exec_lo, s0
	s_cbranch_vccnz .LBB46_137
; %bb.136:
	global_load_u8 v0, v[0:1], off
	s_mov_b32 s0, 0
	s_wait_loadcnt 0x1
	v_mov_b32_e32 v3, s0
	s_wait_loadcnt 0x0
	v_and_b32_e32 v2, 0xffff, v0
.LBB46_137:
	s_branch .LBB46_11
.LBB46_138:
	s_mov_b32 s22, 0
	s_mov_b32 s18, 0
	;; [unrolled: 1-line block ×3, first 2 shown]
                                        ; implicit-def: $vgpr6
	s_branch .LBB46_220
.LBB46_139:
	s_mov_b32 s24, -1
	s_mov_b32 s23, 0
.LBB46_140:
	s_and_b32 vcc_lo, exec_lo, s24
	s_cbranch_vccz .LBB46_143
; %bb.141:
	s_cmp_eq_u32 s22, 44
	s_mov_b32 s17, -1
	s_cbranch_scc0 .LBB46_143
; %bb.142:
	s_wait_xcnt 0x0
	v_mov_b32_e32 v2, 0
	s_mov_b32 s23, -1
	s_mov_b32 s17, 0
	s_mov_b32 s24, 0
	global_store_b8 v[0:1], v2, off
	s_branch .LBB46_144
.LBB46_143:
	s_mov_b32 s24, 0
.LBB46_144:
	s_delay_alu instid0(SALU_CYCLE_1)
	s_and_b32 vcc_lo, exec_lo, s24
	s_cbranch_vccz .LBB46_147
; %bb.145:
	s_cmp_eq_u32 s22, 29
	s_mov_b32 s17, -1
	s_cbranch_scc0 .LBB46_147
; %bb.146:
	s_wait_xcnt 0x0
	v_mov_b64_e32 v[2:3], 0
	s_mov_b32 s23, -1
	s_mov_b32 s17, 0
	s_mov_b32 s24, 0
	global_store_b64 v[0:1], v[2:3], off
	s_branch .LBB46_148
.LBB46_147:
	s_mov_b32 s24, 0
.LBB46_148:
	s_delay_alu instid0(SALU_CYCLE_1)
	s_and_b32 vcc_lo, exec_lo, s24
	s_cbranch_vccz .LBB46_158
; %bb.149:
	s_cmp_lt_i32 s22, 27
	s_mov_b32 s23, -1
	s_cbranch_scc1 .LBB46_155
; %bb.150:
	s_cmp_gt_i32 s22, 27
	s_cbranch_scc0 .LBB46_152
; %bb.151:
	s_wait_xcnt 0x0
	v_mov_b32_e32 v2, 0
	s_mov_b32 s23, 0
	global_store_b32 v[0:1], v2, off
.LBB46_152:
	s_and_not1_b32 vcc_lo, exec_lo, s23
	s_cbranch_vccnz .LBB46_154
; %bb.153:
	s_wait_xcnt 0x0
	v_mov_b32_e32 v2, 0
	global_store_b16 v[0:1], v2, off
.LBB46_154:
	s_mov_b32 s23, 0
.LBB46_155:
	s_delay_alu instid0(SALU_CYCLE_1)
	s_and_not1_b32 vcc_lo, exec_lo, s23
	s_cbranch_vccnz .LBB46_157
; %bb.156:
	s_wait_xcnt 0x0
	v_mov_b32_e32 v2, 0
	global_store_b8 v[0:1], v2, off
.LBB46_157:
	s_mov_b32 s23, -1
.LBB46_158:
	s_mov_b32 s24, 0
.LBB46_159:
	s_delay_alu instid0(SALU_CYCLE_1)
	s_and_b32 vcc_lo, exec_lo, s24
	s_cbranch_vccz .LBB46_178
; %bb.160:
	s_cmp_gt_i32 s22, 22
	s_mov_b32 s24, -1
	s_cbranch_scc0 .LBB46_170
; %bb.161:
	s_cmp_lt_i32 s22, 24
	s_mov_b32 s23, -1
	s_cbranch_scc1 .LBB46_167
; %bb.162:
	s_cmp_gt_i32 s22, 24
	s_cbranch_scc0 .LBB46_164
; %bb.163:
	s_wait_xcnt 0x0
	v_mov_b32_e32 v2, 0
	s_mov_b32 s23, 0
	global_store_b8 v[0:1], v2, off
.LBB46_164:
	s_and_not1_b32 vcc_lo, exec_lo, s23
	s_cbranch_vccnz .LBB46_166
; %bb.165:
	s_wait_xcnt 0x0
	v_mov_b32_e32 v2, 0
	global_store_b8 v[0:1], v2, off
.LBB46_166:
	s_mov_b32 s23, 0
.LBB46_167:
	s_delay_alu instid0(SALU_CYCLE_1)
	s_and_not1_b32 vcc_lo, exec_lo, s23
	s_cbranch_vccnz .LBB46_169
; %bb.168:
	s_wait_xcnt 0x0
	v_mov_b32_e32 v2, 0
	global_store_b8 v[0:1], v2, off
.LBB46_169:
	s_mov_b32 s24, 0
	s_mov_b32 s23, -1
.LBB46_170:
	s_and_not1_b32 vcc_lo, exec_lo, s24
	s_cbranch_vccnz .LBB46_178
; %bb.171:
	s_cmp_gt_i32 s22, 14
	s_mov_b32 s24, -1
	s_cbranch_scc0 .LBB46_175
; %bb.172:
	s_cmp_eq_u32 s22, 15
	s_mov_b32 s17, -1
	s_cbranch_scc0 .LBB46_174
; %bb.173:
	s_wait_xcnt 0x0
	v_mov_b32_e32 v2, 0
	s_mov_b32 s23, -1
	s_mov_b32 s17, 0
	global_store_b16 v[0:1], v2, off
.LBB46_174:
	s_mov_b32 s24, 0
.LBB46_175:
	s_delay_alu instid0(SALU_CYCLE_1)
	s_and_b32 vcc_lo, exec_lo, s24
	s_cbranch_vccz .LBB46_178
; %bb.176:
	s_cmp_eq_u32 s22, 11
	s_mov_b32 s17, -1
	s_cbranch_scc0 .LBB46_178
; %bb.177:
	s_wait_xcnt 0x0
	v_mov_b32_e32 v2, 0
	s_mov_b32 s23, -1
	s_mov_b32 s17, 0
	global_store_b8 v[0:1], v2, off
.LBB46_178:
	s_branch .LBB46_21
.LBB46_179:
	s_and_b32 s18, 0xffff, s18
	s_mov_b32 s22, -1
	s_cmp_lt_i32 s18, 5
	s_cbranch_scc1 .LBB46_200
; %bb.180:
	s_cmp_lt_i32 s18, 8
	s_cbranch_scc1 .LBB46_190
; %bb.181:
	;; [unrolled: 3-line block ×3, first 2 shown]
	s_cmp_gt_i32 s18, 9
	s_cbranch_scc0 .LBB46_184
; %bb.183:
	s_wait_xcnt 0x0
	v_mov_b32_e32 v2, 0
	s_mov_b32 s22, 0
	s_delay_alu instid0(VALU_DEP_1)
	v_dual_mov_b32 v3, v2 :: v_dual_mov_b32 v4, v2
	v_mov_b32_e32 v5, v2
	global_store_b128 v[0:1], v[2:5], off
.LBB46_184:
	s_and_not1_b32 vcc_lo, exec_lo, s22
	s_cbranch_vccnz .LBB46_186
; %bb.185:
	s_wait_xcnt 0x0
	v_mov_b64_e32 v[2:3], 0
	global_store_b64 v[0:1], v[2:3], off
.LBB46_186:
	s_mov_b32 s22, 0
.LBB46_187:
	s_delay_alu instid0(SALU_CYCLE_1)
	s_and_not1_b32 vcc_lo, exec_lo, s22
	s_cbranch_vccnz .LBB46_189
; %bb.188:
	s_wait_xcnt 0x0
	v_mov_b32_e32 v2, 0
	global_store_b32 v[0:1], v2, off
.LBB46_189:
	s_mov_b32 s22, 0
.LBB46_190:
	s_delay_alu instid0(SALU_CYCLE_1)
	s_and_not1_b32 vcc_lo, exec_lo, s22
	s_cbranch_vccnz .LBB46_199
; %bb.191:
	s_cmp_lt_i32 s18, 6
	s_mov_b32 s22, -1
	s_cbranch_scc1 .LBB46_197
; %bb.192:
	s_cmp_gt_i32 s18, 6
	s_cbranch_scc0 .LBB46_194
; %bb.193:
	s_wait_xcnt 0x0
	v_mov_b64_e32 v[2:3], 0
	s_mov_b32 s22, 0
	global_store_b64 v[0:1], v[2:3], off
.LBB46_194:
	s_and_not1_b32 vcc_lo, exec_lo, s22
	s_cbranch_vccnz .LBB46_196
; %bb.195:
	s_wait_xcnt 0x0
	v_mov_b32_e32 v2, 0
	global_store_b32 v[0:1], v2, off
.LBB46_196:
	s_mov_b32 s22, 0
.LBB46_197:
	s_delay_alu instid0(SALU_CYCLE_1)
	s_and_not1_b32 vcc_lo, exec_lo, s22
	s_cbranch_vccnz .LBB46_199
; %bb.198:
	s_wait_xcnt 0x0
	v_mov_b32_e32 v2, 0
	global_store_b16 v[0:1], v2, off
.LBB46_199:
	s_mov_b32 s22, 0
.LBB46_200:
	s_delay_alu instid0(SALU_CYCLE_1)
	s_and_not1_b32 vcc_lo, exec_lo, s22
	s_cbranch_vccnz .LBB46_216
; %bb.201:
	s_cmp_lt_i32 s18, 2
	s_mov_b32 s22, -1
	s_cbranch_scc1 .LBB46_211
; %bb.202:
	s_cmp_lt_i32 s18, 3
	s_cbranch_scc1 .LBB46_208
; %bb.203:
	s_cmp_gt_i32 s18, 3
	s_cbranch_scc0 .LBB46_205
; %bb.204:
	s_wait_xcnt 0x0
	v_mov_b64_e32 v[2:3], 0
	s_mov_b32 s22, 0
	global_store_b64 v[0:1], v[2:3], off
.LBB46_205:
	s_and_not1_b32 vcc_lo, exec_lo, s22
	s_cbranch_vccnz .LBB46_207
; %bb.206:
	s_wait_xcnt 0x0
	v_mov_b32_e32 v2, 0
	global_store_b32 v[0:1], v2, off
.LBB46_207:
	s_mov_b32 s22, 0
.LBB46_208:
	s_delay_alu instid0(SALU_CYCLE_1)
	s_and_not1_b32 vcc_lo, exec_lo, s22
	s_cbranch_vccnz .LBB46_210
; %bb.209:
	s_wait_xcnt 0x0
	v_mov_b32_e32 v2, 0
	global_store_b16 v[0:1], v2, off
.LBB46_210:
	s_mov_b32 s22, 0
.LBB46_211:
	s_delay_alu instid0(SALU_CYCLE_1)
	s_and_not1_b32 vcc_lo, exec_lo, s22
	s_cbranch_vccnz .LBB46_216
; %bb.212:
	s_cmp_gt_i32 s18, 0
	s_mov_b32 s18, -1
	s_cbranch_scc0 .LBB46_214
; %bb.213:
	s_wait_xcnt 0x0
	v_mov_b32_e32 v2, 0
	s_mov_b32 s18, 0
	global_store_b8 v[0:1], v2, off
.LBB46_214:
	s_and_not1_b32 vcc_lo, exec_lo, s18
	s_cbranch_vccnz .LBB46_216
; %bb.215:
	s_wait_xcnt 0x0
	v_mov_b32_e32 v2, 0
	global_store_b8 v[0:1], v2, off
.LBB46_216:
	s_branch .LBB46_22
.LBB46_217:
	s_mov_b32 s22, 0
                                        ; implicit-def: $vgpr6
.LBB46_218:
	s_and_b32 s17, s17, exec_lo
	s_xor_b32 s18, exec_lo, -1
	s_and_b32 s22, s22, exec_lo
.LBB46_219:
	s_wait_xcnt 0x0
	s_or_b32 exec_lo, exec_lo, s0
.LBB46_220:
	s_delay_alu instid0(SALU_CYCLE_1)
	s_and_b32 s17, s17, exec_lo
	s_and_b32 s18, s18, exec_lo
	;; [unrolled: 1-line block ×3, first 2 shown]
	s_or_not1_b32 s23, s22, exec_lo
.LBB46_221:
	s_wait_xcnt 0x0
	s_or_b32 exec_lo, exec_lo, s20
	s_mov_b32 s22, 0
	s_mov_b32 s0, 0
                                        ; implicit-def: $vgpr0_vgpr1
                                        ; implicit-def: $vgpr2_vgpr3
	s_and_saveexec_b32 s20, s23
	s_cbranch_execz .LBB46_230
; %bb.222:
	s_mov_b32 s0, -1
	s_mov_b32 s21, s19
	s_mov_b32 s23, s18
	;; [unrolled: 1-line block ×3, first 2 shown]
	s_mov_b32 s24, exec_lo
	v_cmpx_gt_i32_e64 s16, v6
	s_cbranch_execz .LBB46_448
; %bb.223:
	v_mul_lo_u32 v0, v6, s3
	s_and_b32 s0, 0xffff, s13
	s_delay_alu instid0(SALU_CYCLE_1) | instskip(NEXT) | instid1(VALU_DEP_1)
	s_cmp_lt_i32 s0, 11
	v_ashrrev_i32_e32 v1, 31, v0
	s_delay_alu instid0(VALU_DEP_1)
	v_add_nc_u64_e32 v[0:1], s[6:7], v[0:1]
	s_cbranch_scc1 .LBB46_233
; %bb.224:
	s_cmp_gt_i32 s0, 25
	s_cbranch_scc0 .LBB46_243
; %bb.225:
	s_cmp_gt_i32 s0, 28
	s_cbranch_scc0 .LBB46_245
	;; [unrolled: 3-line block ×4, first 2 shown]
; %bb.228:
	s_cmp_eq_u32 s0, 46
	s_mov_b32 s23, 0
	s_cbranch_scc0 .LBB46_251
; %bb.229:
	s_wait_loadcnt 0x0
	global_load_b32 v2, v[0:1], off
	s_mov_b32 s22, -1
	s_mov_b32 s21, 0
	s_wait_loadcnt 0x0
	v_lshlrev_b32_e32 v2, 16, v2
	s_delay_alu instid0(VALU_DEP_1) | instskip(NEXT) | instid1(VALU_DEP_1)
	v_trunc_f32_e32 v2, v2
	v_mul_f32_e64 v3, 0x2f800000, |v2|
	s_delay_alu instid0(VALU_DEP_1) | instskip(NEXT) | instid1(VALU_DEP_1)
	v_floor_f32_e32 v3, v3
	v_fma_f32 v4, 0xcf800000, v3, |v2|
	v_ashrrev_i32_e32 v2, 31, v2
	v_cvt_u32_f32_e32 v5, v3
	s_delay_alu instid0(VALU_DEP_3) | instskip(NEXT) | instid1(VALU_DEP_2)
	v_cvt_u32_f32_e32 v4, v4
	v_dual_mov_b32 v3, v2 :: v_dual_bitop2_b32 v5, v5, v2 bitop3:0x14
	s_delay_alu instid0(VALU_DEP_2) | instskip(NEXT) | instid1(VALU_DEP_1)
	v_xor_b32_e32 v4, v4, v2
	v_sub_nc_u64_e32 v[2:3], v[4:5], v[2:3]
	s_branch .LBB46_253
.LBB46_230:
	s_or_b32 exec_lo, exec_lo, s20
	s_mov_b32 s16, 0
	s_and_saveexec_b32 s20, s19
	s_cbranch_execnz .LBB46_752
.LBB46_231:
	s_or_b32 exec_lo, exec_lo, s20
	s_and_saveexec_b32 s19, s21
	s_delay_alu instid0(SALU_CYCLE_1)
	s_xor_b32 s19, exec_lo, s19
	s_cbranch_execz .LBB46_753
.LBB46_232:
	s_wait_loadcnt 0x0
	global_load_u8 v2, v[0:1], off
	s_mov_b32 s20, 0
	s_or_b32 s0, s0, exec_lo
	v_mov_b32_e32 v3, s20
	s_wait_loadcnt 0x0
	v_cmp_ne_u16_e32 vcc_lo, 0, v2
	v_cndmask_b32_e64 v2, 0, 1, vcc_lo
	s_wait_xcnt 0x0
	s_or_b32 exec_lo, exec_lo, s19
	s_and_saveexec_b32 s19, s22
	s_cbranch_execz .LBB46_799
	s_branch .LBB46_754
.LBB46_233:
	s_mov_b32 s22, 0
	s_mov_b32 s21, s19
                                        ; implicit-def: $vgpr2_vgpr3
	s_cbranch_execnz .LBB46_314
.LBB46_234:
	s_and_not1_b32 vcc_lo, exec_lo, s22
	s_cbranch_vccnz .LBB46_362
.LBB46_235:
	s_wait_loadcnt 0x0
	s_delay_alu instid0(VALU_DEP_1)
	v_cmp_le_i64_e32 vcc_lo, s[8:9], v[2:3]
	v_cmp_gt_i64_e64 s0, s[10:11], v[2:3]
	s_mov_b32 s25, 0
	s_mov_b32 s23, -1
	s_mov_b32 s22, s17
	s_and_b32 s0, vcc_lo, s0
	s_delay_alu instid0(SALU_CYCLE_1)
	s_and_b32 s26, s15, s0
	s_wait_xcnt 0x0
	s_and_saveexec_b32 s0, s26
	s_cbranch_execz .LBB46_446
; %bb.236:
	v_mul_lo_u32 v0, v6, s2
	s_and_b32 s23, s12, 0xff
	s_delay_alu instid0(SALU_CYCLE_1) | instskip(NEXT) | instid1(VALU_DEP_1)
	s_cmp_lt_i32 s23, 11
	v_ashrrev_i32_e32 v1, 31, v0
	s_delay_alu instid0(VALU_DEP_1)
	v_add_nc_u64_e32 v[0:1], s[4:5], v[0:1]
	s_cbranch_scc1 .LBB46_244
; %bb.237:
	s_and_b32 s25, 0xffff, s23
	s_delay_alu instid0(SALU_CYCLE_1)
	s_cmp_gt_i32 s25, 25
	s_cbranch_scc0 .LBB46_246
; %bb.238:
	s_cmp_gt_i32 s25, 28
	s_cbranch_scc0 .LBB46_248
; %bb.239:
	;; [unrolled: 3-line block ×4, first 2 shown]
	s_mov_b32 s27, 0
	s_mov_b32 s22, -1
	s_cmp_eq_u32 s25, 46
	s_mov_b32 s26, 0
	s_cbranch_scc0 .LBB46_364
; %bb.242:
	v_mov_b32_e32 v2, 0
	s_mov_b32 s26, -1
	s_mov_b32 s22, 0
	global_store_b32 v[0:1], v2, off
	s_branch .LBB46_364
.LBB46_243:
	s_mov_b32 s23, -1
	s_mov_b32 s22, 0
	s_mov_b32 s21, s19
                                        ; implicit-def: $vgpr2_vgpr3
	s_branch .LBB46_280
.LBB46_244:
	s_mov_b32 s25, -1
	s_mov_b32 s26, 0
	s_mov_b32 s22, s17
	s_branch .LBB46_403
.LBB46_245:
	s_mov_b32 s23, -1
	s_mov_b32 s22, 0
	s_mov_b32 s21, s19
                                        ; implicit-def: $vgpr2_vgpr3
	s_branch .LBB46_263
.LBB46_246:
	s_mov_b32 s27, -1
	s_mov_b32 s26, 0
	s_mov_b32 s22, s17
	s_branch .LBB46_383
.LBB46_247:
	s_mov_b32 s23, -1
	s_mov_b32 s22, 0
	s_mov_b32 s21, s19
                                        ; implicit-def: $vgpr2_vgpr3
	s_branch .LBB46_258
.LBB46_248:
	s_mov_b32 s27, -1
	s_mov_b32 s26, 0
	s_mov_b32 s22, s17
	s_branch .LBB46_372
.LBB46_249:
	s_mov_b32 s23, -1
	s_mov_b32 s22, 0
	s_mov_b32 s21, s19
	s_branch .LBB46_252
.LBB46_250:
	s_mov_b32 s27, -1
	s_mov_b32 s26, 0
	s_mov_b32 s22, s17
	s_branch .LBB46_368
.LBB46_251:
	s_mov_b32 s21, -1
	s_mov_b32 s22, 0
.LBB46_252:
                                        ; implicit-def: $vgpr2_vgpr3
.LBB46_253:
	s_and_b32 vcc_lo, exec_lo, s23
	s_cbranch_vccz .LBB46_257
; %bb.254:
	s_cmp_eq_u32 s0, 44
	s_cbranch_scc0 .LBB46_256
; %bb.255:
	global_load_u8 v7, v[0:1], off
	s_mov_b32 s21, 0
	s_mov_b32 s22, -1
	s_wait_loadcnt 0x0
	v_lshlrev_b32_e32 v2, 23, v7
	v_cmp_ne_u32_e32 vcc_lo, 0, v7
	s_delay_alu instid0(VALU_DEP_2) | instskip(NEXT) | instid1(VALU_DEP_1)
	v_trunc_f32_e32 v2, v2
	v_mul_f32_e64 v3, 0x2f800000, |v2|
	s_delay_alu instid0(VALU_DEP_1) | instskip(NEXT) | instid1(VALU_DEP_1)
	v_floor_f32_e32 v3, v3
	v_fma_f32 v4, 0xcf800000, v3, |v2|
	v_ashrrev_i32_e32 v2, 31, v2
	v_cvt_u32_f32_e32 v5, v3
	s_delay_alu instid0(VALU_DEP_3) | instskip(NEXT) | instid1(VALU_DEP_2)
	v_cvt_u32_f32_e32 v4, v4
	v_dual_mov_b32 v3, v2 :: v_dual_bitop2_b32 v5, v5, v2 bitop3:0x14
	s_delay_alu instid0(VALU_DEP_2) | instskip(NEXT) | instid1(VALU_DEP_1)
	v_xor_b32_e32 v4, v4, v2
	v_sub_nc_u64_e32 v[2:3], v[4:5], v[2:3]
	s_delay_alu instid0(VALU_DEP_1)
	v_dual_cndmask_b32 v3, 0, v3 :: v_dual_cndmask_b32 v2, 0, v2
	s_branch .LBB46_257
.LBB46_256:
	s_mov_b32 s21, -1
                                        ; implicit-def: $vgpr2_vgpr3
.LBB46_257:
	s_mov_b32 s23, 0
.LBB46_258:
	s_delay_alu instid0(SALU_CYCLE_1)
	s_and_b32 vcc_lo, exec_lo, s23
	s_cbranch_vccz .LBB46_262
; %bb.259:
	s_cmp_eq_u32 s0, 29
	s_cbranch_scc0 .LBB46_261
; %bb.260:
	s_wait_loadcnt 0x0
	global_load_b64 v[2:3], v[0:1], off
	s_mov_b32 s22, -1
	s_mov_b32 s21, 0
	s_branch .LBB46_262
.LBB46_261:
	s_mov_b32 s21, -1
                                        ; implicit-def: $vgpr2_vgpr3
.LBB46_262:
	s_mov_b32 s23, 0
.LBB46_263:
	s_delay_alu instid0(SALU_CYCLE_1)
	s_and_b32 vcc_lo, exec_lo, s23
	s_cbranch_vccz .LBB46_279
; %bb.264:
	s_cmp_lt_i32 s0, 27
	s_cbranch_scc1 .LBB46_267
; %bb.265:
	s_cmp_gt_i32 s0, 27
	s_cbranch_scc0 .LBB46_268
; %bb.266:
	s_wait_loadcnt 0x0
	global_load_b32 v2, v[0:1], off
	v_mov_b32_e32 v3, 0
	s_mov_b32 s22, 0
	s_branch .LBB46_269
.LBB46_267:
	s_mov_b32 s22, -1
                                        ; implicit-def: $vgpr2_vgpr3
	s_branch .LBB46_272
.LBB46_268:
	s_mov_b32 s22, -1
                                        ; implicit-def: $vgpr2_vgpr3
.LBB46_269:
	s_delay_alu instid0(SALU_CYCLE_1)
	s_and_not1_b32 vcc_lo, exec_lo, s22
	s_cbranch_vccnz .LBB46_271
; %bb.270:
	s_wait_loadcnt 0x0
	global_load_u16 v2, v[0:1], off
	s_mov_b32 s22, 0
	s_delay_alu instid0(SALU_CYCLE_1)
	v_mov_b32_e32 v3, s22
	s_wait_loadcnt 0x0
	v_and_b32_e32 v2, 0xffff, v2
.LBB46_271:
	s_mov_b32 s22, 0
.LBB46_272:
	s_delay_alu instid0(SALU_CYCLE_1)
	s_and_not1_b32 vcc_lo, exec_lo, s22
	s_cbranch_vccnz .LBB46_278
; %bb.273:
	global_load_u8 v4, v[0:1], off
	s_mov_b32 s23, 0
	s_mov_b32 s22, exec_lo
	s_wait_loadcnt 0x0
	v_cmpx_lt_i16_e32 0x7f, v4
	s_xor_b32 s22, exec_lo, s22
	s_cbranch_execz .LBB46_290
; %bb.274:
	v_cmp_ne_u16_e32 vcc_lo, 0x80, v4
	s_and_b32 s23, vcc_lo, exec_lo
	s_and_not1_saveexec_b32 s22, s22
	s_cbranch_execnz .LBB46_291
.LBB46_275:
	s_or_b32 exec_lo, exec_lo, s22
	v_mov_b64_e32 v[2:3], 0
	s_and_saveexec_b32 s22, s23
	s_cbranch_execz .LBB46_277
.LBB46_276:
	v_and_b32_e32 v2, 0xffff, v4
	s_delay_alu instid0(VALU_DEP_1) | instskip(SKIP_1) | instid1(VALU_DEP_2)
	v_and_b32_e32 v3, 7, v2
	v_bfe_u32 v8, v2, 3, 4
	v_clz_i32_u32_e32 v5, v3
	s_delay_alu instid0(VALU_DEP_2) | instskip(NEXT) | instid1(VALU_DEP_2)
	v_cmp_eq_u32_e32 vcc_lo, 0, v8
	v_min_u32_e32 v5, 32, v5
	s_delay_alu instid0(VALU_DEP_1) | instskip(NEXT) | instid1(VALU_DEP_1)
	v_subrev_nc_u32_e32 v7, 28, v5
	v_dual_lshlrev_b32 v2, v7, v2 :: v_dual_sub_nc_u32 v5, 29, v5
	s_delay_alu instid0(VALU_DEP_1) | instskip(NEXT) | instid1(VALU_DEP_1)
	v_dual_lshlrev_b32 v4, 24, v4 :: v_dual_bitop2_b32 v2, 7, v2 bitop3:0x40
	v_dual_cndmask_b32 v5, v8, v5 :: v_dual_cndmask_b32 v2, v3, v2
	s_delay_alu instid0(VALU_DEP_2) | instskip(NEXT) | instid1(VALU_DEP_2)
	v_and_b32_e32 v3, 0x80000000, v4
	v_lshl_add_u32 v4, v5, 23, 0x3b800000
	s_delay_alu instid0(VALU_DEP_3) | instskip(NEXT) | instid1(VALU_DEP_1)
	v_lshlrev_b32_e32 v2, 20, v2
	v_or3_b32 v2, v3, v4, v2
	s_delay_alu instid0(VALU_DEP_1) | instskip(NEXT) | instid1(VALU_DEP_1)
	v_trunc_f32_e32 v2, v2
	v_mul_f32_e64 v3, 0x2f800000, |v2|
	s_delay_alu instid0(VALU_DEP_1) | instskip(NEXT) | instid1(VALU_DEP_1)
	v_floor_f32_e32 v3, v3
	v_fma_f32 v4, 0xcf800000, v3, |v2|
	v_ashrrev_i32_e32 v2, 31, v2
	v_cvt_u32_f32_e32 v5, v3
	s_delay_alu instid0(VALU_DEP_3) | instskip(NEXT) | instid1(VALU_DEP_2)
	v_cvt_u32_f32_e32 v4, v4
	v_dual_mov_b32 v3, v2 :: v_dual_bitop2_b32 v5, v5, v2 bitop3:0x14
	s_delay_alu instid0(VALU_DEP_2) | instskip(NEXT) | instid1(VALU_DEP_1)
	v_xor_b32_e32 v4, v4, v2
	v_sub_nc_u64_e32 v[2:3], v[4:5], v[2:3]
.LBB46_277:
	s_or_b32 exec_lo, exec_lo, s22
.LBB46_278:
	s_mov_b32 s22, -1
.LBB46_279:
	s_mov_b32 s23, 0
.LBB46_280:
	s_delay_alu instid0(SALU_CYCLE_1)
	s_and_b32 vcc_lo, exec_lo, s23
	s_cbranch_vccz .LBB46_313
; %bb.281:
	s_cmp_gt_i32 s0, 22
	s_cbranch_scc0 .LBB46_289
; %bb.282:
	s_cmp_lt_i32 s0, 24
	s_cbranch_scc1 .LBB46_292
; %bb.283:
	s_cmp_gt_i32 s0, 24
	s_cbranch_scc0 .LBB46_293
; %bb.284:
	global_load_u8 v4, v[0:1], off
	s_mov_b32 s23, 0
	s_mov_b32 s22, exec_lo
	s_wait_loadcnt 0x0
	v_cmpx_lt_i16_e32 0x7f, v4
	s_xor_b32 s22, exec_lo, s22
	s_cbranch_execz .LBB46_305
; %bb.285:
	v_cmp_ne_u16_e32 vcc_lo, 0x80, v4
	s_and_b32 s23, vcc_lo, exec_lo
	s_and_not1_saveexec_b32 s22, s22
	s_cbranch_execnz .LBB46_306
.LBB46_286:
	s_or_b32 exec_lo, exec_lo, s22
	v_mov_b64_e32 v[2:3], 0
	s_and_saveexec_b32 s22, s23
	s_cbranch_execz .LBB46_288
.LBB46_287:
	v_and_b32_e32 v2, 0xffff, v4
	s_delay_alu instid0(VALU_DEP_1) | instskip(SKIP_1) | instid1(VALU_DEP_2)
	v_and_b32_e32 v3, 3, v2
	v_bfe_u32 v8, v2, 2, 5
	v_clz_i32_u32_e32 v5, v3
	s_delay_alu instid0(VALU_DEP_2) | instskip(NEXT) | instid1(VALU_DEP_2)
	v_cmp_eq_u32_e32 vcc_lo, 0, v8
	v_min_u32_e32 v5, 32, v5
	s_delay_alu instid0(VALU_DEP_1) | instskip(NEXT) | instid1(VALU_DEP_1)
	v_subrev_nc_u32_e32 v7, 29, v5
	v_dual_lshlrev_b32 v2, v7, v2 :: v_dual_sub_nc_u32 v5, 30, v5
	s_delay_alu instid0(VALU_DEP_1) | instskip(NEXT) | instid1(VALU_DEP_1)
	v_dual_lshlrev_b32 v4, 24, v4 :: v_dual_bitop2_b32 v2, 3, v2 bitop3:0x40
	v_dual_cndmask_b32 v5, v8, v5 :: v_dual_cndmask_b32 v2, v3, v2
	s_delay_alu instid0(VALU_DEP_2) | instskip(NEXT) | instid1(VALU_DEP_2)
	v_and_b32_e32 v3, 0x80000000, v4
	v_lshl_add_u32 v4, v5, 23, 0x37800000
	s_delay_alu instid0(VALU_DEP_3) | instskip(NEXT) | instid1(VALU_DEP_1)
	v_lshlrev_b32_e32 v2, 21, v2
	v_or3_b32 v2, v3, v4, v2
	s_delay_alu instid0(VALU_DEP_1) | instskip(NEXT) | instid1(VALU_DEP_1)
	v_trunc_f32_e32 v2, v2
	v_mul_f32_e64 v3, 0x2f800000, |v2|
	s_delay_alu instid0(VALU_DEP_1) | instskip(NEXT) | instid1(VALU_DEP_1)
	v_floor_f32_e32 v3, v3
	v_fma_f32 v4, 0xcf800000, v3, |v2|
	v_ashrrev_i32_e32 v2, 31, v2
	v_cvt_u32_f32_e32 v5, v3
	s_delay_alu instid0(VALU_DEP_3) | instskip(NEXT) | instid1(VALU_DEP_2)
	v_cvt_u32_f32_e32 v4, v4
	v_dual_mov_b32 v3, v2 :: v_dual_bitop2_b32 v5, v5, v2 bitop3:0x14
	s_delay_alu instid0(VALU_DEP_2) | instskip(NEXT) | instid1(VALU_DEP_1)
	v_xor_b32_e32 v4, v4, v2
	v_sub_nc_u64_e32 v[2:3], v[4:5], v[2:3]
.LBB46_288:
	s_or_b32 exec_lo, exec_lo, s22
	s_mov_b32 s22, 0
	s_branch .LBB46_294
.LBB46_289:
	s_mov_b32 s23, -1
                                        ; implicit-def: $vgpr2_vgpr3
	s_branch .LBB46_300
.LBB46_290:
	s_and_not1_saveexec_b32 s22, s22
	s_cbranch_execz .LBB46_275
.LBB46_291:
	v_cmp_ne_u16_e32 vcc_lo, 0, v4
	s_and_not1_b32 s23, s23, exec_lo
	s_and_b32 s25, vcc_lo, exec_lo
	s_delay_alu instid0(SALU_CYCLE_1)
	s_or_b32 s23, s23, s25
	s_or_b32 exec_lo, exec_lo, s22
	v_mov_b64_e32 v[2:3], 0
	s_and_saveexec_b32 s22, s23
	s_cbranch_execnz .LBB46_276
	s_branch .LBB46_277
.LBB46_292:
	s_mov_b32 s22, -1
                                        ; implicit-def: $vgpr2_vgpr3
	s_branch .LBB46_297
.LBB46_293:
	s_mov_b32 s22, -1
                                        ; implicit-def: $vgpr2_vgpr3
.LBB46_294:
	s_delay_alu instid0(SALU_CYCLE_1)
	s_and_b32 vcc_lo, exec_lo, s22
	s_cbranch_vccz .LBB46_296
; %bb.295:
	s_wait_loadcnt 0x0
	global_load_u8 v2, v[0:1], off
	s_wait_loadcnt 0x0
	v_lshlrev_b32_e32 v2, 24, v2
	s_delay_alu instid0(VALU_DEP_1) | instskip(NEXT) | instid1(VALU_DEP_1)
	v_and_b32_e32 v3, 0x7f000000, v2
	v_clz_i32_u32_e32 v4, v3
	v_add_nc_u32_e32 v7, 0x1000000, v3
	v_cmp_ne_u32_e32 vcc_lo, 0, v3
	s_delay_alu instid0(VALU_DEP_3) | instskip(NEXT) | instid1(VALU_DEP_1)
	v_min_u32_e32 v4, 32, v4
	v_sub_nc_u32_e64 v4, v4, 4 clamp
	s_delay_alu instid0(VALU_DEP_1) | instskip(NEXT) | instid1(VALU_DEP_1)
	v_dual_lshlrev_b32 v5, v4, v3 :: v_dual_lshlrev_b32 v4, 23, v4
	v_lshrrev_b32_e32 v5, 4, v5
	s_delay_alu instid0(VALU_DEP_1) | instskip(NEXT) | instid1(VALU_DEP_1)
	v_dual_sub_nc_u32 v4, v5, v4 :: v_dual_ashrrev_i32 v5, 8, v7
	v_add_nc_u32_e32 v4, 0x3c000000, v4
	s_delay_alu instid0(VALU_DEP_1) | instskip(NEXT) | instid1(VALU_DEP_1)
	v_and_or_b32 v4, 0x7f800000, v5, v4
	v_cndmask_b32_e32 v3, 0, v4, vcc_lo
	s_delay_alu instid0(VALU_DEP_1) | instskip(NEXT) | instid1(VALU_DEP_1)
	v_and_or_b32 v2, 0x80000000, v2, v3
	v_trunc_f32_e32 v2, v2
	s_delay_alu instid0(VALU_DEP_1) | instskip(NEXT) | instid1(VALU_DEP_1)
	v_mul_f32_e64 v3, 0x2f800000, |v2|
	v_floor_f32_e32 v3, v3
	s_delay_alu instid0(VALU_DEP_1) | instskip(SKIP_2) | instid1(VALU_DEP_3)
	v_fma_f32 v4, 0xcf800000, v3, |v2|
	v_ashrrev_i32_e32 v2, 31, v2
	v_cvt_u32_f32_e32 v5, v3
	v_cvt_u32_f32_e32 v4, v4
	s_delay_alu instid0(VALU_DEP_2) | instskip(NEXT) | instid1(VALU_DEP_2)
	v_dual_mov_b32 v3, v2 :: v_dual_bitop2_b32 v5, v5, v2 bitop3:0x14
	v_xor_b32_e32 v4, v4, v2
	s_delay_alu instid0(VALU_DEP_1)
	v_sub_nc_u64_e32 v[2:3], v[4:5], v[2:3]
.LBB46_296:
	s_mov_b32 s22, 0
.LBB46_297:
	s_delay_alu instid0(SALU_CYCLE_1)
	s_and_not1_b32 vcc_lo, exec_lo, s22
	s_cbranch_vccnz .LBB46_299
; %bb.298:
	s_wait_loadcnt 0x0
	global_load_u8 v2, v[0:1], off
	s_wait_loadcnt 0x0
	v_lshlrev_b32_e32 v3, 25, v2
	v_lshlrev_b16 v2, 8, v2
	s_delay_alu instid0(VALU_DEP_1) | instskip(SKIP_1) | instid1(VALU_DEP_2)
	v_and_or_b32 v5, 0x7f00, v2, 0.5
	v_bfe_i32 v2, v2, 0, 16
	v_dual_add_f32 v5, -0.5, v5 :: v_dual_lshrrev_b32 v4, 4, v3
	v_cmp_gt_u32_e32 vcc_lo, 0x8000000, v3
	s_delay_alu instid0(VALU_DEP_2) | instskip(NEXT) | instid1(VALU_DEP_1)
	v_or_b32_e32 v4, 0x70000000, v4
	v_mul_f32_e32 v4, 0x7800000, v4
	s_delay_alu instid0(VALU_DEP_1) | instskip(NEXT) | instid1(VALU_DEP_1)
	v_cndmask_b32_e32 v3, v4, v5, vcc_lo
	v_and_or_b32 v2, 0x80000000, v2, v3
	s_delay_alu instid0(VALU_DEP_1) | instskip(NEXT) | instid1(VALU_DEP_1)
	v_trunc_f32_e32 v2, v2
	v_mul_f32_e64 v3, 0x2f800000, |v2|
	s_delay_alu instid0(VALU_DEP_1) | instskip(NEXT) | instid1(VALU_DEP_1)
	v_floor_f32_e32 v3, v3
	v_fma_f32 v4, 0xcf800000, v3, |v2|
	v_ashrrev_i32_e32 v2, 31, v2
	v_cvt_u32_f32_e32 v5, v3
	s_delay_alu instid0(VALU_DEP_3) | instskip(NEXT) | instid1(VALU_DEP_2)
	v_cvt_u32_f32_e32 v4, v4
	v_dual_mov_b32 v3, v2 :: v_dual_bitop2_b32 v5, v5, v2 bitop3:0x14
	s_delay_alu instid0(VALU_DEP_2) | instskip(NEXT) | instid1(VALU_DEP_1)
	v_xor_b32_e32 v4, v4, v2
	v_sub_nc_u64_e32 v[2:3], v[4:5], v[2:3]
.LBB46_299:
	s_mov_b32 s23, 0
	s_mov_b32 s22, -1
.LBB46_300:
	s_and_not1_b32 vcc_lo, exec_lo, s23
	s_cbranch_vccnz .LBB46_313
; %bb.301:
	s_cmp_gt_i32 s0, 14
	s_cbranch_scc0 .LBB46_304
; %bb.302:
	s_cmp_eq_u32 s0, 15
	s_cbranch_scc0 .LBB46_307
; %bb.303:
	s_wait_loadcnt 0x0
	global_load_u16 v2, v[0:1], off
	s_mov_b32 s22, -1
	s_mov_b32 s21, 0
	s_wait_loadcnt 0x0
	v_lshlrev_b32_e32 v2, 16, v2
	s_delay_alu instid0(VALU_DEP_1) | instskip(NEXT) | instid1(VALU_DEP_1)
	v_trunc_f32_e32 v2, v2
	v_mul_f32_e64 v3, 0x2f800000, |v2|
	s_delay_alu instid0(VALU_DEP_1) | instskip(NEXT) | instid1(VALU_DEP_1)
	v_floor_f32_e32 v3, v3
	v_fma_f32 v4, 0xcf800000, v3, |v2|
	v_ashrrev_i32_e32 v2, 31, v2
	v_cvt_u32_f32_e32 v5, v3
	s_delay_alu instid0(VALU_DEP_3) | instskip(NEXT) | instid1(VALU_DEP_2)
	v_cvt_u32_f32_e32 v4, v4
	v_dual_mov_b32 v3, v2 :: v_dual_bitop2_b32 v5, v5, v2 bitop3:0x14
	s_delay_alu instid0(VALU_DEP_2) | instskip(NEXT) | instid1(VALU_DEP_1)
	v_xor_b32_e32 v4, v4, v2
	v_sub_nc_u64_e32 v[2:3], v[4:5], v[2:3]
	s_branch .LBB46_308
.LBB46_304:
	s_mov_b32 s23, -1
                                        ; implicit-def: $vgpr2_vgpr3
	s_branch .LBB46_309
.LBB46_305:
	s_and_not1_saveexec_b32 s22, s22
	s_cbranch_execz .LBB46_286
.LBB46_306:
	v_cmp_ne_u16_e32 vcc_lo, 0, v4
	s_and_not1_b32 s23, s23, exec_lo
	s_and_b32 s25, vcc_lo, exec_lo
	s_delay_alu instid0(SALU_CYCLE_1)
	s_or_b32 s23, s23, s25
	s_or_b32 exec_lo, exec_lo, s22
	v_mov_b64_e32 v[2:3], 0
	s_and_saveexec_b32 s22, s23
	s_cbranch_execnz .LBB46_287
	s_branch .LBB46_288
.LBB46_307:
	s_mov_b32 s21, -1
                                        ; implicit-def: $vgpr2_vgpr3
.LBB46_308:
	s_mov_b32 s23, 0
.LBB46_309:
	s_delay_alu instid0(SALU_CYCLE_1)
	s_and_b32 vcc_lo, exec_lo, s23
	s_cbranch_vccz .LBB46_313
; %bb.310:
	s_cmp_eq_u32 s0, 11
	s_cbranch_scc0 .LBB46_312
; %bb.311:
	s_wait_loadcnt 0x0
	global_load_u8 v2, v[0:1], off
	s_mov_b32 s21, 0
	s_mov_b32 s22, -1
	v_mov_b32_e32 v3, s21
	s_wait_loadcnt 0x0
	v_cmp_ne_u16_e32 vcc_lo, 0, v2
	v_cndmask_b32_e64 v2, 0, 1, vcc_lo
	s_branch .LBB46_313
.LBB46_312:
	s_mov_b32 s21, -1
                                        ; implicit-def: $vgpr2_vgpr3
.LBB46_313:
	s_branch .LBB46_234
.LBB46_314:
	s_cmp_lt_i32 s0, 5
	s_cbranch_scc1 .LBB46_319
; %bb.315:
	s_cmp_lt_i32 s0, 8
	s_cbranch_scc1 .LBB46_320
; %bb.316:
	;; [unrolled: 3-line block ×3, first 2 shown]
	s_cmp_gt_i32 s0, 9
	s_cbranch_scc0 .LBB46_322
; %bb.318:
	s_wait_loadcnt 0x0
	global_load_b64 v[2:3], v[0:1], off
	s_mov_b32 s22, 0
	s_wait_loadcnt 0x0
	v_trunc_f64_e32 v[2:3], v[2:3]
	s_delay_alu instid0(VALU_DEP_1) | instskip(NEXT) | instid1(VALU_DEP_1)
	v_ldexp_f64 v[4:5], v[2:3], 0xffffffe0
	v_floor_f64_e32 v[4:5], v[4:5]
	s_delay_alu instid0(VALU_DEP_1) | instskip(SKIP_1) | instid1(VALU_DEP_2)
	v_fmamk_f64 v[8:9], v[4:5], 0xc1f00000, v[2:3]
	v_cvt_i32_f64_e32 v3, v[4:5]
	v_cvt_u32_f64_e32 v2, v[8:9]
	s_branch .LBB46_323
.LBB46_319:
	s_mov_b32 s22, -1
                                        ; implicit-def: $vgpr2_vgpr3
	s_branch .LBB46_341
.LBB46_320:
	s_mov_b32 s22, -1
                                        ; implicit-def: $vgpr2_vgpr3
	s_branch .LBB46_329
.LBB46_321:
	s_mov_b32 s22, -1
                                        ; implicit-def: $vgpr2_vgpr3
	s_branch .LBB46_326
.LBB46_322:
	s_mov_b32 s22, -1
                                        ; implicit-def: $vgpr2_vgpr3
.LBB46_323:
	s_delay_alu instid0(SALU_CYCLE_1)
	s_and_not1_b32 vcc_lo, exec_lo, s22
	s_cbranch_vccnz .LBB46_325
; %bb.324:
	s_wait_loadcnt 0x0
	global_load_b32 v2, v[0:1], off
	s_wait_loadcnt 0x0
	v_trunc_f32_e32 v2, v2
	s_delay_alu instid0(VALU_DEP_1) | instskip(NEXT) | instid1(VALU_DEP_1)
	v_mul_f32_e64 v3, 0x2f800000, |v2|
	v_floor_f32_e32 v3, v3
	s_delay_alu instid0(VALU_DEP_1) | instskip(SKIP_2) | instid1(VALU_DEP_3)
	v_fma_f32 v4, 0xcf800000, v3, |v2|
	v_ashrrev_i32_e32 v2, 31, v2
	v_cvt_u32_f32_e32 v5, v3
	v_cvt_u32_f32_e32 v4, v4
	s_delay_alu instid0(VALU_DEP_2) | instskip(NEXT) | instid1(VALU_DEP_2)
	v_dual_mov_b32 v3, v2 :: v_dual_bitop2_b32 v5, v5, v2 bitop3:0x14
	v_xor_b32_e32 v4, v4, v2
	s_delay_alu instid0(VALU_DEP_1)
	v_sub_nc_u64_e32 v[2:3], v[4:5], v[2:3]
.LBB46_325:
	s_mov_b32 s22, 0
.LBB46_326:
	s_delay_alu instid0(SALU_CYCLE_1)
	s_and_not1_b32 vcc_lo, exec_lo, s22
	s_cbranch_vccnz .LBB46_328
; %bb.327:
	s_wait_loadcnt 0x0
	global_load_b32 v2, v[0:1], off
	s_wait_loadcnt 0x0
	v_cvt_f32_f16_e32 v2, v2
	s_delay_alu instid0(VALU_DEP_1) | instskip(NEXT) | instid1(VALU_DEP_1)
	v_cvt_i32_f32_e32 v2, v2
	v_ashrrev_i32_e32 v3, 31, v2
.LBB46_328:
	s_mov_b32 s22, 0
.LBB46_329:
	s_delay_alu instid0(SALU_CYCLE_1)
	s_and_not1_b32 vcc_lo, exec_lo, s22
	s_cbranch_vccnz .LBB46_340
; %bb.330:
	s_cmp_lt_i32 s0, 6
	s_cbranch_scc1 .LBB46_333
; %bb.331:
	s_cmp_gt_i32 s0, 6
	s_cbranch_scc0 .LBB46_334
; %bb.332:
	s_wait_loadcnt 0x0
	global_load_b64 v[2:3], v[0:1], off
	s_mov_b32 s22, 0
	s_wait_loadcnt 0x0
	v_trunc_f64_e32 v[2:3], v[2:3]
	s_delay_alu instid0(VALU_DEP_1) | instskip(NEXT) | instid1(VALU_DEP_1)
	v_ldexp_f64 v[4:5], v[2:3], 0xffffffe0
	v_floor_f64_e32 v[4:5], v[4:5]
	s_delay_alu instid0(VALU_DEP_1) | instskip(SKIP_1) | instid1(VALU_DEP_2)
	v_fmamk_f64 v[8:9], v[4:5], 0xc1f00000, v[2:3]
	v_cvt_i32_f64_e32 v3, v[4:5]
	v_cvt_u32_f64_e32 v2, v[8:9]
	s_branch .LBB46_335
.LBB46_333:
	s_mov_b32 s22, -1
                                        ; implicit-def: $vgpr2_vgpr3
	s_branch .LBB46_338
.LBB46_334:
	s_mov_b32 s22, -1
                                        ; implicit-def: $vgpr2_vgpr3
.LBB46_335:
	s_delay_alu instid0(SALU_CYCLE_1)
	s_and_not1_b32 vcc_lo, exec_lo, s22
	s_cbranch_vccnz .LBB46_337
; %bb.336:
	s_wait_loadcnt 0x0
	global_load_b32 v2, v[0:1], off
	s_wait_loadcnt 0x0
	v_trunc_f32_e32 v2, v2
	s_delay_alu instid0(VALU_DEP_1) | instskip(NEXT) | instid1(VALU_DEP_1)
	v_mul_f32_e64 v3, 0x2f800000, |v2|
	v_floor_f32_e32 v3, v3
	s_delay_alu instid0(VALU_DEP_1) | instskip(SKIP_2) | instid1(VALU_DEP_3)
	v_fma_f32 v4, 0xcf800000, v3, |v2|
	v_ashrrev_i32_e32 v2, 31, v2
	v_cvt_u32_f32_e32 v5, v3
	v_cvt_u32_f32_e32 v4, v4
	s_delay_alu instid0(VALU_DEP_2) | instskip(NEXT) | instid1(VALU_DEP_2)
	v_dual_mov_b32 v3, v2 :: v_dual_bitop2_b32 v5, v5, v2 bitop3:0x14
	v_xor_b32_e32 v4, v4, v2
	s_delay_alu instid0(VALU_DEP_1)
	v_sub_nc_u64_e32 v[2:3], v[4:5], v[2:3]
.LBB46_337:
	s_mov_b32 s22, 0
.LBB46_338:
	s_delay_alu instid0(SALU_CYCLE_1)
	s_and_not1_b32 vcc_lo, exec_lo, s22
	s_cbranch_vccnz .LBB46_340
; %bb.339:
	s_wait_loadcnt 0x0
	global_load_u16 v2, v[0:1], off
	s_wait_loadcnt 0x0
	v_cvt_f32_f16_e32 v2, v2
	s_delay_alu instid0(VALU_DEP_1) | instskip(NEXT) | instid1(VALU_DEP_1)
	v_cvt_i32_f32_e32 v2, v2
	v_ashrrev_i32_e32 v3, 31, v2
.LBB46_340:
	s_mov_b32 s22, 0
.LBB46_341:
	s_delay_alu instid0(SALU_CYCLE_1)
	s_and_not1_b32 vcc_lo, exec_lo, s22
	s_cbranch_vccnz .LBB46_361
; %bb.342:
	s_cmp_lt_i32 s0, 2
	s_cbranch_scc1 .LBB46_346
; %bb.343:
	s_cmp_lt_i32 s0, 3
	s_cbranch_scc1 .LBB46_347
; %bb.344:
	s_cmp_gt_i32 s0, 3
	s_cbranch_scc0 .LBB46_348
; %bb.345:
	s_wait_loadcnt 0x0
	global_load_b64 v[2:3], v[0:1], off
	s_mov_b32 s22, 0
	s_branch .LBB46_349
.LBB46_346:
	s_mov_b32 s22, -1
                                        ; implicit-def: $vgpr2_vgpr3
	s_branch .LBB46_355
.LBB46_347:
	s_mov_b32 s22, -1
                                        ; implicit-def: $vgpr2_vgpr3
	s_branch .LBB46_352
.LBB46_348:
	s_mov_b32 s22, -1
                                        ; implicit-def: $vgpr2_vgpr3
.LBB46_349:
	s_delay_alu instid0(SALU_CYCLE_1)
	s_and_not1_b32 vcc_lo, exec_lo, s22
	s_cbranch_vccnz .LBB46_351
; %bb.350:
	s_wait_loadcnt 0x0
	global_load_b32 v2, v[0:1], off
	s_wait_loadcnt 0x0
	v_ashrrev_i32_e32 v3, 31, v2
.LBB46_351:
	s_mov_b32 s22, 0
.LBB46_352:
	s_delay_alu instid0(SALU_CYCLE_1)
	s_and_not1_b32 vcc_lo, exec_lo, s22
	s_cbranch_vccnz .LBB46_354
; %bb.353:
	s_wait_loadcnt 0x0
	global_load_u16 v2, v[0:1], off
	s_wait_loadcnt 0x0
	v_bfe_i32 v2, v2, 0, 16
	s_delay_alu instid0(VALU_DEP_1)
	v_ashrrev_i32_e32 v3, 31, v2
.LBB46_354:
	s_mov_b32 s22, 0
.LBB46_355:
	s_delay_alu instid0(SALU_CYCLE_1)
	s_and_not1_b32 vcc_lo, exec_lo, s22
	s_cbranch_vccnz .LBB46_361
; %bb.356:
	s_cmp_gt_i32 s0, 0
	s_mov_b32 s0, 0
	s_cbranch_scc0 .LBB46_358
; %bb.357:
	s_wait_loadcnt 0x0
	global_load_i8 v2, v[0:1], off
	s_wait_loadcnt 0x0
	v_bfe_i32 v2, v2, 0, 16
	s_delay_alu instid0(VALU_DEP_1)
	v_ashrrev_i32_e32 v3, 31, v2
	s_branch .LBB46_359
.LBB46_358:
	s_mov_b32 s0, -1
                                        ; implicit-def: $vgpr2_vgpr3
.LBB46_359:
	s_delay_alu instid0(SALU_CYCLE_1)
	s_and_not1_b32 vcc_lo, exec_lo, s0
	s_cbranch_vccnz .LBB46_361
; %bb.360:
	global_load_u8 v0, v[0:1], off
	s_mov_b32 s0, 0
	s_wait_loadcnt 0x1
	v_mov_b32_e32 v3, s0
	s_wait_loadcnt 0x0
	v_and_b32_e32 v2, 0xffff, v0
.LBB46_361:
	s_branch .LBB46_235
.LBB46_362:
	s_mov_b32 s25, 0
	s_mov_b32 s22, s17
	;; [unrolled: 1-line block ×3, first 2 shown]
                                        ; implicit-def: $vgpr6
	s_branch .LBB46_447
.LBB46_363:
	s_mov_b32 s27, -1
	s_mov_b32 s26, 0
	s_mov_b32 s22, s17
.LBB46_364:
	s_and_b32 vcc_lo, exec_lo, s27
	s_cbranch_vccz .LBB46_367
; %bb.365:
	s_cmp_eq_u32 s25, 44
	s_mov_b32 s22, -1
	s_cbranch_scc0 .LBB46_367
; %bb.366:
	s_wait_xcnt 0x0
	v_mov_b32_e32 v2, 0
	s_mov_b32 s26, -1
	s_mov_b32 s22, 0
	global_store_b8 v[0:1], v2, off
.LBB46_367:
	s_mov_b32 s27, 0
.LBB46_368:
	s_delay_alu instid0(SALU_CYCLE_1)
	s_and_b32 vcc_lo, exec_lo, s27
	s_cbranch_vccz .LBB46_371
; %bb.369:
	s_cmp_eq_u32 s25, 29
	s_mov_b32 s22, -1
	s_cbranch_scc0 .LBB46_371
; %bb.370:
	s_wait_xcnt 0x0
	v_mov_b64_e32 v[2:3], 0
	s_mov_b32 s26, -1
	s_mov_b32 s22, 0
	s_mov_b32 s27, 0
	global_store_b64 v[0:1], v[2:3], off
	s_branch .LBB46_372
.LBB46_371:
	s_mov_b32 s27, 0
.LBB46_372:
	s_delay_alu instid0(SALU_CYCLE_1)
	s_and_b32 vcc_lo, exec_lo, s27
	s_cbranch_vccz .LBB46_382
; %bb.373:
	s_cmp_lt_i32 s25, 27
	s_mov_b32 s26, -1
	s_cbranch_scc1 .LBB46_379
; %bb.374:
	s_cmp_gt_i32 s25, 27
	s_cbranch_scc0 .LBB46_376
; %bb.375:
	s_wait_xcnt 0x0
	v_mov_b32_e32 v2, 0
	s_mov_b32 s26, 0
	global_store_b32 v[0:1], v2, off
.LBB46_376:
	s_and_not1_b32 vcc_lo, exec_lo, s26
	s_cbranch_vccnz .LBB46_378
; %bb.377:
	s_wait_xcnt 0x0
	v_mov_b32_e32 v2, 0
	global_store_b16 v[0:1], v2, off
.LBB46_378:
	s_mov_b32 s26, 0
.LBB46_379:
	s_delay_alu instid0(SALU_CYCLE_1)
	s_and_not1_b32 vcc_lo, exec_lo, s26
	s_cbranch_vccnz .LBB46_381
; %bb.380:
	s_wait_xcnt 0x0
	v_mov_b32_e32 v2, 0
	global_store_b8 v[0:1], v2, off
.LBB46_381:
	s_mov_b32 s26, -1
.LBB46_382:
	s_mov_b32 s27, 0
.LBB46_383:
	s_delay_alu instid0(SALU_CYCLE_1)
	s_and_b32 vcc_lo, exec_lo, s27
	s_cbranch_vccz .LBB46_402
; %bb.384:
	s_cmp_gt_i32 s25, 22
	s_mov_b32 s27, -1
	s_cbranch_scc0 .LBB46_394
; %bb.385:
	s_cmp_lt_i32 s25, 24
	s_mov_b32 s26, -1
	s_cbranch_scc1 .LBB46_391
; %bb.386:
	s_cmp_gt_i32 s25, 24
	s_cbranch_scc0 .LBB46_388
; %bb.387:
	s_wait_xcnt 0x0
	v_mov_b32_e32 v2, 0
	s_mov_b32 s26, 0
	global_store_b8 v[0:1], v2, off
.LBB46_388:
	s_and_not1_b32 vcc_lo, exec_lo, s26
	s_cbranch_vccnz .LBB46_390
; %bb.389:
	s_wait_xcnt 0x0
	v_mov_b32_e32 v2, 0
	global_store_b8 v[0:1], v2, off
.LBB46_390:
	s_mov_b32 s26, 0
.LBB46_391:
	s_delay_alu instid0(SALU_CYCLE_1)
	s_and_not1_b32 vcc_lo, exec_lo, s26
	s_cbranch_vccnz .LBB46_393
; %bb.392:
	s_wait_xcnt 0x0
	v_mov_b32_e32 v2, 0
	global_store_b8 v[0:1], v2, off
.LBB46_393:
	s_mov_b32 s27, 0
	s_mov_b32 s26, -1
.LBB46_394:
	s_and_not1_b32 vcc_lo, exec_lo, s27
	s_cbranch_vccnz .LBB46_402
; %bb.395:
	s_cmp_gt_i32 s25, 14
	s_mov_b32 s27, -1
	s_cbranch_scc0 .LBB46_399
; %bb.396:
	s_cmp_eq_u32 s25, 15
	s_mov_b32 s22, -1
	s_cbranch_scc0 .LBB46_398
; %bb.397:
	s_wait_xcnt 0x0
	v_mov_b32_e32 v2, 0
	s_mov_b32 s26, -1
	s_mov_b32 s22, 0
	global_store_b16 v[0:1], v2, off
.LBB46_398:
	s_mov_b32 s27, 0
.LBB46_399:
	s_delay_alu instid0(SALU_CYCLE_1)
	s_and_b32 vcc_lo, exec_lo, s27
	s_cbranch_vccz .LBB46_402
; %bb.400:
	s_cmp_eq_u32 s25, 11
	s_mov_b32 s22, -1
	s_cbranch_scc0 .LBB46_402
; %bb.401:
	s_wait_xcnt 0x0
	v_mov_b32_e32 v2, 0
	s_mov_b32 s26, -1
	s_mov_b32 s22, 0
	global_store_b8 v[0:1], v2, off
.LBB46_402:
	s_mov_b32 s25, 0
.LBB46_403:
	s_delay_alu instid0(SALU_CYCLE_1)
	s_and_b32 vcc_lo, exec_lo, s25
	s_cbranch_vccz .LBB46_442
; %bb.404:
	s_and_b32 s23, 0xffff, s23
	s_mov_b32 s25, -1
	s_cmp_lt_i32 s23, 5
	s_cbranch_scc1 .LBB46_425
; %bb.405:
	s_cmp_lt_i32 s23, 8
	s_cbranch_scc1 .LBB46_415
; %bb.406:
	;; [unrolled: 3-line block ×3, first 2 shown]
	s_cmp_gt_i32 s23, 9
	s_cbranch_scc0 .LBB46_409
; %bb.408:
	s_wait_xcnt 0x0
	v_mov_b32_e32 v2, 0
	s_mov_b32 s25, 0
	s_delay_alu instid0(VALU_DEP_1)
	v_dual_mov_b32 v3, v2 :: v_dual_mov_b32 v4, v2
	v_mov_b32_e32 v5, v2
	global_store_b128 v[0:1], v[2:5], off
.LBB46_409:
	s_and_not1_b32 vcc_lo, exec_lo, s25
	s_cbranch_vccnz .LBB46_411
; %bb.410:
	s_wait_xcnt 0x0
	v_mov_b64_e32 v[2:3], 0
	global_store_b64 v[0:1], v[2:3], off
.LBB46_411:
	s_mov_b32 s25, 0
.LBB46_412:
	s_delay_alu instid0(SALU_CYCLE_1)
	s_and_not1_b32 vcc_lo, exec_lo, s25
	s_cbranch_vccnz .LBB46_414
; %bb.413:
	s_wait_xcnt 0x0
	v_mov_b32_e32 v2, 0
	global_store_b32 v[0:1], v2, off
.LBB46_414:
	s_mov_b32 s25, 0
.LBB46_415:
	s_delay_alu instid0(SALU_CYCLE_1)
	s_and_not1_b32 vcc_lo, exec_lo, s25
	s_cbranch_vccnz .LBB46_424
; %bb.416:
	s_cmp_lt_i32 s23, 6
	s_mov_b32 s25, -1
	s_cbranch_scc1 .LBB46_422
; %bb.417:
	s_cmp_gt_i32 s23, 6
	s_cbranch_scc0 .LBB46_419
; %bb.418:
	s_wait_xcnt 0x0
	v_mov_b64_e32 v[2:3], 0
	s_mov_b32 s25, 0
	global_store_b64 v[0:1], v[2:3], off
.LBB46_419:
	s_and_not1_b32 vcc_lo, exec_lo, s25
	s_cbranch_vccnz .LBB46_421
; %bb.420:
	s_wait_xcnt 0x0
	v_mov_b32_e32 v2, 0
	global_store_b32 v[0:1], v2, off
.LBB46_421:
	s_mov_b32 s25, 0
.LBB46_422:
	s_delay_alu instid0(SALU_CYCLE_1)
	s_and_not1_b32 vcc_lo, exec_lo, s25
	s_cbranch_vccnz .LBB46_424
; %bb.423:
	s_wait_xcnt 0x0
	v_mov_b32_e32 v2, 0
	global_store_b16 v[0:1], v2, off
.LBB46_424:
	s_mov_b32 s25, 0
.LBB46_425:
	s_delay_alu instid0(SALU_CYCLE_1)
	s_and_not1_b32 vcc_lo, exec_lo, s25
	s_cbranch_vccnz .LBB46_441
; %bb.426:
	s_cmp_lt_i32 s23, 2
	s_mov_b32 s25, -1
	s_cbranch_scc1 .LBB46_436
; %bb.427:
	s_cmp_lt_i32 s23, 3
	s_cbranch_scc1 .LBB46_433
; %bb.428:
	s_cmp_gt_i32 s23, 3
	s_cbranch_scc0 .LBB46_430
; %bb.429:
	s_wait_xcnt 0x0
	v_mov_b64_e32 v[2:3], 0
	s_mov_b32 s25, 0
	global_store_b64 v[0:1], v[2:3], off
.LBB46_430:
	s_and_not1_b32 vcc_lo, exec_lo, s25
	s_cbranch_vccnz .LBB46_432
; %bb.431:
	s_wait_xcnt 0x0
	v_mov_b32_e32 v2, 0
	global_store_b32 v[0:1], v2, off
.LBB46_432:
	s_mov_b32 s25, 0
.LBB46_433:
	s_delay_alu instid0(SALU_CYCLE_1)
	s_and_not1_b32 vcc_lo, exec_lo, s25
	s_cbranch_vccnz .LBB46_435
; %bb.434:
	s_wait_xcnt 0x0
	v_mov_b32_e32 v2, 0
	global_store_b16 v[0:1], v2, off
.LBB46_435:
	s_mov_b32 s25, 0
.LBB46_436:
	s_delay_alu instid0(SALU_CYCLE_1)
	s_and_not1_b32 vcc_lo, exec_lo, s25
	s_cbranch_vccnz .LBB46_441
; %bb.437:
	s_cmp_gt_i32 s23, 0
	s_mov_b32 s23, -1
	s_cbranch_scc0 .LBB46_439
; %bb.438:
	s_wait_xcnt 0x0
	v_mov_b32_e32 v2, 0
	s_mov_b32 s23, 0
	global_store_b8 v[0:1], v2, off
.LBB46_439:
	s_and_not1_b32 vcc_lo, exec_lo, s23
	s_cbranch_vccnz .LBB46_441
; %bb.440:
	s_wait_xcnt 0x0
	v_mov_b32_e32 v2, 0
	global_store_b8 v[0:1], v2, off
.LBB46_441:
	s_mov_b32 s26, -1
.LBB46_442:
	s_delay_alu instid0(SALU_CYCLE_1)
	s_and_not1_b32 vcc_lo, exec_lo, s26
	s_cbranch_vccnz .LBB46_444
; %bb.443:
	v_add_nc_u32_e32 v6, 0x80, v6
	s_mov_b32 s25, -1
	s_branch .LBB46_445
.LBB46_444:
	s_mov_b32 s25, 0
                                        ; implicit-def: $vgpr6
.LBB46_445:
	s_and_not1_b32 s23, s17, exec_lo
	s_and_b32 s22, s22, exec_lo
	s_and_b32 s25, s25, exec_lo
	s_or_b32 s22, s23, s22
	s_xor_b32 s23, exec_lo, -1
.LBB46_446:
	s_wait_xcnt 0x0
	s_or_b32 exec_lo, exec_lo, s0
.LBB46_447:
	s_delay_alu instid0(SALU_CYCLE_1)
	s_and_not1_b32 s0, s17, exec_lo
	s_and_b32 s22, s22, exec_lo
	s_and_b32 s23, s23, exec_lo
	s_or_b32 s22, s0, s22
	s_and_not1_b32 s0, s18, exec_lo
	s_and_not1_b32 s26, s19, exec_lo
	s_and_b32 s21, s21, exec_lo
	s_or_b32 s23, s0, s23
	s_or_b32 s21, s26, s21
	s_or_not1_b32 s0, s25, exec_lo
.LBB46_448:
	s_wait_xcnt 0x0
	s_or_b32 exec_lo, exec_lo, s24
	s_mov_b32 s25, 0
	s_mov_b32 s26, 0
	;; [unrolled: 1-line block ×3, first 2 shown]
                                        ; implicit-def: $vgpr0_vgpr1
                                        ; implicit-def: $vgpr2_vgpr3
	s_and_saveexec_b32 s24, s0
	s_cbranch_execz .LBB46_751
; %bb.449:
	s_mov_b32 s31, -1
	s_mov_b32 s0, s21
	s_mov_b32 s26, s23
	;; [unrolled: 1-line block ×3, first 2 shown]
	s_mov_b32 s25, exec_lo
	v_cmpx_gt_i32_e64 s16, v6
	s_cbranch_execz .LBB46_673
; %bb.450:
	v_mul_lo_u32 v0, v6, s3
	s_and_b32 s0, 0xffff, s13
	s_delay_alu instid0(SALU_CYCLE_1) | instskip(NEXT) | instid1(VALU_DEP_1)
	s_cmp_lt_i32 s0, 11
	v_ashrrev_i32_e32 v1, 31, v0
	s_delay_alu instid0(VALU_DEP_1)
	v_add_nc_u64_e32 v[0:1], s[6:7], v[0:1]
	s_cbranch_scc1 .LBB46_457
; %bb.451:
	s_cmp_gt_i32 s0, 25
	s_cbranch_scc0 .LBB46_458
; %bb.452:
	s_cmp_gt_i32 s0, 28
	s_cbranch_scc0 .LBB46_459
	;; [unrolled: 3-line block ×4, first 2 shown]
; %bb.455:
	s_cmp_eq_u32 s0, 46
	s_mov_b32 s28, 0
	s_cbranch_scc0 .LBB46_462
; %bb.456:
	s_wait_loadcnt 0x0
	global_load_b32 v2, v[0:1], off
	s_mov_b32 s27, -1
	s_mov_b32 s26, 0
	s_wait_loadcnt 0x0
	v_lshlrev_b32_e32 v2, 16, v2
	s_delay_alu instid0(VALU_DEP_1) | instskip(NEXT) | instid1(VALU_DEP_1)
	v_trunc_f32_e32 v2, v2
	v_mul_f32_e64 v3, 0x2f800000, |v2|
	s_delay_alu instid0(VALU_DEP_1) | instskip(NEXT) | instid1(VALU_DEP_1)
	v_floor_f32_e32 v3, v3
	v_fma_f32 v4, 0xcf800000, v3, |v2|
	v_ashrrev_i32_e32 v2, 31, v2
	v_cvt_u32_f32_e32 v5, v3
	s_delay_alu instid0(VALU_DEP_3) | instskip(NEXT) | instid1(VALU_DEP_2)
	v_cvt_u32_f32_e32 v4, v4
	v_dual_mov_b32 v3, v2 :: v_dual_bitop2_b32 v5, v5, v2 bitop3:0x14
	s_delay_alu instid0(VALU_DEP_2) | instskip(NEXT) | instid1(VALU_DEP_1)
	v_xor_b32_e32 v4, v4, v2
	v_sub_nc_u64_e32 v[2:3], v[4:5], v[2:3]
	s_branch .LBB46_464
.LBB46_457:
	s_mov_b32 s28, -1
	s_mov_b32 s27, 0
	s_mov_b32 s26, s21
                                        ; implicit-def: $vgpr2_vgpr3
	s_branch .LBB46_525
.LBB46_458:
	s_mov_b32 s28, -1
	s_mov_b32 s27, 0
	s_mov_b32 s26, s21
                                        ; implicit-def: $vgpr2_vgpr3
	s_branch .LBB46_491
.LBB46_459:
	s_mov_b32 s28, -1
	s_mov_b32 s27, 0
	s_mov_b32 s26, s21
                                        ; implicit-def: $vgpr2_vgpr3
	s_branch .LBB46_474
.LBB46_460:
	s_mov_b32 s28, -1
	s_mov_b32 s27, 0
	s_mov_b32 s26, s21
                                        ; implicit-def: $vgpr2_vgpr3
	s_branch .LBB46_469
.LBB46_461:
	s_mov_b32 s28, -1
	s_mov_b32 s27, 0
	s_mov_b32 s26, s21
	s_branch .LBB46_463
.LBB46_462:
	s_mov_b32 s26, -1
	s_mov_b32 s27, 0
.LBB46_463:
                                        ; implicit-def: $vgpr2_vgpr3
.LBB46_464:
	s_and_b32 vcc_lo, exec_lo, s28
	s_cbranch_vccz .LBB46_468
; %bb.465:
	s_cmp_eq_u32 s0, 44
	s_cbranch_scc0 .LBB46_467
; %bb.466:
	global_load_u8 v7, v[0:1], off
	s_mov_b32 s26, 0
	s_mov_b32 s27, -1
	s_wait_loadcnt 0x0
	v_lshlrev_b32_e32 v2, 23, v7
	v_cmp_ne_u32_e32 vcc_lo, 0, v7
	s_delay_alu instid0(VALU_DEP_2) | instskip(NEXT) | instid1(VALU_DEP_1)
	v_trunc_f32_e32 v2, v2
	v_mul_f32_e64 v3, 0x2f800000, |v2|
	s_delay_alu instid0(VALU_DEP_1) | instskip(NEXT) | instid1(VALU_DEP_1)
	v_floor_f32_e32 v3, v3
	v_fma_f32 v4, 0xcf800000, v3, |v2|
	v_ashrrev_i32_e32 v2, 31, v2
	v_cvt_u32_f32_e32 v5, v3
	s_delay_alu instid0(VALU_DEP_3) | instskip(NEXT) | instid1(VALU_DEP_2)
	v_cvt_u32_f32_e32 v4, v4
	v_dual_mov_b32 v3, v2 :: v_dual_bitop2_b32 v5, v5, v2 bitop3:0x14
	s_delay_alu instid0(VALU_DEP_2) | instskip(NEXT) | instid1(VALU_DEP_1)
	v_xor_b32_e32 v4, v4, v2
	v_sub_nc_u64_e32 v[2:3], v[4:5], v[2:3]
	s_delay_alu instid0(VALU_DEP_1)
	v_dual_cndmask_b32 v3, 0, v3 :: v_dual_cndmask_b32 v2, 0, v2
	s_branch .LBB46_468
.LBB46_467:
	s_mov_b32 s26, -1
                                        ; implicit-def: $vgpr2_vgpr3
.LBB46_468:
	s_mov_b32 s28, 0
.LBB46_469:
	s_delay_alu instid0(SALU_CYCLE_1)
	s_and_b32 vcc_lo, exec_lo, s28
	s_cbranch_vccz .LBB46_473
; %bb.470:
	s_cmp_eq_u32 s0, 29
	s_cbranch_scc0 .LBB46_472
; %bb.471:
	s_wait_loadcnt 0x0
	global_load_b64 v[2:3], v[0:1], off
	s_mov_b32 s27, -1
	s_mov_b32 s26, 0
	s_branch .LBB46_473
.LBB46_472:
	s_mov_b32 s26, -1
                                        ; implicit-def: $vgpr2_vgpr3
.LBB46_473:
	s_mov_b32 s28, 0
.LBB46_474:
	s_delay_alu instid0(SALU_CYCLE_1)
	s_and_b32 vcc_lo, exec_lo, s28
	s_cbranch_vccz .LBB46_490
; %bb.475:
	s_cmp_lt_i32 s0, 27
	s_cbranch_scc1 .LBB46_478
; %bb.476:
	s_cmp_gt_i32 s0, 27
	s_cbranch_scc0 .LBB46_479
; %bb.477:
	s_wait_loadcnt 0x0
	global_load_b32 v2, v[0:1], off
	v_mov_b32_e32 v3, 0
	s_mov_b32 s27, 0
	s_branch .LBB46_480
.LBB46_478:
	s_mov_b32 s27, -1
                                        ; implicit-def: $vgpr2_vgpr3
	s_branch .LBB46_483
.LBB46_479:
	s_mov_b32 s27, -1
                                        ; implicit-def: $vgpr2_vgpr3
.LBB46_480:
	s_delay_alu instid0(SALU_CYCLE_1)
	s_and_not1_b32 vcc_lo, exec_lo, s27
	s_cbranch_vccnz .LBB46_482
; %bb.481:
	s_wait_loadcnt 0x0
	global_load_u16 v2, v[0:1], off
	s_mov_b32 s27, 0
	s_delay_alu instid0(SALU_CYCLE_1)
	v_mov_b32_e32 v3, s27
	s_wait_loadcnt 0x0
	v_and_b32_e32 v2, 0xffff, v2
.LBB46_482:
	s_mov_b32 s27, 0
.LBB46_483:
	s_delay_alu instid0(SALU_CYCLE_1)
	s_and_not1_b32 vcc_lo, exec_lo, s27
	s_cbranch_vccnz .LBB46_489
; %bb.484:
	global_load_u8 v4, v[0:1], off
	s_mov_b32 s28, 0
	s_mov_b32 s27, exec_lo
	s_wait_loadcnt 0x0
	v_cmpx_lt_i16_e32 0x7f, v4
	s_xor_b32 s27, exec_lo, s27
	s_cbranch_execz .LBB46_501
; %bb.485:
	v_cmp_ne_u16_e32 vcc_lo, 0x80, v4
	s_and_b32 s28, vcc_lo, exec_lo
	s_and_not1_saveexec_b32 s27, s27
	s_cbranch_execnz .LBB46_502
.LBB46_486:
	s_or_b32 exec_lo, exec_lo, s27
	v_mov_b64_e32 v[2:3], 0
	s_and_saveexec_b32 s27, s28
	s_cbranch_execz .LBB46_488
.LBB46_487:
	v_and_b32_e32 v2, 0xffff, v4
	s_delay_alu instid0(VALU_DEP_1) | instskip(SKIP_1) | instid1(VALU_DEP_2)
	v_and_b32_e32 v3, 7, v2
	v_bfe_u32 v8, v2, 3, 4
	v_clz_i32_u32_e32 v5, v3
	s_delay_alu instid0(VALU_DEP_2) | instskip(NEXT) | instid1(VALU_DEP_2)
	v_cmp_eq_u32_e32 vcc_lo, 0, v8
	v_min_u32_e32 v5, 32, v5
	s_delay_alu instid0(VALU_DEP_1) | instskip(NEXT) | instid1(VALU_DEP_1)
	v_subrev_nc_u32_e32 v7, 28, v5
	v_dual_lshlrev_b32 v2, v7, v2 :: v_dual_sub_nc_u32 v5, 29, v5
	s_delay_alu instid0(VALU_DEP_1) | instskip(NEXT) | instid1(VALU_DEP_1)
	v_dual_lshlrev_b32 v4, 24, v4 :: v_dual_bitop2_b32 v2, 7, v2 bitop3:0x40
	v_dual_cndmask_b32 v5, v8, v5 :: v_dual_cndmask_b32 v2, v3, v2
	s_delay_alu instid0(VALU_DEP_2) | instskip(NEXT) | instid1(VALU_DEP_2)
	v_and_b32_e32 v3, 0x80000000, v4
	v_lshl_add_u32 v4, v5, 23, 0x3b800000
	s_delay_alu instid0(VALU_DEP_3) | instskip(NEXT) | instid1(VALU_DEP_1)
	v_lshlrev_b32_e32 v2, 20, v2
	v_or3_b32 v2, v3, v4, v2
	s_delay_alu instid0(VALU_DEP_1) | instskip(NEXT) | instid1(VALU_DEP_1)
	v_trunc_f32_e32 v2, v2
	v_mul_f32_e64 v3, 0x2f800000, |v2|
	s_delay_alu instid0(VALU_DEP_1) | instskip(NEXT) | instid1(VALU_DEP_1)
	v_floor_f32_e32 v3, v3
	v_fma_f32 v4, 0xcf800000, v3, |v2|
	v_ashrrev_i32_e32 v2, 31, v2
	v_cvt_u32_f32_e32 v5, v3
	s_delay_alu instid0(VALU_DEP_3) | instskip(NEXT) | instid1(VALU_DEP_2)
	v_cvt_u32_f32_e32 v4, v4
	v_dual_mov_b32 v3, v2 :: v_dual_bitop2_b32 v5, v5, v2 bitop3:0x14
	s_delay_alu instid0(VALU_DEP_2) | instskip(NEXT) | instid1(VALU_DEP_1)
	v_xor_b32_e32 v4, v4, v2
	v_sub_nc_u64_e32 v[2:3], v[4:5], v[2:3]
.LBB46_488:
	s_or_b32 exec_lo, exec_lo, s27
.LBB46_489:
	s_mov_b32 s27, -1
.LBB46_490:
	s_mov_b32 s28, 0
.LBB46_491:
	s_delay_alu instid0(SALU_CYCLE_1)
	s_and_b32 vcc_lo, exec_lo, s28
	s_cbranch_vccz .LBB46_524
; %bb.492:
	s_cmp_gt_i32 s0, 22
	s_cbranch_scc0 .LBB46_500
; %bb.493:
	s_cmp_lt_i32 s0, 24
	s_cbranch_scc1 .LBB46_503
; %bb.494:
	s_cmp_gt_i32 s0, 24
	s_cbranch_scc0 .LBB46_504
; %bb.495:
	global_load_u8 v4, v[0:1], off
	s_mov_b32 s28, 0
	s_mov_b32 s27, exec_lo
	s_wait_loadcnt 0x0
	v_cmpx_lt_i16_e32 0x7f, v4
	s_xor_b32 s27, exec_lo, s27
	s_cbranch_execz .LBB46_516
; %bb.496:
	v_cmp_ne_u16_e32 vcc_lo, 0x80, v4
	s_and_b32 s28, vcc_lo, exec_lo
	s_and_not1_saveexec_b32 s27, s27
	s_cbranch_execnz .LBB46_517
.LBB46_497:
	s_or_b32 exec_lo, exec_lo, s27
	v_mov_b64_e32 v[2:3], 0
	s_and_saveexec_b32 s27, s28
	s_cbranch_execz .LBB46_499
.LBB46_498:
	v_and_b32_e32 v2, 0xffff, v4
	s_delay_alu instid0(VALU_DEP_1) | instskip(SKIP_1) | instid1(VALU_DEP_2)
	v_and_b32_e32 v3, 3, v2
	v_bfe_u32 v8, v2, 2, 5
	v_clz_i32_u32_e32 v5, v3
	s_delay_alu instid0(VALU_DEP_2) | instskip(NEXT) | instid1(VALU_DEP_2)
	v_cmp_eq_u32_e32 vcc_lo, 0, v8
	v_min_u32_e32 v5, 32, v5
	s_delay_alu instid0(VALU_DEP_1) | instskip(NEXT) | instid1(VALU_DEP_1)
	v_subrev_nc_u32_e32 v7, 29, v5
	v_dual_lshlrev_b32 v2, v7, v2 :: v_dual_sub_nc_u32 v5, 30, v5
	s_delay_alu instid0(VALU_DEP_1) | instskip(NEXT) | instid1(VALU_DEP_1)
	v_dual_lshlrev_b32 v4, 24, v4 :: v_dual_bitop2_b32 v2, 3, v2 bitop3:0x40
	v_dual_cndmask_b32 v5, v8, v5 :: v_dual_cndmask_b32 v2, v3, v2
	s_delay_alu instid0(VALU_DEP_2) | instskip(NEXT) | instid1(VALU_DEP_2)
	v_and_b32_e32 v3, 0x80000000, v4
	v_lshl_add_u32 v4, v5, 23, 0x37800000
	s_delay_alu instid0(VALU_DEP_3) | instskip(NEXT) | instid1(VALU_DEP_1)
	v_lshlrev_b32_e32 v2, 21, v2
	v_or3_b32 v2, v3, v4, v2
	s_delay_alu instid0(VALU_DEP_1) | instskip(NEXT) | instid1(VALU_DEP_1)
	v_trunc_f32_e32 v2, v2
	v_mul_f32_e64 v3, 0x2f800000, |v2|
	s_delay_alu instid0(VALU_DEP_1) | instskip(NEXT) | instid1(VALU_DEP_1)
	v_floor_f32_e32 v3, v3
	v_fma_f32 v4, 0xcf800000, v3, |v2|
	v_ashrrev_i32_e32 v2, 31, v2
	v_cvt_u32_f32_e32 v5, v3
	s_delay_alu instid0(VALU_DEP_3) | instskip(NEXT) | instid1(VALU_DEP_2)
	v_cvt_u32_f32_e32 v4, v4
	v_dual_mov_b32 v3, v2 :: v_dual_bitop2_b32 v5, v5, v2 bitop3:0x14
	s_delay_alu instid0(VALU_DEP_2) | instskip(NEXT) | instid1(VALU_DEP_1)
	v_xor_b32_e32 v4, v4, v2
	v_sub_nc_u64_e32 v[2:3], v[4:5], v[2:3]
.LBB46_499:
	s_or_b32 exec_lo, exec_lo, s27
	s_mov_b32 s27, 0
	s_branch .LBB46_505
.LBB46_500:
	s_mov_b32 s28, -1
                                        ; implicit-def: $vgpr2_vgpr3
	s_branch .LBB46_511
.LBB46_501:
	s_and_not1_saveexec_b32 s27, s27
	s_cbranch_execz .LBB46_486
.LBB46_502:
	v_cmp_ne_u16_e32 vcc_lo, 0, v4
	s_and_not1_b32 s28, s28, exec_lo
	s_and_b32 s29, vcc_lo, exec_lo
	s_delay_alu instid0(SALU_CYCLE_1)
	s_or_b32 s28, s28, s29
	s_or_b32 exec_lo, exec_lo, s27
	v_mov_b64_e32 v[2:3], 0
	s_and_saveexec_b32 s27, s28
	s_cbranch_execnz .LBB46_487
	s_branch .LBB46_488
.LBB46_503:
	s_mov_b32 s27, -1
                                        ; implicit-def: $vgpr2_vgpr3
	s_branch .LBB46_508
.LBB46_504:
	s_mov_b32 s27, -1
                                        ; implicit-def: $vgpr2_vgpr3
.LBB46_505:
	s_delay_alu instid0(SALU_CYCLE_1)
	s_and_b32 vcc_lo, exec_lo, s27
	s_cbranch_vccz .LBB46_507
; %bb.506:
	s_wait_loadcnt 0x0
	global_load_u8 v2, v[0:1], off
	s_wait_loadcnt 0x0
	v_lshlrev_b32_e32 v2, 24, v2
	s_delay_alu instid0(VALU_DEP_1) | instskip(NEXT) | instid1(VALU_DEP_1)
	v_and_b32_e32 v3, 0x7f000000, v2
	v_clz_i32_u32_e32 v4, v3
	v_add_nc_u32_e32 v7, 0x1000000, v3
	v_cmp_ne_u32_e32 vcc_lo, 0, v3
	s_delay_alu instid0(VALU_DEP_3) | instskip(NEXT) | instid1(VALU_DEP_1)
	v_min_u32_e32 v4, 32, v4
	v_sub_nc_u32_e64 v4, v4, 4 clamp
	s_delay_alu instid0(VALU_DEP_1) | instskip(NEXT) | instid1(VALU_DEP_1)
	v_dual_lshlrev_b32 v5, v4, v3 :: v_dual_lshlrev_b32 v4, 23, v4
	v_lshrrev_b32_e32 v5, 4, v5
	s_delay_alu instid0(VALU_DEP_1) | instskip(NEXT) | instid1(VALU_DEP_1)
	v_dual_sub_nc_u32 v4, v5, v4 :: v_dual_ashrrev_i32 v5, 8, v7
	v_add_nc_u32_e32 v4, 0x3c000000, v4
	s_delay_alu instid0(VALU_DEP_1) | instskip(NEXT) | instid1(VALU_DEP_1)
	v_and_or_b32 v4, 0x7f800000, v5, v4
	v_cndmask_b32_e32 v3, 0, v4, vcc_lo
	s_delay_alu instid0(VALU_DEP_1) | instskip(NEXT) | instid1(VALU_DEP_1)
	v_and_or_b32 v2, 0x80000000, v2, v3
	v_trunc_f32_e32 v2, v2
	s_delay_alu instid0(VALU_DEP_1) | instskip(NEXT) | instid1(VALU_DEP_1)
	v_mul_f32_e64 v3, 0x2f800000, |v2|
	v_floor_f32_e32 v3, v3
	s_delay_alu instid0(VALU_DEP_1) | instskip(SKIP_2) | instid1(VALU_DEP_3)
	v_fma_f32 v4, 0xcf800000, v3, |v2|
	v_ashrrev_i32_e32 v2, 31, v2
	v_cvt_u32_f32_e32 v5, v3
	v_cvt_u32_f32_e32 v4, v4
	s_delay_alu instid0(VALU_DEP_2) | instskip(NEXT) | instid1(VALU_DEP_2)
	v_dual_mov_b32 v3, v2 :: v_dual_bitop2_b32 v5, v5, v2 bitop3:0x14
	v_xor_b32_e32 v4, v4, v2
	s_delay_alu instid0(VALU_DEP_1)
	v_sub_nc_u64_e32 v[2:3], v[4:5], v[2:3]
.LBB46_507:
	s_mov_b32 s27, 0
.LBB46_508:
	s_delay_alu instid0(SALU_CYCLE_1)
	s_and_not1_b32 vcc_lo, exec_lo, s27
	s_cbranch_vccnz .LBB46_510
; %bb.509:
	s_wait_loadcnt 0x0
	global_load_u8 v2, v[0:1], off
	s_wait_loadcnt 0x0
	v_lshlrev_b32_e32 v3, 25, v2
	v_lshlrev_b16 v2, 8, v2
	s_delay_alu instid0(VALU_DEP_1) | instskip(SKIP_1) | instid1(VALU_DEP_2)
	v_and_or_b32 v5, 0x7f00, v2, 0.5
	v_bfe_i32 v2, v2, 0, 16
	v_dual_add_f32 v5, -0.5, v5 :: v_dual_lshrrev_b32 v4, 4, v3
	v_cmp_gt_u32_e32 vcc_lo, 0x8000000, v3
	s_delay_alu instid0(VALU_DEP_2) | instskip(NEXT) | instid1(VALU_DEP_1)
	v_or_b32_e32 v4, 0x70000000, v4
	v_mul_f32_e32 v4, 0x7800000, v4
	s_delay_alu instid0(VALU_DEP_1) | instskip(NEXT) | instid1(VALU_DEP_1)
	v_cndmask_b32_e32 v3, v4, v5, vcc_lo
	v_and_or_b32 v2, 0x80000000, v2, v3
	s_delay_alu instid0(VALU_DEP_1) | instskip(NEXT) | instid1(VALU_DEP_1)
	v_trunc_f32_e32 v2, v2
	v_mul_f32_e64 v3, 0x2f800000, |v2|
	s_delay_alu instid0(VALU_DEP_1) | instskip(NEXT) | instid1(VALU_DEP_1)
	v_floor_f32_e32 v3, v3
	v_fma_f32 v4, 0xcf800000, v3, |v2|
	v_ashrrev_i32_e32 v2, 31, v2
	v_cvt_u32_f32_e32 v5, v3
	s_delay_alu instid0(VALU_DEP_3) | instskip(NEXT) | instid1(VALU_DEP_2)
	v_cvt_u32_f32_e32 v4, v4
	v_dual_mov_b32 v3, v2 :: v_dual_bitop2_b32 v5, v5, v2 bitop3:0x14
	s_delay_alu instid0(VALU_DEP_2) | instskip(NEXT) | instid1(VALU_DEP_1)
	v_xor_b32_e32 v4, v4, v2
	v_sub_nc_u64_e32 v[2:3], v[4:5], v[2:3]
.LBB46_510:
	s_mov_b32 s28, 0
	s_mov_b32 s27, -1
.LBB46_511:
	s_and_not1_b32 vcc_lo, exec_lo, s28
	s_cbranch_vccnz .LBB46_524
; %bb.512:
	s_cmp_gt_i32 s0, 14
	s_cbranch_scc0 .LBB46_515
; %bb.513:
	s_cmp_eq_u32 s0, 15
	s_cbranch_scc0 .LBB46_518
; %bb.514:
	s_wait_loadcnt 0x0
	global_load_u16 v2, v[0:1], off
	s_mov_b32 s27, -1
	s_mov_b32 s26, 0
	s_wait_loadcnt 0x0
	v_lshlrev_b32_e32 v2, 16, v2
	s_delay_alu instid0(VALU_DEP_1) | instskip(NEXT) | instid1(VALU_DEP_1)
	v_trunc_f32_e32 v2, v2
	v_mul_f32_e64 v3, 0x2f800000, |v2|
	s_delay_alu instid0(VALU_DEP_1) | instskip(NEXT) | instid1(VALU_DEP_1)
	v_floor_f32_e32 v3, v3
	v_fma_f32 v4, 0xcf800000, v3, |v2|
	v_ashrrev_i32_e32 v2, 31, v2
	v_cvt_u32_f32_e32 v5, v3
	s_delay_alu instid0(VALU_DEP_3) | instskip(NEXT) | instid1(VALU_DEP_2)
	v_cvt_u32_f32_e32 v4, v4
	v_dual_mov_b32 v3, v2 :: v_dual_bitop2_b32 v5, v5, v2 bitop3:0x14
	s_delay_alu instid0(VALU_DEP_2) | instskip(NEXT) | instid1(VALU_DEP_1)
	v_xor_b32_e32 v4, v4, v2
	v_sub_nc_u64_e32 v[2:3], v[4:5], v[2:3]
	s_branch .LBB46_519
.LBB46_515:
	s_mov_b32 s28, -1
                                        ; implicit-def: $vgpr2_vgpr3
	s_branch .LBB46_520
.LBB46_516:
	s_and_not1_saveexec_b32 s27, s27
	s_cbranch_execz .LBB46_497
.LBB46_517:
	v_cmp_ne_u16_e32 vcc_lo, 0, v4
	s_and_not1_b32 s28, s28, exec_lo
	s_and_b32 s29, vcc_lo, exec_lo
	s_delay_alu instid0(SALU_CYCLE_1)
	s_or_b32 s28, s28, s29
	s_or_b32 exec_lo, exec_lo, s27
	v_mov_b64_e32 v[2:3], 0
	s_and_saveexec_b32 s27, s28
	s_cbranch_execnz .LBB46_498
	s_branch .LBB46_499
.LBB46_518:
	s_mov_b32 s26, -1
                                        ; implicit-def: $vgpr2_vgpr3
.LBB46_519:
	s_mov_b32 s28, 0
.LBB46_520:
	s_delay_alu instid0(SALU_CYCLE_1)
	s_and_b32 vcc_lo, exec_lo, s28
	s_cbranch_vccz .LBB46_524
; %bb.521:
	s_cmp_eq_u32 s0, 11
	s_cbranch_scc0 .LBB46_523
; %bb.522:
	s_wait_loadcnt 0x0
	global_load_u8 v2, v[0:1], off
	s_mov_b32 s26, 0
	s_mov_b32 s27, -1
	v_mov_b32_e32 v3, s26
	s_wait_loadcnt 0x0
	v_cmp_ne_u16_e32 vcc_lo, 0, v2
	v_cndmask_b32_e64 v2, 0, 1, vcc_lo
	s_branch .LBB46_524
.LBB46_523:
	s_mov_b32 s26, -1
                                        ; implicit-def: $vgpr2_vgpr3
.LBB46_524:
	s_mov_b32 s28, 0
.LBB46_525:
	s_delay_alu instid0(SALU_CYCLE_1)
	s_and_b32 vcc_lo, exec_lo, s28
	s_cbranch_vccz .LBB46_574
; %bb.526:
	s_cmp_lt_i32 s0, 5
	s_cbranch_scc1 .LBB46_531
; %bb.527:
	s_cmp_lt_i32 s0, 8
	s_cbranch_scc1 .LBB46_532
	;; [unrolled: 3-line block ×3, first 2 shown]
; %bb.529:
	s_cmp_gt_i32 s0, 9
	s_cbranch_scc0 .LBB46_534
; %bb.530:
	s_wait_loadcnt 0x0
	global_load_b64 v[2:3], v[0:1], off
	s_mov_b32 s27, 0
	s_wait_loadcnt 0x0
	v_trunc_f64_e32 v[2:3], v[2:3]
	s_delay_alu instid0(VALU_DEP_1) | instskip(NEXT) | instid1(VALU_DEP_1)
	v_ldexp_f64 v[4:5], v[2:3], 0xffffffe0
	v_floor_f64_e32 v[4:5], v[4:5]
	s_delay_alu instid0(VALU_DEP_1) | instskip(SKIP_1) | instid1(VALU_DEP_2)
	v_fmamk_f64 v[8:9], v[4:5], 0xc1f00000, v[2:3]
	v_cvt_i32_f64_e32 v3, v[4:5]
	v_cvt_u32_f64_e32 v2, v[8:9]
	s_branch .LBB46_535
.LBB46_531:
	s_mov_b32 s27, -1
                                        ; implicit-def: $vgpr2_vgpr3
	s_branch .LBB46_553
.LBB46_532:
	s_mov_b32 s27, -1
                                        ; implicit-def: $vgpr2_vgpr3
	s_branch .LBB46_541
.LBB46_533:
	s_mov_b32 s27, -1
                                        ; implicit-def: $vgpr2_vgpr3
	s_branch .LBB46_538
.LBB46_534:
	s_mov_b32 s27, -1
                                        ; implicit-def: $vgpr2_vgpr3
.LBB46_535:
	s_delay_alu instid0(SALU_CYCLE_1)
	s_and_not1_b32 vcc_lo, exec_lo, s27
	s_cbranch_vccnz .LBB46_537
; %bb.536:
	s_wait_loadcnt 0x0
	global_load_b32 v2, v[0:1], off
	s_wait_loadcnt 0x0
	v_trunc_f32_e32 v2, v2
	s_delay_alu instid0(VALU_DEP_1) | instskip(NEXT) | instid1(VALU_DEP_1)
	v_mul_f32_e64 v3, 0x2f800000, |v2|
	v_floor_f32_e32 v3, v3
	s_delay_alu instid0(VALU_DEP_1) | instskip(SKIP_2) | instid1(VALU_DEP_3)
	v_fma_f32 v4, 0xcf800000, v3, |v2|
	v_ashrrev_i32_e32 v2, 31, v2
	v_cvt_u32_f32_e32 v5, v3
	v_cvt_u32_f32_e32 v4, v4
	s_delay_alu instid0(VALU_DEP_2) | instskip(NEXT) | instid1(VALU_DEP_2)
	v_dual_mov_b32 v3, v2 :: v_dual_bitop2_b32 v5, v5, v2 bitop3:0x14
	v_xor_b32_e32 v4, v4, v2
	s_delay_alu instid0(VALU_DEP_1)
	v_sub_nc_u64_e32 v[2:3], v[4:5], v[2:3]
.LBB46_537:
	s_mov_b32 s27, 0
.LBB46_538:
	s_delay_alu instid0(SALU_CYCLE_1)
	s_and_not1_b32 vcc_lo, exec_lo, s27
	s_cbranch_vccnz .LBB46_540
; %bb.539:
	s_wait_loadcnt 0x0
	global_load_b32 v2, v[0:1], off
	s_wait_loadcnt 0x0
	v_cvt_f32_f16_e32 v2, v2
	s_delay_alu instid0(VALU_DEP_1) | instskip(NEXT) | instid1(VALU_DEP_1)
	v_cvt_i32_f32_e32 v2, v2
	v_ashrrev_i32_e32 v3, 31, v2
.LBB46_540:
	s_mov_b32 s27, 0
.LBB46_541:
	s_delay_alu instid0(SALU_CYCLE_1)
	s_and_not1_b32 vcc_lo, exec_lo, s27
	s_cbranch_vccnz .LBB46_552
; %bb.542:
	s_cmp_lt_i32 s0, 6
	s_cbranch_scc1 .LBB46_545
; %bb.543:
	s_cmp_gt_i32 s0, 6
	s_cbranch_scc0 .LBB46_546
; %bb.544:
	s_wait_loadcnt 0x0
	global_load_b64 v[2:3], v[0:1], off
	s_mov_b32 s27, 0
	s_wait_loadcnt 0x0
	v_trunc_f64_e32 v[2:3], v[2:3]
	s_delay_alu instid0(VALU_DEP_1) | instskip(NEXT) | instid1(VALU_DEP_1)
	v_ldexp_f64 v[4:5], v[2:3], 0xffffffe0
	v_floor_f64_e32 v[4:5], v[4:5]
	s_delay_alu instid0(VALU_DEP_1) | instskip(SKIP_1) | instid1(VALU_DEP_2)
	v_fmamk_f64 v[8:9], v[4:5], 0xc1f00000, v[2:3]
	v_cvt_i32_f64_e32 v3, v[4:5]
	v_cvt_u32_f64_e32 v2, v[8:9]
	s_branch .LBB46_547
.LBB46_545:
	s_mov_b32 s27, -1
                                        ; implicit-def: $vgpr2_vgpr3
	s_branch .LBB46_550
.LBB46_546:
	s_mov_b32 s27, -1
                                        ; implicit-def: $vgpr2_vgpr3
.LBB46_547:
	s_delay_alu instid0(SALU_CYCLE_1)
	s_and_not1_b32 vcc_lo, exec_lo, s27
	s_cbranch_vccnz .LBB46_549
; %bb.548:
	s_wait_loadcnt 0x0
	global_load_b32 v2, v[0:1], off
	s_wait_loadcnt 0x0
	v_trunc_f32_e32 v2, v2
	s_delay_alu instid0(VALU_DEP_1) | instskip(NEXT) | instid1(VALU_DEP_1)
	v_mul_f32_e64 v3, 0x2f800000, |v2|
	v_floor_f32_e32 v3, v3
	s_delay_alu instid0(VALU_DEP_1) | instskip(SKIP_2) | instid1(VALU_DEP_3)
	v_fma_f32 v4, 0xcf800000, v3, |v2|
	v_ashrrev_i32_e32 v2, 31, v2
	v_cvt_u32_f32_e32 v5, v3
	v_cvt_u32_f32_e32 v4, v4
	s_delay_alu instid0(VALU_DEP_2) | instskip(NEXT) | instid1(VALU_DEP_2)
	v_dual_mov_b32 v3, v2 :: v_dual_bitop2_b32 v5, v5, v2 bitop3:0x14
	v_xor_b32_e32 v4, v4, v2
	s_delay_alu instid0(VALU_DEP_1)
	v_sub_nc_u64_e32 v[2:3], v[4:5], v[2:3]
.LBB46_549:
	s_mov_b32 s27, 0
.LBB46_550:
	s_delay_alu instid0(SALU_CYCLE_1)
	s_and_not1_b32 vcc_lo, exec_lo, s27
	s_cbranch_vccnz .LBB46_552
; %bb.551:
	s_wait_loadcnt 0x0
	global_load_u16 v2, v[0:1], off
	s_wait_loadcnt 0x0
	v_cvt_f32_f16_e32 v2, v2
	s_delay_alu instid0(VALU_DEP_1) | instskip(NEXT) | instid1(VALU_DEP_1)
	v_cvt_i32_f32_e32 v2, v2
	v_ashrrev_i32_e32 v3, 31, v2
.LBB46_552:
	s_mov_b32 s27, 0
.LBB46_553:
	s_delay_alu instid0(SALU_CYCLE_1)
	s_and_not1_b32 vcc_lo, exec_lo, s27
	s_cbranch_vccnz .LBB46_573
; %bb.554:
	s_cmp_lt_i32 s0, 2
	s_cbranch_scc1 .LBB46_558
; %bb.555:
	s_cmp_lt_i32 s0, 3
	s_cbranch_scc1 .LBB46_559
; %bb.556:
	s_cmp_gt_i32 s0, 3
	s_cbranch_scc0 .LBB46_560
; %bb.557:
	s_wait_loadcnt 0x0
	global_load_b64 v[2:3], v[0:1], off
	s_mov_b32 s27, 0
	s_branch .LBB46_561
.LBB46_558:
	s_mov_b32 s27, -1
                                        ; implicit-def: $vgpr2_vgpr3
	s_branch .LBB46_567
.LBB46_559:
	s_mov_b32 s27, -1
                                        ; implicit-def: $vgpr2_vgpr3
	s_branch .LBB46_564
.LBB46_560:
	s_mov_b32 s27, -1
                                        ; implicit-def: $vgpr2_vgpr3
.LBB46_561:
	s_delay_alu instid0(SALU_CYCLE_1)
	s_and_not1_b32 vcc_lo, exec_lo, s27
	s_cbranch_vccnz .LBB46_563
; %bb.562:
	s_wait_loadcnt 0x0
	global_load_b32 v2, v[0:1], off
	s_wait_loadcnt 0x0
	v_ashrrev_i32_e32 v3, 31, v2
.LBB46_563:
	s_mov_b32 s27, 0
.LBB46_564:
	s_delay_alu instid0(SALU_CYCLE_1)
	s_and_not1_b32 vcc_lo, exec_lo, s27
	s_cbranch_vccnz .LBB46_566
; %bb.565:
	s_wait_loadcnt 0x0
	global_load_u16 v2, v[0:1], off
	s_wait_loadcnt 0x0
	v_bfe_i32 v2, v2, 0, 16
	s_delay_alu instid0(VALU_DEP_1)
	v_ashrrev_i32_e32 v3, 31, v2
.LBB46_566:
	s_mov_b32 s27, 0
.LBB46_567:
	s_delay_alu instid0(SALU_CYCLE_1)
	s_and_not1_b32 vcc_lo, exec_lo, s27
	s_cbranch_vccnz .LBB46_573
; %bb.568:
	s_cmp_gt_i32 s0, 0
	s_mov_b32 s0, 0
	s_cbranch_scc0 .LBB46_570
; %bb.569:
	s_wait_loadcnt 0x0
	global_load_i8 v2, v[0:1], off
	s_wait_loadcnt 0x0
	v_bfe_i32 v2, v2, 0, 16
	s_delay_alu instid0(VALU_DEP_1)
	v_ashrrev_i32_e32 v3, 31, v2
	s_branch .LBB46_571
.LBB46_570:
	s_mov_b32 s0, -1
                                        ; implicit-def: $vgpr2_vgpr3
.LBB46_571:
	s_delay_alu instid0(SALU_CYCLE_1)
	s_and_not1_b32 vcc_lo, exec_lo, s0
	s_cbranch_vccnz .LBB46_573
; %bb.572:
	global_load_u8 v0, v[0:1], off
	s_mov_b32 s0, 0
	s_wait_loadcnt 0x1
	v_mov_b32_e32 v3, s0
	s_wait_loadcnt 0x0
	v_and_b32_e32 v2, 0xffff, v0
.LBB46_573:
	s_mov_b32 s27, -1
.LBB46_574:
	s_delay_alu instid0(SALU_CYCLE_1)
	s_and_not1_b32 vcc_lo, exec_lo, s27
	s_cbranch_vccnz .LBB46_583
; %bb.575:
	s_wait_loadcnt 0x0
	s_delay_alu instid0(VALU_DEP_1)
	v_cmp_le_i64_e32 vcc_lo, s[8:9], v[2:3]
	v_cmp_gt_i64_e64 s0, s[10:11], v[2:3]
	s_mov_b32 s28, 0
	s_mov_b32 s29, -1
	s_mov_b32 s27, s22
	s_and_b32 s0, vcc_lo, s0
	s_delay_alu instid0(SALU_CYCLE_1)
	s_and_b32 s30, s15, s0
	s_wait_xcnt 0x0
	s_and_saveexec_b32 s0, s30
	s_cbranch_execz .LBB46_671
; %bb.576:
	v_mul_lo_u32 v0, v6, s2
	s_and_b32 s28, s12, 0xff
	s_delay_alu instid0(SALU_CYCLE_1) | instskip(NEXT) | instid1(VALU_DEP_1)
	s_cmp_lt_i32 s28, 11
	v_ashrrev_i32_e32 v1, 31, v0
	s_delay_alu instid0(VALU_DEP_1)
	v_add_nc_u64_e32 v[0:1], s[4:5], v[0:1]
	s_cbranch_scc1 .LBB46_584
; %bb.577:
	s_and_b32 s29, 0xffff, s28
	s_delay_alu instid0(SALU_CYCLE_1)
	s_cmp_gt_i32 s29, 25
	s_cbranch_scc0 .LBB46_585
; %bb.578:
	s_cmp_gt_i32 s29, 28
	s_cbranch_scc0 .LBB46_586
; %bb.579:
	;; [unrolled: 3-line block ×4, first 2 shown]
	s_mov_b32 s31, 0
	s_mov_b32 s27, -1
	s_cmp_eq_u32 s29, 46
	s_mov_b32 s30, 0
	s_cbranch_scc0 .LBB46_589
; %bb.582:
	v_mov_b32_e32 v2, 0
	s_mov_b32 s30, -1
	s_mov_b32 s27, 0
	global_store_b32 v[0:1], v2, off
	s_branch .LBB46_589
.LBB46_583:
	s_mov_b32 s28, 0
	s_mov_b32 s27, s22
	;; [unrolled: 1-line block ×3, first 2 shown]
                                        ; implicit-def: $vgpr6
	s_branch .LBB46_672
.LBB46_584:
	s_mov_b32 s30, 0
	s_mov_b32 s27, s22
	s_branch .LBB46_628
.LBB46_585:
	s_mov_b32 s30, 0
	s_mov_b32 s27, s22
	s_branch .LBB46_608
.LBB46_586:
	s_mov_b32 s30, 0
	s_mov_b32 s27, s22
	s_branch .LBB46_597
.LBB46_587:
	s_mov_b32 s30, 0
	s_mov_b32 s27, s22
	s_branch .LBB46_593
.LBB46_588:
	s_mov_b32 s30, 0
	s_mov_b32 s27, s22
.LBB46_589:
	s_and_b32 vcc_lo, exec_lo, s31
	s_cbranch_vccz .LBB46_592
; %bb.590:
	s_cmp_eq_u32 s29, 44
	s_mov_b32 s27, -1
	s_cbranch_scc0 .LBB46_592
; %bb.591:
	s_wait_xcnt 0x0
	v_mov_b32_e32 v2, 0
	s_mov_b32 s30, -1
	s_mov_b32 s27, 0
	global_store_b8 v[0:1], v2, off
.LBB46_592:
	s_mov_b32 s31, 0
.LBB46_593:
	s_delay_alu instid0(SALU_CYCLE_1)
	s_and_b32 vcc_lo, exec_lo, s31
	s_cbranch_vccz .LBB46_596
; %bb.594:
	s_cmp_eq_u32 s29, 29
	s_mov_b32 s27, -1
	s_cbranch_scc0 .LBB46_596
; %bb.595:
	s_wait_xcnt 0x0
	v_mov_b64_e32 v[2:3], 0
	s_mov_b32 s30, -1
	s_mov_b32 s27, 0
	s_mov_b32 s31, 0
	global_store_b64 v[0:1], v[2:3], off
	s_branch .LBB46_597
.LBB46_596:
	s_mov_b32 s31, 0
.LBB46_597:
	s_delay_alu instid0(SALU_CYCLE_1)
	s_and_b32 vcc_lo, exec_lo, s31
	s_cbranch_vccz .LBB46_607
; %bb.598:
	s_cmp_lt_i32 s29, 27
	s_mov_b32 s30, -1
	s_cbranch_scc1 .LBB46_604
; %bb.599:
	s_cmp_gt_i32 s29, 27
	s_cbranch_scc0 .LBB46_601
; %bb.600:
	s_wait_xcnt 0x0
	v_mov_b32_e32 v2, 0
	s_mov_b32 s30, 0
	global_store_b32 v[0:1], v2, off
.LBB46_601:
	s_and_not1_b32 vcc_lo, exec_lo, s30
	s_cbranch_vccnz .LBB46_603
; %bb.602:
	s_wait_xcnt 0x0
	v_mov_b32_e32 v2, 0
	global_store_b16 v[0:1], v2, off
.LBB46_603:
	s_mov_b32 s30, 0
.LBB46_604:
	s_delay_alu instid0(SALU_CYCLE_1)
	s_and_not1_b32 vcc_lo, exec_lo, s30
	s_cbranch_vccnz .LBB46_606
; %bb.605:
	s_wait_xcnt 0x0
	v_mov_b32_e32 v2, 0
	global_store_b8 v[0:1], v2, off
.LBB46_606:
	s_mov_b32 s30, -1
.LBB46_607:
	s_mov_b32 s31, 0
.LBB46_608:
	s_delay_alu instid0(SALU_CYCLE_1)
	s_and_b32 vcc_lo, exec_lo, s31
	s_cbranch_vccz .LBB46_627
; %bb.609:
	s_cmp_gt_i32 s29, 22
	s_mov_b32 s31, -1
	s_cbranch_scc0 .LBB46_619
; %bb.610:
	s_cmp_lt_i32 s29, 24
	s_mov_b32 s30, -1
	s_cbranch_scc1 .LBB46_616
; %bb.611:
	s_cmp_gt_i32 s29, 24
	s_cbranch_scc0 .LBB46_613
; %bb.612:
	s_wait_xcnt 0x0
	v_mov_b32_e32 v2, 0
	s_mov_b32 s30, 0
	global_store_b8 v[0:1], v2, off
.LBB46_613:
	s_and_not1_b32 vcc_lo, exec_lo, s30
	s_cbranch_vccnz .LBB46_615
; %bb.614:
	s_wait_xcnt 0x0
	v_mov_b32_e32 v2, 0
	global_store_b8 v[0:1], v2, off
.LBB46_615:
	s_mov_b32 s30, 0
.LBB46_616:
	s_delay_alu instid0(SALU_CYCLE_1)
	s_and_not1_b32 vcc_lo, exec_lo, s30
	s_cbranch_vccnz .LBB46_618
; %bb.617:
	s_wait_xcnt 0x0
	v_mov_b32_e32 v2, 0
	global_store_b8 v[0:1], v2, off
.LBB46_618:
	s_mov_b32 s31, 0
	s_mov_b32 s30, -1
.LBB46_619:
	s_and_not1_b32 vcc_lo, exec_lo, s31
	s_cbranch_vccnz .LBB46_627
; %bb.620:
	s_cmp_gt_i32 s29, 14
	s_mov_b32 s31, -1
	s_cbranch_scc0 .LBB46_624
; %bb.621:
	s_cmp_eq_u32 s29, 15
	s_mov_b32 s27, -1
	s_cbranch_scc0 .LBB46_623
; %bb.622:
	s_wait_xcnt 0x0
	v_mov_b32_e32 v2, 0
	s_mov_b32 s30, -1
	s_mov_b32 s27, 0
	global_store_b16 v[0:1], v2, off
.LBB46_623:
	s_mov_b32 s31, 0
.LBB46_624:
	s_delay_alu instid0(SALU_CYCLE_1)
	s_and_b32 vcc_lo, exec_lo, s31
	s_cbranch_vccz .LBB46_627
; %bb.625:
	s_cmp_eq_u32 s29, 11
	s_mov_b32 s27, -1
	s_cbranch_scc0 .LBB46_627
; %bb.626:
	s_wait_xcnt 0x0
	v_mov_b32_e32 v2, 0
	s_mov_b32 s30, -1
	s_mov_b32 s27, 0
	global_store_b8 v[0:1], v2, off
.LBB46_627:
	s_mov_b32 s29, 0
.LBB46_628:
	s_delay_alu instid0(SALU_CYCLE_1)
	s_and_b32 vcc_lo, exec_lo, s29
	s_cbranch_vccz .LBB46_667
; %bb.629:
	s_and_b32 s28, 0xffff, s28
	s_mov_b32 s29, -1
	s_cmp_lt_i32 s28, 5
	s_cbranch_scc1 .LBB46_650
; %bb.630:
	s_cmp_lt_i32 s28, 8
	s_cbranch_scc1 .LBB46_640
; %bb.631:
	;; [unrolled: 3-line block ×3, first 2 shown]
	s_cmp_gt_i32 s28, 9
	s_cbranch_scc0 .LBB46_634
; %bb.633:
	s_wait_xcnt 0x0
	v_mov_b32_e32 v2, 0
	s_mov_b32 s29, 0
	s_delay_alu instid0(VALU_DEP_1)
	v_dual_mov_b32 v3, v2 :: v_dual_mov_b32 v4, v2
	v_mov_b32_e32 v5, v2
	global_store_b128 v[0:1], v[2:5], off
.LBB46_634:
	s_and_not1_b32 vcc_lo, exec_lo, s29
	s_cbranch_vccnz .LBB46_636
; %bb.635:
	s_wait_xcnt 0x0
	v_mov_b64_e32 v[2:3], 0
	global_store_b64 v[0:1], v[2:3], off
.LBB46_636:
	s_mov_b32 s29, 0
.LBB46_637:
	s_delay_alu instid0(SALU_CYCLE_1)
	s_and_not1_b32 vcc_lo, exec_lo, s29
	s_cbranch_vccnz .LBB46_639
; %bb.638:
	s_wait_xcnt 0x0
	v_mov_b32_e32 v2, 0
	global_store_b32 v[0:1], v2, off
.LBB46_639:
	s_mov_b32 s29, 0
.LBB46_640:
	s_delay_alu instid0(SALU_CYCLE_1)
	s_and_not1_b32 vcc_lo, exec_lo, s29
	s_cbranch_vccnz .LBB46_649
; %bb.641:
	s_cmp_lt_i32 s28, 6
	s_mov_b32 s29, -1
	s_cbranch_scc1 .LBB46_647
; %bb.642:
	s_cmp_gt_i32 s28, 6
	s_cbranch_scc0 .LBB46_644
; %bb.643:
	s_wait_xcnt 0x0
	v_mov_b64_e32 v[2:3], 0
	s_mov_b32 s29, 0
	global_store_b64 v[0:1], v[2:3], off
.LBB46_644:
	s_and_not1_b32 vcc_lo, exec_lo, s29
	s_cbranch_vccnz .LBB46_646
; %bb.645:
	s_wait_xcnt 0x0
	v_mov_b32_e32 v2, 0
	global_store_b32 v[0:1], v2, off
.LBB46_646:
	s_mov_b32 s29, 0
.LBB46_647:
	s_delay_alu instid0(SALU_CYCLE_1)
	s_and_not1_b32 vcc_lo, exec_lo, s29
	s_cbranch_vccnz .LBB46_649
; %bb.648:
	s_wait_xcnt 0x0
	v_mov_b32_e32 v2, 0
	global_store_b16 v[0:1], v2, off
.LBB46_649:
	s_mov_b32 s29, 0
.LBB46_650:
	s_delay_alu instid0(SALU_CYCLE_1)
	s_and_not1_b32 vcc_lo, exec_lo, s29
	s_cbranch_vccnz .LBB46_666
; %bb.651:
	s_cmp_lt_i32 s28, 2
	s_mov_b32 s29, -1
	s_cbranch_scc1 .LBB46_661
; %bb.652:
	s_cmp_lt_i32 s28, 3
	s_cbranch_scc1 .LBB46_658
; %bb.653:
	s_cmp_gt_i32 s28, 3
	s_cbranch_scc0 .LBB46_655
; %bb.654:
	s_wait_xcnt 0x0
	v_mov_b64_e32 v[2:3], 0
	s_mov_b32 s29, 0
	global_store_b64 v[0:1], v[2:3], off
.LBB46_655:
	s_and_not1_b32 vcc_lo, exec_lo, s29
	s_cbranch_vccnz .LBB46_657
; %bb.656:
	s_wait_xcnt 0x0
	v_mov_b32_e32 v2, 0
	global_store_b32 v[0:1], v2, off
.LBB46_657:
	s_mov_b32 s29, 0
.LBB46_658:
	s_delay_alu instid0(SALU_CYCLE_1)
	s_and_not1_b32 vcc_lo, exec_lo, s29
	s_cbranch_vccnz .LBB46_660
; %bb.659:
	s_wait_xcnt 0x0
	v_mov_b32_e32 v2, 0
	global_store_b16 v[0:1], v2, off
.LBB46_660:
	s_mov_b32 s29, 0
.LBB46_661:
	s_delay_alu instid0(SALU_CYCLE_1)
	s_and_not1_b32 vcc_lo, exec_lo, s29
	s_cbranch_vccnz .LBB46_666
; %bb.662:
	s_cmp_gt_i32 s28, 0
	s_mov_b32 s28, -1
	s_cbranch_scc0 .LBB46_664
; %bb.663:
	s_wait_xcnt 0x0
	v_mov_b32_e32 v2, 0
	s_mov_b32 s28, 0
	global_store_b8 v[0:1], v2, off
.LBB46_664:
	s_and_not1_b32 vcc_lo, exec_lo, s28
	s_cbranch_vccnz .LBB46_666
; %bb.665:
	s_wait_xcnt 0x0
	v_mov_b32_e32 v2, 0
	global_store_b8 v[0:1], v2, off
.LBB46_666:
	s_mov_b32 s30, -1
.LBB46_667:
	s_delay_alu instid0(SALU_CYCLE_1)
	s_and_not1_b32 vcc_lo, exec_lo, s30
	s_cbranch_vccnz .LBB46_669
; %bb.668:
	v_add_nc_u32_e32 v6, 0x80, v6
	s_mov_b32 s28, -1
	s_branch .LBB46_670
.LBB46_669:
	s_mov_b32 s28, 0
                                        ; implicit-def: $vgpr6
.LBB46_670:
	s_and_not1_b32 s29, s22, exec_lo
	s_and_b32 s27, s27, exec_lo
	s_and_b32 s28, s28, exec_lo
	s_or_b32 s27, s29, s27
	s_xor_b32 s29, exec_lo, -1
.LBB46_671:
	s_wait_xcnt 0x0
	s_or_b32 exec_lo, exec_lo, s0
.LBB46_672:
	s_delay_alu instid0(SALU_CYCLE_1)
	s_and_not1_b32 s0, s22, exec_lo
	s_and_b32 s27, s27, exec_lo
	s_and_b32 s29, s29, exec_lo
	s_or_b32 s27, s0, s27
	s_and_not1_b32 s0, s23, exec_lo
	s_and_not1_b32 s30, s21, exec_lo
	s_and_b32 s31, s26, exec_lo
	s_or_b32 s26, s0, s29
	s_or_b32 s0, s30, s31
	s_or_not1_b32 s31, s28, exec_lo
.LBB46_673:
	s_wait_xcnt 0x0
	s_or_b32 exec_lo, exec_lo, s25
	s_mov_b32 s28, 0
	s_mov_b32 s29, 0
	;; [unrolled: 1-line block ×3, first 2 shown]
                                        ; implicit-def: $vgpr0_vgpr1
                                        ; implicit-def: $vgpr2_vgpr3
	s_and_saveexec_b32 s25, s31
	s_cbranch_execz .LBB46_750
; %bb.674:
	v_cmp_gt_i32_e32 vcc_lo, s16, v6
	s_mov_b32 s33, s0
	s_mov_b32 s31, 0
	;; [unrolled: 1-line block ×3, first 2 shown]
                                        ; implicit-def: $vgpr0_vgpr1
                                        ; implicit-def: $vgpr2_vgpr3
	s_and_saveexec_b32 s16, vcc_lo
	s_cbranch_execz .LBB46_749
; %bb.675:
	v_mul_lo_u32 v0, v6, s3
	s_and_b32 s28, 0xffff, s13
	s_delay_alu instid0(SALU_CYCLE_1) | instskip(NEXT) | instid1(VALU_DEP_1)
	s_cmp_lt_i32 s28, 11
	v_ashrrev_i32_e32 v1, 31, v0
	s_delay_alu instid0(VALU_DEP_1)
	v_add_nc_u64_e32 v[0:1], s[6:7], v[0:1]
	s_cbranch_scc1 .LBB46_682
; %bb.676:
	s_cmp_gt_i32 s28, 25
	s_cbranch_scc0 .LBB46_683
; %bb.677:
	s_cmp_gt_i32 s28, 28
	s_cbranch_scc0 .LBB46_684
	;; [unrolled: 3-line block ×4, first 2 shown]
; %bb.680:
	s_cmp_eq_u32 s28, 46
	s_mov_b32 s33, 0
	s_cbranch_scc0 .LBB46_687
; %bb.681:
	s_wait_loadcnt 0x0
	global_load_b32 v2, v[0:1], off
	s_mov_b32 s31, -1
	s_wait_loadcnt 0x0
	v_lshlrev_b32_e32 v2, 16, v2
	s_delay_alu instid0(VALU_DEP_1) | instskip(NEXT) | instid1(VALU_DEP_1)
	v_trunc_f32_e32 v2, v2
	v_mul_f32_e64 v3, 0x2f800000, |v2|
	s_delay_alu instid0(VALU_DEP_1) | instskip(NEXT) | instid1(VALU_DEP_1)
	v_floor_f32_e32 v3, v3
	v_fma_f32 v4, 0xcf800000, v3, |v2|
	v_ashrrev_i32_e32 v2, 31, v2
	v_cvt_u32_f32_e32 v5, v3
	s_delay_alu instid0(VALU_DEP_3) | instskip(NEXT) | instid1(VALU_DEP_2)
	v_cvt_u32_f32_e32 v4, v4
	v_dual_mov_b32 v3, v2 :: v_dual_bitop2_b32 v5, v5, v2 bitop3:0x14
	s_delay_alu instid0(VALU_DEP_2) | instskip(NEXT) | instid1(VALU_DEP_1)
	v_xor_b32_e32 v4, v4, v2
	v_sub_nc_u64_e32 v[2:3], v[4:5], v[2:3]
	s_branch .LBB46_689
.LBB46_682:
	s_mov_b32 s28, -1
	s_mov_b32 s29, s0
                                        ; implicit-def: $vgpr2_vgpr3
	s_branch .LBB46_748
.LBB46_683:
	s_mov_b32 s33, -1
	s_mov_b32 s29, s0
                                        ; implicit-def: $vgpr2_vgpr3
	s_branch .LBB46_716
.LBB46_684:
	s_mov_b32 s33, -1
	s_mov_b32 s29, s0
                                        ; implicit-def: $vgpr2_vgpr3
	s_branch .LBB46_699
.LBB46_685:
	s_mov_b32 s33, -1
	s_mov_b32 s29, s0
                                        ; implicit-def: $vgpr2_vgpr3
	s_branch .LBB46_694
.LBB46_686:
	s_mov_b32 s33, -1
	s_mov_b32 s29, s0
	s_branch .LBB46_688
.LBB46_687:
	s_mov_b32 s29, -1
.LBB46_688:
                                        ; implicit-def: $vgpr2_vgpr3
.LBB46_689:
	s_and_b32 vcc_lo, exec_lo, s33
	s_cbranch_vccz .LBB46_693
; %bb.690:
	s_cmp_eq_u32 s28, 44
	s_cbranch_scc0 .LBB46_692
; %bb.691:
	global_load_u8 v7, v[0:1], off
	s_mov_b32 s29, 0
	s_mov_b32 s31, -1
	s_wait_loadcnt 0x0
	v_lshlrev_b32_e32 v2, 23, v7
	v_cmp_ne_u32_e32 vcc_lo, 0, v7
	s_delay_alu instid0(VALU_DEP_2) | instskip(NEXT) | instid1(VALU_DEP_1)
	v_trunc_f32_e32 v2, v2
	v_mul_f32_e64 v3, 0x2f800000, |v2|
	s_delay_alu instid0(VALU_DEP_1) | instskip(NEXT) | instid1(VALU_DEP_1)
	v_floor_f32_e32 v3, v3
	v_fma_f32 v4, 0xcf800000, v3, |v2|
	v_ashrrev_i32_e32 v2, 31, v2
	v_cvt_u32_f32_e32 v5, v3
	s_delay_alu instid0(VALU_DEP_3) | instskip(NEXT) | instid1(VALU_DEP_2)
	v_cvt_u32_f32_e32 v4, v4
	v_dual_mov_b32 v3, v2 :: v_dual_bitop2_b32 v5, v5, v2 bitop3:0x14
	s_delay_alu instid0(VALU_DEP_2) | instskip(NEXT) | instid1(VALU_DEP_1)
	v_xor_b32_e32 v4, v4, v2
	v_sub_nc_u64_e32 v[2:3], v[4:5], v[2:3]
	s_delay_alu instid0(VALU_DEP_1)
	v_dual_cndmask_b32 v3, 0, v3 :: v_dual_cndmask_b32 v2, 0, v2
	s_branch .LBB46_693
.LBB46_692:
	s_mov_b32 s29, -1
                                        ; implicit-def: $vgpr2_vgpr3
.LBB46_693:
	s_mov_b32 s33, 0
.LBB46_694:
	s_delay_alu instid0(SALU_CYCLE_1)
	s_and_b32 vcc_lo, exec_lo, s33
	s_cbranch_vccz .LBB46_698
; %bb.695:
	s_cmp_eq_u32 s28, 29
	s_cbranch_scc0 .LBB46_697
; %bb.696:
	s_wait_loadcnt 0x0
	global_load_b64 v[2:3], v[0:1], off
	s_mov_b32 s29, 0
	s_mov_b32 s31, -1
	s_branch .LBB46_698
.LBB46_697:
	s_mov_b32 s29, -1
                                        ; implicit-def: $vgpr2_vgpr3
.LBB46_698:
	s_mov_b32 s33, 0
.LBB46_699:
	s_delay_alu instid0(SALU_CYCLE_1)
	s_and_b32 vcc_lo, exec_lo, s33
	s_cbranch_vccz .LBB46_715
; %bb.700:
	s_cmp_lt_i32 s28, 27
	s_cbranch_scc1 .LBB46_703
; %bb.701:
	s_cmp_gt_i32 s28, 27
	s_cbranch_scc0 .LBB46_704
; %bb.702:
	s_wait_loadcnt 0x0
	global_load_b32 v2, v[0:1], off
	v_mov_b32_e32 v3, 0
	s_mov_b32 s31, 0
	s_branch .LBB46_705
.LBB46_703:
	s_mov_b32 s31, -1
                                        ; implicit-def: $vgpr2_vgpr3
	s_branch .LBB46_708
.LBB46_704:
	s_mov_b32 s31, -1
                                        ; implicit-def: $vgpr2_vgpr3
.LBB46_705:
	s_delay_alu instid0(SALU_CYCLE_1)
	s_and_not1_b32 vcc_lo, exec_lo, s31
	s_cbranch_vccnz .LBB46_707
; %bb.706:
	s_wait_loadcnt 0x0
	global_load_u16 v2, v[0:1], off
	s_mov_b32 s31, 0
	s_delay_alu instid0(SALU_CYCLE_1)
	v_mov_b32_e32 v3, s31
	s_wait_loadcnt 0x0
	v_and_b32_e32 v2, 0xffff, v2
.LBB46_707:
	s_mov_b32 s31, 0
.LBB46_708:
	s_delay_alu instid0(SALU_CYCLE_1)
	s_and_not1_b32 vcc_lo, exec_lo, s31
	s_cbranch_vccnz .LBB46_714
; %bb.709:
	global_load_u8 v4, v[0:1], off
	s_mov_b32 s33, 0
	s_mov_b32 s31, exec_lo
	s_wait_loadcnt 0x0
	v_cmpx_lt_i16_e32 0x7f, v4
	s_xor_b32 s31, exec_lo, s31
	s_cbranch_execz .LBB46_726
; %bb.710:
	v_cmp_ne_u16_e32 vcc_lo, 0x80, v4
	s_and_b32 s33, vcc_lo, exec_lo
	s_and_not1_saveexec_b32 s31, s31
	s_cbranch_execnz .LBB46_727
.LBB46_711:
	s_or_b32 exec_lo, exec_lo, s31
	v_mov_b64_e32 v[2:3], 0
	s_and_saveexec_b32 s31, s33
	s_cbranch_execz .LBB46_713
.LBB46_712:
	v_and_b32_e32 v2, 0xffff, v4
	s_delay_alu instid0(VALU_DEP_1) | instskip(SKIP_1) | instid1(VALU_DEP_2)
	v_and_b32_e32 v3, 7, v2
	v_bfe_u32 v8, v2, 3, 4
	v_clz_i32_u32_e32 v5, v3
	s_delay_alu instid0(VALU_DEP_2) | instskip(NEXT) | instid1(VALU_DEP_2)
	v_cmp_eq_u32_e32 vcc_lo, 0, v8
	v_min_u32_e32 v5, 32, v5
	s_delay_alu instid0(VALU_DEP_1) | instskip(NEXT) | instid1(VALU_DEP_1)
	v_subrev_nc_u32_e32 v7, 28, v5
	v_dual_lshlrev_b32 v2, v7, v2 :: v_dual_sub_nc_u32 v5, 29, v5
	s_delay_alu instid0(VALU_DEP_1) | instskip(NEXT) | instid1(VALU_DEP_1)
	v_dual_lshlrev_b32 v4, 24, v4 :: v_dual_bitop2_b32 v2, 7, v2 bitop3:0x40
	v_dual_cndmask_b32 v5, v8, v5 :: v_dual_cndmask_b32 v2, v3, v2
	s_delay_alu instid0(VALU_DEP_2) | instskip(NEXT) | instid1(VALU_DEP_2)
	v_and_b32_e32 v3, 0x80000000, v4
	v_lshl_add_u32 v4, v5, 23, 0x3b800000
	s_delay_alu instid0(VALU_DEP_3) | instskip(NEXT) | instid1(VALU_DEP_1)
	v_lshlrev_b32_e32 v2, 20, v2
	v_or3_b32 v2, v3, v4, v2
	s_delay_alu instid0(VALU_DEP_1) | instskip(NEXT) | instid1(VALU_DEP_1)
	v_trunc_f32_e32 v2, v2
	v_mul_f32_e64 v3, 0x2f800000, |v2|
	s_delay_alu instid0(VALU_DEP_1) | instskip(NEXT) | instid1(VALU_DEP_1)
	v_floor_f32_e32 v3, v3
	v_fma_f32 v4, 0xcf800000, v3, |v2|
	v_ashrrev_i32_e32 v2, 31, v2
	v_cvt_u32_f32_e32 v5, v3
	s_delay_alu instid0(VALU_DEP_3) | instskip(NEXT) | instid1(VALU_DEP_2)
	v_cvt_u32_f32_e32 v4, v4
	v_dual_mov_b32 v3, v2 :: v_dual_bitop2_b32 v5, v5, v2 bitop3:0x14
	s_delay_alu instid0(VALU_DEP_2) | instskip(NEXT) | instid1(VALU_DEP_1)
	v_xor_b32_e32 v4, v4, v2
	v_sub_nc_u64_e32 v[2:3], v[4:5], v[2:3]
.LBB46_713:
	s_or_b32 exec_lo, exec_lo, s31
.LBB46_714:
	s_mov_b32 s31, -1
.LBB46_715:
	s_mov_b32 s33, 0
.LBB46_716:
	s_delay_alu instid0(SALU_CYCLE_1)
	s_and_b32 vcc_lo, exec_lo, s33
	s_cbranch_vccz .LBB46_747
; %bb.717:
	s_cmp_gt_i32 s28, 22
	s_cbranch_scc0 .LBB46_725
; %bb.718:
	s_cmp_lt_i32 s28, 24
	s_cbranch_scc1 .LBB46_728
; %bb.719:
	s_cmp_gt_i32 s28, 24
	s_cbranch_scc0 .LBB46_729
; %bb.720:
	global_load_u8 v4, v[0:1], off
	s_mov_b32 s31, 0
	s_mov_b32 s30, exec_lo
	s_wait_loadcnt 0x0
	v_cmpx_lt_i16_e32 0x7f, v4
	s_xor_b32 s30, exec_lo, s30
	s_cbranch_execz .LBB46_741
; %bb.721:
	v_cmp_ne_u16_e32 vcc_lo, 0x80, v4
	s_and_b32 s31, vcc_lo, exec_lo
	s_and_not1_saveexec_b32 s30, s30
	s_cbranch_execnz .LBB46_742
.LBB46_722:
	s_or_b32 exec_lo, exec_lo, s30
	v_mov_b64_e32 v[2:3], 0
	s_and_saveexec_b32 s30, s31
	s_cbranch_execz .LBB46_724
.LBB46_723:
	v_and_b32_e32 v2, 0xffff, v4
	s_delay_alu instid0(VALU_DEP_1) | instskip(SKIP_1) | instid1(VALU_DEP_2)
	v_and_b32_e32 v3, 3, v2
	v_bfe_u32 v8, v2, 2, 5
	v_clz_i32_u32_e32 v5, v3
	s_delay_alu instid0(VALU_DEP_2) | instskip(NEXT) | instid1(VALU_DEP_2)
	v_cmp_eq_u32_e32 vcc_lo, 0, v8
	v_min_u32_e32 v5, 32, v5
	s_delay_alu instid0(VALU_DEP_1) | instskip(NEXT) | instid1(VALU_DEP_1)
	v_subrev_nc_u32_e32 v7, 29, v5
	v_dual_lshlrev_b32 v2, v7, v2 :: v_dual_sub_nc_u32 v5, 30, v5
	s_delay_alu instid0(VALU_DEP_1) | instskip(NEXT) | instid1(VALU_DEP_1)
	v_dual_lshlrev_b32 v4, 24, v4 :: v_dual_bitop2_b32 v2, 3, v2 bitop3:0x40
	v_dual_cndmask_b32 v5, v8, v5 :: v_dual_cndmask_b32 v2, v3, v2
	s_delay_alu instid0(VALU_DEP_2) | instskip(NEXT) | instid1(VALU_DEP_2)
	v_and_b32_e32 v3, 0x80000000, v4
	v_lshl_add_u32 v4, v5, 23, 0x37800000
	s_delay_alu instid0(VALU_DEP_3) | instskip(NEXT) | instid1(VALU_DEP_1)
	v_lshlrev_b32_e32 v2, 21, v2
	v_or3_b32 v2, v3, v4, v2
	s_delay_alu instid0(VALU_DEP_1) | instskip(NEXT) | instid1(VALU_DEP_1)
	v_trunc_f32_e32 v2, v2
	v_mul_f32_e64 v3, 0x2f800000, |v2|
	s_delay_alu instid0(VALU_DEP_1) | instskip(NEXT) | instid1(VALU_DEP_1)
	v_floor_f32_e32 v3, v3
	v_fma_f32 v4, 0xcf800000, v3, |v2|
	v_ashrrev_i32_e32 v2, 31, v2
	v_cvt_u32_f32_e32 v5, v3
	s_delay_alu instid0(VALU_DEP_3) | instskip(NEXT) | instid1(VALU_DEP_2)
	v_cvt_u32_f32_e32 v4, v4
	v_dual_mov_b32 v3, v2 :: v_dual_bitop2_b32 v5, v5, v2 bitop3:0x14
	s_delay_alu instid0(VALU_DEP_2) | instskip(NEXT) | instid1(VALU_DEP_1)
	v_xor_b32_e32 v4, v4, v2
	v_sub_nc_u64_e32 v[2:3], v[4:5], v[2:3]
.LBB46_724:
	s_or_b32 exec_lo, exec_lo, s30
	s_mov_b32 s30, 0
	s_branch .LBB46_730
.LBB46_725:
	s_mov_b32 s30, -1
                                        ; implicit-def: $vgpr2_vgpr3
	s_branch .LBB46_736
.LBB46_726:
	s_and_not1_saveexec_b32 s31, s31
	s_cbranch_execz .LBB46_711
.LBB46_727:
	v_cmp_ne_u16_e32 vcc_lo, 0, v4
	s_and_not1_b32 s33, s33, exec_lo
	s_and_b32 s34, vcc_lo, exec_lo
	s_delay_alu instid0(SALU_CYCLE_1)
	s_or_b32 s33, s33, s34
	s_or_b32 exec_lo, exec_lo, s31
	v_mov_b64_e32 v[2:3], 0
	s_and_saveexec_b32 s31, s33
	s_cbranch_execnz .LBB46_712
	s_branch .LBB46_713
.LBB46_728:
	s_mov_b32 s30, -1
                                        ; implicit-def: $vgpr2_vgpr3
	s_branch .LBB46_733
.LBB46_729:
	s_mov_b32 s30, -1
                                        ; implicit-def: $vgpr2_vgpr3
.LBB46_730:
	s_delay_alu instid0(SALU_CYCLE_1)
	s_and_b32 vcc_lo, exec_lo, s30
	s_cbranch_vccz .LBB46_732
; %bb.731:
	s_wait_loadcnt 0x0
	global_load_u8 v2, v[0:1], off
	s_wait_loadcnt 0x0
	v_lshlrev_b32_e32 v2, 24, v2
	s_delay_alu instid0(VALU_DEP_1) | instskip(NEXT) | instid1(VALU_DEP_1)
	v_and_b32_e32 v3, 0x7f000000, v2
	v_clz_i32_u32_e32 v4, v3
	v_add_nc_u32_e32 v7, 0x1000000, v3
	v_cmp_ne_u32_e32 vcc_lo, 0, v3
	s_delay_alu instid0(VALU_DEP_3) | instskip(NEXT) | instid1(VALU_DEP_1)
	v_min_u32_e32 v4, 32, v4
	v_sub_nc_u32_e64 v4, v4, 4 clamp
	s_delay_alu instid0(VALU_DEP_1) | instskip(NEXT) | instid1(VALU_DEP_1)
	v_dual_lshlrev_b32 v5, v4, v3 :: v_dual_lshlrev_b32 v4, 23, v4
	v_lshrrev_b32_e32 v5, 4, v5
	s_delay_alu instid0(VALU_DEP_1) | instskip(NEXT) | instid1(VALU_DEP_1)
	v_dual_sub_nc_u32 v4, v5, v4 :: v_dual_ashrrev_i32 v5, 8, v7
	v_add_nc_u32_e32 v4, 0x3c000000, v4
	s_delay_alu instid0(VALU_DEP_1) | instskip(NEXT) | instid1(VALU_DEP_1)
	v_and_or_b32 v4, 0x7f800000, v5, v4
	v_cndmask_b32_e32 v3, 0, v4, vcc_lo
	s_delay_alu instid0(VALU_DEP_1) | instskip(NEXT) | instid1(VALU_DEP_1)
	v_and_or_b32 v2, 0x80000000, v2, v3
	v_trunc_f32_e32 v2, v2
	s_delay_alu instid0(VALU_DEP_1) | instskip(NEXT) | instid1(VALU_DEP_1)
	v_mul_f32_e64 v3, 0x2f800000, |v2|
	v_floor_f32_e32 v3, v3
	s_delay_alu instid0(VALU_DEP_1) | instskip(SKIP_2) | instid1(VALU_DEP_3)
	v_fma_f32 v4, 0xcf800000, v3, |v2|
	v_ashrrev_i32_e32 v2, 31, v2
	v_cvt_u32_f32_e32 v5, v3
	v_cvt_u32_f32_e32 v4, v4
	s_delay_alu instid0(VALU_DEP_2) | instskip(NEXT) | instid1(VALU_DEP_2)
	v_dual_mov_b32 v3, v2 :: v_dual_bitop2_b32 v5, v5, v2 bitop3:0x14
	v_xor_b32_e32 v4, v4, v2
	s_delay_alu instid0(VALU_DEP_1)
	v_sub_nc_u64_e32 v[2:3], v[4:5], v[2:3]
.LBB46_732:
	s_mov_b32 s30, 0
.LBB46_733:
	s_delay_alu instid0(SALU_CYCLE_1)
	s_and_not1_b32 vcc_lo, exec_lo, s30
	s_cbranch_vccnz .LBB46_735
; %bb.734:
	s_wait_loadcnt 0x0
	global_load_u8 v2, v[0:1], off
	s_wait_loadcnt 0x0
	v_lshlrev_b32_e32 v3, 25, v2
	v_lshlrev_b16 v2, 8, v2
	s_delay_alu instid0(VALU_DEP_1) | instskip(SKIP_1) | instid1(VALU_DEP_2)
	v_and_or_b32 v5, 0x7f00, v2, 0.5
	v_bfe_i32 v2, v2, 0, 16
	v_dual_add_f32 v5, -0.5, v5 :: v_dual_lshrrev_b32 v4, 4, v3
	v_cmp_gt_u32_e32 vcc_lo, 0x8000000, v3
	s_delay_alu instid0(VALU_DEP_2) | instskip(NEXT) | instid1(VALU_DEP_1)
	v_or_b32_e32 v4, 0x70000000, v4
	v_mul_f32_e32 v4, 0x7800000, v4
	s_delay_alu instid0(VALU_DEP_1) | instskip(NEXT) | instid1(VALU_DEP_1)
	v_cndmask_b32_e32 v3, v4, v5, vcc_lo
	v_and_or_b32 v2, 0x80000000, v2, v3
	s_delay_alu instid0(VALU_DEP_1) | instskip(NEXT) | instid1(VALU_DEP_1)
	v_trunc_f32_e32 v2, v2
	v_mul_f32_e64 v3, 0x2f800000, |v2|
	s_delay_alu instid0(VALU_DEP_1) | instskip(NEXT) | instid1(VALU_DEP_1)
	v_floor_f32_e32 v3, v3
	v_fma_f32 v4, 0xcf800000, v3, |v2|
	v_ashrrev_i32_e32 v2, 31, v2
	v_cvt_u32_f32_e32 v5, v3
	s_delay_alu instid0(VALU_DEP_3) | instskip(NEXT) | instid1(VALU_DEP_2)
	v_cvt_u32_f32_e32 v4, v4
	v_dual_mov_b32 v3, v2 :: v_dual_bitop2_b32 v5, v5, v2 bitop3:0x14
	s_delay_alu instid0(VALU_DEP_2) | instskip(NEXT) | instid1(VALU_DEP_1)
	v_xor_b32_e32 v4, v4, v2
	v_sub_nc_u64_e32 v[2:3], v[4:5], v[2:3]
.LBB46_735:
	s_mov_b32 s30, 0
	s_mov_b32 s31, -1
.LBB46_736:
	s_and_not1_b32 vcc_lo, exec_lo, s30
	s_mov_b32 s30, 0
	s_cbranch_vccnz .LBB46_747
; %bb.737:
	s_cmp_gt_i32 s28, 14
	s_cbranch_scc0 .LBB46_740
; %bb.738:
	s_cmp_eq_u32 s28, 15
	s_cbranch_scc0 .LBB46_743
; %bb.739:
	s_wait_loadcnt 0x0
	global_load_u16 v2, v[0:1], off
	s_mov_b32 s29, 0
	s_mov_b32 s31, -1
	s_wait_loadcnt 0x0
	v_lshlrev_b32_e32 v2, 16, v2
	s_delay_alu instid0(VALU_DEP_1) | instskip(NEXT) | instid1(VALU_DEP_1)
	v_trunc_f32_e32 v2, v2
	v_mul_f32_e64 v3, 0x2f800000, |v2|
	s_delay_alu instid0(VALU_DEP_1) | instskip(NEXT) | instid1(VALU_DEP_1)
	v_floor_f32_e32 v3, v3
	v_fma_f32 v4, 0xcf800000, v3, |v2|
	v_ashrrev_i32_e32 v2, 31, v2
	v_cvt_u32_f32_e32 v5, v3
	s_delay_alu instid0(VALU_DEP_3) | instskip(NEXT) | instid1(VALU_DEP_2)
	v_cvt_u32_f32_e32 v4, v4
	v_dual_mov_b32 v3, v2 :: v_dual_bitop2_b32 v5, v5, v2 bitop3:0x14
	s_delay_alu instid0(VALU_DEP_2) | instskip(NEXT) | instid1(VALU_DEP_1)
	v_xor_b32_e32 v4, v4, v2
	v_sub_nc_u64_e32 v[2:3], v[4:5], v[2:3]
	s_branch .LBB46_745
.LBB46_740:
	s_mov_b32 s30, -1
	s_branch .LBB46_744
.LBB46_741:
	s_and_not1_saveexec_b32 s30, s30
	s_cbranch_execz .LBB46_722
.LBB46_742:
	v_cmp_ne_u16_e32 vcc_lo, 0, v4
	s_and_not1_b32 s31, s31, exec_lo
	s_and_b32 s33, vcc_lo, exec_lo
	s_delay_alu instid0(SALU_CYCLE_1)
	s_or_b32 s31, s31, s33
	s_or_b32 exec_lo, exec_lo, s30
	v_mov_b64_e32 v[2:3], 0
	s_and_saveexec_b32 s30, s31
	s_cbranch_execnz .LBB46_723
	s_branch .LBB46_724
.LBB46_743:
	s_mov_b32 s29, -1
.LBB46_744:
                                        ; implicit-def: $vgpr2_vgpr3
.LBB46_745:
	s_and_b32 vcc_lo, exec_lo, s30
	s_mov_b32 s30, 0
	s_cbranch_vccz .LBB46_747
; %bb.746:
	s_cmp_lg_u32 s28, 11
	s_mov_b32 s30, -1
	s_cselect_b32 s28, -1, 0
	s_and_not1_b32 s29, s29, exec_lo
	s_and_b32 s28, s28, exec_lo
	s_delay_alu instid0(SALU_CYCLE_1)
	s_or_b32 s29, s29, s28
.LBB46_747:
	s_mov_b32 s28, 0
.LBB46_748:
	s_and_not1_b32 s33, s0, exec_lo
	s_and_b32 s29, s29, exec_lo
	s_and_b32 s34, s31, exec_lo
	;; [unrolled: 1-line block ×4, first 2 shown]
	s_or_b32 s33, s33, s29
.LBB46_749:
	s_wait_xcnt 0x0
	s_or_b32 exec_lo, exec_lo, s16
	s_delay_alu instid0(SALU_CYCLE_1)
	s_and_not1_b32 s0, s0, exec_lo
	s_and_b32 s16, s33, exec_lo
	s_and_b32 s30, s34, exec_lo
	;; [unrolled: 1-line block ×4, first 2 shown]
	s_or_b32 s0, s0, s16
.LBB46_750:
	s_or_b32 exec_lo, exec_lo, s25
	s_delay_alu instid0(SALU_CYCLE_1)
	s_and_not1_b32 s16, s22, exec_lo
	s_and_b32 s22, s27, exec_lo
	s_and_not1_b32 s23, s23, exec_lo
	s_and_b32 s25, s26, exec_lo
	s_or_b32 s22, s16, s22
	s_and_not1_b32 s16, s21, exec_lo
	s_and_b32 s0, s0, exec_lo
	s_or_b32 s23, s23, s25
	s_and_b32 s27, s30, exec_lo
	s_and_b32 s26, s29, exec_lo
	;; [unrolled: 1-line block ×3, first 2 shown]
	s_or_b32 s21, s16, s0
.LBB46_751:
	s_or_b32 exec_lo, exec_lo, s24
	s_delay_alu instid0(SALU_CYCLE_1)
	s_and_not1_b32 s0, s17, exec_lo
	s_and_b32 s16, s22, exec_lo
	s_and_not1_b32 s18, s18, exec_lo
	s_and_b32 s22, s23, exec_lo
	s_or_b32 s17, s0, s16
	s_and_not1_b32 s16, s19, exec_lo
	s_and_b32 s19, s21, exec_lo
	s_or_b32 s18, s18, s22
	s_and_b32 s0, s27, exec_lo
	s_and_b32 s22, s26, exec_lo
	;; [unrolled: 1-line block ×3, first 2 shown]
	s_or_b32 s19, s16, s19
	s_or_b32 exec_lo, exec_lo, s20
	s_mov_b32 s16, 0
	s_and_saveexec_b32 s20, s19
	s_cbranch_execz .LBB46_231
.LBB46_752:
	s_mov_b32 s16, exec_lo
	s_and_not1_b32 s21, s21, exec_lo
	s_trap 2
	s_or_b32 exec_lo, exec_lo, s20
	s_and_saveexec_b32 s19, s21
	s_delay_alu instid0(SALU_CYCLE_1)
	s_xor_b32 s19, exec_lo, s19
	s_cbranch_execnz .LBB46_232
.LBB46_753:
	s_or_b32 exec_lo, exec_lo, s19
	s_and_saveexec_b32 s19, s22
	s_cbranch_execz .LBB46_799
.LBB46_754:
	s_sext_i32_i16 s20, s13
	s_delay_alu instid0(SALU_CYCLE_1)
	s_cmp_lt_i32 s20, 5
	s_cbranch_scc1 .LBB46_759
; %bb.755:
	s_cmp_lt_i32 s20, 8
	s_cbranch_scc1 .LBB46_760
; %bb.756:
	;; [unrolled: 3-line block ×3, first 2 shown]
	s_cmp_gt_i32 s20, 9
	s_cbranch_scc0 .LBB46_762
; %bb.758:
	s_wait_loadcnt 0x0
	global_load_b64 v[2:3], v[0:1], off
	s_mov_b32 s20, 0
	s_wait_loadcnt 0x0
	v_trunc_f64_e32 v[2:3], v[2:3]
	s_delay_alu instid0(VALU_DEP_1) | instskip(NEXT) | instid1(VALU_DEP_1)
	v_ldexp_f64 v[4:5], v[2:3], 0xffffffe0
	v_floor_f64_e32 v[4:5], v[4:5]
	s_delay_alu instid0(VALU_DEP_1) | instskip(SKIP_1) | instid1(VALU_DEP_2)
	v_fmamk_f64 v[8:9], v[4:5], 0xc1f00000, v[2:3]
	v_cvt_i32_f64_e32 v3, v[4:5]
	v_cvt_u32_f64_e32 v2, v[8:9]
	s_branch .LBB46_763
.LBB46_759:
                                        ; implicit-def: $vgpr2_vgpr3
	s_branch .LBB46_780
.LBB46_760:
                                        ; implicit-def: $vgpr2_vgpr3
	s_branch .LBB46_769
.LBB46_761:
	s_mov_b32 s20, -1
                                        ; implicit-def: $vgpr2_vgpr3
	s_branch .LBB46_766
.LBB46_762:
	s_mov_b32 s20, -1
                                        ; implicit-def: $vgpr2_vgpr3
.LBB46_763:
	s_delay_alu instid0(SALU_CYCLE_1)
	s_and_not1_b32 vcc_lo, exec_lo, s20
	s_cbranch_vccnz .LBB46_765
; %bb.764:
	s_wait_loadcnt 0x0
	global_load_b32 v2, v[0:1], off
	s_wait_loadcnt 0x0
	v_trunc_f32_e32 v2, v2
	s_delay_alu instid0(VALU_DEP_1) | instskip(NEXT) | instid1(VALU_DEP_1)
	v_mul_f32_e64 v3, 0x2f800000, |v2|
	v_floor_f32_e32 v3, v3
	s_delay_alu instid0(VALU_DEP_1) | instskip(SKIP_2) | instid1(VALU_DEP_3)
	v_fma_f32 v4, 0xcf800000, v3, |v2|
	v_ashrrev_i32_e32 v2, 31, v2
	v_cvt_u32_f32_e32 v5, v3
	v_cvt_u32_f32_e32 v4, v4
	s_delay_alu instid0(VALU_DEP_2) | instskip(NEXT) | instid1(VALU_DEP_2)
	v_dual_mov_b32 v3, v2 :: v_dual_bitop2_b32 v5, v5, v2 bitop3:0x14
	v_xor_b32_e32 v4, v4, v2
	s_delay_alu instid0(VALU_DEP_1)
	v_sub_nc_u64_e32 v[2:3], v[4:5], v[2:3]
.LBB46_765:
	s_mov_b32 s20, 0
.LBB46_766:
	s_delay_alu instid0(SALU_CYCLE_1)
	s_and_not1_b32 vcc_lo, exec_lo, s20
	s_cbranch_vccnz .LBB46_768
; %bb.767:
	s_wait_loadcnt 0x0
	global_load_b32 v2, v[0:1], off
	s_wait_loadcnt 0x0
	v_cvt_f32_f16_e32 v2, v2
	s_delay_alu instid0(VALU_DEP_1) | instskip(NEXT) | instid1(VALU_DEP_1)
	v_cvt_i32_f32_e32 v2, v2
	v_ashrrev_i32_e32 v3, 31, v2
.LBB46_768:
	s_cbranch_execnz .LBB46_779
.LBB46_769:
	s_sext_i32_i16 s20, s13
	s_delay_alu instid0(SALU_CYCLE_1)
	s_cmp_lt_i32 s20, 6
	s_cbranch_scc1 .LBB46_772
; %bb.770:
	s_cmp_gt_i32 s20, 6
	s_cbranch_scc0 .LBB46_773
; %bb.771:
	s_wait_loadcnt 0x0
	global_load_b64 v[2:3], v[0:1], off
	s_mov_b32 s20, 0
	s_wait_loadcnt 0x0
	v_trunc_f64_e32 v[2:3], v[2:3]
	s_delay_alu instid0(VALU_DEP_1) | instskip(NEXT) | instid1(VALU_DEP_1)
	v_ldexp_f64 v[4:5], v[2:3], 0xffffffe0
	v_floor_f64_e32 v[4:5], v[4:5]
	s_delay_alu instid0(VALU_DEP_1) | instskip(SKIP_1) | instid1(VALU_DEP_2)
	v_fmamk_f64 v[8:9], v[4:5], 0xc1f00000, v[2:3]
	v_cvt_i32_f64_e32 v3, v[4:5]
	v_cvt_u32_f64_e32 v2, v[8:9]
	s_branch .LBB46_774
.LBB46_772:
	s_mov_b32 s20, -1
                                        ; implicit-def: $vgpr2_vgpr3
	s_branch .LBB46_777
.LBB46_773:
	s_mov_b32 s20, -1
                                        ; implicit-def: $vgpr2_vgpr3
.LBB46_774:
	s_delay_alu instid0(SALU_CYCLE_1)
	s_and_not1_b32 vcc_lo, exec_lo, s20
	s_cbranch_vccnz .LBB46_776
; %bb.775:
	s_wait_loadcnt 0x0
	global_load_b32 v2, v[0:1], off
	s_wait_loadcnt 0x0
	v_trunc_f32_e32 v2, v2
	s_delay_alu instid0(VALU_DEP_1) | instskip(NEXT) | instid1(VALU_DEP_1)
	v_mul_f32_e64 v3, 0x2f800000, |v2|
	v_floor_f32_e32 v3, v3
	s_delay_alu instid0(VALU_DEP_1) | instskip(SKIP_2) | instid1(VALU_DEP_3)
	v_fma_f32 v4, 0xcf800000, v3, |v2|
	v_ashrrev_i32_e32 v2, 31, v2
	v_cvt_u32_f32_e32 v5, v3
	v_cvt_u32_f32_e32 v4, v4
	s_delay_alu instid0(VALU_DEP_2) | instskip(NEXT) | instid1(VALU_DEP_2)
	v_dual_mov_b32 v3, v2 :: v_dual_bitop2_b32 v5, v5, v2 bitop3:0x14
	v_xor_b32_e32 v4, v4, v2
	s_delay_alu instid0(VALU_DEP_1)
	v_sub_nc_u64_e32 v[2:3], v[4:5], v[2:3]
.LBB46_776:
	s_mov_b32 s20, 0
.LBB46_777:
	s_delay_alu instid0(SALU_CYCLE_1)
	s_and_not1_b32 vcc_lo, exec_lo, s20
	s_cbranch_vccnz .LBB46_779
; %bb.778:
	s_wait_loadcnt 0x0
	global_load_u16 v2, v[0:1], off
	s_wait_loadcnt 0x0
	v_cvt_f32_f16_e32 v2, v2
	s_delay_alu instid0(VALU_DEP_1) | instskip(NEXT) | instid1(VALU_DEP_1)
	v_cvt_i32_f32_e32 v2, v2
	v_ashrrev_i32_e32 v3, 31, v2
.LBB46_779:
	s_cbranch_execnz .LBB46_798
.LBB46_780:
	s_sext_i32_i16 s20, s13
	s_delay_alu instid0(SALU_CYCLE_1)
	s_cmp_lt_i32 s20, 2
	s_cbranch_scc1 .LBB46_784
; %bb.781:
	s_cmp_lt_i32 s20, 3
	s_cbranch_scc1 .LBB46_785
; %bb.782:
	s_cmp_gt_i32 s20, 3
	s_cbranch_scc0 .LBB46_786
; %bb.783:
	s_wait_loadcnt 0x0
	global_load_b64 v[2:3], v[0:1], off
	s_mov_b32 s20, 0
	s_branch .LBB46_787
.LBB46_784:
                                        ; implicit-def: $vgpr2_vgpr3
	s_branch .LBB46_793
.LBB46_785:
	s_mov_b32 s20, -1
                                        ; implicit-def: $vgpr2_vgpr3
	s_branch .LBB46_790
.LBB46_786:
	s_mov_b32 s20, -1
                                        ; implicit-def: $vgpr2_vgpr3
.LBB46_787:
	s_delay_alu instid0(SALU_CYCLE_1)
	s_and_not1_b32 vcc_lo, exec_lo, s20
	s_cbranch_vccnz .LBB46_789
; %bb.788:
	s_wait_loadcnt 0x0
	global_load_b32 v2, v[0:1], off
	s_wait_loadcnt 0x0
	v_ashrrev_i32_e32 v3, 31, v2
.LBB46_789:
	s_mov_b32 s20, 0
.LBB46_790:
	s_delay_alu instid0(SALU_CYCLE_1)
	s_and_not1_b32 vcc_lo, exec_lo, s20
	s_cbranch_vccnz .LBB46_792
; %bb.791:
	s_wait_loadcnt 0x0
	global_load_u16 v2, v[0:1], off
	s_wait_loadcnt 0x0
	v_bfe_i32 v2, v2, 0, 16
	s_delay_alu instid0(VALU_DEP_1)
	v_ashrrev_i32_e32 v3, 31, v2
.LBB46_792:
	s_cbranch_execnz .LBB46_798
.LBB46_793:
	s_sext_i32_i16 s20, s13
	s_delay_alu instid0(SALU_CYCLE_1)
	s_cmp_gt_i32 s20, 0
	s_mov_b32 s20, 0
	s_cbranch_scc0 .LBB46_795
; %bb.794:
	s_wait_loadcnt 0x0
	global_load_i8 v2, v[0:1], off
	s_wait_loadcnt 0x0
	v_bfe_i32 v2, v2, 0, 16
	s_delay_alu instid0(VALU_DEP_1)
	v_ashrrev_i32_e32 v3, 31, v2
	s_branch .LBB46_796
.LBB46_795:
	s_mov_b32 s20, -1
                                        ; implicit-def: $vgpr2_vgpr3
.LBB46_796:
	s_delay_alu instid0(SALU_CYCLE_1)
	s_and_not1_b32 vcc_lo, exec_lo, s20
	s_cbranch_vccnz .LBB46_798
; %bb.797:
	global_load_u8 v0, v[0:1], off
	s_mov_b32 s20, 0
	s_wait_loadcnt 0x1
	v_mov_b32_e32 v3, s20
	s_wait_loadcnt 0x0
	v_and_b32_e32 v2, 0xffff, v0
.LBB46_798:
	s_or_b32 s0, s0, exec_lo
.LBB46_799:
	s_wait_xcnt 0x0
	s_or_b32 exec_lo, exec_lo, s19
	s_mov_b32 s20, 0
	s_and_saveexec_b32 s19, s0
	s_delay_alu instid0(SALU_CYCLE_1)
	s_xor_b32 s19, exec_lo, s19
	s_cbranch_execz .LBB46_801
; %bb.800:
	s_wait_loadcnt 0x0
	s_delay_alu instid0(VALU_DEP_1) | instskip(SKIP_3) | instid1(SALU_CYCLE_1)
	v_cmp_le_i64_e32 vcc_lo, s[8:9], v[2:3]
	v_cmp_gt_i64_e64 s0, s[10:11], v[2:3]
	s_mov_b32 s20, exec_lo
	s_and_b32 s0, vcc_lo, s0
	s_and_b32 s0, s15, s0
	s_and_not1_b32 s15, s18, exec_lo
	s_xor_b32 s0, s0, -1
	s_delay_alu instid0(SALU_CYCLE_1) | instskip(NEXT) | instid1(SALU_CYCLE_1)
	s_and_b32 s0, s0, exec_lo
	s_or_b32 s18, s15, s0
.LBB46_801:
	s_or_b32 exec_lo, exec_lo, s19
	s_and_saveexec_b32 s0, s18
	s_cbranch_execnz .LBB46_814
.LBB46_802:
	s_or_b32 exec_lo, exec_lo, s0
	s_mov_b32 s18, 0
	s_mov_b32 s19, 0
                                        ; implicit-def: $sgpr0
                                        ; implicit-def: $vgpr0_vgpr1
	s_and_saveexec_b32 s15, s20
	s_cbranch_execz .LBB46_810
; %bb.803:
	v_mul_lo_u32 v0, v6, s2
	s_and_b32 s0, s12, 0xff
	s_delay_alu instid0(SALU_CYCLE_1) | instskip(NEXT) | instid1(VALU_DEP_1)
	s_cmp_lt_i32 s0, 11
	v_ashrrev_i32_e32 v1, 31, v0
	s_delay_alu instid0(VALU_DEP_1)
	v_add_nc_u64_e32 v[0:1], s[4:5], v[0:1]
	s_cbranch_scc1 .LBB46_813
; %bb.804:
	s_and_b32 s19, 0xffff, s0
	s_mov_b32 s20, -1
	s_cmp_gt_i32 s19, 25
	s_mov_b32 s18, s17
	s_cbranch_scc0 .LBB46_834
; %bb.805:
	s_cmp_gt_i32 s19, 28
	s_mov_b32 s18, s17
	s_cbranch_scc0 .LBB46_824
; %bb.806:
	;; [unrolled: 4-line block ×4, first 2 shown]
	s_cmp_eq_u32 s19, 46
	s_mov_b32 s18, -1
	s_cbranch_scc0 .LBB46_815
; %bb.809:
	s_wait_loadcnt 0x0
	v_mov_b32_e32 v2, 0
	s_mov_b32 s18, 0
	s_mov_b32 s20, 0
	global_store_b32 v[0:1], v2, off
	s_branch .LBB46_816
.LBB46_810:
	s_or_b32 exec_lo, exec_lo, s15
	s_and_saveexec_b32 s15, s17
	s_cbranch_execnz .LBB46_854
.LBB46_811:
	s_or_b32 exec_lo, exec_lo, s15
	s_and_saveexec_b32 s15, s18
	s_delay_alu instid0(SALU_CYCLE_1)
	s_xor_b32 s15, exec_lo, s15
	s_cbranch_execz .LBB46_855
.LBB46_812:
	s_wait_loadcnt 0x0
	v_mov_b32_e32 v2, 0
	global_store_b8 v[0:1], v2, off
	s_wait_xcnt 0x0
	s_or_b32 exec_lo, exec_lo, s15
	s_and_saveexec_b32 s15, s19
	s_delay_alu instid0(SALU_CYCLE_1)
	s_xor_b32 s15, exec_lo, s15
	s_cbranch_execz .LBB46_893
	s_branch .LBB46_856
.LBB46_813:
	s_mov_b32 s21, 0
	s_mov_b32 s20, -1
	s_mov_b32 s18, s17
	s_branch .LBB46_853
.LBB46_814:
	s_or_b32 s16, s16, exec_lo
	s_and_not1_b32 s20, s20, exec_lo
	s_trap 2
	s_branch .LBB46_802
.LBB46_815:
	s_mov_b32 s20, 0
.LBB46_816:
	s_delay_alu instid0(SALU_CYCLE_1)
	s_and_b32 vcc_lo, exec_lo, s20
	s_cbranch_vccz .LBB46_819
; %bb.817:
	s_cmp_eq_u32 s19, 44
	s_mov_b32 s18, -1
	s_cbranch_scc0 .LBB46_819
; %bb.818:
	s_wait_loadcnt 0x0
	v_mov_b32_e32 v2, 0
	s_mov_b32 s18, 0
	s_mov_b32 s20, 0
	global_store_b8 v[0:1], v2, off
	s_branch .LBB46_820
.LBB46_819:
	s_mov_b32 s20, 0
.LBB46_820:
	s_delay_alu instid0(SALU_CYCLE_1)
	s_and_b32 vcc_lo, exec_lo, s20
	s_cbranch_vccz .LBB46_823
; %bb.821:
	s_cmp_eq_u32 s19, 29
	s_mov_b32 s18, -1
	s_cbranch_scc0 .LBB46_823
; %bb.822:
	s_wait_loadcnt 0x0
	v_mov_b64_e32 v[2:3], 0
	s_mov_b32 s18, 0
	s_mov_b32 s20, 0
	global_store_b64 v[0:1], v[2:3], off
	s_branch .LBB46_824
.LBB46_823:
	s_mov_b32 s20, 0
.LBB46_824:
	s_delay_alu instid0(SALU_CYCLE_1)
	s_and_b32 vcc_lo, exec_lo, s20
	s_cbranch_vccz .LBB46_833
; %bb.825:
	s_cmp_lt_i32 s19, 27
	s_mov_b32 s20, -1
	s_cbranch_scc1 .LBB46_831
; %bb.826:
	s_cmp_gt_i32 s19, 27
	s_cbranch_scc0 .LBB46_828
; %bb.827:
	s_wait_loadcnt 0x0
	v_mov_b32_e32 v2, 0
	s_mov_b32 s20, 0
	global_store_b32 v[0:1], v2, off
.LBB46_828:
	s_and_not1_b32 vcc_lo, exec_lo, s20
	s_cbranch_vccnz .LBB46_830
; %bb.829:
	s_wait_loadcnt 0x0
	v_mov_b32_e32 v2, 0
	global_store_b16 v[0:1], v2, off
.LBB46_830:
	s_mov_b32 s20, 0
.LBB46_831:
	s_delay_alu instid0(SALU_CYCLE_1)
	s_and_not1_b32 vcc_lo, exec_lo, s20
	s_cbranch_vccnz .LBB46_833
; %bb.832:
	s_wait_loadcnt 0x0
	v_mov_b32_e32 v2, 0
	global_store_b8 v[0:1], v2, off
.LBB46_833:
	s_mov_b32 s20, 0
.LBB46_834:
	s_delay_alu instid0(SALU_CYCLE_1)
	s_and_b32 vcc_lo, exec_lo, s20
	s_mov_b32 s20, 0
	s_cbranch_vccz .LBB46_852
; %bb.835:
	s_cmp_gt_i32 s19, 22
	s_mov_b32 s21, -1
	s_cbranch_scc0 .LBB46_845
; %bb.836:
	s_cmp_lt_i32 s19, 24
	s_cbranch_scc1 .LBB46_842
; %bb.837:
	s_cmp_gt_i32 s19, 24
	s_cbranch_scc0 .LBB46_839
; %bb.838:
	s_wait_loadcnt 0x0
	v_mov_b32_e32 v2, 0
	s_mov_b32 s21, 0
	global_store_b8 v[0:1], v2, off
.LBB46_839:
	s_and_not1_b32 vcc_lo, exec_lo, s21
	s_cbranch_vccnz .LBB46_841
; %bb.840:
	s_wait_loadcnt 0x0
	v_mov_b32_e32 v2, 0
	global_store_b8 v[0:1], v2, off
.LBB46_841:
	s_mov_b32 s21, 0
.LBB46_842:
	s_delay_alu instid0(SALU_CYCLE_1)
	s_and_not1_b32 vcc_lo, exec_lo, s21
	s_cbranch_vccnz .LBB46_844
; %bb.843:
	s_wait_loadcnt 0x0
	v_mov_b32_e32 v2, 0
	global_store_b8 v[0:1], v2, off
.LBB46_844:
	s_mov_b32 s21, 0
.LBB46_845:
	s_delay_alu instid0(SALU_CYCLE_1)
	s_and_not1_b32 vcc_lo, exec_lo, s21
	s_mov_b32 s21, 0
	s_cbranch_vccnz .LBB46_853
; %bb.846:
	s_cmp_gt_i32 s19, 14
	s_mov_b32 s21, -1
	s_cbranch_scc0 .LBB46_850
; %bb.847:
	s_cmp_eq_u32 s19, 15
	s_mov_b32 s18, -1
	s_cbranch_scc0 .LBB46_849
; %bb.848:
	s_wait_loadcnt 0x0
	v_mov_b32_e32 v2, 0
	s_mov_b32 s18, 0
	global_store_b16 v[0:1], v2, off
.LBB46_849:
	s_mov_b32 s21, 0
.LBB46_850:
	s_delay_alu instid0(SALU_CYCLE_1)
	s_and_b32 vcc_lo, exec_lo, s21
	s_mov_b32 s21, 0
	s_cbranch_vccz .LBB46_853
; %bb.851:
	s_cmp_lg_u32 s19, 11
	s_mov_b32 s21, -1
	s_cselect_b32 s19, -1, 0
	s_and_not1_b32 s18, s18, exec_lo
	s_and_b32 s19, s19, exec_lo
	s_delay_alu instid0(SALU_CYCLE_1)
	s_or_b32 s18, s18, s19
	s_branch .LBB46_853
.LBB46_852:
	s_mov_b32 s21, 0
.LBB46_853:
	s_and_b32 s19, s20, exec_lo
	s_and_not1_b32 s17, s17, exec_lo
	s_and_b32 s20, s18, exec_lo
	s_and_b32 s18, s21, exec_lo
	s_or_b32 s17, s17, s20
	s_wait_xcnt 0x0
	s_or_b32 exec_lo, exec_lo, s15
	s_and_saveexec_b32 s15, s17
	s_cbranch_execz .LBB46_811
.LBB46_854:
	s_or_b32 s16, s16, exec_lo
	s_and_not1_b32 s18, s18, exec_lo
	s_trap 2
	s_or_b32 exec_lo, exec_lo, s15
	s_and_saveexec_b32 s15, s18
	s_delay_alu instid0(SALU_CYCLE_1)
	s_xor_b32 s15, exec_lo, s15
	s_cbranch_execnz .LBB46_812
.LBB46_855:
	s_or_b32 exec_lo, exec_lo, s15
	s_and_saveexec_b32 s15, s19
	s_delay_alu instid0(SALU_CYCLE_1)
	s_xor_b32 s15, exec_lo, s15
	s_cbranch_execz .LBB46_893
.LBB46_856:
	s_sext_i32_i16 s18, s0
	s_mov_b32 s17, -1
	s_cmp_lt_i32 s18, 5
	s_cbranch_scc1 .LBB46_877
; %bb.857:
	s_cmp_lt_i32 s18, 8
	s_cbranch_scc1 .LBB46_867
; %bb.858:
	;; [unrolled: 3-line block ×3, first 2 shown]
	s_cmp_gt_i32 s18, 9
	s_cbranch_scc0 .LBB46_861
; %bb.860:
	s_wait_loadcnt 0x0
	v_mov_b32_e32 v2, 0
	s_mov_b32 s17, 0
	s_delay_alu instid0(VALU_DEP_1)
	v_dual_mov_b32 v3, v2 :: v_dual_mov_b32 v4, v2
	v_mov_b32_e32 v5, v2
	global_store_b128 v[0:1], v[2:5], off
.LBB46_861:
	s_and_not1_b32 vcc_lo, exec_lo, s17
	s_cbranch_vccnz .LBB46_863
; %bb.862:
	s_wait_loadcnt 0x0
	v_mov_b64_e32 v[2:3], 0
	global_store_b64 v[0:1], v[2:3], off
.LBB46_863:
	s_mov_b32 s17, 0
.LBB46_864:
	s_delay_alu instid0(SALU_CYCLE_1)
	s_and_not1_b32 vcc_lo, exec_lo, s17
	s_cbranch_vccnz .LBB46_866
; %bb.865:
	s_wait_loadcnt 0x0
	v_mov_b32_e32 v2, 0
	global_store_b32 v[0:1], v2, off
.LBB46_866:
	s_mov_b32 s17, 0
.LBB46_867:
	s_delay_alu instid0(SALU_CYCLE_1)
	s_and_not1_b32 vcc_lo, exec_lo, s17
	s_cbranch_vccnz .LBB46_876
; %bb.868:
	s_sext_i32_i16 s18, s0
	s_mov_b32 s17, -1
	s_cmp_lt_i32 s18, 6
	s_cbranch_scc1 .LBB46_874
; %bb.869:
	s_cmp_gt_i32 s18, 6
	s_cbranch_scc0 .LBB46_871
; %bb.870:
	s_wait_loadcnt 0x0
	v_mov_b64_e32 v[2:3], 0
	s_mov_b32 s17, 0
	global_store_b64 v[0:1], v[2:3], off
.LBB46_871:
	s_and_not1_b32 vcc_lo, exec_lo, s17
	s_cbranch_vccnz .LBB46_873
; %bb.872:
	s_wait_loadcnt 0x0
	v_mov_b32_e32 v2, 0
	global_store_b32 v[0:1], v2, off
.LBB46_873:
	s_mov_b32 s17, 0
.LBB46_874:
	s_delay_alu instid0(SALU_CYCLE_1)
	s_and_not1_b32 vcc_lo, exec_lo, s17
	s_cbranch_vccnz .LBB46_876
; %bb.875:
	s_wait_loadcnt 0x0
	v_mov_b32_e32 v2, 0
	global_store_b16 v[0:1], v2, off
.LBB46_876:
	s_mov_b32 s17, 0
.LBB46_877:
	s_delay_alu instid0(SALU_CYCLE_1)
	s_and_not1_b32 vcc_lo, exec_lo, s17
	s_cbranch_vccnz .LBB46_893
; %bb.878:
	s_sext_i32_i16 s18, s0
	s_mov_b32 s17, -1
	s_cmp_lt_i32 s18, 2
	s_cbranch_scc1 .LBB46_888
; %bb.879:
	s_cmp_lt_i32 s18, 3
	s_cbranch_scc1 .LBB46_885
; %bb.880:
	s_cmp_gt_i32 s18, 3
	s_cbranch_scc0 .LBB46_882
; %bb.881:
	s_wait_loadcnt 0x0
	v_mov_b64_e32 v[2:3], 0
	s_mov_b32 s17, 0
	global_store_b64 v[0:1], v[2:3], off
.LBB46_882:
	s_and_not1_b32 vcc_lo, exec_lo, s17
	s_cbranch_vccnz .LBB46_884
; %bb.883:
	s_wait_loadcnt 0x0
	v_mov_b32_e32 v2, 0
	global_store_b32 v[0:1], v2, off
.LBB46_884:
	s_mov_b32 s17, 0
.LBB46_885:
	s_delay_alu instid0(SALU_CYCLE_1)
	s_and_not1_b32 vcc_lo, exec_lo, s17
	s_cbranch_vccnz .LBB46_887
; %bb.886:
	s_wait_loadcnt 0x0
	v_mov_b32_e32 v2, 0
	global_store_b16 v[0:1], v2, off
.LBB46_887:
	s_mov_b32 s17, 0
.LBB46_888:
	s_delay_alu instid0(SALU_CYCLE_1)
	s_and_not1_b32 vcc_lo, exec_lo, s17
	s_cbranch_vccnz .LBB46_893
; %bb.889:
	s_sext_i32_i16 s0, s0
	s_delay_alu instid0(SALU_CYCLE_1)
	s_cmp_gt_i32 s0, 0
	s_mov_b32 s0, -1
	s_cbranch_scc0 .LBB46_891
; %bb.890:
	s_wait_loadcnt 0x0
	v_mov_b32_e32 v2, 0
	s_mov_b32 s0, 0
	global_store_b8 v[0:1], v2, off
.LBB46_891:
	s_and_not1_b32 vcc_lo, exec_lo, s0
	s_cbranch_vccnz .LBB46_893
; %bb.892:
	s_wait_loadcnt 0x0
	v_mov_b32_e32 v2, 0
	global_store_b8 v[0:1], v2, off
.LBB46_893:
	s_wait_xcnt 0x0
	s_or_b32 exec_lo, exec_lo, s15
	s_delay_alu instid0(SALU_CYCLE_1)
	s_and_b32 s15, s16, exec_lo
                                        ; implicit-def: $vgpr6
.LBB46_894:
	s_or_saveexec_b32 s14, s14
	s_mov_b32 s17, 0
                                        ; implicit-def: $sgpr0
                                        ; implicit-def: $vgpr2_vgpr3
	s_xor_b32 exec_lo, exec_lo, s14
	s_cbranch_execz .LBB46_1729
; %bb.895:
	v_mul_lo_u32 v0, s3, v6
	s_and_b32 s17, 0xffff, s13
	s_delay_alu instid0(SALU_CYCLE_1) | instskip(NEXT) | instid1(VALU_DEP_1)
	s_cmp_lt_i32 s17, 11
	v_ashrrev_i32_e32 v1, 31, v0
	s_wait_loadcnt 0x0
	s_delay_alu instid0(VALU_DEP_1)
	v_add_nc_u64_e32 v[2:3], s[6:7], v[0:1]
	s_cbranch_scc1 .LBB46_902
; %bb.896:
	s_cmp_gt_i32 s17, 25
	s_mov_b32 s13, 0
	s_cbranch_scc0 .LBB46_913
; %bb.897:
	s_cmp_gt_i32 s17, 28
	s_cbranch_scc0 .LBB46_914
; %bb.898:
	s_cmp_gt_i32 s17, 43
	;; [unrolled: 3-line block ×3, first 2 shown]
	s_cbranch_scc0 .LBB46_928
; %bb.900:
	s_cmp_eq_u32 s17, 46
	s_cbranch_scc0 .LBB46_931
; %bb.901:
	global_load_b32 v1, v[2:3], off
	s_mov_b32 s0, 0
	s_mov_b32 s16, -1
	s_wait_loadcnt 0x0
	v_lshlrev_b32_e32 v1, 16, v1
	s_delay_alu instid0(VALU_DEP_1) | instskip(NEXT) | instid1(VALU_DEP_1)
	v_trunc_f32_e32 v1, v1
	v_mul_f32_e64 v4, 0x2f800000, |v1|
	s_delay_alu instid0(VALU_DEP_1) | instskip(SKIP_1) | instid1(VALU_DEP_2)
	v_floor_f32_e32 v5, v4
	v_ashrrev_i32_e32 v4, 31, v1
	v_fma_f32 v7, 0xcf800000, v5, |v1|
	v_cvt_u32_f32_e32 v1, v5
	s_delay_alu instid0(VALU_DEP_3) | instskip(NEXT) | instid1(VALU_DEP_3)
	v_mov_b32_e32 v5, v4
	v_cvt_u32_f32_e32 v7, v7
	s_delay_alu instid0(VALU_DEP_3) | instskip(NEXT) | instid1(VALU_DEP_2)
	v_xor_b32_e32 v9, v1, v4
	v_xor_b32_e32 v8, v7, v4
	s_delay_alu instid0(VALU_DEP_1)
	v_sub_nc_u64_e32 v[4:5], v[8:9], v[4:5]
	s_branch .LBB46_933
.LBB46_902:
	s_mov_b32 s16, 0
	s_mov_b32 s1, s15
                                        ; implicit-def: $vgpr4_vgpr5
	s_cbranch_execnz .LBB46_993
.LBB46_903:
	s_and_not1_b32 vcc_lo, exec_lo, s16
	s_cbranch_vccnz .LBB46_1038
.LBB46_904:
	s_wait_loadcnt 0x0
	s_delay_alu instid0(VALU_DEP_1)
	v_cmp_gt_i64_e32 vcc_lo, s[8:9], v[4:5]
	v_cmp_le_i64_e64 s0, s[10:11], v[4:5]
	s_get_pc_i64 s[18:19]
	s_add_nc_u64 s[18:19], s[18:19], .str@rel64+4
	s_or_b32 s0, vcc_lo, s0
	s_cmp_eq_u64 s[18:19], 0
	s_cselect_b32 s13, -1, 0
	s_delay_alu instid0(SALU_CYCLE_1) | instskip(SKIP_2) | instid1(SALU_CYCLE_1)
	s_or_b32 s0, s13, s0
	s_wait_xcnt 0x0
	s_and_saveexec_b32 s13, s0
	s_xor_b32 s0, exec_lo, s13
	s_cbranch_execnz .LBB46_1288
.LBB46_905:
	s_or_saveexec_b32 s13, s0
	s_mov_b32 s16, 0
	s_mov_b32 s19, 0
                                        ; implicit-def: $sgpr0
                                        ; implicit-def: $vgpr2_vgpr3
	s_xor_b32 exec_lo, exec_lo, s13
	s_cbranch_execz .LBB46_1727
; %bb.906:
	s_lshl_b32 s20, s3, 7
	s_cmp_lt_i32 s17, 11
	v_add_nc_u32_e32 v0, s20, v0
	s_delay_alu instid0(VALU_DEP_1) | instskip(NEXT) | instid1(VALU_DEP_1)
	v_ashrrev_i32_e32 v1, 31, v0
	v_add_nc_u64_e32 v[2:3], s[6:7], v[0:1]
	s_cbranch_scc1 .LBB46_915
; %bb.907:
	s_cmp_gt_i32 s17, 25
	s_cbranch_scc0 .LBB46_927
; %bb.908:
	s_cmp_gt_i32 s17, 28
	s_cbranch_scc0 .LBB46_929
	;; [unrolled: 3-line block ×4, first 2 shown]
; %bb.911:
	s_cmp_eq_u32 s17, 46
	s_mov_b32 s3, 0
	s_cbranch_scc0 .LBB46_1042
; %bb.912:
	global_load_b32 v1, v[2:3], off
	s_mov_b32 s0, 0
	s_mov_b32 s18, -1
	s_wait_loadcnt 0x0
	v_lshlrev_b32_e32 v1, 16, v1
	s_delay_alu instid0(VALU_DEP_1) | instskip(NEXT) | instid1(VALU_DEP_1)
	v_trunc_f32_e32 v1, v1
	v_mul_f32_e64 v4, 0x2f800000, |v1|
	s_delay_alu instid0(VALU_DEP_1) | instskip(SKIP_1) | instid1(VALU_DEP_2)
	v_floor_f32_e32 v5, v4
	v_ashrrev_i32_e32 v4, 31, v1
	v_fma_f32 v7, 0xcf800000, v5, |v1|
	v_cvt_u32_f32_e32 v1, v5
	s_delay_alu instid0(VALU_DEP_3) | instskip(NEXT) | instid1(VALU_DEP_3)
	v_mov_b32_e32 v5, v4
	v_cvt_u32_f32_e32 v7, v7
	s_delay_alu instid0(VALU_DEP_3) | instskip(NEXT) | instid1(VALU_DEP_2)
	v_xor_b32_e32 v9, v1, v4
	v_xor_b32_e32 v8, v7, v4
	s_delay_alu instid0(VALU_DEP_1)
	v_sub_nc_u64_e32 v[4:5], v[8:9], v[4:5]
	s_branch .LBB46_1044
.LBB46_913:
	s_mov_b32 s16, 0
	s_mov_b32 s0, 0
                                        ; implicit-def: $vgpr4_vgpr5
	s_cbranch_execnz .LBB46_960
	s_branch .LBB46_989
.LBB46_914:
	s_mov_b32 s16, 0
	s_mov_b32 s0, 0
                                        ; implicit-def: $vgpr4_vgpr5
	s_cbranch_execz .LBB46_959
	s_branch .LBB46_944
.LBB46_915:
	s_mov_b32 s18, 0
	s_mov_b32 s3, s1
                                        ; implicit-def: $vgpr4_vgpr5
	s_cbranch_execnz .LBB46_1107
.LBB46_916:
	s_and_not1_b32 vcc_lo, exec_lo, s18
	s_cbranch_vccnz .LBB46_1155
.LBB46_917:
	s_wait_loadcnt 0x0
	s_delay_alu instid0(VALU_DEP_1) | instskip(SKIP_4) | instid1(SALU_CYCLE_1)
	v_cmp_gt_i64_e32 vcc_lo, s[8:9], v[4:5]
	v_cmp_le_i64_e64 s0, s[10:11], v[4:5]
	s_or_b32 s0, vcc_lo, s0
	s_wait_xcnt 0x0
	s_and_saveexec_b32 s16, s0
	s_xor_b32 s0, exec_lo, s16
	s_cbranch_execnz .LBB46_1775
.LBB46_918:
	s_or_saveexec_b32 s16, s0
	s_mov_b32 s18, 0
	s_mov_b32 s19, 0
                                        ; implicit-def: $sgpr0
                                        ; implicit-def: $vgpr2_vgpr3
	s_xor_b32 exec_lo, exec_lo, s16
	s_cbranch_execz .LBB46_1725
; %bb.919:
	v_add_nc_u32_e32 v0, s20, v0
	s_cmp_lt_i32 s17, 11
	s_delay_alu instid0(VALU_DEP_1) | instskip(NEXT) | instid1(VALU_DEP_1)
	v_ashrrev_i32_e32 v1, 31, v0
	v_add_nc_u64_e32 v[2:3], s[6:7], v[0:1]
	s_cbranch_scc1 .LBB46_930
; %bb.920:
	s_cmp_gt_i32 s17, 25
	s_cbranch_scc0 .LBB46_938
; %bb.921:
	s_cmp_gt_i32 s17, 28
	s_cbranch_scc0 .LBB46_1041
	;; [unrolled: 3-line block ×4, first 2 shown]
; %bb.924:
	s_cmp_eq_u32 s17, 46
	s_cbranch_scc0 .LBB46_1158
; %bb.925:
	global_load_b32 v1, v[2:3], off
	s_mov_b32 s0, 0
	s_mov_b32 s21, -1
	s_wait_loadcnt 0x0
	v_lshlrev_b32_e32 v1, 16, v1
	s_delay_alu instid0(VALU_DEP_1) | instskip(NEXT) | instid1(VALU_DEP_1)
	v_trunc_f32_e32 v1, v1
	v_mul_f32_e64 v4, 0x2f800000, |v1|
	s_delay_alu instid0(VALU_DEP_1) | instskip(SKIP_1) | instid1(VALU_DEP_2)
	v_floor_f32_e32 v5, v4
	v_ashrrev_i32_e32 v4, 31, v1
	v_fma_f32 v7, 0xcf800000, v5, |v1|
	v_cvt_u32_f32_e32 v1, v5
	s_delay_alu instid0(VALU_DEP_3) | instskip(NEXT) | instid1(VALU_DEP_3)
	v_mov_b32_e32 v5, v4
	v_cvt_u32_f32_e32 v7, v7
	s_delay_alu instid0(VALU_DEP_3) | instskip(NEXT) | instid1(VALU_DEP_2)
	v_xor_b32_e32 v9, v1, v4
	v_xor_b32_e32 v8, v7, v4
	s_delay_alu instid0(VALU_DEP_1)
	v_sub_nc_u64_e32 v[4:5], v[8:9], v[4:5]
	s_branch .LBB46_1160
.LBB46_926:
	s_mov_b32 s16, 0
	s_mov_b32 s0, 0
                                        ; implicit-def: $vgpr4_vgpr5
	s_cbranch_execnz .LBB46_940
	s_branch .LBB46_943
.LBB46_927:
	s_mov_b32 s3, -1
	s_mov_b32 s18, 0
	s_mov_b32 s0, 0
                                        ; implicit-def: $vgpr4_vgpr5
	s_branch .LBB46_1072
.LBB46_928:
	s_mov_b32 s1, -1
	s_mov_b32 s16, 0
	s_mov_b32 s0, 0
	s_branch .LBB46_932
.LBB46_929:
	s_mov_b32 s3, -1
	s_mov_b32 s18, 0
	s_mov_b32 s0, 0
                                        ; implicit-def: $vgpr4_vgpr5
	s_branch .LBB46_1055
.LBB46_930:
	s_mov_b32 s0, -1
	s_mov_b32 s21, 0
	s_mov_b32 s18, s3
                                        ; implicit-def: $vgpr4_vgpr5
	s_branch .LBB46_1222
.LBB46_931:
	s_mov_b32 s0, -1
	s_mov_b32 s16, 0
.LBB46_932:
                                        ; implicit-def: $vgpr4_vgpr5
.LBB46_933:
	s_and_b32 vcc_lo, exec_lo, s1
	s_cbranch_vccz .LBB46_936
; %bb.934:
	s_cmp_eq_u32 s17, 44
	s_cbranch_scc0 .LBB46_939
; %bb.935:
	global_load_u8 v1, v[2:3], off
	s_mov_b32 s0, 0
	s_mov_b32 s16, -1
	s_wait_loadcnt 0x0
	v_lshlrev_b32_e32 v4, 23, v1
	v_cmp_ne_u32_e32 vcc_lo, 0, v1
	s_delay_alu instid0(VALU_DEP_2) | instskip(NEXT) | instid1(VALU_DEP_1)
	v_trunc_f32_e32 v4, v4
	v_mul_f32_e64 v5, 0x2f800000, |v4|
	s_delay_alu instid0(VALU_DEP_1) | instskip(NEXT) | instid1(VALU_DEP_1)
	v_floor_f32_e32 v5, v5
	v_fma_f32 v7, 0xcf800000, v5, |v4|
	v_ashrrev_i32_e32 v4, 31, v4
	v_cvt_u32_f32_e32 v8, v5
	s_delay_alu instid0(VALU_DEP_3) | instskip(NEXT) | instid1(VALU_DEP_3)
	v_cvt_u32_f32_e32 v7, v7
	v_mov_b32_e32 v5, v4
	s_delay_alu instid0(VALU_DEP_3) | instskip(NEXT) | instid1(VALU_DEP_3)
	v_xor_b32_e32 v9, v8, v4
	v_xor_b32_e32 v8, v7, v4
	s_delay_alu instid0(VALU_DEP_1) | instskip(NEXT) | instid1(VALU_DEP_1)
	v_sub_nc_u64_e32 v[4:5], v[8:9], v[4:5]
	v_dual_cndmask_b32 v5, 0, v5 :: v_dual_cndmask_b32 v4, 0, v4
.LBB46_936:
	s_branch .LBB46_943
.LBB46_937:
	s_mov_b32 s3, -1
	s_mov_b32 s18, 0
	s_mov_b32 s0, 0
                                        ; implicit-def: $vgpr4_vgpr5
	s_branch .LBB46_1050
.LBB46_938:
	s_mov_b32 s18, -1
	s_mov_b32 s21, 0
	s_mov_b32 s0, 0
                                        ; implicit-def: $vgpr4_vgpr5
	s_branch .LBB46_1187
.LBB46_939:
	s_mov_b32 s0, -1
                                        ; implicit-def: $vgpr4_vgpr5
	s_branch .LBB46_943
.LBB46_940:
	s_cmp_eq_u32 s17, 29
	s_cbranch_scc0 .LBB46_942
; %bb.941:
	global_load_b64 v[4:5], v[2:3], off
	s_mov_b32 s0, 0
	s_mov_b32 s16, -1
	s_branch .LBB46_943
.LBB46_942:
	s_mov_b32 s0, -1
                                        ; implicit-def: $vgpr4_vgpr5
.LBB46_943:
	s_branch .LBB46_959
.LBB46_944:
	s_cmp_lt_i32 s17, 27
	s_cbranch_scc1 .LBB46_947
; %bb.945:
	s_cmp_gt_i32 s17, 27
	s_cbranch_scc0 .LBB46_948
; %bb.946:
	s_wait_loadcnt 0x0
	global_load_b32 v4, v[2:3], off
	v_mov_b32_e32 v5, 0
	s_mov_b32 s1, 0
	s_branch .LBB46_949
.LBB46_947:
	s_mov_b32 s1, -1
                                        ; implicit-def: $vgpr4_vgpr5
	s_branch .LBB46_952
.LBB46_948:
	s_mov_b32 s1, -1
                                        ; implicit-def: $vgpr4_vgpr5
.LBB46_949:
	s_delay_alu instid0(SALU_CYCLE_1)
	s_and_not1_b32 vcc_lo, exec_lo, s1
	s_cbranch_vccnz .LBB46_951
; %bb.950:
	global_load_u16 v1, v[2:3], off
	s_mov_b32 s1, 0
	s_wait_loadcnt 0x1
	v_mov_b32_e32 v5, s1
	s_wait_loadcnt 0x0
	v_and_b32_e32 v4, 0xffff, v1
.LBB46_951:
	s_mov_b32 s1, 0
.LBB46_952:
	s_delay_alu instid0(SALU_CYCLE_1)
	s_and_not1_b32 vcc_lo, exec_lo, s1
	s_cbranch_vccnz .LBB46_958
; %bb.953:
	global_load_u8 v1, v[2:3], off
	s_mov_b32 s16, 0
	s_mov_b32 s1, exec_lo
	s_wait_loadcnt 0x0
	v_cmpx_lt_i16_e32 0x7f, v1
	s_xor_b32 s1, exec_lo, s1
	s_cbranch_execz .LBB46_969
; %bb.954:
	v_cmp_ne_u16_e32 vcc_lo, 0x80, v1
	s_and_b32 s16, vcc_lo, exec_lo
	s_and_not1_saveexec_b32 s1, s1
	s_cbranch_execnz .LBB46_970
.LBB46_955:
	s_or_b32 exec_lo, exec_lo, s1
	v_mov_b64_e32 v[4:5], 0
	s_and_saveexec_b32 s1, s16
	s_cbranch_execz .LBB46_957
.LBB46_956:
	v_and_b32_e32 v4, 0xffff, v1
	s_delay_alu instid0(VALU_DEP_1) | instskip(SKIP_1) | instid1(VALU_DEP_2)
	v_and_b32_e32 v5, 7, v4
	v_bfe_u32 v9, v4, 3, 4
	v_clz_i32_u32_e32 v7, v5
	s_delay_alu instid0(VALU_DEP_2) | instskip(NEXT) | instid1(VALU_DEP_2)
	v_cmp_eq_u32_e32 vcc_lo, 0, v9
	v_min_u32_e32 v7, 32, v7
	s_delay_alu instid0(VALU_DEP_1) | instskip(NEXT) | instid1(VALU_DEP_1)
	v_subrev_nc_u32_e32 v8, 28, v7
	v_dual_lshlrev_b32 v4, v8, v4 :: v_dual_sub_nc_u32 v7, 29, v7
	s_delay_alu instid0(VALU_DEP_1) | instskip(NEXT) | instid1(VALU_DEP_2)
	v_dual_lshlrev_b32 v1, 24, v1 :: v_dual_bitop2_b32 v4, 7, v4 bitop3:0x40
	v_cndmask_b32_e32 v7, v9, v7, vcc_lo
	s_delay_alu instid0(VALU_DEP_2) | instskip(NEXT) | instid1(VALU_DEP_3)
	v_cndmask_b32_e32 v4, v5, v4, vcc_lo
	v_and_b32_e32 v1, 0x80000000, v1
	s_delay_alu instid0(VALU_DEP_3) | instskip(NEXT) | instid1(VALU_DEP_3)
	v_lshl_add_u32 v5, v7, 23, 0x3b800000
	v_lshlrev_b32_e32 v4, 20, v4
	s_delay_alu instid0(VALU_DEP_1) | instskip(NEXT) | instid1(VALU_DEP_1)
	v_or3_b32 v1, v1, v5, v4
	v_trunc_f32_e32 v1, v1
	s_delay_alu instid0(VALU_DEP_1) | instskip(NEXT) | instid1(VALU_DEP_1)
	v_mul_f32_e64 v4, 0x2f800000, |v1|
	v_floor_f32_e32 v5, v4
	v_ashrrev_i32_e32 v4, 31, v1
	s_delay_alu instid0(VALU_DEP_2) | instskip(SKIP_1) | instid1(VALU_DEP_3)
	v_fma_f32 v7, 0xcf800000, v5, |v1|
	v_cvt_u32_f32_e32 v1, v5
	v_mov_b32_e32 v5, v4
	s_delay_alu instid0(VALU_DEP_3) | instskip(NEXT) | instid1(VALU_DEP_3)
	v_cvt_u32_f32_e32 v7, v7
	v_xor_b32_e32 v9, v1, v4
	s_delay_alu instid0(VALU_DEP_2) | instskip(NEXT) | instid1(VALU_DEP_1)
	v_xor_b32_e32 v8, v7, v4
	v_sub_nc_u64_e32 v[4:5], v[8:9], v[4:5]
.LBB46_957:
	s_or_b32 exec_lo, exec_lo, s1
.LBB46_958:
	s_mov_b32 s16, -1
.LBB46_959:
	s_branch .LBB46_989
.LBB46_960:
	s_cmp_gt_i32 s17, 22
	s_cbranch_scc0 .LBB46_968
; %bb.961:
	s_cmp_lt_i32 s17, 24
	s_cbranch_scc1 .LBB46_971
; %bb.962:
	s_cmp_gt_i32 s17, 24
	s_cbranch_scc0 .LBB46_972
; %bb.963:
	global_load_u8 v1, v[2:3], off
	s_mov_b32 s1, exec_lo
	s_wait_loadcnt 0x0
	v_cmpx_lt_i16_e32 0x7f, v1
	s_xor_b32 s1, exec_lo, s1
	s_cbranch_execz .LBB46_983
; %bb.964:
	v_cmp_ne_u16_e32 vcc_lo, 0x80, v1
	s_and_b32 s13, vcc_lo, exec_lo
	s_and_not1_saveexec_b32 s1, s1
	s_cbranch_execnz .LBB46_984
.LBB46_965:
	s_or_b32 exec_lo, exec_lo, s1
	v_mov_b64_e32 v[4:5], 0
	s_and_saveexec_b32 s1, s13
	s_cbranch_execz .LBB46_967
.LBB46_966:
	v_and_b32_e32 v4, 0xffff, v1
	s_delay_alu instid0(VALU_DEP_1) | instskip(SKIP_1) | instid1(VALU_DEP_2)
	v_and_b32_e32 v5, 3, v4
	v_bfe_u32 v9, v4, 2, 5
	v_clz_i32_u32_e32 v7, v5
	s_delay_alu instid0(VALU_DEP_2) | instskip(NEXT) | instid1(VALU_DEP_2)
	v_cmp_eq_u32_e32 vcc_lo, 0, v9
	v_min_u32_e32 v7, 32, v7
	s_delay_alu instid0(VALU_DEP_1) | instskip(NEXT) | instid1(VALU_DEP_1)
	v_subrev_nc_u32_e32 v8, 29, v7
	v_dual_lshlrev_b32 v4, v8, v4 :: v_dual_sub_nc_u32 v7, 30, v7
	s_delay_alu instid0(VALU_DEP_1) | instskip(NEXT) | instid1(VALU_DEP_2)
	v_dual_lshlrev_b32 v1, 24, v1 :: v_dual_bitop2_b32 v4, 3, v4 bitop3:0x40
	v_cndmask_b32_e32 v7, v9, v7, vcc_lo
	s_delay_alu instid0(VALU_DEP_2) | instskip(NEXT) | instid1(VALU_DEP_3)
	v_cndmask_b32_e32 v4, v5, v4, vcc_lo
	v_and_b32_e32 v1, 0x80000000, v1
	s_delay_alu instid0(VALU_DEP_3) | instskip(NEXT) | instid1(VALU_DEP_3)
	v_lshl_add_u32 v5, v7, 23, 0x37800000
	v_lshlrev_b32_e32 v4, 21, v4
	s_delay_alu instid0(VALU_DEP_1) | instskip(NEXT) | instid1(VALU_DEP_1)
	v_or3_b32 v1, v1, v5, v4
	v_trunc_f32_e32 v1, v1
	s_delay_alu instid0(VALU_DEP_1) | instskip(NEXT) | instid1(VALU_DEP_1)
	v_mul_f32_e64 v4, 0x2f800000, |v1|
	v_floor_f32_e32 v5, v4
	v_ashrrev_i32_e32 v4, 31, v1
	s_delay_alu instid0(VALU_DEP_2) | instskip(SKIP_1) | instid1(VALU_DEP_3)
	v_fma_f32 v7, 0xcf800000, v5, |v1|
	v_cvt_u32_f32_e32 v1, v5
	v_mov_b32_e32 v5, v4
	s_delay_alu instid0(VALU_DEP_3) | instskip(NEXT) | instid1(VALU_DEP_3)
	v_cvt_u32_f32_e32 v7, v7
	v_xor_b32_e32 v9, v1, v4
	s_delay_alu instid0(VALU_DEP_2) | instskip(NEXT) | instid1(VALU_DEP_1)
	v_xor_b32_e32 v8, v7, v4
	v_sub_nc_u64_e32 v[4:5], v[8:9], v[4:5]
.LBB46_967:
	s_or_b32 exec_lo, exec_lo, s1
	s_mov_b32 s1, 0
	s_branch .LBB46_973
.LBB46_968:
                                        ; implicit-def: $vgpr4_vgpr5
	s_mov_b32 s13, 0
	s_branch .LBB46_979
.LBB46_969:
	s_and_not1_saveexec_b32 s1, s1
	s_cbranch_execz .LBB46_955
.LBB46_970:
	v_cmp_ne_u16_e32 vcc_lo, 0, v1
	s_and_not1_b32 s16, s16, exec_lo
	s_and_b32 s18, vcc_lo, exec_lo
	s_delay_alu instid0(SALU_CYCLE_1)
	s_or_b32 s16, s16, s18
	s_or_b32 exec_lo, exec_lo, s1
	v_mov_b64_e32 v[4:5], 0
	s_and_saveexec_b32 s1, s16
	s_cbranch_execnz .LBB46_956
	s_branch .LBB46_957
.LBB46_971:
	s_mov_b32 s1, -1
                                        ; implicit-def: $vgpr4_vgpr5
	s_branch .LBB46_976
.LBB46_972:
	s_mov_b32 s1, -1
                                        ; implicit-def: $vgpr4_vgpr5
.LBB46_973:
	s_delay_alu instid0(SALU_CYCLE_1)
	s_and_b32 vcc_lo, exec_lo, s1
	s_cbranch_vccz .LBB46_975
; %bb.974:
	global_load_u8 v1, v[2:3], off
	s_wait_loadcnt 0x0
	v_lshlrev_b32_e32 v1, 24, v1
	s_delay_alu instid0(VALU_DEP_1) | instskip(NEXT) | instid1(VALU_DEP_1)
	v_and_b32_e32 v4, 0x7f000000, v1
	v_clz_i32_u32_e32 v5, v4
	v_add_nc_u32_e32 v8, 0x1000000, v4
	v_cmp_ne_u32_e32 vcc_lo, 0, v4
	s_delay_alu instid0(VALU_DEP_3) | instskip(NEXT) | instid1(VALU_DEP_1)
	v_min_u32_e32 v5, 32, v5
	v_sub_nc_u32_e64 v5, v5, 4 clamp
	s_delay_alu instid0(VALU_DEP_1) | instskip(NEXT) | instid1(VALU_DEP_1)
	v_dual_lshlrev_b32 v7, v5, v4 :: v_dual_lshlrev_b32 v5, 23, v5
	v_lshrrev_b32_e32 v7, 4, v7
	s_delay_alu instid0(VALU_DEP_1) | instskip(NEXT) | instid1(VALU_DEP_1)
	v_dual_sub_nc_u32 v5, v7, v5 :: v_dual_ashrrev_i32 v7, 8, v8
	v_add_nc_u32_e32 v5, 0x3c000000, v5
	s_delay_alu instid0(VALU_DEP_1) | instskip(NEXT) | instid1(VALU_DEP_1)
	v_and_or_b32 v5, 0x7f800000, v7, v5
	v_cndmask_b32_e32 v4, 0, v5, vcc_lo
	s_delay_alu instid0(VALU_DEP_1) | instskip(NEXT) | instid1(VALU_DEP_1)
	v_and_or_b32 v1, 0x80000000, v1, v4
	v_trunc_f32_e32 v1, v1
	s_delay_alu instid0(VALU_DEP_1) | instskip(NEXT) | instid1(VALU_DEP_1)
	v_mul_f32_e64 v4, 0x2f800000, |v1|
	v_floor_f32_e32 v5, v4
	v_ashrrev_i32_e32 v4, 31, v1
	s_delay_alu instid0(VALU_DEP_2) | instskip(SKIP_1) | instid1(VALU_DEP_3)
	v_fma_f32 v7, 0xcf800000, v5, |v1|
	v_cvt_u32_f32_e32 v1, v5
	v_mov_b32_e32 v5, v4
	s_delay_alu instid0(VALU_DEP_3) | instskip(NEXT) | instid1(VALU_DEP_3)
	v_cvt_u32_f32_e32 v7, v7
	v_xor_b32_e32 v9, v1, v4
	s_delay_alu instid0(VALU_DEP_2) | instskip(NEXT) | instid1(VALU_DEP_1)
	v_xor_b32_e32 v8, v7, v4
	v_sub_nc_u64_e32 v[4:5], v[8:9], v[4:5]
.LBB46_975:
	s_mov_b32 s1, 0
.LBB46_976:
	s_delay_alu instid0(SALU_CYCLE_1)
	s_and_not1_b32 vcc_lo, exec_lo, s1
	s_cbranch_vccnz .LBB46_978
; %bb.977:
	global_load_u8 v1, v[2:3], off
	s_wait_loadcnt 0x0
	v_lshlrev_b32_e32 v4, 25, v1
	v_lshlrev_b16 v1, 8, v1
	s_delay_alu instid0(VALU_DEP_1) | instskip(SKIP_1) | instid1(VALU_DEP_2)
	v_and_or_b32 v7, 0x7f00, v1, 0.5
	v_bfe_i32 v1, v1, 0, 16
	v_dual_add_f32 v7, -0.5, v7 :: v_dual_lshrrev_b32 v5, 4, v4
	v_cmp_gt_u32_e32 vcc_lo, 0x8000000, v4
	s_delay_alu instid0(VALU_DEP_2) | instskip(NEXT) | instid1(VALU_DEP_1)
	v_or_b32_e32 v5, 0x70000000, v5
	v_mul_f32_e32 v5, 0x7800000, v5
	s_delay_alu instid0(VALU_DEP_1) | instskip(NEXT) | instid1(VALU_DEP_1)
	v_cndmask_b32_e32 v4, v5, v7, vcc_lo
	v_and_or_b32 v1, 0x80000000, v1, v4
	s_delay_alu instid0(VALU_DEP_1) | instskip(NEXT) | instid1(VALU_DEP_1)
	v_trunc_f32_e32 v1, v1
	v_mul_f32_e64 v4, 0x2f800000, |v1|
	s_delay_alu instid0(VALU_DEP_1) | instskip(SKIP_1) | instid1(VALU_DEP_2)
	v_floor_f32_e32 v5, v4
	v_ashrrev_i32_e32 v4, 31, v1
	v_fma_f32 v7, 0xcf800000, v5, |v1|
	v_cvt_u32_f32_e32 v1, v5
	s_delay_alu instid0(VALU_DEP_3) | instskip(NEXT) | instid1(VALU_DEP_3)
	v_mov_b32_e32 v5, v4
	v_cvt_u32_f32_e32 v7, v7
	s_delay_alu instid0(VALU_DEP_3) | instskip(NEXT) | instid1(VALU_DEP_2)
	v_xor_b32_e32 v9, v1, v4
	v_xor_b32_e32 v8, v7, v4
	s_delay_alu instid0(VALU_DEP_1)
	v_sub_nc_u64_e32 v[4:5], v[8:9], v[4:5]
.LBB46_978:
	s_mov_b32 s16, -1
	s_mov_b32 s13, 0
	s_cbranch_execnz .LBB46_989
.LBB46_979:
	s_cmp_gt_i32 s17, 14
	s_cbranch_scc0 .LBB46_982
; %bb.980:
	s_cmp_eq_u32 s17, 15
	s_cbranch_scc0 .LBB46_985
; %bb.981:
	global_load_u16 v1, v[2:3], off
	s_mov_b32 s0, 0
	s_mov_b32 s16, -1
	s_wait_loadcnt 0x0
	v_lshlrev_b32_e32 v1, 16, v1
	s_delay_alu instid0(VALU_DEP_1) | instskip(NEXT) | instid1(VALU_DEP_1)
	v_trunc_f32_e32 v1, v1
	v_mul_f32_e64 v4, 0x2f800000, |v1|
	s_delay_alu instid0(VALU_DEP_1) | instskip(SKIP_1) | instid1(VALU_DEP_2)
	v_floor_f32_e32 v5, v4
	v_ashrrev_i32_e32 v4, 31, v1
	v_fma_f32 v7, 0xcf800000, v5, |v1|
	v_cvt_u32_f32_e32 v1, v5
	s_delay_alu instid0(VALU_DEP_3) | instskip(NEXT) | instid1(VALU_DEP_3)
	v_mov_b32_e32 v5, v4
	v_cvt_u32_f32_e32 v7, v7
	s_delay_alu instid0(VALU_DEP_3) | instskip(NEXT) | instid1(VALU_DEP_2)
	v_xor_b32_e32 v9, v1, v4
	v_xor_b32_e32 v8, v7, v4
	s_delay_alu instid0(VALU_DEP_1)
	v_sub_nc_u64_e32 v[4:5], v[8:9], v[4:5]
	s_branch .LBB46_986
.LBB46_982:
	s_mov_b32 s1, -1
                                        ; implicit-def: $vgpr4_vgpr5
	s_branch .LBB46_987
.LBB46_983:
	s_and_not1_saveexec_b32 s1, s1
	s_cbranch_execz .LBB46_965
.LBB46_984:
	v_cmp_ne_u16_e32 vcc_lo, 0, v1
	s_and_not1_b32 s13, s13, exec_lo
	s_and_b32 s16, vcc_lo, exec_lo
	s_delay_alu instid0(SALU_CYCLE_1)
	s_or_b32 s13, s13, s16
	s_or_b32 exec_lo, exec_lo, s1
	v_mov_b64_e32 v[4:5], 0
	s_and_saveexec_b32 s1, s13
	s_cbranch_execnz .LBB46_966
	s_branch .LBB46_967
.LBB46_985:
	s_mov_b32 s0, -1
                                        ; implicit-def: $vgpr4_vgpr5
.LBB46_986:
	s_mov_b32 s1, 0
.LBB46_987:
	s_delay_alu instid0(SALU_CYCLE_1)
	s_and_b32 vcc_lo, exec_lo, s1
	s_cbranch_vccz .LBB46_989
; %bb.988:
	s_cmp_lg_u32 s17, 11
	s_mov_b32 s13, -1
	s_cselect_b32 s0, -1, 0
.LBB46_989:
	s_delay_alu instid0(SALU_CYCLE_1)
	s_and_b32 vcc_lo, exec_lo, s0
	s_mov_b32 s1, s15
	s_cbranch_vccnz .LBB46_1039
; %bb.990:
	s_and_not1_b32 vcc_lo, exec_lo, s13
	s_cbranch_vccnz .LBB46_992
.LBB46_991:
	global_load_u8 v1, v[2:3], off
	s_mov_b32 s0, 0
	s_mov_b32 s16, -1
	s_wait_loadcnt 0x1
	v_mov_b32_e32 v5, s0
	s_wait_loadcnt 0x0
	v_cmp_ne_u16_e32 vcc_lo, 0, v1
	v_cndmask_b32_e64 v4, 0, 1, vcc_lo
.LBB46_992:
	s_branch .LBB46_903
.LBB46_993:
	s_cmp_lt_i32 s17, 5
	s_cbranch_scc1 .LBB46_998
; %bb.994:
	s_cmp_lt_i32 s17, 8
	s_cbranch_scc1 .LBB46_999
; %bb.995:
	;; [unrolled: 3-line block ×3, first 2 shown]
	s_cmp_gt_i32 s17, 9
	s_cbranch_scc0 .LBB46_1001
; %bb.997:
	s_wait_loadcnt 0x0
	global_load_b64 v[4:5], v[2:3], off
	s_mov_b32 s0, 0
	s_wait_loadcnt 0x0
	v_trunc_f64_e32 v[4:5], v[4:5]
	s_delay_alu instid0(VALU_DEP_1) | instskip(NEXT) | instid1(VALU_DEP_1)
	v_ldexp_f64 v[8:9], v[4:5], 0xffffffe0
	v_floor_f64_e32 v[8:9], v[8:9]
	s_delay_alu instid0(VALU_DEP_1) | instskip(SKIP_1) | instid1(VALU_DEP_2)
	v_fmamk_f64 v[10:11], v[8:9], 0xc1f00000, v[4:5]
	v_cvt_i32_f64_e32 v5, v[8:9]
	v_cvt_u32_f64_e32 v4, v[10:11]
	s_branch .LBB46_1002
.LBB46_998:
                                        ; implicit-def: $vgpr4_vgpr5
	s_branch .LBB46_1019
.LBB46_999:
                                        ; implicit-def: $vgpr4_vgpr5
	s_branch .LBB46_1008
.LBB46_1000:
	s_mov_b32 s0, -1
                                        ; implicit-def: $vgpr4_vgpr5
	s_branch .LBB46_1005
.LBB46_1001:
	s_mov_b32 s0, -1
                                        ; implicit-def: $vgpr4_vgpr5
.LBB46_1002:
	s_delay_alu instid0(SALU_CYCLE_1)
	s_and_not1_b32 vcc_lo, exec_lo, s0
	s_cbranch_vccnz .LBB46_1004
; %bb.1003:
	global_load_b32 v1, v[2:3], off
	s_wait_loadcnt 0x0
	v_trunc_f32_e32 v1, v1
	s_delay_alu instid0(VALU_DEP_1) | instskip(NEXT) | instid1(VALU_DEP_1)
	v_mul_f32_e64 v4, 0x2f800000, |v1|
	v_floor_f32_e32 v5, v4
	v_ashrrev_i32_e32 v4, 31, v1
	s_delay_alu instid0(VALU_DEP_2) | instskip(SKIP_1) | instid1(VALU_DEP_3)
	v_fma_f32 v7, 0xcf800000, v5, |v1|
	v_cvt_u32_f32_e32 v1, v5
	v_mov_b32_e32 v5, v4
	s_delay_alu instid0(VALU_DEP_3) | instskip(NEXT) | instid1(VALU_DEP_3)
	v_cvt_u32_f32_e32 v7, v7
	v_xor_b32_e32 v9, v1, v4
	s_delay_alu instid0(VALU_DEP_2) | instskip(NEXT) | instid1(VALU_DEP_1)
	v_xor_b32_e32 v8, v7, v4
	v_sub_nc_u64_e32 v[4:5], v[8:9], v[4:5]
.LBB46_1004:
	s_mov_b32 s0, 0
.LBB46_1005:
	s_delay_alu instid0(SALU_CYCLE_1)
	s_and_not1_b32 vcc_lo, exec_lo, s0
	s_cbranch_vccnz .LBB46_1007
; %bb.1006:
	global_load_b32 v1, v[2:3], off
	s_wait_loadcnt 0x0
	v_cvt_f32_f16_e32 v1, v1
	s_delay_alu instid0(VALU_DEP_1) | instskip(NEXT) | instid1(VALU_DEP_1)
	v_cvt_i32_f32_e32 v4, v1
	v_ashrrev_i32_e32 v5, 31, v4
.LBB46_1007:
	s_cbranch_execnz .LBB46_1018
.LBB46_1008:
	s_cmp_lt_i32 s17, 6
	s_cbranch_scc1 .LBB46_1011
; %bb.1009:
	s_cmp_gt_i32 s17, 6
	s_cbranch_scc0 .LBB46_1012
; %bb.1010:
	s_wait_loadcnt 0x0
	global_load_b64 v[4:5], v[2:3], off
	s_mov_b32 s0, 0
	s_wait_loadcnt 0x0
	v_trunc_f64_e32 v[4:5], v[4:5]
	s_delay_alu instid0(VALU_DEP_1) | instskip(NEXT) | instid1(VALU_DEP_1)
	v_ldexp_f64 v[8:9], v[4:5], 0xffffffe0
	v_floor_f64_e32 v[8:9], v[8:9]
	s_delay_alu instid0(VALU_DEP_1) | instskip(SKIP_1) | instid1(VALU_DEP_2)
	v_fmamk_f64 v[10:11], v[8:9], 0xc1f00000, v[4:5]
	v_cvt_i32_f64_e32 v5, v[8:9]
	v_cvt_u32_f64_e32 v4, v[10:11]
	s_branch .LBB46_1013
.LBB46_1011:
	s_mov_b32 s0, -1
                                        ; implicit-def: $vgpr4_vgpr5
	s_branch .LBB46_1016
.LBB46_1012:
	s_mov_b32 s0, -1
                                        ; implicit-def: $vgpr4_vgpr5
.LBB46_1013:
	s_delay_alu instid0(SALU_CYCLE_1)
	s_and_not1_b32 vcc_lo, exec_lo, s0
	s_cbranch_vccnz .LBB46_1015
; %bb.1014:
	global_load_b32 v1, v[2:3], off
	s_wait_loadcnt 0x0
	v_trunc_f32_e32 v1, v1
	s_delay_alu instid0(VALU_DEP_1) | instskip(NEXT) | instid1(VALU_DEP_1)
	v_mul_f32_e64 v4, 0x2f800000, |v1|
	v_floor_f32_e32 v5, v4
	v_ashrrev_i32_e32 v4, 31, v1
	s_delay_alu instid0(VALU_DEP_2) | instskip(SKIP_1) | instid1(VALU_DEP_3)
	v_fma_f32 v7, 0xcf800000, v5, |v1|
	v_cvt_u32_f32_e32 v1, v5
	v_mov_b32_e32 v5, v4
	s_delay_alu instid0(VALU_DEP_3) | instskip(NEXT) | instid1(VALU_DEP_3)
	v_cvt_u32_f32_e32 v7, v7
	v_xor_b32_e32 v9, v1, v4
	s_delay_alu instid0(VALU_DEP_2) | instskip(NEXT) | instid1(VALU_DEP_1)
	v_xor_b32_e32 v8, v7, v4
	v_sub_nc_u64_e32 v[4:5], v[8:9], v[4:5]
.LBB46_1015:
	s_mov_b32 s0, 0
.LBB46_1016:
	s_delay_alu instid0(SALU_CYCLE_1)
	s_and_not1_b32 vcc_lo, exec_lo, s0
	s_cbranch_vccnz .LBB46_1018
; %bb.1017:
	global_load_u16 v1, v[2:3], off
	s_wait_loadcnt 0x0
	v_cvt_f32_f16_e32 v1, v1
	s_delay_alu instid0(VALU_DEP_1) | instskip(NEXT) | instid1(VALU_DEP_1)
	v_cvt_i32_f32_e32 v4, v1
	v_ashrrev_i32_e32 v5, 31, v4
.LBB46_1018:
	s_cbranch_execnz .LBB46_1037
.LBB46_1019:
	s_cmp_lt_i32 s17, 2
	s_cbranch_scc1 .LBB46_1023
; %bb.1020:
	s_cmp_lt_i32 s17, 3
	s_cbranch_scc1 .LBB46_1024
; %bb.1021:
	s_cmp_gt_i32 s17, 3
	s_cbranch_scc0 .LBB46_1025
; %bb.1022:
	s_wait_loadcnt 0x0
	global_load_b64 v[4:5], v[2:3], off
	s_mov_b32 s0, 0
	s_branch .LBB46_1026
.LBB46_1023:
                                        ; implicit-def: $vgpr4_vgpr5
	s_branch .LBB46_1032
.LBB46_1024:
	s_mov_b32 s0, -1
                                        ; implicit-def: $vgpr4_vgpr5
	s_branch .LBB46_1029
.LBB46_1025:
	s_mov_b32 s0, -1
                                        ; implicit-def: $vgpr4_vgpr5
.LBB46_1026:
	s_delay_alu instid0(SALU_CYCLE_1)
	s_and_not1_b32 vcc_lo, exec_lo, s0
	s_cbranch_vccnz .LBB46_1028
; %bb.1027:
	s_wait_loadcnt 0x0
	global_load_b32 v4, v[2:3], off
	s_wait_loadcnt 0x0
	v_ashrrev_i32_e32 v5, 31, v4
.LBB46_1028:
	s_mov_b32 s0, 0
.LBB46_1029:
	s_delay_alu instid0(SALU_CYCLE_1)
	s_and_not1_b32 vcc_lo, exec_lo, s0
	s_cbranch_vccnz .LBB46_1031
; %bb.1030:
	global_load_u16 v1, v[2:3], off
	s_wait_loadcnt 0x0
	v_bfe_i32 v4, v1, 0, 16
	s_delay_alu instid0(VALU_DEP_1)
	v_ashrrev_i32_e32 v5, 31, v4
.LBB46_1031:
	s_cbranch_execnz .LBB46_1037
.LBB46_1032:
	s_cmp_gt_i32 s17, 0
	s_mov_b32 s0, 0
	s_cbranch_scc0 .LBB46_1034
; %bb.1033:
	global_load_i8 v1, v[2:3], off
	s_wait_loadcnt 0x0
	v_bfe_i32 v4, v1, 0, 16
	s_delay_alu instid0(VALU_DEP_1)
	v_ashrrev_i32_e32 v5, 31, v4
	s_branch .LBB46_1035
.LBB46_1034:
	s_mov_b32 s0, -1
                                        ; implicit-def: $vgpr4_vgpr5
.LBB46_1035:
	s_delay_alu instid0(SALU_CYCLE_1)
	s_and_not1_b32 vcc_lo, exec_lo, s0
	s_cbranch_vccnz .LBB46_1037
; %bb.1036:
	global_load_u8 v1, v[2:3], off
	s_mov_b32 s0, 0
	s_wait_loadcnt 0x1
	v_mov_b32_e32 v5, s0
	s_wait_loadcnt 0x0
	v_and_b32_e32 v4, 0xffff, v1
.LBB46_1037:
	s_branch .LBB46_904
.LBB46_1038:
	s_mov_b32 s16, 0
	s_mov_b32 s19, 0
                                        ; implicit-def: $sgpr0
                                        ; implicit-def: $vgpr2_vgpr3
	s_branch .LBB46_1728
.LBB46_1039:
	s_or_b32 s1, s15, exec_lo
	s_trap 2
	s_cbranch_execz .LBB46_991
	s_branch .LBB46_992
.LBB46_1040:
	s_mov_b32 s3, -1
	s_mov_b32 s18, 0
	s_mov_b32 s0, 0
	s_branch .LBB46_1043
.LBB46_1041:
	s_mov_b32 s18, -1
	s_mov_b32 s21, 0
	s_mov_b32 s0, 0
                                        ; implicit-def: $vgpr4_vgpr5
	s_branch .LBB46_1170
.LBB46_1042:
	s_mov_b32 s0, -1
	s_mov_b32 s18, 0
.LBB46_1043:
                                        ; implicit-def: $vgpr4_vgpr5
.LBB46_1044:
	s_and_b32 vcc_lo, exec_lo, s3
	s_cbranch_vccz .LBB46_1049
; %bb.1045:
	s_cmp_eq_u32 s17, 44
	s_cbranch_scc0 .LBB46_1048
; %bb.1046:
	global_load_u8 v1, v[2:3], off
	s_mov_b32 s0, 0
	s_mov_b32 s18, -1
	s_wait_loadcnt 0x0
	v_lshlrev_b32_e32 v4, 23, v1
	v_cmp_ne_u32_e32 vcc_lo, 0, v1
	s_delay_alu instid0(VALU_DEP_2) | instskip(NEXT) | instid1(VALU_DEP_1)
	v_trunc_f32_e32 v4, v4
	v_mul_f32_e64 v5, 0x2f800000, |v4|
	s_delay_alu instid0(VALU_DEP_1) | instskip(NEXT) | instid1(VALU_DEP_1)
	v_floor_f32_e32 v5, v5
	v_fma_f32 v7, 0xcf800000, v5, |v4|
	v_ashrrev_i32_e32 v4, 31, v4
	v_cvt_u32_f32_e32 v8, v5
	s_delay_alu instid0(VALU_DEP_3) | instskip(NEXT) | instid1(VALU_DEP_3)
	v_cvt_u32_f32_e32 v7, v7
	v_mov_b32_e32 v5, v4
	s_delay_alu instid0(VALU_DEP_3) | instskip(NEXT) | instid1(VALU_DEP_3)
	v_xor_b32_e32 v9, v8, v4
	v_xor_b32_e32 v8, v7, v4
	s_delay_alu instid0(VALU_DEP_1) | instskip(NEXT) | instid1(VALU_DEP_1)
	v_sub_nc_u64_e32 v[4:5], v[8:9], v[4:5]
	v_dual_cndmask_b32 v5, 0, v5 :: v_dual_cndmask_b32 v4, 0, v4
	s_branch .LBB46_1049
.LBB46_1047:
	s_mov_b32 s18, -1
	s_mov_b32 s21, 0
	s_mov_b32 s0, 0
                                        ; implicit-def: $vgpr4_vgpr5
	s_branch .LBB46_1165
.LBB46_1048:
	s_mov_b32 s0, -1
                                        ; implicit-def: $vgpr4_vgpr5
.LBB46_1049:
	s_mov_b32 s3, 0
.LBB46_1050:
	s_delay_alu instid0(SALU_CYCLE_1)
	s_and_b32 vcc_lo, exec_lo, s3
	s_cbranch_vccz .LBB46_1054
; %bb.1051:
	s_cmp_eq_u32 s17, 29
	s_cbranch_scc0 .LBB46_1053
; %bb.1052:
	global_load_b64 v[4:5], v[2:3], off
	s_mov_b32 s0, 0
	s_mov_b32 s18, -1
	s_branch .LBB46_1054
.LBB46_1053:
	s_mov_b32 s0, -1
                                        ; implicit-def: $vgpr4_vgpr5
.LBB46_1054:
	s_mov_b32 s3, 0
.LBB46_1055:
	s_delay_alu instid0(SALU_CYCLE_1)
	s_and_b32 vcc_lo, exec_lo, s3
	s_cbranch_vccz .LBB46_1071
; %bb.1056:
	s_cmp_lt_i32 s17, 27
	s_cbranch_scc1 .LBB46_1059
; %bb.1057:
	s_cmp_gt_i32 s17, 27
	s_cbranch_scc0 .LBB46_1060
; %bb.1058:
	s_wait_loadcnt 0x0
	global_load_b32 v4, v[2:3], off
	v_mov_b32_e32 v5, 0
	s_mov_b32 s3, 0
	s_branch .LBB46_1061
.LBB46_1059:
	s_mov_b32 s3, -1
                                        ; implicit-def: $vgpr4_vgpr5
	s_branch .LBB46_1064
.LBB46_1060:
	s_mov_b32 s3, -1
                                        ; implicit-def: $vgpr4_vgpr5
.LBB46_1061:
	s_delay_alu instid0(SALU_CYCLE_1)
	s_and_not1_b32 vcc_lo, exec_lo, s3
	s_cbranch_vccnz .LBB46_1063
; %bb.1062:
	global_load_u16 v1, v[2:3], off
	s_mov_b32 s3, 0
	s_wait_loadcnt 0x1
	v_mov_b32_e32 v5, s3
	s_wait_loadcnt 0x0
	v_and_b32_e32 v4, 0xffff, v1
.LBB46_1063:
	s_mov_b32 s3, 0
.LBB46_1064:
	s_delay_alu instid0(SALU_CYCLE_1)
	s_and_not1_b32 vcc_lo, exec_lo, s3
	s_cbranch_vccnz .LBB46_1070
; %bb.1065:
	global_load_u8 v1, v[2:3], off
	s_mov_b32 s18, 0
	s_mov_b32 s3, exec_lo
	s_wait_loadcnt 0x0
	v_cmpx_lt_i16_e32 0x7f, v1
	s_xor_b32 s3, exec_lo, s3
	s_cbranch_execz .LBB46_1082
; %bb.1066:
	v_cmp_ne_u16_e32 vcc_lo, 0x80, v1
	s_and_b32 s18, vcc_lo, exec_lo
	s_and_not1_saveexec_b32 s3, s3
	s_cbranch_execnz .LBB46_1083
.LBB46_1067:
	s_or_b32 exec_lo, exec_lo, s3
	v_mov_b64_e32 v[4:5], 0
	s_and_saveexec_b32 s3, s18
	s_cbranch_execz .LBB46_1069
.LBB46_1068:
	v_and_b32_e32 v4, 0xffff, v1
	s_delay_alu instid0(VALU_DEP_1) | instskip(SKIP_1) | instid1(VALU_DEP_2)
	v_and_b32_e32 v5, 7, v4
	v_bfe_u32 v9, v4, 3, 4
	v_clz_i32_u32_e32 v7, v5
	s_delay_alu instid0(VALU_DEP_2) | instskip(NEXT) | instid1(VALU_DEP_2)
	v_cmp_eq_u32_e32 vcc_lo, 0, v9
	v_min_u32_e32 v7, 32, v7
	s_delay_alu instid0(VALU_DEP_1) | instskip(NEXT) | instid1(VALU_DEP_1)
	v_subrev_nc_u32_e32 v8, 28, v7
	v_dual_lshlrev_b32 v4, v8, v4 :: v_dual_sub_nc_u32 v7, 29, v7
	s_delay_alu instid0(VALU_DEP_1) | instskip(NEXT) | instid1(VALU_DEP_2)
	v_dual_lshlrev_b32 v1, 24, v1 :: v_dual_bitop2_b32 v4, 7, v4 bitop3:0x40
	v_cndmask_b32_e32 v7, v9, v7, vcc_lo
	s_delay_alu instid0(VALU_DEP_2) | instskip(NEXT) | instid1(VALU_DEP_3)
	v_cndmask_b32_e32 v4, v5, v4, vcc_lo
	v_and_b32_e32 v1, 0x80000000, v1
	s_delay_alu instid0(VALU_DEP_3) | instskip(NEXT) | instid1(VALU_DEP_3)
	v_lshl_add_u32 v5, v7, 23, 0x3b800000
	v_lshlrev_b32_e32 v4, 20, v4
	s_delay_alu instid0(VALU_DEP_1) | instskip(NEXT) | instid1(VALU_DEP_1)
	v_or3_b32 v1, v1, v5, v4
	v_trunc_f32_e32 v1, v1
	s_delay_alu instid0(VALU_DEP_1) | instskip(NEXT) | instid1(VALU_DEP_1)
	v_mul_f32_e64 v4, 0x2f800000, |v1|
	v_floor_f32_e32 v5, v4
	v_ashrrev_i32_e32 v4, 31, v1
	s_delay_alu instid0(VALU_DEP_2) | instskip(SKIP_1) | instid1(VALU_DEP_3)
	v_fma_f32 v7, 0xcf800000, v5, |v1|
	v_cvt_u32_f32_e32 v1, v5
	v_mov_b32_e32 v5, v4
	s_delay_alu instid0(VALU_DEP_3) | instskip(NEXT) | instid1(VALU_DEP_3)
	v_cvt_u32_f32_e32 v7, v7
	v_xor_b32_e32 v9, v1, v4
	s_delay_alu instid0(VALU_DEP_2) | instskip(NEXT) | instid1(VALU_DEP_1)
	v_xor_b32_e32 v8, v7, v4
	v_sub_nc_u64_e32 v[4:5], v[8:9], v[4:5]
.LBB46_1069:
	s_or_b32 exec_lo, exec_lo, s3
.LBB46_1070:
	s_mov_b32 s18, -1
.LBB46_1071:
	s_mov_b32 s3, 0
.LBB46_1072:
	s_delay_alu instid0(SALU_CYCLE_1)
	s_and_b32 vcc_lo, exec_lo, s3
	s_cbranch_vccz .LBB46_1103
; %bb.1073:
	s_cmp_gt_i32 s17, 22
	s_cbranch_scc0 .LBB46_1081
; %bb.1074:
	s_cmp_lt_i32 s17, 24
	s_cbranch_scc1 .LBB46_1084
; %bb.1075:
	s_cmp_gt_i32 s17, 24
	s_cbranch_scc0 .LBB46_1085
; %bb.1076:
	global_load_u8 v1, v[2:3], off
	s_mov_b32 s3, exec_lo
	s_wait_loadcnt 0x0
	v_cmpx_lt_i16_e32 0x7f, v1
	s_xor_b32 s3, exec_lo, s3
	s_cbranch_execz .LBB46_1097
; %bb.1077:
	v_cmp_ne_u16_e32 vcc_lo, 0x80, v1
	s_and_b32 s16, vcc_lo, exec_lo
	s_and_not1_saveexec_b32 s3, s3
	s_cbranch_execnz .LBB46_1098
.LBB46_1078:
	s_or_b32 exec_lo, exec_lo, s3
	v_mov_b64_e32 v[4:5], 0
	s_and_saveexec_b32 s3, s16
	s_cbranch_execz .LBB46_1080
.LBB46_1079:
	v_and_b32_e32 v4, 0xffff, v1
	s_delay_alu instid0(VALU_DEP_1) | instskip(SKIP_1) | instid1(VALU_DEP_2)
	v_and_b32_e32 v5, 3, v4
	v_bfe_u32 v9, v4, 2, 5
	v_clz_i32_u32_e32 v7, v5
	s_delay_alu instid0(VALU_DEP_2) | instskip(NEXT) | instid1(VALU_DEP_2)
	v_cmp_eq_u32_e32 vcc_lo, 0, v9
	v_min_u32_e32 v7, 32, v7
	s_delay_alu instid0(VALU_DEP_1) | instskip(NEXT) | instid1(VALU_DEP_1)
	v_subrev_nc_u32_e32 v8, 29, v7
	v_dual_lshlrev_b32 v4, v8, v4 :: v_dual_sub_nc_u32 v7, 30, v7
	s_delay_alu instid0(VALU_DEP_1) | instskip(NEXT) | instid1(VALU_DEP_2)
	v_dual_lshlrev_b32 v1, 24, v1 :: v_dual_bitop2_b32 v4, 3, v4 bitop3:0x40
	v_cndmask_b32_e32 v7, v9, v7, vcc_lo
	s_delay_alu instid0(VALU_DEP_2) | instskip(NEXT) | instid1(VALU_DEP_3)
	v_cndmask_b32_e32 v4, v5, v4, vcc_lo
	v_and_b32_e32 v1, 0x80000000, v1
	s_delay_alu instid0(VALU_DEP_3) | instskip(NEXT) | instid1(VALU_DEP_3)
	v_lshl_add_u32 v5, v7, 23, 0x37800000
	v_lshlrev_b32_e32 v4, 21, v4
	s_delay_alu instid0(VALU_DEP_1) | instskip(NEXT) | instid1(VALU_DEP_1)
	v_or3_b32 v1, v1, v5, v4
	v_trunc_f32_e32 v1, v1
	s_delay_alu instid0(VALU_DEP_1) | instskip(NEXT) | instid1(VALU_DEP_1)
	v_mul_f32_e64 v4, 0x2f800000, |v1|
	v_floor_f32_e32 v5, v4
	v_ashrrev_i32_e32 v4, 31, v1
	s_delay_alu instid0(VALU_DEP_2) | instskip(SKIP_1) | instid1(VALU_DEP_3)
	v_fma_f32 v7, 0xcf800000, v5, |v1|
	v_cvt_u32_f32_e32 v1, v5
	v_mov_b32_e32 v5, v4
	s_delay_alu instid0(VALU_DEP_3) | instskip(NEXT) | instid1(VALU_DEP_3)
	v_cvt_u32_f32_e32 v7, v7
	v_xor_b32_e32 v9, v1, v4
	s_delay_alu instid0(VALU_DEP_2) | instskip(NEXT) | instid1(VALU_DEP_1)
	v_xor_b32_e32 v8, v7, v4
	v_sub_nc_u64_e32 v[4:5], v[8:9], v[4:5]
.LBB46_1080:
	s_or_b32 exec_lo, exec_lo, s3
	s_mov_b32 s3, 0
	s_branch .LBB46_1086
.LBB46_1081:
	s_mov_b32 s3, -1
                                        ; implicit-def: $vgpr4_vgpr5
	s_branch .LBB46_1092
.LBB46_1082:
	s_and_not1_saveexec_b32 s3, s3
	s_cbranch_execz .LBB46_1067
.LBB46_1083:
	v_cmp_ne_u16_e32 vcc_lo, 0, v1
	s_and_not1_b32 s18, s18, exec_lo
	s_and_b32 s19, vcc_lo, exec_lo
	s_delay_alu instid0(SALU_CYCLE_1)
	s_or_b32 s18, s18, s19
	s_or_b32 exec_lo, exec_lo, s3
	v_mov_b64_e32 v[4:5], 0
	s_and_saveexec_b32 s3, s18
	s_cbranch_execnz .LBB46_1068
	s_branch .LBB46_1069
.LBB46_1084:
	s_mov_b32 s3, -1
                                        ; implicit-def: $vgpr4_vgpr5
	s_branch .LBB46_1089
.LBB46_1085:
	s_mov_b32 s3, -1
                                        ; implicit-def: $vgpr4_vgpr5
.LBB46_1086:
	s_delay_alu instid0(SALU_CYCLE_1)
	s_and_b32 vcc_lo, exec_lo, s3
	s_cbranch_vccz .LBB46_1088
; %bb.1087:
	global_load_u8 v1, v[2:3], off
	s_wait_loadcnt 0x0
	v_lshlrev_b32_e32 v1, 24, v1
	s_delay_alu instid0(VALU_DEP_1) | instskip(NEXT) | instid1(VALU_DEP_1)
	v_and_b32_e32 v4, 0x7f000000, v1
	v_clz_i32_u32_e32 v5, v4
	v_add_nc_u32_e32 v8, 0x1000000, v4
	v_cmp_ne_u32_e32 vcc_lo, 0, v4
	s_delay_alu instid0(VALU_DEP_3) | instskip(NEXT) | instid1(VALU_DEP_1)
	v_min_u32_e32 v5, 32, v5
	v_sub_nc_u32_e64 v5, v5, 4 clamp
	s_delay_alu instid0(VALU_DEP_1) | instskip(NEXT) | instid1(VALU_DEP_1)
	v_dual_lshlrev_b32 v7, v5, v4 :: v_dual_lshlrev_b32 v5, 23, v5
	v_lshrrev_b32_e32 v7, 4, v7
	s_delay_alu instid0(VALU_DEP_1) | instskip(NEXT) | instid1(VALU_DEP_1)
	v_dual_sub_nc_u32 v5, v7, v5 :: v_dual_ashrrev_i32 v7, 8, v8
	v_add_nc_u32_e32 v5, 0x3c000000, v5
	s_delay_alu instid0(VALU_DEP_1) | instskip(NEXT) | instid1(VALU_DEP_1)
	v_and_or_b32 v5, 0x7f800000, v7, v5
	v_cndmask_b32_e32 v4, 0, v5, vcc_lo
	s_delay_alu instid0(VALU_DEP_1) | instskip(NEXT) | instid1(VALU_DEP_1)
	v_and_or_b32 v1, 0x80000000, v1, v4
	v_trunc_f32_e32 v1, v1
	s_delay_alu instid0(VALU_DEP_1) | instskip(NEXT) | instid1(VALU_DEP_1)
	v_mul_f32_e64 v4, 0x2f800000, |v1|
	v_floor_f32_e32 v5, v4
	v_ashrrev_i32_e32 v4, 31, v1
	s_delay_alu instid0(VALU_DEP_2) | instskip(SKIP_1) | instid1(VALU_DEP_3)
	v_fma_f32 v7, 0xcf800000, v5, |v1|
	v_cvt_u32_f32_e32 v1, v5
	v_mov_b32_e32 v5, v4
	s_delay_alu instid0(VALU_DEP_3) | instskip(NEXT) | instid1(VALU_DEP_3)
	v_cvt_u32_f32_e32 v7, v7
	v_xor_b32_e32 v9, v1, v4
	s_delay_alu instid0(VALU_DEP_2) | instskip(NEXT) | instid1(VALU_DEP_1)
	v_xor_b32_e32 v8, v7, v4
	v_sub_nc_u64_e32 v[4:5], v[8:9], v[4:5]
.LBB46_1088:
	s_mov_b32 s3, 0
.LBB46_1089:
	s_delay_alu instid0(SALU_CYCLE_1)
	s_and_not1_b32 vcc_lo, exec_lo, s3
	s_cbranch_vccnz .LBB46_1091
; %bb.1090:
	global_load_u8 v1, v[2:3], off
	s_wait_loadcnt 0x0
	v_lshlrev_b32_e32 v4, 25, v1
	v_lshlrev_b16 v1, 8, v1
	s_delay_alu instid0(VALU_DEP_1) | instskip(SKIP_1) | instid1(VALU_DEP_2)
	v_and_or_b32 v7, 0x7f00, v1, 0.5
	v_bfe_i32 v1, v1, 0, 16
	v_dual_add_f32 v7, -0.5, v7 :: v_dual_lshrrev_b32 v5, 4, v4
	v_cmp_gt_u32_e32 vcc_lo, 0x8000000, v4
	s_delay_alu instid0(VALU_DEP_2) | instskip(NEXT) | instid1(VALU_DEP_1)
	v_or_b32_e32 v5, 0x70000000, v5
	v_mul_f32_e32 v5, 0x7800000, v5
	s_delay_alu instid0(VALU_DEP_1) | instskip(NEXT) | instid1(VALU_DEP_1)
	v_cndmask_b32_e32 v4, v5, v7, vcc_lo
	v_and_or_b32 v1, 0x80000000, v1, v4
	s_delay_alu instid0(VALU_DEP_1) | instskip(NEXT) | instid1(VALU_DEP_1)
	v_trunc_f32_e32 v1, v1
	v_mul_f32_e64 v4, 0x2f800000, |v1|
	s_delay_alu instid0(VALU_DEP_1) | instskip(SKIP_1) | instid1(VALU_DEP_2)
	v_floor_f32_e32 v5, v4
	v_ashrrev_i32_e32 v4, 31, v1
	v_fma_f32 v7, 0xcf800000, v5, |v1|
	v_cvt_u32_f32_e32 v1, v5
	s_delay_alu instid0(VALU_DEP_3) | instskip(NEXT) | instid1(VALU_DEP_3)
	v_mov_b32_e32 v5, v4
	v_cvt_u32_f32_e32 v7, v7
	s_delay_alu instid0(VALU_DEP_3) | instskip(NEXT) | instid1(VALU_DEP_2)
	v_xor_b32_e32 v9, v1, v4
	v_xor_b32_e32 v8, v7, v4
	s_delay_alu instid0(VALU_DEP_1)
	v_sub_nc_u64_e32 v[4:5], v[8:9], v[4:5]
.LBB46_1091:
	s_mov_b32 s3, 0
	s_mov_b32 s18, -1
.LBB46_1092:
	s_and_not1_b32 vcc_lo, exec_lo, s3
	s_mov_b32 s16, 0
	s_cbranch_vccnz .LBB46_1103
; %bb.1093:
	s_cmp_gt_i32 s17, 14
	s_cbranch_scc0 .LBB46_1096
; %bb.1094:
	s_cmp_eq_u32 s17, 15
	s_cbranch_scc0 .LBB46_1099
; %bb.1095:
	global_load_u16 v1, v[2:3], off
	s_mov_b32 s0, 0
	s_mov_b32 s18, -1
	s_wait_loadcnt 0x0
	v_lshlrev_b32_e32 v1, 16, v1
	s_delay_alu instid0(VALU_DEP_1) | instskip(NEXT) | instid1(VALU_DEP_1)
	v_trunc_f32_e32 v1, v1
	v_mul_f32_e64 v4, 0x2f800000, |v1|
	s_delay_alu instid0(VALU_DEP_1) | instskip(SKIP_1) | instid1(VALU_DEP_2)
	v_floor_f32_e32 v5, v4
	v_ashrrev_i32_e32 v4, 31, v1
	v_fma_f32 v7, 0xcf800000, v5, |v1|
	v_cvt_u32_f32_e32 v1, v5
	s_delay_alu instid0(VALU_DEP_3) | instskip(NEXT) | instid1(VALU_DEP_3)
	v_mov_b32_e32 v5, v4
	v_cvt_u32_f32_e32 v7, v7
	s_delay_alu instid0(VALU_DEP_3) | instskip(NEXT) | instid1(VALU_DEP_2)
	v_xor_b32_e32 v9, v1, v4
	v_xor_b32_e32 v8, v7, v4
	s_delay_alu instid0(VALU_DEP_1)
	v_sub_nc_u64_e32 v[4:5], v[8:9], v[4:5]
	s_branch .LBB46_1100
.LBB46_1096:
	s_mov_b32 s3, -1
                                        ; implicit-def: $vgpr4_vgpr5
	s_branch .LBB46_1101
.LBB46_1097:
	s_and_not1_saveexec_b32 s3, s3
	s_cbranch_execz .LBB46_1078
.LBB46_1098:
	v_cmp_ne_u16_e32 vcc_lo, 0, v1
	s_and_not1_b32 s16, s16, exec_lo
	s_and_b32 s18, vcc_lo, exec_lo
	s_delay_alu instid0(SALU_CYCLE_1)
	s_or_b32 s16, s16, s18
	s_or_b32 exec_lo, exec_lo, s3
	v_mov_b64_e32 v[4:5], 0
	s_and_saveexec_b32 s3, s16
	s_cbranch_execnz .LBB46_1079
	s_branch .LBB46_1080
.LBB46_1099:
	s_mov_b32 s0, -1
                                        ; implicit-def: $vgpr4_vgpr5
.LBB46_1100:
	s_mov_b32 s3, 0
.LBB46_1101:
	s_delay_alu instid0(SALU_CYCLE_1)
	s_and_b32 vcc_lo, exec_lo, s3
	s_cbranch_vccz .LBB46_1103
; %bb.1102:
	s_cmp_lg_u32 s17, 11
	s_mov_b32 s16, -1
	s_cselect_b32 s0, -1, 0
.LBB46_1103:
	s_delay_alu instid0(SALU_CYCLE_1)
	s_and_b32 vcc_lo, exec_lo, s0
	s_mov_b32 s3, s1
	s_cbranch_vccnz .LBB46_1156
; %bb.1104:
	s_and_not1_b32 vcc_lo, exec_lo, s16
	s_cbranch_vccnz .LBB46_1106
.LBB46_1105:
	global_load_u8 v1, v[2:3], off
	s_mov_b32 s0, 0
	s_mov_b32 s18, -1
	s_wait_loadcnt 0x1
	v_mov_b32_e32 v5, s0
	s_wait_loadcnt 0x0
	v_cmp_ne_u16_e32 vcc_lo, 0, v1
	v_cndmask_b32_e64 v4, 0, 1, vcc_lo
.LBB46_1106:
	s_branch .LBB46_916
.LBB46_1107:
	s_cmp_lt_i32 s17, 5
	s_cbranch_scc1 .LBB46_1112
; %bb.1108:
	s_cmp_lt_i32 s17, 8
	s_cbranch_scc1 .LBB46_1113
; %bb.1109:
	;; [unrolled: 3-line block ×3, first 2 shown]
	s_cmp_gt_i32 s17, 9
	s_cbranch_scc0 .LBB46_1115
; %bb.1111:
	s_wait_loadcnt 0x0
	global_load_b64 v[4:5], v[2:3], off
	s_mov_b32 s0, 0
	s_wait_loadcnt 0x0
	v_trunc_f64_e32 v[4:5], v[4:5]
	s_delay_alu instid0(VALU_DEP_1) | instskip(NEXT) | instid1(VALU_DEP_1)
	v_ldexp_f64 v[8:9], v[4:5], 0xffffffe0
	v_floor_f64_e32 v[8:9], v[8:9]
	s_delay_alu instid0(VALU_DEP_1) | instskip(SKIP_1) | instid1(VALU_DEP_2)
	v_fmamk_f64 v[10:11], v[8:9], 0xc1f00000, v[4:5]
	v_cvt_i32_f64_e32 v5, v[8:9]
	v_cvt_u32_f64_e32 v4, v[10:11]
	s_branch .LBB46_1116
.LBB46_1112:
	s_mov_b32 s0, -1
                                        ; implicit-def: $vgpr4_vgpr5
	s_branch .LBB46_1134
.LBB46_1113:
	s_mov_b32 s0, -1
                                        ; implicit-def: $vgpr4_vgpr5
	s_branch .LBB46_1122
.LBB46_1114:
	s_mov_b32 s0, -1
                                        ; implicit-def: $vgpr4_vgpr5
	s_branch .LBB46_1119
.LBB46_1115:
	s_mov_b32 s0, -1
                                        ; implicit-def: $vgpr4_vgpr5
.LBB46_1116:
	s_delay_alu instid0(SALU_CYCLE_1)
	s_and_not1_b32 vcc_lo, exec_lo, s0
	s_cbranch_vccnz .LBB46_1118
; %bb.1117:
	global_load_b32 v1, v[2:3], off
	s_wait_loadcnt 0x0
	v_trunc_f32_e32 v1, v1
	s_delay_alu instid0(VALU_DEP_1) | instskip(NEXT) | instid1(VALU_DEP_1)
	v_mul_f32_e64 v4, 0x2f800000, |v1|
	v_floor_f32_e32 v5, v4
	v_ashrrev_i32_e32 v4, 31, v1
	s_delay_alu instid0(VALU_DEP_2) | instskip(SKIP_1) | instid1(VALU_DEP_3)
	v_fma_f32 v7, 0xcf800000, v5, |v1|
	v_cvt_u32_f32_e32 v1, v5
	v_mov_b32_e32 v5, v4
	s_delay_alu instid0(VALU_DEP_3) | instskip(NEXT) | instid1(VALU_DEP_3)
	v_cvt_u32_f32_e32 v7, v7
	v_xor_b32_e32 v9, v1, v4
	s_delay_alu instid0(VALU_DEP_2) | instskip(NEXT) | instid1(VALU_DEP_1)
	v_xor_b32_e32 v8, v7, v4
	v_sub_nc_u64_e32 v[4:5], v[8:9], v[4:5]
.LBB46_1118:
	s_mov_b32 s0, 0
.LBB46_1119:
	s_delay_alu instid0(SALU_CYCLE_1)
	s_and_not1_b32 vcc_lo, exec_lo, s0
	s_cbranch_vccnz .LBB46_1121
; %bb.1120:
	global_load_b32 v1, v[2:3], off
	s_wait_loadcnt 0x0
	v_cvt_f32_f16_e32 v1, v1
	s_delay_alu instid0(VALU_DEP_1) | instskip(NEXT) | instid1(VALU_DEP_1)
	v_cvt_i32_f32_e32 v4, v1
	v_ashrrev_i32_e32 v5, 31, v4
.LBB46_1121:
	s_mov_b32 s0, 0
.LBB46_1122:
	s_delay_alu instid0(SALU_CYCLE_1)
	s_and_not1_b32 vcc_lo, exec_lo, s0
	s_cbranch_vccnz .LBB46_1133
; %bb.1123:
	s_cmp_lt_i32 s17, 6
	s_cbranch_scc1 .LBB46_1126
; %bb.1124:
	s_cmp_gt_i32 s17, 6
	s_cbranch_scc0 .LBB46_1127
; %bb.1125:
	s_wait_loadcnt 0x0
	global_load_b64 v[4:5], v[2:3], off
	s_mov_b32 s0, 0
	s_wait_loadcnt 0x0
	v_trunc_f64_e32 v[4:5], v[4:5]
	s_delay_alu instid0(VALU_DEP_1) | instskip(NEXT) | instid1(VALU_DEP_1)
	v_ldexp_f64 v[8:9], v[4:5], 0xffffffe0
	v_floor_f64_e32 v[8:9], v[8:9]
	s_delay_alu instid0(VALU_DEP_1) | instskip(SKIP_1) | instid1(VALU_DEP_2)
	v_fmamk_f64 v[10:11], v[8:9], 0xc1f00000, v[4:5]
	v_cvt_i32_f64_e32 v5, v[8:9]
	v_cvt_u32_f64_e32 v4, v[10:11]
	s_branch .LBB46_1128
.LBB46_1126:
	s_mov_b32 s0, -1
                                        ; implicit-def: $vgpr4_vgpr5
	s_branch .LBB46_1131
.LBB46_1127:
	s_mov_b32 s0, -1
                                        ; implicit-def: $vgpr4_vgpr5
.LBB46_1128:
	s_delay_alu instid0(SALU_CYCLE_1)
	s_and_not1_b32 vcc_lo, exec_lo, s0
	s_cbranch_vccnz .LBB46_1130
; %bb.1129:
	global_load_b32 v1, v[2:3], off
	s_wait_loadcnt 0x0
	v_trunc_f32_e32 v1, v1
	s_delay_alu instid0(VALU_DEP_1) | instskip(NEXT) | instid1(VALU_DEP_1)
	v_mul_f32_e64 v4, 0x2f800000, |v1|
	v_floor_f32_e32 v5, v4
	v_ashrrev_i32_e32 v4, 31, v1
	s_delay_alu instid0(VALU_DEP_2) | instskip(SKIP_1) | instid1(VALU_DEP_3)
	v_fma_f32 v7, 0xcf800000, v5, |v1|
	v_cvt_u32_f32_e32 v1, v5
	v_mov_b32_e32 v5, v4
	s_delay_alu instid0(VALU_DEP_3) | instskip(NEXT) | instid1(VALU_DEP_3)
	v_cvt_u32_f32_e32 v7, v7
	v_xor_b32_e32 v9, v1, v4
	s_delay_alu instid0(VALU_DEP_2) | instskip(NEXT) | instid1(VALU_DEP_1)
	v_xor_b32_e32 v8, v7, v4
	v_sub_nc_u64_e32 v[4:5], v[8:9], v[4:5]
.LBB46_1130:
	s_mov_b32 s0, 0
.LBB46_1131:
	s_delay_alu instid0(SALU_CYCLE_1)
	s_and_not1_b32 vcc_lo, exec_lo, s0
	s_cbranch_vccnz .LBB46_1133
; %bb.1132:
	global_load_u16 v1, v[2:3], off
	s_wait_loadcnt 0x0
	v_cvt_f32_f16_e32 v1, v1
	s_delay_alu instid0(VALU_DEP_1) | instskip(NEXT) | instid1(VALU_DEP_1)
	v_cvt_i32_f32_e32 v4, v1
	v_ashrrev_i32_e32 v5, 31, v4
.LBB46_1133:
	s_mov_b32 s0, 0
.LBB46_1134:
	s_delay_alu instid0(SALU_CYCLE_1)
	s_and_not1_b32 vcc_lo, exec_lo, s0
	s_cbranch_vccnz .LBB46_1154
; %bb.1135:
	s_cmp_lt_i32 s17, 2
	s_cbranch_scc1 .LBB46_1139
; %bb.1136:
	s_cmp_lt_i32 s17, 3
	s_cbranch_scc1 .LBB46_1140
; %bb.1137:
	s_cmp_gt_i32 s17, 3
	s_cbranch_scc0 .LBB46_1141
; %bb.1138:
	s_wait_loadcnt 0x0
	global_load_b64 v[4:5], v[2:3], off
	s_mov_b32 s0, 0
	s_branch .LBB46_1142
.LBB46_1139:
	s_mov_b32 s0, -1
                                        ; implicit-def: $vgpr4_vgpr5
	s_branch .LBB46_1148
.LBB46_1140:
	s_mov_b32 s0, -1
                                        ; implicit-def: $vgpr4_vgpr5
	s_branch .LBB46_1145
.LBB46_1141:
	s_mov_b32 s0, -1
                                        ; implicit-def: $vgpr4_vgpr5
.LBB46_1142:
	s_delay_alu instid0(SALU_CYCLE_1)
	s_and_not1_b32 vcc_lo, exec_lo, s0
	s_cbranch_vccnz .LBB46_1144
; %bb.1143:
	s_wait_loadcnt 0x0
	global_load_b32 v4, v[2:3], off
	s_wait_loadcnt 0x0
	v_ashrrev_i32_e32 v5, 31, v4
.LBB46_1144:
	s_mov_b32 s0, 0
.LBB46_1145:
	s_delay_alu instid0(SALU_CYCLE_1)
	s_and_not1_b32 vcc_lo, exec_lo, s0
	s_cbranch_vccnz .LBB46_1147
; %bb.1146:
	global_load_u16 v1, v[2:3], off
	s_wait_loadcnt 0x0
	v_bfe_i32 v4, v1, 0, 16
	s_delay_alu instid0(VALU_DEP_1)
	v_ashrrev_i32_e32 v5, 31, v4
.LBB46_1147:
	s_mov_b32 s0, 0
.LBB46_1148:
	s_delay_alu instid0(SALU_CYCLE_1)
	s_and_not1_b32 vcc_lo, exec_lo, s0
	s_cbranch_vccnz .LBB46_1154
; %bb.1149:
	s_cmp_gt_i32 s17, 0
	s_mov_b32 s0, 0
	s_cbranch_scc0 .LBB46_1151
; %bb.1150:
	global_load_i8 v1, v[2:3], off
	s_wait_loadcnt 0x0
	v_bfe_i32 v4, v1, 0, 16
	s_delay_alu instid0(VALU_DEP_1)
	v_ashrrev_i32_e32 v5, 31, v4
	s_branch .LBB46_1152
.LBB46_1151:
	s_mov_b32 s0, -1
                                        ; implicit-def: $vgpr4_vgpr5
.LBB46_1152:
	s_delay_alu instid0(SALU_CYCLE_1)
	s_and_not1_b32 vcc_lo, exec_lo, s0
	s_cbranch_vccnz .LBB46_1154
; %bb.1153:
	global_load_u8 v1, v[2:3], off
	s_mov_b32 s0, 0
	s_wait_loadcnt 0x1
	v_mov_b32_e32 v5, s0
	s_wait_loadcnt 0x0
	v_and_b32_e32 v4, 0xffff, v1
.LBB46_1154:
	s_branch .LBB46_917
.LBB46_1155:
	s_mov_b32 s18, 0
	s_mov_b32 s19, 0
                                        ; implicit-def: $sgpr0
                                        ; implicit-def: $vgpr2_vgpr3
	s_branch .LBB46_1726
.LBB46_1156:
	s_or_b32 s3, s1, exec_lo
	s_trap 2
	s_cbranch_execz .LBB46_1105
	s_branch .LBB46_1106
.LBB46_1157:
	s_mov_b32 s18, -1
	s_mov_b32 s21, 0
	s_mov_b32 s0, 0
	s_branch .LBB46_1159
.LBB46_1158:
	s_mov_b32 s0, -1
	s_mov_b32 s21, 0
.LBB46_1159:
                                        ; implicit-def: $vgpr4_vgpr5
.LBB46_1160:
	s_and_b32 vcc_lo, exec_lo, s18
	s_cbranch_vccz .LBB46_1164
; %bb.1161:
	s_cmp_eq_u32 s17, 44
	s_cbranch_scc0 .LBB46_1163
; %bb.1162:
	global_load_u8 v1, v[2:3], off
	s_mov_b32 s0, 0
	s_mov_b32 s21, -1
	s_wait_loadcnt 0x0
	v_lshlrev_b32_e32 v4, 23, v1
	v_cmp_ne_u32_e32 vcc_lo, 0, v1
	s_delay_alu instid0(VALU_DEP_2) | instskip(NEXT) | instid1(VALU_DEP_1)
	v_trunc_f32_e32 v4, v4
	v_mul_f32_e64 v5, 0x2f800000, |v4|
	s_delay_alu instid0(VALU_DEP_1) | instskip(NEXT) | instid1(VALU_DEP_1)
	v_floor_f32_e32 v5, v5
	v_fma_f32 v7, 0xcf800000, v5, |v4|
	v_ashrrev_i32_e32 v4, 31, v4
	v_cvt_u32_f32_e32 v8, v5
	s_delay_alu instid0(VALU_DEP_3) | instskip(NEXT) | instid1(VALU_DEP_3)
	v_cvt_u32_f32_e32 v7, v7
	v_mov_b32_e32 v5, v4
	s_delay_alu instid0(VALU_DEP_3) | instskip(NEXT) | instid1(VALU_DEP_3)
	v_xor_b32_e32 v9, v8, v4
	v_xor_b32_e32 v8, v7, v4
	s_delay_alu instid0(VALU_DEP_1) | instskip(NEXT) | instid1(VALU_DEP_1)
	v_sub_nc_u64_e32 v[4:5], v[8:9], v[4:5]
	v_dual_cndmask_b32 v5, 0, v5 :: v_dual_cndmask_b32 v4, 0, v4
	s_branch .LBB46_1164
.LBB46_1163:
	s_mov_b32 s0, -1
                                        ; implicit-def: $vgpr4_vgpr5
.LBB46_1164:
	s_mov_b32 s18, 0
.LBB46_1165:
	s_delay_alu instid0(SALU_CYCLE_1)
	s_and_b32 vcc_lo, exec_lo, s18
	s_cbranch_vccz .LBB46_1169
; %bb.1166:
	s_cmp_eq_u32 s17, 29
	s_cbranch_scc0 .LBB46_1168
; %bb.1167:
	global_load_b64 v[4:5], v[2:3], off
	s_mov_b32 s0, 0
	s_mov_b32 s21, -1
	s_branch .LBB46_1169
.LBB46_1168:
	s_mov_b32 s0, -1
                                        ; implicit-def: $vgpr4_vgpr5
.LBB46_1169:
	s_mov_b32 s18, 0
.LBB46_1170:
	s_delay_alu instid0(SALU_CYCLE_1)
	s_and_b32 vcc_lo, exec_lo, s18
	s_cbranch_vccz .LBB46_1186
; %bb.1171:
	s_cmp_lt_i32 s17, 27
	s_cbranch_scc1 .LBB46_1174
; %bb.1172:
	s_cmp_gt_i32 s17, 27
	s_cbranch_scc0 .LBB46_1175
; %bb.1173:
	s_wait_loadcnt 0x0
	global_load_b32 v4, v[2:3], off
	v_mov_b32_e32 v5, 0
	s_mov_b32 s18, 0
	s_branch .LBB46_1176
.LBB46_1174:
	s_mov_b32 s18, -1
                                        ; implicit-def: $vgpr4_vgpr5
	s_branch .LBB46_1179
.LBB46_1175:
	s_mov_b32 s18, -1
                                        ; implicit-def: $vgpr4_vgpr5
.LBB46_1176:
	s_delay_alu instid0(SALU_CYCLE_1)
	s_and_not1_b32 vcc_lo, exec_lo, s18
	s_cbranch_vccnz .LBB46_1178
; %bb.1177:
	global_load_u16 v1, v[2:3], off
	s_mov_b32 s18, 0
	s_wait_loadcnt 0x1
	v_mov_b32_e32 v5, s18
	s_wait_loadcnt 0x0
	v_and_b32_e32 v4, 0xffff, v1
.LBB46_1178:
	s_mov_b32 s18, 0
.LBB46_1179:
	s_delay_alu instid0(SALU_CYCLE_1)
	s_and_not1_b32 vcc_lo, exec_lo, s18
	s_cbranch_vccnz .LBB46_1185
; %bb.1180:
	global_load_u8 v1, v[2:3], off
	s_mov_b32 s21, 0
	s_mov_b32 s18, exec_lo
	s_wait_loadcnt 0x0
	v_cmpx_lt_i16_e32 0x7f, v1
	s_xor_b32 s18, exec_lo, s18
	s_cbranch_execz .LBB46_1197
; %bb.1181:
	v_cmp_ne_u16_e32 vcc_lo, 0x80, v1
	s_and_b32 s21, vcc_lo, exec_lo
	s_and_not1_saveexec_b32 s18, s18
	s_cbranch_execnz .LBB46_1198
.LBB46_1182:
	s_or_b32 exec_lo, exec_lo, s18
	v_mov_b64_e32 v[4:5], 0
	s_and_saveexec_b32 s18, s21
	s_cbranch_execz .LBB46_1184
.LBB46_1183:
	v_and_b32_e32 v4, 0xffff, v1
	s_delay_alu instid0(VALU_DEP_1) | instskip(SKIP_1) | instid1(VALU_DEP_2)
	v_and_b32_e32 v5, 7, v4
	v_bfe_u32 v9, v4, 3, 4
	v_clz_i32_u32_e32 v7, v5
	s_delay_alu instid0(VALU_DEP_2) | instskip(NEXT) | instid1(VALU_DEP_2)
	v_cmp_eq_u32_e32 vcc_lo, 0, v9
	v_min_u32_e32 v7, 32, v7
	s_delay_alu instid0(VALU_DEP_1) | instskip(NEXT) | instid1(VALU_DEP_1)
	v_subrev_nc_u32_e32 v8, 28, v7
	v_dual_lshlrev_b32 v4, v8, v4 :: v_dual_sub_nc_u32 v7, 29, v7
	s_delay_alu instid0(VALU_DEP_1) | instskip(NEXT) | instid1(VALU_DEP_2)
	v_dual_lshlrev_b32 v1, 24, v1 :: v_dual_bitop2_b32 v4, 7, v4 bitop3:0x40
	v_cndmask_b32_e32 v7, v9, v7, vcc_lo
	s_delay_alu instid0(VALU_DEP_2) | instskip(NEXT) | instid1(VALU_DEP_3)
	v_cndmask_b32_e32 v4, v5, v4, vcc_lo
	v_and_b32_e32 v1, 0x80000000, v1
	s_delay_alu instid0(VALU_DEP_3) | instskip(NEXT) | instid1(VALU_DEP_3)
	v_lshl_add_u32 v5, v7, 23, 0x3b800000
	v_lshlrev_b32_e32 v4, 20, v4
	s_delay_alu instid0(VALU_DEP_1) | instskip(NEXT) | instid1(VALU_DEP_1)
	v_or3_b32 v1, v1, v5, v4
	v_trunc_f32_e32 v1, v1
	s_delay_alu instid0(VALU_DEP_1) | instskip(NEXT) | instid1(VALU_DEP_1)
	v_mul_f32_e64 v4, 0x2f800000, |v1|
	v_floor_f32_e32 v5, v4
	v_ashrrev_i32_e32 v4, 31, v1
	s_delay_alu instid0(VALU_DEP_2) | instskip(SKIP_1) | instid1(VALU_DEP_3)
	v_fma_f32 v7, 0xcf800000, v5, |v1|
	v_cvt_u32_f32_e32 v1, v5
	v_mov_b32_e32 v5, v4
	s_delay_alu instid0(VALU_DEP_3) | instskip(NEXT) | instid1(VALU_DEP_3)
	v_cvt_u32_f32_e32 v7, v7
	v_xor_b32_e32 v9, v1, v4
	s_delay_alu instid0(VALU_DEP_2) | instskip(NEXT) | instid1(VALU_DEP_1)
	v_xor_b32_e32 v8, v7, v4
	v_sub_nc_u64_e32 v[4:5], v[8:9], v[4:5]
.LBB46_1184:
	s_or_b32 exec_lo, exec_lo, s18
.LBB46_1185:
	s_mov_b32 s21, -1
.LBB46_1186:
	s_mov_b32 s18, 0
.LBB46_1187:
	s_delay_alu instid0(SALU_CYCLE_1)
	s_and_b32 vcc_lo, exec_lo, s18
	s_cbranch_vccz .LBB46_1218
; %bb.1188:
	s_cmp_gt_i32 s17, 22
	s_cbranch_scc0 .LBB46_1196
; %bb.1189:
	s_cmp_lt_i32 s17, 24
	s_cbranch_scc1 .LBB46_1199
; %bb.1190:
	s_cmp_gt_i32 s17, 24
	s_cbranch_scc0 .LBB46_1200
; %bb.1191:
	global_load_u8 v1, v[2:3], off
	s_mov_b32 s18, exec_lo
	s_wait_loadcnt 0x0
	v_cmpx_lt_i16_e32 0x7f, v1
	s_xor_b32 s18, exec_lo, s18
	s_cbranch_execz .LBB46_1212
; %bb.1192:
	v_cmp_ne_u16_e32 vcc_lo, 0x80, v1
	s_and_b32 s19, vcc_lo, exec_lo
	s_and_not1_saveexec_b32 s18, s18
	s_cbranch_execnz .LBB46_1213
.LBB46_1193:
	s_or_b32 exec_lo, exec_lo, s18
	v_mov_b64_e32 v[4:5], 0
	s_and_saveexec_b32 s18, s19
	s_cbranch_execz .LBB46_1195
.LBB46_1194:
	v_and_b32_e32 v4, 0xffff, v1
	s_delay_alu instid0(VALU_DEP_1) | instskip(SKIP_1) | instid1(VALU_DEP_2)
	v_and_b32_e32 v5, 3, v4
	v_bfe_u32 v9, v4, 2, 5
	v_clz_i32_u32_e32 v7, v5
	s_delay_alu instid0(VALU_DEP_2) | instskip(NEXT) | instid1(VALU_DEP_2)
	v_cmp_eq_u32_e32 vcc_lo, 0, v9
	v_min_u32_e32 v7, 32, v7
	s_delay_alu instid0(VALU_DEP_1) | instskip(NEXT) | instid1(VALU_DEP_1)
	v_subrev_nc_u32_e32 v8, 29, v7
	v_dual_lshlrev_b32 v4, v8, v4 :: v_dual_sub_nc_u32 v7, 30, v7
	s_delay_alu instid0(VALU_DEP_1) | instskip(NEXT) | instid1(VALU_DEP_2)
	v_dual_lshlrev_b32 v1, 24, v1 :: v_dual_bitop2_b32 v4, 3, v4 bitop3:0x40
	v_cndmask_b32_e32 v7, v9, v7, vcc_lo
	s_delay_alu instid0(VALU_DEP_2) | instskip(NEXT) | instid1(VALU_DEP_3)
	v_cndmask_b32_e32 v4, v5, v4, vcc_lo
	v_and_b32_e32 v1, 0x80000000, v1
	s_delay_alu instid0(VALU_DEP_3) | instskip(NEXT) | instid1(VALU_DEP_3)
	v_lshl_add_u32 v5, v7, 23, 0x37800000
	v_lshlrev_b32_e32 v4, 21, v4
	s_delay_alu instid0(VALU_DEP_1) | instskip(NEXT) | instid1(VALU_DEP_1)
	v_or3_b32 v1, v1, v5, v4
	v_trunc_f32_e32 v1, v1
	s_delay_alu instid0(VALU_DEP_1) | instskip(NEXT) | instid1(VALU_DEP_1)
	v_mul_f32_e64 v4, 0x2f800000, |v1|
	v_floor_f32_e32 v5, v4
	v_ashrrev_i32_e32 v4, 31, v1
	s_delay_alu instid0(VALU_DEP_2) | instskip(SKIP_1) | instid1(VALU_DEP_3)
	v_fma_f32 v7, 0xcf800000, v5, |v1|
	v_cvt_u32_f32_e32 v1, v5
	v_mov_b32_e32 v5, v4
	s_delay_alu instid0(VALU_DEP_3) | instskip(NEXT) | instid1(VALU_DEP_3)
	v_cvt_u32_f32_e32 v7, v7
	v_xor_b32_e32 v9, v1, v4
	s_delay_alu instid0(VALU_DEP_2) | instskip(NEXT) | instid1(VALU_DEP_1)
	v_xor_b32_e32 v8, v7, v4
	v_sub_nc_u64_e32 v[4:5], v[8:9], v[4:5]
.LBB46_1195:
	s_or_b32 exec_lo, exec_lo, s18
	s_mov_b32 s18, 0
	s_branch .LBB46_1201
.LBB46_1196:
	s_mov_b32 s18, -1
                                        ; implicit-def: $vgpr4_vgpr5
	s_branch .LBB46_1207
.LBB46_1197:
	s_and_not1_saveexec_b32 s18, s18
	s_cbranch_execz .LBB46_1182
.LBB46_1198:
	v_cmp_ne_u16_e32 vcc_lo, 0, v1
	s_and_not1_b32 s21, s21, exec_lo
	s_and_b32 s22, vcc_lo, exec_lo
	s_delay_alu instid0(SALU_CYCLE_1)
	s_or_b32 s21, s21, s22
	s_or_b32 exec_lo, exec_lo, s18
	v_mov_b64_e32 v[4:5], 0
	s_and_saveexec_b32 s18, s21
	s_cbranch_execnz .LBB46_1183
	s_branch .LBB46_1184
.LBB46_1199:
	s_mov_b32 s18, -1
                                        ; implicit-def: $vgpr4_vgpr5
	s_branch .LBB46_1204
.LBB46_1200:
	s_mov_b32 s18, -1
                                        ; implicit-def: $vgpr4_vgpr5
.LBB46_1201:
	s_delay_alu instid0(SALU_CYCLE_1)
	s_and_b32 vcc_lo, exec_lo, s18
	s_cbranch_vccz .LBB46_1203
; %bb.1202:
	global_load_u8 v1, v[2:3], off
	s_wait_loadcnt 0x0
	v_lshlrev_b32_e32 v1, 24, v1
	s_delay_alu instid0(VALU_DEP_1) | instskip(NEXT) | instid1(VALU_DEP_1)
	v_and_b32_e32 v4, 0x7f000000, v1
	v_clz_i32_u32_e32 v5, v4
	v_add_nc_u32_e32 v8, 0x1000000, v4
	v_cmp_ne_u32_e32 vcc_lo, 0, v4
	s_delay_alu instid0(VALU_DEP_3) | instskip(NEXT) | instid1(VALU_DEP_1)
	v_min_u32_e32 v5, 32, v5
	v_sub_nc_u32_e64 v5, v5, 4 clamp
	s_delay_alu instid0(VALU_DEP_1) | instskip(NEXT) | instid1(VALU_DEP_1)
	v_dual_lshlrev_b32 v7, v5, v4 :: v_dual_lshlrev_b32 v5, 23, v5
	v_lshrrev_b32_e32 v7, 4, v7
	s_delay_alu instid0(VALU_DEP_1) | instskip(NEXT) | instid1(VALU_DEP_1)
	v_dual_sub_nc_u32 v5, v7, v5 :: v_dual_ashrrev_i32 v7, 8, v8
	v_add_nc_u32_e32 v5, 0x3c000000, v5
	s_delay_alu instid0(VALU_DEP_1) | instskip(NEXT) | instid1(VALU_DEP_1)
	v_and_or_b32 v5, 0x7f800000, v7, v5
	v_cndmask_b32_e32 v4, 0, v5, vcc_lo
	s_delay_alu instid0(VALU_DEP_1) | instskip(NEXT) | instid1(VALU_DEP_1)
	v_and_or_b32 v1, 0x80000000, v1, v4
	v_trunc_f32_e32 v1, v1
	s_delay_alu instid0(VALU_DEP_1) | instskip(NEXT) | instid1(VALU_DEP_1)
	v_mul_f32_e64 v4, 0x2f800000, |v1|
	v_floor_f32_e32 v5, v4
	v_ashrrev_i32_e32 v4, 31, v1
	s_delay_alu instid0(VALU_DEP_2) | instskip(SKIP_1) | instid1(VALU_DEP_3)
	v_fma_f32 v7, 0xcf800000, v5, |v1|
	v_cvt_u32_f32_e32 v1, v5
	v_mov_b32_e32 v5, v4
	s_delay_alu instid0(VALU_DEP_3) | instskip(NEXT) | instid1(VALU_DEP_3)
	v_cvt_u32_f32_e32 v7, v7
	v_xor_b32_e32 v9, v1, v4
	s_delay_alu instid0(VALU_DEP_2) | instskip(NEXT) | instid1(VALU_DEP_1)
	v_xor_b32_e32 v8, v7, v4
	v_sub_nc_u64_e32 v[4:5], v[8:9], v[4:5]
.LBB46_1203:
	s_mov_b32 s18, 0
.LBB46_1204:
	s_delay_alu instid0(SALU_CYCLE_1)
	s_and_not1_b32 vcc_lo, exec_lo, s18
	s_cbranch_vccnz .LBB46_1206
; %bb.1205:
	global_load_u8 v1, v[2:3], off
	s_wait_loadcnt 0x0
	v_lshlrev_b32_e32 v4, 25, v1
	v_lshlrev_b16 v1, 8, v1
	s_delay_alu instid0(VALU_DEP_1) | instskip(SKIP_1) | instid1(VALU_DEP_2)
	v_and_or_b32 v7, 0x7f00, v1, 0.5
	v_bfe_i32 v1, v1, 0, 16
	v_dual_add_f32 v7, -0.5, v7 :: v_dual_lshrrev_b32 v5, 4, v4
	v_cmp_gt_u32_e32 vcc_lo, 0x8000000, v4
	s_delay_alu instid0(VALU_DEP_2) | instskip(NEXT) | instid1(VALU_DEP_1)
	v_or_b32_e32 v5, 0x70000000, v5
	v_mul_f32_e32 v5, 0x7800000, v5
	s_delay_alu instid0(VALU_DEP_1) | instskip(NEXT) | instid1(VALU_DEP_1)
	v_cndmask_b32_e32 v4, v5, v7, vcc_lo
	v_and_or_b32 v1, 0x80000000, v1, v4
	s_delay_alu instid0(VALU_DEP_1) | instskip(NEXT) | instid1(VALU_DEP_1)
	v_trunc_f32_e32 v1, v1
	v_mul_f32_e64 v4, 0x2f800000, |v1|
	s_delay_alu instid0(VALU_DEP_1) | instskip(SKIP_1) | instid1(VALU_DEP_2)
	v_floor_f32_e32 v5, v4
	v_ashrrev_i32_e32 v4, 31, v1
	v_fma_f32 v7, 0xcf800000, v5, |v1|
	v_cvt_u32_f32_e32 v1, v5
	s_delay_alu instid0(VALU_DEP_3) | instskip(NEXT) | instid1(VALU_DEP_3)
	v_mov_b32_e32 v5, v4
	v_cvt_u32_f32_e32 v7, v7
	s_delay_alu instid0(VALU_DEP_3) | instskip(NEXT) | instid1(VALU_DEP_2)
	v_xor_b32_e32 v9, v1, v4
	v_xor_b32_e32 v8, v7, v4
	s_delay_alu instid0(VALU_DEP_1)
	v_sub_nc_u64_e32 v[4:5], v[8:9], v[4:5]
.LBB46_1206:
	s_mov_b32 s18, 0
	s_mov_b32 s21, -1
.LBB46_1207:
	s_and_not1_b32 vcc_lo, exec_lo, s18
	s_mov_b32 s19, 0
	s_cbranch_vccnz .LBB46_1218
; %bb.1208:
	s_cmp_gt_i32 s17, 14
	s_cbranch_scc0 .LBB46_1211
; %bb.1209:
	s_cmp_eq_u32 s17, 15
	s_cbranch_scc0 .LBB46_1214
; %bb.1210:
	global_load_u16 v1, v[2:3], off
	s_mov_b32 s0, 0
	s_mov_b32 s21, -1
	s_wait_loadcnt 0x0
	v_lshlrev_b32_e32 v1, 16, v1
	s_delay_alu instid0(VALU_DEP_1) | instskip(NEXT) | instid1(VALU_DEP_1)
	v_trunc_f32_e32 v1, v1
	v_mul_f32_e64 v4, 0x2f800000, |v1|
	s_delay_alu instid0(VALU_DEP_1) | instskip(SKIP_1) | instid1(VALU_DEP_2)
	v_floor_f32_e32 v5, v4
	v_ashrrev_i32_e32 v4, 31, v1
	v_fma_f32 v7, 0xcf800000, v5, |v1|
	v_cvt_u32_f32_e32 v1, v5
	s_delay_alu instid0(VALU_DEP_3) | instskip(NEXT) | instid1(VALU_DEP_3)
	v_mov_b32_e32 v5, v4
	v_cvt_u32_f32_e32 v7, v7
	s_delay_alu instid0(VALU_DEP_3) | instskip(NEXT) | instid1(VALU_DEP_2)
	v_xor_b32_e32 v9, v1, v4
	v_xor_b32_e32 v8, v7, v4
	s_delay_alu instid0(VALU_DEP_1)
	v_sub_nc_u64_e32 v[4:5], v[8:9], v[4:5]
	s_branch .LBB46_1215
.LBB46_1211:
	s_mov_b32 s18, -1
                                        ; implicit-def: $vgpr4_vgpr5
	s_branch .LBB46_1216
.LBB46_1212:
	s_and_not1_saveexec_b32 s18, s18
	s_cbranch_execz .LBB46_1193
.LBB46_1213:
	v_cmp_ne_u16_e32 vcc_lo, 0, v1
	s_and_not1_b32 s19, s19, exec_lo
	s_and_b32 s21, vcc_lo, exec_lo
	s_delay_alu instid0(SALU_CYCLE_1)
	s_or_b32 s19, s19, s21
	s_or_b32 exec_lo, exec_lo, s18
	v_mov_b64_e32 v[4:5], 0
	s_and_saveexec_b32 s18, s19
	s_cbranch_execnz .LBB46_1194
	s_branch .LBB46_1195
.LBB46_1214:
	s_mov_b32 s0, -1
                                        ; implicit-def: $vgpr4_vgpr5
.LBB46_1215:
	s_mov_b32 s18, 0
.LBB46_1216:
	s_delay_alu instid0(SALU_CYCLE_1)
	s_and_b32 vcc_lo, exec_lo, s18
	s_cbranch_vccz .LBB46_1218
; %bb.1217:
	s_cmp_lg_u32 s17, 11
	s_mov_b32 s19, -1
	s_cselect_b32 s0, -1, 0
.LBB46_1218:
	s_delay_alu instid0(SALU_CYCLE_1)
	s_and_b32 vcc_lo, exec_lo, s0
	s_mov_b32 s18, s3
	s_cbranch_vccnz .LBB46_1285
; %bb.1219:
	s_and_not1_b32 vcc_lo, exec_lo, s19
	s_cbranch_vccnz .LBB46_1221
.LBB46_1220:
	global_load_u8 v1, v[2:3], off
	s_mov_b32 s0, 0
	s_mov_b32 s21, -1
	s_wait_loadcnt 0x1
	v_mov_b32_e32 v5, s0
	s_wait_loadcnt 0x0
	v_cmp_ne_u16_e32 vcc_lo, 0, v1
	v_cndmask_b32_e64 v4, 0, 1, vcc_lo
.LBB46_1221:
	s_mov_b32 s0, 0
.LBB46_1222:
	s_delay_alu instid0(SALU_CYCLE_1)
	s_and_b32 vcc_lo, exec_lo, s0
	s_cbranch_vccz .LBB46_1271
; %bb.1223:
	s_cmp_lt_i32 s17, 5
	s_cbranch_scc1 .LBB46_1228
; %bb.1224:
	s_cmp_lt_i32 s17, 8
	s_cbranch_scc1 .LBB46_1229
	;; [unrolled: 3-line block ×3, first 2 shown]
; %bb.1226:
	s_cmp_gt_i32 s17, 9
	s_cbranch_scc0 .LBB46_1231
; %bb.1227:
	s_wait_loadcnt 0x0
	global_load_b64 v[4:5], v[2:3], off
	s_mov_b32 s0, 0
	s_wait_loadcnt 0x0
	v_trunc_f64_e32 v[4:5], v[4:5]
	s_delay_alu instid0(VALU_DEP_1) | instskip(NEXT) | instid1(VALU_DEP_1)
	v_ldexp_f64 v[8:9], v[4:5], 0xffffffe0
	v_floor_f64_e32 v[8:9], v[8:9]
	s_delay_alu instid0(VALU_DEP_1) | instskip(SKIP_1) | instid1(VALU_DEP_2)
	v_fmamk_f64 v[10:11], v[8:9], 0xc1f00000, v[4:5]
	v_cvt_i32_f64_e32 v5, v[8:9]
	v_cvt_u32_f64_e32 v4, v[10:11]
	s_branch .LBB46_1232
.LBB46_1228:
	s_mov_b32 s0, -1
                                        ; implicit-def: $vgpr4_vgpr5
	s_branch .LBB46_1250
.LBB46_1229:
	s_mov_b32 s0, -1
                                        ; implicit-def: $vgpr4_vgpr5
	s_branch .LBB46_1238
.LBB46_1230:
	s_mov_b32 s0, -1
                                        ; implicit-def: $vgpr4_vgpr5
	s_branch .LBB46_1235
.LBB46_1231:
	s_mov_b32 s0, -1
                                        ; implicit-def: $vgpr4_vgpr5
.LBB46_1232:
	s_delay_alu instid0(SALU_CYCLE_1)
	s_and_not1_b32 vcc_lo, exec_lo, s0
	s_cbranch_vccnz .LBB46_1234
; %bb.1233:
	global_load_b32 v1, v[2:3], off
	s_wait_loadcnt 0x0
	v_trunc_f32_e32 v1, v1
	s_delay_alu instid0(VALU_DEP_1) | instskip(NEXT) | instid1(VALU_DEP_1)
	v_mul_f32_e64 v4, 0x2f800000, |v1|
	v_floor_f32_e32 v5, v4
	v_ashrrev_i32_e32 v4, 31, v1
	s_delay_alu instid0(VALU_DEP_2) | instskip(SKIP_1) | instid1(VALU_DEP_3)
	v_fma_f32 v7, 0xcf800000, v5, |v1|
	v_cvt_u32_f32_e32 v1, v5
	v_mov_b32_e32 v5, v4
	s_delay_alu instid0(VALU_DEP_3) | instskip(NEXT) | instid1(VALU_DEP_3)
	v_cvt_u32_f32_e32 v7, v7
	v_xor_b32_e32 v9, v1, v4
	s_delay_alu instid0(VALU_DEP_2) | instskip(NEXT) | instid1(VALU_DEP_1)
	v_xor_b32_e32 v8, v7, v4
	v_sub_nc_u64_e32 v[4:5], v[8:9], v[4:5]
.LBB46_1234:
	s_mov_b32 s0, 0
.LBB46_1235:
	s_delay_alu instid0(SALU_CYCLE_1)
	s_and_not1_b32 vcc_lo, exec_lo, s0
	s_cbranch_vccnz .LBB46_1237
; %bb.1236:
	global_load_b32 v1, v[2:3], off
	s_wait_loadcnt 0x0
	v_cvt_f32_f16_e32 v1, v1
	s_delay_alu instid0(VALU_DEP_1) | instskip(NEXT) | instid1(VALU_DEP_1)
	v_cvt_i32_f32_e32 v4, v1
	v_ashrrev_i32_e32 v5, 31, v4
.LBB46_1237:
	s_mov_b32 s0, 0
.LBB46_1238:
	s_delay_alu instid0(SALU_CYCLE_1)
	s_and_not1_b32 vcc_lo, exec_lo, s0
	s_cbranch_vccnz .LBB46_1249
; %bb.1239:
	s_cmp_lt_i32 s17, 6
	s_cbranch_scc1 .LBB46_1242
; %bb.1240:
	s_cmp_gt_i32 s17, 6
	s_cbranch_scc0 .LBB46_1243
; %bb.1241:
	s_wait_loadcnt 0x0
	global_load_b64 v[4:5], v[2:3], off
	s_mov_b32 s0, 0
	s_wait_loadcnt 0x0
	v_trunc_f64_e32 v[4:5], v[4:5]
	s_delay_alu instid0(VALU_DEP_1) | instskip(NEXT) | instid1(VALU_DEP_1)
	v_ldexp_f64 v[8:9], v[4:5], 0xffffffe0
	v_floor_f64_e32 v[8:9], v[8:9]
	s_delay_alu instid0(VALU_DEP_1) | instskip(SKIP_1) | instid1(VALU_DEP_2)
	v_fmamk_f64 v[10:11], v[8:9], 0xc1f00000, v[4:5]
	v_cvt_i32_f64_e32 v5, v[8:9]
	v_cvt_u32_f64_e32 v4, v[10:11]
	s_branch .LBB46_1244
.LBB46_1242:
	s_mov_b32 s0, -1
                                        ; implicit-def: $vgpr4_vgpr5
	s_branch .LBB46_1247
.LBB46_1243:
	s_mov_b32 s0, -1
                                        ; implicit-def: $vgpr4_vgpr5
.LBB46_1244:
	s_delay_alu instid0(SALU_CYCLE_1)
	s_and_not1_b32 vcc_lo, exec_lo, s0
	s_cbranch_vccnz .LBB46_1246
; %bb.1245:
	global_load_b32 v1, v[2:3], off
	s_wait_loadcnt 0x0
	v_trunc_f32_e32 v1, v1
	s_delay_alu instid0(VALU_DEP_1) | instskip(NEXT) | instid1(VALU_DEP_1)
	v_mul_f32_e64 v4, 0x2f800000, |v1|
	v_floor_f32_e32 v5, v4
	v_ashrrev_i32_e32 v4, 31, v1
	s_delay_alu instid0(VALU_DEP_2) | instskip(SKIP_1) | instid1(VALU_DEP_3)
	v_fma_f32 v7, 0xcf800000, v5, |v1|
	v_cvt_u32_f32_e32 v1, v5
	v_mov_b32_e32 v5, v4
	s_delay_alu instid0(VALU_DEP_3) | instskip(NEXT) | instid1(VALU_DEP_3)
	v_cvt_u32_f32_e32 v7, v7
	v_xor_b32_e32 v9, v1, v4
	s_delay_alu instid0(VALU_DEP_2) | instskip(NEXT) | instid1(VALU_DEP_1)
	v_xor_b32_e32 v8, v7, v4
	v_sub_nc_u64_e32 v[4:5], v[8:9], v[4:5]
.LBB46_1246:
	s_mov_b32 s0, 0
.LBB46_1247:
	s_delay_alu instid0(SALU_CYCLE_1)
	s_and_not1_b32 vcc_lo, exec_lo, s0
	s_cbranch_vccnz .LBB46_1249
; %bb.1248:
	global_load_u16 v1, v[2:3], off
	s_wait_loadcnt 0x0
	v_cvt_f32_f16_e32 v1, v1
	s_delay_alu instid0(VALU_DEP_1) | instskip(NEXT) | instid1(VALU_DEP_1)
	v_cvt_i32_f32_e32 v4, v1
	v_ashrrev_i32_e32 v5, 31, v4
.LBB46_1249:
	s_mov_b32 s0, 0
.LBB46_1250:
	s_delay_alu instid0(SALU_CYCLE_1)
	s_and_not1_b32 vcc_lo, exec_lo, s0
	s_cbranch_vccnz .LBB46_1270
; %bb.1251:
	s_cmp_lt_i32 s17, 2
	s_cbranch_scc1 .LBB46_1255
; %bb.1252:
	s_cmp_lt_i32 s17, 3
	s_cbranch_scc1 .LBB46_1256
; %bb.1253:
	s_cmp_gt_i32 s17, 3
	s_cbranch_scc0 .LBB46_1257
; %bb.1254:
	s_wait_loadcnt 0x0
	global_load_b64 v[4:5], v[2:3], off
	s_mov_b32 s0, 0
	s_branch .LBB46_1258
.LBB46_1255:
	s_mov_b32 s0, -1
                                        ; implicit-def: $vgpr4_vgpr5
	s_branch .LBB46_1264
.LBB46_1256:
	s_mov_b32 s0, -1
                                        ; implicit-def: $vgpr4_vgpr5
	s_branch .LBB46_1261
.LBB46_1257:
	s_mov_b32 s0, -1
                                        ; implicit-def: $vgpr4_vgpr5
.LBB46_1258:
	s_delay_alu instid0(SALU_CYCLE_1)
	s_and_not1_b32 vcc_lo, exec_lo, s0
	s_cbranch_vccnz .LBB46_1260
; %bb.1259:
	s_wait_loadcnt 0x0
	global_load_b32 v4, v[2:3], off
	s_wait_loadcnt 0x0
	v_ashrrev_i32_e32 v5, 31, v4
.LBB46_1260:
	s_mov_b32 s0, 0
.LBB46_1261:
	s_delay_alu instid0(SALU_CYCLE_1)
	s_and_not1_b32 vcc_lo, exec_lo, s0
	s_cbranch_vccnz .LBB46_1263
; %bb.1262:
	global_load_u16 v1, v[2:3], off
	s_wait_loadcnt 0x0
	v_bfe_i32 v4, v1, 0, 16
	s_delay_alu instid0(VALU_DEP_1)
	v_ashrrev_i32_e32 v5, 31, v4
.LBB46_1263:
	s_mov_b32 s0, 0
.LBB46_1264:
	s_delay_alu instid0(SALU_CYCLE_1)
	s_and_not1_b32 vcc_lo, exec_lo, s0
	s_cbranch_vccnz .LBB46_1270
; %bb.1265:
	s_cmp_gt_i32 s17, 0
	s_mov_b32 s0, 0
	s_cbranch_scc0 .LBB46_1267
; %bb.1266:
	global_load_i8 v1, v[2:3], off
	s_wait_loadcnt 0x0
	v_bfe_i32 v4, v1, 0, 16
	s_delay_alu instid0(VALU_DEP_1)
	v_ashrrev_i32_e32 v5, 31, v4
	s_branch .LBB46_1268
.LBB46_1267:
	s_mov_b32 s0, -1
                                        ; implicit-def: $vgpr4_vgpr5
.LBB46_1268:
	s_delay_alu instid0(SALU_CYCLE_1)
	s_and_not1_b32 vcc_lo, exec_lo, s0
	s_cbranch_vccnz .LBB46_1270
; %bb.1269:
	global_load_u8 v1, v[2:3], off
	s_mov_b32 s0, 0
	s_wait_loadcnt 0x1
	v_mov_b32_e32 v5, s0
	s_wait_loadcnt 0x0
	v_and_b32_e32 v4, 0xffff, v1
.LBB46_1270:
	s_mov_b32 s21, -1
.LBB46_1271:
	s_delay_alu instid0(SALU_CYCLE_1)
	s_and_not1_b32 vcc_lo, exec_lo, s21
	s_cbranch_vccnz .LBB46_1281
; %bb.1272:
	s_wait_loadcnt 0x0
	s_delay_alu instid0(VALU_DEP_1) | instskip(SKIP_4) | instid1(SALU_CYCLE_1)
	v_cmp_gt_i64_e32 vcc_lo, s[8:9], v[4:5]
	v_cmp_le_i64_e64 s0, s[10:11], v[4:5]
	s_or_b32 s0, vcc_lo, s0
	s_wait_xcnt 0x0
	s_and_saveexec_b32 s19, s0
	s_xor_b32 s0, exec_lo, s19
	s_cbranch_execnz .LBB46_1778
.LBB46_1273:
	s_or_saveexec_b32 s19, s0
	s_mov_b32 s21, 0
	s_mov_b32 s22, 0
                                        ; implicit-def: $sgpr0
                                        ; implicit-def: $vgpr2_vgpr3
	s_xor_b32 exec_lo, exec_lo, s19
	s_cbranch_execz .LBB46_1723
; %bb.1274:
	v_add_nc_u32_e32 v0, s20, v0
	s_cmp_lt_i32 s17, 11
	s_delay_alu instid0(VALU_DEP_1) | instskip(NEXT) | instid1(VALU_DEP_1)
	v_ashrrev_i32_e32 v1, 31, v0
	v_add_nc_u64_e32 v[0:1], s[6:7], v[0:1]
	s_cbranch_scc1 .LBB46_1282
; %bb.1275:
	s_cmp_gt_i32 s17, 25
	s_mov_b32 s7, 0
	s_cbranch_scc0 .LBB46_1283
; %bb.1276:
	s_cmp_gt_i32 s17, 28
	s_cbranch_scc0 .LBB46_1284
; %bb.1277:
	s_cmp_gt_i32 s17, 43
	;; [unrolled: 3-line block ×3, first 2 shown]
	s_cbranch_scc0 .LBB46_1287
; %bb.1279:
	s_cmp_eq_u32 s17, 46
	s_mov_b32 s6, 0
	s_cbranch_scc0 .LBB46_1289
; %bb.1280:
	global_load_b32 v2, v[0:1], off
	s_mov_b32 s0, 0
	s_mov_b32 s20, -1
	s_wait_loadcnt 0x0
	v_lshlrev_b32_e32 v2, 16, v2
	s_delay_alu instid0(VALU_DEP_1) | instskip(NEXT) | instid1(VALU_DEP_1)
	v_trunc_f32_e32 v2, v2
	v_mul_f32_e64 v3, 0x2f800000, |v2|
	s_delay_alu instid0(VALU_DEP_1) | instskip(NEXT) | instid1(VALU_DEP_1)
	v_floor_f32_e32 v3, v3
	v_fma_f32 v4, 0xcf800000, v3, |v2|
	v_ashrrev_i32_e32 v2, 31, v2
	v_cvt_u32_f32_e32 v5, v3
	s_delay_alu instid0(VALU_DEP_3) | instskip(NEXT) | instid1(VALU_DEP_2)
	v_cvt_u32_f32_e32 v4, v4
	v_dual_mov_b32 v3, v2 :: v_dual_bitop2_b32 v5, v5, v2 bitop3:0x14
	s_delay_alu instid0(VALU_DEP_2) | instskip(NEXT) | instid1(VALU_DEP_1)
	v_xor_b32_e32 v4, v4, v2
	v_sub_nc_u64_e32 v[2:3], v[4:5], v[2:3]
	s_branch .LBB46_1291
.LBB46_1281:
	s_mov_b32 s21, 0
	s_mov_b32 s22, 0
                                        ; implicit-def: $sgpr0
                                        ; implicit-def: $vgpr2_vgpr3
	s_branch .LBB46_1724
.LBB46_1282:
	s_mov_b32 s0, -1
	s_mov_b32 s20, 0
	s_mov_b32 s6, s18
                                        ; implicit-def: $vgpr2_vgpr3
	s_branch .LBB46_1353
.LBB46_1283:
	s_mov_b32 s6, -1
	s_mov_b32 s20, 0
	s_mov_b32 s0, 0
                                        ; implicit-def: $vgpr2_vgpr3
	s_branch .LBB46_1318
.LBB46_1284:
	s_mov_b32 s6, -1
	s_mov_b32 s20, 0
	s_mov_b32 s0, 0
                                        ; implicit-def: $vgpr2_vgpr3
	s_branch .LBB46_1301
.LBB46_1285:
	s_or_b32 s18, s3, exec_lo
	s_trap 2
	s_cbranch_execz .LBB46_1220
	s_branch .LBB46_1221
.LBB46_1286:
	s_mov_b32 s6, -1
	s_mov_b32 s20, 0
	s_mov_b32 s0, 0
                                        ; implicit-def: $vgpr2_vgpr3
	s_branch .LBB46_1296
.LBB46_1287:
	s_mov_b32 s6, -1
	s_mov_b32 s20, 0
	s_mov_b32 s0, 0
	s_branch .LBB46_1290
.LBB46_1288:
	s_or_b32 s1, s1, exec_lo
	s_trap 2
                                        ; implicit-def: $vgpr0
                                        ; implicit-def: $vgpr6
	s_branch .LBB46_905
.LBB46_1289:
	s_mov_b32 s0, -1
	s_mov_b32 s20, 0
.LBB46_1290:
                                        ; implicit-def: $vgpr2_vgpr3
.LBB46_1291:
	s_and_b32 vcc_lo, exec_lo, s6
	s_cbranch_vccz .LBB46_1295
; %bb.1292:
	s_cmp_eq_u32 s17, 44
	s_cbranch_scc0 .LBB46_1294
; %bb.1293:
	global_load_u8 v7, v[0:1], off
	s_mov_b32 s0, 0
	s_mov_b32 s20, -1
	s_wait_loadcnt 0x0
	v_lshlrev_b32_e32 v2, 23, v7
	v_cmp_ne_u32_e32 vcc_lo, 0, v7
	s_delay_alu instid0(VALU_DEP_2) | instskip(NEXT) | instid1(VALU_DEP_1)
	v_trunc_f32_e32 v2, v2
	v_mul_f32_e64 v3, 0x2f800000, |v2|
	s_delay_alu instid0(VALU_DEP_1) | instskip(NEXT) | instid1(VALU_DEP_1)
	v_floor_f32_e32 v3, v3
	v_fma_f32 v4, 0xcf800000, v3, |v2|
	v_ashrrev_i32_e32 v2, 31, v2
	v_cvt_u32_f32_e32 v5, v3
	s_delay_alu instid0(VALU_DEP_3) | instskip(NEXT) | instid1(VALU_DEP_2)
	v_cvt_u32_f32_e32 v4, v4
	v_dual_mov_b32 v3, v2 :: v_dual_bitop2_b32 v5, v5, v2 bitop3:0x14
	s_delay_alu instid0(VALU_DEP_2) | instskip(NEXT) | instid1(VALU_DEP_1)
	v_xor_b32_e32 v4, v4, v2
	v_sub_nc_u64_e32 v[2:3], v[4:5], v[2:3]
	s_delay_alu instid0(VALU_DEP_1)
	v_dual_cndmask_b32 v3, 0, v3 :: v_dual_cndmask_b32 v2, 0, v2
	s_branch .LBB46_1295
.LBB46_1294:
	s_mov_b32 s0, -1
                                        ; implicit-def: $vgpr2_vgpr3
.LBB46_1295:
	s_mov_b32 s6, 0
.LBB46_1296:
	s_delay_alu instid0(SALU_CYCLE_1)
	s_and_b32 vcc_lo, exec_lo, s6
	s_cbranch_vccz .LBB46_1300
; %bb.1297:
	s_cmp_eq_u32 s17, 29
	s_cbranch_scc0 .LBB46_1299
; %bb.1298:
	global_load_b64 v[2:3], v[0:1], off
	s_mov_b32 s0, 0
	s_mov_b32 s20, -1
	s_branch .LBB46_1300
.LBB46_1299:
	s_mov_b32 s0, -1
                                        ; implicit-def: $vgpr2_vgpr3
.LBB46_1300:
	s_mov_b32 s6, 0
.LBB46_1301:
	s_delay_alu instid0(SALU_CYCLE_1)
	s_and_b32 vcc_lo, exec_lo, s6
	s_cbranch_vccz .LBB46_1317
; %bb.1302:
	s_cmp_lt_i32 s17, 27
	s_cbranch_scc1 .LBB46_1305
; %bb.1303:
	s_cmp_gt_i32 s17, 27
	s_cbranch_scc0 .LBB46_1306
; %bb.1304:
	s_wait_loadcnt 0x0
	global_load_b32 v2, v[0:1], off
	v_mov_b32_e32 v3, 0
	s_mov_b32 s6, 0
	s_branch .LBB46_1307
.LBB46_1305:
	s_mov_b32 s6, -1
                                        ; implicit-def: $vgpr2_vgpr3
	s_branch .LBB46_1310
.LBB46_1306:
	s_mov_b32 s6, -1
                                        ; implicit-def: $vgpr2_vgpr3
.LBB46_1307:
	s_delay_alu instid0(SALU_CYCLE_1)
	s_and_not1_b32 vcc_lo, exec_lo, s6
	s_cbranch_vccnz .LBB46_1309
; %bb.1308:
	s_wait_loadcnt 0x0
	global_load_u16 v2, v[0:1], off
	s_mov_b32 s6, 0
	s_delay_alu instid0(SALU_CYCLE_1)
	v_mov_b32_e32 v3, s6
	s_wait_loadcnt 0x0
	v_and_b32_e32 v2, 0xffff, v2
.LBB46_1309:
	s_mov_b32 s6, 0
.LBB46_1310:
	s_delay_alu instid0(SALU_CYCLE_1)
	s_and_not1_b32 vcc_lo, exec_lo, s6
	s_cbranch_vccnz .LBB46_1316
; %bb.1311:
	global_load_u8 v4, v[0:1], off
	s_mov_b32 s20, 0
	s_mov_b32 s6, exec_lo
	s_wait_loadcnt 0x0
	v_cmpx_lt_i16_e32 0x7f, v4
	s_xor_b32 s6, exec_lo, s6
	s_cbranch_execz .LBB46_1328
; %bb.1312:
	v_cmp_ne_u16_e32 vcc_lo, 0x80, v4
	s_and_b32 s20, vcc_lo, exec_lo
	s_and_not1_saveexec_b32 s6, s6
	s_cbranch_execnz .LBB46_1329
.LBB46_1313:
	s_or_b32 exec_lo, exec_lo, s6
	v_mov_b64_e32 v[2:3], 0
	s_and_saveexec_b32 s6, s20
	s_cbranch_execz .LBB46_1315
.LBB46_1314:
	v_and_b32_e32 v2, 0xffff, v4
	s_delay_alu instid0(VALU_DEP_1) | instskip(SKIP_1) | instid1(VALU_DEP_2)
	v_and_b32_e32 v3, 7, v2
	v_bfe_u32 v8, v2, 3, 4
	v_clz_i32_u32_e32 v5, v3
	s_delay_alu instid0(VALU_DEP_2) | instskip(NEXT) | instid1(VALU_DEP_2)
	v_cmp_eq_u32_e32 vcc_lo, 0, v8
	v_min_u32_e32 v5, 32, v5
	s_delay_alu instid0(VALU_DEP_1) | instskip(NEXT) | instid1(VALU_DEP_1)
	v_subrev_nc_u32_e32 v7, 28, v5
	v_dual_lshlrev_b32 v2, v7, v2 :: v_dual_sub_nc_u32 v5, 29, v5
	s_delay_alu instid0(VALU_DEP_1) | instskip(NEXT) | instid1(VALU_DEP_1)
	v_dual_lshlrev_b32 v4, 24, v4 :: v_dual_bitop2_b32 v2, 7, v2 bitop3:0x40
	v_dual_cndmask_b32 v5, v8, v5 :: v_dual_cndmask_b32 v2, v3, v2
	s_delay_alu instid0(VALU_DEP_2) | instskip(NEXT) | instid1(VALU_DEP_2)
	v_and_b32_e32 v3, 0x80000000, v4
	v_lshl_add_u32 v4, v5, 23, 0x3b800000
	s_delay_alu instid0(VALU_DEP_3) | instskip(NEXT) | instid1(VALU_DEP_1)
	v_lshlrev_b32_e32 v2, 20, v2
	v_or3_b32 v2, v3, v4, v2
	s_delay_alu instid0(VALU_DEP_1) | instskip(NEXT) | instid1(VALU_DEP_1)
	v_trunc_f32_e32 v2, v2
	v_mul_f32_e64 v3, 0x2f800000, |v2|
	s_delay_alu instid0(VALU_DEP_1) | instskip(NEXT) | instid1(VALU_DEP_1)
	v_floor_f32_e32 v3, v3
	v_fma_f32 v4, 0xcf800000, v3, |v2|
	v_ashrrev_i32_e32 v2, 31, v2
	v_cvt_u32_f32_e32 v5, v3
	s_delay_alu instid0(VALU_DEP_3) | instskip(NEXT) | instid1(VALU_DEP_2)
	v_cvt_u32_f32_e32 v4, v4
	v_dual_mov_b32 v3, v2 :: v_dual_bitop2_b32 v5, v5, v2 bitop3:0x14
	s_delay_alu instid0(VALU_DEP_2) | instskip(NEXT) | instid1(VALU_DEP_1)
	v_xor_b32_e32 v4, v4, v2
	v_sub_nc_u64_e32 v[2:3], v[4:5], v[2:3]
.LBB46_1315:
	s_or_b32 exec_lo, exec_lo, s6
.LBB46_1316:
	s_mov_b32 s20, -1
.LBB46_1317:
	s_mov_b32 s6, 0
.LBB46_1318:
	s_delay_alu instid0(SALU_CYCLE_1)
	s_and_b32 vcc_lo, exec_lo, s6
	s_cbranch_vccz .LBB46_1349
; %bb.1319:
	s_cmp_gt_i32 s17, 22
	s_cbranch_scc0 .LBB46_1327
; %bb.1320:
	s_cmp_lt_i32 s17, 24
	s_cbranch_scc1 .LBB46_1330
; %bb.1321:
	s_cmp_gt_i32 s17, 24
	s_cbranch_scc0 .LBB46_1331
; %bb.1322:
	global_load_u8 v4, v[0:1], off
	s_mov_b32 s6, exec_lo
	s_wait_loadcnt 0x0
	v_cmpx_lt_i16_e32 0x7f, v4
	s_xor_b32 s6, exec_lo, s6
	s_cbranch_execz .LBB46_1343
; %bb.1323:
	v_cmp_ne_u16_e32 vcc_lo, 0x80, v4
	s_and_b32 s7, vcc_lo, exec_lo
	s_and_not1_saveexec_b32 s6, s6
	s_cbranch_execnz .LBB46_1344
.LBB46_1324:
	s_or_b32 exec_lo, exec_lo, s6
	v_mov_b64_e32 v[2:3], 0
	s_and_saveexec_b32 s6, s7
	s_cbranch_execz .LBB46_1326
.LBB46_1325:
	v_and_b32_e32 v2, 0xffff, v4
	s_delay_alu instid0(VALU_DEP_1) | instskip(SKIP_1) | instid1(VALU_DEP_2)
	v_and_b32_e32 v3, 3, v2
	v_bfe_u32 v8, v2, 2, 5
	v_clz_i32_u32_e32 v5, v3
	s_delay_alu instid0(VALU_DEP_2) | instskip(NEXT) | instid1(VALU_DEP_2)
	v_cmp_eq_u32_e32 vcc_lo, 0, v8
	v_min_u32_e32 v5, 32, v5
	s_delay_alu instid0(VALU_DEP_1) | instskip(NEXT) | instid1(VALU_DEP_1)
	v_subrev_nc_u32_e32 v7, 29, v5
	v_dual_lshlrev_b32 v2, v7, v2 :: v_dual_sub_nc_u32 v5, 30, v5
	s_delay_alu instid0(VALU_DEP_1) | instskip(NEXT) | instid1(VALU_DEP_1)
	v_dual_lshlrev_b32 v4, 24, v4 :: v_dual_bitop2_b32 v2, 3, v2 bitop3:0x40
	v_dual_cndmask_b32 v5, v8, v5 :: v_dual_cndmask_b32 v2, v3, v2
	s_delay_alu instid0(VALU_DEP_2) | instskip(NEXT) | instid1(VALU_DEP_2)
	v_and_b32_e32 v3, 0x80000000, v4
	v_lshl_add_u32 v4, v5, 23, 0x37800000
	s_delay_alu instid0(VALU_DEP_3) | instskip(NEXT) | instid1(VALU_DEP_1)
	v_lshlrev_b32_e32 v2, 21, v2
	v_or3_b32 v2, v3, v4, v2
	s_delay_alu instid0(VALU_DEP_1) | instskip(NEXT) | instid1(VALU_DEP_1)
	v_trunc_f32_e32 v2, v2
	v_mul_f32_e64 v3, 0x2f800000, |v2|
	s_delay_alu instid0(VALU_DEP_1) | instskip(NEXT) | instid1(VALU_DEP_1)
	v_floor_f32_e32 v3, v3
	v_fma_f32 v4, 0xcf800000, v3, |v2|
	v_ashrrev_i32_e32 v2, 31, v2
	v_cvt_u32_f32_e32 v5, v3
	s_delay_alu instid0(VALU_DEP_3) | instskip(NEXT) | instid1(VALU_DEP_2)
	v_cvt_u32_f32_e32 v4, v4
	v_dual_mov_b32 v3, v2 :: v_dual_bitop2_b32 v5, v5, v2 bitop3:0x14
	s_delay_alu instid0(VALU_DEP_2) | instskip(NEXT) | instid1(VALU_DEP_1)
	v_xor_b32_e32 v4, v4, v2
	v_sub_nc_u64_e32 v[2:3], v[4:5], v[2:3]
.LBB46_1326:
	s_or_b32 exec_lo, exec_lo, s6
	s_mov_b32 s6, 0
	s_branch .LBB46_1332
.LBB46_1327:
	s_mov_b32 s6, -1
                                        ; implicit-def: $vgpr2_vgpr3
	s_branch .LBB46_1338
.LBB46_1328:
	s_and_not1_saveexec_b32 s6, s6
	s_cbranch_execz .LBB46_1313
.LBB46_1329:
	v_cmp_ne_u16_e32 vcc_lo, 0, v4
	s_and_not1_b32 s20, s20, exec_lo
	s_and_b32 s21, vcc_lo, exec_lo
	s_delay_alu instid0(SALU_CYCLE_1)
	s_or_b32 s20, s20, s21
	s_or_b32 exec_lo, exec_lo, s6
	v_mov_b64_e32 v[2:3], 0
	s_and_saveexec_b32 s6, s20
	s_cbranch_execnz .LBB46_1314
	s_branch .LBB46_1315
.LBB46_1330:
	s_mov_b32 s6, -1
                                        ; implicit-def: $vgpr2_vgpr3
	s_branch .LBB46_1335
.LBB46_1331:
	s_mov_b32 s6, -1
                                        ; implicit-def: $vgpr2_vgpr3
.LBB46_1332:
	s_delay_alu instid0(SALU_CYCLE_1)
	s_and_b32 vcc_lo, exec_lo, s6
	s_cbranch_vccz .LBB46_1334
; %bb.1333:
	s_wait_loadcnt 0x0
	global_load_u8 v2, v[0:1], off
	s_wait_loadcnt 0x0
	v_lshlrev_b32_e32 v2, 24, v2
	s_delay_alu instid0(VALU_DEP_1) | instskip(NEXT) | instid1(VALU_DEP_1)
	v_and_b32_e32 v3, 0x7f000000, v2
	v_clz_i32_u32_e32 v4, v3
	v_add_nc_u32_e32 v7, 0x1000000, v3
	v_cmp_ne_u32_e32 vcc_lo, 0, v3
	s_delay_alu instid0(VALU_DEP_3) | instskip(NEXT) | instid1(VALU_DEP_1)
	v_min_u32_e32 v4, 32, v4
	v_sub_nc_u32_e64 v4, v4, 4 clamp
	s_delay_alu instid0(VALU_DEP_1) | instskip(NEXT) | instid1(VALU_DEP_1)
	v_dual_lshlrev_b32 v5, v4, v3 :: v_dual_lshlrev_b32 v4, 23, v4
	v_lshrrev_b32_e32 v5, 4, v5
	s_delay_alu instid0(VALU_DEP_1) | instskip(NEXT) | instid1(VALU_DEP_1)
	v_dual_sub_nc_u32 v4, v5, v4 :: v_dual_ashrrev_i32 v5, 8, v7
	v_add_nc_u32_e32 v4, 0x3c000000, v4
	s_delay_alu instid0(VALU_DEP_1) | instskip(NEXT) | instid1(VALU_DEP_1)
	v_and_or_b32 v4, 0x7f800000, v5, v4
	v_cndmask_b32_e32 v3, 0, v4, vcc_lo
	s_delay_alu instid0(VALU_DEP_1) | instskip(NEXT) | instid1(VALU_DEP_1)
	v_and_or_b32 v2, 0x80000000, v2, v3
	v_trunc_f32_e32 v2, v2
	s_delay_alu instid0(VALU_DEP_1) | instskip(NEXT) | instid1(VALU_DEP_1)
	v_mul_f32_e64 v3, 0x2f800000, |v2|
	v_floor_f32_e32 v3, v3
	s_delay_alu instid0(VALU_DEP_1) | instskip(SKIP_2) | instid1(VALU_DEP_3)
	v_fma_f32 v4, 0xcf800000, v3, |v2|
	v_ashrrev_i32_e32 v2, 31, v2
	v_cvt_u32_f32_e32 v5, v3
	v_cvt_u32_f32_e32 v4, v4
	s_delay_alu instid0(VALU_DEP_2) | instskip(NEXT) | instid1(VALU_DEP_2)
	v_dual_mov_b32 v3, v2 :: v_dual_bitop2_b32 v5, v5, v2 bitop3:0x14
	v_xor_b32_e32 v4, v4, v2
	s_delay_alu instid0(VALU_DEP_1)
	v_sub_nc_u64_e32 v[2:3], v[4:5], v[2:3]
.LBB46_1334:
	s_mov_b32 s6, 0
.LBB46_1335:
	s_delay_alu instid0(SALU_CYCLE_1)
	s_and_not1_b32 vcc_lo, exec_lo, s6
	s_cbranch_vccnz .LBB46_1337
; %bb.1336:
	s_wait_loadcnt 0x0
	global_load_u8 v2, v[0:1], off
	s_wait_loadcnt 0x0
	v_lshlrev_b32_e32 v3, 25, v2
	v_lshlrev_b16 v2, 8, v2
	s_delay_alu instid0(VALU_DEP_1) | instskip(SKIP_1) | instid1(VALU_DEP_2)
	v_and_or_b32 v5, 0x7f00, v2, 0.5
	v_bfe_i32 v2, v2, 0, 16
	v_dual_add_f32 v5, -0.5, v5 :: v_dual_lshrrev_b32 v4, 4, v3
	v_cmp_gt_u32_e32 vcc_lo, 0x8000000, v3
	s_delay_alu instid0(VALU_DEP_2) | instskip(NEXT) | instid1(VALU_DEP_1)
	v_or_b32_e32 v4, 0x70000000, v4
	v_mul_f32_e32 v4, 0x7800000, v4
	s_delay_alu instid0(VALU_DEP_1) | instskip(NEXT) | instid1(VALU_DEP_1)
	v_cndmask_b32_e32 v3, v4, v5, vcc_lo
	v_and_or_b32 v2, 0x80000000, v2, v3
	s_delay_alu instid0(VALU_DEP_1) | instskip(NEXT) | instid1(VALU_DEP_1)
	v_trunc_f32_e32 v2, v2
	v_mul_f32_e64 v3, 0x2f800000, |v2|
	s_delay_alu instid0(VALU_DEP_1) | instskip(NEXT) | instid1(VALU_DEP_1)
	v_floor_f32_e32 v3, v3
	v_fma_f32 v4, 0xcf800000, v3, |v2|
	v_ashrrev_i32_e32 v2, 31, v2
	v_cvt_u32_f32_e32 v5, v3
	s_delay_alu instid0(VALU_DEP_3) | instskip(NEXT) | instid1(VALU_DEP_2)
	v_cvt_u32_f32_e32 v4, v4
	v_dual_mov_b32 v3, v2 :: v_dual_bitop2_b32 v5, v5, v2 bitop3:0x14
	s_delay_alu instid0(VALU_DEP_2) | instskip(NEXT) | instid1(VALU_DEP_1)
	v_xor_b32_e32 v4, v4, v2
	v_sub_nc_u64_e32 v[2:3], v[4:5], v[2:3]
.LBB46_1337:
	s_mov_b32 s6, 0
	s_mov_b32 s20, -1
.LBB46_1338:
	s_and_not1_b32 vcc_lo, exec_lo, s6
	s_mov_b32 s7, 0
	s_cbranch_vccnz .LBB46_1349
; %bb.1339:
	s_cmp_gt_i32 s17, 14
	s_cbranch_scc0 .LBB46_1342
; %bb.1340:
	s_cmp_eq_u32 s17, 15
	s_cbranch_scc0 .LBB46_1345
; %bb.1341:
	s_wait_loadcnt 0x0
	global_load_u16 v2, v[0:1], off
	s_mov_b32 s0, 0
	s_mov_b32 s20, -1
	s_wait_loadcnt 0x0
	v_lshlrev_b32_e32 v2, 16, v2
	s_delay_alu instid0(VALU_DEP_1) | instskip(NEXT) | instid1(VALU_DEP_1)
	v_trunc_f32_e32 v2, v2
	v_mul_f32_e64 v3, 0x2f800000, |v2|
	s_delay_alu instid0(VALU_DEP_1) | instskip(NEXT) | instid1(VALU_DEP_1)
	v_floor_f32_e32 v3, v3
	v_fma_f32 v4, 0xcf800000, v3, |v2|
	v_ashrrev_i32_e32 v2, 31, v2
	v_cvt_u32_f32_e32 v5, v3
	s_delay_alu instid0(VALU_DEP_3) | instskip(NEXT) | instid1(VALU_DEP_2)
	v_cvt_u32_f32_e32 v4, v4
	v_dual_mov_b32 v3, v2 :: v_dual_bitop2_b32 v5, v5, v2 bitop3:0x14
	s_delay_alu instid0(VALU_DEP_2) | instskip(NEXT) | instid1(VALU_DEP_1)
	v_xor_b32_e32 v4, v4, v2
	v_sub_nc_u64_e32 v[2:3], v[4:5], v[2:3]
	s_branch .LBB46_1346
.LBB46_1342:
	s_mov_b32 s6, -1
                                        ; implicit-def: $vgpr2_vgpr3
	s_branch .LBB46_1347
.LBB46_1343:
	s_and_not1_saveexec_b32 s6, s6
	s_cbranch_execz .LBB46_1324
.LBB46_1344:
	v_cmp_ne_u16_e32 vcc_lo, 0, v4
	s_and_not1_b32 s7, s7, exec_lo
	s_and_b32 s20, vcc_lo, exec_lo
	s_delay_alu instid0(SALU_CYCLE_1)
	s_or_b32 s7, s7, s20
	s_or_b32 exec_lo, exec_lo, s6
	v_mov_b64_e32 v[2:3], 0
	s_and_saveexec_b32 s6, s7
	s_cbranch_execnz .LBB46_1325
	s_branch .LBB46_1326
.LBB46_1345:
	s_mov_b32 s0, -1
                                        ; implicit-def: $vgpr2_vgpr3
.LBB46_1346:
	s_mov_b32 s6, 0
.LBB46_1347:
	s_delay_alu instid0(SALU_CYCLE_1)
	s_and_b32 vcc_lo, exec_lo, s6
	s_cbranch_vccz .LBB46_1349
; %bb.1348:
	s_cmp_lg_u32 s17, 11
	s_mov_b32 s7, -1
	s_cselect_b32 s0, -1, 0
.LBB46_1349:
	s_delay_alu instid0(SALU_CYCLE_1)
	s_and_b32 vcc_lo, exec_lo, s0
	s_mov_b32 s6, s18
	s_cbranch_vccnz .LBB46_1772
; %bb.1350:
	s_and_not1_b32 vcc_lo, exec_lo, s7
	s_cbranch_vccnz .LBB46_1352
.LBB46_1351:
	s_wait_loadcnt 0x0
	global_load_u8 v2, v[0:1], off
	s_mov_b32 s0, 0
	s_mov_b32 s20, -1
	v_mov_b32_e32 v3, s0
	s_wait_loadcnt 0x0
	v_cmp_ne_u16_e32 vcc_lo, 0, v2
	v_cndmask_b32_e64 v2, 0, 1, vcc_lo
.LBB46_1352:
	s_mov_b32 s0, 0
.LBB46_1353:
	s_delay_alu instid0(SALU_CYCLE_1)
	s_and_b32 vcc_lo, exec_lo, s0
	s_cbranch_vccz .LBB46_1402
; %bb.1354:
	s_cmp_lt_i32 s17, 5
	s_cbranch_scc1 .LBB46_1359
; %bb.1355:
	s_cmp_lt_i32 s17, 8
	s_cbranch_scc1 .LBB46_1360
	;; [unrolled: 3-line block ×3, first 2 shown]
; %bb.1357:
	s_cmp_gt_i32 s17, 9
	s_cbranch_scc0 .LBB46_1362
; %bb.1358:
	s_wait_loadcnt 0x0
	global_load_b64 v[2:3], v[0:1], off
	s_mov_b32 s0, 0
	s_wait_loadcnt 0x0
	v_trunc_f64_e32 v[2:3], v[2:3]
	s_delay_alu instid0(VALU_DEP_1) | instskip(NEXT) | instid1(VALU_DEP_1)
	v_ldexp_f64 v[4:5], v[2:3], 0xffffffe0
	v_floor_f64_e32 v[4:5], v[4:5]
	s_delay_alu instid0(VALU_DEP_1) | instskip(SKIP_1) | instid1(VALU_DEP_2)
	v_fmamk_f64 v[8:9], v[4:5], 0xc1f00000, v[2:3]
	v_cvt_i32_f64_e32 v3, v[4:5]
	v_cvt_u32_f64_e32 v2, v[8:9]
	s_branch .LBB46_1363
.LBB46_1359:
	s_mov_b32 s0, -1
                                        ; implicit-def: $vgpr2_vgpr3
	s_branch .LBB46_1381
.LBB46_1360:
	s_mov_b32 s0, -1
                                        ; implicit-def: $vgpr2_vgpr3
	s_branch .LBB46_1369
.LBB46_1361:
	s_mov_b32 s0, -1
                                        ; implicit-def: $vgpr2_vgpr3
	s_branch .LBB46_1366
.LBB46_1362:
	s_mov_b32 s0, -1
                                        ; implicit-def: $vgpr2_vgpr3
.LBB46_1363:
	s_delay_alu instid0(SALU_CYCLE_1)
	s_and_not1_b32 vcc_lo, exec_lo, s0
	s_cbranch_vccnz .LBB46_1365
; %bb.1364:
	s_wait_loadcnt 0x0
	global_load_b32 v2, v[0:1], off
	s_wait_loadcnt 0x0
	v_trunc_f32_e32 v2, v2
	s_delay_alu instid0(VALU_DEP_1) | instskip(NEXT) | instid1(VALU_DEP_1)
	v_mul_f32_e64 v3, 0x2f800000, |v2|
	v_floor_f32_e32 v3, v3
	s_delay_alu instid0(VALU_DEP_1) | instskip(SKIP_2) | instid1(VALU_DEP_3)
	v_fma_f32 v4, 0xcf800000, v3, |v2|
	v_ashrrev_i32_e32 v2, 31, v2
	v_cvt_u32_f32_e32 v5, v3
	v_cvt_u32_f32_e32 v4, v4
	s_delay_alu instid0(VALU_DEP_2) | instskip(NEXT) | instid1(VALU_DEP_2)
	v_dual_mov_b32 v3, v2 :: v_dual_bitop2_b32 v5, v5, v2 bitop3:0x14
	v_xor_b32_e32 v4, v4, v2
	s_delay_alu instid0(VALU_DEP_1)
	v_sub_nc_u64_e32 v[2:3], v[4:5], v[2:3]
.LBB46_1365:
	s_mov_b32 s0, 0
.LBB46_1366:
	s_delay_alu instid0(SALU_CYCLE_1)
	s_and_not1_b32 vcc_lo, exec_lo, s0
	s_cbranch_vccnz .LBB46_1368
; %bb.1367:
	s_wait_loadcnt 0x0
	global_load_b32 v2, v[0:1], off
	s_wait_loadcnt 0x0
	v_cvt_f32_f16_e32 v2, v2
	s_delay_alu instid0(VALU_DEP_1) | instskip(NEXT) | instid1(VALU_DEP_1)
	v_cvt_i32_f32_e32 v2, v2
	v_ashrrev_i32_e32 v3, 31, v2
.LBB46_1368:
	s_mov_b32 s0, 0
.LBB46_1369:
	s_delay_alu instid0(SALU_CYCLE_1)
	s_and_not1_b32 vcc_lo, exec_lo, s0
	s_cbranch_vccnz .LBB46_1380
; %bb.1370:
	s_cmp_lt_i32 s17, 6
	s_cbranch_scc1 .LBB46_1373
; %bb.1371:
	s_cmp_gt_i32 s17, 6
	s_cbranch_scc0 .LBB46_1374
; %bb.1372:
	s_wait_loadcnt 0x0
	global_load_b64 v[2:3], v[0:1], off
	s_mov_b32 s0, 0
	s_wait_loadcnt 0x0
	v_trunc_f64_e32 v[2:3], v[2:3]
	s_delay_alu instid0(VALU_DEP_1) | instskip(NEXT) | instid1(VALU_DEP_1)
	v_ldexp_f64 v[4:5], v[2:3], 0xffffffe0
	v_floor_f64_e32 v[4:5], v[4:5]
	s_delay_alu instid0(VALU_DEP_1) | instskip(SKIP_1) | instid1(VALU_DEP_2)
	v_fmamk_f64 v[8:9], v[4:5], 0xc1f00000, v[2:3]
	v_cvt_i32_f64_e32 v3, v[4:5]
	v_cvt_u32_f64_e32 v2, v[8:9]
	s_branch .LBB46_1375
.LBB46_1373:
	s_mov_b32 s0, -1
                                        ; implicit-def: $vgpr2_vgpr3
	s_branch .LBB46_1378
.LBB46_1374:
	s_mov_b32 s0, -1
                                        ; implicit-def: $vgpr2_vgpr3
.LBB46_1375:
	s_delay_alu instid0(SALU_CYCLE_1)
	s_and_not1_b32 vcc_lo, exec_lo, s0
	s_cbranch_vccnz .LBB46_1377
; %bb.1376:
	s_wait_loadcnt 0x0
	global_load_b32 v2, v[0:1], off
	s_wait_loadcnt 0x0
	v_trunc_f32_e32 v2, v2
	s_delay_alu instid0(VALU_DEP_1) | instskip(NEXT) | instid1(VALU_DEP_1)
	v_mul_f32_e64 v3, 0x2f800000, |v2|
	v_floor_f32_e32 v3, v3
	s_delay_alu instid0(VALU_DEP_1) | instskip(SKIP_2) | instid1(VALU_DEP_3)
	v_fma_f32 v4, 0xcf800000, v3, |v2|
	v_ashrrev_i32_e32 v2, 31, v2
	v_cvt_u32_f32_e32 v5, v3
	v_cvt_u32_f32_e32 v4, v4
	s_delay_alu instid0(VALU_DEP_2) | instskip(NEXT) | instid1(VALU_DEP_2)
	v_dual_mov_b32 v3, v2 :: v_dual_bitop2_b32 v5, v5, v2 bitop3:0x14
	v_xor_b32_e32 v4, v4, v2
	s_delay_alu instid0(VALU_DEP_1)
	v_sub_nc_u64_e32 v[2:3], v[4:5], v[2:3]
.LBB46_1377:
	s_mov_b32 s0, 0
.LBB46_1378:
	s_delay_alu instid0(SALU_CYCLE_1)
	s_and_not1_b32 vcc_lo, exec_lo, s0
	s_cbranch_vccnz .LBB46_1380
; %bb.1379:
	s_wait_loadcnt 0x0
	global_load_u16 v2, v[0:1], off
	s_wait_loadcnt 0x0
	v_cvt_f32_f16_e32 v2, v2
	s_delay_alu instid0(VALU_DEP_1) | instskip(NEXT) | instid1(VALU_DEP_1)
	v_cvt_i32_f32_e32 v2, v2
	v_ashrrev_i32_e32 v3, 31, v2
.LBB46_1380:
	s_mov_b32 s0, 0
.LBB46_1381:
	s_delay_alu instid0(SALU_CYCLE_1)
	s_and_not1_b32 vcc_lo, exec_lo, s0
	s_cbranch_vccnz .LBB46_1401
; %bb.1382:
	s_cmp_lt_i32 s17, 2
	s_cbranch_scc1 .LBB46_1386
; %bb.1383:
	s_cmp_lt_i32 s17, 3
	s_cbranch_scc1 .LBB46_1387
; %bb.1384:
	s_cmp_gt_i32 s17, 3
	s_cbranch_scc0 .LBB46_1388
; %bb.1385:
	s_wait_loadcnt 0x0
	global_load_b64 v[2:3], v[0:1], off
	s_mov_b32 s0, 0
	s_branch .LBB46_1389
.LBB46_1386:
	s_mov_b32 s0, -1
                                        ; implicit-def: $vgpr2_vgpr3
	s_branch .LBB46_1395
.LBB46_1387:
	s_mov_b32 s0, -1
                                        ; implicit-def: $vgpr2_vgpr3
	s_branch .LBB46_1392
.LBB46_1388:
	s_mov_b32 s0, -1
                                        ; implicit-def: $vgpr2_vgpr3
.LBB46_1389:
	s_delay_alu instid0(SALU_CYCLE_1)
	s_and_not1_b32 vcc_lo, exec_lo, s0
	s_cbranch_vccnz .LBB46_1391
; %bb.1390:
	s_wait_loadcnt 0x0
	global_load_b32 v2, v[0:1], off
	s_wait_loadcnt 0x0
	v_ashrrev_i32_e32 v3, 31, v2
.LBB46_1391:
	s_mov_b32 s0, 0
.LBB46_1392:
	s_delay_alu instid0(SALU_CYCLE_1)
	s_and_not1_b32 vcc_lo, exec_lo, s0
	s_cbranch_vccnz .LBB46_1394
; %bb.1393:
	s_wait_loadcnt 0x0
	global_load_u16 v2, v[0:1], off
	s_wait_loadcnt 0x0
	v_bfe_i32 v2, v2, 0, 16
	s_delay_alu instid0(VALU_DEP_1)
	v_ashrrev_i32_e32 v3, 31, v2
.LBB46_1394:
	s_mov_b32 s0, 0
.LBB46_1395:
	s_delay_alu instid0(SALU_CYCLE_1)
	s_and_not1_b32 vcc_lo, exec_lo, s0
	s_cbranch_vccnz .LBB46_1401
; %bb.1396:
	s_cmp_gt_i32 s17, 0
	s_mov_b32 s0, 0
	s_cbranch_scc0 .LBB46_1398
; %bb.1397:
	s_wait_loadcnt 0x0
	global_load_i8 v2, v[0:1], off
	s_wait_loadcnt 0x0
	v_bfe_i32 v2, v2, 0, 16
	s_delay_alu instid0(VALU_DEP_1)
	v_ashrrev_i32_e32 v3, 31, v2
	s_branch .LBB46_1399
.LBB46_1398:
	s_mov_b32 s0, -1
                                        ; implicit-def: $vgpr2_vgpr3
.LBB46_1399:
	s_delay_alu instid0(SALU_CYCLE_1)
	s_and_not1_b32 vcc_lo, exec_lo, s0
	s_cbranch_vccnz .LBB46_1401
; %bb.1400:
	global_load_u8 v0, v[0:1], off
	s_mov_b32 s0, 0
	s_wait_loadcnt 0x1
	v_mov_b32_e32 v3, s0
	s_wait_loadcnt 0x0
	v_and_b32_e32 v2, 0xffff, v0
.LBB46_1401:
	s_mov_b32 s20, -1
.LBB46_1402:
	s_delay_alu instid0(SALU_CYCLE_1)
	s_and_not1_b32 vcc_lo, exec_lo, s20
	s_cbranch_vccnz .LBB46_1453
; %bb.1403:
	s_wait_loadcnt 0x0
	s_delay_alu instid0(VALU_DEP_1) | instskip(SKIP_4) | instid1(SALU_CYCLE_1)
	v_cmp_gt_i64_e32 vcc_lo, s[8:9], v[2:3]
	v_cmp_le_i64_e64 s0, s[10:11], v[2:3]
	s_or_b32 s0, vcc_lo, s0
	s_wait_xcnt 0x0
	s_and_saveexec_b32 s7, s0
	s_xor_b32 s0, exec_lo, s7
	s_cbranch_execnz .LBB46_1780
.LBB46_1404:
	s_or_saveexec_b32 s7, s0
	s_mov_b32 s8, 0
	s_mov_b32 s9, 0
                                        ; implicit-def: $sgpr0
                                        ; implicit-def: $vgpr2_vgpr3
	s_xor_b32 exec_lo, exec_lo, s7
	s_cbranch_execz .LBB46_1721
; %bb.1405:
	v_mul_lo_u32 v0, s2, v6
	s_and_b32 s0, s12, 0xff
	s_delay_alu instid0(SALU_CYCLE_1) | instskip(NEXT) | instid1(VALU_DEP_1)
	s_cmp_lt_i32 s0, 11
	v_ashrrev_i32_e32 v1, 31, v0
	s_delay_alu instid0(VALU_DEP_1)
	v_add_nc_u64_e32 v[2:3], s[4:5], v[0:1]
	s_cbranch_scc1 .LBB46_1454
; %bb.1406:
	s_and_b32 s8, 0xffff, s0
	s_mov_b32 s12, -1
	s_mov_b32 s11, 0
	s_cmp_gt_i32 s8, 25
	s_mov_b32 s10, 0
	s_cbranch_scc0 .LBB46_1431
; %bb.1407:
	s_cmp_gt_i32 s8, 28
	s_cbranch_scc0 .LBB46_1420
; %bb.1408:
	s_cmp_gt_i32 s8, 43
	s_cbranch_scc0 .LBB46_1416
; %bb.1409:
	s_cmp_gt_i32 s8, 45
	s_cbranch_scc0 .LBB46_1412
; %bb.1410:
	s_mov_b32 s9, -1
	s_mov_b32 s12, 0
	s_cmp_eq_u32 s8, 46
	s_cbranch_scc0 .LBB46_1412
; %bb.1411:
	v_mov_b32_e32 v1, 0
	s_mov_b32 s9, 0
	s_mov_b32 s10, -1
	global_store_b32 v[2:3], v1, off
.LBB46_1412:
	s_and_b32 vcc_lo, exec_lo, s12
	s_cbranch_vccz .LBB46_1415
; %bb.1413:
	s_cmp_eq_u32 s8, 44
	s_mov_b32 s9, -1
	s_cbranch_scc0 .LBB46_1415
; %bb.1414:
	s_wait_xcnt 0x0
	v_mov_b32_e32 v1, 0
	s_mov_b32 s9, 0
	s_mov_b32 s10, -1
	global_store_b8 v[2:3], v1, off
.LBB46_1415:
	s_mov_b32 s12, 0
.LBB46_1416:
	s_delay_alu instid0(SALU_CYCLE_1)
	s_and_b32 vcc_lo, exec_lo, s12
	s_cbranch_vccz .LBB46_1419
; %bb.1417:
	s_cmp_eq_u32 s8, 29
	s_mov_b32 s9, -1
	s_cbranch_scc0 .LBB46_1419
; %bb.1418:
	v_mov_b64_e32 v[4:5], 0
	s_mov_b32 s9, 0
	s_mov_b32 s10, -1
	global_store_b64 v[2:3], v[4:5], off
.LBB46_1419:
	s_mov_b32 s12, 0
.LBB46_1420:
	s_delay_alu instid0(SALU_CYCLE_1)
	s_and_b32 vcc_lo, exec_lo, s12
	s_cbranch_vccz .LBB46_1430
; %bb.1421:
	s_cmp_lt_i32 s8, 27
	s_mov_b32 s10, -1
	s_cbranch_scc1 .LBB46_1427
; %bb.1422:
	s_cmp_gt_i32 s8, 27
	s_cbranch_scc0 .LBB46_1424
; %bb.1423:
	s_wait_xcnt 0x0
	v_mov_b32_e32 v1, 0
	s_mov_b32 s10, 0
	global_store_b32 v[2:3], v1, off
.LBB46_1424:
	s_and_not1_b32 vcc_lo, exec_lo, s10
	s_cbranch_vccnz .LBB46_1426
; %bb.1425:
	s_wait_xcnt 0x0
	v_mov_b32_e32 v1, 0
	global_store_b16 v[2:3], v1, off
.LBB46_1426:
	s_mov_b32 s10, 0
.LBB46_1427:
	s_delay_alu instid0(SALU_CYCLE_1)
	s_and_not1_b32 vcc_lo, exec_lo, s10
	s_cbranch_vccnz .LBB46_1429
; %bb.1428:
	s_wait_xcnt 0x0
	v_mov_b32_e32 v1, 0
	global_store_b8 v[2:3], v1, off
.LBB46_1429:
	s_mov_b32 s10, -1
.LBB46_1430:
	s_mov_b32 s12, 0
.LBB46_1431:
	s_delay_alu instid0(SALU_CYCLE_1)
	s_and_b32 vcc_lo, exec_lo, s12
	s_cbranch_vccz .LBB46_1449
; %bb.1432:
	s_cmp_gt_i32 s8, 22
	s_mov_b32 s11, -1
	s_cbranch_scc0 .LBB46_1442
; %bb.1433:
	s_cmp_lt_i32 s8, 24
	s_mov_b32 s10, -1
	s_cbranch_scc1 .LBB46_1439
; %bb.1434:
	s_cmp_gt_i32 s8, 24
	s_cbranch_scc0 .LBB46_1436
; %bb.1435:
	s_wait_xcnt 0x0
	v_mov_b32_e32 v1, 0
	s_mov_b32 s10, 0
	global_store_b8 v[2:3], v1, off
.LBB46_1436:
	s_and_not1_b32 vcc_lo, exec_lo, s10
	s_cbranch_vccnz .LBB46_1438
; %bb.1437:
	s_wait_xcnt 0x0
	v_mov_b32_e32 v1, 0
	global_store_b8 v[2:3], v1, off
.LBB46_1438:
	s_mov_b32 s10, 0
.LBB46_1439:
	s_delay_alu instid0(SALU_CYCLE_1)
	s_and_not1_b32 vcc_lo, exec_lo, s10
	s_cbranch_vccnz .LBB46_1441
; %bb.1440:
	s_wait_xcnt 0x0
	v_mov_b32_e32 v1, 0
	global_store_b8 v[2:3], v1, off
.LBB46_1441:
	s_mov_b32 s11, 0
	s_mov_b32 s10, -1
.LBB46_1442:
	s_and_not1_b32 vcc_lo, exec_lo, s11
	s_mov_b32 s11, 0
	s_cbranch_vccnz .LBB46_1449
; %bb.1443:
	s_cmp_gt_i32 s8, 14
	s_mov_b32 s11, -1
	s_cbranch_scc0 .LBB46_1447
; %bb.1444:
	s_cmp_eq_u32 s8, 15
	s_mov_b32 s9, -1
	s_cbranch_scc0 .LBB46_1446
; %bb.1445:
	s_wait_xcnt 0x0
	v_mov_b32_e32 v1, 0
	s_mov_b32 s9, 0
	s_mov_b32 s10, -1
	global_store_b16 v[2:3], v1, off
.LBB46_1446:
	s_mov_b32 s11, 0
.LBB46_1447:
	s_delay_alu instid0(SALU_CYCLE_1)
	s_and_b32 vcc_lo, exec_lo, s11
	s_mov_b32 s11, 0
	s_cbranch_vccz .LBB46_1449
; %bb.1448:
	s_cmp_lg_u32 s8, 11
	s_mov_b32 s11, -1
	s_cselect_b32 s9, -1, 0
.LBB46_1449:
	s_delay_alu instid0(SALU_CYCLE_1)
	s_and_b32 vcc_lo, exec_lo, s9
	s_mov_b32 s8, s6
	s_cbranch_vccnz .LBB46_1774
; %bb.1450:
	s_and_not1_b32 vcc_lo, exec_lo, s11
	s_cbranch_vccnz .LBB46_1452
.LBB46_1451:
	s_wait_xcnt 0x0
	v_mov_b32_e32 v1, 0
	s_mov_b32 s10, -1
	global_store_b8 v[2:3], v1, off
.LBB46_1452:
	s_mov_b32 s9, 0
	s_branch .LBB46_1455
.LBB46_1453:
	s_mov_b32 s8, 0
	s_mov_b32 s9, 0
                                        ; implicit-def: $sgpr0
                                        ; implicit-def: $vgpr2_vgpr3
	s_branch .LBB46_1722
.LBB46_1454:
	s_mov_b32 s9, -1
	s_mov_b32 s10, 0
	s_mov_b32 s8, s6
.LBB46_1455:
	s_and_b32 vcc_lo, exec_lo, s9
	s_cbranch_vccz .LBB46_1494
; %bb.1456:
	s_and_b32 s9, 0xffff, s0
	s_mov_b32 s10, -1
	s_cmp_lt_i32 s9, 5
	s_cbranch_scc1 .LBB46_1477
; %bb.1457:
	s_cmp_lt_i32 s9, 8
	s_cbranch_scc1 .LBB46_1467
; %bb.1458:
	;; [unrolled: 3-line block ×3, first 2 shown]
	s_cmp_gt_i32 s9, 9
	s_cbranch_scc0 .LBB46_1461
; %bb.1460:
	s_wait_xcnt 0x0
	v_mov_b32_e32 v4, 0
	s_mov_b32 s10, 0
	s_delay_alu instid0(VALU_DEP_1)
	v_dual_mov_b32 v5, v4 :: v_dual_mov_b32 v6, v4
	v_mov_b32_e32 v7, v4
	global_store_b128 v[2:3], v[4:7], off
.LBB46_1461:
	s_and_not1_b32 vcc_lo, exec_lo, s10
	s_cbranch_vccnz .LBB46_1463
; %bb.1462:
	s_wait_xcnt 0x0
	v_mov_b64_e32 v[4:5], 0
	global_store_b64 v[2:3], v[4:5], off
.LBB46_1463:
	s_mov_b32 s10, 0
.LBB46_1464:
	s_delay_alu instid0(SALU_CYCLE_1)
	s_and_not1_b32 vcc_lo, exec_lo, s10
	s_cbranch_vccnz .LBB46_1466
; %bb.1465:
	s_wait_xcnt 0x0
	v_mov_b32_e32 v1, 0
	global_store_b32 v[2:3], v1, off
.LBB46_1466:
	s_mov_b32 s10, 0
.LBB46_1467:
	s_delay_alu instid0(SALU_CYCLE_1)
	s_and_not1_b32 vcc_lo, exec_lo, s10
	s_cbranch_vccnz .LBB46_1476
; %bb.1468:
	s_cmp_lt_i32 s9, 6
	s_mov_b32 s10, -1
	s_cbranch_scc1 .LBB46_1474
; %bb.1469:
	s_cmp_gt_i32 s9, 6
	s_cbranch_scc0 .LBB46_1471
; %bb.1470:
	s_wait_xcnt 0x0
	v_mov_b64_e32 v[4:5], 0
	s_mov_b32 s10, 0
	global_store_b64 v[2:3], v[4:5], off
.LBB46_1471:
	s_and_not1_b32 vcc_lo, exec_lo, s10
	s_cbranch_vccnz .LBB46_1473
; %bb.1472:
	s_wait_xcnt 0x0
	v_mov_b32_e32 v1, 0
	global_store_b32 v[2:3], v1, off
.LBB46_1473:
	s_mov_b32 s10, 0
.LBB46_1474:
	s_delay_alu instid0(SALU_CYCLE_1)
	s_and_not1_b32 vcc_lo, exec_lo, s10
	s_cbranch_vccnz .LBB46_1476
; %bb.1475:
	s_wait_xcnt 0x0
	v_mov_b32_e32 v1, 0
	global_store_b16 v[2:3], v1, off
.LBB46_1476:
	s_mov_b32 s10, 0
.LBB46_1477:
	s_delay_alu instid0(SALU_CYCLE_1)
	s_and_not1_b32 vcc_lo, exec_lo, s10
	s_cbranch_vccnz .LBB46_1493
; %bb.1478:
	s_cmp_lt_i32 s9, 2
	s_mov_b32 s10, -1
	s_cbranch_scc1 .LBB46_1488
; %bb.1479:
	s_cmp_lt_i32 s9, 3
	s_cbranch_scc1 .LBB46_1485
; %bb.1480:
	s_cmp_gt_i32 s9, 3
	s_cbranch_scc0 .LBB46_1482
; %bb.1481:
	s_wait_xcnt 0x0
	v_mov_b64_e32 v[4:5], 0
	s_mov_b32 s10, 0
	global_store_b64 v[2:3], v[4:5], off
.LBB46_1482:
	s_and_not1_b32 vcc_lo, exec_lo, s10
	s_cbranch_vccnz .LBB46_1484
; %bb.1483:
	s_wait_xcnt 0x0
	v_mov_b32_e32 v1, 0
	global_store_b32 v[2:3], v1, off
.LBB46_1484:
	s_mov_b32 s10, 0
.LBB46_1485:
	s_delay_alu instid0(SALU_CYCLE_1)
	s_and_not1_b32 vcc_lo, exec_lo, s10
	s_cbranch_vccnz .LBB46_1487
; %bb.1486:
	s_wait_xcnt 0x0
	v_mov_b32_e32 v1, 0
	global_store_b16 v[2:3], v1, off
.LBB46_1487:
	s_mov_b32 s10, 0
.LBB46_1488:
	s_delay_alu instid0(SALU_CYCLE_1)
	s_and_not1_b32 vcc_lo, exec_lo, s10
	s_cbranch_vccnz .LBB46_1493
; %bb.1489:
	s_cmp_gt_i32 s9, 0
	s_mov_b32 s9, -1
	s_cbranch_scc0 .LBB46_1491
; %bb.1490:
	s_wait_xcnt 0x0
	v_mov_b32_e32 v1, 0
	s_mov_b32 s9, 0
	global_store_b8 v[2:3], v1, off
.LBB46_1491:
	s_and_not1_b32 vcc_lo, exec_lo, s9
	s_cbranch_vccnz .LBB46_1493
; %bb.1492:
	s_wait_xcnt 0x0
	v_mov_b32_e32 v1, 0
	global_store_b8 v[2:3], v1, off
.LBB46_1493:
	s_mov_b32 s10, -1
.LBB46_1494:
	s_delay_alu instid0(SALU_CYCLE_1)
	s_and_not1_b32 vcc_lo, exec_lo, s10
	s_cbranch_vccnz .LBB46_1719
; %bb.1495:
	s_lshl_b32 s2, s2, 7
	s_cmp_lt_i32 s0, 11
	v_add_nc_u32_e32 v0, s2, v0
	s_wait_xcnt 0x0
	s_delay_alu instid0(VALU_DEP_1) | instskip(NEXT) | instid1(VALU_DEP_1)
	v_ashrrev_i32_e32 v1, 31, v0
	v_add_nc_u64_e32 v[2:3], s[4:5], v[0:1]
	s_cbranch_scc1 .LBB46_1543
; %bb.1496:
	s_and_b32 s9, 0xffff, s0
	s_mov_b32 s17, -1
	s_mov_b32 s12, 0
	s_cmp_gt_i32 s9, 25
	s_mov_b32 s11, 0
	s_mov_b32 s10, 0
	s_cbranch_scc0 .LBB46_1521
; %bb.1497:
	s_cmp_gt_i32 s9, 28
	s_cbranch_scc0 .LBB46_1510
; %bb.1498:
	s_cmp_gt_i32 s9, 43
	s_cbranch_scc0 .LBB46_1506
; %bb.1499:
	s_cmp_gt_i32 s9, 45
	s_cbranch_scc0 .LBB46_1502
; %bb.1500:
	s_mov_b32 s10, -1
	s_mov_b32 s17, 0
	s_cmp_eq_u32 s9, 46
	s_cbranch_scc0 .LBB46_1502
; %bb.1501:
	v_mov_b32_e32 v1, 0
	s_mov_b32 s10, 0
	s_mov_b32 s11, -1
	global_store_b32 v[2:3], v1, off
.LBB46_1502:
	s_and_b32 vcc_lo, exec_lo, s17
	s_cbranch_vccz .LBB46_1505
; %bb.1503:
	s_cmp_eq_u32 s9, 44
	s_mov_b32 s10, -1
	s_cbranch_scc0 .LBB46_1505
; %bb.1504:
	s_wait_xcnt 0x0
	v_mov_b32_e32 v1, 0
	s_mov_b32 s10, 0
	s_mov_b32 s11, -1
	global_store_b8 v[2:3], v1, off
.LBB46_1505:
	s_mov_b32 s17, 0
.LBB46_1506:
	s_delay_alu instid0(SALU_CYCLE_1)
	s_and_b32 vcc_lo, exec_lo, s17
	s_cbranch_vccz .LBB46_1509
; %bb.1507:
	s_cmp_eq_u32 s9, 29
	s_mov_b32 s10, -1
	s_cbranch_scc0 .LBB46_1509
; %bb.1508:
	v_mov_b64_e32 v[4:5], 0
	s_mov_b32 s10, 0
	s_mov_b32 s11, -1
	global_store_b64 v[2:3], v[4:5], off
.LBB46_1509:
	s_mov_b32 s17, 0
.LBB46_1510:
	s_delay_alu instid0(SALU_CYCLE_1)
	s_and_b32 vcc_lo, exec_lo, s17
	s_cbranch_vccz .LBB46_1520
; %bb.1511:
	s_cmp_lt_i32 s9, 27
	s_mov_b32 s11, -1
	s_cbranch_scc1 .LBB46_1517
; %bb.1512:
	s_cmp_gt_i32 s9, 27
	s_cbranch_scc0 .LBB46_1514
; %bb.1513:
	s_wait_xcnt 0x0
	v_mov_b32_e32 v1, 0
	s_mov_b32 s11, 0
	global_store_b32 v[2:3], v1, off
.LBB46_1514:
	s_and_not1_b32 vcc_lo, exec_lo, s11
	s_cbranch_vccnz .LBB46_1516
; %bb.1515:
	s_wait_xcnt 0x0
	v_mov_b32_e32 v1, 0
	global_store_b16 v[2:3], v1, off
.LBB46_1516:
	s_mov_b32 s11, 0
.LBB46_1517:
	s_delay_alu instid0(SALU_CYCLE_1)
	s_and_not1_b32 vcc_lo, exec_lo, s11
	s_cbranch_vccnz .LBB46_1519
; %bb.1518:
	s_wait_xcnt 0x0
	v_mov_b32_e32 v1, 0
	global_store_b8 v[2:3], v1, off
.LBB46_1519:
	s_mov_b32 s11, -1
.LBB46_1520:
	s_mov_b32 s17, 0
.LBB46_1521:
	s_delay_alu instid0(SALU_CYCLE_1)
	s_and_b32 vcc_lo, exec_lo, s17
	s_cbranch_vccz .LBB46_1539
; %bb.1522:
	s_cmp_gt_i32 s9, 22
	s_mov_b32 s12, -1
	s_cbranch_scc0 .LBB46_1532
; %bb.1523:
	s_cmp_lt_i32 s9, 24
	s_mov_b32 s11, -1
	s_cbranch_scc1 .LBB46_1529
; %bb.1524:
	s_cmp_gt_i32 s9, 24
	s_cbranch_scc0 .LBB46_1526
; %bb.1525:
	s_wait_xcnt 0x0
	v_mov_b32_e32 v1, 0
	s_mov_b32 s11, 0
	global_store_b8 v[2:3], v1, off
.LBB46_1526:
	s_and_not1_b32 vcc_lo, exec_lo, s11
	s_cbranch_vccnz .LBB46_1528
; %bb.1527:
	s_wait_xcnt 0x0
	v_mov_b32_e32 v1, 0
	global_store_b8 v[2:3], v1, off
.LBB46_1528:
	s_mov_b32 s11, 0
.LBB46_1529:
	s_delay_alu instid0(SALU_CYCLE_1)
	s_and_not1_b32 vcc_lo, exec_lo, s11
	s_cbranch_vccnz .LBB46_1531
; %bb.1530:
	s_wait_xcnt 0x0
	v_mov_b32_e32 v1, 0
	global_store_b8 v[2:3], v1, off
.LBB46_1531:
	s_mov_b32 s12, 0
	s_mov_b32 s11, -1
.LBB46_1532:
	s_and_not1_b32 vcc_lo, exec_lo, s12
	s_mov_b32 s12, 0
	s_cbranch_vccnz .LBB46_1539
; %bb.1533:
	s_cmp_gt_i32 s9, 14
	s_mov_b32 s12, -1
	s_cbranch_scc0 .LBB46_1537
; %bb.1534:
	s_cmp_eq_u32 s9, 15
	s_mov_b32 s10, -1
	s_cbranch_scc0 .LBB46_1536
; %bb.1535:
	s_wait_xcnt 0x0
	v_mov_b32_e32 v1, 0
	s_mov_b32 s10, 0
	s_mov_b32 s11, -1
	global_store_b16 v[2:3], v1, off
.LBB46_1536:
	s_mov_b32 s12, 0
.LBB46_1537:
	s_delay_alu instid0(SALU_CYCLE_1)
	s_and_b32 vcc_lo, exec_lo, s12
	s_mov_b32 s12, 0
	s_cbranch_vccz .LBB46_1539
; %bb.1538:
	s_cmp_lg_u32 s9, 11
	s_mov_b32 s12, -1
	s_cselect_b32 s10, -1, 0
.LBB46_1539:
	s_delay_alu instid0(SALU_CYCLE_1)
	s_and_b32 vcc_lo, exec_lo, s10
	s_cbranch_vccnz .LBB46_1776
; %bb.1540:
	s_and_not1_b32 vcc_lo, exec_lo, s12
	s_cbranch_vccnz .LBB46_1542
.LBB46_1541:
	s_wait_xcnt 0x0
	v_mov_b32_e32 v1, 0
	s_mov_b32 s11, -1
	global_store_b8 v[2:3], v1, off
.LBB46_1542:
	s_mov_b32 s9, 0
	s_branch .LBB46_1544
.LBB46_1543:
	s_mov_b32 s9, -1
	s_mov_b32 s11, 0
.LBB46_1544:
	s_and_b32 vcc_lo, exec_lo, s9
	s_cbranch_vccz .LBB46_1583
; %bb.1545:
	s_and_b32 s9, 0xffff, s0
	s_mov_b32 s10, -1
	s_cmp_lt_i32 s9, 5
	s_cbranch_scc1 .LBB46_1566
; %bb.1546:
	s_cmp_lt_i32 s9, 8
	s_cbranch_scc1 .LBB46_1556
; %bb.1547:
	;; [unrolled: 3-line block ×3, first 2 shown]
	s_cmp_gt_i32 s9, 9
	s_cbranch_scc0 .LBB46_1550
; %bb.1549:
	s_wait_xcnt 0x0
	v_mov_b32_e32 v4, 0
	s_mov_b32 s10, 0
	s_delay_alu instid0(VALU_DEP_1)
	v_dual_mov_b32 v5, v4 :: v_dual_mov_b32 v6, v4
	v_mov_b32_e32 v7, v4
	global_store_b128 v[2:3], v[4:7], off
.LBB46_1550:
	s_and_not1_b32 vcc_lo, exec_lo, s10
	s_cbranch_vccnz .LBB46_1552
; %bb.1551:
	s_wait_xcnt 0x0
	v_mov_b64_e32 v[4:5], 0
	global_store_b64 v[2:3], v[4:5], off
.LBB46_1552:
	s_mov_b32 s10, 0
.LBB46_1553:
	s_delay_alu instid0(SALU_CYCLE_1)
	s_and_not1_b32 vcc_lo, exec_lo, s10
	s_cbranch_vccnz .LBB46_1555
; %bb.1554:
	s_wait_xcnt 0x0
	v_mov_b32_e32 v1, 0
	global_store_b32 v[2:3], v1, off
.LBB46_1555:
	s_mov_b32 s10, 0
.LBB46_1556:
	s_delay_alu instid0(SALU_CYCLE_1)
	s_and_not1_b32 vcc_lo, exec_lo, s10
	s_cbranch_vccnz .LBB46_1565
; %bb.1557:
	s_cmp_lt_i32 s9, 6
	s_mov_b32 s10, -1
	s_cbranch_scc1 .LBB46_1563
; %bb.1558:
	s_cmp_gt_i32 s9, 6
	s_cbranch_scc0 .LBB46_1560
; %bb.1559:
	s_wait_xcnt 0x0
	v_mov_b64_e32 v[4:5], 0
	s_mov_b32 s10, 0
	global_store_b64 v[2:3], v[4:5], off
.LBB46_1560:
	s_and_not1_b32 vcc_lo, exec_lo, s10
	s_cbranch_vccnz .LBB46_1562
; %bb.1561:
	s_wait_xcnt 0x0
	v_mov_b32_e32 v1, 0
	global_store_b32 v[2:3], v1, off
.LBB46_1562:
	s_mov_b32 s10, 0
.LBB46_1563:
	s_delay_alu instid0(SALU_CYCLE_1)
	s_and_not1_b32 vcc_lo, exec_lo, s10
	s_cbranch_vccnz .LBB46_1565
; %bb.1564:
	s_wait_xcnt 0x0
	v_mov_b32_e32 v1, 0
	global_store_b16 v[2:3], v1, off
.LBB46_1565:
	s_mov_b32 s10, 0
.LBB46_1566:
	s_delay_alu instid0(SALU_CYCLE_1)
	s_and_not1_b32 vcc_lo, exec_lo, s10
	s_cbranch_vccnz .LBB46_1582
; %bb.1567:
	s_cmp_lt_i32 s9, 2
	s_mov_b32 s10, -1
	s_cbranch_scc1 .LBB46_1577
; %bb.1568:
	s_cmp_lt_i32 s9, 3
	s_cbranch_scc1 .LBB46_1574
; %bb.1569:
	s_cmp_gt_i32 s9, 3
	s_cbranch_scc0 .LBB46_1571
; %bb.1570:
	s_wait_xcnt 0x0
	v_mov_b64_e32 v[4:5], 0
	s_mov_b32 s10, 0
	global_store_b64 v[2:3], v[4:5], off
.LBB46_1571:
	s_and_not1_b32 vcc_lo, exec_lo, s10
	s_cbranch_vccnz .LBB46_1573
; %bb.1572:
	s_wait_xcnt 0x0
	v_mov_b32_e32 v1, 0
	global_store_b32 v[2:3], v1, off
.LBB46_1573:
	s_mov_b32 s10, 0
.LBB46_1574:
	s_delay_alu instid0(SALU_CYCLE_1)
	s_and_not1_b32 vcc_lo, exec_lo, s10
	s_cbranch_vccnz .LBB46_1576
; %bb.1575:
	s_wait_xcnt 0x0
	v_mov_b32_e32 v1, 0
	global_store_b16 v[2:3], v1, off
.LBB46_1576:
	s_mov_b32 s10, 0
.LBB46_1577:
	s_delay_alu instid0(SALU_CYCLE_1)
	s_and_not1_b32 vcc_lo, exec_lo, s10
	s_cbranch_vccnz .LBB46_1582
; %bb.1578:
	s_cmp_gt_i32 s9, 0
	s_mov_b32 s9, -1
	s_cbranch_scc0 .LBB46_1580
; %bb.1579:
	s_wait_xcnt 0x0
	v_mov_b32_e32 v1, 0
	s_mov_b32 s9, 0
	global_store_b8 v[2:3], v1, off
.LBB46_1580:
	s_and_not1_b32 vcc_lo, exec_lo, s9
	s_cbranch_vccnz .LBB46_1582
; %bb.1581:
	s_wait_xcnt 0x0
	v_mov_b32_e32 v1, 0
	global_store_b8 v[2:3], v1, off
.LBB46_1582:
	s_mov_b32 s11, -1
.LBB46_1583:
	s_delay_alu instid0(SALU_CYCLE_1)
	s_and_not1_b32 vcc_lo, exec_lo, s11
	s_cbranch_vccnz .LBB46_1719
; %bb.1584:
	v_add_nc_u32_e32 v0, s2, v0
	s_cmp_lt_i32 s0, 11
	s_wait_xcnt 0x0
	s_delay_alu instid0(VALU_DEP_1) | instskip(NEXT) | instid1(VALU_DEP_1)
	v_ashrrev_i32_e32 v1, 31, v0
	v_add_nc_u64_e32 v[2:3], s[4:5], v[0:1]
	s_cbranch_scc1 .LBB46_1632
; %bb.1585:
	s_and_b32 s9, 0xffff, s0
	s_mov_b32 s17, -1
	s_mov_b32 s12, 0
	s_cmp_gt_i32 s9, 25
	s_mov_b32 s11, 0
	s_mov_b32 s10, 0
	s_cbranch_scc0 .LBB46_1610
; %bb.1586:
	s_cmp_gt_i32 s9, 28
	s_cbranch_scc0 .LBB46_1599
; %bb.1587:
	s_cmp_gt_i32 s9, 43
	;; [unrolled: 3-line block ×3, first 2 shown]
	s_cbranch_scc0 .LBB46_1591
; %bb.1589:
	s_mov_b32 s10, -1
	s_mov_b32 s17, 0
	s_cmp_eq_u32 s9, 46
	s_cbranch_scc0 .LBB46_1591
; %bb.1590:
	v_mov_b32_e32 v1, 0
	s_mov_b32 s10, 0
	s_mov_b32 s11, -1
	global_store_b32 v[2:3], v1, off
.LBB46_1591:
	s_and_b32 vcc_lo, exec_lo, s17
	s_cbranch_vccz .LBB46_1594
; %bb.1592:
	s_cmp_eq_u32 s9, 44
	s_mov_b32 s10, -1
	s_cbranch_scc0 .LBB46_1594
; %bb.1593:
	s_wait_xcnt 0x0
	v_mov_b32_e32 v1, 0
	s_mov_b32 s10, 0
	s_mov_b32 s11, -1
	global_store_b8 v[2:3], v1, off
.LBB46_1594:
	s_mov_b32 s17, 0
.LBB46_1595:
	s_delay_alu instid0(SALU_CYCLE_1)
	s_and_b32 vcc_lo, exec_lo, s17
	s_cbranch_vccz .LBB46_1598
; %bb.1596:
	s_cmp_eq_u32 s9, 29
	s_mov_b32 s10, -1
	s_cbranch_scc0 .LBB46_1598
; %bb.1597:
	v_mov_b64_e32 v[4:5], 0
	s_mov_b32 s10, 0
	s_mov_b32 s11, -1
	global_store_b64 v[2:3], v[4:5], off
.LBB46_1598:
	s_mov_b32 s17, 0
.LBB46_1599:
	s_delay_alu instid0(SALU_CYCLE_1)
	s_and_b32 vcc_lo, exec_lo, s17
	s_cbranch_vccz .LBB46_1609
; %bb.1600:
	s_cmp_lt_i32 s9, 27
	s_mov_b32 s11, -1
	s_cbranch_scc1 .LBB46_1606
; %bb.1601:
	s_cmp_gt_i32 s9, 27
	s_cbranch_scc0 .LBB46_1603
; %bb.1602:
	s_wait_xcnt 0x0
	v_mov_b32_e32 v1, 0
	s_mov_b32 s11, 0
	global_store_b32 v[2:3], v1, off
.LBB46_1603:
	s_and_not1_b32 vcc_lo, exec_lo, s11
	s_cbranch_vccnz .LBB46_1605
; %bb.1604:
	s_wait_xcnt 0x0
	v_mov_b32_e32 v1, 0
	global_store_b16 v[2:3], v1, off
.LBB46_1605:
	s_mov_b32 s11, 0
.LBB46_1606:
	s_delay_alu instid0(SALU_CYCLE_1)
	s_and_not1_b32 vcc_lo, exec_lo, s11
	s_cbranch_vccnz .LBB46_1608
; %bb.1607:
	s_wait_xcnt 0x0
	v_mov_b32_e32 v1, 0
	global_store_b8 v[2:3], v1, off
.LBB46_1608:
	s_mov_b32 s11, -1
.LBB46_1609:
	s_mov_b32 s17, 0
.LBB46_1610:
	s_delay_alu instid0(SALU_CYCLE_1)
	s_and_b32 vcc_lo, exec_lo, s17
	s_cbranch_vccz .LBB46_1628
; %bb.1611:
	s_cmp_gt_i32 s9, 22
	s_mov_b32 s12, -1
	s_cbranch_scc0 .LBB46_1621
; %bb.1612:
	s_cmp_lt_i32 s9, 24
	s_mov_b32 s11, -1
	s_cbranch_scc1 .LBB46_1618
; %bb.1613:
	s_cmp_gt_i32 s9, 24
	s_cbranch_scc0 .LBB46_1615
; %bb.1614:
	s_wait_xcnt 0x0
	v_mov_b32_e32 v1, 0
	s_mov_b32 s11, 0
	global_store_b8 v[2:3], v1, off
.LBB46_1615:
	s_and_not1_b32 vcc_lo, exec_lo, s11
	s_cbranch_vccnz .LBB46_1617
; %bb.1616:
	s_wait_xcnt 0x0
	v_mov_b32_e32 v1, 0
	global_store_b8 v[2:3], v1, off
.LBB46_1617:
	s_mov_b32 s11, 0
.LBB46_1618:
	s_delay_alu instid0(SALU_CYCLE_1)
	s_and_not1_b32 vcc_lo, exec_lo, s11
	s_cbranch_vccnz .LBB46_1620
; %bb.1619:
	s_wait_xcnt 0x0
	v_mov_b32_e32 v1, 0
	global_store_b8 v[2:3], v1, off
.LBB46_1620:
	s_mov_b32 s12, 0
	s_mov_b32 s11, -1
.LBB46_1621:
	s_and_not1_b32 vcc_lo, exec_lo, s12
	s_mov_b32 s12, 0
	s_cbranch_vccnz .LBB46_1628
; %bb.1622:
	s_cmp_gt_i32 s9, 14
	s_mov_b32 s12, -1
	s_cbranch_scc0 .LBB46_1626
; %bb.1623:
	s_cmp_eq_u32 s9, 15
	s_mov_b32 s10, -1
	s_cbranch_scc0 .LBB46_1625
; %bb.1624:
	s_wait_xcnt 0x0
	v_mov_b32_e32 v1, 0
	s_mov_b32 s10, 0
	s_mov_b32 s11, -1
	global_store_b16 v[2:3], v1, off
.LBB46_1625:
	s_mov_b32 s12, 0
.LBB46_1626:
	s_delay_alu instid0(SALU_CYCLE_1)
	s_and_b32 vcc_lo, exec_lo, s12
	s_mov_b32 s12, 0
	s_cbranch_vccz .LBB46_1628
; %bb.1627:
	s_cmp_lg_u32 s9, 11
	s_mov_b32 s12, -1
	s_cselect_b32 s10, -1, 0
.LBB46_1628:
	s_delay_alu instid0(SALU_CYCLE_1)
	s_and_b32 vcc_lo, exec_lo, s10
	s_cbranch_vccnz .LBB46_1777
; %bb.1629:
	s_and_not1_b32 vcc_lo, exec_lo, s12
	s_cbranch_vccnz .LBB46_1631
.LBB46_1630:
	s_wait_xcnt 0x0
	v_mov_b32_e32 v1, 0
	s_mov_b32 s11, -1
	global_store_b8 v[2:3], v1, off
.LBB46_1631:
	s_mov_b32 s9, 0
	s_branch .LBB46_1633
.LBB46_1632:
	s_mov_b32 s9, -1
	s_mov_b32 s11, 0
.LBB46_1633:
	s_and_b32 vcc_lo, exec_lo, s9
	s_cbranch_vccz .LBB46_1672
; %bb.1634:
	s_and_b32 s9, 0xffff, s0
	s_mov_b32 s10, -1
	s_cmp_lt_i32 s9, 5
	s_cbranch_scc1 .LBB46_1655
; %bb.1635:
	s_cmp_lt_i32 s9, 8
	s_cbranch_scc1 .LBB46_1645
; %bb.1636:
	;; [unrolled: 3-line block ×3, first 2 shown]
	s_cmp_gt_i32 s9, 9
	s_cbranch_scc0 .LBB46_1639
; %bb.1638:
	s_wait_xcnt 0x0
	v_mov_b32_e32 v4, 0
	s_mov_b32 s10, 0
	s_delay_alu instid0(VALU_DEP_1)
	v_dual_mov_b32 v5, v4 :: v_dual_mov_b32 v6, v4
	v_mov_b32_e32 v7, v4
	global_store_b128 v[2:3], v[4:7], off
.LBB46_1639:
	s_and_not1_b32 vcc_lo, exec_lo, s10
	s_cbranch_vccnz .LBB46_1641
; %bb.1640:
	s_wait_xcnt 0x0
	v_mov_b64_e32 v[4:5], 0
	global_store_b64 v[2:3], v[4:5], off
.LBB46_1641:
	s_mov_b32 s10, 0
.LBB46_1642:
	s_delay_alu instid0(SALU_CYCLE_1)
	s_and_not1_b32 vcc_lo, exec_lo, s10
	s_cbranch_vccnz .LBB46_1644
; %bb.1643:
	s_wait_xcnt 0x0
	v_mov_b32_e32 v1, 0
	global_store_b32 v[2:3], v1, off
.LBB46_1644:
	s_mov_b32 s10, 0
.LBB46_1645:
	s_delay_alu instid0(SALU_CYCLE_1)
	s_and_not1_b32 vcc_lo, exec_lo, s10
	s_cbranch_vccnz .LBB46_1654
; %bb.1646:
	s_cmp_lt_i32 s9, 6
	s_mov_b32 s10, -1
	s_cbranch_scc1 .LBB46_1652
; %bb.1647:
	s_cmp_gt_i32 s9, 6
	s_cbranch_scc0 .LBB46_1649
; %bb.1648:
	s_wait_xcnt 0x0
	v_mov_b64_e32 v[4:5], 0
	s_mov_b32 s10, 0
	global_store_b64 v[2:3], v[4:5], off
.LBB46_1649:
	s_and_not1_b32 vcc_lo, exec_lo, s10
	s_cbranch_vccnz .LBB46_1651
; %bb.1650:
	s_wait_xcnt 0x0
	v_mov_b32_e32 v1, 0
	global_store_b32 v[2:3], v1, off
.LBB46_1651:
	s_mov_b32 s10, 0
.LBB46_1652:
	s_delay_alu instid0(SALU_CYCLE_1)
	s_and_not1_b32 vcc_lo, exec_lo, s10
	s_cbranch_vccnz .LBB46_1654
; %bb.1653:
	s_wait_xcnt 0x0
	v_mov_b32_e32 v1, 0
	global_store_b16 v[2:3], v1, off
.LBB46_1654:
	s_mov_b32 s10, 0
.LBB46_1655:
	s_delay_alu instid0(SALU_CYCLE_1)
	s_and_not1_b32 vcc_lo, exec_lo, s10
	s_cbranch_vccnz .LBB46_1671
; %bb.1656:
	s_cmp_lt_i32 s9, 2
	s_mov_b32 s10, -1
	s_cbranch_scc1 .LBB46_1666
; %bb.1657:
	s_cmp_lt_i32 s9, 3
	s_cbranch_scc1 .LBB46_1663
; %bb.1658:
	s_cmp_gt_i32 s9, 3
	s_cbranch_scc0 .LBB46_1660
; %bb.1659:
	s_wait_xcnt 0x0
	v_mov_b64_e32 v[4:5], 0
	s_mov_b32 s10, 0
	global_store_b64 v[2:3], v[4:5], off
.LBB46_1660:
	s_and_not1_b32 vcc_lo, exec_lo, s10
	s_cbranch_vccnz .LBB46_1662
; %bb.1661:
	s_wait_xcnt 0x0
	v_mov_b32_e32 v1, 0
	global_store_b32 v[2:3], v1, off
.LBB46_1662:
	s_mov_b32 s10, 0
.LBB46_1663:
	s_delay_alu instid0(SALU_CYCLE_1)
	s_and_not1_b32 vcc_lo, exec_lo, s10
	s_cbranch_vccnz .LBB46_1665
; %bb.1664:
	s_wait_xcnt 0x0
	v_mov_b32_e32 v1, 0
	global_store_b16 v[2:3], v1, off
.LBB46_1665:
	s_mov_b32 s10, 0
.LBB46_1666:
	s_delay_alu instid0(SALU_CYCLE_1)
	s_and_not1_b32 vcc_lo, exec_lo, s10
	s_cbranch_vccnz .LBB46_1671
; %bb.1667:
	s_cmp_gt_i32 s9, 0
	s_mov_b32 s9, -1
	s_cbranch_scc0 .LBB46_1669
; %bb.1668:
	s_wait_xcnt 0x0
	v_mov_b32_e32 v1, 0
	s_mov_b32 s9, 0
	global_store_b8 v[2:3], v1, off
.LBB46_1669:
	s_and_not1_b32 vcc_lo, exec_lo, s9
	s_cbranch_vccnz .LBB46_1671
; %bb.1670:
	s_wait_xcnt 0x0
	v_mov_b32_e32 v1, 0
	global_store_b8 v[2:3], v1, off
.LBB46_1671:
	s_mov_b32 s11, -1
.LBB46_1672:
	s_delay_alu instid0(SALU_CYCLE_1)
	s_and_not1_b32 vcc_lo, exec_lo, s11
	s_cbranch_vccnz .LBB46_1719
; %bb.1673:
	v_add_nc_u32_e32 v0, s2, v0
	s_cmp_lt_i32 s0, 11
	s_wait_xcnt 0x0
	s_delay_alu instid0(VALU_DEP_1) | instskip(NEXT) | instid1(VALU_DEP_1)
	v_ashrrev_i32_e32 v1, 31, v0
	v_add_nc_u64_e32 v[2:3], s[4:5], v[0:1]
	s_cbranch_scc1 .LBB46_1773
; %bb.1674:
	s_and_b32 s4, 0xffff, s0
	s_mov_b32 s9, -1
	s_mov_b32 s2, 0
	s_cmp_gt_i32 s4, 25
	s_mov_b32 s5, 0
	s_cbranch_scc0 .LBB46_1699
; %bb.1675:
	s_cmp_gt_i32 s4, 28
	s_cbranch_scc0 .LBB46_1689
; %bb.1676:
	s_cmp_gt_i32 s4, 43
	;; [unrolled: 3-line block ×3, first 2 shown]
	s_cbranch_scc0 .LBB46_1681
; %bb.1678:
	s_cmp_eq_u32 s4, 46
	s_mov_b32 s5, -1
	s_cbranch_scc0 .LBB46_1680
; %bb.1679:
	v_mov_b32_e32 v0, 0
	s_mov_b32 s5, 0
	global_store_b32 v[2:3], v0, off
.LBB46_1680:
	s_mov_b32 s9, 0
.LBB46_1681:
	s_delay_alu instid0(SALU_CYCLE_1)
	s_and_b32 vcc_lo, exec_lo, s9
	s_cbranch_vccz .LBB46_1684
; %bb.1682:
	s_cmp_eq_u32 s4, 44
	s_mov_b32 s5, -1
	s_cbranch_scc0 .LBB46_1684
; %bb.1683:
	s_wait_xcnt 0x0
	v_mov_b32_e32 v0, 0
	s_mov_b32 s5, 0
	global_store_b8 v[2:3], v0, off
.LBB46_1684:
	s_mov_b32 s9, 0
.LBB46_1685:
	s_delay_alu instid0(SALU_CYCLE_1)
	s_and_b32 vcc_lo, exec_lo, s9
	s_cbranch_vccz .LBB46_1688
; %bb.1686:
	s_cmp_eq_u32 s4, 29
	s_mov_b32 s5, -1
	s_cbranch_scc0 .LBB46_1688
; %bb.1687:
	s_wait_xcnt 0x0
	v_mov_b64_e32 v[0:1], 0
	s_mov_b32 s5, 0
	global_store_b64 v[2:3], v[0:1], off
.LBB46_1688:
	s_mov_b32 s9, 0
.LBB46_1689:
	s_delay_alu instid0(SALU_CYCLE_1)
	s_and_b32 vcc_lo, exec_lo, s9
	s_cbranch_vccz .LBB46_1698
; %bb.1690:
	s_cmp_lt_i32 s4, 27
	s_mov_b32 s9, -1
	s_cbranch_scc1 .LBB46_1696
; %bb.1691:
	s_cmp_gt_i32 s4, 27
	s_cbranch_scc0 .LBB46_1693
; %bb.1692:
	s_wait_xcnt 0x0
	v_mov_b32_e32 v0, 0
	s_mov_b32 s9, 0
	global_store_b32 v[2:3], v0, off
.LBB46_1693:
	s_and_not1_b32 vcc_lo, exec_lo, s9
	s_cbranch_vccnz .LBB46_1695
; %bb.1694:
	s_wait_xcnt 0x0
	v_mov_b32_e32 v0, 0
	global_store_b16 v[2:3], v0, off
.LBB46_1695:
	s_mov_b32 s9, 0
.LBB46_1696:
	s_delay_alu instid0(SALU_CYCLE_1)
	s_and_not1_b32 vcc_lo, exec_lo, s9
	s_cbranch_vccnz .LBB46_1698
; %bb.1697:
	s_wait_xcnt 0x0
	v_mov_b32_e32 v0, 0
	global_store_b8 v[2:3], v0, off
.LBB46_1698:
	s_mov_b32 s9, 0
.LBB46_1699:
	s_delay_alu instid0(SALU_CYCLE_1)
	s_and_b32 vcc_lo, exec_lo, s9
	s_cbranch_vccz .LBB46_1717
; %bb.1700:
	s_cmp_gt_i32 s4, 22
	s_mov_b32 s2, -1
	s_cbranch_scc0 .LBB46_1710
; %bb.1701:
	s_cmp_lt_i32 s4, 24
	s_cbranch_scc1 .LBB46_1707
; %bb.1702:
	s_cmp_gt_i32 s4, 24
	s_cbranch_scc0 .LBB46_1704
; %bb.1703:
	s_wait_xcnt 0x0
	v_mov_b32_e32 v0, 0
	s_mov_b32 s2, 0
	global_store_b8 v[2:3], v0, off
.LBB46_1704:
	s_and_not1_b32 vcc_lo, exec_lo, s2
	s_cbranch_vccnz .LBB46_1706
; %bb.1705:
	s_wait_xcnt 0x0
	v_mov_b32_e32 v0, 0
	global_store_b8 v[2:3], v0, off
.LBB46_1706:
	s_mov_b32 s2, 0
.LBB46_1707:
	s_delay_alu instid0(SALU_CYCLE_1)
	s_and_not1_b32 vcc_lo, exec_lo, s2
	s_cbranch_vccnz .LBB46_1709
; %bb.1708:
	s_wait_xcnt 0x0
	v_mov_b32_e32 v0, 0
	global_store_b8 v[2:3], v0, off
.LBB46_1709:
	s_mov_b32 s2, 0
.LBB46_1710:
	s_delay_alu instid0(SALU_CYCLE_1)
	s_and_not1_b32 vcc_lo, exec_lo, s2
	s_mov_b32 s2, 0
	s_cbranch_vccnz .LBB46_1717
; %bb.1711:
	s_cmp_gt_i32 s4, 14
	s_mov_b32 s2, -1
	s_cbranch_scc0 .LBB46_1715
; %bb.1712:
	s_cmp_eq_u32 s4, 15
	s_mov_b32 s5, -1
	s_cbranch_scc0 .LBB46_1714
; %bb.1713:
	s_wait_xcnt 0x0
	v_mov_b32_e32 v0, 0
	s_mov_b32 s5, 0
	global_store_b16 v[2:3], v0, off
.LBB46_1714:
	s_mov_b32 s2, 0
.LBB46_1715:
	s_delay_alu instid0(SALU_CYCLE_1)
	s_and_b32 vcc_lo, exec_lo, s2
	s_mov_b32 s2, 0
	s_cbranch_vccz .LBB46_1717
; %bb.1716:
	s_cmp_lg_u32 s4, 11
	s_mov_b32 s2, -1
	s_cselect_b32 s5, -1, 0
.LBB46_1717:
	s_delay_alu instid0(SALU_CYCLE_1)
	s_and_b32 vcc_lo, exec_lo, s5
	s_cbranch_vccnz .LBB46_1779
.LBB46_1718:
	s_mov_b32 s4, 0
	s_branch .LBB46_1720
.LBB46_1719:
	s_mov_b32 s4, 0
	s_mov_b32 s2, 0
                                        ; implicit-def: $sgpr0
                                        ; implicit-def: $vgpr2_vgpr3
.LBB46_1720:
	s_and_b32 s9, s4, exec_lo
	s_and_not1_b32 s4, s6, exec_lo
	s_and_b32 s5, s8, exec_lo
	s_and_b32 s8, s2, exec_lo
	s_or_b32 s6, s4, s5
.LBB46_1721:
	s_wait_xcnt 0x0
	s_or_b32 exec_lo, exec_lo, s7
.LBB46_1722:
	s_delay_alu instid0(SALU_CYCLE_1)
	s_and_not1_b32 s2, s18, exec_lo
	s_and_b32 s4, s6, exec_lo
	s_and_b32 s22, s9, exec_lo
	;; [unrolled: 1-line block ×3, first 2 shown]
	s_or_b32 s18, s2, s4
.LBB46_1723:
	s_wait_xcnt 0x0
	s_or_b32 exec_lo, exec_lo, s19
.LBB46_1724:
	s_delay_alu instid0(SALU_CYCLE_1)
	s_and_not1_b32 s2, s3, exec_lo
	s_and_b32 s3, s18, exec_lo
	s_and_b32 s19, s22, exec_lo
	;; [unrolled: 1-line block ×3, first 2 shown]
	s_or_b32 s3, s2, s3
.LBB46_1725:
	s_wait_xcnt 0x0
	s_or_b32 exec_lo, exec_lo, s16
.LBB46_1726:
	s_delay_alu instid0(SALU_CYCLE_1)
	s_and_not1_b32 s1, s1, exec_lo
	s_and_b32 s2, s3, exec_lo
	s_and_b32 s19, s19, exec_lo
	;; [unrolled: 1-line block ×3, first 2 shown]
	s_or_b32 s1, s1, s2
.LBB46_1727:
	s_wait_xcnt 0x0
	s_or_b32 exec_lo, exec_lo, s13
.LBB46_1728:
	s_delay_alu instid0(SALU_CYCLE_1)
	s_and_not1_b32 s2, s15, exec_lo
	s_and_b32 s3, s1, exec_lo
	s_and_b32 s17, s19, exec_lo
	;; [unrolled: 1-line block ×3, first 2 shown]
	s_or_b32 s15, s2, s3
.LBB46_1729:
	s_wait_xcnt 0x0
	s_or_b32 exec_lo, exec_lo, s14
	s_and_saveexec_b32 s2, s15
	s_cbranch_execz .LBB46_1732
; %bb.1730:
	; divergent unreachable
	s_or_b32 exec_lo, exec_lo, s2
	s_and_saveexec_b32 s2, s1
	s_delay_alu instid0(SALU_CYCLE_1)
	s_xor_b32 s1, exec_lo, s2
	s_cbranch_execnz .LBB46_1733
.LBB46_1731:
	s_or_b32 exec_lo, exec_lo, s1
	s_and_saveexec_b32 s1, s17
	s_cbranch_execnz .LBB46_1734
	s_branch .LBB46_1771
.LBB46_1732:
	s_or_b32 exec_lo, exec_lo, s2
	s_and_saveexec_b32 s2, s1
	s_delay_alu instid0(SALU_CYCLE_1)
	s_xor_b32 s1, exec_lo, s2
	s_cbranch_execz .LBB46_1731
.LBB46_1733:
	v_mov_b32_e32 v0, 0
	s_wait_loadcnt 0x0
	global_store_b8 v[2:3], v0, off
	s_wait_xcnt 0x0
	s_or_b32 exec_lo, exec_lo, s1
	s_and_saveexec_b32 s1, s17
	s_cbranch_execz .LBB46_1771
.LBB46_1734:
	s_sext_i32_i16 s2, s0
	s_mov_b32 s1, -1
	s_cmp_lt_i32 s2, 5
	s_cbranch_scc1 .LBB46_1755
; %bb.1735:
	s_cmp_lt_i32 s2, 8
	s_cbranch_scc1 .LBB46_1745
; %bb.1736:
	;; [unrolled: 3-line block ×3, first 2 shown]
	s_cmp_gt_i32 s2, 9
	s_cbranch_scc0 .LBB46_1739
; %bb.1738:
	s_wait_loadcnt 0x0
	v_mov_b32_e32 v4, 0
	s_mov_b32 s1, 0
	s_delay_alu instid0(VALU_DEP_1)
	v_dual_mov_b32 v5, v4 :: v_dual_mov_b32 v6, v4
	v_mov_b32_e32 v7, v4
	global_store_b128 v[2:3], v[4:7], off
.LBB46_1739:
	s_and_not1_b32 vcc_lo, exec_lo, s1
	s_cbranch_vccnz .LBB46_1741
; %bb.1740:
	v_mov_b64_e32 v[0:1], 0
	s_wait_loadcnt 0x0
	global_store_b64 v[2:3], v[0:1], off
.LBB46_1741:
	s_mov_b32 s1, 0
.LBB46_1742:
	s_delay_alu instid0(SALU_CYCLE_1)
	s_and_not1_b32 vcc_lo, exec_lo, s1
	s_cbranch_vccnz .LBB46_1744
; %bb.1743:
	s_wait_xcnt 0x0
	v_mov_b32_e32 v0, 0
	s_wait_loadcnt 0x0
	global_store_b32 v[2:3], v0, off
.LBB46_1744:
	s_mov_b32 s1, 0
.LBB46_1745:
	s_delay_alu instid0(SALU_CYCLE_1)
	s_and_not1_b32 vcc_lo, exec_lo, s1
	s_cbranch_vccnz .LBB46_1754
; %bb.1746:
	s_sext_i32_i16 s2, s0
	s_mov_b32 s1, -1
	s_cmp_lt_i32 s2, 6
	s_cbranch_scc1 .LBB46_1752
; %bb.1747:
	s_cmp_gt_i32 s2, 6
	s_cbranch_scc0 .LBB46_1749
; %bb.1748:
	s_wait_xcnt 0x0
	v_mov_b64_e32 v[0:1], 0
	s_mov_b32 s1, 0
	s_wait_loadcnt 0x0
	global_store_b64 v[2:3], v[0:1], off
.LBB46_1749:
	s_and_not1_b32 vcc_lo, exec_lo, s1
	s_cbranch_vccnz .LBB46_1751
; %bb.1750:
	s_wait_xcnt 0x0
	v_mov_b32_e32 v0, 0
	s_wait_loadcnt 0x0
	global_store_b32 v[2:3], v0, off
.LBB46_1751:
	s_mov_b32 s1, 0
.LBB46_1752:
	s_delay_alu instid0(SALU_CYCLE_1)
	s_and_not1_b32 vcc_lo, exec_lo, s1
	s_cbranch_vccnz .LBB46_1754
; %bb.1753:
	s_wait_xcnt 0x0
	v_mov_b32_e32 v0, 0
	s_wait_loadcnt 0x0
	global_store_b16 v[2:3], v0, off
.LBB46_1754:
	s_mov_b32 s1, 0
.LBB46_1755:
	s_delay_alu instid0(SALU_CYCLE_1)
	s_and_not1_b32 vcc_lo, exec_lo, s1
	s_cbranch_vccnz .LBB46_1771
; %bb.1756:
	s_sext_i32_i16 s2, s0
	s_mov_b32 s1, -1
	s_cmp_lt_i32 s2, 2
	s_cbranch_scc1 .LBB46_1766
; %bb.1757:
	s_cmp_lt_i32 s2, 3
	s_cbranch_scc1 .LBB46_1763
; %bb.1758:
	s_cmp_gt_i32 s2, 3
	s_cbranch_scc0 .LBB46_1760
; %bb.1759:
	s_wait_xcnt 0x0
	v_mov_b64_e32 v[0:1], 0
	s_mov_b32 s1, 0
	s_wait_loadcnt 0x0
	global_store_b64 v[2:3], v[0:1], off
.LBB46_1760:
	s_and_not1_b32 vcc_lo, exec_lo, s1
	s_cbranch_vccnz .LBB46_1762
; %bb.1761:
	s_wait_xcnt 0x0
	v_mov_b32_e32 v0, 0
	s_wait_loadcnt 0x0
	global_store_b32 v[2:3], v0, off
.LBB46_1762:
	s_mov_b32 s1, 0
.LBB46_1763:
	s_delay_alu instid0(SALU_CYCLE_1)
	s_and_not1_b32 vcc_lo, exec_lo, s1
	s_cbranch_vccnz .LBB46_1765
; %bb.1764:
	s_wait_xcnt 0x0
	v_mov_b32_e32 v0, 0
	s_wait_loadcnt 0x0
	global_store_b16 v[2:3], v0, off
.LBB46_1765:
	s_mov_b32 s1, 0
.LBB46_1766:
	s_delay_alu instid0(SALU_CYCLE_1)
	s_and_not1_b32 vcc_lo, exec_lo, s1
	s_cbranch_vccnz .LBB46_1771
; %bb.1767:
	s_sext_i32_i16 s0, s0
	s_delay_alu instid0(SALU_CYCLE_1)
	s_cmp_gt_i32 s0, 0
	s_mov_b32 s0, -1
	s_cbranch_scc0 .LBB46_1769
; %bb.1768:
	s_wait_xcnt 0x0
	v_mov_b32_e32 v0, 0
	s_mov_b32 s0, 0
	s_wait_loadcnt 0x0
	global_store_b8 v[2:3], v0, off
.LBB46_1769:
	s_and_not1_b32 vcc_lo, exec_lo, s0
	s_cbranch_vccnz .LBB46_1771
; %bb.1770:
	s_wait_xcnt 0x0
	v_mov_b32_e32 v0, 0
	s_wait_loadcnt 0x0
	global_store_b8 v[2:3], v0, off
	s_endpgm
.LBB46_1771:
	s_endpgm
.LBB46_1772:
	s_or_b32 s6, s18, exec_lo
	s_trap 2
	s_cbranch_execz .LBB46_1351
	s_branch .LBB46_1352
.LBB46_1773:
	s_mov_b32 s2, 0
	s_mov_b32 s4, -1
	s_branch .LBB46_1720
.LBB46_1774:
	s_or_b32 s8, s6, exec_lo
	s_trap 2
	s_cbranch_execz .LBB46_1451
	s_branch .LBB46_1452
.LBB46_1775:
	s_or_b32 s3, s3, exec_lo
	s_trap 2
                                        ; implicit-def: $vgpr0
                                        ; implicit-def: $vgpr6
	s_branch .LBB46_918
.LBB46_1776:
	s_or_b32 s8, s8, exec_lo
	s_trap 2
	s_cbranch_execz .LBB46_1541
	s_branch .LBB46_1542
.LBB46_1777:
	s_or_b32 s8, s8, exec_lo
	s_trap 2
	s_cbranch_execz .LBB46_1630
	s_branch .LBB46_1631
.LBB46_1778:
	s_or_b32 s18, s18, exec_lo
	s_trap 2
                                        ; implicit-def: $vgpr0
                                        ; implicit-def: $vgpr6
	s_branch .LBB46_1273
.LBB46_1779:
	s_mov_b32 s2, 0
	s_or_b32 s8, s8, exec_lo
	s_trap 2
	s_branch .LBB46_1718
.LBB46_1780:
	s_or_b32 s6, s6, exec_lo
	s_trap 2
                                        ; implicit-def: $vgpr6
	s_branch .LBB46_1404
	.section	.rodata,"a",@progbits
	.p2align	6, 0x0
	.amdhsa_kernel _ZN2at6native32elementwise_kernel_manual_unrollILi128ELi4EZNS0_15gpu_kernel_implIZZZNS0_12_GLOBAL__N_142_validate_compressed_sparse_indices_kernelILNS3_8CDimNameE0ENS3_18CUDAKernelLauncherENS3_14EmptyVecKernelENS3_8DummyVecELm0EEEvRKNS_6TensorESB_lllENKUlvE0_clEvENKUlvE0_clEvEUllE_EEvRNS_18TensorIteratorBaseERKT_EUlibE_EEviT1_
		.amdhsa_group_segment_fixed_size 0
		.amdhsa_private_segment_fixed_size 0
		.amdhsa_kernarg_size 56
		.amdhsa_user_sgpr_count 2
		.amdhsa_user_sgpr_dispatch_ptr 0
		.amdhsa_user_sgpr_queue_ptr 0
		.amdhsa_user_sgpr_kernarg_segment_ptr 1
		.amdhsa_user_sgpr_dispatch_id 0
		.amdhsa_user_sgpr_kernarg_preload_length 0
		.amdhsa_user_sgpr_kernarg_preload_offset 0
		.amdhsa_user_sgpr_private_segment_size 0
		.amdhsa_wavefront_size32 1
		.amdhsa_uses_dynamic_stack 0
		.amdhsa_enable_private_segment 0
		.amdhsa_system_sgpr_workgroup_id_x 1
		.amdhsa_system_sgpr_workgroup_id_y 0
		.amdhsa_system_sgpr_workgroup_id_z 0
		.amdhsa_system_sgpr_workgroup_info 0
		.amdhsa_system_vgpr_workitem_id 0
		.amdhsa_next_free_vgpr 12
		.amdhsa_next_free_sgpr 35
		.amdhsa_named_barrier_count 0
		.amdhsa_reserve_vcc 1
		.amdhsa_float_round_mode_32 0
		.amdhsa_float_round_mode_16_64 0
		.amdhsa_float_denorm_mode_32 3
		.amdhsa_float_denorm_mode_16_64 3
		.amdhsa_fp16_overflow 0
		.amdhsa_memory_ordered 1
		.amdhsa_forward_progress 1
		.amdhsa_inst_pref_size 255
		.amdhsa_round_robin_scheduling 0
		.amdhsa_exception_fp_ieee_invalid_op 0
		.amdhsa_exception_fp_denorm_src 0
		.amdhsa_exception_fp_ieee_div_zero 0
		.amdhsa_exception_fp_ieee_overflow 0
		.amdhsa_exception_fp_ieee_underflow 0
		.amdhsa_exception_fp_ieee_inexact 0
		.amdhsa_exception_int_div_zero 0
	.end_amdhsa_kernel
	.section	.text._ZN2at6native32elementwise_kernel_manual_unrollILi128ELi4EZNS0_15gpu_kernel_implIZZZNS0_12_GLOBAL__N_142_validate_compressed_sparse_indices_kernelILNS3_8CDimNameE0ENS3_18CUDAKernelLauncherENS3_14EmptyVecKernelENS3_8DummyVecELm0EEEvRKNS_6TensorESB_lllENKUlvE0_clEvENKUlvE0_clEvEUllE_EEvRNS_18TensorIteratorBaseERKT_EUlibE_EEviT1_,"axG",@progbits,_ZN2at6native32elementwise_kernel_manual_unrollILi128ELi4EZNS0_15gpu_kernel_implIZZZNS0_12_GLOBAL__N_142_validate_compressed_sparse_indices_kernelILNS3_8CDimNameE0ENS3_18CUDAKernelLauncherENS3_14EmptyVecKernelENS3_8DummyVecELm0EEEvRKNS_6TensorESB_lllENKUlvE0_clEvENKUlvE0_clEvEUllE_EEvRNS_18TensorIteratorBaseERKT_EUlibE_EEviT1_,comdat
.Lfunc_end46:
	.size	_ZN2at6native32elementwise_kernel_manual_unrollILi128ELi4EZNS0_15gpu_kernel_implIZZZNS0_12_GLOBAL__N_142_validate_compressed_sparse_indices_kernelILNS3_8CDimNameE0ENS3_18CUDAKernelLauncherENS3_14EmptyVecKernelENS3_8DummyVecELm0EEEvRKNS_6TensorESB_lllENKUlvE0_clEvENKUlvE0_clEvEUllE_EEvRNS_18TensorIteratorBaseERKT_EUlibE_EEviT1_, .Lfunc_end46-_ZN2at6native32elementwise_kernel_manual_unrollILi128ELi4EZNS0_15gpu_kernel_implIZZZNS0_12_GLOBAL__N_142_validate_compressed_sparse_indices_kernelILNS3_8CDimNameE0ENS3_18CUDAKernelLauncherENS3_14EmptyVecKernelENS3_8DummyVecELm0EEEvRKNS_6TensorESB_lllENKUlvE0_clEvENKUlvE0_clEvEUllE_EEvRNS_18TensorIteratorBaseERKT_EUlibE_EEviT1_
                                        ; -- End function
	.set _ZN2at6native32elementwise_kernel_manual_unrollILi128ELi4EZNS0_15gpu_kernel_implIZZZNS0_12_GLOBAL__N_142_validate_compressed_sparse_indices_kernelILNS3_8CDimNameE0ENS3_18CUDAKernelLauncherENS3_14EmptyVecKernelENS3_8DummyVecELm0EEEvRKNS_6TensorESB_lllENKUlvE0_clEvENKUlvE0_clEvEUllE_EEvRNS_18TensorIteratorBaseERKT_EUlibE_EEviT1_.num_vgpr, 12
	.set _ZN2at6native32elementwise_kernel_manual_unrollILi128ELi4EZNS0_15gpu_kernel_implIZZZNS0_12_GLOBAL__N_142_validate_compressed_sparse_indices_kernelILNS3_8CDimNameE0ENS3_18CUDAKernelLauncherENS3_14EmptyVecKernelENS3_8DummyVecELm0EEEvRKNS_6TensorESB_lllENKUlvE0_clEvENKUlvE0_clEvEUllE_EEvRNS_18TensorIteratorBaseERKT_EUlibE_EEviT1_.num_agpr, 0
	.set _ZN2at6native32elementwise_kernel_manual_unrollILi128ELi4EZNS0_15gpu_kernel_implIZZZNS0_12_GLOBAL__N_142_validate_compressed_sparse_indices_kernelILNS3_8CDimNameE0ENS3_18CUDAKernelLauncherENS3_14EmptyVecKernelENS3_8DummyVecELm0EEEvRKNS_6TensorESB_lllENKUlvE0_clEvENKUlvE0_clEvEUllE_EEvRNS_18TensorIteratorBaseERKT_EUlibE_EEviT1_.numbered_sgpr, 35
	.set _ZN2at6native32elementwise_kernel_manual_unrollILi128ELi4EZNS0_15gpu_kernel_implIZZZNS0_12_GLOBAL__N_142_validate_compressed_sparse_indices_kernelILNS3_8CDimNameE0ENS3_18CUDAKernelLauncherENS3_14EmptyVecKernelENS3_8DummyVecELm0EEEvRKNS_6TensorESB_lllENKUlvE0_clEvENKUlvE0_clEvEUllE_EEvRNS_18TensorIteratorBaseERKT_EUlibE_EEviT1_.num_named_barrier, 0
	.set _ZN2at6native32elementwise_kernel_manual_unrollILi128ELi4EZNS0_15gpu_kernel_implIZZZNS0_12_GLOBAL__N_142_validate_compressed_sparse_indices_kernelILNS3_8CDimNameE0ENS3_18CUDAKernelLauncherENS3_14EmptyVecKernelENS3_8DummyVecELm0EEEvRKNS_6TensorESB_lllENKUlvE0_clEvENKUlvE0_clEvEUllE_EEvRNS_18TensorIteratorBaseERKT_EUlibE_EEviT1_.private_seg_size, 0
	.set _ZN2at6native32elementwise_kernel_manual_unrollILi128ELi4EZNS0_15gpu_kernel_implIZZZNS0_12_GLOBAL__N_142_validate_compressed_sparse_indices_kernelILNS3_8CDimNameE0ENS3_18CUDAKernelLauncherENS3_14EmptyVecKernelENS3_8DummyVecELm0EEEvRKNS_6TensorESB_lllENKUlvE0_clEvENKUlvE0_clEvEUllE_EEvRNS_18TensorIteratorBaseERKT_EUlibE_EEviT1_.uses_vcc, 1
	.set _ZN2at6native32elementwise_kernel_manual_unrollILi128ELi4EZNS0_15gpu_kernel_implIZZZNS0_12_GLOBAL__N_142_validate_compressed_sparse_indices_kernelILNS3_8CDimNameE0ENS3_18CUDAKernelLauncherENS3_14EmptyVecKernelENS3_8DummyVecELm0EEEvRKNS_6TensorESB_lllENKUlvE0_clEvENKUlvE0_clEvEUllE_EEvRNS_18TensorIteratorBaseERKT_EUlibE_EEviT1_.uses_flat_scratch, 0
	.set _ZN2at6native32elementwise_kernel_manual_unrollILi128ELi4EZNS0_15gpu_kernel_implIZZZNS0_12_GLOBAL__N_142_validate_compressed_sparse_indices_kernelILNS3_8CDimNameE0ENS3_18CUDAKernelLauncherENS3_14EmptyVecKernelENS3_8DummyVecELm0EEEvRKNS_6TensorESB_lllENKUlvE0_clEvENKUlvE0_clEvEUllE_EEvRNS_18TensorIteratorBaseERKT_EUlibE_EEviT1_.has_dyn_sized_stack, 0
	.set _ZN2at6native32elementwise_kernel_manual_unrollILi128ELi4EZNS0_15gpu_kernel_implIZZZNS0_12_GLOBAL__N_142_validate_compressed_sparse_indices_kernelILNS3_8CDimNameE0ENS3_18CUDAKernelLauncherENS3_14EmptyVecKernelENS3_8DummyVecELm0EEEvRKNS_6TensorESB_lllENKUlvE0_clEvENKUlvE0_clEvEUllE_EEvRNS_18TensorIteratorBaseERKT_EUlibE_EEviT1_.has_recursion, 0
	.set _ZN2at6native32elementwise_kernel_manual_unrollILi128ELi4EZNS0_15gpu_kernel_implIZZZNS0_12_GLOBAL__N_142_validate_compressed_sparse_indices_kernelILNS3_8CDimNameE0ENS3_18CUDAKernelLauncherENS3_14EmptyVecKernelENS3_8DummyVecELm0EEEvRKNS_6TensorESB_lllENKUlvE0_clEvENKUlvE0_clEvEUllE_EEvRNS_18TensorIteratorBaseERKT_EUlibE_EEviT1_.has_indirect_call, 0
	.section	.AMDGPU.csdata,"",@progbits
; Kernel info:
; codeLenInByte = 34852
; TotalNumSgprs: 37
; NumVgprs: 12
; ScratchSize: 0
; MemoryBound: 1
; FloatMode: 240
; IeeeMode: 1
; LDSByteSize: 0 bytes/workgroup (compile time only)
; SGPRBlocks: 0
; VGPRBlocks: 0
; NumSGPRsForWavesPerEU: 37
; NumVGPRsForWavesPerEU: 12
; NamedBarCnt: 0
; Occupancy: 16
; WaveLimiterHint : 0
; COMPUTE_PGM_RSRC2:SCRATCH_EN: 0
; COMPUTE_PGM_RSRC2:USER_SGPR: 2
; COMPUTE_PGM_RSRC2:TRAP_HANDLER: 0
; COMPUTE_PGM_RSRC2:TGID_X_EN: 1
; COMPUTE_PGM_RSRC2:TGID_Y_EN: 0
; COMPUTE_PGM_RSRC2:TGID_Z_EN: 0
; COMPUTE_PGM_RSRC2:TIDIG_COMP_CNT: 0
	.section	.text._ZN2at6native32elementwise_kernel_manual_unrollILi128ELi4EZNS0_15gpu_kernel_implIZZZNS0_12_GLOBAL__N_142_validate_compressed_sparse_indices_kernelILNS3_8CDimNameE0ENS3_18CUDAKernelLauncherENS3_14EmptyVecKernelENS3_8DummyVecELm0EEEvRKNS_6TensorESB_lllENKUlvE0_clEvENKUlvE0_clEvEUllE_EEvRNS_18TensorIteratorBaseERKT_EUlibE0_EEviT1_,"axG",@progbits,_ZN2at6native32elementwise_kernel_manual_unrollILi128ELi4EZNS0_15gpu_kernel_implIZZZNS0_12_GLOBAL__N_142_validate_compressed_sparse_indices_kernelILNS3_8CDimNameE0ENS3_18CUDAKernelLauncherENS3_14EmptyVecKernelENS3_8DummyVecELm0EEEvRKNS_6TensorESB_lllENKUlvE0_clEvENKUlvE0_clEvEUllE_EEvRNS_18TensorIteratorBaseERKT_EUlibE0_EEviT1_,comdat
	.globl	_ZN2at6native32elementwise_kernel_manual_unrollILi128ELi4EZNS0_15gpu_kernel_implIZZZNS0_12_GLOBAL__N_142_validate_compressed_sparse_indices_kernelILNS3_8CDimNameE0ENS3_18CUDAKernelLauncherENS3_14EmptyVecKernelENS3_8DummyVecELm0EEEvRKNS_6TensorESB_lllENKUlvE0_clEvENKUlvE0_clEvEUllE_EEvRNS_18TensorIteratorBaseERKT_EUlibE0_EEviT1_ ; -- Begin function _ZN2at6native32elementwise_kernel_manual_unrollILi128ELi4EZNS0_15gpu_kernel_implIZZZNS0_12_GLOBAL__N_142_validate_compressed_sparse_indices_kernelILNS3_8CDimNameE0ENS3_18CUDAKernelLauncherENS3_14EmptyVecKernelENS3_8DummyVecELm0EEEvRKNS_6TensorESB_lllENKUlvE0_clEvENKUlvE0_clEvEUllE_EEvRNS_18TensorIteratorBaseERKT_EUlibE0_EEviT1_
	.p2align	8
	.type	_ZN2at6native32elementwise_kernel_manual_unrollILi128ELi4EZNS0_15gpu_kernel_implIZZZNS0_12_GLOBAL__N_142_validate_compressed_sparse_indices_kernelILNS3_8CDimNameE0ENS3_18CUDAKernelLauncherENS3_14EmptyVecKernelENS3_8DummyVecELm0EEEvRKNS_6TensorESB_lllENKUlvE0_clEvENKUlvE0_clEvEUllE_EEvRNS_18TensorIteratorBaseERKT_EUlibE0_EEviT1_,@function
_ZN2at6native32elementwise_kernel_manual_unrollILi128ELi4EZNS0_15gpu_kernel_implIZZZNS0_12_GLOBAL__N_142_validate_compressed_sparse_indices_kernelILNS3_8CDimNameE0ENS3_18CUDAKernelLauncherENS3_14EmptyVecKernelENS3_8DummyVecELm0EEEvRKNS_6TensorESB_lllENKUlvE0_clEvENKUlvE0_clEvEUllE_EEvRNS_18TensorIteratorBaseERKT_EUlibE0_EEviT1_: ; @_ZN2at6native32elementwise_kernel_manual_unrollILi128ELi4EZNS0_15gpu_kernel_implIZZZNS0_12_GLOBAL__N_142_validate_compressed_sparse_indices_kernelILNS3_8CDimNameE0ENS3_18CUDAKernelLauncherENS3_14EmptyVecKernelENS3_8DummyVecELm0EEEvRKNS_6TensorESB_lllENKUlvE0_clEvENKUlvE0_clEvEUllE_EEvRNS_18TensorIteratorBaseERKT_EUlibE0_EEviT1_
; %bb.0:
	s_clause 0x1
	s_load_b32 s33, s[0:1], 0x8
	s_load_b32 s41, s[0:1], 0x0
	s_bfe_u32 s2, ttmp6, 0x4000c
	s_and_b32 s3, ttmp6, 15
	s_add_co_i32 s2, s2, 1
	s_getreg_b32 s4, hwreg(HW_REG_IB_STS2, 6, 4)
	s_mul_i32 s2, ttmp9, s2
	s_mov_b32 s35, 0
	s_add_co_i32 s3, s3, s2
	s_cmp_eq_u32 s4, 0
	s_mov_b32 s26, -1
	s_cselect_b32 s2, ttmp9, s3
	s_mov_b32 s12, 0
	v_lshl_or_b32 v0, s2, 9, v0
	s_add_nc_u64 s[2:3], s[0:1], 8
	s_wait_xcnt 0x0
	s_mov_b32 s0, exec_lo
	s_delay_alu instid0(VALU_DEP_1) | instskip(SKIP_2) | instid1(SALU_CYCLE_1)
	v_or_b32_e32 v9, 0x180, v0
	s_wait_kmcnt 0x0
	s_add_co_i32 s34, s33, -1
	s_cmp_gt_u32 s34, 1
	s_cselect_b32 s36, -1, 0
	v_cmpx_le_i32_e64 s41, v9
	s_xor_b32 s37, exec_lo, s0
	s_cbranch_execz .LBB47_958
; %bb.1:
	s_clause 0x4
	s_load_b128 s[12:15], s[2:3], 0x4
	s_load_b32 s38, s[2:3], 0x168
	s_load_b64 s[0:1], s[2:3], 0x14
	s_load_b128 s[16:19], s[2:3], 0xc4
	s_load_b256 s[4:11], s[2:3], 0x148
	s_cmp_lg_u32 s33, 0
	s_get_pc_i64 s[28:29]
	s_add_nc_u64 s[28:29], s[28:29], .str@rel64+4
	s_cselect_b32 s43, -1, 0
	s_min_u32 s42, s34, 15
	s_cmp_gt_u32 s33, 1
	s_mov_b32 s21, 0
	s_cselect_b32 s40, -1, 0
	s_add_nc_u64 s[24:25], s[2:3], 0xc4
	s_mov_b32 s23, s21
	s_mov_b32 s46, s21
	;; [unrolled: 1-line block ×4, first 2 shown]
	s_mov_b32 s47, exec_lo
	s_wait_kmcnt 0x0
	s_mov_b32 s20, s13
	s_bfe_u32 s39, s38, 0x80008
	s_cmp_lg_u64 s[28:29], 0
	s_mov_b32 s22, s0
	s_cselect_b32 s13, -1, 0
	v_cmpx_gt_i32_e64 s41, v0
	s_cbranch_execz .LBB47_236
; %bb.2:
	s_and_not1_b32 vcc_lo, exec_lo, s36
	s_cbranch_vccnz .LBB47_8
; %bb.3:
	s_and_not1_b32 vcc_lo, exec_lo, s43
	s_cbranch_vccnz .LBB47_9
; %bb.4:
	s_add_co_i32 s0, s42, 1
	s_cmp_eq_u32 s34, 2
	s_cbranch_scc1 .LBB47_10
; %bb.5:
	v_dual_mov_b32 v2, 0 :: v_dual_mov_b32 v4, 0
	v_mov_b32_e32 v1, v0
	s_and_b32 s26, s0, 28
	s_mov_b32 s27, 0
	s_mov_b64 s[28:29], s[2:3]
	s_mov_b64 s[30:31], s[24:25]
.LBB47_6:                               ; =>This Inner Loop Header: Depth=1
	s_clause 0x1
	s_load_b256 s[48:55], s[28:29], 0x4
	s_load_b128 s[64:67], s[28:29], 0x24
	s_load_b256 s[56:63], s[30:31], 0x0
	s_add_co_i32 s27, s27, 4
	s_wait_xcnt 0x0
	s_add_nc_u64 s[28:29], s[28:29], 48
	s_cmp_lg_u32 s26, s27
	s_add_nc_u64 s[30:31], s[30:31], 32
	s_wait_kmcnt 0x0
	v_mul_hi_u32 v3, s49, v1
	s_delay_alu instid0(VALU_DEP_1) | instskip(NEXT) | instid1(VALU_DEP_1)
	v_add_nc_u32_e32 v3, v1, v3
	v_lshrrev_b32_e32 v3, s50, v3
	s_delay_alu instid0(VALU_DEP_1) | instskip(NEXT) | instid1(VALU_DEP_1)
	v_mul_hi_u32 v5, s52, v3
	v_add_nc_u32_e32 v5, v3, v5
	s_delay_alu instid0(VALU_DEP_1) | instskip(NEXT) | instid1(VALU_DEP_1)
	v_lshrrev_b32_e32 v5, s53, v5
	v_mul_hi_u32 v6, s55, v5
	s_delay_alu instid0(VALU_DEP_1) | instskip(SKIP_1) | instid1(VALU_DEP_1)
	v_add_nc_u32_e32 v6, v5, v6
	v_mul_lo_u32 v7, v3, s48
	v_sub_nc_u32_e32 v1, v1, v7
	v_mul_lo_u32 v7, v5, s51
	s_delay_alu instid0(VALU_DEP_4) | instskip(NEXT) | instid1(VALU_DEP_3)
	v_lshrrev_b32_e32 v6, s64, v6
	v_mad_u32 v4, v1, s57, v4
	v_mad_u32 v1, v1, s56, v2
	s_delay_alu instid0(VALU_DEP_4) | instskip(NEXT) | instid1(VALU_DEP_4)
	v_sub_nc_u32_e32 v2, v3, v7
	v_mul_hi_u32 v8, s66, v6
	v_mul_lo_u32 v3, v6, s54
	s_delay_alu instid0(VALU_DEP_3) | instskip(SKIP_1) | instid1(VALU_DEP_3)
	v_mad_u32 v4, v2, s59, v4
	v_mad_u32 v2, v2, s58, v1
	v_dual_add_nc_u32 v7, v6, v8 :: v_dual_sub_nc_u32 v3, v5, v3
	s_delay_alu instid0(VALU_DEP_1) | instskip(NEXT) | instid1(VALU_DEP_2)
	v_lshrrev_b32_e32 v1, s67, v7
	v_mad_u32 v4, v3, s61, v4
	s_delay_alu instid0(VALU_DEP_4) | instskip(NEXT) | instid1(VALU_DEP_3)
	v_mad_u32 v2, v3, s60, v2
	v_mul_lo_u32 v5, v1, s65
	s_delay_alu instid0(VALU_DEP_1) | instskip(NEXT) | instid1(VALU_DEP_1)
	v_sub_nc_u32_e32 v3, v6, v5
	v_mad_u32 v4, v3, s63, v4
	s_delay_alu instid0(VALU_DEP_4)
	v_mad_u32 v2, v3, s62, v2
	s_cbranch_scc1 .LBB47_6
; %bb.7:
	s_delay_alu instid0(VALU_DEP_2)
	v_mov_b32_e32 v3, v4
	s_and_b32 s0, s0, 3
	s_mov_b32 s27, 0
	s_cmp_eq_u32 s0, 0
	s_cbranch_scc0 .LBB47_11
	s_branch .LBB47_14
.LBB47_8:
                                        ; implicit-def: $vgpr4
                                        ; implicit-def: $vgpr2
	s_branch .LBB47_15
.LBB47_9:
	v_dual_mov_b32 v4, 0 :: v_dual_mov_b32 v2, 0
	s_branch .LBB47_14
.LBB47_10:
	v_mov_b64_e32 v[2:3], 0
	v_mov_b32_e32 v1, v0
	s_mov_b32 s26, 0
                                        ; implicit-def: $vgpr4
	s_and_b32 s0, s0, 3
	s_mov_b32 s27, 0
	s_cmp_eq_u32 s0, 0
	s_cbranch_scc1 .LBB47_14
.LBB47_11:
	s_lshl_b32 s28, s26, 3
	s_mov_b32 s29, s27
	s_mul_u64 s[30:31], s[26:27], 12
	s_add_nc_u64 s[28:29], s[2:3], s[28:29]
	s_delay_alu instid0(SALU_CYCLE_1)
	s_add_nc_u64 s[26:27], s[28:29], 0xc4
	s_add_nc_u64 s[28:29], s[2:3], s[30:31]
.LBB47_12:                              ; =>This Inner Loop Header: Depth=1
	s_load_b96 s[44:46], s[28:29], 0x4
	s_load_b64 s[30:31], s[26:27], 0x0
	s_add_co_i32 s0, s0, -1
	s_wait_xcnt 0x0
	s_add_nc_u64 s[28:29], s[28:29], 12
	s_cmp_lg_u32 s0, 0
	s_add_nc_u64 s[26:27], s[26:27], 8
	s_wait_kmcnt 0x0
	v_mul_hi_u32 v4, s45, v1
	s_delay_alu instid0(VALU_DEP_1) | instskip(NEXT) | instid1(VALU_DEP_1)
	v_add_nc_u32_e32 v4, v1, v4
	v_lshrrev_b32_e32 v4, s46, v4
	s_delay_alu instid0(VALU_DEP_1) | instskip(NEXT) | instid1(VALU_DEP_1)
	v_mul_lo_u32 v5, v4, s44
	v_sub_nc_u32_e32 v1, v1, v5
	s_delay_alu instid0(VALU_DEP_1)
	v_mad_u32 v3, v1, s31, v3
	v_mad_u32 v2, v1, s30, v2
	v_mov_b32_e32 v1, v4
	s_cbranch_scc1 .LBB47_12
; %bb.13:
	s_delay_alu instid0(VALU_DEP_3)
	v_mov_b32_e32 v4, v3
.LBB47_14:
	s_cbranch_execnz .LBB47_17
.LBB47_15:
	v_mov_b32_e32 v1, 0
	s_and_not1_b32 vcc_lo, exec_lo, s40
	s_delay_alu instid0(VALU_DEP_1) | instskip(NEXT) | instid1(VALU_DEP_1)
	v_mul_u64_e32 v[2:3], s[20:21], v[0:1]
	v_add_nc_u32_e32 v2, v0, v3
	s_delay_alu instid0(VALU_DEP_1) | instskip(NEXT) | instid1(VALU_DEP_1)
	v_lshrrev_b32_e32 v6, s14, v2
	v_mul_lo_u32 v2, v6, s12
	s_delay_alu instid0(VALU_DEP_1) | instskip(NEXT) | instid1(VALU_DEP_1)
	v_sub_nc_u32_e32 v2, v0, v2
	v_mul_lo_u32 v4, v2, s17
	v_mul_lo_u32 v2, v2, s16
	s_cbranch_vccnz .LBB47_17
; %bb.16:
	v_mov_b32_e32 v7, v1
	s_delay_alu instid0(VALU_DEP_1) | instskip(NEXT) | instid1(VALU_DEP_1)
	v_mul_u64_e32 v[8:9], s[22:23], v[6:7]
	v_add_nc_u32_e32 v1, v6, v9
	s_delay_alu instid0(VALU_DEP_1) | instskip(NEXT) | instid1(VALU_DEP_1)
	v_lshrrev_b32_e32 v1, s1, v1
	v_mul_lo_u32 v1, v1, s15
	s_delay_alu instid0(VALU_DEP_1) | instskip(NEXT) | instid1(VALU_DEP_1)
	v_sub_nc_u32_e32 v1, v6, v1
	v_mad_u32 v2, v1, s18, v2
	v_mad_u32 v4, v1, s19, v4
.LBB47_17:
	v_mov_b32_e32 v5, 0
	s_and_b32 s0, 0xffff, s39
	s_delay_alu instid0(SALU_CYCLE_1) | instskip(NEXT) | instid1(VALU_DEP_1)
	s_cmp_lt_i32 s0, 11
	v_add_nc_u64_e32 v[4:5], s[6:7], v[4:5]
	s_cbranch_scc1 .LBB47_24
; %bb.18:
	s_cmp_gt_i32 s0, 25
	s_cbranch_scc0 .LBB47_34
; %bb.19:
	s_cmp_gt_i32 s0, 28
	s_cbranch_scc0 .LBB47_38
	;; [unrolled: 3-line block ×4, first 2 shown]
; %bb.22:
	s_cmp_eq_u32 s0, 46
	s_mov_b32 s28, 0
	s_cbranch_scc0 .LBB47_44
; %bb.23:
	global_load_b32 v1, v[4:5], off
	s_mov_b32 s27, -1
	s_mov_b32 s26, 0
	s_wait_loadcnt 0x0
	v_lshlrev_b32_e32 v1, 16, v1
	s_delay_alu instid0(VALU_DEP_1) | instskip(NEXT) | instid1(VALU_DEP_1)
	v_trunc_f32_e32 v1, v1
	v_mul_f32_e64 v3, 0x2f800000, |v1|
	v_ashrrev_i32_e32 v6, 31, v1
	s_delay_alu instid0(VALU_DEP_2) | instskip(NEXT) | instid1(VALU_DEP_1)
	v_floor_f32_e32 v3, v3
	v_fma_f32 v7, 0xcf800000, v3, |v1|
	v_cvt_u32_f32_e32 v1, v3
	s_delay_alu instid0(VALU_DEP_2) | instskip(NEXT) | instid1(VALU_DEP_2)
	v_cvt_u32_f32_e32 v3, v7
	v_dual_mov_b32 v7, v6 :: v_dual_bitop2_b32 v9, v1, v6 bitop3:0x14
	s_delay_alu instid0(VALU_DEP_2) | instskip(NEXT) | instid1(VALU_DEP_1)
	v_xor_b32_e32 v8, v3, v6
	v_sub_nc_u64_e32 v[6:7], v[8:9], v[6:7]
	s_branch .LBB47_46
.LBB47_24:
	s_mov_b32 s26, 0
	s_mov_b32 s27, 0
                                        ; implicit-def: $vgpr6_vgpr7
	s_cbranch_execnz .LBB47_106
.LBB47_25:
	s_and_not1_b32 vcc_lo, exec_lo, s27
	s_cbranch_vccnz .LBB47_153
.LBB47_26:
	s_wait_loadcnt 0x0
	s_delay_alu instid0(VALU_DEP_1)
	v_cmp_le_i64_e32 vcc_lo, s[8:9], v[6:7]
	v_cmp_gt_i64_e64 s0, s[10:11], v[6:7]
	s_mov_b32 s28, -1
	s_mov_b32 s27, 0
	s_mov_b32 s29, 0
	s_and_b32 s0, vcc_lo, s0
	s_delay_alu instid0(SALU_CYCLE_1) | instskip(NEXT) | instid1(SALU_CYCLE_1)
	s_and_b32 s30, s13, s0
	s_and_saveexec_b32 s0, s30
	s_cbranch_execz .LBB47_234
; %bb.27:
	v_mov_b32_e32 v3, 0
	s_and_b32 s28, s38, 0xff
	s_delay_alu instid0(SALU_CYCLE_1) | instskip(NEXT) | instid1(VALU_DEP_1)
	s_cmp_lt_i32 s28, 11
	v_add_nc_u64_e32 v[2:3], s[4:5], v[2:3]
	s_cbranch_scc1 .LBB47_35
; %bb.28:
	s_and_b32 s29, 0xffff, s28
	s_delay_alu instid0(SALU_CYCLE_1)
	s_cmp_gt_i32 s29, 25
	s_cbranch_scc0 .LBB47_39
; %bb.29:
	s_cmp_gt_i32 s29, 28
	s_cbranch_scc0 .LBB47_41
; %bb.30:
	s_cmp_gt_i32 s29, 43
	s_cbranch_scc0 .LBB47_43
; %bb.31:
	s_cmp_gt_i32 s29, 45
	s_cbranch_scc0 .LBB47_154
; %bb.32:
	s_mov_b32 s31, 0
	s_mov_b32 s27, -1
	s_cmp_eq_u32 s29, 46
	s_mov_b32 s30, 0
	s_cbranch_scc0 .LBB47_155
; %bb.33:
	v_mov_b32_e32 v1, 0
	s_mov_b32 s30, -1
	s_mov_b32 s27, 0
	global_store_b32 v[2:3], v1, off
	s_branch .LBB47_155
.LBB47_34:
	s_mov_b32 s26, 0
	s_mov_b32 s27, 0
                                        ; implicit-def: $vgpr6_vgpr7
	s_cbranch_execnz .LBB47_73
	s_branch .LBB47_105
.LBB47_35:
	s_mov_b32 s30, 0
	s_cbranch_execnz .LBB47_194
.LBB47_36:
	s_and_not1_b32 vcc_lo, exec_lo, s30
	s_cbranch_vccnz .LBB47_232
.LBB47_37:
	v_add_nc_u32_e32 v0, 0x80, v0
	s_mov_b32 s30, -1
	s_branch .LBB47_233
.LBB47_38:
	s_mov_b32 s28, -1
	s_mov_b32 s26, 0
	s_mov_b32 s27, 0
                                        ; implicit-def: $vgpr6_vgpr7
	s_branch .LBB47_56
.LBB47_39:
	s_mov_b32 s31, -1
	s_mov_b32 s30, 0
	s_branch .LBB47_174
.LBB47_40:
	s_mov_b32 s28, -1
	s_mov_b32 s26, 0
	s_mov_b32 s27, 0
                                        ; implicit-def: $vgpr6_vgpr7
	s_branch .LBB47_51
.LBB47_41:
	s_mov_b32 s31, -1
	s_mov_b32 s30, 0
	s_branch .LBB47_163
.LBB47_42:
	s_mov_b32 s28, -1
	s_mov_b32 s26, 0
	s_branch .LBB47_45
.LBB47_43:
	s_mov_b32 s31, -1
	s_mov_b32 s30, 0
	s_branch .LBB47_159
.LBB47_44:
	s_mov_b32 s26, -1
.LBB47_45:
	s_mov_b32 s27, 0
                                        ; implicit-def: $vgpr6_vgpr7
.LBB47_46:
	s_and_b32 vcc_lo, exec_lo, s28
	s_cbranch_vccz .LBB47_50
; %bb.47:
	s_cmp_eq_u32 s0, 44
	s_cbranch_scc0 .LBB47_49
; %bb.48:
	global_load_u8 v1, v[4:5], off
	s_mov_b32 s26, 0
	s_mov_b32 s27, -1
	s_wait_loadcnt 0x0
	v_lshlrev_b32_e32 v3, 23, v1
	v_cmp_ne_u32_e32 vcc_lo, 0, v1
	s_delay_alu instid0(VALU_DEP_2) | instskip(NEXT) | instid1(VALU_DEP_1)
	v_trunc_f32_e32 v3, v3
	v_mul_f32_e64 v6, 0x2f800000, |v3|
	s_delay_alu instid0(VALU_DEP_1) | instskip(SKIP_1) | instid1(VALU_DEP_2)
	v_floor_f32_e32 v7, v6
	v_ashrrev_i32_e32 v6, 31, v3
	v_fma_f32 v8, 0xcf800000, v7, |v3|
	v_cvt_u32_f32_e32 v3, v7
	s_delay_alu instid0(VALU_DEP_3) | instskip(NEXT) | instid1(VALU_DEP_3)
	v_mov_b32_e32 v7, v6
	v_cvt_u32_f32_e32 v8, v8
	s_delay_alu instid0(VALU_DEP_3) | instskip(NEXT) | instid1(VALU_DEP_2)
	v_xor_b32_e32 v9, v3, v6
	v_xor_b32_e32 v8, v8, v6
	s_delay_alu instid0(VALU_DEP_1) | instskip(NEXT) | instid1(VALU_DEP_1)
	v_sub_nc_u64_e32 v[6:7], v[8:9], v[6:7]
	v_dual_cndmask_b32 v7, 0, v7 :: v_dual_cndmask_b32 v6, 0, v6
	s_branch .LBB47_50
.LBB47_49:
	s_mov_b32 s26, -1
                                        ; implicit-def: $vgpr6_vgpr7
.LBB47_50:
	s_mov_b32 s28, 0
.LBB47_51:
	s_delay_alu instid0(SALU_CYCLE_1)
	s_and_b32 vcc_lo, exec_lo, s28
	s_cbranch_vccz .LBB47_55
; %bb.52:
	s_cmp_eq_u32 s0, 29
	s_cbranch_scc0 .LBB47_54
; %bb.53:
	global_load_b64 v[6:7], v[4:5], off
	s_mov_b32 s27, -1
	s_mov_b32 s26, 0
	s_branch .LBB47_55
.LBB47_54:
	s_mov_b32 s26, -1
                                        ; implicit-def: $vgpr6_vgpr7
.LBB47_55:
	s_mov_b32 s28, 0
.LBB47_56:
	s_delay_alu instid0(SALU_CYCLE_1)
	s_and_b32 vcc_lo, exec_lo, s28
	s_cbranch_vccz .LBB47_72
; %bb.57:
	s_cmp_lt_i32 s0, 27
	s_cbranch_scc1 .LBB47_60
; %bb.58:
	s_cmp_gt_i32 s0, 27
	s_cbranch_scc0 .LBB47_61
; %bb.59:
	s_wait_loadcnt 0x0
	global_load_b32 v6, v[4:5], off
	v_mov_b32_e32 v7, 0
	s_mov_b32 s27, 0
	s_branch .LBB47_62
.LBB47_60:
	s_mov_b32 s27, -1
                                        ; implicit-def: $vgpr6_vgpr7
	s_branch .LBB47_65
.LBB47_61:
	s_mov_b32 s27, -1
                                        ; implicit-def: $vgpr6_vgpr7
.LBB47_62:
	s_delay_alu instid0(SALU_CYCLE_1)
	s_and_not1_b32 vcc_lo, exec_lo, s27
	s_cbranch_vccnz .LBB47_64
; %bb.63:
	global_load_u16 v1, v[4:5], off
	s_mov_b32 s27, 0
	s_wait_loadcnt 0x1
	v_mov_b32_e32 v7, s27
	s_wait_loadcnt 0x0
	v_and_b32_e32 v6, 0xffff, v1
.LBB47_64:
	s_mov_b32 s27, 0
.LBB47_65:
	s_delay_alu instid0(SALU_CYCLE_1)
	s_and_not1_b32 vcc_lo, exec_lo, s27
	s_cbranch_vccnz .LBB47_71
; %bb.66:
	global_load_u8 v1, v[4:5], off
	s_mov_b32 s28, 0
	s_mov_b32 s27, exec_lo
	s_wait_loadcnt 0x0
	v_cmpx_lt_i16_e32 0x7f, v1
	s_xor_b32 s27, exec_lo, s27
	s_cbranch_execz .LBB47_82
; %bb.67:
	v_cmp_ne_u16_e32 vcc_lo, 0x80, v1
	s_and_b32 s28, vcc_lo, exec_lo
	s_and_not1_saveexec_b32 s27, s27
	s_cbranch_execnz .LBB47_83
.LBB47_68:
	s_or_b32 exec_lo, exec_lo, s27
	v_mov_b64_e32 v[6:7], 0
	s_and_saveexec_b32 s27, s28
	s_cbranch_execz .LBB47_70
.LBB47_69:
	v_and_b32_e32 v3, 0xffff, v1
	s_delay_alu instid0(VALU_DEP_1) | instskip(SKIP_1) | instid1(VALU_DEP_2)
	v_dual_lshlrev_b32 v1, 24, v1 :: v_dual_bitop2_b32 v6, 7, v3 bitop3:0x40
	v_bfe_u32 v9, v3, 3, 4
	v_and_b32_e32 v1, 0x80000000, v1
	s_delay_alu instid0(VALU_DEP_3) | instskip(NEXT) | instid1(VALU_DEP_3)
	v_clz_i32_u32_e32 v7, v6
	v_cmp_eq_u32_e32 vcc_lo, 0, v9
	s_delay_alu instid0(VALU_DEP_2) | instskip(NEXT) | instid1(VALU_DEP_1)
	v_min_u32_e32 v7, 32, v7
	v_subrev_nc_u32_e32 v8, 28, v7
	v_sub_nc_u32_e32 v7, 29, v7
	s_delay_alu instid0(VALU_DEP_2) | instskip(NEXT) | instid1(VALU_DEP_2)
	v_lshlrev_b32_e32 v3, v8, v3
	v_cndmask_b32_e32 v7, v9, v7, vcc_lo
	s_delay_alu instid0(VALU_DEP_2) | instskip(NEXT) | instid1(VALU_DEP_1)
	v_and_b32_e32 v3, 7, v3
	v_cndmask_b32_e32 v3, v6, v3, vcc_lo
	s_delay_alu instid0(VALU_DEP_3) | instskip(NEXT) | instid1(VALU_DEP_2)
	v_lshl_add_u32 v6, v7, 23, 0x3b800000
	v_lshlrev_b32_e32 v3, 20, v3
	s_delay_alu instid0(VALU_DEP_1) | instskip(NEXT) | instid1(VALU_DEP_1)
	v_or3_b32 v1, v1, v6, v3
	v_trunc_f32_e32 v1, v1
	s_delay_alu instid0(VALU_DEP_1) | instskip(SKIP_1) | instid1(VALU_DEP_2)
	v_mul_f32_e64 v3, 0x2f800000, |v1|
	v_ashrrev_i32_e32 v6, 31, v1
	v_floor_f32_e32 v3, v3
	s_delay_alu instid0(VALU_DEP_1) | instskip(SKIP_1) | instid1(VALU_DEP_2)
	v_fma_f32 v7, 0xcf800000, v3, |v1|
	v_cvt_u32_f32_e32 v1, v3
	v_cvt_u32_f32_e32 v3, v7
	s_delay_alu instid0(VALU_DEP_2) | instskip(NEXT) | instid1(VALU_DEP_2)
	v_dual_mov_b32 v7, v6 :: v_dual_bitop2_b32 v9, v1, v6 bitop3:0x14
	v_xor_b32_e32 v8, v3, v6
	s_delay_alu instid0(VALU_DEP_1)
	v_sub_nc_u64_e32 v[6:7], v[8:9], v[6:7]
.LBB47_70:
	s_or_b32 exec_lo, exec_lo, s27
.LBB47_71:
	s_mov_b32 s27, -1
.LBB47_72:
	s_branch .LBB47_105
.LBB47_73:
	s_cmp_gt_i32 s0, 22
	s_cbranch_scc0 .LBB47_81
; %bb.74:
	s_cmp_lt_i32 s0, 24
	s_cbranch_scc1 .LBB47_84
; %bb.75:
	s_cmp_gt_i32 s0, 24
	s_cbranch_scc0 .LBB47_85
; %bb.76:
	global_load_u8 v1, v[4:5], off
	s_mov_b32 s28, 0
	s_mov_b32 s27, exec_lo
	s_wait_loadcnt 0x0
	v_cmpx_lt_i16_e32 0x7f, v1
	s_xor_b32 s27, exec_lo, s27
	s_cbranch_execz .LBB47_97
; %bb.77:
	v_cmp_ne_u16_e32 vcc_lo, 0x80, v1
	s_and_b32 s28, vcc_lo, exec_lo
	s_and_not1_saveexec_b32 s27, s27
	s_cbranch_execnz .LBB47_98
.LBB47_78:
	s_or_b32 exec_lo, exec_lo, s27
	v_mov_b64_e32 v[6:7], 0
	s_and_saveexec_b32 s27, s28
	s_cbranch_execz .LBB47_80
.LBB47_79:
	v_and_b32_e32 v3, 0xffff, v1
	s_delay_alu instid0(VALU_DEP_1) | instskip(SKIP_1) | instid1(VALU_DEP_2)
	v_dual_lshlrev_b32 v1, 24, v1 :: v_dual_bitop2_b32 v6, 3, v3 bitop3:0x40
	v_bfe_u32 v9, v3, 2, 5
	v_and_b32_e32 v1, 0x80000000, v1
	s_delay_alu instid0(VALU_DEP_3) | instskip(NEXT) | instid1(VALU_DEP_3)
	v_clz_i32_u32_e32 v7, v6
	v_cmp_eq_u32_e32 vcc_lo, 0, v9
	s_delay_alu instid0(VALU_DEP_2) | instskip(NEXT) | instid1(VALU_DEP_1)
	v_min_u32_e32 v7, 32, v7
	v_subrev_nc_u32_e32 v8, 29, v7
	v_sub_nc_u32_e32 v7, 30, v7
	s_delay_alu instid0(VALU_DEP_2) | instskip(NEXT) | instid1(VALU_DEP_2)
	v_lshlrev_b32_e32 v3, v8, v3
	v_cndmask_b32_e32 v7, v9, v7, vcc_lo
	s_delay_alu instid0(VALU_DEP_2) | instskip(NEXT) | instid1(VALU_DEP_1)
	v_and_b32_e32 v3, 3, v3
	v_cndmask_b32_e32 v3, v6, v3, vcc_lo
	s_delay_alu instid0(VALU_DEP_3) | instskip(NEXT) | instid1(VALU_DEP_2)
	v_lshl_add_u32 v6, v7, 23, 0x37800000
	v_lshlrev_b32_e32 v3, 21, v3
	s_delay_alu instid0(VALU_DEP_1) | instskip(NEXT) | instid1(VALU_DEP_1)
	v_or3_b32 v1, v1, v6, v3
	v_trunc_f32_e32 v1, v1
	s_delay_alu instid0(VALU_DEP_1) | instskip(SKIP_1) | instid1(VALU_DEP_2)
	v_mul_f32_e64 v3, 0x2f800000, |v1|
	v_ashrrev_i32_e32 v6, 31, v1
	v_floor_f32_e32 v3, v3
	s_delay_alu instid0(VALU_DEP_1) | instskip(SKIP_1) | instid1(VALU_DEP_2)
	v_fma_f32 v7, 0xcf800000, v3, |v1|
	v_cvt_u32_f32_e32 v1, v3
	v_cvt_u32_f32_e32 v3, v7
	s_delay_alu instid0(VALU_DEP_2) | instskip(NEXT) | instid1(VALU_DEP_2)
	v_dual_mov_b32 v7, v6 :: v_dual_bitop2_b32 v9, v1, v6 bitop3:0x14
	v_xor_b32_e32 v8, v3, v6
	s_delay_alu instid0(VALU_DEP_1)
	v_sub_nc_u64_e32 v[6:7], v[8:9], v[6:7]
.LBB47_80:
	s_or_b32 exec_lo, exec_lo, s27
	s_mov_b32 s27, 0
	s_branch .LBB47_86
.LBB47_81:
	s_mov_b32 s28, -1
                                        ; implicit-def: $vgpr6_vgpr7
	s_branch .LBB47_92
.LBB47_82:
	s_and_not1_saveexec_b32 s27, s27
	s_cbranch_execz .LBB47_68
.LBB47_83:
	v_cmp_ne_u16_e32 vcc_lo, 0, v1
	s_and_not1_b32 s28, s28, exec_lo
	s_and_b32 s29, vcc_lo, exec_lo
	s_delay_alu instid0(SALU_CYCLE_1)
	s_or_b32 s28, s28, s29
	s_or_b32 exec_lo, exec_lo, s27
	v_mov_b64_e32 v[6:7], 0
	s_and_saveexec_b32 s27, s28
	s_cbranch_execnz .LBB47_69
	s_branch .LBB47_70
.LBB47_84:
	s_mov_b32 s27, -1
                                        ; implicit-def: $vgpr6_vgpr7
	s_branch .LBB47_89
.LBB47_85:
	s_mov_b32 s27, -1
                                        ; implicit-def: $vgpr6_vgpr7
.LBB47_86:
	s_delay_alu instid0(SALU_CYCLE_1)
	s_and_b32 vcc_lo, exec_lo, s27
	s_cbranch_vccz .LBB47_88
; %bb.87:
	global_load_u8 v1, v[4:5], off
	s_wait_loadcnt 0x0
	v_lshlrev_b32_e32 v1, 24, v1
	s_delay_alu instid0(VALU_DEP_1) | instskip(NEXT) | instid1(VALU_DEP_1)
	v_and_b32_e32 v3, 0x7f000000, v1
	v_clz_i32_u32_e32 v6, v3
	v_cmp_ne_u32_e32 vcc_lo, 0, v3
	v_add_nc_u32_e32 v8, 0x1000000, v3
	s_delay_alu instid0(VALU_DEP_3) | instskip(NEXT) | instid1(VALU_DEP_1)
	v_min_u32_e32 v6, 32, v6
	v_sub_nc_u32_e64 v6, v6, 4 clamp
	s_delay_alu instid0(VALU_DEP_1) | instskip(NEXT) | instid1(VALU_DEP_1)
	v_dual_lshlrev_b32 v7, v6, v3 :: v_dual_lshlrev_b32 v6, 23, v6
	v_lshrrev_b32_e32 v7, 4, v7
	s_delay_alu instid0(VALU_DEP_1) | instskip(NEXT) | instid1(VALU_DEP_1)
	v_dual_sub_nc_u32 v6, v7, v6 :: v_dual_ashrrev_i32 v7, 8, v8
	v_add_nc_u32_e32 v6, 0x3c000000, v6
	s_delay_alu instid0(VALU_DEP_1) | instskip(NEXT) | instid1(VALU_DEP_1)
	v_and_or_b32 v6, 0x7f800000, v7, v6
	v_cndmask_b32_e32 v3, 0, v6, vcc_lo
	s_delay_alu instid0(VALU_DEP_1) | instskip(NEXT) | instid1(VALU_DEP_1)
	v_and_or_b32 v1, 0x80000000, v1, v3
	v_trunc_f32_e32 v1, v1
	s_delay_alu instid0(VALU_DEP_1) | instskip(SKIP_1) | instid1(VALU_DEP_2)
	v_mul_f32_e64 v3, 0x2f800000, |v1|
	v_ashrrev_i32_e32 v6, 31, v1
	v_floor_f32_e32 v3, v3
	s_delay_alu instid0(VALU_DEP_1) | instskip(SKIP_1) | instid1(VALU_DEP_2)
	v_fma_f32 v7, 0xcf800000, v3, |v1|
	v_cvt_u32_f32_e32 v1, v3
	v_cvt_u32_f32_e32 v3, v7
	s_delay_alu instid0(VALU_DEP_2) | instskip(NEXT) | instid1(VALU_DEP_2)
	v_dual_mov_b32 v7, v6 :: v_dual_bitop2_b32 v9, v1, v6 bitop3:0x14
	v_xor_b32_e32 v8, v3, v6
	s_delay_alu instid0(VALU_DEP_1)
	v_sub_nc_u64_e32 v[6:7], v[8:9], v[6:7]
.LBB47_88:
	s_mov_b32 s27, 0
.LBB47_89:
	s_delay_alu instid0(SALU_CYCLE_1)
	s_and_not1_b32 vcc_lo, exec_lo, s27
	s_cbranch_vccnz .LBB47_91
; %bb.90:
	global_load_u8 v1, v[4:5], off
	s_wait_loadcnt 0x0
	v_lshlrev_b32_e32 v3, 25, v1
	v_lshlrev_b16 v1, 8, v1
	s_delay_alu instid0(VALU_DEP_1) | instskip(SKIP_1) | instid1(VALU_DEP_2)
	v_and_or_b32 v7, 0x7f00, v1, 0.5
	v_bfe_i32 v1, v1, 0, 16
	v_add_f32_e32 v7, -0.5, v7
	v_lshrrev_b32_e32 v6, 4, v3
	v_cmp_gt_u32_e32 vcc_lo, 0x8000000, v3
	s_delay_alu instid0(VALU_DEP_2) | instskip(NEXT) | instid1(VALU_DEP_1)
	v_or_b32_e32 v6, 0x70000000, v6
	v_mul_f32_e32 v6, 0x7800000, v6
	s_delay_alu instid0(VALU_DEP_1) | instskip(NEXT) | instid1(VALU_DEP_1)
	v_cndmask_b32_e32 v3, v6, v7, vcc_lo
	v_and_or_b32 v1, 0x80000000, v1, v3
	s_delay_alu instid0(VALU_DEP_1) | instskip(NEXT) | instid1(VALU_DEP_1)
	v_trunc_f32_e32 v1, v1
	v_mul_f32_e64 v3, 0x2f800000, |v1|
	v_ashrrev_i32_e32 v6, 31, v1
	s_delay_alu instid0(VALU_DEP_2) | instskip(NEXT) | instid1(VALU_DEP_1)
	v_floor_f32_e32 v3, v3
	v_fma_f32 v7, 0xcf800000, v3, |v1|
	v_cvt_u32_f32_e32 v1, v3
	s_delay_alu instid0(VALU_DEP_2) | instskip(NEXT) | instid1(VALU_DEP_2)
	v_cvt_u32_f32_e32 v3, v7
	v_dual_mov_b32 v7, v6 :: v_dual_bitop2_b32 v9, v1, v6 bitop3:0x14
	s_delay_alu instid0(VALU_DEP_2) | instskip(NEXT) | instid1(VALU_DEP_1)
	v_xor_b32_e32 v8, v3, v6
	v_sub_nc_u64_e32 v[6:7], v[8:9], v[6:7]
.LBB47_91:
	s_mov_b32 s28, 0
	s_mov_b32 s27, -1
.LBB47_92:
	s_and_not1_b32 vcc_lo, exec_lo, s28
	s_cbranch_vccnz .LBB47_105
; %bb.93:
	s_cmp_gt_i32 s0, 14
	s_cbranch_scc0 .LBB47_96
; %bb.94:
	s_cmp_eq_u32 s0, 15
	s_cbranch_scc0 .LBB47_99
; %bb.95:
	global_load_u16 v1, v[4:5], off
	s_mov_b32 s27, -1
	s_mov_b32 s26, 0
	s_wait_loadcnt 0x0
	v_lshlrev_b32_e32 v1, 16, v1
	s_delay_alu instid0(VALU_DEP_1) | instskip(NEXT) | instid1(VALU_DEP_1)
	v_trunc_f32_e32 v1, v1
	v_mul_f32_e64 v3, 0x2f800000, |v1|
	v_ashrrev_i32_e32 v6, 31, v1
	s_delay_alu instid0(VALU_DEP_2) | instskip(NEXT) | instid1(VALU_DEP_1)
	v_floor_f32_e32 v3, v3
	v_fma_f32 v7, 0xcf800000, v3, |v1|
	v_cvt_u32_f32_e32 v1, v3
	s_delay_alu instid0(VALU_DEP_2) | instskip(NEXT) | instid1(VALU_DEP_2)
	v_cvt_u32_f32_e32 v3, v7
	v_dual_mov_b32 v7, v6 :: v_dual_bitop2_b32 v9, v1, v6 bitop3:0x14
	s_delay_alu instid0(VALU_DEP_2) | instskip(NEXT) | instid1(VALU_DEP_1)
	v_xor_b32_e32 v8, v3, v6
	v_sub_nc_u64_e32 v[6:7], v[8:9], v[6:7]
	s_branch .LBB47_100
.LBB47_96:
	s_mov_b32 s28, -1
                                        ; implicit-def: $vgpr6_vgpr7
	s_branch .LBB47_101
.LBB47_97:
	s_and_not1_saveexec_b32 s27, s27
	s_cbranch_execz .LBB47_78
.LBB47_98:
	v_cmp_ne_u16_e32 vcc_lo, 0, v1
	s_and_not1_b32 s28, s28, exec_lo
	s_and_b32 s29, vcc_lo, exec_lo
	s_delay_alu instid0(SALU_CYCLE_1)
	s_or_b32 s28, s28, s29
	s_or_b32 exec_lo, exec_lo, s27
	v_mov_b64_e32 v[6:7], 0
	s_and_saveexec_b32 s27, s28
	s_cbranch_execnz .LBB47_79
	s_branch .LBB47_80
.LBB47_99:
	s_mov_b32 s26, -1
                                        ; implicit-def: $vgpr6_vgpr7
.LBB47_100:
	s_mov_b32 s28, 0
.LBB47_101:
	s_delay_alu instid0(SALU_CYCLE_1)
	s_and_b32 vcc_lo, exec_lo, s28
	s_cbranch_vccz .LBB47_105
; %bb.102:
	s_cmp_eq_u32 s0, 11
	s_cbranch_scc0 .LBB47_104
; %bb.103:
	global_load_u8 v1, v[4:5], off
	s_mov_b32 s26, 0
	s_mov_b32 s27, -1
	s_wait_loadcnt 0x1
	v_mov_b32_e32 v7, s26
	s_wait_loadcnt 0x0
	v_cmp_ne_u16_e32 vcc_lo, 0, v1
	v_cndmask_b32_e64 v6, 0, 1, vcc_lo
	s_branch .LBB47_105
.LBB47_104:
	s_mov_b32 s26, -1
                                        ; implicit-def: $vgpr6_vgpr7
.LBB47_105:
	s_branch .LBB47_25
.LBB47_106:
	s_cmp_lt_i32 s0, 5
	s_cbranch_scc1 .LBB47_111
; %bb.107:
	s_cmp_lt_i32 s0, 8
	s_cbranch_scc1 .LBB47_112
; %bb.108:
	;; [unrolled: 3-line block ×3, first 2 shown]
	s_cmp_gt_i32 s0, 9
	s_cbranch_scc0 .LBB47_114
; %bb.110:
	s_wait_loadcnt 0x0
	global_load_b64 v[6:7], v[4:5], off
	s_mov_b32 s27, 0
	s_wait_loadcnt 0x0
	v_trunc_f64_e32 v[6:7], v[6:7]
	s_delay_alu instid0(VALU_DEP_1) | instskip(NEXT) | instid1(VALU_DEP_1)
	v_ldexp_f64 v[8:9], v[6:7], 0xffffffe0
	v_floor_f64_e32 v[8:9], v[8:9]
	s_delay_alu instid0(VALU_DEP_1) | instskip(SKIP_1) | instid1(VALU_DEP_2)
	v_fmamk_f64 v[10:11], v[8:9], 0xc1f00000, v[6:7]
	v_cvt_i32_f64_e32 v7, v[8:9]
	v_cvt_u32_f64_e32 v6, v[10:11]
	s_branch .LBB47_115
.LBB47_111:
                                        ; implicit-def: $vgpr6_vgpr7
	s_branch .LBB47_133
.LBB47_112:
	s_mov_b32 s27, -1
                                        ; implicit-def: $vgpr6_vgpr7
	s_branch .LBB47_121
.LBB47_113:
	s_mov_b32 s27, -1
                                        ; implicit-def: $vgpr6_vgpr7
	s_branch .LBB47_118
.LBB47_114:
	s_mov_b32 s27, -1
                                        ; implicit-def: $vgpr6_vgpr7
.LBB47_115:
	s_delay_alu instid0(SALU_CYCLE_1)
	s_and_not1_b32 vcc_lo, exec_lo, s27
	s_cbranch_vccnz .LBB47_117
; %bb.116:
	global_load_b32 v1, v[4:5], off
	s_wait_loadcnt 0x0
	v_trunc_f32_e32 v1, v1
	s_delay_alu instid0(VALU_DEP_1) | instskip(SKIP_1) | instid1(VALU_DEP_2)
	v_mul_f32_e64 v3, 0x2f800000, |v1|
	v_ashrrev_i32_e32 v6, 31, v1
	v_floor_f32_e32 v3, v3
	s_delay_alu instid0(VALU_DEP_1) | instskip(SKIP_1) | instid1(VALU_DEP_2)
	v_fma_f32 v7, 0xcf800000, v3, |v1|
	v_cvt_u32_f32_e32 v1, v3
	v_cvt_u32_f32_e32 v3, v7
	s_delay_alu instid0(VALU_DEP_2) | instskip(NEXT) | instid1(VALU_DEP_2)
	v_dual_mov_b32 v7, v6 :: v_dual_bitop2_b32 v9, v1, v6 bitop3:0x14
	v_xor_b32_e32 v8, v3, v6
	s_delay_alu instid0(VALU_DEP_1)
	v_sub_nc_u64_e32 v[6:7], v[8:9], v[6:7]
.LBB47_117:
	s_mov_b32 s27, 0
.LBB47_118:
	s_delay_alu instid0(SALU_CYCLE_1)
	s_and_not1_b32 vcc_lo, exec_lo, s27
	s_cbranch_vccnz .LBB47_120
; %bb.119:
	global_load_b32 v1, v[4:5], off
	s_wait_loadcnt 0x0
	v_cvt_f32_f16_e32 v1, v1
	s_delay_alu instid0(VALU_DEP_1) | instskip(NEXT) | instid1(VALU_DEP_1)
	v_cvt_i32_f32_e32 v6, v1
	v_ashrrev_i32_e32 v7, 31, v6
.LBB47_120:
	s_mov_b32 s27, 0
.LBB47_121:
	s_delay_alu instid0(SALU_CYCLE_1)
	s_and_not1_b32 vcc_lo, exec_lo, s27
	s_cbranch_vccnz .LBB47_132
; %bb.122:
	s_cmp_lt_i32 s0, 6
	s_cbranch_scc1 .LBB47_125
; %bb.123:
	s_cmp_gt_i32 s0, 6
	s_cbranch_scc0 .LBB47_126
; %bb.124:
	s_wait_loadcnt 0x0
	global_load_b64 v[6:7], v[4:5], off
	s_mov_b32 s27, 0
	s_wait_loadcnt 0x0
	v_trunc_f64_e32 v[6:7], v[6:7]
	s_delay_alu instid0(VALU_DEP_1) | instskip(NEXT) | instid1(VALU_DEP_1)
	v_ldexp_f64 v[8:9], v[6:7], 0xffffffe0
	v_floor_f64_e32 v[8:9], v[8:9]
	s_delay_alu instid0(VALU_DEP_1) | instskip(SKIP_1) | instid1(VALU_DEP_2)
	v_fmamk_f64 v[10:11], v[8:9], 0xc1f00000, v[6:7]
	v_cvt_i32_f64_e32 v7, v[8:9]
	v_cvt_u32_f64_e32 v6, v[10:11]
	s_branch .LBB47_127
.LBB47_125:
	s_mov_b32 s27, -1
                                        ; implicit-def: $vgpr6_vgpr7
	s_branch .LBB47_130
.LBB47_126:
	s_mov_b32 s27, -1
                                        ; implicit-def: $vgpr6_vgpr7
.LBB47_127:
	s_delay_alu instid0(SALU_CYCLE_1)
	s_and_not1_b32 vcc_lo, exec_lo, s27
	s_cbranch_vccnz .LBB47_129
; %bb.128:
	global_load_b32 v1, v[4:5], off
	s_wait_loadcnt 0x0
	v_trunc_f32_e32 v1, v1
	s_delay_alu instid0(VALU_DEP_1) | instskip(SKIP_1) | instid1(VALU_DEP_2)
	v_mul_f32_e64 v3, 0x2f800000, |v1|
	v_ashrrev_i32_e32 v6, 31, v1
	v_floor_f32_e32 v3, v3
	s_delay_alu instid0(VALU_DEP_1) | instskip(SKIP_1) | instid1(VALU_DEP_2)
	v_fma_f32 v7, 0xcf800000, v3, |v1|
	v_cvt_u32_f32_e32 v1, v3
	v_cvt_u32_f32_e32 v3, v7
	s_delay_alu instid0(VALU_DEP_2) | instskip(NEXT) | instid1(VALU_DEP_2)
	v_dual_mov_b32 v7, v6 :: v_dual_bitop2_b32 v9, v1, v6 bitop3:0x14
	v_xor_b32_e32 v8, v3, v6
	s_delay_alu instid0(VALU_DEP_1)
	v_sub_nc_u64_e32 v[6:7], v[8:9], v[6:7]
.LBB47_129:
	s_mov_b32 s27, 0
.LBB47_130:
	s_delay_alu instid0(SALU_CYCLE_1)
	s_and_not1_b32 vcc_lo, exec_lo, s27
	s_cbranch_vccnz .LBB47_132
; %bb.131:
	global_load_u16 v1, v[4:5], off
	s_wait_loadcnt 0x0
	v_cvt_f32_f16_e32 v1, v1
	s_delay_alu instid0(VALU_DEP_1) | instskip(NEXT) | instid1(VALU_DEP_1)
	v_cvt_i32_f32_e32 v6, v1
	v_ashrrev_i32_e32 v7, 31, v6
.LBB47_132:
	s_cbranch_execnz .LBB47_152
.LBB47_133:
	s_cmp_lt_i32 s0, 2
	s_cbranch_scc1 .LBB47_137
; %bb.134:
	s_cmp_lt_i32 s0, 3
	s_cbranch_scc1 .LBB47_138
; %bb.135:
	s_cmp_gt_i32 s0, 3
	s_cbranch_scc0 .LBB47_139
; %bb.136:
	s_wait_loadcnt 0x0
	global_load_b64 v[6:7], v[4:5], off
	s_mov_b32 s27, 0
	s_branch .LBB47_140
.LBB47_137:
	s_mov_b32 s27, -1
                                        ; implicit-def: $vgpr6_vgpr7
	s_branch .LBB47_146
.LBB47_138:
	s_mov_b32 s27, -1
                                        ; implicit-def: $vgpr6_vgpr7
	s_branch .LBB47_143
.LBB47_139:
	s_mov_b32 s27, -1
                                        ; implicit-def: $vgpr6_vgpr7
.LBB47_140:
	s_delay_alu instid0(SALU_CYCLE_1)
	s_and_not1_b32 vcc_lo, exec_lo, s27
	s_cbranch_vccnz .LBB47_142
; %bb.141:
	s_wait_loadcnt 0x0
	global_load_b32 v6, v[4:5], off
	s_wait_loadcnt 0x0
	v_ashrrev_i32_e32 v7, 31, v6
.LBB47_142:
	s_mov_b32 s27, 0
.LBB47_143:
	s_delay_alu instid0(SALU_CYCLE_1)
	s_and_not1_b32 vcc_lo, exec_lo, s27
	s_cbranch_vccnz .LBB47_145
; %bb.144:
	global_load_u16 v1, v[4:5], off
	s_wait_loadcnt 0x0
	v_bfe_i32 v6, v1, 0, 16
	s_delay_alu instid0(VALU_DEP_1)
	v_ashrrev_i32_e32 v7, 31, v6
.LBB47_145:
	s_mov_b32 s27, 0
.LBB47_146:
	s_delay_alu instid0(SALU_CYCLE_1)
	s_and_not1_b32 vcc_lo, exec_lo, s27
	s_cbranch_vccnz .LBB47_152
; %bb.147:
	s_cmp_gt_i32 s0, 0
	s_mov_b32 s0, 0
	s_cbranch_scc0 .LBB47_149
; %bb.148:
	global_load_i8 v1, v[4:5], off
	s_wait_loadcnt 0x0
	v_bfe_i32 v6, v1, 0, 16
	s_delay_alu instid0(VALU_DEP_1)
	v_ashrrev_i32_e32 v7, 31, v6
	s_branch .LBB47_150
.LBB47_149:
	s_mov_b32 s0, -1
                                        ; implicit-def: $vgpr6_vgpr7
.LBB47_150:
	s_delay_alu instid0(SALU_CYCLE_1)
	s_and_not1_b32 vcc_lo, exec_lo, s0
	s_cbranch_vccnz .LBB47_152
; %bb.151:
	global_load_u8 v1, v[4:5], off
	s_mov_b32 s0, 0
	s_wait_loadcnt 0x1
	v_mov_b32_e32 v7, s0
	s_wait_loadcnt 0x0
	v_and_b32_e32 v6, 0xffff, v1
.LBB47_152:
	s_branch .LBB47_26
.LBB47_153:
	s_mov_b32 s27, 0
	s_mov_b32 s28, 0
	;; [unrolled: 1-line block ×3, first 2 shown]
                                        ; implicit-def: $vgpr0
	s_branch .LBB47_235
.LBB47_154:
	s_mov_b32 s31, -1
	s_mov_b32 s30, 0
.LBB47_155:
	s_and_b32 vcc_lo, exec_lo, s31
	s_cbranch_vccz .LBB47_158
; %bb.156:
	s_cmp_eq_u32 s29, 44
	s_mov_b32 s27, -1
	s_cbranch_scc0 .LBB47_158
; %bb.157:
	s_wait_xcnt 0x0
	v_mov_b32_e32 v1, 0
	s_mov_b32 s30, -1
	s_mov_b32 s27, 0
	s_mov_b32 s31, 0
	global_store_b8 v[2:3], v1, off
	s_branch .LBB47_159
.LBB47_158:
	s_mov_b32 s31, 0
.LBB47_159:
	s_delay_alu instid0(SALU_CYCLE_1)
	s_and_b32 vcc_lo, exec_lo, s31
	s_cbranch_vccz .LBB47_162
; %bb.160:
	s_cmp_eq_u32 s29, 29
	s_mov_b32 s27, -1
	s_cbranch_scc0 .LBB47_162
; %bb.161:
	v_mov_b64_e32 v[4:5], 0
	s_mov_b32 s30, -1
	s_mov_b32 s27, 0
	s_mov_b32 s31, 0
	global_store_b64 v[2:3], v[4:5], off
	s_branch .LBB47_163
.LBB47_162:
	s_mov_b32 s31, 0
.LBB47_163:
	s_delay_alu instid0(SALU_CYCLE_1)
	s_and_b32 vcc_lo, exec_lo, s31
	s_cbranch_vccz .LBB47_173
; %bb.164:
	s_cmp_lt_i32 s29, 27
	s_mov_b32 s30, -1
	s_cbranch_scc1 .LBB47_170
; %bb.165:
	s_cmp_gt_i32 s29, 27
	s_cbranch_scc0 .LBB47_167
; %bb.166:
	s_wait_xcnt 0x0
	v_mov_b32_e32 v1, 0
	s_mov_b32 s30, 0
	global_store_b32 v[2:3], v1, off
.LBB47_167:
	s_and_not1_b32 vcc_lo, exec_lo, s30
	s_cbranch_vccnz .LBB47_169
; %bb.168:
	s_wait_xcnt 0x0
	v_mov_b32_e32 v1, 0
	global_store_b16 v[2:3], v1, off
.LBB47_169:
	s_mov_b32 s30, 0
.LBB47_170:
	s_delay_alu instid0(SALU_CYCLE_1)
	s_and_not1_b32 vcc_lo, exec_lo, s30
	s_cbranch_vccnz .LBB47_172
; %bb.171:
	s_wait_xcnt 0x0
	v_mov_b32_e32 v1, 0
	global_store_b8 v[2:3], v1, off
.LBB47_172:
	s_mov_b32 s30, -1
.LBB47_173:
	s_mov_b32 s31, 0
.LBB47_174:
	s_delay_alu instid0(SALU_CYCLE_1)
	s_and_b32 vcc_lo, exec_lo, s31
	s_cbranch_vccz .LBB47_193
; %bb.175:
	s_cmp_gt_i32 s29, 22
	s_mov_b32 s31, -1
	s_cbranch_scc0 .LBB47_185
; %bb.176:
	s_cmp_lt_i32 s29, 24
	s_mov_b32 s30, -1
	s_cbranch_scc1 .LBB47_182
; %bb.177:
	s_cmp_gt_i32 s29, 24
	s_cbranch_scc0 .LBB47_179
; %bb.178:
	s_wait_xcnt 0x0
	v_mov_b32_e32 v1, 0
	s_mov_b32 s30, 0
	global_store_b8 v[2:3], v1, off
.LBB47_179:
	s_and_not1_b32 vcc_lo, exec_lo, s30
	s_cbranch_vccnz .LBB47_181
; %bb.180:
	s_wait_xcnt 0x0
	v_mov_b32_e32 v1, 0
	global_store_b8 v[2:3], v1, off
.LBB47_181:
	s_mov_b32 s30, 0
.LBB47_182:
	s_delay_alu instid0(SALU_CYCLE_1)
	s_and_not1_b32 vcc_lo, exec_lo, s30
	s_cbranch_vccnz .LBB47_184
; %bb.183:
	s_wait_xcnt 0x0
	v_mov_b32_e32 v1, 0
	global_store_b8 v[2:3], v1, off
.LBB47_184:
	s_mov_b32 s31, 0
	s_mov_b32 s30, -1
.LBB47_185:
	s_and_not1_b32 vcc_lo, exec_lo, s31
	s_cbranch_vccnz .LBB47_193
; %bb.186:
	s_cmp_gt_i32 s29, 14
	s_mov_b32 s31, -1
	s_cbranch_scc0 .LBB47_190
; %bb.187:
	s_cmp_eq_u32 s29, 15
	s_mov_b32 s27, -1
	s_cbranch_scc0 .LBB47_189
; %bb.188:
	s_wait_xcnt 0x0
	v_mov_b32_e32 v1, 0
	s_mov_b32 s30, -1
	s_mov_b32 s27, 0
	global_store_b16 v[2:3], v1, off
.LBB47_189:
	s_mov_b32 s31, 0
.LBB47_190:
	s_delay_alu instid0(SALU_CYCLE_1)
	s_and_b32 vcc_lo, exec_lo, s31
	s_cbranch_vccz .LBB47_193
; %bb.191:
	s_cmp_eq_u32 s29, 11
	s_mov_b32 s27, -1
	s_cbranch_scc0 .LBB47_193
; %bb.192:
	s_wait_xcnt 0x0
	v_mov_b32_e32 v1, 0
	s_mov_b32 s30, -1
	s_mov_b32 s27, 0
	global_store_b8 v[2:3], v1, off
.LBB47_193:
	s_branch .LBB47_36
.LBB47_194:
	s_and_b32 s28, 0xffff, s28
	s_mov_b32 s29, -1
	s_cmp_lt_i32 s28, 5
	s_cbranch_scc1 .LBB47_215
; %bb.195:
	s_cmp_lt_i32 s28, 8
	s_cbranch_scc1 .LBB47_205
; %bb.196:
	;; [unrolled: 3-line block ×3, first 2 shown]
	s_cmp_gt_i32 s28, 9
	s_cbranch_scc0 .LBB47_199
; %bb.198:
	s_wait_xcnt 0x0
	v_mov_b32_e32 v4, 0
	s_mov_b32 s29, 0
	s_delay_alu instid0(VALU_DEP_1)
	v_dual_mov_b32 v5, v4 :: v_dual_mov_b32 v6, v4
	v_mov_b32_e32 v7, v4
	global_store_b128 v[2:3], v[4:7], off
.LBB47_199:
	s_and_not1_b32 vcc_lo, exec_lo, s29
	s_cbranch_vccnz .LBB47_201
; %bb.200:
	s_wait_xcnt 0x0
	v_mov_b64_e32 v[4:5], 0
	global_store_b64 v[2:3], v[4:5], off
.LBB47_201:
	s_mov_b32 s29, 0
.LBB47_202:
	s_delay_alu instid0(SALU_CYCLE_1)
	s_and_not1_b32 vcc_lo, exec_lo, s29
	s_cbranch_vccnz .LBB47_204
; %bb.203:
	s_wait_xcnt 0x0
	v_mov_b32_e32 v1, 0
	global_store_b32 v[2:3], v1, off
.LBB47_204:
	s_mov_b32 s29, 0
.LBB47_205:
	s_delay_alu instid0(SALU_CYCLE_1)
	s_and_not1_b32 vcc_lo, exec_lo, s29
	s_cbranch_vccnz .LBB47_214
; %bb.206:
	s_cmp_lt_i32 s28, 6
	s_mov_b32 s29, -1
	s_cbranch_scc1 .LBB47_212
; %bb.207:
	s_cmp_gt_i32 s28, 6
	s_cbranch_scc0 .LBB47_209
; %bb.208:
	s_wait_xcnt 0x0
	v_mov_b64_e32 v[4:5], 0
	s_mov_b32 s29, 0
	global_store_b64 v[2:3], v[4:5], off
.LBB47_209:
	s_and_not1_b32 vcc_lo, exec_lo, s29
	s_cbranch_vccnz .LBB47_211
; %bb.210:
	s_wait_xcnt 0x0
	v_mov_b32_e32 v1, 0
	global_store_b32 v[2:3], v1, off
.LBB47_211:
	s_mov_b32 s29, 0
.LBB47_212:
	s_delay_alu instid0(SALU_CYCLE_1)
	s_and_not1_b32 vcc_lo, exec_lo, s29
	s_cbranch_vccnz .LBB47_214
; %bb.213:
	s_wait_xcnt 0x0
	v_mov_b32_e32 v1, 0
	global_store_b16 v[2:3], v1, off
.LBB47_214:
	s_mov_b32 s29, 0
.LBB47_215:
	s_delay_alu instid0(SALU_CYCLE_1)
	s_and_not1_b32 vcc_lo, exec_lo, s29
	s_cbranch_vccnz .LBB47_231
; %bb.216:
	s_cmp_lt_i32 s28, 2
	s_mov_b32 s29, -1
	s_cbranch_scc1 .LBB47_226
; %bb.217:
	s_cmp_lt_i32 s28, 3
	s_cbranch_scc1 .LBB47_223
; %bb.218:
	s_cmp_gt_i32 s28, 3
	s_cbranch_scc0 .LBB47_220
; %bb.219:
	s_wait_xcnt 0x0
	v_mov_b64_e32 v[4:5], 0
	s_mov_b32 s29, 0
	global_store_b64 v[2:3], v[4:5], off
.LBB47_220:
	s_and_not1_b32 vcc_lo, exec_lo, s29
	s_cbranch_vccnz .LBB47_222
; %bb.221:
	s_wait_xcnt 0x0
	v_mov_b32_e32 v1, 0
	global_store_b32 v[2:3], v1, off
.LBB47_222:
	s_mov_b32 s29, 0
.LBB47_223:
	s_delay_alu instid0(SALU_CYCLE_1)
	s_and_not1_b32 vcc_lo, exec_lo, s29
	s_cbranch_vccnz .LBB47_225
; %bb.224:
	s_wait_xcnt 0x0
	v_mov_b32_e32 v1, 0
	global_store_b16 v[2:3], v1, off
.LBB47_225:
	s_mov_b32 s29, 0
.LBB47_226:
	s_delay_alu instid0(SALU_CYCLE_1)
	s_and_not1_b32 vcc_lo, exec_lo, s29
	s_cbranch_vccnz .LBB47_231
; %bb.227:
	s_cmp_gt_i32 s28, 0
	s_mov_b32 s28, -1
	s_cbranch_scc0 .LBB47_229
; %bb.228:
	s_wait_xcnt 0x0
	v_mov_b32_e32 v1, 0
	s_mov_b32 s28, 0
	global_store_b8 v[2:3], v1, off
.LBB47_229:
	s_and_not1_b32 vcc_lo, exec_lo, s28
	s_cbranch_vccnz .LBB47_231
; %bb.230:
	s_wait_xcnt 0x0
	v_mov_b32_e32 v1, 0
	global_store_b8 v[2:3], v1, off
.LBB47_231:
	s_branch .LBB47_37
.LBB47_232:
	s_mov_b32 s30, 0
                                        ; implicit-def: $vgpr0
.LBB47_233:
	s_and_b32 s29, s27, exec_lo
	s_xor_b32 s28, exec_lo, -1
	s_and_b32 s27, s30, exec_lo
.LBB47_234:
	s_wait_xcnt 0x0
	s_or_b32 exec_lo, exec_lo, s0
.LBB47_235:
	s_delay_alu instid0(SALU_CYCLE_1)
	s_and_b32 s44, s29, exec_lo
	s_and_b32 s45, s28, exec_lo
	;; [unrolled: 1-line block ×3, first 2 shown]
	s_or_not1_b32 s26, s27, exec_lo
.LBB47_236:
	s_wait_xcnt 0x0
	s_or_b32 exec_lo, exec_lo, s47
	s_mov_b32 s27, 0
	s_mov_b32 s0, 0
                                        ; implicit-def: $vgpr4_vgpr5
                                        ; implicit-def: $vgpr2
                                        ; implicit-def: $vgpr6_vgpr7
	s_and_saveexec_b32 s47, s26
	s_cbranch_execz .LBB47_244
; %bb.237:
	s_mov_b32 s0, -1
	s_mov_b32 s48, s46
	s_mov_b32 s50, s45
	;; [unrolled: 1-line block ×3, first 2 shown]
	s_mov_b32 s51, exec_lo
	v_cmpx_gt_i32_e64 s41, v0
	s_cbranch_execz .LBB47_479
; %bb.238:
	s_and_not1_b32 vcc_lo, exec_lo, s36
	s_cbranch_vccnz .LBB47_247
; %bb.239:
	s_and_not1_b32 vcc_lo, exec_lo, s43
	s_cbranch_vccnz .LBB47_248
; %bb.240:
	s_add_co_i32 s0, s42, 1
	s_cmp_eq_u32 s34, 2
	s_cbranch_scc1 .LBB47_249
; %bb.241:
	v_dual_mov_b32 v2, 0 :: v_dual_mov_b32 v4, 0
	v_mov_b32_e32 v1, v0
	s_and_b32 s26, s0, 28
	s_mov_b64 s[28:29], s[2:3]
	s_mov_b64 s[30:31], s[24:25]
.LBB47_242:                             ; =>This Inner Loop Header: Depth=1
	s_clause 0x1
	s_load_b256 s[52:59], s[28:29], 0x4
	s_load_b128 s[68:71], s[28:29], 0x24
	s_load_b256 s[60:67], s[30:31], 0x0
	s_add_co_i32 s27, s27, 4
	s_wait_xcnt 0x0
	s_add_nc_u64 s[28:29], s[28:29], 48
	s_cmp_eq_u32 s26, s27
	s_add_nc_u64 s[30:31], s[30:31], 32
	s_wait_kmcnt 0x0
	v_mul_hi_u32 v3, s53, v1
	s_delay_alu instid0(VALU_DEP_1) | instskip(NEXT) | instid1(VALU_DEP_1)
	v_add_nc_u32_e32 v3, v1, v3
	v_lshrrev_b32_e32 v3, s54, v3
	s_delay_alu instid0(VALU_DEP_1) | instskip(NEXT) | instid1(VALU_DEP_1)
	v_mul_hi_u32 v5, s56, v3
	v_add_nc_u32_e32 v5, v3, v5
	s_delay_alu instid0(VALU_DEP_1) | instskip(SKIP_1) | instid1(VALU_DEP_1)
	v_lshrrev_b32_e32 v5, s57, v5
	s_wait_loadcnt 0x0
	v_mul_hi_u32 v6, s59, v5
	s_delay_alu instid0(VALU_DEP_1) | instskip(SKIP_1) | instid1(VALU_DEP_1)
	v_add_nc_u32_e32 v6, v5, v6
	v_mul_lo_u32 v7, v3, s52
	v_sub_nc_u32_e32 v1, v1, v7
	v_mul_lo_u32 v7, v5, s55
	s_delay_alu instid0(VALU_DEP_4) | instskip(NEXT) | instid1(VALU_DEP_3)
	v_lshrrev_b32_e32 v6, s68, v6
	v_mad_u32 v4, v1, s61, v4
	v_mad_u32 v1, v1, s60, v2
	s_delay_alu instid0(VALU_DEP_4) | instskip(NEXT) | instid1(VALU_DEP_4)
	v_sub_nc_u32_e32 v2, v3, v7
	v_mul_hi_u32 v8, s70, v6
	v_mul_lo_u32 v3, v6, s58
	s_delay_alu instid0(VALU_DEP_3) | instskip(SKIP_1) | instid1(VALU_DEP_3)
	v_mad_u32 v4, v2, s63, v4
	v_mad_u32 v2, v2, s62, v1
	v_dual_add_nc_u32 v7, v6, v8 :: v_dual_sub_nc_u32 v3, v5, v3
	s_delay_alu instid0(VALU_DEP_1) | instskip(NEXT) | instid1(VALU_DEP_2)
	v_lshrrev_b32_e32 v1, s71, v7
	v_mad_u32 v4, v3, s65, v4
	s_delay_alu instid0(VALU_DEP_4) | instskip(NEXT) | instid1(VALU_DEP_3)
	v_mad_u32 v2, v3, s64, v2
	v_mul_lo_u32 v5, v1, s69
	s_delay_alu instid0(VALU_DEP_1) | instskip(NEXT) | instid1(VALU_DEP_1)
	v_sub_nc_u32_e32 v3, v6, v5
	v_mad_u32 v4, v3, s67, v4
	s_delay_alu instid0(VALU_DEP_4)
	v_mad_u32 v2, v3, s66, v2
	s_cbranch_scc0 .LBB47_242
; %bb.243:
	s_delay_alu instid0(VALU_DEP_2)
	v_mov_b32_e32 v3, v4
	s_branch .LBB47_250
.LBB47_244:
	s_or_b32 exec_lo, exec_lo, s47
	s_mov_b32 s1, 0
	s_and_saveexec_b32 s6, s46
	s_cbranch_execnz .LBB47_817
.LBB47_245:
	s_or_b32 exec_lo, exec_lo, s6
	s_and_saveexec_b32 s6, s21
	s_delay_alu instid0(SALU_CYCLE_1)
	s_xor_b32 s6, exec_lo, s6
	s_cbranch_execz .LBB47_818
.LBB47_246:
	global_load_u8 v0, v[4:5], off
	s_mov_b32 s7, 0
	s_or_b32 s0, s0, exec_lo
	s_wait_loadcnt 0x1
	v_mov_b32_e32 v7, s7
	s_wait_loadcnt 0x0
	v_cmp_ne_u16_e32 vcc_lo, 0, v0
	v_cndmask_b32_e64 v6, 0, 1, vcc_lo
	s_wait_xcnt 0x0
	s_or_b32 exec_lo, exec_lo, s6
	s_and_saveexec_b32 s6, s27
	s_cbranch_execz .LBB47_864
	s_branch .LBB47_819
.LBB47_247:
                                        ; implicit-def: $vgpr4
                                        ; implicit-def: $vgpr2
	s_and_not1_b32 vcc_lo, exec_lo, s0
	s_cbranch_vccnz .LBB47_257
	s_branch .LBB47_255
.LBB47_248:
	v_dual_mov_b32 v4, 0 :: v_dual_mov_b32 v2, 0
	s_branch .LBB47_254
.LBB47_249:
	v_mov_b64_e32 v[2:3], 0
	v_mov_b32_e32 v1, v0
	s_mov_b32 s26, 0
                                        ; implicit-def: $vgpr4
.LBB47_250:
	s_and_b32 s0, s0, 3
	s_mov_b32 s27, 0
	s_cmp_eq_u32 s0, 0
	s_cbranch_scc1 .LBB47_254
; %bb.251:
	s_lshl_b32 s28, s26, 3
	s_mov_b32 s29, s27
	s_mul_u64 s[30:31], s[26:27], 12
	s_add_nc_u64 s[28:29], s[2:3], s[28:29]
	s_delay_alu instid0(SALU_CYCLE_1)
	s_add_nc_u64 s[26:27], s[28:29], 0xc4
	s_add_nc_u64 s[28:29], s[2:3], s[30:31]
.LBB47_252:                             ; =>This Inner Loop Header: Depth=1
	s_load_b96 s[48:50], s[28:29], 0x4
	s_load_b64 s[30:31], s[26:27], 0x0
	s_add_co_i32 s0, s0, -1
	s_wait_xcnt 0x0
	s_add_nc_u64 s[28:29], s[28:29], 12
	s_cmp_lg_u32 s0, 0
	s_add_nc_u64 s[26:27], s[26:27], 8
	s_wait_kmcnt 0x0
	v_mul_hi_u32 v4, s49, v1
	s_delay_alu instid0(VALU_DEP_1) | instskip(NEXT) | instid1(VALU_DEP_1)
	v_add_nc_u32_e32 v4, v1, v4
	v_lshrrev_b32_e32 v4, s50, v4
	s_delay_alu instid0(VALU_DEP_1) | instskip(NEXT) | instid1(VALU_DEP_1)
	v_mul_lo_u32 v5, v4, s48
	v_sub_nc_u32_e32 v1, v1, v5
	s_delay_alu instid0(VALU_DEP_1)
	v_mad_u32 v3, v1, s31, v3
	v_mad_u32 v2, v1, s30, v2
	v_mov_b32_e32 v1, v4
	s_cbranch_scc1 .LBB47_252
; %bb.253:
	s_delay_alu instid0(VALU_DEP_3)
	v_mov_b32_e32 v4, v3
.LBB47_254:
	s_cbranch_execnz .LBB47_257
.LBB47_255:
	v_mov_b32_e32 v1, 0
	s_and_not1_b32 vcc_lo, exec_lo, s40
	s_delay_alu instid0(VALU_DEP_1) | instskip(NEXT) | instid1(VALU_DEP_1)
	v_mul_u64_e32 v[2:3], s[20:21], v[0:1]
	v_add_nc_u32_e32 v2, v0, v3
	s_wait_loadcnt 0x0
	s_delay_alu instid0(VALU_DEP_1) | instskip(NEXT) | instid1(VALU_DEP_1)
	v_lshrrev_b32_e32 v6, s14, v2
	v_mul_lo_u32 v2, v6, s12
	s_delay_alu instid0(VALU_DEP_1) | instskip(NEXT) | instid1(VALU_DEP_1)
	v_sub_nc_u32_e32 v2, v0, v2
	v_mul_lo_u32 v4, v2, s17
	v_mul_lo_u32 v2, v2, s16
	s_cbranch_vccnz .LBB47_257
; %bb.256:
	v_mov_b32_e32 v7, v1
	s_delay_alu instid0(VALU_DEP_1) | instskip(NEXT) | instid1(VALU_DEP_1)
	v_mul_u64_e32 v[8:9], s[22:23], v[6:7]
	v_add_nc_u32_e32 v1, v6, v9
	s_delay_alu instid0(VALU_DEP_1) | instskip(NEXT) | instid1(VALU_DEP_1)
	v_lshrrev_b32_e32 v1, s1, v1
	v_mul_lo_u32 v1, v1, s15
	s_delay_alu instid0(VALU_DEP_1) | instskip(NEXT) | instid1(VALU_DEP_1)
	v_sub_nc_u32_e32 v1, v6, v1
	v_mad_u32 v2, v1, s18, v2
	v_mad_u32 v4, v1, s19, v4
.LBB47_257:
	v_mov_b32_e32 v5, 0
	s_and_b32 s0, 0xffff, s39
	s_delay_alu instid0(SALU_CYCLE_1) | instskip(NEXT) | instid1(VALU_DEP_1)
	s_cmp_lt_i32 s0, 11
	v_add_nc_u64_e32 v[4:5], s[6:7], v[4:5]
	s_cbranch_scc1 .LBB47_264
; %bb.258:
	s_cmp_gt_i32 s0, 25
	s_cbranch_scc0 .LBB47_274
; %bb.259:
	s_cmp_gt_i32 s0, 28
	s_cbranch_scc0 .LBB47_276
	;; [unrolled: 3-line block ×4, first 2 shown]
; %bb.262:
	s_cmp_eq_u32 s0, 46
	s_mov_b32 s28, 0
	s_cbranch_scc0 .LBB47_282
; %bb.263:
	global_load_b32 v1, v[4:5], off
	s_mov_b32 s27, -1
	s_mov_b32 s26, 0
	s_wait_loadcnt 0x0
	v_lshlrev_b32_e32 v1, 16, v1
	s_delay_alu instid0(VALU_DEP_1) | instskip(NEXT) | instid1(VALU_DEP_1)
	v_trunc_f32_e32 v1, v1
	v_mul_f32_e64 v3, 0x2f800000, |v1|
	v_ashrrev_i32_e32 v6, 31, v1
	s_delay_alu instid0(VALU_DEP_2) | instskip(NEXT) | instid1(VALU_DEP_1)
	v_floor_f32_e32 v3, v3
	v_fma_f32 v7, 0xcf800000, v3, |v1|
	v_cvt_u32_f32_e32 v1, v3
	s_delay_alu instid0(VALU_DEP_2) | instskip(NEXT) | instid1(VALU_DEP_2)
	v_cvt_u32_f32_e32 v3, v7
	v_dual_mov_b32 v7, v6 :: v_dual_bitop2_b32 v9, v1, v6 bitop3:0x14
	s_delay_alu instid0(VALU_DEP_2) | instskip(NEXT) | instid1(VALU_DEP_1)
	v_xor_b32_e32 v8, v3, v6
	v_sub_nc_u64_e32 v[6:7], v[8:9], v[6:7]
	s_branch .LBB47_284
.LBB47_264:
	s_mov_b32 s27, 0
	s_mov_b32 s26, s46
                                        ; implicit-def: $vgpr6_vgpr7
	s_cbranch_execnz .LBB47_345
.LBB47_265:
	s_and_not1_b32 vcc_lo, exec_lo, s27
	s_cbranch_vccnz .LBB47_393
.LBB47_266:
	s_wait_loadcnt 0x0
	s_delay_alu instid0(VALU_DEP_1)
	v_cmp_le_i64_e32 vcc_lo, s[8:9], v[6:7]
	v_cmp_gt_i64_e64 s0, s[10:11], v[6:7]
	s_mov_b32 s27, 0
	s_mov_b32 s28, -1
	s_mov_b32 s29, s44
	s_and_b32 s0, vcc_lo, s0
	s_delay_alu instid0(SALU_CYCLE_1)
	s_and_b32 s30, s13, s0
	s_wait_xcnt 0x0
	s_and_saveexec_b32 s0, s30
	s_cbranch_execz .LBB47_477
; %bb.267:
	v_mov_b32_e32 v3, 0
	s_and_b32 s28, s38, 0xff
	s_delay_alu instid0(SALU_CYCLE_1) | instskip(NEXT) | instid1(VALU_DEP_1)
	s_cmp_lt_i32 s28, 11
	v_add_nc_u64_e32 v[2:3], s[4:5], v[2:3]
	s_cbranch_scc1 .LBB47_275
; %bb.268:
	s_and_b32 s29, 0xffff, s28
	s_delay_alu instid0(SALU_CYCLE_1)
	s_cmp_gt_i32 s29, 25
	s_cbranch_scc0 .LBB47_277
; %bb.269:
	s_cmp_gt_i32 s29, 28
	s_cbranch_scc0 .LBB47_279
; %bb.270:
	;; [unrolled: 3-line block ×4, first 2 shown]
	s_mov_b32 s31, 0
	s_mov_b32 s27, -1
	s_cmp_eq_u32 s29, 46
	s_mov_b32 s30, 0
	s_cbranch_scc0 .LBB47_395
; %bb.273:
	v_mov_b32_e32 v1, 0
	s_mov_b32 s30, -1
	s_mov_b32 s27, 0
	global_store_b32 v[2:3], v1, off
	s_branch .LBB47_395
.LBB47_274:
	s_mov_b32 s28, -1
	s_mov_b32 s27, 0
	s_mov_b32 s26, s46
                                        ; implicit-def: $vgpr6_vgpr7
	s_branch .LBB47_311
.LBB47_275:
	s_mov_b32 s29, -1
	s_mov_b32 s30, 0
	s_mov_b32 s27, s44
	s_branch .LBB47_434
.LBB47_276:
	s_mov_b32 s28, -1
	s_mov_b32 s27, 0
	s_mov_b32 s26, s46
                                        ; implicit-def: $vgpr6_vgpr7
	s_branch .LBB47_294
.LBB47_277:
	s_mov_b32 s31, -1
	s_mov_b32 s30, 0
	s_mov_b32 s27, s44
	s_branch .LBB47_414
.LBB47_278:
	s_mov_b32 s28, -1
	s_mov_b32 s27, 0
	s_mov_b32 s26, s46
                                        ; implicit-def: $vgpr6_vgpr7
	s_branch .LBB47_289
.LBB47_279:
	s_mov_b32 s31, -1
	s_mov_b32 s30, 0
	s_mov_b32 s27, s44
	s_branch .LBB47_403
.LBB47_280:
	s_mov_b32 s28, -1
	s_mov_b32 s27, 0
	s_mov_b32 s26, s46
	s_branch .LBB47_283
.LBB47_281:
	s_mov_b32 s31, -1
	s_mov_b32 s30, 0
	s_mov_b32 s27, s44
	s_branch .LBB47_399
.LBB47_282:
	s_mov_b32 s26, -1
	s_mov_b32 s27, 0
.LBB47_283:
                                        ; implicit-def: $vgpr6_vgpr7
.LBB47_284:
	s_and_b32 vcc_lo, exec_lo, s28
	s_cbranch_vccz .LBB47_288
; %bb.285:
	s_cmp_eq_u32 s0, 44
	s_cbranch_scc0 .LBB47_287
; %bb.286:
	global_load_u8 v1, v[4:5], off
	s_mov_b32 s26, 0
	s_mov_b32 s27, -1
	s_wait_loadcnt 0x0
	v_lshlrev_b32_e32 v3, 23, v1
	v_cmp_ne_u32_e32 vcc_lo, 0, v1
	s_delay_alu instid0(VALU_DEP_2) | instskip(NEXT) | instid1(VALU_DEP_1)
	v_trunc_f32_e32 v3, v3
	v_mul_f32_e64 v6, 0x2f800000, |v3|
	s_delay_alu instid0(VALU_DEP_1) | instskip(SKIP_1) | instid1(VALU_DEP_2)
	v_floor_f32_e32 v7, v6
	v_ashrrev_i32_e32 v6, 31, v3
	v_fma_f32 v8, 0xcf800000, v7, |v3|
	v_cvt_u32_f32_e32 v3, v7
	s_delay_alu instid0(VALU_DEP_3) | instskip(NEXT) | instid1(VALU_DEP_3)
	v_mov_b32_e32 v7, v6
	v_cvt_u32_f32_e32 v8, v8
	s_delay_alu instid0(VALU_DEP_3) | instskip(NEXT) | instid1(VALU_DEP_2)
	v_xor_b32_e32 v9, v3, v6
	v_xor_b32_e32 v8, v8, v6
	s_delay_alu instid0(VALU_DEP_1) | instskip(NEXT) | instid1(VALU_DEP_1)
	v_sub_nc_u64_e32 v[6:7], v[8:9], v[6:7]
	v_dual_cndmask_b32 v7, 0, v7 :: v_dual_cndmask_b32 v6, 0, v6
	s_branch .LBB47_288
.LBB47_287:
	s_mov_b32 s26, -1
                                        ; implicit-def: $vgpr6_vgpr7
.LBB47_288:
	s_mov_b32 s28, 0
.LBB47_289:
	s_delay_alu instid0(SALU_CYCLE_1)
	s_and_b32 vcc_lo, exec_lo, s28
	s_cbranch_vccz .LBB47_293
; %bb.290:
	s_cmp_eq_u32 s0, 29
	s_cbranch_scc0 .LBB47_292
; %bb.291:
	s_wait_loadcnt 0x0
	global_load_b64 v[6:7], v[4:5], off
	s_mov_b32 s27, -1
	s_mov_b32 s26, 0
	s_branch .LBB47_293
.LBB47_292:
	s_mov_b32 s26, -1
                                        ; implicit-def: $vgpr6_vgpr7
.LBB47_293:
	s_mov_b32 s28, 0
.LBB47_294:
	s_delay_alu instid0(SALU_CYCLE_1)
	s_and_b32 vcc_lo, exec_lo, s28
	s_cbranch_vccz .LBB47_310
; %bb.295:
	s_cmp_lt_i32 s0, 27
	s_cbranch_scc1 .LBB47_298
; %bb.296:
	s_cmp_gt_i32 s0, 27
	s_cbranch_scc0 .LBB47_299
; %bb.297:
	s_wait_loadcnt 0x0
	global_load_b32 v6, v[4:5], off
	v_mov_b32_e32 v7, 0
	s_mov_b32 s27, 0
	s_branch .LBB47_300
.LBB47_298:
	s_mov_b32 s27, -1
                                        ; implicit-def: $vgpr6_vgpr7
	s_branch .LBB47_303
.LBB47_299:
	s_mov_b32 s27, -1
                                        ; implicit-def: $vgpr6_vgpr7
.LBB47_300:
	s_delay_alu instid0(SALU_CYCLE_1)
	s_and_not1_b32 vcc_lo, exec_lo, s27
	s_cbranch_vccnz .LBB47_302
; %bb.301:
	global_load_u16 v1, v[4:5], off
	s_mov_b32 s27, 0
	s_wait_loadcnt 0x1
	v_mov_b32_e32 v7, s27
	s_wait_loadcnt 0x0
	v_and_b32_e32 v6, 0xffff, v1
.LBB47_302:
	s_mov_b32 s27, 0
.LBB47_303:
	s_delay_alu instid0(SALU_CYCLE_1)
	s_and_not1_b32 vcc_lo, exec_lo, s27
	s_cbranch_vccnz .LBB47_309
; %bb.304:
	global_load_u8 v1, v[4:5], off
	s_mov_b32 s28, 0
	s_mov_b32 s27, exec_lo
	s_wait_loadcnt 0x0
	v_cmpx_lt_i16_e32 0x7f, v1
	s_xor_b32 s27, exec_lo, s27
	s_cbranch_execz .LBB47_321
; %bb.305:
	v_cmp_ne_u16_e32 vcc_lo, 0x80, v1
	s_and_b32 s28, vcc_lo, exec_lo
	s_and_not1_saveexec_b32 s27, s27
	s_cbranch_execnz .LBB47_322
.LBB47_306:
	s_or_b32 exec_lo, exec_lo, s27
	v_mov_b64_e32 v[6:7], 0
	s_and_saveexec_b32 s27, s28
	s_cbranch_execz .LBB47_308
.LBB47_307:
	v_and_b32_e32 v3, 0xffff, v1
	s_delay_alu instid0(VALU_DEP_1) | instskip(SKIP_1) | instid1(VALU_DEP_2)
	v_dual_lshlrev_b32 v1, 24, v1 :: v_dual_bitop2_b32 v6, 7, v3 bitop3:0x40
	v_bfe_u32 v9, v3, 3, 4
	v_and_b32_e32 v1, 0x80000000, v1
	s_delay_alu instid0(VALU_DEP_3) | instskip(NEXT) | instid1(VALU_DEP_3)
	v_clz_i32_u32_e32 v7, v6
	v_cmp_eq_u32_e32 vcc_lo, 0, v9
	s_delay_alu instid0(VALU_DEP_2) | instskip(NEXT) | instid1(VALU_DEP_1)
	v_min_u32_e32 v7, 32, v7
	v_subrev_nc_u32_e32 v8, 28, v7
	v_sub_nc_u32_e32 v7, 29, v7
	s_delay_alu instid0(VALU_DEP_2) | instskip(NEXT) | instid1(VALU_DEP_2)
	v_lshlrev_b32_e32 v3, v8, v3
	v_cndmask_b32_e32 v7, v9, v7, vcc_lo
	s_delay_alu instid0(VALU_DEP_2) | instskip(NEXT) | instid1(VALU_DEP_1)
	v_and_b32_e32 v3, 7, v3
	v_cndmask_b32_e32 v3, v6, v3, vcc_lo
	s_delay_alu instid0(VALU_DEP_3) | instskip(NEXT) | instid1(VALU_DEP_2)
	v_lshl_add_u32 v6, v7, 23, 0x3b800000
	v_lshlrev_b32_e32 v3, 20, v3
	s_delay_alu instid0(VALU_DEP_1) | instskip(NEXT) | instid1(VALU_DEP_1)
	v_or3_b32 v1, v1, v6, v3
	v_trunc_f32_e32 v1, v1
	s_delay_alu instid0(VALU_DEP_1) | instskip(SKIP_1) | instid1(VALU_DEP_2)
	v_mul_f32_e64 v3, 0x2f800000, |v1|
	v_ashrrev_i32_e32 v6, 31, v1
	v_floor_f32_e32 v3, v3
	s_delay_alu instid0(VALU_DEP_1) | instskip(SKIP_1) | instid1(VALU_DEP_2)
	v_fma_f32 v7, 0xcf800000, v3, |v1|
	v_cvt_u32_f32_e32 v1, v3
	v_cvt_u32_f32_e32 v3, v7
	s_delay_alu instid0(VALU_DEP_2) | instskip(NEXT) | instid1(VALU_DEP_2)
	v_dual_mov_b32 v7, v6 :: v_dual_bitop2_b32 v9, v1, v6 bitop3:0x14
	v_xor_b32_e32 v8, v3, v6
	s_delay_alu instid0(VALU_DEP_1)
	v_sub_nc_u64_e32 v[6:7], v[8:9], v[6:7]
.LBB47_308:
	s_or_b32 exec_lo, exec_lo, s27
.LBB47_309:
	s_mov_b32 s27, -1
.LBB47_310:
	s_mov_b32 s28, 0
.LBB47_311:
	s_delay_alu instid0(SALU_CYCLE_1)
	s_and_b32 vcc_lo, exec_lo, s28
	s_cbranch_vccz .LBB47_344
; %bb.312:
	s_cmp_gt_i32 s0, 22
	s_cbranch_scc0 .LBB47_320
; %bb.313:
	s_cmp_lt_i32 s0, 24
	s_cbranch_scc1 .LBB47_323
; %bb.314:
	s_cmp_gt_i32 s0, 24
	s_cbranch_scc0 .LBB47_324
; %bb.315:
	global_load_u8 v1, v[4:5], off
	s_mov_b32 s28, 0
	s_mov_b32 s27, exec_lo
	s_wait_loadcnt 0x0
	v_cmpx_lt_i16_e32 0x7f, v1
	s_xor_b32 s27, exec_lo, s27
	s_cbranch_execz .LBB47_336
; %bb.316:
	v_cmp_ne_u16_e32 vcc_lo, 0x80, v1
	s_and_b32 s28, vcc_lo, exec_lo
	s_and_not1_saveexec_b32 s27, s27
	s_cbranch_execnz .LBB47_337
.LBB47_317:
	s_or_b32 exec_lo, exec_lo, s27
	v_mov_b64_e32 v[6:7], 0
	s_and_saveexec_b32 s27, s28
	s_cbranch_execz .LBB47_319
.LBB47_318:
	v_and_b32_e32 v3, 0xffff, v1
	s_delay_alu instid0(VALU_DEP_1) | instskip(SKIP_1) | instid1(VALU_DEP_2)
	v_dual_lshlrev_b32 v1, 24, v1 :: v_dual_bitop2_b32 v6, 3, v3 bitop3:0x40
	v_bfe_u32 v9, v3, 2, 5
	v_and_b32_e32 v1, 0x80000000, v1
	s_delay_alu instid0(VALU_DEP_3) | instskip(NEXT) | instid1(VALU_DEP_3)
	v_clz_i32_u32_e32 v7, v6
	v_cmp_eq_u32_e32 vcc_lo, 0, v9
	s_delay_alu instid0(VALU_DEP_2) | instskip(NEXT) | instid1(VALU_DEP_1)
	v_min_u32_e32 v7, 32, v7
	v_subrev_nc_u32_e32 v8, 29, v7
	v_sub_nc_u32_e32 v7, 30, v7
	s_delay_alu instid0(VALU_DEP_2) | instskip(NEXT) | instid1(VALU_DEP_2)
	v_lshlrev_b32_e32 v3, v8, v3
	v_cndmask_b32_e32 v7, v9, v7, vcc_lo
	s_delay_alu instid0(VALU_DEP_2) | instskip(NEXT) | instid1(VALU_DEP_1)
	v_and_b32_e32 v3, 3, v3
	v_cndmask_b32_e32 v3, v6, v3, vcc_lo
	s_delay_alu instid0(VALU_DEP_3) | instskip(NEXT) | instid1(VALU_DEP_2)
	v_lshl_add_u32 v6, v7, 23, 0x37800000
	v_lshlrev_b32_e32 v3, 21, v3
	s_delay_alu instid0(VALU_DEP_1) | instskip(NEXT) | instid1(VALU_DEP_1)
	v_or3_b32 v1, v1, v6, v3
	v_trunc_f32_e32 v1, v1
	s_delay_alu instid0(VALU_DEP_1) | instskip(SKIP_1) | instid1(VALU_DEP_2)
	v_mul_f32_e64 v3, 0x2f800000, |v1|
	v_ashrrev_i32_e32 v6, 31, v1
	v_floor_f32_e32 v3, v3
	s_delay_alu instid0(VALU_DEP_1) | instskip(SKIP_1) | instid1(VALU_DEP_2)
	v_fma_f32 v7, 0xcf800000, v3, |v1|
	v_cvt_u32_f32_e32 v1, v3
	v_cvt_u32_f32_e32 v3, v7
	s_delay_alu instid0(VALU_DEP_2) | instskip(NEXT) | instid1(VALU_DEP_2)
	v_dual_mov_b32 v7, v6 :: v_dual_bitop2_b32 v9, v1, v6 bitop3:0x14
	v_xor_b32_e32 v8, v3, v6
	s_delay_alu instid0(VALU_DEP_1)
	v_sub_nc_u64_e32 v[6:7], v[8:9], v[6:7]
.LBB47_319:
	s_or_b32 exec_lo, exec_lo, s27
	s_mov_b32 s27, 0
	s_branch .LBB47_325
.LBB47_320:
	s_mov_b32 s28, -1
                                        ; implicit-def: $vgpr6_vgpr7
	s_branch .LBB47_331
.LBB47_321:
	s_and_not1_saveexec_b32 s27, s27
	s_cbranch_execz .LBB47_306
.LBB47_322:
	v_cmp_ne_u16_e32 vcc_lo, 0, v1
	s_and_not1_b32 s28, s28, exec_lo
	s_and_b32 s29, vcc_lo, exec_lo
	s_delay_alu instid0(SALU_CYCLE_1)
	s_or_b32 s28, s28, s29
	s_or_b32 exec_lo, exec_lo, s27
	v_mov_b64_e32 v[6:7], 0
	s_and_saveexec_b32 s27, s28
	s_cbranch_execnz .LBB47_307
	s_branch .LBB47_308
.LBB47_323:
	s_mov_b32 s27, -1
                                        ; implicit-def: $vgpr6_vgpr7
	s_branch .LBB47_328
.LBB47_324:
	s_mov_b32 s27, -1
                                        ; implicit-def: $vgpr6_vgpr7
.LBB47_325:
	s_delay_alu instid0(SALU_CYCLE_1)
	s_and_b32 vcc_lo, exec_lo, s27
	s_cbranch_vccz .LBB47_327
; %bb.326:
	global_load_u8 v1, v[4:5], off
	s_wait_loadcnt 0x0
	v_lshlrev_b32_e32 v1, 24, v1
	s_delay_alu instid0(VALU_DEP_1) | instskip(NEXT) | instid1(VALU_DEP_1)
	v_and_b32_e32 v3, 0x7f000000, v1
	v_clz_i32_u32_e32 v6, v3
	v_cmp_ne_u32_e32 vcc_lo, 0, v3
	v_add_nc_u32_e32 v8, 0x1000000, v3
	s_delay_alu instid0(VALU_DEP_3) | instskip(NEXT) | instid1(VALU_DEP_1)
	v_min_u32_e32 v6, 32, v6
	v_sub_nc_u32_e64 v6, v6, 4 clamp
	s_delay_alu instid0(VALU_DEP_1) | instskip(NEXT) | instid1(VALU_DEP_1)
	v_dual_lshlrev_b32 v7, v6, v3 :: v_dual_lshlrev_b32 v6, 23, v6
	v_lshrrev_b32_e32 v7, 4, v7
	s_delay_alu instid0(VALU_DEP_1) | instskip(NEXT) | instid1(VALU_DEP_1)
	v_dual_sub_nc_u32 v6, v7, v6 :: v_dual_ashrrev_i32 v7, 8, v8
	v_add_nc_u32_e32 v6, 0x3c000000, v6
	s_delay_alu instid0(VALU_DEP_1) | instskip(NEXT) | instid1(VALU_DEP_1)
	v_and_or_b32 v6, 0x7f800000, v7, v6
	v_cndmask_b32_e32 v3, 0, v6, vcc_lo
	s_delay_alu instid0(VALU_DEP_1) | instskip(NEXT) | instid1(VALU_DEP_1)
	v_and_or_b32 v1, 0x80000000, v1, v3
	v_trunc_f32_e32 v1, v1
	s_delay_alu instid0(VALU_DEP_1) | instskip(SKIP_1) | instid1(VALU_DEP_2)
	v_mul_f32_e64 v3, 0x2f800000, |v1|
	v_ashrrev_i32_e32 v6, 31, v1
	v_floor_f32_e32 v3, v3
	s_delay_alu instid0(VALU_DEP_1) | instskip(SKIP_1) | instid1(VALU_DEP_2)
	v_fma_f32 v7, 0xcf800000, v3, |v1|
	v_cvt_u32_f32_e32 v1, v3
	v_cvt_u32_f32_e32 v3, v7
	s_delay_alu instid0(VALU_DEP_2) | instskip(NEXT) | instid1(VALU_DEP_2)
	v_dual_mov_b32 v7, v6 :: v_dual_bitop2_b32 v9, v1, v6 bitop3:0x14
	v_xor_b32_e32 v8, v3, v6
	s_delay_alu instid0(VALU_DEP_1)
	v_sub_nc_u64_e32 v[6:7], v[8:9], v[6:7]
.LBB47_327:
	s_mov_b32 s27, 0
.LBB47_328:
	s_delay_alu instid0(SALU_CYCLE_1)
	s_and_not1_b32 vcc_lo, exec_lo, s27
	s_cbranch_vccnz .LBB47_330
; %bb.329:
	global_load_u8 v1, v[4:5], off
	s_wait_loadcnt 0x0
	v_lshlrev_b32_e32 v3, 25, v1
	v_lshlrev_b16 v1, 8, v1
	s_delay_alu instid0(VALU_DEP_1) | instskip(SKIP_1) | instid1(VALU_DEP_2)
	v_and_or_b32 v7, 0x7f00, v1, 0.5
	v_bfe_i32 v1, v1, 0, 16
	v_add_f32_e32 v7, -0.5, v7
	v_lshrrev_b32_e32 v6, 4, v3
	v_cmp_gt_u32_e32 vcc_lo, 0x8000000, v3
	s_delay_alu instid0(VALU_DEP_2) | instskip(NEXT) | instid1(VALU_DEP_1)
	v_or_b32_e32 v6, 0x70000000, v6
	v_mul_f32_e32 v6, 0x7800000, v6
	s_delay_alu instid0(VALU_DEP_1) | instskip(NEXT) | instid1(VALU_DEP_1)
	v_cndmask_b32_e32 v3, v6, v7, vcc_lo
	v_and_or_b32 v1, 0x80000000, v1, v3
	s_delay_alu instid0(VALU_DEP_1) | instskip(NEXT) | instid1(VALU_DEP_1)
	v_trunc_f32_e32 v1, v1
	v_mul_f32_e64 v3, 0x2f800000, |v1|
	v_ashrrev_i32_e32 v6, 31, v1
	s_delay_alu instid0(VALU_DEP_2) | instskip(NEXT) | instid1(VALU_DEP_1)
	v_floor_f32_e32 v3, v3
	v_fma_f32 v7, 0xcf800000, v3, |v1|
	v_cvt_u32_f32_e32 v1, v3
	s_delay_alu instid0(VALU_DEP_2) | instskip(NEXT) | instid1(VALU_DEP_2)
	v_cvt_u32_f32_e32 v3, v7
	v_dual_mov_b32 v7, v6 :: v_dual_bitop2_b32 v9, v1, v6 bitop3:0x14
	s_delay_alu instid0(VALU_DEP_2) | instskip(NEXT) | instid1(VALU_DEP_1)
	v_xor_b32_e32 v8, v3, v6
	v_sub_nc_u64_e32 v[6:7], v[8:9], v[6:7]
.LBB47_330:
	s_mov_b32 s28, 0
	s_mov_b32 s27, -1
.LBB47_331:
	s_and_not1_b32 vcc_lo, exec_lo, s28
	s_cbranch_vccnz .LBB47_344
; %bb.332:
	s_cmp_gt_i32 s0, 14
	s_cbranch_scc0 .LBB47_335
; %bb.333:
	s_cmp_eq_u32 s0, 15
	s_cbranch_scc0 .LBB47_338
; %bb.334:
	global_load_u16 v1, v[4:5], off
	s_mov_b32 s27, -1
	s_mov_b32 s26, 0
	s_wait_loadcnt 0x0
	v_lshlrev_b32_e32 v1, 16, v1
	s_delay_alu instid0(VALU_DEP_1) | instskip(NEXT) | instid1(VALU_DEP_1)
	v_trunc_f32_e32 v1, v1
	v_mul_f32_e64 v3, 0x2f800000, |v1|
	v_ashrrev_i32_e32 v6, 31, v1
	s_delay_alu instid0(VALU_DEP_2) | instskip(NEXT) | instid1(VALU_DEP_1)
	v_floor_f32_e32 v3, v3
	v_fma_f32 v7, 0xcf800000, v3, |v1|
	v_cvt_u32_f32_e32 v1, v3
	s_delay_alu instid0(VALU_DEP_2) | instskip(NEXT) | instid1(VALU_DEP_2)
	v_cvt_u32_f32_e32 v3, v7
	v_dual_mov_b32 v7, v6 :: v_dual_bitop2_b32 v9, v1, v6 bitop3:0x14
	s_delay_alu instid0(VALU_DEP_2) | instskip(NEXT) | instid1(VALU_DEP_1)
	v_xor_b32_e32 v8, v3, v6
	v_sub_nc_u64_e32 v[6:7], v[8:9], v[6:7]
	s_branch .LBB47_339
.LBB47_335:
	s_mov_b32 s28, -1
                                        ; implicit-def: $vgpr6_vgpr7
	s_branch .LBB47_340
.LBB47_336:
	s_and_not1_saveexec_b32 s27, s27
	s_cbranch_execz .LBB47_317
.LBB47_337:
	v_cmp_ne_u16_e32 vcc_lo, 0, v1
	s_and_not1_b32 s28, s28, exec_lo
	s_and_b32 s29, vcc_lo, exec_lo
	s_delay_alu instid0(SALU_CYCLE_1)
	s_or_b32 s28, s28, s29
	s_or_b32 exec_lo, exec_lo, s27
	v_mov_b64_e32 v[6:7], 0
	s_and_saveexec_b32 s27, s28
	s_cbranch_execnz .LBB47_318
	s_branch .LBB47_319
.LBB47_338:
	s_mov_b32 s26, -1
                                        ; implicit-def: $vgpr6_vgpr7
.LBB47_339:
	s_mov_b32 s28, 0
.LBB47_340:
	s_delay_alu instid0(SALU_CYCLE_1)
	s_and_b32 vcc_lo, exec_lo, s28
	s_cbranch_vccz .LBB47_344
; %bb.341:
	s_cmp_eq_u32 s0, 11
	s_cbranch_scc0 .LBB47_343
; %bb.342:
	global_load_u8 v1, v[4:5], off
	s_mov_b32 s26, 0
	s_mov_b32 s27, -1
	s_wait_loadcnt 0x1
	v_mov_b32_e32 v7, s26
	s_wait_loadcnt 0x0
	v_cmp_ne_u16_e32 vcc_lo, 0, v1
	v_cndmask_b32_e64 v6, 0, 1, vcc_lo
	s_branch .LBB47_344
.LBB47_343:
	s_mov_b32 s26, -1
                                        ; implicit-def: $vgpr6_vgpr7
.LBB47_344:
	s_branch .LBB47_265
.LBB47_345:
	s_cmp_lt_i32 s0, 5
	s_cbranch_scc1 .LBB47_350
; %bb.346:
	s_cmp_lt_i32 s0, 8
	s_cbranch_scc1 .LBB47_351
; %bb.347:
	;; [unrolled: 3-line block ×3, first 2 shown]
	s_cmp_gt_i32 s0, 9
	s_cbranch_scc0 .LBB47_353
; %bb.349:
	s_wait_loadcnt 0x0
	global_load_b64 v[6:7], v[4:5], off
	s_mov_b32 s27, 0
	s_wait_loadcnt 0x0
	v_trunc_f64_e32 v[6:7], v[6:7]
	s_delay_alu instid0(VALU_DEP_1) | instskip(NEXT) | instid1(VALU_DEP_1)
	v_ldexp_f64 v[8:9], v[6:7], 0xffffffe0
	v_floor_f64_e32 v[8:9], v[8:9]
	s_delay_alu instid0(VALU_DEP_1) | instskip(SKIP_1) | instid1(VALU_DEP_2)
	v_fmamk_f64 v[10:11], v[8:9], 0xc1f00000, v[6:7]
	v_cvt_i32_f64_e32 v7, v[8:9]
	v_cvt_u32_f64_e32 v6, v[10:11]
	s_branch .LBB47_354
.LBB47_350:
	s_mov_b32 s27, -1
                                        ; implicit-def: $vgpr6_vgpr7
	s_branch .LBB47_372
.LBB47_351:
	s_mov_b32 s27, -1
                                        ; implicit-def: $vgpr6_vgpr7
	s_branch .LBB47_360
.LBB47_352:
	s_mov_b32 s27, -1
                                        ; implicit-def: $vgpr6_vgpr7
	s_branch .LBB47_357
.LBB47_353:
	s_mov_b32 s27, -1
                                        ; implicit-def: $vgpr6_vgpr7
.LBB47_354:
	s_delay_alu instid0(SALU_CYCLE_1)
	s_and_not1_b32 vcc_lo, exec_lo, s27
	s_cbranch_vccnz .LBB47_356
; %bb.355:
	global_load_b32 v1, v[4:5], off
	s_wait_loadcnt 0x0
	v_trunc_f32_e32 v1, v1
	s_delay_alu instid0(VALU_DEP_1) | instskip(SKIP_1) | instid1(VALU_DEP_2)
	v_mul_f32_e64 v3, 0x2f800000, |v1|
	v_ashrrev_i32_e32 v6, 31, v1
	v_floor_f32_e32 v3, v3
	s_delay_alu instid0(VALU_DEP_1) | instskip(SKIP_1) | instid1(VALU_DEP_2)
	v_fma_f32 v7, 0xcf800000, v3, |v1|
	v_cvt_u32_f32_e32 v1, v3
	v_cvt_u32_f32_e32 v3, v7
	s_delay_alu instid0(VALU_DEP_2) | instskip(NEXT) | instid1(VALU_DEP_2)
	v_dual_mov_b32 v7, v6 :: v_dual_bitop2_b32 v9, v1, v6 bitop3:0x14
	v_xor_b32_e32 v8, v3, v6
	s_delay_alu instid0(VALU_DEP_1)
	v_sub_nc_u64_e32 v[6:7], v[8:9], v[6:7]
.LBB47_356:
	s_mov_b32 s27, 0
.LBB47_357:
	s_delay_alu instid0(SALU_CYCLE_1)
	s_and_not1_b32 vcc_lo, exec_lo, s27
	s_cbranch_vccnz .LBB47_359
; %bb.358:
	global_load_b32 v1, v[4:5], off
	s_wait_loadcnt 0x0
	v_cvt_f32_f16_e32 v1, v1
	s_delay_alu instid0(VALU_DEP_1) | instskip(NEXT) | instid1(VALU_DEP_1)
	v_cvt_i32_f32_e32 v6, v1
	v_ashrrev_i32_e32 v7, 31, v6
.LBB47_359:
	s_mov_b32 s27, 0
.LBB47_360:
	s_delay_alu instid0(SALU_CYCLE_1)
	s_and_not1_b32 vcc_lo, exec_lo, s27
	s_cbranch_vccnz .LBB47_371
; %bb.361:
	s_cmp_lt_i32 s0, 6
	s_cbranch_scc1 .LBB47_364
; %bb.362:
	s_cmp_gt_i32 s0, 6
	s_cbranch_scc0 .LBB47_365
; %bb.363:
	s_wait_loadcnt 0x0
	global_load_b64 v[6:7], v[4:5], off
	s_mov_b32 s27, 0
	s_wait_loadcnt 0x0
	v_trunc_f64_e32 v[6:7], v[6:7]
	s_delay_alu instid0(VALU_DEP_1) | instskip(NEXT) | instid1(VALU_DEP_1)
	v_ldexp_f64 v[8:9], v[6:7], 0xffffffe0
	v_floor_f64_e32 v[8:9], v[8:9]
	s_delay_alu instid0(VALU_DEP_1) | instskip(SKIP_1) | instid1(VALU_DEP_2)
	v_fmamk_f64 v[10:11], v[8:9], 0xc1f00000, v[6:7]
	v_cvt_i32_f64_e32 v7, v[8:9]
	v_cvt_u32_f64_e32 v6, v[10:11]
	s_branch .LBB47_366
.LBB47_364:
	s_mov_b32 s27, -1
                                        ; implicit-def: $vgpr6_vgpr7
	s_branch .LBB47_369
.LBB47_365:
	s_mov_b32 s27, -1
                                        ; implicit-def: $vgpr6_vgpr7
.LBB47_366:
	s_delay_alu instid0(SALU_CYCLE_1)
	s_and_not1_b32 vcc_lo, exec_lo, s27
	s_cbranch_vccnz .LBB47_368
; %bb.367:
	global_load_b32 v1, v[4:5], off
	s_wait_loadcnt 0x0
	v_trunc_f32_e32 v1, v1
	s_delay_alu instid0(VALU_DEP_1) | instskip(SKIP_1) | instid1(VALU_DEP_2)
	v_mul_f32_e64 v3, 0x2f800000, |v1|
	v_ashrrev_i32_e32 v6, 31, v1
	v_floor_f32_e32 v3, v3
	s_delay_alu instid0(VALU_DEP_1) | instskip(SKIP_1) | instid1(VALU_DEP_2)
	v_fma_f32 v7, 0xcf800000, v3, |v1|
	v_cvt_u32_f32_e32 v1, v3
	v_cvt_u32_f32_e32 v3, v7
	s_delay_alu instid0(VALU_DEP_2) | instskip(NEXT) | instid1(VALU_DEP_2)
	v_dual_mov_b32 v7, v6 :: v_dual_bitop2_b32 v9, v1, v6 bitop3:0x14
	v_xor_b32_e32 v8, v3, v6
	s_delay_alu instid0(VALU_DEP_1)
	v_sub_nc_u64_e32 v[6:7], v[8:9], v[6:7]
.LBB47_368:
	s_mov_b32 s27, 0
.LBB47_369:
	s_delay_alu instid0(SALU_CYCLE_1)
	s_and_not1_b32 vcc_lo, exec_lo, s27
	s_cbranch_vccnz .LBB47_371
; %bb.370:
	global_load_u16 v1, v[4:5], off
	s_wait_loadcnt 0x0
	v_cvt_f32_f16_e32 v1, v1
	s_delay_alu instid0(VALU_DEP_1) | instskip(NEXT) | instid1(VALU_DEP_1)
	v_cvt_i32_f32_e32 v6, v1
	v_ashrrev_i32_e32 v7, 31, v6
.LBB47_371:
	s_mov_b32 s27, 0
.LBB47_372:
	s_delay_alu instid0(SALU_CYCLE_1)
	s_and_not1_b32 vcc_lo, exec_lo, s27
	s_cbranch_vccnz .LBB47_392
; %bb.373:
	s_cmp_lt_i32 s0, 2
	s_cbranch_scc1 .LBB47_377
; %bb.374:
	s_cmp_lt_i32 s0, 3
	s_cbranch_scc1 .LBB47_378
; %bb.375:
	s_cmp_gt_i32 s0, 3
	s_cbranch_scc0 .LBB47_379
; %bb.376:
	s_wait_loadcnt 0x0
	global_load_b64 v[6:7], v[4:5], off
	s_mov_b32 s27, 0
	s_branch .LBB47_380
.LBB47_377:
	s_mov_b32 s27, -1
                                        ; implicit-def: $vgpr6_vgpr7
	s_branch .LBB47_386
.LBB47_378:
	s_mov_b32 s27, -1
                                        ; implicit-def: $vgpr6_vgpr7
	s_branch .LBB47_383
.LBB47_379:
	s_mov_b32 s27, -1
                                        ; implicit-def: $vgpr6_vgpr7
.LBB47_380:
	s_delay_alu instid0(SALU_CYCLE_1)
	s_and_not1_b32 vcc_lo, exec_lo, s27
	s_cbranch_vccnz .LBB47_382
; %bb.381:
	s_wait_loadcnt 0x0
	global_load_b32 v6, v[4:5], off
	s_wait_loadcnt 0x0
	v_ashrrev_i32_e32 v7, 31, v6
.LBB47_382:
	s_mov_b32 s27, 0
.LBB47_383:
	s_delay_alu instid0(SALU_CYCLE_1)
	s_and_not1_b32 vcc_lo, exec_lo, s27
	s_cbranch_vccnz .LBB47_385
; %bb.384:
	global_load_u16 v1, v[4:5], off
	s_wait_loadcnt 0x0
	v_bfe_i32 v6, v1, 0, 16
	s_delay_alu instid0(VALU_DEP_1)
	v_ashrrev_i32_e32 v7, 31, v6
.LBB47_385:
	s_mov_b32 s27, 0
.LBB47_386:
	s_delay_alu instid0(SALU_CYCLE_1)
	s_and_not1_b32 vcc_lo, exec_lo, s27
	s_cbranch_vccnz .LBB47_392
; %bb.387:
	s_cmp_gt_i32 s0, 0
	s_mov_b32 s0, 0
	s_cbranch_scc0 .LBB47_389
; %bb.388:
	global_load_i8 v1, v[4:5], off
	s_wait_loadcnt 0x0
	v_bfe_i32 v6, v1, 0, 16
	s_delay_alu instid0(VALU_DEP_1)
	v_ashrrev_i32_e32 v7, 31, v6
	s_branch .LBB47_390
.LBB47_389:
	s_mov_b32 s0, -1
                                        ; implicit-def: $vgpr6_vgpr7
.LBB47_390:
	s_delay_alu instid0(SALU_CYCLE_1)
	s_and_not1_b32 vcc_lo, exec_lo, s0
	s_cbranch_vccnz .LBB47_392
; %bb.391:
	global_load_u8 v1, v[4:5], off
	s_mov_b32 s0, 0
	s_wait_loadcnt 0x1
	v_mov_b32_e32 v7, s0
	s_wait_loadcnt 0x0
	v_and_b32_e32 v6, 0xffff, v1
.LBB47_392:
	s_branch .LBB47_266
.LBB47_393:
	s_mov_b32 s27, 0
	s_mov_b32 s29, s44
	;; [unrolled: 1-line block ×3, first 2 shown]
                                        ; implicit-def: $vgpr0
	s_branch .LBB47_478
.LBB47_394:
	s_mov_b32 s31, -1
	s_mov_b32 s30, 0
	s_mov_b32 s27, s44
.LBB47_395:
	s_and_b32 vcc_lo, exec_lo, s31
	s_cbranch_vccz .LBB47_398
; %bb.396:
	s_cmp_eq_u32 s29, 44
	s_mov_b32 s27, -1
	s_cbranch_scc0 .LBB47_398
; %bb.397:
	s_wait_xcnt 0x0
	v_mov_b32_e32 v1, 0
	s_mov_b32 s30, -1
	s_mov_b32 s27, 0
	global_store_b8 v[2:3], v1, off
.LBB47_398:
	s_mov_b32 s31, 0
.LBB47_399:
	s_delay_alu instid0(SALU_CYCLE_1)
	s_and_b32 vcc_lo, exec_lo, s31
	s_cbranch_vccz .LBB47_402
; %bb.400:
	s_cmp_eq_u32 s29, 29
	s_mov_b32 s27, -1
	s_cbranch_scc0 .LBB47_402
; %bb.401:
	v_mov_b64_e32 v[4:5], 0
	s_mov_b32 s30, -1
	s_mov_b32 s27, 0
	s_mov_b32 s31, 0
	global_store_b64 v[2:3], v[4:5], off
	s_branch .LBB47_403
.LBB47_402:
	s_mov_b32 s31, 0
.LBB47_403:
	s_delay_alu instid0(SALU_CYCLE_1)
	s_and_b32 vcc_lo, exec_lo, s31
	s_cbranch_vccz .LBB47_413
; %bb.404:
	s_cmp_lt_i32 s29, 27
	s_mov_b32 s30, -1
	s_cbranch_scc1 .LBB47_410
; %bb.405:
	s_cmp_gt_i32 s29, 27
	s_cbranch_scc0 .LBB47_407
; %bb.406:
	s_wait_xcnt 0x0
	v_mov_b32_e32 v1, 0
	s_mov_b32 s30, 0
	global_store_b32 v[2:3], v1, off
.LBB47_407:
	s_and_not1_b32 vcc_lo, exec_lo, s30
	s_cbranch_vccnz .LBB47_409
; %bb.408:
	s_wait_xcnt 0x0
	v_mov_b32_e32 v1, 0
	global_store_b16 v[2:3], v1, off
.LBB47_409:
	s_mov_b32 s30, 0
.LBB47_410:
	s_delay_alu instid0(SALU_CYCLE_1)
	s_and_not1_b32 vcc_lo, exec_lo, s30
	s_cbranch_vccnz .LBB47_412
; %bb.411:
	s_wait_xcnt 0x0
	v_mov_b32_e32 v1, 0
	global_store_b8 v[2:3], v1, off
.LBB47_412:
	s_mov_b32 s30, -1
.LBB47_413:
	s_mov_b32 s31, 0
.LBB47_414:
	s_delay_alu instid0(SALU_CYCLE_1)
	s_and_b32 vcc_lo, exec_lo, s31
	s_cbranch_vccz .LBB47_433
; %bb.415:
	s_cmp_gt_i32 s29, 22
	s_mov_b32 s31, -1
	s_cbranch_scc0 .LBB47_425
; %bb.416:
	s_cmp_lt_i32 s29, 24
	s_mov_b32 s30, -1
	s_cbranch_scc1 .LBB47_422
; %bb.417:
	s_cmp_gt_i32 s29, 24
	s_cbranch_scc0 .LBB47_419
; %bb.418:
	s_wait_xcnt 0x0
	v_mov_b32_e32 v1, 0
	s_mov_b32 s30, 0
	global_store_b8 v[2:3], v1, off
.LBB47_419:
	s_and_not1_b32 vcc_lo, exec_lo, s30
	s_cbranch_vccnz .LBB47_421
; %bb.420:
	s_wait_xcnt 0x0
	v_mov_b32_e32 v1, 0
	global_store_b8 v[2:3], v1, off
.LBB47_421:
	s_mov_b32 s30, 0
.LBB47_422:
	s_delay_alu instid0(SALU_CYCLE_1)
	s_and_not1_b32 vcc_lo, exec_lo, s30
	s_cbranch_vccnz .LBB47_424
; %bb.423:
	s_wait_xcnt 0x0
	v_mov_b32_e32 v1, 0
	global_store_b8 v[2:3], v1, off
.LBB47_424:
	s_mov_b32 s31, 0
	s_mov_b32 s30, -1
.LBB47_425:
	s_and_not1_b32 vcc_lo, exec_lo, s31
	s_cbranch_vccnz .LBB47_433
; %bb.426:
	s_cmp_gt_i32 s29, 14
	s_mov_b32 s31, -1
	s_cbranch_scc0 .LBB47_430
; %bb.427:
	s_cmp_eq_u32 s29, 15
	s_mov_b32 s27, -1
	s_cbranch_scc0 .LBB47_429
; %bb.428:
	s_wait_xcnt 0x0
	v_mov_b32_e32 v1, 0
	s_mov_b32 s30, -1
	s_mov_b32 s27, 0
	global_store_b16 v[2:3], v1, off
.LBB47_429:
	s_mov_b32 s31, 0
.LBB47_430:
	s_delay_alu instid0(SALU_CYCLE_1)
	s_and_b32 vcc_lo, exec_lo, s31
	s_cbranch_vccz .LBB47_433
; %bb.431:
	s_cmp_eq_u32 s29, 11
	s_mov_b32 s27, -1
	s_cbranch_scc0 .LBB47_433
; %bb.432:
	s_wait_xcnt 0x0
	v_mov_b32_e32 v1, 0
	s_mov_b32 s30, -1
	s_mov_b32 s27, 0
	global_store_b8 v[2:3], v1, off
.LBB47_433:
	s_mov_b32 s29, 0
.LBB47_434:
	s_delay_alu instid0(SALU_CYCLE_1)
	s_and_b32 vcc_lo, exec_lo, s29
	s_cbranch_vccz .LBB47_473
; %bb.435:
	s_and_b32 s28, 0xffff, s28
	s_mov_b32 s29, -1
	s_cmp_lt_i32 s28, 5
	s_cbranch_scc1 .LBB47_456
; %bb.436:
	s_cmp_lt_i32 s28, 8
	s_cbranch_scc1 .LBB47_446
; %bb.437:
	;; [unrolled: 3-line block ×3, first 2 shown]
	s_cmp_gt_i32 s28, 9
	s_cbranch_scc0 .LBB47_440
; %bb.439:
	s_wait_xcnt 0x0
	v_mov_b32_e32 v4, 0
	s_mov_b32 s29, 0
	s_delay_alu instid0(VALU_DEP_1)
	v_dual_mov_b32 v5, v4 :: v_dual_mov_b32 v6, v4
	v_mov_b32_e32 v7, v4
	global_store_b128 v[2:3], v[4:7], off
.LBB47_440:
	s_and_not1_b32 vcc_lo, exec_lo, s29
	s_cbranch_vccnz .LBB47_442
; %bb.441:
	s_wait_xcnt 0x0
	v_mov_b64_e32 v[4:5], 0
	global_store_b64 v[2:3], v[4:5], off
.LBB47_442:
	s_mov_b32 s29, 0
.LBB47_443:
	s_delay_alu instid0(SALU_CYCLE_1)
	s_and_not1_b32 vcc_lo, exec_lo, s29
	s_cbranch_vccnz .LBB47_445
; %bb.444:
	s_wait_xcnt 0x0
	v_mov_b32_e32 v1, 0
	global_store_b32 v[2:3], v1, off
.LBB47_445:
	s_mov_b32 s29, 0
.LBB47_446:
	s_delay_alu instid0(SALU_CYCLE_1)
	s_and_not1_b32 vcc_lo, exec_lo, s29
	s_cbranch_vccnz .LBB47_455
; %bb.447:
	s_cmp_lt_i32 s28, 6
	s_mov_b32 s29, -1
	s_cbranch_scc1 .LBB47_453
; %bb.448:
	s_cmp_gt_i32 s28, 6
	s_cbranch_scc0 .LBB47_450
; %bb.449:
	s_wait_xcnt 0x0
	v_mov_b64_e32 v[4:5], 0
	s_mov_b32 s29, 0
	global_store_b64 v[2:3], v[4:5], off
.LBB47_450:
	s_and_not1_b32 vcc_lo, exec_lo, s29
	s_cbranch_vccnz .LBB47_452
; %bb.451:
	s_wait_xcnt 0x0
	v_mov_b32_e32 v1, 0
	global_store_b32 v[2:3], v1, off
.LBB47_452:
	s_mov_b32 s29, 0
.LBB47_453:
	s_delay_alu instid0(SALU_CYCLE_1)
	s_and_not1_b32 vcc_lo, exec_lo, s29
	s_cbranch_vccnz .LBB47_455
; %bb.454:
	s_wait_xcnt 0x0
	v_mov_b32_e32 v1, 0
	global_store_b16 v[2:3], v1, off
.LBB47_455:
	s_mov_b32 s29, 0
.LBB47_456:
	s_delay_alu instid0(SALU_CYCLE_1)
	s_and_not1_b32 vcc_lo, exec_lo, s29
	s_cbranch_vccnz .LBB47_472
; %bb.457:
	s_cmp_lt_i32 s28, 2
	s_mov_b32 s29, -1
	s_cbranch_scc1 .LBB47_467
; %bb.458:
	s_cmp_lt_i32 s28, 3
	s_cbranch_scc1 .LBB47_464
; %bb.459:
	s_cmp_gt_i32 s28, 3
	s_cbranch_scc0 .LBB47_461
; %bb.460:
	s_wait_xcnt 0x0
	v_mov_b64_e32 v[4:5], 0
	s_mov_b32 s29, 0
	global_store_b64 v[2:3], v[4:5], off
.LBB47_461:
	s_and_not1_b32 vcc_lo, exec_lo, s29
	s_cbranch_vccnz .LBB47_463
; %bb.462:
	s_wait_xcnt 0x0
	v_mov_b32_e32 v1, 0
	global_store_b32 v[2:3], v1, off
.LBB47_463:
	s_mov_b32 s29, 0
.LBB47_464:
	s_delay_alu instid0(SALU_CYCLE_1)
	s_and_not1_b32 vcc_lo, exec_lo, s29
	s_cbranch_vccnz .LBB47_466
; %bb.465:
	s_wait_xcnt 0x0
	v_mov_b32_e32 v1, 0
	global_store_b16 v[2:3], v1, off
.LBB47_466:
	s_mov_b32 s29, 0
.LBB47_467:
	s_delay_alu instid0(SALU_CYCLE_1)
	s_and_not1_b32 vcc_lo, exec_lo, s29
	s_cbranch_vccnz .LBB47_472
; %bb.468:
	s_cmp_gt_i32 s28, 0
	s_mov_b32 s28, -1
	s_cbranch_scc0 .LBB47_470
; %bb.469:
	s_wait_xcnt 0x0
	v_mov_b32_e32 v1, 0
	s_mov_b32 s28, 0
	global_store_b8 v[2:3], v1, off
.LBB47_470:
	s_and_not1_b32 vcc_lo, exec_lo, s28
	s_cbranch_vccnz .LBB47_472
; %bb.471:
	s_wait_xcnt 0x0
	v_mov_b32_e32 v1, 0
	global_store_b8 v[2:3], v1, off
.LBB47_472:
	s_mov_b32 s30, -1
.LBB47_473:
	s_delay_alu instid0(SALU_CYCLE_1)
	s_and_not1_b32 vcc_lo, exec_lo, s30
	s_cbranch_vccnz .LBB47_475
; %bb.474:
	v_add_nc_u32_e32 v0, 0x80, v0
	s_mov_b32 s30, -1
	s_branch .LBB47_476
.LBB47_475:
	s_mov_b32 s30, 0
                                        ; implicit-def: $vgpr0
.LBB47_476:
	s_and_not1_b32 s28, s44, exec_lo
	s_and_b32 s27, s27, exec_lo
	s_delay_alu instid0(SALU_CYCLE_1)
	s_or_b32 s29, s28, s27
	s_xor_b32 s28, exec_lo, -1
	s_and_b32 s27, s30, exec_lo
.LBB47_477:
	s_wait_xcnt 0x0
	s_or_b32 exec_lo, exec_lo, s0
.LBB47_478:
	s_delay_alu instid0(SALU_CYCLE_1)
	s_and_not1_b32 s0, s44, exec_lo
	s_and_b32 s29, s29, exec_lo
	s_and_b32 s28, s28, exec_lo
	s_or_b32 s49, s0, s29
	s_and_not1_b32 s0, s45, exec_lo
	s_and_not1_b32 s29, s46, exec_lo
	s_and_b32 s26, s26, exec_lo
	s_or_b32 s50, s0, s28
	s_or_b32 s48, s29, s26
	s_or_not1_b32 s0, s27, exec_lo
.LBB47_479:
	s_wait_xcnt 0x0
	s_or_b32 exec_lo, exec_lo, s51
	s_mov_b32 s26, 0
	s_mov_b32 s27, 0
	;; [unrolled: 1-line block ×3, first 2 shown]
                                        ; implicit-def: $vgpr4_vgpr5
                                        ; implicit-def: $vgpr2
                                        ; implicit-def: $vgpr6_vgpr7
	s_and_saveexec_b32 s51, s0
	s_cbranch_execz .LBB47_816
; %bb.480:
	s_mov_b32 s29, -1
	s_mov_b32 s0, s48
	s_mov_b32 s31, s50
	s_mov_b32 s30, s49
	s_mov_b32 s52, exec_lo
	v_cmpx_gt_i32_e64 s41, v0
	s_cbranch_execz .LBB47_721
; %bb.481:
	s_and_not1_b32 vcc_lo, exec_lo, s36
	s_cbranch_vccnz .LBB47_487
; %bb.482:
	s_and_not1_b32 vcc_lo, exec_lo, s43
	s_cbranch_vccnz .LBB47_488
; %bb.483:
	s_add_co_i32 s0, s42, 1
	s_cmp_eq_u32 s34, 2
	s_cbranch_scc1 .LBB47_489
; %bb.484:
	v_dual_mov_b32 v2, 0 :: v_dual_mov_b32 v4, 0
	v_mov_b32_e32 v1, v0
	s_and_b32 s26, s0, 28
	s_mov_b64 s[28:29], s[2:3]
	s_mov_b64 s[30:31], s[24:25]
.LBB47_485:                             ; =>This Inner Loop Header: Depth=1
	s_clause 0x1
	s_load_b256 s[56:63], s[28:29], 0x4
	s_load_b128 s[72:75], s[28:29], 0x24
	s_load_b256 s[64:71], s[30:31], 0x0
	s_add_co_i32 s27, s27, 4
	s_wait_xcnt 0x0
	s_add_nc_u64 s[28:29], s[28:29], 48
	s_cmp_eq_u32 s26, s27
	s_add_nc_u64 s[30:31], s[30:31], 32
	s_wait_kmcnt 0x0
	v_mul_hi_u32 v3, s57, v1
	s_delay_alu instid0(VALU_DEP_1) | instskip(NEXT) | instid1(VALU_DEP_1)
	v_add_nc_u32_e32 v3, v1, v3
	v_lshrrev_b32_e32 v3, s58, v3
	s_delay_alu instid0(VALU_DEP_1) | instskip(NEXT) | instid1(VALU_DEP_1)
	v_mul_hi_u32 v5, s60, v3
	v_add_nc_u32_e32 v5, v3, v5
	s_delay_alu instid0(VALU_DEP_1) | instskip(SKIP_1) | instid1(VALU_DEP_1)
	v_lshrrev_b32_e32 v5, s61, v5
	s_wait_loadcnt 0x0
	v_mul_hi_u32 v6, s63, v5
	s_delay_alu instid0(VALU_DEP_1) | instskip(SKIP_1) | instid1(VALU_DEP_1)
	v_add_nc_u32_e32 v6, v5, v6
	v_mul_lo_u32 v7, v3, s56
	v_sub_nc_u32_e32 v1, v1, v7
	v_mul_lo_u32 v7, v5, s59
	s_delay_alu instid0(VALU_DEP_4) | instskip(NEXT) | instid1(VALU_DEP_3)
	v_lshrrev_b32_e32 v6, s72, v6
	v_mad_u32 v4, v1, s65, v4
	v_mad_u32 v1, v1, s64, v2
	s_delay_alu instid0(VALU_DEP_4) | instskip(NEXT) | instid1(VALU_DEP_4)
	v_sub_nc_u32_e32 v2, v3, v7
	v_mul_hi_u32 v8, s74, v6
	v_mul_lo_u32 v3, v6, s62
	s_delay_alu instid0(VALU_DEP_3) | instskip(SKIP_1) | instid1(VALU_DEP_3)
	v_mad_u32 v4, v2, s67, v4
	v_mad_u32 v2, v2, s66, v1
	v_dual_add_nc_u32 v7, v6, v8 :: v_dual_sub_nc_u32 v3, v5, v3
	s_delay_alu instid0(VALU_DEP_1) | instskip(NEXT) | instid1(VALU_DEP_2)
	v_lshrrev_b32_e32 v1, s75, v7
	v_mad_u32 v4, v3, s69, v4
	s_delay_alu instid0(VALU_DEP_4) | instskip(NEXT) | instid1(VALU_DEP_3)
	v_mad_u32 v2, v3, s68, v2
	v_mul_lo_u32 v5, v1, s73
	s_delay_alu instid0(VALU_DEP_1) | instskip(NEXT) | instid1(VALU_DEP_1)
	v_sub_nc_u32_e32 v3, v6, v5
	v_mad_u32 v4, v3, s71, v4
	s_delay_alu instid0(VALU_DEP_4)
	v_mad_u32 v2, v3, s70, v2
	s_cbranch_scc0 .LBB47_485
; %bb.486:
	s_delay_alu instid0(VALU_DEP_2)
	v_mov_b32_e32 v3, v4
	s_branch .LBB47_490
.LBB47_487:
	s_mov_b32 s0, -1
                                        ; implicit-def: $vgpr4
                                        ; implicit-def: $vgpr2
	s_branch .LBB47_495
.LBB47_488:
	v_dual_mov_b32 v4, 0 :: v_dual_mov_b32 v2, 0
	s_branch .LBB47_494
.LBB47_489:
	v_mov_b64_e32 v[2:3], 0
	v_mov_b32_e32 v1, v0
                                        ; implicit-def: $vgpr4
.LBB47_490:
	s_and_b32 s0, s0, 3
	s_mov_b32 s27, 0
	s_cmp_eq_u32 s0, 0
	s_cbranch_scc1 .LBB47_494
; %bb.491:
	s_lshl_b32 s28, s26, 3
	s_mov_b32 s29, s27
	s_mul_u64 s[30:31], s[26:27], 12
	s_add_nc_u64 s[28:29], s[2:3], s[28:29]
	s_delay_alu instid0(SALU_CYCLE_1)
	s_add_nc_u64 s[26:27], s[28:29], 0xc4
	s_add_nc_u64 s[28:29], s[2:3], s[30:31]
.LBB47_492:                             ; =>This Inner Loop Header: Depth=1
	s_load_b96 s[56:58], s[28:29], 0x4
	s_load_b64 s[30:31], s[26:27], 0x0
	s_add_co_i32 s0, s0, -1
	s_wait_xcnt 0x0
	s_add_nc_u64 s[28:29], s[28:29], 12
	s_cmp_lg_u32 s0, 0
	s_add_nc_u64 s[26:27], s[26:27], 8
	s_wait_kmcnt 0x0
	v_mul_hi_u32 v4, s57, v1
	s_delay_alu instid0(VALU_DEP_1) | instskip(NEXT) | instid1(VALU_DEP_1)
	v_add_nc_u32_e32 v4, v1, v4
	v_lshrrev_b32_e32 v4, s58, v4
	s_delay_alu instid0(VALU_DEP_1) | instskip(NEXT) | instid1(VALU_DEP_1)
	v_mul_lo_u32 v5, v4, s56
	v_sub_nc_u32_e32 v1, v1, v5
	s_delay_alu instid0(VALU_DEP_1)
	v_mad_u32 v3, v1, s31, v3
	v_mad_u32 v2, v1, s30, v2
	v_mov_b32_e32 v1, v4
	s_cbranch_scc1 .LBB47_492
; %bb.493:
	s_delay_alu instid0(VALU_DEP_3)
	v_mov_b32_e32 v4, v3
.LBB47_494:
	s_mov_b32 s0, 0
.LBB47_495:
	s_delay_alu instid0(SALU_CYCLE_1)
	s_and_not1_b32 vcc_lo, exec_lo, s0
	s_cbranch_vccnz .LBB47_498
; %bb.496:
	v_mov_b32_e32 v1, 0
	s_and_not1_b32 vcc_lo, exec_lo, s40
	s_delay_alu instid0(VALU_DEP_1) | instskip(NEXT) | instid1(VALU_DEP_1)
	v_mul_u64_e32 v[2:3], s[20:21], v[0:1]
	v_add_nc_u32_e32 v2, v0, v3
	s_wait_loadcnt 0x0
	s_delay_alu instid0(VALU_DEP_1) | instskip(NEXT) | instid1(VALU_DEP_1)
	v_lshrrev_b32_e32 v6, s14, v2
	v_mul_lo_u32 v2, v6, s12
	s_delay_alu instid0(VALU_DEP_1) | instskip(NEXT) | instid1(VALU_DEP_1)
	v_sub_nc_u32_e32 v2, v0, v2
	v_mul_lo_u32 v4, v2, s17
	v_mul_lo_u32 v2, v2, s16
	s_cbranch_vccnz .LBB47_498
; %bb.497:
	v_mov_b32_e32 v7, v1
	s_delay_alu instid0(VALU_DEP_1) | instskip(NEXT) | instid1(VALU_DEP_1)
	v_mul_u64_e32 v[8:9], s[22:23], v[6:7]
	v_add_nc_u32_e32 v1, v6, v9
	s_delay_alu instid0(VALU_DEP_1) | instskip(NEXT) | instid1(VALU_DEP_1)
	v_lshrrev_b32_e32 v1, s1, v1
	v_mul_lo_u32 v1, v1, s15
	s_delay_alu instid0(VALU_DEP_1) | instskip(NEXT) | instid1(VALU_DEP_1)
	v_sub_nc_u32_e32 v1, v6, v1
	v_mad_u32 v2, v1, s18, v2
	v_mad_u32 v4, v1, s19, v4
.LBB47_498:
	v_mov_b32_e32 v5, 0
	s_and_b32 s0, 0xffff, s39
	s_delay_alu instid0(SALU_CYCLE_1) | instskip(NEXT) | instid1(VALU_DEP_1)
	s_cmp_lt_i32 s0, 11
	v_add_nc_u64_e32 v[4:5], s[6:7], v[4:5]
	s_cbranch_scc1 .LBB47_505
; %bb.499:
	s_cmp_gt_i32 s0, 25
	s_cbranch_scc0 .LBB47_506
; %bb.500:
	s_cmp_gt_i32 s0, 28
	s_cbranch_scc0 .LBB47_507
	;; [unrolled: 3-line block ×4, first 2 shown]
; %bb.503:
	s_cmp_eq_u32 s0, 46
	s_mov_b32 s28, 0
	s_cbranch_scc0 .LBB47_510
; %bb.504:
	global_load_b32 v1, v[4:5], off
	s_mov_b32 s27, -1
	s_mov_b32 s26, 0
	s_wait_loadcnt 0x0
	v_lshlrev_b32_e32 v1, 16, v1
	s_delay_alu instid0(VALU_DEP_1) | instskip(NEXT) | instid1(VALU_DEP_1)
	v_trunc_f32_e32 v1, v1
	v_mul_f32_e64 v3, 0x2f800000, |v1|
	v_ashrrev_i32_e32 v6, 31, v1
	s_delay_alu instid0(VALU_DEP_2) | instskip(NEXT) | instid1(VALU_DEP_1)
	v_floor_f32_e32 v3, v3
	v_fma_f32 v7, 0xcf800000, v3, |v1|
	v_cvt_u32_f32_e32 v1, v3
	s_delay_alu instid0(VALU_DEP_2) | instskip(NEXT) | instid1(VALU_DEP_2)
	v_cvt_u32_f32_e32 v3, v7
	v_dual_mov_b32 v7, v6 :: v_dual_bitop2_b32 v9, v1, v6 bitop3:0x14
	s_delay_alu instid0(VALU_DEP_2) | instskip(NEXT) | instid1(VALU_DEP_1)
	v_xor_b32_e32 v8, v3, v6
	v_sub_nc_u64_e32 v[6:7], v[8:9], v[6:7]
	s_branch .LBB47_512
.LBB47_505:
	s_mov_b32 s28, -1
	s_mov_b32 s27, 0
	s_mov_b32 s26, s48
                                        ; implicit-def: $vgpr6_vgpr7
	s_branch .LBB47_573
.LBB47_506:
	s_mov_b32 s28, -1
	s_mov_b32 s27, 0
	s_mov_b32 s26, s48
                                        ; implicit-def: $vgpr6_vgpr7
	s_branch .LBB47_539
.LBB47_507:
	s_mov_b32 s28, -1
	s_mov_b32 s27, 0
	s_mov_b32 s26, s48
                                        ; implicit-def: $vgpr6_vgpr7
	s_branch .LBB47_522
.LBB47_508:
	s_mov_b32 s28, -1
	s_mov_b32 s27, 0
	s_mov_b32 s26, s48
                                        ; implicit-def: $vgpr6_vgpr7
	s_branch .LBB47_517
.LBB47_509:
	s_mov_b32 s28, -1
	s_mov_b32 s27, 0
	s_mov_b32 s26, s48
	s_branch .LBB47_511
.LBB47_510:
	s_mov_b32 s26, -1
	s_mov_b32 s27, 0
.LBB47_511:
                                        ; implicit-def: $vgpr6_vgpr7
.LBB47_512:
	s_and_b32 vcc_lo, exec_lo, s28
	s_cbranch_vccz .LBB47_516
; %bb.513:
	s_cmp_eq_u32 s0, 44
	s_cbranch_scc0 .LBB47_515
; %bb.514:
	global_load_u8 v1, v[4:5], off
	s_mov_b32 s26, 0
	s_mov_b32 s27, -1
	s_wait_loadcnt 0x0
	v_lshlrev_b32_e32 v3, 23, v1
	v_cmp_ne_u32_e32 vcc_lo, 0, v1
	s_delay_alu instid0(VALU_DEP_2) | instskip(NEXT) | instid1(VALU_DEP_1)
	v_trunc_f32_e32 v3, v3
	v_mul_f32_e64 v6, 0x2f800000, |v3|
	s_delay_alu instid0(VALU_DEP_1) | instskip(SKIP_1) | instid1(VALU_DEP_2)
	v_floor_f32_e32 v7, v6
	v_ashrrev_i32_e32 v6, 31, v3
	v_fma_f32 v8, 0xcf800000, v7, |v3|
	v_cvt_u32_f32_e32 v3, v7
	s_delay_alu instid0(VALU_DEP_3) | instskip(NEXT) | instid1(VALU_DEP_3)
	v_mov_b32_e32 v7, v6
	v_cvt_u32_f32_e32 v8, v8
	s_delay_alu instid0(VALU_DEP_3) | instskip(NEXT) | instid1(VALU_DEP_2)
	v_xor_b32_e32 v9, v3, v6
	v_xor_b32_e32 v8, v8, v6
	s_delay_alu instid0(VALU_DEP_1) | instskip(NEXT) | instid1(VALU_DEP_1)
	v_sub_nc_u64_e32 v[6:7], v[8:9], v[6:7]
	v_dual_cndmask_b32 v7, 0, v7 :: v_dual_cndmask_b32 v6, 0, v6
	s_branch .LBB47_516
.LBB47_515:
	s_mov_b32 s26, -1
                                        ; implicit-def: $vgpr6_vgpr7
.LBB47_516:
	s_mov_b32 s28, 0
.LBB47_517:
	s_delay_alu instid0(SALU_CYCLE_1)
	s_and_b32 vcc_lo, exec_lo, s28
	s_cbranch_vccz .LBB47_521
; %bb.518:
	s_cmp_eq_u32 s0, 29
	s_cbranch_scc0 .LBB47_520
; %bb.519:
	s_wait_loadcnt 0x0
	global_load_b64 v[6:7], v[4:5], off
	s_mov_b32 s27, -1
	s_mov_b32 s26, 0
	s_branch .LBB47_521
.LBB47_520:
	s_mov_b32 s26, -1
                                        ; implicit-def: $vgpr6_vgpr7
.LBB47_521:
	s_mov_b32 s28, 0
.LBB47_522:
	s_delay_alu instid0(SALU_CYCLE_1)
	s_and_b32 vcc_lo, exec_lo, s28
	s_cbranch_vccz .LBB47_538
; %bb.523:
	s_cmp_lt_i32 s0, 27
	s_cbranch_scc1 .LBB47_526
; %bb.524:
	s_cmp_gt_i32 s0, 27
	s_cbranch_scc0 .LBB47_527
; %bb.525:
	s_wait_loadcnt 0x0
	global_load_b32 v6, v[4:5], off
	v_mov_b32_e32 v7, 0
	s_mov_b32 s27, 0
	s_branch .LBB47_528
.LBB47_526:
	s_mov_b32 s27, -1
                                        ; implicit-def: $vgpr6_vgpr7
	s_branch .LBB47_531
.LBB47_527:
	s_mov_b32 s27, -1
                                        ; implicit-def: $vgpr6_vgpr7
.LBB47_528:
	s_delay_alu instid0(SALU_CYCLE_1)
	s_and_not1_b32 vcc_lo, exec_lo, s27
	s_cbranch_vccnz .LBB47_530
; %bb.529:
	global_load_u16 v1, v[4:5], off
	s_mov_b32 s27, 0
	s_wait_loadcnt 0x1
	v_mov_b32_e32 v7, s27
	s_wait_loadcnt 0x0
	v_and_b32_e32 v6, 0xffff, v1
.LBB47_530:
	s_mov_b32 s27, 0
.LBB47_531:
	s_delay_alu instid0(SALU_CYCLE_1)
	s_and_not1_b32 vcc_lo, exec_lo, s27
	s_cbranch_vccnz .LBB47_537
; %bb.532:
	global_load_u8 v1, v[4:5], off
	s_mov_b32 s28, 0
	s_mov_b32 s27, exec_lo
	s_wait_loadcnt 0x0
	v_cmpx_lt_i16_e32 0x7f, v1
	s_xor_b32 s27, exec_lo, s27
	s_cbranch_execz .LBB47_549
; %bb.533:
	v_cmp_ne_u16_e32 vcc_lo, 0x80, v1
	s_and_b32 s28, vcc_lo, exec_lo
	s_and_not1_saveexec_b32 s27, s27
	s_cbranch_execnz .LBB47_550
.LBB47_534:
	s_or_b32 exec_lo, exec_lo, s27
	v_mov_b64_e32 v[6:7], 0
	s_and_saveexec_b32 s27, s28
	s_cbranch_execz .LBB47_536
.LBB47_535:
	v_and_b32_e32 v3, 0xffff, v1
	s_delay_alu instid0(VALU_DEP_1) | instskip(SKIP_1) | instid1(VALU_DEP_2)
	v_dual_lshlrev_b32 v1, 24, v1 :: v_dual_bitop2_b32 v6, 7, v3 bitop3:0x40
	v_bfe_u32 v9, v3, 3, 4
	v_and_b32_e32 v1, 0x80000000, v1
	s_delay_alu instid0(VALU_DEP_3) | instskip(NEXT) | instid1(VALU_DEP_3)
	v_clz_i32_u32_e32 v7, v6
	v_cmp_eq_u32_e32 vcc_lo, 0, v9
	s_delay_alu instid0(VALU_DEP_2) | instskip(NEXT) | instid1(VALU_DEP_1)
	v_min_u32_e32 v7, 32, v7
	v_subrev_nc_u32_e32 v8, 28, v7
	v_sub_nc_u32_e32 v7, 29, v7
	s_delay_alu instid0(VALU_DEP_2) | instskip(NEXT) | instid1(VALU_DEP_2)
	v_lshlrev_b32_e32 v3, v8, v3
	v_cndmask_b32_e32 v7, v9, v7, vcc_lo
	s_delay_alu instid0(VALU_DEP_2) | instskip(NEXT) | instid1(VALU_DEP_1)
	v_and_b32_e32 v3, 7, v3
	v_cndmask_b32_e32 v3, v6, v3, vcc_lo
	s_delay_alu instid0(VALU_DEP_3) | instskip(NEXT) | instid1(VALU_DEP_2)
	v_lshl_add_u32 v6, v7, 23, 0x3b800000
	v_lshlrev_b32_e32 v3, 20, v3
	s_delay_alu instid0(VALU_DEP_1) | instskip(NEXT) | instid1(VALU_DEP_1)
	v_or3_b32 v1, v1, v6, v3
	v_trunc_f32_e32 v1, v1
	s_delay_alu instid0(VALU_DEP_1) | instskip(SKIP_1) | instid1(VALU_DEP_2)
	v_mul_f32_e64 v3, 0x2f800000, |v1|
	v_ashrrev_i32_e32 v6, 31, v1
	v_floor_f32_e32 v3, v3
	s_delay_alu instid0(VALU_DEP_1) | instskip(SKIP_1) | instid1(VALU_DEP_2)
	v_fma_f32 v7, 0xcf800000, v3, |v1|
	v_cvt_u32_f32_e32 v1, v3
	v_cvt_u32_f32_e32 v3, v7
	s_delay_alu instid0(VALU_DEP_2) | instskip(NEXT) | instid1(VALU_DEP_2)
	v_dual_mov_b32 v7, v6 :: v_dual_bitop2_b32 v9, v1, v6 bitop3:0x14
	v_xor_b32_e32 v8, v3, v6
	s_delay_alu instid0(VALU_DEP_1)
	v_sub_nc_u64_e32 v[6:7], v[8:9], v[6:7]
.LBB47_536:
	s_or_b32 exec_lo, exec_lo, s27
.LBB47_537:
	s_mov_b32 s27, -1
.LBB47_538:
	s_mov_b32 s28, 0
.LBB47_539:
	s_delay_alu instid0(SALU_CYCLE_1)
	s_and_b32 vcc_lo, exec_lo, s28
	s_cbranch_vccz .LBB47_572
; %bb.540:
	s_cmp_gt_i32 s0, 22
	s_cbranch_scc0 .LBB47_548
; %bb.541:
	s_cmp_lt_i32 s0, 24
	s_cbranch_scc1 .LBB47_551
; %bb.542:
	s_cmp_gt_i32 s0, 24
	s_cbranch_scc0 .LBB47_552
; %bb.543:
	global_load_u8 v1, v[4:5], off
	s_mov_b32 s28, 0
	s_mov_b32 s27, exec_lo
	s_wait_loadcnt 0x0
	v_cmpx_lt_i16_e32 0x7f, v1
	s_xor_b32 s27, exec_lo, s27
	s_cbranch_execz .LBB47_564
; %bb.544:
	v_cmp_ne_u16_e32 vcc_lo, 0x80, v1
	s_and_b32 s28, vcc_lo, exec_lo
	s_and_not1_saveexec_b32 s27, s27
	s_cbranch_execnz .LBB47_565
.LBB47_545:
	s_or_b32 exec_lo, exec_lo, s27
	v_mov_b64_e32 v[6:7], 0
	s_and_saveexec_b32 s27, s28
	s_cbranch_execz .LBB47_547
.LBB47_546:
	v_and_b32_e32 v3, 0xffff, v1
	s_delay_alu instid0(VALU_DEP_1) | instskip(SKIP_1) | instid1(VALU_DEP_2)
	v_dual_lshlrev_b32 v1, 24, v1 :: v_dual_bitop2_b32 v6, 3, v3 bitop3:0x40
	v_bfe_u32 v9, v3, 2, 5
	v_and_b32_e32 v1, 0x80000000, v1
	s_delay_alu instid0(VALU_DEP_3) | instskip(NEXT) | instid1(VALU_DEP_3)
	v_clz_i32_u32_e32 v7, v6
	v_cmp_eq_u32_e32 vcc_lo, 0, v9
	s_delay_alu instid0(VALU_DEP_2) | instskip(NEXT) | instid1(VALU_DEP_1)
	v_min_u32_e32 v7, 32, v7
	v_subrev_nc_u32_e32 v8, 29, v7
	v_sub_nc_u32_e32 v7, 30, v7
	s_delay_alu instid0(VALU_DEP_2) | instskip(NEXT) | instid1(VALU_DEP_2)
	v_lshlrev_b32_e32 v3, v8, v3
	v_cndmask_b32_e32 v7, v9, v7, vcc_lo
	s_delay_alu instid0(VALU_DEP_2) | instskip(NEXT) | instid1(VALU_DEP_1)
	v_and_b32_e32 v3, 3, v3
	v_cndmask_b32_e32 v3, v6, v3, vcc_lo
	s_delay_alu instid0(VALU_DEP_3) | instskip(NEXT) | instid1(VALU_DEP_2)
	v_lshl_add_u32 v6, v7, 23, 0x37800000
	v_lshlrev_b32_e32 v3, 21, v3
	s_delay_alu instid0(VALU_DEP_1) | instskip(NEXT) | instid1(VALU_DEP_1)
	v_or3_b32 v1, v1, v6, v3
	v_trunc_f32_e32 v1, v1
	s_delay_alu instid0(VALU_DEP_1) | instskip(SKIP_1) | instid1(VALU_DEP_2)
	v_mul_f32_e64 v3, 0x2f800000, |v1|
	v_ashrrev_i32_e32 v6, 31, v1
	v_floor_f32_e32 v3, v3
	s_delay_alu instid0(VALU_DEP_1) | instskip(SKIP_1) | instid1(VALU_DEP_2)
	v_fma_f32 v7, 0xcf800000, v3, |v1|
	v_cvt_u32_f32_e32 v1, v3
	v_cvt_u32_f32_e32 v3, v7
	s_delay_alu instid0(VALU_DEP_2) | instskip(NEXT) | instid1(VALU_DEP_2)
	v_dual_mov_b32 v7, v6 :: v_dual_bitop2_b32 v9, v1, v6 bitop3:0x14
	v_xor_b32_e32 v8, v3, v6
	s_delay_alu instid0(VALU_DEP_1)
	v_sub_nc_u64_e32 v[6:7], v[8:9], v[6:7]
.LBB47_547:
	s_or_b32 exec_lo, exec_lo, s27
	s_mov_b32 s27, 0
	s_branch .LBB47_553
.LBB47_548:
	s_mov_b32 s28, -1
                                        ; implicit-def: $vgpr6_vgpr7
	s_branch .LBB47_559
.LBB47_549:
	s_and_not1_saveexec_b32 s27, s27
	s_cbranch_execz .LBB47_534
.LBB47_550:
	v_cmp_ne_u16_e32 vcc_lo, 0, v1
	s_and_not1_b32 s28, s28, exec_lo
	s_and_b32 s29, vcc_lo, exec_lo
	s_delay_alu instid0(SALU_CYCLE_1)
	s_or_b32 s28, s28, s29
	s_or_b32 exec_lo, exec_lo, s27
	v_mov_b64_e32 v[6:7], 0
	s_and_saveexec_b32 s27, s28
	s_cbranch_execnz .LBB47_535
	s_branch .LBB47_536
.LBB47_551:
	s_mov_b32 s27, -1
                                        ; implicit-def: $vgpr6_vgpr7
	s_branch .LBB47_556
.LBB47_552:
	s_mov_b32 s27, -1
                                        ; implicit-def: $vgpr6_vgpr7
.LBB47_553:
	s_delay_alu instid0(SALU_CYCLE_1)
	s_and_b32 vcc_lo, exec_lo, s27
	s_cbranch_vccz .LBB47_555
; %bb.554:
	global_load_u8 v1, v[4:5], off
	s_wait_loadcnt 0x0
	v_lshlrev_b32_e32 v1, 24, v1
	s_delay_alu instid0(VALU_DEP_1) | instskip(NEXT) | instid1(VALU_DEP_1)
	v_and_b32_e32 v3, 0x7f000000, v1
	v_clz_i32_u32_e32 v6, v3
	v_cmp_ne_u32_e32 vcc_lo, 0, v3
	v_add_nc_u32_e32 v8, 0x1000000, v3
	s_delay_alu instid0(VALU_DEP_3) | instskip(NEXT) | instid1(VALU_DEP_1)
	v_min_u32_e32 v6, 32, v6
	v_sub_nc_u32_e64 v6, v6, 4 clamp
	s_delay_alu instid0(VALU_DEP_1) | instskip(NEXT) | instid1(VALU_DEP_1)
	v_dual_lshlrev_b32 v7, v6, v3 :: v_dual_lshlrev_b32 v6, 23, v6
	v_lshrrev_b32_e32 v7, 4, v7
	s_delay_alu instid0(VALU_DEP_1) | instskip(NEXT) | instid1(VALU_DEP_1)
	v_dual_sub_nc_u32 v6, v7, v6 :: v_dual_ashrrev_i32 v7, 8, v8
	v_add_nc_u32_e32 v6, 0x3c000000, v6
	s_delay_alu instid0(VALU_DEP_1) | instskip(NEXT) | instid1(VALU_DEP_1)
	v_and_or_b32 v6, 0x7f800000, v7, v6
	v_cndmask_b32_e32 v3, 0, v6, vcc_lo
	s_delay_alu instid0(VALU_DEP_1) | instskip(NEXT) | instid1(VALU_DEP_1)
	v_and_or_b32 v1, 0x80000000, v1, v3
	v_trunc_f32_e32 v1, v1
	s_delay_alu instid0(VALU_DEP_1) | instskip(SKIP_1) | instid1(VALU_DEP_2)
	v_mul_f32_e64 v3, 0x2f800000, |v1|
	v_ashrrev_i32_e32 v6, 31, v1
	v_floor_f32_e32 v3, v3
	s_delay_alu instid0(VALU_DEP_1) | instskip(SKIP_1) | instid1(VALU_DEP_2)
	v_fma_f32 v7, 0xcf800000, v3, |v1|
	v_cvt_u32_f32_e32 v1, v3
	v_cvt_u32_f32_e32 v3, v7
	s_delay_alu instid0(VALU_DEP_2) | instskip(NEXT) | instid1(VALU_DEP_2)
	v_dual_mov_b32 v7, v6 :: v_dual_bitop2_b32 v9, v1, v6 bitop3:0x14
	v_xor_b32_e32 v8, v3, v6
	s_delay_alu instid0(VALU_DEP_1)
	v_sub_nc_u64_e32 v[6:7], v[8:9], v[6:7]
.LBB47_555:
	s_mov_b32 s27, 0
.LBB47_556:
	s_delay_alu instid0(SALU_CYCLE_1)
	s_and_not1_b32 vcc_lo, exec_lo, s27
	s_cbranch_vccnz .LBB47_558
; %bb.557:
	global_load_u8 v1, v[4:5], off
	s_wait_loadcnt 0x0
	v_lshlrev_b32_e32 v3, 25, v1
	v_lshlrev_b16 v1, 8, v1
	s_delay_alu instid0(VALU_DEP_1) | instskip(SKIP_1) | instid1(VALU_DEP_2)
	v_and_or_b32 v7, 0x7f00, v1, 0.5
	v_bfe_i32 v1, v1, 0, 16
	v_add_f32_e32 v7, -0.5, v7
	v_lshrrev_b32_e32 v6, 4, v3
	v_cmp_gt_u32_e32 vcc_lo, 0x8000000, v3
	s_delay_alu instid0(VALU_DEP_2) | instskip(NEXT) | instid1(VALU_DEP_1)
	v_or_b32_e32 v6, 0x70000000, v6
	v_mul_f32_e32 v6, 0x7800000, v6
	s_delay_alu instid0(VALU_DEP_1) | instskip(NEXT) | instid1(VALU_DEP_1)
	v_cndmask_b32_e32 v3, v6, v7, vcc_lo
	v_and_or_b32 v1, 0x80000000, v1, v3
	s_delay_alu instid0(VALU_DEP_1) | instskip(NEXT) | instid1(VALU_DEP_1)
	v_trunc_f32_e32 v1, v1
	v_mul_f32_e64 v3, 0x2f800000, |v1|
	v_ashrrev_i32_e32 v6, 31, v1
	s_delay_alu instid0(VALU_DEP_2) | instskip(NEXT) | instid1(VALU_DEP_1)
	v_floor_f32_e32 v3, v3
	v_fma_f32 v7, 0xcf800000, v3, |v1|
	v_cvt_u32_f32_e32 v1, v3
	s_delay_alu instid0(VALU_DEP_2) | instskip(NEXT) | instid1(VALU_DEP_2)
	v_cvt_u32_f32_e32 v3, v7
	v_dual_mov_b32 v7, v6 :: v_dual_bitop2_b32 v9, v1, v6 bitop3:0x14
	s_delay_alu instid0(VALU_DEP_2) | instskip(NEXT) | instid1(VALU_DEP_1)
	v_xor_b32_e32 v8, v3, v6
	v_sub_nc_u64_e32 v[6:7], v[8:9], v[6:7]
.LBB47_558:
	s_mov_b32 s28, 0
	s_mov_b32 s27, -1
.LBB47_559:
	s_and_not1_b32 vcc_lo, exec_lo, s28
	s_cbranch_vccnz .LBB47_572
; %bb.560:
	s_cmp_gt_i32 s0, 14
	s_cbranch_scc0 .LBB47_563
; %bb.561:
	s_cmp_eq_u32 s0, 15
	s_cbranch_scc0 .LBB47_566
; %bb.562:
	global_load_u16 v1, v[4:5], off
	s_mov_b32 s27, -1
	s_mov_b32 s26, 0
	s_wait_loadcnt 0x0
	v_lshlrev_b32_e32 v1, 16, v1
	s_delay_alu instid0(VALU_DEP_1) | instskip(NEXT) | instid1(VALU_DEP_1)
	v_trunc_f32_e32 v1, v1
	v_mul_f32_e64 v3, 0x2f800000, |v1|
	v_ashrrev_i32_e32 v6, 31, v1
	s_delay_alu instid0(VALU_DEP_2) | instskip(NEXT) | instid1(VALU_DEP_1)
	v_floor_f32_e32 v3, v3
	v_fma_f32 v7, 0xcf800000, v3, |v1|
	v_cvt_u32_f32_e32 v1, v3
	s_delay_alu instid0(VALU_DEP_2) | instskip(NEXT) | instid1(VALU_DEP_2)
	v_cvt_u32_f32_e32 v3, v7
	v_dual_mov_b32 v7, v6 :: v_dual_bitop2_b32 v9, v1, v6 bitop3:0x14
	s_delay_alu instid0(VALU_DEP_2) | instskip(NEXT) | instid1(VALU_DEP_1)
	v_xor_b32_e32 v8, v3, v6
	v_sub_nc_u64_e32 v[6:7], v[8:9], v[6:7]
	s_branch .LBB47_567
.LBB47_563:
	s_mov_b32 s28, -1
                                        ; implicit-def: $vgpr6_vgpr7
	s_branch .LBB47_568
.LBB47_564:
	s_and_not1_saveexec_b32 s27, s27
	s_cbranch_execz .LBB47_545
.LBB47_565:
	v_cmp_ne_u16_e32 vcc_lo, 0, v1
	s_and_not1_b32 s28, s28, exec_lo
	s_and_b32 s29, vcc_lo, exec_lo
	s_delay_alu instid0(SALU_CYCLE_1)
	s_or_b32 s28, s28, s29
	s_or_b32 exec_lo, exec_lo, s27
	v_mov_b64_e32 v[6:7], 0
	s_and_saveexec_b32 s27, s28
	s_cbranch_execnz .LBB47_546
	s_branch .LBB47_547
.LBB47_566:
	s_mov_b32 s26, -1
                                        ; implicit-def: $vgpr6_vgpr7
.LBB47_567:
	s_mov_b32 s28, 0
.LBB47_568:
	s_delay_alu instid0(SALU_CYCLE_1)
	s_and_b32 vcc_lo, exec_lo, s28
	s_cbranch_vccz .LBB47_572
; %bb.569:
	s_cmp_eq_u32 s0, 11
	s_cbranch_scc0 .LBB47_571
; %bb.570:
	global_load_u8 v1, v[4:5], off
	s_mov_b32 s26, 0
	s_mov_b32 s27, -1
	s_wait_loadcnt 0x1
	v_mov_b32_e32 v7, s26
	s_wait_loadcnt 0x0
	v_cmp_ne_u16_e32 vcc_lo, 0, v1
	v_cndmask_b32_e64 v6, 0, 1, vcc_lo
	s_branch .LBB47_572
.LBB47_571:
	s_mov_b32 s26, -1
                                        ; implicit-def: $vgpr6_vgpr7
.LBB47_572:
	s_mov_b32 s28, 0
.LBB47_573:
	s_delay_alu instid0(SALU_CYCLE_1)
	s_and_b32 vcc_lo, exec_lo, s28
	s_cbranch_vccz .LBB47_622
; %bb.574:
	s_cmp_lt_i32 s0, 5
	s_cbranch_scc1 .LBB47_579
; %bb.575:
	s_cmp_lt_i32 s0, 8
	s_cbranch_scc1 .LBB47_580
	;; [unrolled: 3-line block ×3, first 2 shown]
; %bb.577:
	s_cmp_gt_i32 s0, 9
	s_cbranch_scc0 .LBB47_582
; %bb.578:
	s_wait_loadcnt 0x0
	global_load_b64 v[6:7], v[4:5], off
	s_mov_b32 s27, 0
	s_wait_loadcnt 0x0
	v_trunc_f64_e32 v[6:7], v[6:7]
	s_delay_alu instid0(VALU_DEP_1) | instskip(NEXT) | instid1(VALU_DEP_1)
	v_ldexp_f64 v[8:9], v[6:7], 0xffffffe0
	v_floor_f64_e32 v[8:9], v[8:9]
	s_delay_alu instid0(VALU_DEP_1) | instskip(SKIP_1) | instid1(VALU_DEP_2)
	v_fmamk_f64 v[10:11], v[8:9], 0xc1f00000, v[6:7]
	v_cvt_i32_f64_e32 v7, v[8:9]
	v_cvt_u32_f64_e32 v6, v[10:11]
	s_branch .LBB47_583
.LBB47_579:
	s_mov_b32 s27, -1
                                        ; implicit-def: $vgpr6_vgpr7
	s_branch .LBB47_601
.LBB47_580:
	s_mov_b32 s27, -1
                                        ; implicit-def: $vgpr6_vgpr7
	s_branch .LBB47_589
.LBB47_581:
	s_mov_b32 s27, -1
                                        ; implicit-def: $vgpr6_vgpr7
	s_branch .LBB47_586
.LBB47_582:
	s_mov_b32 s27, -1
                                        ; implicit-def: $vgpr6_vgpr7
.LBB47_583:
	s_delay_alu instid0(SALU_CYCLE_1)
	s_and_not1_b32 vcc_lo, exec_lo, s27
	s_cbranch_vccnz .LBB47_585
; %bb.584:
	global_load_b32 v1, v[4:5], off
	s_wait_loadcnt 0x0
	v_trunc_f32_e32 v1, v1
	s_delay_alu instid0(VALU_DEP_1) | instskip(SKIP_1) | instid1(VALU_DEP_2)
	v_mul_f32_e64 v3, 0x2f800000, |v1|
	v_ashrrev_i32_e32 v6, 31, v1
	v_floor_f32_e32 v3, v3
	s_delay_alu instid0(VALU_DEP_1) | instskip(SKIP_1) | instid1(VALU_DEP_2)
	v_fma_f32 v7, 0xcf800000, v3, |v1|
	v_cvt_u32_f32_e32 v1, v3
	v_cvt_u32_f32_e32 v3, v7
	s_delay_alu instid0(VALU_DEP_2) | instskip(NEXT) | instid1(VALU_DEP_2)
	v_dual_mov_b32 v7, v6 :: v_dual_bitop2_b32 v9, v1, v6 bitop3:0x14
	v_xor_b32_e32 v8, v3, v6
	s_delay_alu instid0(VALU_DEP_1)
	v_sub_nc_u64_e32 v[6:7], v[8:9], v[6:7]
.LBB47_585:
	s_mov_b32 s27, 0
.LBB47_586:
	s_delay_alu instid0(SALU_CYCLE_1)
	s_and_not1_b32 vcc_lo, exec_lo, s27
	s_cbranch_vccnz .LBB47_588
; %bb.587:
	global_load_b32 v1, v[4:5], off
	s_wait_loadcnt 0x0
	v_cvt_f32_f16_e32 v1, v1
	s_delay_alu instid0(VALU_DEP_1) | instskip(NEXT) | instid1(VALU_DEP_1)
	v_cvt_i32_f32_e32 v6, v1
	v_ashrrev_i32_e32 v7, 31, v6
.LBB47_588:
	s_mov_b32 s27, 0
.LBB47_589:
	s_delay_alu instid0(SALU_CYCLE_1)
	s_and_not1_b32 vcc_lo, exec_lo, s27
	s_cbranch_vccnz .LBB47_600
; %bb.590:
	s_cmp_lt_i32 s0, 6
	s_cbranch_scc1 .LBB47_593
; %bb.591:
	s_cmp_gt_i32 s0, 6
	s_cbranch_scc0 .LBB47_594
; %bb.592:
	s_wait_loadcnt 0x0
	global_load_b64 v[6:7], v[4:5], off
	s_mov_b32 s27, 0
	s_wait_loadcnt 0x0
	v_trunc_f64_e32 v[6:7], v[6:7]
	s_delay_alu instid0(VALU_DEP_1) | instskip(NEXT) | instid1(VALU_DEP_1)
	v_ldexp_f64 v[8:9], v[6:7], 0xffffffe0
	v_floor_f64_e32 v[8:9], v[8:9]
	s_delay_alu instid0(VALU_DEP_1) | instskip(SKIP_1) | instid1(VALU_DEP_2)
	v_fmamk_f64 v[10:11], v[8:9], 0xc1f00000, v[6:7]
	v_cvt_i32_f64_e32 v7, v[8:9]
	v_cvt_u32_f64_e32 v6, v[10:11]
	s_branch .LBB47_595
.LBB47_593:
	s_mov_b32 s27, -1
                                        ; implicit-def: $vgpr6_vgpr7
	s_branch .LBB47_598
.LBB47_594:
	s_mov_b32 s27, -1
                                        ; implicit-def: $vgpr6_vgpr7
.LBB47_595:
	s_delay_alu instid0(SALU_CYCLE_1)
	s_and_not1_b32 vcc_lo, exec_lo, s27
	s_cbranch_vccnz .LBB47_597
; %bb.596:
	global_load_b32 v1, v[4:5], off
	s_wait_loadcnt 0x0
	v_trunc_f32_e32 v1, v1
	s_delay_alu instid0(VALU_DEP_1) | instskip(SKIP_1) | instid1(VALU_DEP_2)
	v_mul_f32_e64 v3, 0x2f800000, |v1|
	v_ashrrev_i32_e32 v6, 31, v1
	v_floor_f32_e32 v3, v3
	s_delay_alu instid0(VALU_DEP_1) | instskip(SKIP_1) | instid1(VALU_DEP_2)
	v_fma_f32 v7, 0xcf800000, v3, |v1|
	v_cvt_u32_f32_e32 v1, v3
	v_cvt_u32_f32_e32 v3, v7
	s_delay_alu instid0(VALU_DEP_2) | instskip(NEXT) | instid1(VALU_DEP_2)
	v_dual_mov_b32 v7, v6 :: v_dual_bitop2_b32 v9, v1, v6 bitop3:0x14
	v_xor_b32_e32 v8, v3, v6
	s_delay_alu instid0(VALU_DEP_1)
	v_sub_nc_u64_e32 v[6:7], v[8:9], v[6:7]
.LBB47_597:
	s_mov_b32 s27, 0
.LBB47_598:
	s_delay_alu instid0(SALU_CYCLE_1)
	s_and_not1_b32 vcc_lo, exec_lo, s27
	s_cbranch_vccnz .LBB47_600
; %bb.599:
	global_load_u16 v1, v[4:5], off
	s_wait_loadcnt 0x0
	v_cvt_f32_f16_e32 v1, v1
	s_delay_alu instid0(VALU_DEP_1) | instskip(NEXT) | instid1(VALU_DEP_1)
	v_cvt_i32_f32_e32 v6, v1
	v_ashrrev_i32_e32 v7, 31, v6
.LBB47_600:
	s_mov_b32 s27, 0
.LBB47_601:
	s_delay_alu instid0(SALU_CYCLE_1)
	s_and_not1_b32 vcc_lo, exec_lo, s27
	s_cbranch_vccnz .LBB47_621
; %bb.602:
	s_cmp_lt_i32 s0, 2
	s_cbranch_scc1 .LBB47_606
; %bb.603:
	s_cmp_lt_i32 s0, 3
	s_cbranch_scc1 .LBB47_607
; %bb.604:
	s_cmp_gt_i32 s0, 3
	s_cbranch_scc0 .LBB47_608
; %bb.605:
	s_wait_loadcnt 0x0
	global_load_b64 v[6:7], v[4:5], off
	s_mov_b32 s27, 0
	s_branch .LBB47_609
.LBB47_606:
	s_mov_b32 s27, -1
                                        ; implicit-def: $vgpr6_vgpr7
	s_branch .LBB47_615
.LBB47_607:
	s_mov_b32 s27, -1
                                        ; implicit-def: $vgpr6_vgpr7
	s_branch .LBB47_612
.LBB47_608:
	s_mov_b32 s27, -1
                                        ; implicit-def: $vgpr6_vgpr7
.LBB47_609:
	s_delay_alu instid0(SALU_CYCLE_1)
	s_and_not1_b32 vcc_lo, exec_lo, s27
	s_cbranch_vccnz .LBB47_611
; %bb.610:
	s_wait_loadcnt 0x0
	global_load_b32 v6, v[4:5], off
	s_wait_loadcnt 0x0
	v_ashrrev_i32_e32 v7, 31, v6
.LBB47_611:
	s_mov_b32 s27, 0
.LBB47_612:
	s_delay_alu instid0(SALU_CYCLE_1)
	s_and_not1_b32 vcc_lo, exec_lo, s27
	s_cbranch_vccnz .LBB47_614
; %bb.613:
	global_load_u16 v1, v[4:5], off
	s_wait_loadcnt 0x0
	v_bfe_i32 v6, v1, 0, 16
	s_delay_alu instid0(VALU_DEP_1)
	v_ashrrev_i32_e32 v7, 31, v6
.LBB47_614:
	s_mov_b32 s27, 0
.LBB47_615:
	s_delay_alu instid0(SALU_CYCLE_1)
	s_and_not1_b32 vcc_lo, exec_lo, s27
	s_cbranch_vccnz .LBB47_621
; %bb.616:
	s_cmp_gt_i32 s0, 0
	s_mov_b32 s0, 0
	s_cbranch_scc0 .LBB47_618
; %bb.617:
	global_load_i8 v1, v[4:5], off
	s_wait_loadcnt 0x0
	v_bfe_i32 v6, v1, 0, 16
	s_delay_alu instid0(VALU_DEP_1)
	v_ashrrev_i32_e32 v7, 31, v6
	s_branch .LBB47_619
.LBB47_618:
	s_mov_b32 s0, -1
                                        ; implicit-def: $vgpr6_vgpr7
.LBB47_619:
	s_delay_alu instid0(SALU_CYCLE_1)
	s_and_not1_b32 vcc_lo, exec_lo, s0
	s_cbranch_vccnz .LBB47_621
; %bb.620:
	global_load_u8 v1, v[4:5], off
	s_mov_b32 s0, 0
	s_wait_loadcnt 0x1
	v_mov_b32_e32 v7, s0
	s_wait_loadcnt 0x0
	v_and_b32_e32 v6, 0xffff, v1
.LBB47_621:
	s_mov_b32 s27, -1
.LBB47_622:
	s_delay_alu instid0(SALU_CYCLE_1)
	s_and_not1_b32 vcc_lo, exec_lo, s27
	s_cbranch_vccnz .LBB47_631
; %bb.623:
	s_wait_loadcnt 0x0
	s_delay_alu instid0(VALU_DEP_1)
	v_cmp_le_i64_e32 vcc_lo, s[8:9], v[6:7]
	v_cmp_gt_i64_e64 s0, s[10:11], v[6:7]
	s_mov_b32 s27, 0
	s_mov_b32 s28, -1
	s_mov_b32 s29, s49
	s_and_b32 s0, vcc_lo, s0
	s_delay_alu instid0(SALU_CYCLE_1)
	s_and_b32 s30, s13, s0
	s_wait_xcnt 0x0
	s_and_saveexec_b32 s0, s30
	s_cbranch_execz .LBB47_719
; %bb.624:
	v_mov_b32_e32 v3, 0
	s_and_b32 s28, s38, 0xff
	s_delay_alu instid0(SALU_CYCLE_1) | instskip(NEXT) | instid1(VALU_DEP_1)
	s_cmp_lt_i32 s28, 11
	v_add_nc_u64_e32 v[2:3], s[4:5], v[2:3]
	s_cbranch_scc1 .LBB47_632
; %bb.625:
	s_and_b32 s29, 0xffff, s28
	s_delay_alu instid0(SALU_CYCLE_1)
	s_cmp_gt_i32 s29, 25
	s_cbranch_scc0 .LBB47_633
; %bb.626:
	s_cmp_gt_i32 s29, 28
	s_cbranch_scc0 .LBB47_634
; %bb.627:
	;; [unrolled: 3-line block ×4, first 2 shown]
	s_mov_b32 s31, 0
	s_mov_b32 s27, -1
	s_cmp_eq_u32 s29, 46
	s_mov_b32 s30, 0
	s_cbranch_scc0 .LBB47_637
; %bb.630:
	v_mov_b32_e32 v1, 0
	s_mov_b32 s30, -1
	s_mov_b32 s27, 0
	global_store_b32 v[2:3], v1, off
	s_branch .LBB47_637
.LBB47_631:
	s_mov_b32 s27, 0
	s_mov_b32 s29, s49
	;; [unrolled: 1-line block ×3, first 2 shown]
                                        ; implicit-def: $vgpr0
	s_branch .LBB47_720
.LBB47_632:
	s_mov_b32 s29, -1
	s_mov_b32 s30, 0
	s_mov_b32 s27, s49
	s_branch .LBB47_676
.LBB47_633:
	s_mov_b32 s31, -1
	s_mov_b32 s30, 0
	s_mov_b32 s27, s49
	s_branch .LBB47_656
.LBB47_634:
	s_mov_b32 s31, -1
	s_mov_b32 s30, 0
	s_mov_b32 s27, s49
	s_branch .LBB47_645
.LBB47_635:
	s_mov_b32 s31, -1
	s_mov_b32 s30, 0
	s_mov_b32 s27, s49
	s_branch .LBB47_641
.LBB47_636:
	s_mov_b32 s31, -1
	s_mov_b32 s30, 0
	s_mov_b32 s27, s49
.LBB47_637:
	s_and_b32 vcc_lo, exec_lo, s31
	s_cbranch_vccz .LBB47_640
; %bb.638:
	s_cmp_eq_u32 s29, 44
	s_mov_b32 s27, -1
	s_cbranch_scc0 .LBB47_640
; %bb.639:
	s_wait_xcnt 0x0
	v_mov_b32_e32 v1, 0
	s_mov_b32 s30, -1
	s_mov_b32 s27, 0
	global_store_b8 v[2:3], v1, off
.LBB47_640:
	s_mov_b32 s31, 0
.LBB47_641:
	s_delay_alu instid0(SALU_CYCLE_1)
	s_and_b32 vcc_lo, exec_lo, s31
	s_cbranch_vccz .LBB47_644
; %bb.642:
	s_cmp_eq_u32 s29, 29
	s_mov_b32 s27, -1
	s_cbranch_scc0 .LBB47_644
; %bb.643:
	v_mov_b64_e32 v[4:5], 0
	s_mov_b32 s30, -1
	s_mov_b32 s27, 0
	s_mov_b32 s31, 0
	global_store_b64 v[2:3], v[4:5], off
	s_branch .LBB47_645
.LBB47_644:
	s_mov_b32 s31, 0
.LBB47_645:
	s_delay_alu instid0(SALU_CYCLE_1)
	s_and_b32 vcc_lo, exec_lo, s31
	s_cbranch_vccz .LBB47_655
; %bb.646:
	s_cmp_lt_i32 s29, 27
	s_mov_b32 s30, -1
	s_cbranch_scc1 .LBB47_652
; %bb.647:
	s_cmp_gt_i32 s29, 27
	s_cbranch_scc0 .LBB47_649
; %bb.648:
	s_wait_xcnt 0x0
	v_mov_b32_e32 v1, 0
	s_mov_b32 s30, 0
	global_store_b32 v[2:3], v1, off
.LBB47_649:
	s_and_not1_b32 vcc_lo, exec_lo, s30
	s_cbranch_vccnz .LBB47_651
; %bb.650:
	s_wait_xcnt 0x0
	v_mov_b32_e32 v1, 0
	global_store_b16 v[2:3], v1, off
.LBB47_651:
	s_mov_b32 s30, 0
.LBB47_652:
	s_delay_alu instid0(SALU_CYCLE_1)
	s_and_not1_b32 vcc_lo, exec_lo, s30
	s_cbranch_vccnz .LBB47_654
; %bb.653:
	s_wait_xcnt 0x0
	v_mov_b32_e32 v1, 0
	global_store_b8 v[2:3], v1, off
.LBB47_654:
	s_mov_b32 s30, -1
.LBB47_655:
	s_mov_b32 s31, 0
.LBB47_656:
	s_delay_alu instid0(SALU_CYCLE_1)
	s_and_b32 vcc_lo, exec_lo, s31
	s_cbranch_vccz .LBB47_675
; %bb.657:
	s_cmp_gt_i32 s29, 22
	s_mov_b32 s31, -1
	s_cbranch_scc0 .LBB47_667
; %bb.658:
	s_cmp_lt_i32 s29, 24
	s_mov_b32 s30, -1
	s_cbranch_scc1 .LBB47_664
; %bb.659:
	s_cmp_gt_i32 s29, 24
	s_cbranch_scc0 .LBB47_661
; %bb.660:
	s_wait_xcnt 0x0
	v_mov_b32_e32 v1, 0
	s_mov_b32 s30, 0
	global_store_b8 v[2:3], v1, off
.LBB47_661:
	s_and_not1_b32 vcc_lo, exec_lo, s30
	s_cbranch_vccnz .LBB47_663
; %bb.662:
	s_wait_xcnt 0x0
	v_mov_b32_e32 v1, 0
	global_store_b8 v[2:3], v1, off
.LBB47_663:
	s_mov_b32 s30, 0
.LBB47_664:
	s_delay_alu instid0(SALU_CYCLE_1)
	s_and_not1_b32 vcc_lo, exec_lo, s30
	s_cbranch_vccnz .LBB47_666
; %bb.665:
	s_wait_xcnt 0x0
	v_mov_b32_e32 v1, 0
	global_store_b8 v[2:3], v1, off
.LBB47_666:
	s_mov_b32 s31, 0
	s_mov_b32 s30, -1
.LBB47_667:
	s_and_not1_b32 vcc_lo, exec_lo, s31
	s_cbranch_vccnz .LBB47_675
; %bb.668:
	s_cmp_gt_i32 s29, 14
	s_mov_b32 s31, -1
	s_cbranch_scc0 .LBB47_672
; %bb.669:
	s_cmp_eq_u32 s29, 15
	s_mov_b32 s27, -1
	s_cbranch_scc0 .LBB47_671
; %bb.670:
	s_wait_xcnt 0x0
	v_mov_b32_e32 v1, 0
	s_mov_b32 s30, -1
	s_mov_b32 s27, 0
	global_store_b16 v[2:3], v1, off
.LBB47_671:
	s_mov_b32 s31, 0
.LBB47_672:
	s_delay_alu instid0(SALU_CYCLE_1)
	s_and_b32 vcc_lo, exec_lo, s31
	s_cbranch_vccz .LBB47_675
; %bb.673:
	s_cmp_eq_u32 s29, 11
	s_mov_b32 s27, -1
	s_cbranch_scc0 .LBB47_675
; %bb.674:
	s_wait_xcnt 0x0
	v_mov_b32_e32 v1, 0
	s_mov_b32 s30, -1
	s_mov_b32 s27, 0
	global_store_b8 v[2:3], v1, off
.LBB47_675:
	s_mov_b32 s29, 0
.LBB47_676:
	s_delay_alu instid0(SALU_CYCLE_1)
	s_and_b32 vcc_lo, exec_lo, s29
	s_cbranch_vccz .LBB47_715
; %bb.677:
	s_and_b32 s28, 0xffff, s28
	s_mov_b32 s29, -1
	s_cmp_lt_i32 s28, 5
	s_cbranch_scc1 .LBB47_698
; %bb.678:
	s_cmp_lt_i32 s28, 8
	s_cbranch_scc1 .LBB47_688
; %bb.679:
	;; [unrolled: 3-line block ×3, first 2 shown]
	s_cmp_gt_i32 s28, 9
	s_cbranch_scc0 .LBB47_682
; %bb.681:
	s_wait_xcnt 0x0
	v_mov_b32_e32 v4, 0
	s_mov_b32 s29, 0
	s_delay_alu instid0(VALU_DEP_1)
	v_dual_mov_b32 v5, v4 :: v_dual_mov_b32 v6, v4
	v_mov_b32_e32 v7, v4
	global_store_b128 v[2:3], v[4:7], off
.LBB47_682:
	s_and_not1_b32 vcc_lo, exec_lo, s29
	s_cbranch_vccnz .LBB47_684
; %bb.683:
	s_wait_xcnt 0x0
	v_mov_b64_e32 v[4:5], 0
	global_store_b64 v[2:3], v[4:5], off
.LBB47_684:
	s_mov_b32 s29, 0
.LBB47_685:
	s_delay_alu instid0(SALU_CYCLE_1)
	s_and_not1_b32 vcc_lo, exec_lo, s29
	s_cbranch_vccnz .LBB47_687
; %bb.686:
	s_wait_xcnt 0x0
	v_mov_b32_e32 v1, 0
	global_store_b32 v[2:3], v1, off
.LBB47_687:
	s_mov_b32 s29, 0
.LBB47_688:
	s_delay_alu instid0(SALU_CYCLE_1)
	s_and_not1_b32 vcc_lo, exec_lo, s29
	s_cbranch_vccnz .LBB47_697
; %bb.689:
	s_cmp_lt_i32 s28, 6
	s_mov_b32 s29, -1
	s_cbranch_scc1 .LBB47_695
; %bb.690:
	s_cmp_gt_i32 s28, 6
	s_cbranch_scc0 .LBB47_692
; %bb.691:
	s_wait_xcnt 0x0
	v_mov_b64_e32 v[4:5], 0
	s_mov_b32 s29, 0
	global_store_b64 v[2:3], v[4:5], off
.LBB47_692:
	s_and_not1_b32 vcc_lo, exec_lo, s29
	s_cbranch_vccnz .LBB47_694
; %bb.693:
	s_wait_xcnt 0x0
	v_mov_b32_e32 v1, 0
	global_store_b32 v[2:3], v1, off
.LBB47_694:
	s_mov_b32 s29, 0
.LBB47_695:
	s_delay_alu instid0(SALU_CYCLE_1)
	s_and_not1_b32 vcc_lo, exec_lo, s29
	s_cbranch_vccnz .LBB47_697
; %bb.696:
	s_wait_xcnt 0x0
	v_mov_b32_e32 v1, 0
	global_store_b16 v[2:3], v1, off
.LBB47_697:
	s_mov_b32 s29, 0
.LBB47_698:
	s_delay_alu instid0(SALU_CYCLE_1)
	s_and_not1_b32 vcc_lo, exec_lo, s29
	s_cbranch_vccnz .LBB47_714
; %bb.699:
	s_cmp_lt_i32 s28, 2
	s_mov_b32 s29, -1
	s_cbranch_scc1 .LBB47_709
; %bb.700:
	s_cmp_lt_i32 s28, 3
	s_cbranch_scc1 .LBB47_706
; %bb.701:
	s_cmp_gt_i32 s28, 3
	s_cbranch_scc0 .LBB47_703
; %bb.702:
	s_wait_xcnt 0x0
	v_mov_b64_e32 v[4:5], 0
	s_mov_b32 s29, 0
	global_store_b64 v[2:3], v[4:5], off
.LBB47_703:
	s_and_not1_b32 vcc_lo, exec_lo, s29
	s_cbranch_vccnz .LBB47_705
; %bb.704:
	s_wait_xcnt 0x0
	v_mov_b32_e32 v1, 0
	global_store_b32 v[2:3], v1, off
.LBB47_705:
	s_mov_b32 s29, 0
.LBB47_706:
	s_delay_alu instid0(SALU_CYCLE_1)
	s_and_not1_b32 vcc_lo, exec_lo, s29
	s_cbranch_vccnz .LBB47_708
; %bb.707:
	s_wait_xcnt 0x0
	v_mov_b32_e32 v1, 0
	global_store_b16 v[2:3], v1, off
.LBB47_708:
	s_mov_b32 s29, 0
.LBB47_709:
	s_delay_alu instid0(SALU_CYCLE_1)
	s_and_not1_b32 vcc_lo, exec_lo, s29
	s_cbranch_vccnz .LBB47_714
; %bb.710:
	s_cmp_gt_i32 s28, 0
	s_mov_b32 s28, -1
	s_cbranch_scc0 .LBB47_712
; %bb.711:
	s_wait_xcnt 0x0
	v_mov_b32_e32 v1, 0
	s_mov_b32 s28, 0
	global_store_b8 v[2:3], v1, off
.LBB47_712:
	s_and_not1_b32 vcc_lo, exec_lo, s28
	s_cbranch_vccnz .LBB47_714
; %bb.713:
	s_wait_xcnt 0x0
	v_mov_b32_e32 v1, 0
	global_store_b8 v[2:3], v1, off
.LBB47_714:
	s_mov_b32 s30, -1
.LBB47_715:
	s_delay_alu instid0(SALU_CYCLE_1)
	s_and_not1_b32 vcc_lo, exec_lo, s30
	s_cbranch_vccnz .LBB47_717
; %bb.716:
	v_add_nc_u32_e32 v0, 0x80, v0
	s_mov_b32 s30, -1
	s_branch .LBB47_718
.LBB47_717:
	s_mov_b32 s30, 0
                                        ; implicit-def: $vgpr0
.LBB47_718:
	s_and_not1_b32 s28, s49, exec_lo
	s_and_b32 s27, s27, exec_lo
	s_delay_alu instid0(SALU_CYCLE_1)
	s_or_b32 s29, s28, s27
	s_xor_b32 s28, exec_lo, -1
	s_and_b32 s27, s30, exec_lo
.LBB47_719:
	s_wait_xcnt 0x0
	s_or_b32 exec_lo, exec_lo, s0
.LBB47_720:
	s_delay_alu instid0(SALU_CYCLE_1)
	s_and_not1_b32 s0, s49, exec_lo
	s_and_b32 s29, s29, exec_lo
	s_and_b32 s28, s28, exec_lo
	s_or_b32 s30, s0, s29
	s_and_not1_b32 s0, s50, exec_lo
	s_and_not1_b32 s29, s48, exec_lo
	s_and_b32 s26, s26, exec_lo
	s_or_b32 s31, s0, s28
	s_or_b32 s0, s29, s26
	s_or_not1_b32 s29, s27, exec_lo
.LBB47_721:
	s_wait_xcnt 0x0
	s_or_b32 exec_lo, exec_lo, s52
	s_mov_b32 s26, 0
	s_mov_b32 s27, 0
	;; [unrolled: 1-line block ×3, first 2 shown]
                                        ; implicit-def: $vgpr4_vgpr5
                                        ; implicit-def: $vgpr2
                                        ; implicit-def: $vgpr6_vgpr7
	s_and_saveexec_b32 s52, s29
	s_cbranch_execz .LBB47_815
; %bb.722:
	v_cmp_gt_i32_e32 vcc_lo, s41, v0
	s_mov_b32 s29, s0
                                        ; implicit-def: $vgpr4_vgpr5
                                        ; implicit-def: $vgpr2
                                        ; implicit-def: $vgpr6_vgpr7
	s_and_saveexec_b32 s41, vcc_lo
	s_cbranch_execz .LBB47_814
; %bb.723:
	s_and_not1_b32 vcc_lo, exec_lo, s36
	s_cbranch_vccnz .LBB47_729
; %bb.724:
	s_and_not1_b32 vcc_lo, exec_lo, s43
	s_cbranch_vccnz .LBB47_730
; %bb.725:
	s_add_co_i32 s42, s42, 1
	s_cmp_eq_u32 s34, 2
	s_cbranch_scc1 .LBB47_731
; %bb.726:
	v_dual_mov_b32 v2, 0 :: v_dual_mov_b32 v4, 0
	v_mov_b32_e32 v1, v0
	s_and_b32 s26, s42, 28
	s_mov_b64 s[28:29], s[2:3]
.LBB47_727:                             ; =>This Inner Loop Header: Depth=1
	s_clause 0x1
	s_load_b256 s[56:63], s[28:29], 0x4
	s_load_b128 s[72:75], s[28:29], 0x24
	s_load_b256 s[64:71], s[24:25], 0x0
	s_add_co_i32 s27, s27, 4
	s_wait_xcnt 0x0
	s_add_nc_u64 s[28:29], s[28:29], 48
	s_cmp_eq_u32 s26, s27
	s_add_nc_u64 s[24:25], s[24:25], 32
	s_wait_kmcnt 0x0
	v_mul_hi_u32 v3, s57, v1
	s_delay_alu instid0(VALU_DEP_1) | instskip(NEXT) | instid1(VALU_DEP_1)
	v_add_nc_u32_e32 v3, v1, v3
	v_lshrrev_b32_e32 v3, s58, v3
	s_delay_alu instid0(VALU_DEP_1) | instskip(NEXT) | instid1(VALU_DEP_1)
	v_mul_hi_u32 v5, s60, v3
	v_add_nc_u32_e32 v5, v3, v5
	s_delay_alu instid0(VALU_DEP_1) | instskip(SKIP_1) | instid1(VALU_DEP_1)
	v_lshrrev_b32_e32 v5, s61, v5
	s_wait_loadcnt 0x0
	v_mul_hi_u32 v6, s63, v5
	s_delay_alu instid0(VALU_DEP_1) | instskip(SKIP_1) | instid1(VALU_DEP_1)
	v_add_nc_u32_e32 v6, v5, v6
	v_mul_lo_u32 v7, v3, s56
	v_sub_nc_u32_e32 v1, v1, v7
	v_mul_lo_u32 v7, v5, s59
	s_delay_alu instid0(VALU_DEP_4) | instskip(NEXT) | instid1(VALU_DEP_3)
	v_lshrrev_b32_e32 v6, s72, v6
	v_mad_u32 v4, v1, s65, v4
	v_mad_u32 v1, v1, s64, v2
	s_delay_alu instid0(VALU_DEP_4) | instskip(NEXT) | instid1(VALU_DEP_4)
	v_sub_nc_u32_e32 v2, v3, v7
	v_mul_hi_u32 v8, s74, v6
	v_mul_lo_u32 v3, v6, s62
	s_delay_alu instid0(VALU_DEP_3) | instskip(SKIP_1) | instid1(VALU_DEP_3)
	v_mad_u32 v4, v2, s67, v4
	v_mad_u32 v2, v2, s66, v1
	v_dual_add_nc_u32 v7, v6, v8 :: v_dual_sub_nc_u32 v3, v5, v3
	s_delay_alu instid0(VALU_DEP_1) | instskip(NEXT) | instid1(VALU_DEP_2)
	v_lshrrev_b32_e32 v1, s75, v7
	v_mad_u32 v4, v3, s69, v4
	s_delay_alu instid0(VALU_DEP_4) | instskip(NEXT) | instid1(VALU_DEP_3)
	v_mad_u32 v2, v3, s68, v2
	v_mul_lo_u32 v5, v1, s73
	s_delay_alu instid0(VALU_DEP_1) | instskip(NEXT) | instid1(VALU_DEP_1)
	v_sub_nc_u32_e32 v3, v6, v5
	v_mad_u32 v4, v3, s71, v4
	s_delay_alu instid0(VALU_DEP_4)
	v_mad_u32 v2, v3, s70, v2
	s_cbranch_scc0 .LBB47_727
; %bb.728:
	s_delay_alu instid0(VALU_DEP_2)
	v_mov_b32_e32 v3, v4
	s_branch .LBB47_732
.LBB47_729:
	s_mov_b32 s24, -1
                                        ; implicit-def: $vgpr4
                                        ; implicit-def: $vgpr2
	s_branch .LBB47_737
.LBB47_730:
	v_dual_mov_b32 v4, 0 :: v_dual_mov_b32 v2, 0
	s_branch .LBB47_736
.LBB47_731:
	v_mov_b64_e32 v[2:3], 0
	v_mov_b32_e32 v1, v0
                                        ; implicit-def: $vgpr4
.LBB47_732:
	s_and_b32 s28, s42, 3
	s_mov_b32 s27, 0
	s_cmp_eq_u32 s28, 0
	s_cbranch_scc1 .LBB47_736
; %bb.733:
	s_lshl_b32 s24, s26, 3
	s_mov_b32 s25, s27
	s_mul_u64 s[26:27], s[26:27], 12
	s_add_nc_u64 s[24:25], s[2:3], s[24:25]
	s_add_nc_u64 s[26:27], s[2:3], s[26:27]
	;; [unrolled: 1-line block ×3, first 2 shown]
.LBB47_734:                             ; =>This Inner Loop Header: Depth=1
	s_load_b96 s[56:58], s[26:27], 0x4
	s_load_b64 s[42:43], s[24:25], 0x0
	s_add_co_i32 s28, s28, -1
	s_wait_xcnt 0x0
	s_add_nc_u64 s[26:27], s[26:27], 12
	s_cmp_lg_u32 s28, 0
	s_add_nc_u64 s[24:25], s[24:25], 8
	s_wait_kmcnt 0x0
	v_mul_hi_u32 v4, s57, v1
	s_delay_alu instid0(VALU_DEP_1) | instskip(NEXT) | instid1(VALU_DEP_1)
	v_add_nc_u32_e32 v4, v1, v4
	v_lshrrev_b32_e32 v4, s58, v4
	s_delay_alu instid0(VALU_DEP_1) | instskip(NEXT) | instid1(VALU_DEP_1)
	v_mul_lo_u32 v5, v4, s56
	v_sub_nc_u32_e32 v1, v1, v5
	s_delay_alu instid0(VALU_DEP_1)
	v_mad_u32 v3, v1, s43, v3
	v_mad_u32 v2, v1, s42, v2
	v_mov_b32_e32 v1, v4
	s_cbranch_scc1 .LBB47_734
; %bb.735:
	s_delay_alu instid0(VALU_DEP_3)
	v_mov_b32_e32 v4, v3
.LBB47_736:
	s_mov_b32 s24, 0
.LBB47_737:
	s_delay_alu instid0(SALU_CYCLE_1)
	s_and_not1_b32 vcc_lo, exec_lo, s24
	s_cbranch_vccnz .LBB47_740
; %bb.738:
	v_mov_b32_e32 v1, 0
	s_and_not1_b32 vcc_lo, exec_lo, s40
	s_delay_alu instid0(VALU_DEP_1) | instskip(NEXT) | instid1(VALU_DEP_1)
	v_mul_u64_e32 v[2:3], s[20:21], v[0:1]
	v_add_nc_u32_e32 v2, v0, v3
	s_wait_loadcnt 0x0
	s_delay_alu instid0(VALU_DEP_1) | instskip(NEXT) | instid1(VALU_DEP_1)
	v_lshrrev_b32_e32 v6, s14, v2
	v_mul_lo_u32 v2, v6, s12
	s_delay_alu instid0(VALU_DEP_1) | instskip(NEXT) | instid1(VALU_DEP_1)
	v_sub_nc_u32_e32 v0, v0, v2
	v_mul_lo_u32 v4, v0, s17
	v_mul_lo_u32 v2, v0, s16
	s_cbranch_vccnz .LBB47_740
; %bb.739:
	v_mov_b32_e32 v7, v1
	s_delay_alu instid0(VALU_DEP_1) | instskip(NEXT) | instid1(VALU_DEP_1)
	v_mul_u64_e32 v[0:1], s[22:23], v[6:7]
	v_add_nc_u32_e32 v0, v6, v1
	s_delay_alu instid0(VALU_DEP_1) | instskip(NEXT) | instid1(VALU_DEP_1)
	v_lshrrev_b32_e32 v0, s1, v0
	v_mul_lo_u32 v0, v0, s15
	s_delay_alu instid0(VALU_DEP_1) | instskip(NEXT) | instid1(VALU_DEP_1)
	v_sub_nc_u32_e32 v0, v6, v0
	v_mad_u32 v2, v0, s18, v2
	v_mad_u32 v4, v0, s19, v4
.LBB47_740:
	v_mov_b32_e32 v5, 0
	s_and_b32 s1, 0xffff, s39
	s_delay_alu instid0(SALU_CYCLE_1) | instskip(NEXT) | instid1(VALU_DEP_1)
	s_cmp_lt_i32 s1, 11
	v_add_nc_u64_e32 v[4:5], s[6:7], v[4:5]
	s_cbranch_scc1 .LBB47_747
; %bb.741:
	s_cmp_gt_i32 s1, 25
	s_mov_b32 s7, 0
	s_cbranch_scc0 .LBB47_748
; %bb.742:
	s_cmp_gt_i32 s1, 28
	s_cbranch_scc0 .LBB47_749
; %bb.743:
	s_cmp_gt_i32 s1, 43
	;; [unrolled: 3-line block ×3, first 2 shown]
	s_cbranch_scc0 .LBB47_751
; %bb.745:
	s_cmp_eq_u32 s1, 46
	s_mov_b32 s14, 0
	s_cbranch_scc0 .LBB47_752
; %bb.746:
	global_load_b32 v0, v[4:5], off
	s_mov_b32 s6, 0
	s_mov_b32 s12, -1
	s_wait_loadcnt 0x0
	v_lshlrev_b32_e32 v0, 16, v0
	s_delay_alu instid0(VALU_DEP_1) | instskip(NEXT) | instid1(VALU_DEP_1)
	v_trunc_f32_e32 v0, v0
	v_mul_f32_e64 v1, 0x2f800000, |v0|
	s_delay_alu instid0(VALU_DEP_1) | instskip(NEXT) | instid1(VALU_DEP_1)
	v_floor_f32_e32 v1, v1
	v_fma_f32 v3, 0xcf800000, v1, |v0|
	v_ashrrev_i32_e32 v0, 31, v0
	v_cvt_u32_f32_e32 v6, v1
	s_delay_alu instid0(VALU_DEP_3) | instskip(NEXT) | instid1(VALU_DEP_2)
	v_cvt_u32_f32_e32 v3, v3
	v_dual_mov_b32 v1, v0 :: v_dual_bitop2_b32 v7, v6, v0 bitop3:0x14
	s_delay_alu instid0(VALU_DEP_2) | instskip(NEXT) | instid1(VALU_DEP_1)
	v_xor_b32_e32 v6, v3, v0
	v_sub_nc_u64_e32 v[6:7], v[6:7], v[0:1]
	s_branch .LBB47_754
.LBB47_747:
	s_mov_b32 s1, -1
	s_mov_b32 s12, 0
	s_mov_b32 s7, 0
	;; [unrolled: 1-line block ×3, first 2 shown]
                                        ; implicit-def: $vgpr6_vgpr7
	s_branch .LBB47_813
.LBB47_748:
	s_mov_b32 s14, -1
	s_mov_b32 s12, 0
	s_mov_b32 s6, s0
                                        ; implicit-def: $vgpr6_vgpr7
	s_branch .LBB47_781
.LBB47_749:
	s_mov_b32 s14, -1
	s_mov_b32 s12, 0
	s_mov_b32 s6, s0
                                        ; implicit-def: $vgpr6_vgpr7
	s_branch .LBB47_764
.LBB47_750:
	s_mov_b32 s14, -1
	s_mov_b32 s12, 0
	s_mov_b32 s6, s0
                                        ; implicit-def: $vgpr6_vgpr7
	s_branch .LBB47_759
.LBB47_751:
	s_mov_b32 s14, -1
	s_mov_b32 s12, 0
	s_mov_b32 s6, s0
	s_branch .LBB47_753
.LBB47_752:
	s_mov_b32 s6, -1
	s_mov_b32 s12, 0
.LBB47_753:
                                        ; implicit-def: $vgpr6_vgpr7
.LBB47_754:
	s_and_b32 vcc_lo, exec_lo, s14
	s_cbranch_vccz .LBB47_758
; %bb.755:
	s_cmp_eq_u32 s1, 44
	s_cbranch_scc0 .LBB47_757
; %bb.756:
	global_load_u8 v3, v[4:5], off
	s_mov_b32 s6, 0
	s_mov_b32 s12, -1
	s_wait_loadcnt 0x0
	v_cmp_ne_u32_e32 vcc_lo, 0, v3
	v_lshlrev_b32_e32 v0, 23, v3
	s_delay_alu instid0(VALU_DEP_1) | instskip(NEXT) | instid1(VALU_DEP_1)
	v_trunc_f32_e32 v0, v0
	v_mul_f32_e64 v1, 0x2f800000, |v0|
	s_delay_alu instid0(VALU_DEP_1) | instskip(NEXT) | instid1(VALU_DEP_1)
	v_floor_f32_e32 v1, v1
	v_fma_f32 v6, 0xcf800000, v1, |v0|
	v_ashrrev_i32_e32 v0, 31, v0
	v_cvt_u32_f32_e32 v7, v1
	s_delay_alu instid0(VALU_DEP_3) | instskip(NEXT) | instid1(VALU_DEP_2)
	v_cvt_u32_f32_e32 v6, v6
	v_dual_mov_b32 v1, v0 :: v_dual_bitop2_b32 v7, v7, v0 bitop3:0x14
	s_delay_alu instid0(VALU_DEP_2) | instskip(NEXT) | instid1(VALU_DEP_1)
	v_xor_b32_e32 v6, v6, v0
	v_sub_nc_u64_e32 v[0:1], v[6:7], v[0:1]
	s_delay_alu instid0(VALU_DEP_1)
	v_dual_cndmask_b32 v7, 0, v1 :: v_dual_cndmask_b32 v6, 0, v0
	s_branch .LBB47_758
.LBB47_757:
	s_mov_b32 s6, -1
                                        ; implicit-def: $vgpr6_vgpr7
.LBB47_758:
	s_mov_b32 s14, 0
.LBB47_759:
	s_delay_alu instid0(SALU_CYCLE_1)
	s_and_b32 vcc_lo, exec_lo, s14
	s_cbranch_vccz .LBB47_763
; %bb.760:
	s_cmp_eq_u32 s1, 29
	s_cbranch_scc0 .LBB47_762
; %bb.761:
	s_wait_loadcnt 0x0
	global_load_b64 v[6:7], v[4:5], off
	s_mov_b32 s6, 0
	s_mov_b32 s12, -1
	s_branch .LBB47_763
.LBB47_762:
	s_mov_b32 s6, -1
                                        ; implicit-def: $vgpr6_vgpr7
.LBB47_763:
	s_mov_b32 s14, 0
.LBB47_764:
	s_delay_alu instid0(SALU_CYCLE_1)
	s_and_b32 vcc_lo, exec_lo, s14
	s_cbranch_vccz .LBB47_780
; %bb.765:
	s_cmp_lt_i32 s1, 27
	s_cbranch_scc1 .LBB47_768
; %bb.766:
	s_cmp_gt_i32 s1, 27
	s_cbranch_scc0 .LBB47_769
; %bb.767:
	s_wait_loadcnt 0x0
	global_load_b32 v6, v[4:5], off
	v_mov_b32_e32 v7, 0
	s_mov_b32 s12, 0
	s_branch .LBB47_770
.LBB47_768:
	s_mov_b32 s12, -1
                                        ; implicit-def: $vgpr6_vgpr7
	s_branch .LBB47_773
.LBB47_769:
	s_mov_b32 s12, -1
                                        ; implicit-def: $vgpr6_vgpr7
.LBB47_770:
	s_delay_alu instid0(SALU_CYCLE_1)
	s_and_not1_b32 vcc_lo, exec_lo, s12
	s_cbranch_vccnz .LBB47_772
; %bb.771:
	global_load_u16 v0, v[4:5], off
	s_mov_b32 s12, 0
	s_wait_loadcnt 0x1
	v_mov_b32_e32 v7, s12
	s_wait_loadcnt 0x0
	v_and_b32_e32 v6, 0xffff, v0
.LBB47_772:
	s_mov_b32 s12, 0
.LBB47_773:
	s_delay_alu instid0(SALU_CYCLE_1)
	s_and_not1_b32 vcc_lo, exec_lo, s12
	s_cbranch_vccnz .LBB47_779
; %bb.774:
	global_load_u8 v0, v[4:5], off
	s_mov_b32 s14, 0
	s_mov_b32 s12, exec_lo
	s_wait_loadcnt 0x0
	v_cmpx_lt_i16_e32 0x7f, v0
	s_xor_b32 s12, exec_lo, s12
	s_cbranch_execz .LBB47_791
; %bb.775:
	v_cmp_ne_u16_e32 vcc_lo, 0x80, v0
	s_and_b32 s14, vcc_lo, exec_lo
	s_and_not1_saveexec_b32 s12, s12
	s_cbranch_execnz .LBB47_792
.LBB47_776:
	s_or_b32 exec_lo, exec_lo, s12
	v_mov_b64_e32 v[6:7], 0
	s_and_saveexec_b32 s12, s14
	s_cbranch_execz .LBB47_778
.LBB47_777:
	v_and_b32_e32 v1, 0xffff, v0
	s_delay_alu instid0(VALU_DEP_1) | instskip(SKIP_1) | instid1(VALU_DEP_2)
	v_and_b32_e32 v3, 7, v1
	v_bfe_u32 v8, v1, 3, 4
	v_clz_i32_u32_e32 v6, v3
	s_delay_alu instid0(VALU_DEP_2) | instskip(NEXT) | instid1(VALU_DEP_2)
	v_cmp_eq_u32_e32 vcc_lo, 0, v8
	v_min_u32_e32 v6, 32, v6
	s_delay_alu instid0(VALU_DEP_1) | instskip(NEXT) | instid1(VALU_DEP_1)
	v_subrev_nc_u32_e32 v7, 28, v6
	v_dual_lshlrev_b32 v1, v7, v1 :: v_dual_sub_nc_u32 v6, 29, v6
	s_delay_alu instid0(VALU_DEP_1) | instskip(NEXT) | instid1(VALU_DEP_1)
	v_dual_lshlrev_b32 v0, 24, v0 :: v_dual_bitop2_b32 v1, 7, v1 bitop3:0x40
	v_dual_cndmask_b32 v6, v8, v6 :: v_dual_cndmask_b32 v1, v3, v1
	s_delay_alu instid0(VALU_DEP_2) | instskip(NEXT) | instid1(VALU_DEP_2)
	v_and_b32_e32 v0, 0x80000000, v0
	v_lshl_add_u32 v3, v6, 23, 0x3b800000
	s_delay_alu instid0(VALU_DEP_3) | instskip(NEXT) | instid1(VALU_DEP_1)
	v_lshlrev_b32_e32 v1, 20, v1
	v_or3_b32 v0, v0, v3, v1
	s_delay_alu instid0(VALU_DEP_1) | instskip(NEXT) | instid1(VALU_DEP_1)
	v_trunc_f32_e32 v0, v0
	v_mul_f32_e64 v1, 0x2f800000, |v0|
	s_delay_alu instid0(VALU_DEP_1) | instskip(NEXT) | instid1(VALU_DEP_1)
	v_floor_f32_e32 v1, v1
	v_fma_f32 v3, 0xcf800000, v1, |v0|
	v_ashrrev_i32_e32 v0, 31, v0
	v_cvt_u32_f32_e32 v6, v1
	s_delay_alu instid0(VALU_DEP_3) | instskip(NEXT) | instid1(VALU_DEP_2)
	v_cvt_u32_f32_e32 v3, v3
	v_dual_mov_b32 v1, v0 :: v_dual_bitop2_b32 v7, v6, v0 bitop3:0x14
	s_delay_alu instid0(VALU_DEP_2) | instskip(NEXT) | instid1(VALU_DEP_1)
	v_xor_b32_e32 v6, v3, v0
	v_sub_nc_u64_e32 v[6:7], v[6:7], v[0:1]
.LBB47_778:
	s_or_b32 exec_lo, exec_lo, s12
.LBB47_779:
	s_mov_b32 s12, -1
.LBB47_780:
	s_mov_b32 s14, 0
.LBB47_781:
	s_delay_alu instid0(SALU_CYCLE_1)
	s_and_b32 vcc_lo, exec_lo, s14
	s_cbranch_vccz .LBB47_812
; %bb.782:
	s_cmp_gt_i32 s1, 22
	s_cbranch_scc0 .LBB47_790
; %bb.783:
	s_cmp_lt_i32 s1, 24
	s_cbranch_scc1 .LBB47_793
; %bb.784:
	s_cmp_gt_i32 s1, 24
	s_cbranch_scc0 .LBB47_794
; %bb.785:
	global_load_u8 v0, v[4:5], off
	s_mov_b32 s12, 0
	s_mov_b32 s7, exec_lo
	s_wait_loadcnt 0x0
	v_cmpx_lt_i16_e32 0x7f, v0
	s_xor_b32 s7, exec_lo, s7
	s_cbranch_execz .LBB47_806
; %bb.786:
	v_cmp_ne_u16_e32 vcc_lo, 0x80, v0
	s_and_b32 s12, vcc_lo, exec_lo
	s_and_not1_saveexec_b32 s7, s7
	s_cbranch_execnz .LBB47_807
.LBB47_787:
	s_or_b32 exec_lo, exec_lo, s7
	v_mov_b64_e32 v[6:7], 0
	s_and_saveexec_b32 s7, s12
	s_cbranch_execz .LBB47_789
.LBB47_788:
	v_and_b32_e32 v1, 0xffff, v0
	s_delay_alu instid0(VALU_DEP_1) | instskip(SKIP_1) | instid1(VALU_DEP_2)
	v_and_b32_e32 v3, 3, v1
	v_bfe_u32 v8, v1, 2, 5
	v_clz_i32_u32_e32 v6, v3
	s_delay_alu instid0(VALU_DEP_2) | instskip(NEXT) | instid1(VALU_DEP_2)
	v_cmp_eq_u32_e32 vcc_lo, 0, v8
	v_min_u32_e32 v6, 32, v6
	s_delay_alu instid0(VALU_DEP_1) | instskip(NEXT) | instid1(VALU_DEP_1)
	v_subrev_nc_u32_e32 v7, 29, v6
	v_dual_lshlrev_b32 v1, v7, v1 :: v_dual_sub_nc_u32 v6, 30, v6
	s_delay_alu instid0(VALU_DEP_1) | instskip(NEXT) | instid1(VALU_DEP_1)
	v_dual_lshlrev_b32 v0, 24, v0 :: v_dual_bitop2_b32 v1, 3, v1 bitop3:0x40
	v_dual_cndmask_b32 v6, v8, v6 :: v_dual_cndmask_b32 v1, v3, v1
	s_delay_alu instid0(VALU_DEP_2) | instskip(NEXT) | instid1(VALU_DEP_2)
	v_and_b32_e32 v0, 0x80000000, v0
	v_lshl_add_u32 v3, v6, 23, 0x37800000
	s_delay_alu instid0(VALU_DEP_3) | instskip(NEXT) | instid1(VALU_DEP_1)
	v_lshlrev_b32_e32 v1, 21, v1
	v_or3_b32 v0, v0, v3, v1
	s_delay_alu instid0(VALU_DEP_1) | instskip(NEXT) | instid1(VALU_DEP_1)
	v_trunc_f32_e32 v0, v0
	v_mul_f32_e64 v1, 0x2f800000, |v0|
	s_delay_alu instid0(VALU_DEP_1) | instskip(NEXT) | instid1(VALU_DEP_1)
	v_floor_f32_e32 v1, v1
	v_fma_f32 v3, 0xcf800000, v1, |v0|
	v_ashrrev_i32_e32 v0, 31, v0
	v_cvt_u32_f32_e32 v6, v1
	s_delay_alu instid0(VALU_DEP_3) | instskip(NEXT) | instid1(VALU_DEP_2)
	v_cvt_u32_f32_e32 v3, v3
	v_dual_mov_b32 v1, v0 :: v_dual_bitop2_b32 v7, v6, v0 bitop3:0x14
	s_delay_alu instid0(VALU_DEP_2) | instskip(NEXT) | instid1(VALU_DEP_1)
	v_xor_b32_e32 v6, v3, v0
	v_sub_nc_u64_e32 v[6:7], v[6:7], v[0:1]
.LBB47_789:
	s_or_b32 exec_lo, exec_lo, s7
	s_mov_b32 s7, 0
	s_branch .LBB47_795
.LBB47_790:
	s_mov_b32 s7, -1
                                        ; implicit-def: $vgpr6_vgpr7
	s_branch .LBB47_801
.LBB47_791:
	s_and_not1_saveexec_b32 s12, s12
	s_cbranch_execz .LBB47_776
.LBB47_792:
	v_cmp_ne_u16_e32 vcc_lo, 0, v0
	s_and_not1_b32 s14, s14, exec_lo
	s_and_b32 s15, vcc_lo, exec_lo
	s_delay_alu instid0(SALU_CYCLE_1)
	s_or_b32 s14, s14, s15
	s_or_b32 exec_lo, exec_lo, s12
	v_mov_b64_e32 v[6:7], 0
	s_and_saveexec_b32 s12, s14
	s_cbranch_execnz .LBB47_777
	s_branch .LBB47_778
.LBB47_793:
	s_mov_b32 s7, -1
                                        ; implicit-def: $vgpr6_vgpr7
	s_branch .LBB47_798
.LBB47_794:
	s_mov_b32 s7, -1
                                        ; implicit-def: $vgpr6_vgpr7
.LBB47_795:
	s_delay_alu instid0(SALU_CYCLE_1)
	s_and_b32 vcc_lo, exec_lo, s7
	s_cbranch_vccz .LBB47_797
; %bb.796:
	global_load_u8 v0, v[4:5], off
	s_wait_loadcnt 0x0
	v_lshlrev_b32_e32 v0, 24, v0
	s_delay_alu instid0(VALU_DEP_1) | instskip(NEXT) | instid1(VALU_DEP_1)
	v_and_b32_e32 v1, 0x7f000000, v0
	v_clz_i32_u32_e32 v3, v1
	v_add_nc_u32_e32 v7, 0x1000000, v1
	v_cmp_ne_u32_e32 vcc_lo, 0, v1
	s_delay_alu instid0(VALU_DEP_3) | instskip(NEXT) | instid1(VALU_DEP_1)
	v_min_u32_e32 v3, 32, v3
	v_sub_nc_u32_e64 v3, v3, 4 clamp
	s_delay_alu instid0(VALU_DEP_1) | instskip(NEXT) | instid1(VALU_DEP_1)
	v_dual_lshlrev_b32 v6, v3, v1 :: v_dual_lshlrev_b32 v3, 23, v3
	v_lshrrev_b32_e32 v6, 4, v6
	s_delay_alu instid0(VALU_DEP_1) | instskip(SKIP_1) | instid1(VALU_DEP_2)
	v_sub_nc_u32_e32 v3, v6, v3
	v_ashrrev_i32_e32 v6, 8, v7
	v_add_nc_u32_e32 v3, 0x3c000000, v3
	s_delay_alu instid0(VALU_DEP_1) | instskip(NEXT) | instid1(VALU_DEP_1)
	v_and_or_b32 v3, 0x7f800000, v6, v3
	v_cndmask_b32_e32 v1, 0, v3, vcc_lo
	s_delay_alu instid0(VALU_DEP_1) | instskip(NEXT) | instid1(VALU_DEP_1)
	v_and_or_b32 v0, 0x80000000, v0, v1
	v_trunc_f32_e32 v0, v0
	s_delay_alu instid0(VALU_DEP_1) | instskip(NEXT) | instid1(VALU_DEP_1)
	v_mul_f32_e64 v1, 0x2f800000, |v0|
	v_floor_f32_e32 v1, v1
	s_delay_alu instid0(VALU_DEP_1) | instskip(SKIP_2) | instid1(VALU_DEP_3)
	v_fma_f32 v3, 0xcf800000, v1, |v0|
	v_ashrrev_i32_e32 v0, 31, v0
	v_cvt_u32_f32_e32 v6, v1
	v_cvt_u32_f32_e32 v3, v3
	s_delay_alu instid0(VALU_DEP_2) | instskip(NEXT) | instid1(VALU_DEP_2)
	v_dual_mov_b32 v1, v0 :: v_dual_bitop2_b32 v7, v6, v0 bitop3:0x14
	v_xor_b32_e32 v6, v3, v0
	s_delay_alu instid0(VALU_DEP_1)
	v_sub_nc_u64_e32 v[6:7], v[6:7], v[0:1]
.LBB47_797:
	s_mov_b32 s7, 0
.LBB47_798:
	s_delay_alu instid0(SALU_CYCLE_1)
	s_and_not1_b32 vcc_lo, exec_lo, s7
	s_cbranch_vccnz .LBB47_800
; %bb.799:
	global_load_u8 v0, v[4:5], off
	s_wait_loadcnt 0x0
	v_lshlrev_b32_e32 v1, 25, v0
	v_lshlrev_b16 v0, 8, v0
	s_delay_alu instid0(VALU_DEP_1) | instskip(SKIP_1) | instid1(VALU_DEP_2)
	v_and_or_b32 v6, 0x7f00, v0, 0.5
	v_bfe_i32 v0, v0, 0, 16
	v_dual_add_f32 v6, -0.5, v6 :: v_dual_lshrrev_b32 v3, 4, v1
	v_cmp_gt_u32_e32 vcc_lo, 0x8000000, v1
	s_delay_alu instid0(VALU_DEP_2) | instskip(NEXT) | instid1(VALU_DEP_1)
	v_or_b32_e32 v3, 0x70000000, v3
	v_mul_f32_e32 v3, 0x7800000, v3
	s_delay_alu instid0(VALU_DEP_1) | instskip(NEXT) | instid1(VALU_DEP_1)
	v_cndmask_b32_e32 v1, v3, v6, vcc_lo
	v_and_or_b32 v0, 0x80000000, v0, v1
	s_delay_alu instid0(VALU_DEP_1) | instskip(NEXT) | instid1(VALU_DEP_1)
	v_trunc_f32_e32 v0, v0
	v_mul_f32_e64 v1, 0x2f800000, |v0|
	s_delay_alu instid0(VALU_DEP_1) | instskip(NEXT) | instid1(VALU_DEP_1)
	v_floor_f32_e32 v1, v1
	v_fma_f32 v3, 0xcf800000, v1, |v0|
	v_ashrrev_i32_e32 v0, 31, v0
	v_cvt_u32_f32_e32 v6, v1
	s_delay_alu instid0(VALU_DEP_3) | instskip(NEXT) | instid1(VALU_DEP_2)
	v_cvt_u32_f32_e32 v3, v3
	v_dual_mov_b32 v1, v0 :: v_dual_bitop2_b32 v7, v6, v0 bitop3:0x14
	s_delay_alu instid0(VALU_DEP_2) | instskip(NEXT) | instid1(VALU_DEP_1)
	v_xor_b32_e32 v6, v3, v0
	v_sub_nc_u64_e32 v[6:7], v[6:7], v[0:1]
.LBB47_800:
	s_mov_b32 s7, 0
	s_mov_b32 s12, -1
.LBB47_801:
	s_and_not1_b32 vcc_lo, exec_lo, s7
	s_mov_b32 s7, 0
	s_cbranch_vccnz .LBB47_812
; %bb.802:
	s_cmp_gt_i32 s1, 14
	s_cbranch_scc0 .LBB47_805
; %bb.803:
	s_cmp_eq_u32 s1, 15
	s_cbranch_scc0 .LBB47_808
; %bb.804:
	global_load_u16 v0, v[4:5], off
	s_mov_b32 s6, 0
	s_mov_b32 s12, -1
	s_wait_loadcnt 0x0
	v_lshlrev_b32_e32 v0, 16, v0
	s_delay_alu instid0(VALU_DEP_1) | instskip(NEXT) | instid1(VALU_DEP_1)
	v_trunc_f32_e32 v0, v0
	v_mul_f32_e64 v1, 0x2f800000, |v0|
	s_delay_alu instid0(VALU_DEP_1) | instskip(NEXT) | instid1(VALU_DEP_1)
	v_floor_f32_e32 v1, v1
	v_fma_f32 v3, 0xcf800000, v1, |v0|
	v_ashrrev_i32_e32 v0, 31, v0
	v_cvt_u32_f32_e32 v6, v1
	s_delay_alu instid0(VALU_DEP_3) | instskip(NEXT) | instid1(VALU_DEP_2)
	v_cvt_u32_f32_e32 v3, v3
	v_dual_mov_b32 v1, v0 :: v_dual_bitop2_b32 v7, v6, v0 bitop3:0x14
	s_delay_alu instid0(VALU_DEP_2) | instskip(NEXT) | instid1(VALU_DEP_1)
	v_xor_b32_e32 v6, v3, v0
	v_sub_nc_u64_e32 v[6:7], v[6:7], v[0:1]
	s_branch .LBB47_810
.LBB47_805:
	s_mov_b32 s7, -1
	s_branch .LBB47_809
.LBB47_806:
	s_and_not1_saveexec_b32 s7, s7
	s_cbranch_execz .LBB47_787
.LBB47_807:
	v_cmp_ne_u16_e32 vcc_lo, 0, v0
	s_and_not1_b32 s12, s12, exec_lo
	s_and_b32 s14, vcc_lo, exec_lo
	s_delay_alu instid0(SALU_CYCLE_1)
	s_or_b32 s12, s12, s14
	s_or_b32 exec_lo, exec_lo, s7
	v_mov_b64_e32 v[6:7], 0
	s_and_saveexec_b32 s7, s12
	s_cbranch_execnz .LBB47_788
	s_branch .LBB47_789
.LBB47_808:
	s_mov_b32 s6, -1
.LBB47_809:
                                        ; implicit-def: $vgpr6_vgpr7
.LBB47_810:
	s_and_b32 vcc_lo, exec_lo, s7
	s_mov_b32 s7, 0
	s_cbranch_vccz .LBB47_812
; %bb.811:
	s_cmp_lg_u32 s1, 11
	s_mov_b32 s7, -1
	s_cselect_b32 s1, -1, 0
	s_and_not1_b32 s6, s6, exec_lo
	s_and_b32 s1, s1, exec_lo
	s_delay_alu instid0(SALU_CYCLE_1)
	s_or_b32 s6, s6, s1
.LBB47_812:
	s_mov_b32 s1, 0
.LBB47_813:
	s_delay_alu instid0(SALU_CYCLE_1)
	s_and_b32 s27, s1, exec_lo
	s_and_not1_b32 s1, s0, exec_lo
	s_and_b32 s6, s6, exec_lo
	s_and_b32 s28, s12, exec_lo
	;; [unrolled: 1-line block ×3, first 2 shown]
	s_or_b32 s29, s1, s6
.LBB47_814:
	s_wait_xcnt 0x0
	s_or_b32 exec_lo, exec_lo, s41
	s_delay_alu instid0(SALU_CYCLE_1)
	s_and_not1_b32 s0, s0, exec_lo
	s_and_b32 s1, s29, exec_lo
	s_and_b32 s28, s28, exec_lo
	s_and_b32 s27, s27, exec_lo
	s_and_b32 s26, s26, exec_lo
	s_or_b32 s0, s0, s1
.LBB47_815:
	s_or_b32 exec_lo, exec_lo, s52
	s_delay_alu instid0(SALU_CYCLE_1)
	s_and_not1_b32 s1, s49, exec_lo
	s_and_b32 s6, s30, exec_lo
	s_and_not1_b32 s7, s50, exec_lo
	s_and_b32 s12, s31, exec_lo
	s_or_b32 s49, s1, s6
	s_and_not1_b32 s1, s48, exec_lo
	s_and_b32 s0, s0, exec_lo
	s_or_b32 s50, s7, s12
	s_and_b32 s28, s28, exec_lo
	s_and_b32 s27, s27, exec_lo
	;; [unrolled: 1-line block ×3, first 2 shown]
	s_or_b32 s48, s1, s0
.LBB47_816:
	s_or_b32 exec_lo, exec_lo, s51
	s_delay_alu instid0(SALU_CYCLE_1)
	s_and_not1_b32 s0, s44, exec_lo
	s_and_b32 s1, s49, exec_lo
	s_and_not1_b32 s6, s45, exec_lo
	s_and_b32 s7, s50, exec_lo
	s_or_b32 s44, s0, s1
	s_or_b32 s45, s6, s7
	s_and_not1_b32 s1, s46, exec_lo
	s_and_b32 s6, s48, exec_lo
	s_and_b32 s0, s28, exec_lo
	;; [unrolled: 1-line block ×4, first 2 shown]
	s_or_b32 s46, s1, s6
	s_or_b32 exec_lo, exec_lo, s47
	s_mov_b32 s1, 0
	s_and_saveexec_b32 s6, s46
	s_cbranch_execz .LBB47_245
.LBB47_817:
	s_mov_b32 s1, exec_lo
	s_and_not1_b32 s21, s21, exec_lo
	s_trap 2
	s_or_b32 exec_lo, exec_lo, s6
	s_and_saveexec_b32 s6, s21
	s_delay_alu instid0(SALU_CYCLE_1)
	s_xor_b32 s6, exec_lo, s6
	s_cbranch_execnz .LBB47_246
.LBB47_818:
	s_or_b32 exec_lo, exec_lo, s6
	s_and_saveexec_b32 s6, s27
	s_cbranch_execz .LBB47_864
.LBB47_819:
	s_sext_i32_i16 s7, s39
	s_delay_alu instid0(SALU_CYCLE_1)
	s_cmp_lt_i32 s7, 5
	s_cbranch_scc1 .LBB47_824
; %bb.820:
	s_cmp_lt_i32 s7, 8
	s_cbranch_scc1 .LBB47_825
; %bb.821:
	;; [unrolled: 3-line block ×3, first 2 shown]
	s_cmp_gt_i32 s7, 9
	s_cbranch_scc0 .LBB47_827
; %bb.823:
	global_load_b64 v[0:1], v[4:5], off
	s_mov_b32 s7, 0
	s_wait_loadcnt 0x0
	v_trunc_f64_e32 v[0:1], v[0:1]
	s_delay_alu instid0(VALU_DEP_1) | instskip(NEXT) | instid1(VALU_DEP_1)
	v_ldexp_f64 v[6:7], v[0:1], 0xffffffe0
	v_floor_f64_e32 v[6:7], v[6:7]
	s_delay_alu instid0(VALU_DEP_1) | instskip(SKIP_1) | instid1(VALU_DEP_2)
	v_fmamk_f64 v[0:1], v[6:7], 0xc1f00000, v[0:1]
	v_cvt_i32_f64_e32 v7, v[6:7]
	v_cvt_u32_f64_e32 v6, v[0:1]
	s_branch .LBB47_828
.LBB47_824:
                                        ; implicit-def: $vgpr6_vgpr7
	s_branch .LBB47_845
.LBB47_825:
                                        ; implicit-def: $vgpr6_vgpr7
	s_branch .LBB47_834
.LBB47_826:
	s_mov_b32 s7, -1
                                        ; implicit-def: $vgpr6_vgpr7
	s_branch .LBB47_831
.LBB47_827:
	s_mov_b32 s7, -1
                                        ; implicit-def: $vgpr6_vgpr7
.LBB47_828:
	s_delay_alu instid0(SALU_CYCLE_1)
	s_and_not1_b32 vcc_lo, exec_lo, s7
	s_cbranch_vccnz .LBB47_830
; %bb.829:
	global_load_b32 v0, v[4:5], off
	s_wait_loadcnt 0x0
	v_trunc_f32_e32 v0, v0
	s_delay_alu instid0(VALU_DEP_1) | instskip(NEXT) | instid1(VALU_DEP_1)
	v_mul_f32_e64 v1, 0x2f800000, |v0|
	v_floor_f32_e32 v1, v1
	s_delay_alu instid0(VALU_DEP_1) | instskip(SKIP_2) | instid1(VALU_DEP_3)
	v_fma_f32 v3, 0xcf800000, v1, |v0|
	v_ashrrev_i32_e32 v0, 31, v0
	v_cvt_u32_f32_e32 v6, v1
	v_cvt_u32_f32_e32 v3, v3
	s_delay_alu instid0(VALU_DEP_2) | instskip(NEXT) | instid1(VALU_DEP_2)
	v_dual_mov_b32 v1, v0 :: v_dual_bitop2_b32 v7, v6, v0 bitop3:0x14
	v_xor_b32_e32 v6, v3, v0
	s_delay_alu instid0(VALU_DEP_1)
	v_sub_nc_u64_e32 v[6:7], v[6:7], v[0:1]
.LBB47_830:
	s_mov_b32 s7, 0
.LBB47_831:
	s_delay_alu instid0(SALU_CYCLE_1)
	s_and_not1_b32 vcc_lo, exec_lo, s7
	s_cbranch_vccnz .LBB47_833
; %bb.832:
	global_load_b32 v0, v[4:5], off
	s_wait_loadcnt 0x0
	v_cvt_f32_f16_e32 v0, v0
	s_delay_alu instid0(VALU_DEP_1) | instskip(NEXT) | instid1(VALU_DEP_1)
	v_cvt_i32_f32_e32 v6, v0
	v_ashrrev_i32_e32 v7, 31, v6
.LBB47_833:
	s_cbranch_execnz .LBB47_844
.LBB47_834:
	s_sext_i32_i16 s7, s39
	s_delay_alu instid0(SALU_CYCLE_1)
	s_cmp_lt_i32 s7, 6
	s_cbranch_scc1 .LBB47_837
; %bb.835:
	s_cmp_gt_i32 s7, 6
	s_cbranch_scc0 .LBB47_838
; %bb.836:
	global_load_b64 v[0:1], v[4:5], off
	s_mov_b32 s7, 0
	s_wait_loadcnt 0x0
	v_trunc_f64_e32 v[0:1], v[0:1]
	s_delay_alu instid0(VALU_DEP_1) | instskip(NEXT) | instid1(VALU_DEP_1)
	v_ldexp_f64 v[6:7], v[0:1], 0xffffffe0
	v_floor_f64_e32 v[6:7], v[6:7]
	s_delay_alu instid0(VALU_DEP_1) | instskip(SKIP_1) | instid1(VALU_DEP_2)
	v_fmamk_f64 v[0:1], v[6:7], 0xc1f00000, v[0:1]
	v_cvt_i32_f64_e32 v7, v[6:7]
	v_cvt_u32_f64_e32 v6, v[0:1]
	s_branch .LBB47_839
.LBB47_837:
	s_mov_b32 s7, -1
                                        ; implicit-def: $vgpr6_vgpr7
	s_branch .LBB47_842
.LBB47_838:
	s_mov_b32 s7, -1
                                        ; implicit-def: $vgpr6_vgpr7
.LBB47_839:
	s_delay_alu instid0(SALU_CYCLE_1)
	s_and_not1_b32 vcc_lo, exec_lo, s7
	s_cbranch_vccnz .LBB47_841
; %bb.840:
	global_load_b32 v0, v[4:5], off
	s_wait_loadcnt 0x0
	v_trunc_f32_e32 v0, v0
	s_delay_alu instid0(VALU_DEP_1) | instskip(NEXT) | instid1(VALU_DEP_1)
	v_mul_f32_e64 v1, 0x2f800000, |v0|
	v_floor_f32_e32 v1, v1
	s_delay_alu instid0(VALU_DEP_1) | instskip(SKIP_2) | instid1(VALU_DEP_3)
	v_fma_f32 v3, 0xcf800000, v1, |v0|
	v_ashrrev_i32_e32 v0, 31, v0
	v_cvt_u32_f32_e32 v6, v1
	v_cvt_u32_f32_e32 v3, v3
	s_delay_alu instid0(VALU_DEP_2) | instskip(NEXT) | instid1(VALU_DEP_2)
	v_dual_mov_b32 v1, v0 :: v_dual_bitop2_b32 v7, v6, v0 bitop3:0x14
	v_xor_b32_e32 v6, v3, v0
	s_delay_alu instid0(VALU_DEP_1)
	v_sub_nc_u64_e32 v[6:7], v[6:7], v[0:1]
.LBB47_841:
	s_mov_b32 s7, 0
.LBB47_842:
	s_delay_alu instid0(SALU_CYCLE_1)
	s_and_not1_b32 vcc_lo, exec_lo, s7
	s_cbranch_vccnz .LBB47_844
; %bb.843:
	global_load_u16 v0, v[4:5], off
	s_wait_loadcnt 0x0
	v_cvt_f32_f16_e32 v0, v0
	s_delay_alu instid0(VALU_DEP_1) | instskip(NEXT) | instid1(VALU_DEP_1)
	v_cvt_i32_f32_e32 v6, v0
	v_ashrrev_i32_e32 v7, 31, v6
.LBB47_844:
	s_cbranch_execnz .LBB47_863
.LBB47_845:
	s_sext_i32_i16 s7, s39
	s_delay_alu instid0(SALU_CYCLE_1)
	s_cmp_lt_i32 s7, 2
	s_cbranch_scc1 .LBB47_849
; %bb.846:
	s_cmp_lt_i32 s7, 3
	s_cbranch_scc1 .LBB47_850
; %bb.847:
	s_cmp_gt_i32 s7, 3
	s_cbranch_scc0 .LBB47_851
; %bb.848:
	s_wait_loadcnt 0x0
	global_load_b64 v[6:7], v[4:5], off
	s_mov_b32 s7, 0
	s_branch .LBB47_852
.LBB47_849:
                                        ; implicit-def: $vgpr6_vgpr7
	s_branch .LBB47_858
.LBB47_850:
	s_mov_b32 s7, -1
                                        ; implicit-def: $vgpr6_vgpr7
	s_branch .LBB47_855
.LBB47_851:
	s_mov_b32 s7, -1
                                        ; implicit-def: $vgpr6_vgpr7
.LBB47_852:
	s_delay_alu instid0(SALU_CYCLE_1)
	s_and_not1_b32 vcc_lo, exec_lo, s7
	s_cbranch_vccnz .LBB47_854
; %bb.853:
	s_wait_loadcnt 0x0
	global_load_b32 v6, v[4:5], off
	s_wait_loadcnt 0x0
	v_ashrrev_i32_e32 v7, 31, v6
.LBB47_854:
	s_mov_b32 s7, 0
.LBB47_855:
	s_delay_alu instid0(SALU_CYCLE_1)
	s_and_not1_b32 vcc_lo, exec_lo, s7
	s_cbranch_vccnz .LBB47_857
; %bb.856:
	global_load_u16 v0, v[4:5], off
	s_wait_loadcnt 0x0
	v_bfe_i32 v6, v0, 0, 16
	s_delay_alu instid0(VALU_DEP_1)
	v_ashrrev_i32_e32 v7, 31, v6
.LBB47_857:
	s_cbranch_execnz .LBB47_863
.LBB47_858:
	s_sext_i32_i16 s7, s39
	s_delay_alu instid0(SALU_CYCLE_1)
	s_cmp_gt_i32 s7, 0
	s_mov_b32 s7, 0
	s_cbranch_scc0 .LBB47_860
; %bb.859:
	global_load_i8 v0, v[4:5], off
	s_wait_loadcnt 0x0
	v_bfe_i32 v6, v0, 0, 16
	s_delay_alu instid0(VALU_DEP_1)
	v_ashrrev_i32_e32 v7, 31, v6
	s_branch .LBB47_861
.LBB47_860:
	s_mov_b32 s7, -1
                                        ; implicit-def: $vgpr6_vgpr7
.LBB47_861:
	s_delay_alu instid0(SALU_CYCLE_1)
	s_and_not1_b32 vcc_lo, exec_lo, s7
	s_cbranch_vccnz .LBB47_863
; %bb.862:
	global_load_u8 v0, v[4:5], off
	s_mov_b32 s7, 0
	s_wait_loadcnt 0x1
	v_mov_b32_e32 v7, s7
	s_wait_loadcnt 0x0
	v_and_b32_e32 v6, 0xffff, v0
.LBB47_863:
	s_or_b32 s0, s0, exec_lo
.LBB47_864:
	s_wait_xcnt 0x0
	s_or_b32 exec_lo, exec_lo, s6
	s_mov_b32 s12, 0
	s_and_saveexec_b32 s6, s0
	s_delay_alu instid0(SALU_CYCLE_1)
	s_xor_b32 s6, exec_lo, s6
	s_cbranch_execz .LBB47_866
; %bb.865:
	s_wait_loadcnt 0x0
	s_delay_alu instid0(VALU_DEP_1) | instskip(SKIP_4) | instid1(SALU_CYCLE_1)
	v_cmp_le_i64_e32 vcc_lo, s[8:9], v[6:7]
	v_cmp_gt_i64_e64 s0, s[10:11], v[6:7]
	s_and_not1_b32 s7, s45, exec_lo
	s_mov_b32 s12, exec_lo
	s_and_b32 s0, vcc_lo, s0
	s_and_b32 s0, s13, s0
	s_delay_alu instid0(SALU_CYCLE_1) | instskip(NEXT) | instid1(SALU_CYCLE_1)
	s_xor_b32 s0, s0, -1
	s_and_b32 s0, s0, exec_lo
	s_delay_alu instid0(SALU_CYCLE_1)
	s_or_b32 s45, s7, s0
.LBB47_866:
	s_or_b32 exec_lo, exec_lo, s6
	s_and_saveexec_b32 s0, s45
	s_cbranch_execnz .LBB47_879
.LBB47_867:
	s_or_b32 exec_lo, exec_lo, s0
	s_mov_b32 s8, 0
	s_mov_b32 s7, 0
                                        ; implicit-def: $sgpr0
                                        ; implicit-def: $vgpr0_vgpr1
	s_and_saveexec_b32 s6, s12
	s_cbranch_execz .LBB47_875
; %bb.868:
	v_mov_b32_e32 v3, 0
	s_and_b32 s0, s38, 0xff
	s_delay_alu instid0(SALU_CYCLE_1) | instskip(NEXT) | instid1(VALU_DEP_1)
	s_cmp_lt_i32 s0, 11
	v_add_nc_u64_e32 v[0:1], s[4:5], v[2:3]
	s_cbranch_scc1 .LBB47_878
; %bb.869:
	s_and_b32 s5, 0xffff, s0
	s_mov_b32 s7, -1
	s_cmp_gt_i32 s5, 25
	s_mov_b32 s4, s44
	s_cbranch_scc0 .LBB47_899
; %bb.870:
	s_cmp_gt_i32 s5, 28
	s_mov_b32 s4, s44
	s_cbranch_scc0 .LBB47_889
; %bb.871:
	;; [unrolled: 4-line block ×4, first 2 shown]
	s_cmp_eq_u32 s5, 46
	s_mov_b32 s4, -1
	s_cbranch_scc0 .LBB47_880
; %bb.874:
	v_mov_b32_e32 v2, 0
	s_mov_b32 s4, 0
	s_mov_b32 s7, 0
	global_store_b32 v[0:1], v2, off
	s_branch .LBB47_881
.LBB47_875:
	s_or_b32 exec_lo, exec_lo, s6
	s_and_saveexec_b32 s4, s44
	s_cbranch_execnz .LBB47_918
.LBB47_876:
	s_or_b32 exec_lo, exec_lo, s4
	s_and_saveexec_b32 s4, s8
	s_delay_alu instid0(SALU_CYCLE_1)
	s_xor_b32 s4, exec_lo, s4
	s_cbranch_execz .LBB47_919
.LBB47_877:
	v_mov_b32_e32 v2, 0
	global_store_b8 v[0:1], v2, off
	s_wait_xcnt 0x0
	s_or_b32 exec_lo, exec_lo, s4
	s_and_saveexec_b32 s4, s7
	s_delay_alu instid0(SALU_CYCLE_1)
	s_xor_b32 s4, exec_lo, s4
	s_cbranch_execz .LBB47_957
	s_branch .LBB47_920
.LBB47_878:
	s_mov_b32 s7, -1
	s_mov_b32 s4, s44
	s_branch .LBB47_917
.LBB47_879:
	s_or_b32 s1, s1, exec_lo
	s_and_not1_b32 s12, s12, exec_lo
	s_trap 2
	s_branch .LBB47_867
.LBB47_880:
	s_mov_b32 s7, 0
.LBB47_881:
	s_delay_alu instid0(SALU_CYCLE_1)
	s_and_b32 vcc_lo, exec_lo, s7
	s_cbranch_vccz .LBB47_884
; %bb.882:
	s_cmp_eq_u32 s5, 44
	s_mov_b32 s4, -1
	s_cbranch_scc0 .LBB47_884
; %bb.883:
	s_wait_xcnt 0x0
	v_mov_b32_e32 v2, 0
	s_mov_b32 s4, 0
	s_mov_b32 s7, 0
	global_store_b8 v[0:1], v2, off
	s_branch .LBB47_885
.LBB47_884:
	s_mov_b32 s7, 0
.LBB47_885:
	s_delay_alu instid0(SALU_CYCLE_1)
	s_and_b32 vcc_lo, exec_lo, s7
	s_cbranch_vccz .LBB47_888
; %bb.886:
	s_cmp_eq_u32 s5, 29
	s_mov_b32 s4, -1
	s_cbranch_scc0 .LBB47_888
; %bb.887:
	s_wait_xcnt 0x0
	v_mov_b64_e32 v[2:3], 0
	s_mov_b32 s4, 0
	s_mov_b32 s7, 0
	global_store_b64 v[0:1], v[2:3], off
	s_branch .LBB47_889
.LBB47_888:
	s_mov_b32 s7, 0
.LBB47_889:
	s_delay_alu instid0(SALU_CYCLE_1)
	s_and_b32 vcc_lo, exec_lo, s7
	s_cbranch_vccz .LBB47_898
; %bb.890:
	s_cmp_lt_i32 s5, 27
	s_mov_b32 s7, -1
	s_cbranch_scc1 .LBB47_896
; %bb.891:
	s_cmp_gt_i32 s5, 27
	s_cbranch_scc0 .LBB47_893
; %bb.892:
	s_wait_xcnt 0x0
	v_mov_b32_e32 v2, 0
	s_mov_b32 s7, 0
	global_store_b32 v[0:1], v2, off
.LBB47_893:
	s_and_not1_b32 vcc_lo, exec_lo, s7
	s_cbranch_vccnz .LBB47_895
; %bb.894:
	s_wait_xcnt 0x0
	v_mov_b32_e32 v2, 0
	global_store_b16 v[0:1], v2, off
.LBB47_895:
	s_mov_b32 s7, 0
.LBB47_896:
	s_delay_alu instid0(SALU_CYCLE_1)
	s_and_not1_b32 vcc_lo, exec_lo, s7
	s_cbranch_vccnz .LBB47_898
; %bb.897:
	s_wait_xcnt 0x0
	v_mov_b32_e32 v2, 0
	global_store_b8 v[0:1], v2, off
.LBB47_898:
	s_mov_b32 s7, 0
.LBB47_899:
	s_delay_alu instid0(SALU_CYCLE_1)
	s_and_b32 vcc_lo, exec_lo, s7
	s_mov_b32 s7, 0
	s_cbranch_vccz .LBB47_917
; %bb.900:
	s_cmp_gt_i32 s5, 22
	s_mov_b32 s8, -1
	s_cbranch_scc0 .LBB47_910
; %bb.901:
	s_cmp_lt_i32 s5, 24
	s_cbranch_scc1 .LBB47_907
; %bb.902:
	s_cmp_gt_i32 s5, 24
	s_cbranch_scc0 .LBB47_904
; %bb.903:
	s_wait_xcnt 0x0
	v_mov_b32_e32 v2, 0
	s_mov_b32 s8, 0
	global_store_b8 v[0:1], v2, off
.LBB47_904:
	s_and_not1_b32 vcc_lo, exec_lo, s8
	s_cbranch_vccnz .LBB47_906
; %bb.905:
	s_wait_xcnt 0x0
	v_mov_b32_e32 v2, 0
	global_store_b8 v[0:1], v2, off
.LBB47_906:
	s_mov_b32 s8, 0
.LBB47_907:
	s_delay_alu instid0(SALU_CYCLE_1)
	s_and_not1_b32 vcc_lo, exec_lo, s8
	s_cbranch_vccnz .LBB47_909
; %bb.908:
	s_wait_xcnt 0x0
	v_mov_b32_e32 v2, 0
	global_store_b8 v[0:1], v2, off
.LBB47_909:
	s_mov_b32 s8, 0
.LBB47_910:
	s_delay_alu instid0(SALU_CYCLE_1)
	s_and_not1_b32 vcc_lo, exec_lo, s8
	s_mov_b32 s8, 0
	s_cbranch_vccnz .LBB47_917
; %bb.911:
	s_cmp_gt_i32 s5, 14
	s_mov_b32 s8, -1
	s_cbranch_scc0 .LBB47_915
; %bb.912:
	s_cmp_eq_u32 s5, 15
	s_mov_b32 s4, -1
	s_cbranch_scc0 .LBB47_914
; %bb.913:
	s_wait_xcnt 0x0
	v_mov_b32_e32 v2, 0
	s_mov_b32 s4, 0
	global_store_b16 v[0:1], v2, off
.LBB47_914:
	s_mov_b32 s8, 0
.LBB47_915:
	s_delay_alu instid0(SALU_CYCLE_1)
	s_and_b32 vcc_lo, exec_lo, s8
	s_mov_b32 s8, 0
	s_cbranch_vccz .LBB47_917
; %bb.916:
	s_cmp_lg_u32 s5, 11
	s_mov_b32 s8, -1
	s_cselect_b32 s5, -1, 0
	s_and_not1_b32 s4, s4, exec_lo
	s_and_b32 s5, s5, exec_lo
	s_delay_alu instid0(SALU_CYCLE_1)
	s_or_b32 s4, s4, s5
.LBB47_917:
	s_and_not1_b32 s5, s44, exec_lo
	s_and_b32 s4, s4, exec_lo
	s_and_b32 s7, s7, exec_lo
	;; [unrolled: 1-line block ×3, first 2 shown]
	s_or_b32 s44, s5, s4
	s_wait_xcnt 0x0
	s_or_b32 exec_lo, exec_lo, s6
	s_and_saveexec_b32 s4, s44
	s_cbranch_execz .LBB47_876
.LBB47_918:
	s_or_b32 s1, s1, exec_lo
	s_and_not1_b32 s8, s8, exec_lo
	s_trap 2
	s_or_b32 exec_lo, exec_lo, s4
	s_and_saveexec_b32 s4, s8
	s_delay_alu instid0(SALU_CYCLE_1)
	s_xor_b32 s4, exec_lo, s4
	s_cbranch_execnz .LBB47_877
.LBB47_919:
	s_or_b32 exec_lo, exec_lo, s4
	s_and_saveexec_b32 s4, s7
	s_delay_alu instid0(SALU_CYCLE_1)
	s_xor_b32 s4, exec_lo, s4
	s_cbranch_execz .LBB47_957
.LBB47_920:
	s_sext_i32_i16 s6, s0
	s_mov_b32 s5, -1
	s_cmp_lt_i32 s6, 5
	s_cbranch_scc1 .LBB47_941
; %bb.921:
	s_cmp_lt_i32 s6, 8
	s_cbranch_scc1 .LBB47_931
; %bb.922:
	;; [unrolled: 3-line block ×3, first 2 shown]
	s_cmp_gt_i32 s6, 9
	s_cbranch_scc0 .LBB47_925
; %bb.924:
	v_mov_b32_e32 v2, 0
	s_mov_b32 s5, 0
	s_delay_alu instid0(VALU_DEP_1)
	v_dual_mov_b32 v3, v2 :: v_dual_mov_b32 v4, v2
	v_mov_b32_e32 v5, v2
	global_store_b128 v[0:1], v[2:5], off
.LBB47_925:
	s_and_not1_b32 vcc_lo, exec_lo, s5
	s_cbranch_vccnz .LBB47_927
; %bb.926:
	s_wait_xcnt 0x0
	v_mov_b64_e32 v[2:3], 0
	global_store_b64 v[0:1], v[2:3], off
.LBB47_927:
	s_mov_b32 s5, 0
.LBB47_928:
	s_delay_alu instid0(SALU_CYCLE_1)
	s_and_not1_b32 vcc_lo, exec_lo, s5
	s_cbranch_vccnz .LBB47_930
; %bb.929:
	s_wait_xcnt 0x0
	v_mov_b32_e32 v2, 0
	global_store_b32 v[0:1], v2, off
.LBB47_930:
	s_mov_b32 s5, 0
.LBB47_931:
	s_delay_alu instid0(SALU_CYCLE_1)
	s_and_not1_b32 vcc_lo, exec_lo, s5
	s_cbranch_vccnz .LBB47_940
; %bb.932:
	s_sext_i32_i16 s6, s0
	s_mov_b32 s5, -1
	s_cmp_lt_i32 s6, 6
	s_cbranch_scc1 .LBB47_938
; %bb.933:
	s_cmp_gt_i32 s6, 6
	s_cbranch_scc0 .LBB47_935
; %bb.934:
	s_wait_xcnt 0x0
	v_mov_b64_e32 v[2:3], 0
	s_mov_b32 s5, 0
	global_store_b64 v[0:1], v[2:3], off
.LBB47_935:
	s_and_not1_b32 vcc_lo, exec_lo, s5
	s_cbranch_vccnz .LBB47_937
; %bb.936:
	s_wait_xcnt 0x0
	v_mov_b32_e32 v2, 0
	global_store_b32 v[0:1], v2, off
.LBB47_937:
	s_mov_b32 s5, 0
.LBB47_938:
	s_delay_alu instid0(SALU_CYCLE_1)
	s_and_not1_b32 vcc_lo, exec_lo, s5
	s_cbranch_vccnz .LBB47_940
; %bb.939:
	s_wait_xcnt 0x0
	v_mov_b32_e32 v2, 0
	global_store_b16 v[0:1], v2, off
.LBB47_940:
	s_mov_b32 s5, 0
.LBB47_941:
	s_delay_alu instid0(SALU_CYCLE_1)
	s_and_not1_b32 vcc_lo, exec_lo, s5
	s_cbranch_vccnz .LBB47_957
; %bb.942:
	s_sext_i32_i16 s6, s0
	s_mov_b32 s5, -1
	s_cmp_lt_i32 s6, 2
	s_cbranch_scc1 .LBB47_952
; %bb.943:
	s_cmp_lt_i32 s6, 3
	s_cbranch_scc1 .LBB47_949
; %bb.944:
	s_cmp_gt_i32 s6, 3
	s_cbranch_scc0 .LBB47_946
; %bb.945:
	s_wait_xcnt 0x0
	v_mov_b64_e32 v[2:3], 0
	s_mov_b32 s5, 0
	global_store_b64 v[0:1], v[2:3], off
.LBB47_946:
	s_and_not1_b32 vcc_lo, exec_lo, s5
	s_cbranch_vccnz .LBB47_948
; %bb.947:
	s_wait_xcnt 0x0
	v_mov_b32_e32 v2, 0
	global_store_b32 v[0:1], v2, off
.LBB47_948:
	s_mov_b32 s5, 0
.LBB47_949:
	s_delay_alu instid0(SALU_CYCLE_1)
	s_and_not1_b32 vcc_lo, exec_lo, s5
	s_cbranch_vccnz .LBB47_951
; %bb.950:
	s_wait_xcnt 0x0
	v_mov_b32_e32 v2, 0
	global_store_b16 v[0:1], v2, off
.LBB47_951:
	s_mov_b32 s5, 0
.LBB47_952:
	s_delay_alu instid0(SALU_CYCLE_1)
	s_and_not1_b32 vcc_lo, exec_lo, s5
	s_cbranch_vccnz .LBB47_957
; %bb.953:
	s_sext_i32_i16 s0, s0
	s_delay_alu instid0(SALU_CYCLE_1)
	s_cmp_gt_i32 s0, 0
	s_mov_b32 s0, -1
	s_cbranch_scc0 .LBB47_955
; %bb.954:
	s_wait_xcnt 0x0
	v_mov_b32_e32 v2, 0
	s_mov_b32 s0, 0
	global_store_b8 v[0:1], v2, off
.LBB47_955:
	s_and_not1_b32 vcc_lo, exec_lo, s0
	s_cbranch_vccnz .LBB47_957
; %bb.956:
	s_wait_xcnt 0x0
	v_mov_b32_e32 v2, 0
	global_store_b8 v[0:1], v2, off
.LBB47_957:
	s_wait_xcnt 0x0
	s_or_b32 exec_lo, exec_lo, s4
	s_delay_alu instid0(SALU_CYCLE_1)
	s_and_b32 s12, s1, exec_lo
                                        ; implicit-def: $vgpr9
                                        ; implicit-def: $vgpr0
.LBB47_958:
	s_or_saveexec_b32 s13, s37
	s_mov_b32 s4, 0
                                        ; implicit-def: $vgpr14_vgpr15
                                        ; implicit-def: $sgpr0
	s_xor_b32 exec_lo, exec_lo, s13
	s_cbranch_execz .LBB47_1853
; %bb.959:
	v_cndmask_b32_e64 v1, 0, 1, s36
	s_and_not1_b32 vcc_lo, exec_lo, s36
	s_cbranch_vccnz .LBB47_965
; %bb.960:
	s_cmp_lg_u32 s33, 0
	s_mov_b32 s8, 0
	s_cbranch_scc0 .LBB47_966
; %bb.961:
	s_min_u32 s1, s34, 15
	s_delay_alu instid0(SALU_CYCLE_1)
	s_add_co_i32 s1, s1, 1
	s_cmp_eq_u32 s34, 2
	s_cbranch_scc1 .LBB47_967
; %bb.962:
	s_wait_loadcnt 0x0
	v_dual_mov_b32 v6, 0 :: v_dual_mov_b32 v14, 0
	v_mov_b32_e32 v2, v0
	s_and_b32 s0, s1, 28
	s_add_nc_u64 s[4:5], s[2:3], 0xc4
	s_mov_b32 s9, 0
	s_mov_b64 s[6:7], s[2:3]
.LBB47_963:                             ; =>This Inner Loop Header: Depth=1
	s_clause 0x1
	s_load_b256 s[16:23], s[6:7], 0x4
	s_load_b128 s[36:39], s[6:7], 0x24
	s_load_b256 s[24:31], s[4:5], 0x0
	s_add_co_i32 s9, s9, 4
	s_wait_xcnt 0x0
	s_add_nc_u64 s[6:7], s[6:7], 48
	s_cmp_lg_u32 s0, s9
	s_add_nc_u64 s[4:5], s[4:5], 32
	s_wait_kmcnt 0x0
	v_mul_hi_u32 v3, s17, v2
	s_delay_alu instid0(VALU_DEP_1) | instskip(NEXT) | instid1(VALU_DEP_1)
	v_add_nc_u32_e32 v3, v2, v3
	v_lshrrev_b32_e32 v3, s18, v3
	s_delay_alu instid0(VALU_DEP_1) | instskip(NEXT) | instid1(VALU_DEP_1)
	v_mul_hi_u32 v4, s20, v3
	v_add_nc_u32_e32 v4, v3, v4
	s_delay_alu instid0(VALU_DEP_1) | instskip(NEXT) | instid1(VALU_DEP_1)
	v_lshrrev_b32_e32 v4, s21, v4
	v_mul_hi_u32 v5, s23, v4
	s_delay_alu instid0(VALU_DEP_1) | instskip(SKIP_1) | instid1(VALU_DEP_1)
	v_add_nc_u32_e32 v5, v4, v5
	v_mul_lo_u32 v7, v3, s16
	v_sub_nc_u32_e32 v2, v2, v7
	v_mul_lo_u32 v7, v4, s19
	s_delay_alu instid0(VALU_DEP_4) | instskip(NEXT) | instid1(VALU_DEP_3)
	v_lshrrev_b32_e32 v5, s36, v5
	v_mad_u32 v10, v2, s25, v14
	v_mad_u32 v2, v2, s24, v6
	s_delay_alu instid0(VALU_DEP_4) | instskip(NEXT) | instid1(VALU_DEP_4)
	v_sub_nc_u32_e32 v3, v3, v7
	v_mul_hi_u32 v8, s38, v5
	v_mul_lo_u32 v6, v5, s22
	s_delay_alu instid0(VALU_DEP_1) | instskip(NEXT) | instid1(VALU_DEP_4)
	v_dual_add_nc_u32 v7, v5, v8 :: v_dual_sub_nc_u32 v4, v4, v6
	v_mad_u32 v8, v3, s27, v10
	v_mad_u32 v3, v3, s26, v2
	s_delay_alu instid0(VALU_DEP_3) | instskip(NEXT) | instid1(VALU_DEP_1)
	v_lshrrev_b32_e32 v2, s39, v7
	v_mul_lo_u32 v6, v2, s37
	s_delay_alu instid0(VALU_DEP_4) | instskip(NEXT) | instid1(VALU_DEP_4)
	v_mad_u32 v7, v4, s29, v8
	v_mad_u32 v3, v4, s28, v3
	s_delay_alu instid0(VALU_DEP_3) | instskip(NEXT) | instid1(VALU_DEP_1)
	v_sub_nc_u32_e32 v4, v5, v6
	v_mad_u32 v14, v4, s31, v7
	s_delay_alu instid0(VALU_DEP_3)
	v_mad_u32 v6, v4, s30, v3
	s_cbranch_scc1 .LBB47_963
; %bb.964:
	s_delay_alu instid0(VALU_DEP_2)
	v_mov_b32_e32 v7, v14
	s_and_b32 s6, s1, 3
	s_mov_b32 s1, 0
	s_cmp_eq_u32 s6, 0
	s_cbranch_scc0 .LBB47_968
	s_branch .LBB47_971
.LBB47_965:
	s_mov_b32 s8, -1
                                        ; implicit-def: $vgpr14
                                        ; implicit-def: $vgpr6
	s_branch .LBB47_971
.LBB47_966:
	s_wait_loadcnt 0x0
	v_dual_mov_b32 v14, 0 :: v_dual_mov_b32 v6, 0
	s_branch .LBB47_971
.LBB47_967:
	s_wait_loadcnt 0x0
	v_mov_b64_e32 v[6:7], 0
	v_mov_b32_e32 v2, v0
	s_mov_b32 s0, 0
                                        ; implicit-def: $vgpr14
	s_and_b32 s6, s1, 3
	s_mov_b32 s1, 0
	s_cmp_eq_u32 s6, 0
	s_cbranch_scc1 .LBB47_971
.LBB47_968:
	s_lshl_b32 s4, s0, 3
	s_mov_b32 s5, s1
	s_mul_u64 s[10:11], s[0:1], 12
	s_add_nc_u64 s[4:5], s[2:3], s[4:5]
	s_delay_alu instid0(SALU_CYCLE_1)
	s_add_nc_u64 s[0:1], s[4:5], 0xc4
	s_add_nc_u64 s[4:5], s[2:3], s[10:11]
.LBB47_969:                             ; =>This Inner Loop Header: Depth=1
	s_load_b96 s[16:18], s[4:5], 0x4
	s_load_b64 s[10:11], s[0:1], 0x0
	s_add_co_i32 s6, s6, -1
	s_wait_xcnt 0x0
	s_add_nc_u64 s[4:5], s[4:5], 12
	s_cmp_lg_u32 s6, 0
	s_add_nc_u64 s[0:1], s[0:1], 8
	s_wait_kmcnt 0x0
	v_mul_hi_u32 v3, s17, v2
	s_delay_alu instid0(VALU_DEP_1) | instskip(NEXT) | instid1(VALU_DEP_1)
	v_add_nc_u32_e32 v3, v2, v3
	v_lshrrev_b32_e32 v3, s18, v3
	s_delay_alu instid0(VALU_DEP_1) | instskip(NEXT) | instid1(VALU_DEP_1)
	v_mul_lo_u32 v4, v3, s16
	v_sub_nc_u32_e32 v2, v2, v4
	s_delay_alu instid0(VALU_DEP_1)
	v_mad_u32 v7, v2, s11, v7
	v_mad_u32 v6, v2, s10, v6
	v_mov_b32_e32 v2, v3
	s_cbranch_scc1 .LBB47_969
; %bb.970:
	s_delay_alu instid0(VALU_DEP_3)
	v_mov_b32_e32 v14, v7
.LBB47_971:
	s_and_not1_b32 vcc_lo, exec_lo, s8
	s_cbranch_vccnz .LBB47_974
; %bb.972:
	s_clause 0x1
	s_load_b96 s[4:6], s[2:3], 0x4
	s_load_b64 s[0:1], s[2:3], 0xc4
	s_cmp_lt_u32 s33, 2
	s_wait_kmcnt 0x0
	v_mul_hi_u32 v2, s5, v0
	s_delay_alu instid0(VALU_DEP_1) | instskip(NEXT) | instid1(VALU_DEP_1)
	v_add_nc_u32_e32 v2, v0, v2
	v_lshrrev_b32_e32 v2, s6, v2
	s_delay_alu instid0(VALU_DEP_1) | instskip(NEXT) | instid1(VALU_DEP_1)
	v_mul_lo_u32 v3, v2, s4
	v_sub_nc_u32_e32 v3, v0, v3
	s_delay_alu instid0(VALU_DEP_1)
	v_mul_lo_u32 v14, v3, s1
	s_wait_loadcnt 0x0
	v_mul_lo_u32 v6, v3, s0
	s_cbranch_scc1 .LBB47_974
; %bb.973:
	s_clause 0x1
	s_load_b96 s[4:6], s[2:3], 0x10
	s_load_b64 s[0:1], s[2:3], 0xcc
	s_wait_kmcnt 0x0
	v_mul_hi_u32 v3, s5, v2
	s_delay_alu instid0(VALU_DEP_1) | instskip(NEXT) | instid1(VALU_DEP_1)
	v_add_nc_u32_e32 v3, v2, v3
	v_lshrrev_b32_e32 v3, s6, v3
	s_delay_alu instid0(VALU_DEP_1) | instskip(NEXT) | instid1(VALU_DEP_1)
	v_mul_lo_u32 v3, v3, s4
	v_sub_nc_u32_e32 v2, v2, v3
	s_delay_alu instid0(VALU_DEP_1)
	v_mad_u32 v6, v2, s0, v6
	v_mad_u32 v14, v2, s1, v14
.LBB47_974:
	v_cmp_ne_u32_e32 vcc_lo, 1, v1
	v_add_nc_u32_e32 v2, 0x80, v0
	s_cbranch_vccnz .LBB47_980
; %bb.975:
	s_cmp_lg_u32 s33, 0
	s_mov_b32 s8, 0
	s_cbranch_scc0 .LBB47_981
; %bb.976:
	s_min_u32 s1, s34, 15
	s_delay_alu instid0(SALU_CYCLE_1)
	s_add_co_i32 s1, s1, 1
	s_cmp_eq_u32 s34, 2
	s_cbranch_scc1 .LBB47_982
; %bb.977:
	v_dual_mov_b32 v4, 0 :: v_dual_mov_b32 v12, 0
	v_mov_b32_e32 v3, v2
	s_and_b32 s0, s1, 28
	s_add_nc_u64 s[4:5], s[2:3], 0xc4
	s_mov_b32 s9, 0
	s_mov_b64 s[6:7], s[2:3]
.LBB47_978:                             ; =>This Inner Loop Header: Depth=1
	s_clause 0x1
	s_load_b256 s[16:23], s[6:7], 0x4
	s_load_b128 s[36:39], s[6:7], 0x24
	s_load_b256 s[24:31], s[4:5], 0x0
	s_add_co_i32 s9, s9, 4
	s_wait_xcnt 0x0
	s_add_nc_u64 s[6:7], s[6:7], 48
	s_cmp_lg_u32 s0, s9
	s_add_nc_u64 s[4:5], s[4:5], 32
	s_wait_kmcnt 0x0
	v_mul_hi_u32 v5, s17, v3
	s_delay_alu instid0(VALU_DEP_1) | instskip(NEXT) | instid1(VALU_DEP_1)
	v_add_nc_u32_e32 v5, v3, v5
	v_lshrrev_b32_e32 v5, s18, v5
	s_wait_loadcnt 0x0
	s_delay_alu instid0(VALU_DEP_1) | instskip(NEXT) | instid1(VALU_DEP_1)
	v_mul_hi_u32 v7, s20, v5
	v_add_nc_u32_e32 v7, v5, v7
	s_delay_alu instid0(VALU_DEP_1) | instskip(NEXT) | instid1(VALU_DEP_1)
	v_lshrrev_b32_e32 v7, s21, v7
	v_mul_hi_u32 v8, s23, v7
	s_delay_alu instid0(VALU_DEP_1) | instskip(SKIP_1) | instid1(VALU_DEP_1)
	v_add_nc_u32_e32 v8, v7, v8
	v_mul_lo_u32 v10, v5, s16
	v_sub_nc_u32_e32 v3, v3, v10
	v_mul_lo_u32 v10, v7, s19
	s_delay_alu instid0(VALU_DEP_4) | instskip(NEXT) | instid1(VALU_DEP_3)
	v_lshrrev_b32_e32 v8, s36, v8
	v_mad_u32 v12, v3, s25, v12
	v_mad_u32 v3, v3, s24, v4
	s_delay_alu instid0(VALU_DEP_4) | instskip(NEXT) | instid1(VALU_DEP_4)
	v_sub_nc_u32_e32 v4, v5, v10
	v_mul_hi_u32 v11, s38, v8
	v_mul_lo_u32 v5, v8, s22
	s_delay_alu instid0(VALU_DEP_1) | instskip(NEXT) | instid1(VALU_DEP_4)
	v_dual_add_nc_u32 v10, v8, v11 :: v_dual_sub_nc_u32 v5, v7, v5
	v_mad_u32 v11, v4, s27, v12
	v_mad_u32 v4, v4, s26, v3
	s_delay_alu instid0(VALU_DEP_3) | instskip(NEXT) | instid1(VALU_DEP_1)
	v_lshrrev_b32_e32 v3, s39, v10
	v_mul_lo_u32 v7, v3, s37
	s_delay_alu instid0(VALU_DEP_4) | instskip(NEXT) | instid1(VALU_DEP_4)
	v_mad_u32 v10, v5, s29, v11
	v_mad_u32 v4, v5, s28, v4
	s_delay_alu instid0(VALU_DEP_3) | instskip(NEXT) | instid1(VALU_DEP_1)
	v_sub_nc_u32_e32 v5, v8, v7
	v_mad_u32 v12, v5, s31, v10
	s_delay_alu instid0(VALU_DEP_3)
	v_mad_u32 v4, v5, s30, v4
	s_cbranch_scc1 .LBB47_978
; %bb.979:
	s_delay_alu instid0(VALU_DEP_2)
	v_mov_b32_e32 v5, v12
	s_and_b32 s6, s1, 3
	s_mov_b32 s1, 0
	s_cmp_eq_u32 s6, 0
	s_cbranch_scc0 .LBB47_983
	s_branch .LBB47_986
.LBB47_980:
	s_mov_b32 s8, -1
                                        ; implicit-def: $vgpr12
                                        ; implicit-def: $vgpr4
	s_branch .LBB47_986
.LBB47_981:
	v_dual_mov_b32 v12, 0 :: v_dual_mov_b32 v4, 0
	s_branch .LBB47_986
.LBB47_982:
	v_mov_b64_e32 v[4:5], 0
	v_mov_b32_e32 v3, v2
	s_mov_b32 s0, 0
                                        ; implicit-def: $vgpr12
	s_and_b32 s6, s1, 3
	s_mov_b32 s1, 0
	s_cmp_eq_u32 s6, 0
	s_cbranch_scc1 .LBB47_986
.LBB47_983:
	s_lshl_b32 s4, s0, 3
	s_mov_b32 s5, s1
	s_mul_u64 s[10:11], s[0:1], 12
	s_add_nc_u64 s[4:5], s[2:3], s[4:5]
	s_delay_alu instid0(SALU_CYCLE_1)
	s_add_nc_u64 s[0:1], s[4:5], 0xc4
	s_add_nc_u64 s[4:5], s[2:3], s[10:11]
.LBB47_984:                             ; =>This Inner Loop Header: Depth=1
	s_load_b96 s[16:18], s[4:5], 0x4
	s_load_b64 s[10:11], s[0:1], 0x0
	s_add_co_i32 s6, s6, -1
	s_wait_xcnt 0x0
	s_add_nc_u64 s[4:5], s[4:5], 12
	s_cmp_lg_u32 s6, 0
	s_add_nc_u64 s[0:1], s[0:1], 8
	s_wait_loadcnt 0x0
	s_wait_kmcnt 0x0
	v_mul_hi_u32 v7, s17, v3
	s_delay_alu instid0(VALU_DEP_1) | instskip(NEXT) | instid1(VALU_DEP_1)
	v_add_nc_u32_e32 v7, v3, v7
	v_lshrrev_b32_e32 v7, s18, v7
	s_delay_alu instid0(VALU_DEP_1) | instskip(NEXT) | instid1(VALU_DEP_1)
	v_mul_lo_u32 v8, v7, s16
	v_sub_nc_u32_e32 v3, v3, v8
	s_delay_alu instid0(VALU_DEP_1)
	v_mad_u32 v5, v3, s11, v5
	v_mad_u32 v4, v3, s10, v4
	v_mov_b32_e32 v3, v7
	s_cbranch_scc1 .LBB47_984
; %bb.985:
	s_delay_alu instid0(VALU_DEP_3)
	v_mov_b32_e32 v12, v5
.LBB47_986:
	s_and_not1_b32 vcc_lo, exec_lo, s8
	s_cbranch_vccnz .LBB47_989
; %bb.987:
	s_clause 0x1
	s_load_b96 s[4:6], s[2:3], 0x4
	s_load_b64 s[0:1], s[2:3], 0xc4
	s_cmp_lt_u32 s33, 2
	s_wait_kmcnt 0x0
	v_mul_hi_u32 v3, s5, v2
	s_delay_alu instid0(VALU_DEP_1) | instskip(NEXT) | instid1(VALU_DEP_1)
	v_add_nc_u32_e32 v3, v2, v3
	v_lshrrev_b32_e32 v3, s6, v3
	s_delay_alu instid0(VALU_DEP_1) | instskip(NEXT) | instid1(VALU_DEP_1)
	v_mul_lo_u32 v4, v3, s4
	v_sub_nc_u32_e32 v2, v2, v4
	s_delay_alu instid0(VALU_DEP_1)
	v_mul_lo_u32 v12, v2, s1
	v_mul_lo_u32 v4, v2, s0
	s_cbranch_scc1 .LBB47_989
; %bb.988:
	s_clause 0x1
	s_load_b96 s[4:6], s[2:3], 0x10
	s_load_b64 s[0:1], s[2:3], 0xcc
	s_wait_kmcnt 0x0
	v_mul_hi_u32 v2, s5, v3
	s_delay_alu instid0(VALU_DEP_1) | instskip(NEXT) | instid1(VALU_DEP_1)
	v_add_nc_u32_e32 v2, v3, v2
	v_lshrrev_b32_e32 v2, s6, v2
	s_delay_alu instid0(VALU_DEP_1) | instskip(NEXT) | instid1(VALU_DEP_1)
	v_mul_lo_u32 v2, v2, s4
	v_sub_nc_u32_e32 v2, v3, v2
	s_delay_alu instid0(VALU_DEP_1)
	v_mad_u32 v4, v2, s0, v4
	v_mad_u32 v12, v2, s1, v12
.LBB47_989:
	v_cmp_ne_u32_e32 vcc_lo, 1, v1
	v_add_nc_u32_e32 v0, 0x100, v0
	s_cbranch_vccnz .LBB47_995
; %bb.990:
	s_cmp_lg_u32 s33, 0
	s_mov_b32 s8, 0
	s_cbranch_scc0 .LBB47_996
; %bb.991:
	s_min_u32 s1, s34, 15
	s_delay_alu instid0(SALU_CYCLE_1)
	s_add_co_i32 s1, s1, 1
	s_cmp_eq_u32 s34, 2
	s_cbranch_scc1 .LBB47_997
; %bb.992:
	v_dual_mov_b32 v2, 0 :: v_dual_mov_b32 v10, 0
	v_mov_b32_e32 v5, v0
	s_and_b32 s0, s1, 28
	s_add_nc_u64 s[4:5], s[2:3], 0xc4
	s_mov_b32 s9, 0
	s_mov_b64 s[6:7], s[2:3]
.LBB47_993:                             ; =>This Inner Loop Header: Depth=1
	s_clause 0x1
	s_load_b256 s[16:23], s[6:7], 0x4
	s_load_b128 s[36:39], s[6:7], 0x24
	s_load_b256 s[24:31], s[4:5], 0x0
	s_add_co_i32 s9, s9, 4
	s_wait_xcnt 0x0
	s_add_nc_u64 s[6:7], s[6:7], 48
	s_cmp_lg_u32 s0, s9
	s_add_nc_u64 s[4:5], s[4:5], 32
	s_wait_kmcnt 0x0
	v_mul_hi_u32 v3, s17, v5
	s_delay_alu instid0(VALU_DEP_1) | instskip(NEXT) | instid1(VALU_DEP_1)
	v_add_nc_u32_e32 v3, v5, v3
	v_lshrrev_b32_e32 v3, s18, v3
	s_wait_loadcnt 0x0
	s_delay_alu instid0(VALU_DEP_1) | instskip(NEXT) | instid1(VALU_DEP_1)
	v_mul_hi_u32 v7, s20, v3
	v_add_nc_u32_e32 v7, v3, v7
	s_delay_alu instid0(VALU_DEP_1) | instskip(NEXT) | instid1(VALU_DEP_1)
	v_lshrrev_b32_e32 v7, s21, v7
	v_mul_hi_u32 v8, s23, v7
	s_delay_alu instid0(VALU_DEP_1) | instskip(NEXT) | instid1(VALU_DEP_1)
	v_add_nc_u32_e32 v8, v7, v8
	v_lshrrev_b32_e32 v8, s36, v8
	v_mul_lo_u32 v11, v3, s16
	s_delay_alu instid0(VALU_DEP_2) | instskip(NEXT) | instid1(VALU_DEP_2)
	v_mul_hi_u32 v13, s38, v8
	v_sub_nc_u32_e32 v5, v5, v11
	s_delay_alu instid0(VALU_DEP_1) | instskip(SKIP_1) | instid1(VALU_DEP_4)
	v_mad_u32 v10, v5, s25, v10
	v_mad_u32 v2, v5, s24, v2
	v_add_nc_u32_e32 v5, v8, v13
	s_delay_alu instid0(VALU_DEP_1) | instskip(SKIP_1) | instid1(VALU_DEP_1)
	v_lshrrev_b32_e32 v5, s39, v5
	v_mul_lo_u32 v11, v7, s19
	v_sub_nc_u32_e32 v3, v3, v11
	v_mul_lo_u32 v11, v8, s22
	s_delay_alu instid0(VALU_DEP_2) | instskip(SKIP_1) | instid1(VALU_DEP_3)
	v_mad_u32 v10, v3, s27, v10
	v_mad_u32 v2, v3, s26, v2
	v_sub_nc_u32_e32 v3, v7, v11
	v_mul_lo_u32 v7, v5, s37
	s_delay_alu instid0(VALU_DEP_2) | instskip(NEXT) | instid1(VALU_DEP_4)
	v_mad_u32 v10, v3, s29, v10
	v_mad_u32 v2, v3, s28, v2
	s_delay_alu instid0(VALU_DEP_3) | instskip(NEXT) | instid1(VALU_DEP_1)
	v_sub_nc_u32_e32 v3, v8, v7
	v_mad_u32 v10, v3, s31, v10
	s_delay_alu instid0(VALU_DEP_3)
	v_mad_u32 v2, v3, s30, v2
	s_cbranch_scc1 .LBB47_993
; %bb.994:
	s_delay_alu instid0(VALU_DEP_2)
	v_mov_b32_e32 v3, v10
	s_and_b32 s6, s1, 3
	s_mov_b32 s1, 0
	s_cmp_eq_u32 s6, 0
	s_cbranch_scc0 .LBB47_998
	s_branch .LBB47_1001
.LBB47_995:
	s_mov_b32 s8, -1
                                        ; implicit-def: $vgpr10
                                        ; implicit-def: $vgpr2
	s_branch .LBB47_1001
.LBB47_996:
	v_dual_mov_b32 v10, 0 :: v_dual_mov_b32 v2, 0
	s_branch .LBB47_1001
.LBB47_997:
	v_mov_b64_e32 v[2:3], 0
	v_mov_b32_e32 v5, v0
	s_mov_b32 s0, 0
                                        ; implicit-def: $vgpr10
	s_and_b32 s6, s1, 3
	s_mov_b32 s1, 0
	s_cmp_eq_u32 s6, 0
	s_cbranch_scc1 .LBB47_1001
.LBB47_998:
	s_lshl_b32 s4, s0, 3
	s_mov_b32 s5, s1
	s_mul_u64 s[10:11], s[0:1], 12
	s_add_nc_u64 s[4:5], s[2:3], s[4:5]
	s_delay_alu instid0(SALU_CYCLE_1)
	s_add_nc_u64 s[0:1], s[4:5], 0xc4
	s_add_nc_u64 s[4:5], s[2:3], s[10:11]
.LBB47_999:                             ; =>This Inner Loop Header: Depth=1
	s_load_b96 s[16:18], s[4:5], 0x4
	s_load_b64 s[10:11], s[0:1], 0x0
	s_add_co_i32 s6, s6, -1
	s_wait_xcnt 0x0
	s_add_nc_u64 s[4:5], s[4:5], 12
	s_cmp_lg_u32 s6, 0
	s_add_nc_u64 s[0:1], s[0:1], 8
	s_wait_loadcnt 0x0
	s_wait_kmcnt 0x0
	v_mul_hi_u32 v7, s17, v5
	s_delay_alu instid0(VALU_DEP_1) | instskip(NEXT) | instid1(VALU_DEP_1)
	v_add_nc_u32_e32 v7, v5, v7
	v_lshrrev_b32_e32 v7, s18, v7
	s_delay_alu instid0(VALU_DEP_1) | instskip(NEXT) | instid1(VALU_DEP_1)
	v_mul_lo_u32 v8, v7, s16
	v_sub_nc_u32_e32 v5, v5, v8
	s_delay_alu instid0(VALU_DEP_1)
	v_mad_u32 v3, v5, s11, v3
	v_mad_u32 v2, v5, s10, v2
	v_mov_b32_e32 v5, v7
	s_cbranch_scc1 .LBB47_999
; %bb.1000:
	s_delay_alu instid0(VALU_DEP_3)
	v_mov_b32_e32 v10, v3
.LBB47_1001:
	s_and_not1_b32 vcc_lo, exec_lo, s8
	s_cbranch_vccnz .LBB47_1004
; %bb.1002:
	s_clause 0x1
	s_load_b96 s[4:6], s[2:3], 0x4
	s_load_b64 s[0:1], s[2:3], 0xc4
	s_cmp_lt_u32 s33, 2
	s_wait_kmcnt 0x0
	v_mul_hi_u32 v2, s5, v0
	s_delay_alu instid0(VALU_DEP_1) | instskip(NEXT) | instid1(VALU_DEP_1)
	v_add_nc_u32_e32 v2, v0, v2
	v_lshrrev_b32_e32 v3, s6, v2
	s_delay_alu instid0(VALU_DEP_1) | instskip(NEXT) | instid1(VALU_DEP_1)
	v_mul_lo_u32 v2, v3, s4
	v_sub_nc_u32_e32 v0, v0, v2
	s_delay_alu instid0(VALU_DEP_1)
	v_mul_lo_u32 v10, v0, s1
	v_mul_lo_u32 v2, v0, s0
	s_cbranch_scc1 .LBB47_1004
; %bb.1003:
	s_clause 0x1
	s_load_b96 s[4:6], s[2:3], 0x10
	s_load_b64 s[0:1], s[2:3], 0xcc
	s_wait_kmcnt 0x0
	v_mul_hi_u32 v0, s5, v3
	s_delay_alu instid0(VALU_DEP_1) | instskip(NEXT) | instid1(VALU_DEP_1)
	v_add_nc_u32_e32 v0, v3, v0
	v_lshrrev_b32_e32 v0, s6, v0
	s_delay_alu instid0(VALU_DEP_1) | instskip(NEXT) | instid1(VALU_DEP_1)
	v_mul_lo_u32 v0, v0, s4
	v_sub_nc_u32_e32 v0, v3, v0
	s_delay_alu instid0(VALU_DEP_1)
	v_mad_u32 v2, v0, s0, v2
	v_mad_u32 v10, v0, s1, v10
.LBB47_1004:
	v_cmp_ne_u32_e32 vcc_lo, 1, v1
	s_cbranch_vccnz .LBB47_1010
; %bb.1005:
	s_cmp_lg_u32 s33, 0
	s_mov_b32 s8, 0
	s_cbranch_scc0 .LBB47_1011
; %bb.1006:
	s_min_u32 s1, s34, 15
	s_delay_alu instid0(SALU_CYCLE_1)
	s_add_co_i32 s1, s1, 1
	s_cmp_eq_u32 s34, 2
	s_cbranch_scc1 .LBB47_1012
; %bb.1007:
	v_dual_mov_b32 v0, 0 :: v_dual_mov_b32 v8, 0
	v_mov_b32_e32 v3, v9
	s_and_b32 s0, s1, 28
	s_add_nc_u64 s[4:5], s[2:3], 0xc4
	s_mov_b32 s9, 0
	s_mov_b64 s[6:7], s[2:3]
.LBB47_1008:                            ; =>This Inner Loop Header: Depth=1
	s_clause 0x1
	s_load_b256 s[16:23], s[6:7], 0x4
	s_load_b128 s[36:39], s[6:7], 0x24
	s_load_b256 s[24:31], s[4:5], 0x0
	s_add_co_i32 s9, s9, 4
	s_wait_xcnt 0x0
	s_add_nc_u64 s[6:7], s[6:7], 48
	s_cmp_lg_u32 s0, s9
	s_add_nc_u64 s[4:5], s[4:5], 32
	s_wait_kmcnt 0x0
	v_mul_hi_u32 v1, s17, v3
	s_delay_alu instid0(VALU_DEP_1) | instskip(NEXT) | instid1(VALU_DEP_1)
	v_add_nc_u32_e32 v1, v3, v1
	v_lshrrev_b32_e32 v1, s18, v1
	s_delay_alu instid0(VALU_DEP_1) | instskip(NEXT) | instid1(VALU_DEP_1)
	v_mul_lo_u32 v11, v1, s16
	v_sub_nc_u32_e32 v3, v3, v11
	v_mul_hi_u32 v5, s20, v1
	s_delay_alu instid0(VALU_DEP_2) | instskip(SKIP_1) | instid1(VALU_DEP_3)
	v_mad_u32 v8, v3, s25, v8
	v_mad_u32 v0, v3, s24, v0
	v_add_nc_u32_e32 v5, v1, v5
	s_delay_alu instid0(VALU_DEP_1) | instskip(NEXT) | instid1(VALU_DEP_1)
	v_lshrrev_b32_e32 v5, s21, v5
	v_mul_lo_u32 v11, v5, s19
	s_delay_alu instid0(VALU_DEP_1) | instskip(SKIP_2) | instid1(VALU_DEP_2)
	v_sub_nc_u32_e32 v1, v1, v11
	s_wait_loadcnt 0x0
	v_mul_hi_u32 v7, s23, v5
	v_mad_u32 v8, v1, s27, v8
	v_mad_u32 v0, v1, s26, v0
	s_delay_alu instid0(VALU_DEP_3) | instskip(NEXT) | instid1(VALU_DEP_1)
	v_add_nc_u32_e32 v7, v5, v7
	v_lshrrev_b32_e32 v7, s36, v7
	s_delay_alu instid0(VALU_DEP_1) | instskip(SKIP_1) | instid1(VALU_DEP_1)
	v_mul_hi_u32 v13, s38, v7
	v_mul_lo_u32 v11, v7, s22
	v_dual_add_nc_u32 v3, v7, v13 :: v_dual_sub_nc_u32 v1, v5, v11
	s_delay_alu instid0(VALU_DEP_1) | instskip(NEXT) | instid1(VALU_DEP_2)
	v_lshrrev_b32_e32 v3, s39, v3
	v_mad_u32 v8, v1, s29, v8
	v_mad_u32 v0, v1, s28, v0
	s_delay_alu instid0(VALU_DEP_3) | instskip(NEXT) | instid1(VALU_DEP_1)
	v_mul_lo_u32 v5, v3, s37
	v_sub_nc_u32_e32 v1, v7, v5
	s_delay_alu instid0(VALU_DEP_1) | instskip(NEXT) | instid1(VALU_DEP_4)
	v_mad_u32 v8, v1, s31, v8
	v_mad_u32 v0, v1, s30, v0
	s_cbranch_scc1 .LBB47_1008
; %bb.1009:
	s_delay_alu instid0(VALU_DEP_2)
	v_mov_b32_e32 v1, v8
	s_and_b32 s6, s1, 3
	s_mov_b32 s1, 0
	s_cmp_eq_u32 s6, 0
	s_cbranch_scc0 .LBB47_1013
	s_branch .LBB47_1016
.LBB47_1010:
	s_mov_b32 s8, -1
                                        ; implicit-def: $vgpr8
                                        ; implicit-def: $vgpr0
	s_branch .LBB47_1016
.LBB47_1011:
	v_dual_mov_b32 v8, 0 :: v_dual_mov_b32 v0, 0
	s_branch .LBB47_1016
.LBB47_1012:
	v_mov_b64_e32 v[0:1], 0
	v_mov_b32_e32 v3, v9
	s_mov_b32 s0, 0
                                        ; implicit-def: $vgpr8
	s_and_b32 s6, s1, 3
	s_mov_b32 s1, 0
	s_cmp_eq_u32 s6, 0
	s_cbranch_scc1 .LBB47_1016
.LBB47_1013:
	s_lshl_b32 s4, s0, 3
	s_mov_b32 s5, s1
	s_mul_u64 s[10:11], s[0:1], 12
	s_add_nc_u64 s[4:5], s[2:3], s[4:5]
	s_delay_alu instid0(SALU_CYCLE_1)
	s_add_nc_u64 s[0:1], s[4:5], 0xc4
	s_add_nc_u64 s[4:5], s[2:3], s[10:11]
.LBB47_1014:                            ; =>This Inner Loop Header: Depth=1
	s_load_b96 s[16:18], s[4:5], 0x4
	s_load_b64 s[10:11], s[0:1], 0x0
	s_add_co_i32 s6, s6, -1
	s_wait_xcnt 0x0
	s_add_nc_u64 s[4:5], s[4:5], 12
	s_cmp_lg_u32 s6, 0
	s_add_nc_u64 s[0:1], s[0:1], 8
	s_wait_kmcnt 0x0
	v_mul_hi_u32 v5, s17, v3
	s_delay_alu instid0(VALU_DEP_1) | instskip(NEXT) | instid1(VALU_DEP_1)
	v_add_nc_u32_e32 v5, v3, v5
	v_lshrrev_b32_e32 v5, s18, v5
	s_wait_loadcnt 0x0
	s_delay_alu instid0(VALU_DEP_1) | instskip(NEXT) | instid1(VALU_DEP_1)
	v_mul_lo_u32 v7, v5, s16
	v_sub_nc_u32_e32 v3, v3, v7
	s_delay_alu instid0(VALU_DEP_1)
	v_mad_u32 v1, v3, s11, v1
	v_mad_u32 v0, v3, s10, v0
	v_mov_b32_e32 v3, v5
	s_cbranch_scc1 .LBB47_1014
; %bb.1015:
	s_delay_alu instid0(VALU_DEP_3)
	v_mov_b32_e32 v8, v1
.LBB47_1016:
	s_and_not1_b32 vcc_lo, exec_lo, s8
	s_cbranch_vccnz .LBB47_1019
; %bb.1017:
	s_clause 0x1
	s_load_b96 s[4:6], s[2:3], 0x4
	s_load_b64 s[0:1], s[2:3], 0xc4
	s_cmp_lt_u32 s33, 2
	s_wait_kmcnt 0x0
	v_mul_hi_u32 v0, s5, v9
	s_delay_alu instid0(VALU_DEP_1) | instskip(NEXT) | instid1(VALU_DEP_1)
	v_add_nc_u32_e32 v0, v9, v0
	v_lshrrev_b32_e32 v1, s6, v0
	s_delay_alu instid0(VALU_DEP_1) | instskip(NEXT) | instid1(VALU_DEP_1)
	v_mul_lo_u32 v0, v1, s4
	v_sub_nc_u32_e32 v0, v9, v0
	s_delay_alu instid0(VALU_DEP_1)
	v_mul_lo_u32 v8, v0, s1
	v_mul_lo_u32 v0, v0, s0
	s_cbranch_scc1 .LBB47_1019
; %bb.1018:
	s_clause 0x1
	s_load_b96 s[4:6], s[2:3], 0x10
	s_load_b64 s[0:1], s[2:3], 0xcc
	s_wait_kmcnt 0x0
	v_mul_hi_u32 v3, s5, v1
	s_delay_alu instid0(VALU_DEP_1) | instskip(NEXT) | instid1(VALU_DEP_1)
	v_add_nc_u32_e32 v3, v1, v3
	v_lshrrev_b32_e32 v3, s6, v3
	s_delay_alu instid0(VALU_DEP_1) | instskip(NEXT) | instid1(VALU_DEP_1)
	v_mul_lo_u32 v3, v3, s4
	v_sub_nc_u32_e32 v1, v1, v3
	s_delay_alu instid0(VALU_DEP_1)
	v_mad_u32 v0, v1, s0, v0
	v_mad_u32 v8, v1, s1, v8
.LBB47_1019:
	v_mov_b32_e32 v15, 0
	s_load_b256 s[4:11], s[2:3], 0x148
	global_load_u8 v1, v15, s[2:3] offset:361
	s_wait_kmcnt 0x0
	v_add_nc_u64_e32 v[14:15], s[6:7], v[14:15]
	s_wait_loadcnt 0x0
	v_and_b32_e32 v3, 0xffff, v1
	v_readfirstlane_b32 s15, v1
	s_delay_alu instid0(VALU_DEP_2)
	v_cmp_gt_i32_e32 vcc_lo, 11, v3
	s_cbranch_vccnz .LBB47_1026
; %bb.1020:
	s_and_b32 s0, 0xffff, s15
	s_mov_b32 s14, 0
	s_cmp_gt_i32 s0, 25
	s_cbranch_scc0 .LBB47_1037
; %bb.1021:
	s_cmp_gt_i32 s0, 28
	s_cbranch_scc0 .LBB47_1038
; %bb.1022:
	;; [unrolled: 3-line block ×4, first 2 shown]
	s_cmp_eq_u32 s0, 46
	s_mov_b32 s17, 0
	s_cbranch_scc0 .LBB47_1055
; %bb.1025:
	global_load_b32 v1, v[14:15], off
	s_mov_b32 s1, 0
	s_mov_b32 s16, -1
	s_wait_loadcnt 0x0
	v_lshlrev_b32_e32 v1, 16, v1
	s_delay_alu instid0(VALU_DEP_1) | instskip(NEXT) | instid1(VALU_DEP_1)
	v_trunc_f32_e32 v1, v1
	v_mul_f32_e64 v3, 0x2f800000, |v1|
	v_ashrrev_i32_e32 v16, 31, v1
	s_delay_alu instid0(VALU_DEP_2) | instskip(NEXT) | instid1(VALU_DEP_2)
	v_floor_f32_e32 v3, v3
	v_mov_b32_e32 v17, v16
	s_delay_alu instid0(VALU_DEP_2) | instskip(SKIP_1) | instid1(VALU_DEP_2)
	v_fma_f32 v5, 0xcf800000, v3, |v1|
	v_cvt_u32_f32_e32 v1, v3
	v_cvt_u32_f32_e32 v3, v5
	s_delay_alu instid0(VALU_DEP_2) | instskip(NEXT) | instid1(VALU_DEP_2)
	v_xor_b32_e32 v19, v1, v16
	v_xor_b32_e32 v18, v3, v16
	s_delay_alu instid0(VALU_DEP_1)
	v_sub_nc_u64_e32 v[16:17], v[18:19], v[16:17]
	s_branch .LBB47_1057
.LBB47_1026:
	s_mov_b32 s16, 0
	s_mov_b32 s1, s12
                                        ; implicit-def: $vgpr16_vgpr17
	s_cbranch_execnz .LBB47_1117
.LBB47_1027:
	s_and_not1_b32 vcc_lo, exec_lo, s16
	s_cbranch_vccnz .LBB47_1162
.LBB47_1028:
	s_wait_loadcnt 0x0
	s_delay_alu instid0(VALU_DEP_1)
	v_cmp_gt_i64_e32 vcc_lo, s[8:9], v[16:17]
	v_cmp_le_i64_e64 s0, s[10:11], v[16:17]
	s_get_pc_i64 s[16:17]
	s_add_nc_u64 s[16:17], s[16:17], .str@rel64+4
	s_or_b32 s0, vcc_lo, s0
	s_cmp_eq_u64 s[16:17], 0
	s_cselect_b32 s14, -1, 0
	s_delay_alu instid0(SALU_CYCLE_1) | instskip(SKIP_2) | instid1(SALU_CYCLE_1)
	s_or_b32 s0, s14, s0
	s_wait_xcnt 0x0
	s_and_saveexec_b32 s14, s0
	s_xor_b32 s0, exec_lo, s14
	s_cbranch_execnz .LBB47_1412
.LBB47_1029:
	s_or_saveexec_b32 s14, s0
	s_mov_b32 s16, 0
	s_mov_b32 s18, 0
                                        ; implicit-def: $vgpr14_vgpr15
                                        ; implicit-def: $sgpr0
	s_xor_b32 exec_lo, exec_lo, s14
	s_cbranch_execz .LBB47_1851
; %bb.1030:
	v_mov_b32_e32 v13, 0
	s_and_b32 s19, 0xffff, s15
	s_delay_alu instid0(SALU_CYCLE_1) | instskip(NEXT) | instid1(VALU_DEP_1)
	s_cmp_lt_i32 s19, 11
	v_add_nc_u64_e32 v[12:13], s[6:7], v[12:13]
	s_cbranch_scc1 .LBB47_1039
; %bb.1031:
	s_cmp_gt_i32 s19, 25
	s_cbranch_scc0 .LBB47_1051
; %bb.1032:
	s_cmp_gt_i32 s19, 28
	s_cbranch_scc0 .LBB47_1053
	;; [unrolled: 3-line block ×4, first 2 shown]
; %bb.1035:
	s_cmp_eq_u32 s19, 46
	s_mov_b32 s15, 0
	s_cbranch_scc0 .LBB47_1166
; %bb.1036:
	global_load_b32 v1, v[12:13], off
	s_mov_b32 s0, 0
	s_mov_b32 s17, -1
	s_wait_loadcnt 0x0
	v_lshlrev_b32_e32 v1, 16, v1
	s_delay_alu instid0(VALU_DEP_1) | instskip(NEXT) | instid1(VALU_DEP_1)
	v_trunc_f32_e32 v1, v1
	v_mul_f32_e64 v3, 0x2f800000, |v1|
	v_ashrrev_i32_e32 v14, 31, v1
	s_delay_alu instid0(VALU_DEP_2) | instskip(NEXT) | instid1(VALU_DEP_2)
	v_floor_f32_e32 v3, v3
	v_mov_b32_e32 v15, v14
	s_delay_alu instid0(VALU_DEP_2) | instskip(SKIP_1) | instid1(VALU_DEP_2)
	v_fma_f32 v5, 0xcf800000, v3, |v1|
	v_cvt_u32_f32_e32 v1, v3
	v_cvt_u32_f32_e32 v3, v5
	s_delay_alu instid0(VALU_DEP_2) | instskip(NEXT) | instid1(VALU_DEP_2)
	v_xor_b32_e32 v17, v1, v14
	v_xor_b32_e32 v16, v3, v14
	s_delay_alu instid0(VALU_DEP_1)
	v_sub_nc_u64_e32 v[14:15], v[16:17], v[14:15]
	s_branch .LBB47_1168
.LBB47_1037:
	s_mov_b32 s16, 0
	s_mov_b32 s1, 0
                                        ; implicit-def: $vgpr16_vgpr17
	s_cbranch_execnz .LBB47_1084
	s_branch .LBB47_1113
.LBB47_1038:
	s_mov_b32 s16, 0
	s_mov_b32 s1, 0
                                        ; implicit-def: $vgpr16_vgpr17
	s_cbranch_execz .LBB47_1083
	s_branch .LBB47_1068
.LBB47_1039:
	s_mov_b32 s17, 0
	s_mov_b32 s15, s1
                                        ; implicit-def: $vgpr14_vgpr15
	s_cbranch_execnz .LBB47_1231
.LBB47_1040:
	s_and_not1_b32 vcc_lo, exec_lo, s17
	s_cbranch_vccnz .LBB47_1279
.LBB47_1041:
	s_wait_loadcnt 0x0
	s_delay_alu instid0(VALU_DEP_1) | instskip(SKIP_4) | instid1(SALU_CYCLE_1)
	v_cmp_gt_i64_e32 vcc_lo, s[8:9], v[14:15]
	v_cmp_le_i64_e64 s0, s[10:11], v[14:15]
	s_or_b32 s0, vcc_lo, s0
	s_wait_xcnt 0x0
	s_and_saveexec_b32 s16, s0
	s_xor_b32 s0, exec_lo, s16
	s_cbranch_execnz .LBB47_1899
.LBB47_1042:
	s_or_saveexec_b32 s16, s0
	s_mov_b32 s17, 0
	s_mov_b32 s18, 0
                                        ; implicit-def: $vgpr14_vgpr15
                                        ; implicit-def: $sgpr0
	s_xor_b32 exec_lo, exec_lo, s16
	s_cbranch_execz .LBB47_1849
; %bb.1043:
	v_mov_b32_e32 v11, 0
	s_cmp_lt_i32 s19, 11
	s_delay_alu instid0(VALU_DEP_1)
	v_add_nc_u64_e32 v[10:11], s[6:7], v[10:11]
	s_cbranch_scc1 .LBB47_1054
; %bb.1044:
	s_cmp_gt_i32 s19, 25
	s_cbranch_scc0 .LBB47_1062
; %bb.1045:
	s_cmp_gt_i32 s19, 28
	s_cbranch_scc0 .LBB47_1165
	;; [unrolled: 3-line block ×4, first 2 shown]
; %bb.1048:
	s_cmp_eq_u32 s19, 46
	s_cbranch_scc0 .LBB47_1282
; %bb.1049:
	global_load_b32 v1, v[10:11], off
	s_mov_b32 s0, 0
	s_mov_b32 s20, -1
	s_wait_loadcnt 0x0
	v_lshlrev_b32_e32 v1, 16, v1
	s_delay_alu instid0(VALU_DEP_1) | instskip(NEXT) | instid1(VALU_DEP_1)
	v_trunc_f32_e32 v1, v1
	v_mul_f32_e64 v3, 0x2f800000, |v1|
	v_ashrrev_i32_e32 v12, 31, v1
	s_delay_alu instid0(VALU_DEP_2) | instskip(NEXT) | instid1(VALU_DEP_2)
	v_floor_f32_e32 v3, v3
	v_mov_b32_e32 v13, v12
	s_delay_alu instid0(VALU_DEP_2) | instskip(SKIP_1) | instid1(VALU_DEP_2)
	v_fma_f32 v5, 0xcf800000, v3, |v1|
	v_cvt_u32_f32_e32 v1, v3
	v_cvt_u32_f32_e32 v3, v5
	s_delay_alu instid0(VALU_DEP_2) | instskip(NEXT) | instid1(VALU_DEP_2)
	v_xor_b32_e32 v15, v1, v12
	v_xor_b32_e32 v14, v3, v12
	s_delay_alu instid0(VALU_DEP_1)
	v_sub_nc_u64_e32 v[12:13], v[14:15], v[12:13]
	s_branch .LBB47_1284
.LBB47_1050:
	s_mov_b32 s16, 0
	s_mov_b32 s1, 0
                                        ; implicit-def: $vgpr16_vgpr17
	s_cbranch_execnz .LBB47_1064
	s_branch .LBB47_1067
.LBB47_1051:
	s_mov_b32 s15, -1
	s_mov_b32 s17, 0
	s_mov_b32 s0, 0
                                        ; implicit-def: $vgpr14_vgpr15
	s_branch .LBB47_1196
.LBB47_1052:
	s_mov_b32 s17, -1
	s_mov_b32 s16, 0
	s_mov_b32 s1, 0
	s_branch .LBB47_1056
.LBB47_1053:
	s_mov_b32 s15, -1
	s_mov_b32 s17, 0
	s_mov_b32 s0, 0
                                        ; implicit-def: $vgpr14_vgpr15
	s_branch .LBB47_1179
.LBB47_1054:
	s_mov_b32 s0, -1
	s_mov_b32 s20, 0
	s_mov_b32 s17, s15
                                        ; implicit-def: $vgpr12_vgpr13
	s_branch .LBB47_1346
.LBB47_1055:
	s_mov_b32 s1, -1
	s_mov_b32 s16, 0
.LBB47_1056:
                                        ; implicit-def: $vgpr16_vgpr17
.LBB47_1057:
	s_and_b32 vcc_lo, exec_lo, s17
	s_cbranch_vccz .LBB47_1060
; %bb.1058:
	s_cmp_eq_u32 s0, 44
	s_cbranch_scc0 .LBB47_1063
; %bb.1059:
	global_load_u8 v1, v[14:15], off
	s_mov_b32 s1, 0
	s_mov_b32 s16, -1
	s_wait_loadcnt 0x0
	v_lshlrev_b32_e32 v3, 23, v1
	v_cmp_ne_u32_e32 vcc_lo, 0, v1
	s_delay_alu instid0(VALU_DEP_2) | instskip(NEXT) | instid1(VALU_DEP_1)
	v_trunc_f32_e32 v3, v3
	v_mul_f32_e64 v5, 0x2f800000, |v3|
	v_ashrrev_i32_e32 v16, 31, v3
	s_delay_alu instid0(VALU_DEP_2) | instskip(NEXT) | instid1(VALU_DEP_2)
	v_floor_f32_e32 v5, v5
	v_mov_b32_e32 v17, v16
	s_delay_alu instid0(VALU_DEP_2) | instskip(SKIP_1) | instid1(VALU_DEP_2)
	v_fma_f32 v7, 0xcf800000, v5, |v3|
	v_cvt_u32_f32_e32 v3, v5
	v_cvt_u32_f32_e32 v5, v7
	s_delay_alu instid0(VALU_DEP_2) | instskip(NEXT) | instid1(VALU_DEP_2)
	v_xor_b32_e32 v19, v3, v16
	v_xor_b32_e32 v18, v5, v16
	s_delay_alu instid0(VALU_DEP_1) | instskip(NEXT) | instid1(VALU_DEP_1)
	v_sub_nc_u64_e32 v[16:17], v[18:19], v[16:17]
	v_dual_cndmask_b32 v17, 0, v17 :: v_dual_cndmask_b32 v16, 0, v16
.LBB47_1060:
	s_branch .LBB47_1067
.LBB47_1061:
	s_mov_b32 s15, -1
	s_mov_b32 s17, 0
	s_mov_b32 s0, 0
                                        ; implicit-def: $vgpr14_vgpr15
	s_branch .LBB47_1174
.LBB47_1062:
	s_mov_b32 s17, -1
	s_mov_b32 s20, 0
	s_mov_b32 s0, 0
                                        ; implicit-def: $vgpr12_vgpr13
	s_branch .LBB47_1311
.LBB47_1063:
	s_mov_b32 s1, -1
                                        ; implicit-def: $vgpr16_vgpr17
	s_branch .LBB47_1067
.LBB47_1064:
	s_cmp_eq_u32 s0, 29
	s_cbranch_scc0 .LBB47_1066
; %bb.1065:
	global_load_b64 v[16:17], v[14:15], off
	s_mov_b32 s1, 0
	s_mov_b32 s16, -1
	s_branch .LBB47_1067
.LBB47_1066:
	s_mov_b32 s1, -1
                                        ; implicit-def: $vgpr16_vgpr17
.LBB47_1067:
	s_branch .LBB47_1083
.LBB47_1068:
	s_cmp_lt_i32 s0, 27
	s_cbranch_scc1 .LBB47_1071
; %bb.1069:
	s_cmp_gt_i32 s0, 27
	s_cbranch_scc0 .LBB47_1072
; %bb.1070:
	s_wait_loadcnt 0x0
	global_load_b32 v16, v[14:15], off
	v_mov_b32_e32 v17, 0
	s_mov_b32 s16, 0
	s_branch .LBB47_1073
.LBB47_1071:
	s_mov_b32 s16, -1
                                        ; implicit-def: $vgpr16_vgpr17
	s_branch .LBB47_1076
.LBB47_1072:
	s_mov_b32 s16, -1
                                        ; implicit-def: $vgpr16_vgpr17
.LBB47_1073:
	s_delay_alu instid0(SALU_CYCLE_1)
	s_and_not1_b32 vcc_lo, exec_lo, s16
	s_cbranch_vccnz .LBB47_1075
; %bb.1074:
	global_load_u16 v1, v[14:15], off
	s_mov_b32 s16, 0
	s_wait_loadcnt 0x1
	v_mov_b32_e32 v17, s16
	s_wait_loadcnt 0x0
	v_and_b32_e32 v16, 0xffff, v1
.LBB47_1075:
	s_mov_b32 s16, 0
.LBB47_1076:
	s_delay_alu instid0(SALU_CYCLE_1)
	s_and_not1_b32 vcc_lo, exec_lo, s16
	s_cbranch_vccnz .LBB47_1082
; %bb.1077:
	global_load_u8 v1, v[14:15], off
	s_mov_b32 s17, 0
	s_mov_b32 s16, exec_lo
	s_wait_loadcnt 0x0
	v_cmpx_lt_i16_e32 0x7f, v1
	s_xor_b32 s16, exec_lo, s16
	s_cbranch_execz .LBB47_1093
; %bb.1078:
	v_cmp_ne_u16_e32 vcc_lo, 0x80, v1
	s_and_b32 s17, vcc_lo, exec_lo
	s_and_not1_saveexec_b32 s16, s16
	s_cbranch_execnz .LBB47_1094
.LBB47_1079:
	s_or_b32 exec_lo, exec_lo, s16
	v_mov_b64_e32 v[16:17], 0
	s_and_saveexec_b32 s16, s17
	s_cbranch_execz .LBB47_1081
.LBB47_1080:
	v_and_b32_e32 v3, 0xffff, v1
	s_delay_alu instid0(VALU_DEP_1) | instskip(SKIP_1) | instid1(VALU_DEP_2)
	v_dual_lshlrev_b32 v1, 24, v1 :: v_dual_bitop2_b32 v5, 7, v3 bitop3:0x40
	v_bfe_u32 v11, v3, 3, 4
	v_and_b32_e32 v1, 0x80000000, v1
	s_delay_alu instid0(VALU_DEP_3) | instskip(NEXT) | instid1(VALU_DEP_3)
	v_clz_i32_u32_e32 v7, v5
	v_cmp_eq_u32_e32 vcc_lo, 0, v11
	s_delay_alu instid0(VALU_DEP_2) | instskip(NEXT) | instid1(VALU_DEP_1)
	v_min_u32_e32 v7, 32, v7
	v_subrev_nc_u32_e32 v9, 28, v7
	v_sub_nc_u32_e32 v7, 29, v7
	s_delay_alu instid0(VALU_DEP_2) | instskip(NEXT) | instid1(VALU_DEP_2)
	v_lshlrev_b32_e32 v3, v9, v3
	v_cndmask_b32_e32 v7, v11, v7, vcc_lo
	s_delay_alu instid0(VALU_DEP_2) | instskip(NEXT) | instid1(VALU_DEP_1)
	v_and_b32_e32 v3, 7, v3
	v_cndmask_b32_e32 v3, v5, v3, vcc_lo
	s_delay_alu instid0(VALU_DEP_3) | instskip(NEXT) | instid1(VALU_DEP_2)
	v_lshl_add_u32 v5, v7, 23, 0x3b800000
	v_lshlrev_b32_e32 v3, 20, v3
	s_delay_alu instid0(VALU_DEP_1) | instskip(NEXT) | instid1(VALU_DEP_1)
	v_or3_b32 v1, v1, v5, v3
	v_trunc_f32_e32 v1, v1
	s_delay_alu instid0(VALU_DEP_1) | instskip(SKIP_1) | instid1(VALU_DEP_2)
	v_mul_f32_e64 v3, 0x2f800000, |v1|
	v_ashrrev_i32_e32 v16, 31, v1
	v_floor_f32_e32 v3, v3
	s_delay_alu instid0(VALU_DEP_2) | instskip(NEXT) | instid1(VALU_DEP_2)
	v_mov_b32_e32 v17, v16
	v_fma_f32 v5, 0xcf800000, v3, |v1|
	v_cvt_u32_f32_e32 v1, v3
	s_delay_alu instid0(VALU_DEP_2) | instskip(NEXT) | instid1(VALU_DEP_2)
	v_cvt_u32_f32_e32 v3, v5
	v_xor_b32_e32 v19, v1, v16
	s_delay_alu instid0(VALU_DEP_2) | instskip(NEXT) | instid1(VALU_DEP_1)
	v_xor_b32_e32 v18, v3, v16
	v_sub_nc_u64_e32 v[16:17], v[18:19], v[16:17]
.LBB47_1081:
	s_or_b32 exec_lo, exec_lo, s16
.LBB47_1082:
	s_mov_b32 s16, -1
.LBB47_1083:
	s_branch .LBB47_1113
.LBB47_1084:
	s_cmp_gt_i32 s0, 22
	s_cbranch_scc0 .LBB47_1092
; %bb.1085:
	s_cmp_lt_i32 s0, 24
	s_cbranch_scc1 .LBB47_1095
; %bb.1086:
	s_cmp_gt_i32 s0, 24
	s_cbranch_scc0 .LBB47_1096
; %bb.1087:
	global_load_u8 v1, v[14:15], off
	s_mov_b32 s16, 0
	s_mov_b32 s14, exec_lo
	s_wait_loadcnt 0x0
	v_cmpx_lt_i16_e32 0x7f, v1
	s_xor_b32 s14, exec_lo, s14
	s_cbranch_execz .LBB47_1107
; %bb.1088:
	v_cmp_ne_u16_e32 vcc_lo, 0x80, v1
	s_and_b32 s16, vcc_lo, exec_lo
	s_and_not1_saveexec_b32 s14, s14
	s_cbranch_execnz .LBB47_1108
.LBB47_1089:
	s_or_b32 exec_lo, exec_lo, s14
	v_mov_b64_e32 v[16:17], 0
	s_and_saveexec_b32 s14, s16
	s_cbranch_execz .LBB47_1091
.LBB47_1090:
	v_and_b32_e32 v3, 0xffff, v1
	s_delay_alu instid0(VALU_DEP_1) | instskip(SKIP_1) | instid1(VALU_DEP_2)
	v_dual_lshlrev_b32 v1, 24, v1 :: v_dual_bitop2_b32 v5, 3, v3 bitop3:0x40
	v_bfe_u32 v11, v3, 2, 5
	v_and_b32_e32 v1, 0x80000000, v1
	s_delay_alu instid0(VALU_DEP_3) | instskip(NEXT) | instid1(VALU_DEP_3)
	v_clz_i32_u32_e32 v7, v5
	v_cmp_eq_u32_e32 vcc_lo, 0, v11
	s_delay_alu instid0(VALU_DEP_2) | instskip(NEXT) | instid1(VALU_DEP_1)
	v_min_u32_e32 v7, 32, v7
	v_subrev_nc_u32_e32 v9, 29, v7
	v_sub_nc_u32_e32 v7, 30, v7
	s_delay_alu instid0(VALU_DEP_2) | instskip(NEXT) | instid1(VALU_DEP_2)
	v_lshlrev_b32_e32 v3, v9, v3
	v_cndmask_b32_e32 v7, v11, v7, vcc_lo
	s_delay_alu instid0(VALU_DEP_2) | instskip(NEXT) | instid1(VALU_DEP_1)
	v_and_b32_e32 v3, 3, v3
	v_cndmask_b32_e32 v3, v5, v3, vcc_lo
	s_delay_alu instid0(VALU_DEP_3) | instskip(NEXT) | instid1(VALU_DEP_2)
	v_lshl_add_u32 v5, v7, 23, 0x37800000
	v_lshlrev_b32_e32 v3, 21, v3
	s_delay_alu instid0(VALU_DEP_1) | instskip(NEXT) | instid1(VALU_DEP_1)
	v_or3_b32 v1, v1, v5, v3
	v_trunc_f32_e32 v1, v1
	s_delay_alu instid0(VALU_DEP_1) | instskip(SKIP_1) | instid1(VALU_DEP_2)
	v_mul_f32_e64 v3, 0x2f800000, |v1|
	v_ashrrev_i32_e32 v16, 31, v1
	v_floor_f32_e32 v3, v3
	s_delay_alu instid0(VALU_DEP_2) | instskip(NEXT) | instid1(VALU_DEP_2)
	v_mov_b32_e32 v17, v16
	v_fma_f32 v5, 0xcf800000, v3, |v1|
	v_cvt_u32_f32_e32 v1, v3
	s_delay_alu instid0(VALU_DEP_2) | instskip(NEXT) | instid1(VALU_DEP_2)
	v_cvt_u32_f32_e32 v3, v5
	v_xor_b32_e32 v19, v1, v16
	s_delay_alu instid0(VALU_DEP_2) | instskip(NEXT) | instid1(VALU_DEP_1)
	v_xor_b32_e32 v18, v3, v16
	v_sub_nc_u64_e32 v[16:17], v[18:19], v[16:17]
.LBB47_1091:
	s_or_b32 exec_lo, exec_lo, s14
	s_mov_b32 s14, 0
	s_branch .LBB47_1097
.LBB47_1092:
                                        ; implicit-def: $vgpr16_vgpr17
	s_mov_b32 s14, 0
	s_branch .LBB47_1103
.LBB47_1093:
	s_and_not1_saveexec_b32 s16, s16
	s_cbranch_execz .LBB47_1079
.LBB47_1094:
	v_cmp_ne_u16_e32 vcc_lo, 0, v1
	s_and_not1_b32 s17, s17, exec_lo
	s_and_b32 s18, vcc_lo, exec_lo
	s_delay_alu instid0(SALU_CYCLE_1)
	s_or_b32 s17, s17, s18
	s_or_b32 exec_lo, exec_lo, s16
	v_mov_b64_e32 v[16:17], 0
	s_and_saveexec_b32 s16, s17
	s_cbranch_execnz .LBB47_1080
	s_branch .LBB47_1081
.LBB47_1095:
	s_mov_b32 s14, -1
                                        ; implicit-def: $vgpr16_vgpr17
	s_branch .LBB47_1100
.LBB47_1096:
	s_mov_b32 s14, -1
                                        ; implicit-def: $vgpr16_vgpr17
.LBB47_1097:
	s_delay_alu instid0(SALU_CYCLE_1)
	s_and_b32 vcc_lo, exec_lo, s14
	s_cbranch_vccz .LBB47_1099
; %bb.1098:
	global_load_u8 v1, v[14:15], off
	s_wait_loadcnt 0x0
	v_lshlrev_b32_e32 v1, 24, v1
	s_delay_alu instid0(VALU_DEP_1) | instskip(NEXT) | instid1(VALU_DEP_1)
	v_and_b32_e32 v3, 0x7f000000, v1
	v_clz_i32_u32_e32 v5, v3
	v_add_nc_u32_e32 v9, 0x1000000, v3
	v_cmp_ne_u32_e32 vcc_lo, 0, v3
	s_delay_alu instid0(VALU_DEP_3) | instskip(NEXT) | instid1(VALU_DEP_1)
	v_min_u32_e32 v5, 32, v5
	v_sub_nc_u32_e64 v5, v5, 4 clamp
	s_delay_alu instid0(VALU_DEP_1) | instskip(NEXT) | instid1(VALU_DEP_1)
	v_dual_lshlrev_b32 v7, v5, v3 :: v_dual_lshlrev_b32 v5, 23, v5
	v_lshrrev_b32_e32 v7, 4, v7
	s_delay_alu instid0(VALU_DEP_1) | instskip(SKIP_1) | instid1(VALU_DEP_2)
	v_sub_nc_u32_e32 v5, v7, v5
	v_ashrrev_i32_e32 v7, 8, v9
	v_add_nc_u32_e32 v5, 0x3c000000, v5
	s_delay_alu instid0(VALU_DEP_1) | instskip(NEXT) | instid1(VALU_DEP_1)
	v_and_or_b32 v5, 0x7f800000, v7, v5
	v_cndmask_b32_e32 v3, 0, v5, vcc_lo
	s_delay_alu instid0(VALU_DEP_1) | instskip(NEXT) | instid1(VALU_DEP_1)
	v_and_or_b32 v1, 0x80000000, v1, v3
	v_trunc_f32_e32 v1, v1
	s_delay_alu instid0(VALU_DEP_1) | instskip(SKIP_1) | instid1(VALU_DEP_2)
	v_mul_f32_e64 v3, 0x2f800000, |v1|
	v_ashrrev_i32_e32 v16, 31, v1
	v_floor_f32_e32 v3, v3
	s_delay_alu instid0(VALU_DEP_2) | instskip(NEXT) | instid1(VALU_DEP_2)
	v_mov_b32_e32 v17, v16
	v_fma_f32 v5, 0xcf800000, v3, |v1|
	v_cvt_u32_f32_e32 v1, v3
	s_delay_alu instid0(VALU_DEP_2) | instskip(NEXT) | instid1(VALU_DEP_2)
	v_cvt_u32_f32_e32 v3, v5
	v_xor_b32_e32 v19, v1, v16
	s_delay_alu instid0(VALU_DEP_2) | instskip(NEXT) | instid1(VALU_DEP_1)
	v_xor_b32_e32 v18, v3, v16
	v_sub_nc_u64_e32 v[16:17], v[18:19], v[16:17]
.LBB47_1099:
	s_mov_b32 s14, 0
.LBB47_1100:
	s_delay_alu instid0(SALU_CYCLE_1)
	s_and_not1_b32 vcc_lo, exec_lo, s14
	s_cbranch_vccnz .LBB47_1102
; %bb.1101:
	global_load_u8 v1, v[14:15], off
	s_wait_loadcnt 0x0
	v_lshlrev_b32_e32 v3, 25, v1
	v_lshlrev_b16 v1, 8, v1
	s_delay_alu instid0(VALU_DEP_1) | instskip(SKIP_1) | instid1(VALU_DEP_2)
	v_and_or_b32 v7, 0x7f00, v1, 0.5
	v_bfe_i32 v1, v1, 0, 16
	v_add_f32_e32 v7, -0.5, v7
	v_lshrrev_b32_e32 v5, 4, v3
	v_cmp_gt_u32_e32 vcc_lo, 0x8000000, v3
	s_delay_alu instid0(VALU_DEP_2) | instskip(NEXT) | instid1(VALU_DEP_1)
	v_or_b32_e32 v5, 0x70000000, v5
	v_mul_f32_e32 v5, 0x7800000, v5
	s_delay_alu instid0(VALU_DEP_1) | instskip(NEXT) | instid1(VALU_DEP_1)
	v_cndmask_b32_e32 v3, v5, v7, vcc_lo
	v_and_or_b32 v1, 0x80000000, v1, v3
	s_delay_alu instid0(VALU_DEP_1) | instskip(NEXT) | instid1(VALU_DEP_1)
	v_trunc_f32_e32 v1, v1
	v_mul_f32_e64 v3, 0x2f800000, |v1|
	v_ashrrev_i32_e32 v16, 31, v1
	s_delay_alu instid0(VALU_DEP_2) | instskip(NEXT) | instid1(VALU_DEP_2)
	v_floor_f32_e32 v3, v3
	v_mov_b32_e32 v17, v16
	s_delay_alu instid0(VALU_DEP_2) | instskip(SKIP_1) | instid1(VALU_DEP_2)
	v_fma_f32 v5, 0xcf800000, v3, |v1|
	v_cvt_u32_f32_e32 v1, v3
	v_cvt_u32_f32_e32 v3, v5
	s_delay_alu instid0(VALU_DEP_2) | instskip(NEXT) | instid1(VALU_DEP_2)
	v_xor_b32_e32 v19, v1, v16
	v_xor_b32_e32 v18, v3, v16
	s_delay_alu instid0(VALU_DEP_1)
	v_sub_nc_u64_e32 v[16:17], v[18:19], v[16:17]
.LBB47_1102:
	s_mov_b32 s16, -1
	s_mov_b32 s14, 0
	s_cbranch_execnz .LBB47_1113
.LBB47_1103:
	s_cmp_gt_i32 s0, 14
	s_cbranch_scc0 .LBB47_1106
; %bb.1104:
	s_cmp_eq_u32 s0, 15
	s_cbranch_scc0 .LBB47_1109
; %bb.1105:
	global_load_u16 v1, v[14:15], off
	s_mov_b32 s1, 0
	s_mov_b32 s16, -1
	s_wait_loadcnt 0x0
	v_lshlrev_b32_e32 v1, 16, v1
	s_delay_alu instid0(VALU_DEP_1) | instskip(NEXT) | instid1(VALU_DEP_1)
	v_trunc_f32_e32 v1, v1
	v_mul_f32_e64 v3, 0x2f800000, |v1|
	v_ashrrev_i32_e32 v16, 31, v1
	s_delay_alu instid0(VALU_DEP_2) | instskip(NEXT) | instid1(VALU_DEP_2)
	v_floor_f32_e32 v3, v3
	v_mov_b32_e32 v17, v16
	s_delay_alu instid0(VALU_DEP_2) | instskip(SKIP_1) | instid1(VALU_DEP_2)
	v_fma_f32 v5, 0xcf800000, v3, |v1|
	v_cvt_u32_f32_e32 v1, v3
	v_cvt_u32_f32_e32 v3, v5
	s_delay_alu instid0(VALU_DEP_2) | instskip(NEXT) | instid1(VALU_DEP_2)
	v_xor_b32_e32 v19, v1, v16
	v_xor_b32_e32 v18, v3, v16
	s_delay_alu instid0(VALU_DEP_1)
	v_sub_nc_u64_e32 v[16:17], v[18:19], v[16:17]
	s_branch .LBB47_1111
.LBB47_1106:
	s_mov_b32 s14, -1
	s_branch .LBB47_1110
.LBB47_1107:
	s_and_not1_saveexec_b32 s14, s14
	s_cbranch_execz .LBB47_1089
.LBB47_1108:
	v_cmp_ne_u16_e32 vcc_lo, 0, v1
	s_and_not1_b32 s16, s16, exec_lo
	s_and_b32 s17, vcc_lo, exec_lo
	s_delay_alu instid0(SALU_CYCLE_1)
	s_or_b32 s16, s16, s17
	s_or_b32 exec_lo, exec_lo, s14
	v_mov_b64_e32 v[16:17], 0
	s_and_saveexec_b32 s14, s16
	s_cbranch_execnz .LBB47_1090
	s_branch .LBB47_1091
.LBB47_1109:
	s_mov_b32 s1, -1
.LBB47_1110:
                                        ; implicit-def: $vgpr16_vgpr17
.LBB47_1111:
	s_and_b32 vcc_lo, exec_lo, s14
	s_mov_b32 s14, 0
	s_cbranch_vccz .LBB47_1113
; %bb.1112:
	s_cmp_lg_u32 s0, 11
	s_mov_b32 s14, -1
	s_cselect_b32 s1, -1, 0
.LBB47_1113:
	s_delay_alu instid0(SALU_CYCLE_1)
	s_and_b32 vcc_lo, exec_lo, s1
	s_mov_b32 s1, s12
	s_cbranch_vccnz .LBB47_1163
; %bb.1114:
	s_and_not1_b32 vcc_lo, exec_lo, s14
	s_cbranch_vccnz .LBB47_1116
.LBB47_1115:
	global_load_u8 v1, v[14:15], off
	s_mov_b32 s0, 0
	s_mov_b32 s16, -1
	s_wait_loadcnt 0x1
	v_mov_b32_e32 v17, s0
	s_wait_loadcnt 0x0
	v_cmp_ne_u16_e32 vcc_lo, 0, v1
	v_cndmask_b32_e64 v16, 0, 1, vcc_lo
.LBB47_1116:
	s_branch .LBB47_1027
.LBB47_1117:
	s_and_b32 s0, 0xffff, s15
	s_delay_alu instid0(SALU_CYCLE_1)
	s_cmp_lt_i32 s0, 5
	s_cbranch_scc1 .LBB47_1122
; %bb.1118:
	s_cmp_lt_i32 s0, 8
	s_cbranch_scc1 .LBB47_1123
; %bb.1119:
	;; [unrolled: 3-line block ×3, first 2 shown]
	s_cmp_gt_i32 s0, 9
	s_cbranch_scc0 .LBB47_1125
; %bb.1121:
	s_wait_loadcnt 0x0
	global_load_b64 v[16:17], v[14:15], off
	s_mov_b32 s14, 0
	s_wait_loadcnt 0x0
	v_trunc_f64_e32 v[16:17], v[16:17]
	s_delay_alu instid0(VALU_DEP_1) | instskip(NEXT) | instid1(VALU_DEP_1)
	v_ldexp_f64 v[18:19], v[16:17], 0xffffffe0
	v_floor_f64_e32 v[18:19], v[18:19]
	s_delay_alu instid0(VALU_DEP_1) | instskip(SKIP_1) | instid1(VALU_DEP_2)
	v_fmamk_f64 v[20:21], v[18:19], 0xc1f00000, v[16:17]
	v_cvt_i32_f64_e32 v17, v[18:19]
	v_cvt_u32_f64_e32 v16, v[20:21]
	s_branch .LBB47_1126
.LBB47_1122:
                                        ; implicit-def: $vgpr16_vgpr17
	s_branch .LBB47_1143
.LBB47_1123:
                                        ; implicit-def: $vgpr16_vgpr17
	s_branch .LBB47_1132
.LBB47_1124:
	s_mov_b32 s14, -1
                                        ; implicit-def: $vgpr16_vgpr17
	s_branch .LBB47_1129
.LBB47_1125:
	s_mov_b32 s14, -1
                                        ; implicit-def: $vgpr16_vgpr17
.LBB47_1126:
	s_delay_alu instid0(SALU_CYCLE_1)
	s_and_not1_b32 vcc_lo, exec_lo, s14
	s_cbranch_vccnz .LBB47_1128
; %bb.1127:
	global_load_b32 v1, v[14:15], off
	s_wait_loadcnt 0x0
	v_trunc_f32_e32 v1, v1
	s_delay_alu instid0(VALU_DEP_1) | instskip(SKIP_1) | instid1(VALU_DEP_2)
	v_mul_f32_e64 v3, 0x2f800000, |v1|
	v_ashrrev_i32_e32 v16, 31, v1
	v_floor_f32_e32 v3, v3
	s_delay_alu instid0(VALU_DEP_1) | instskip(SKIP_1) | instid1(VALU_DEP_4)
	v_fma_f32 v5, 0xcf800000, v3, |v1|
	v_cvt_u32_f32_e32 v1, v3
	v_mov_b32_e32 v17, v16
	s_delay_alu instid0(VALU_DEP_3) | instskip(NEXT) | instid1(VALU_DEP_3)
	v_cvt_u32_f32_e32 v3, v5
	v_xor_b32_e32 v19, v1, v16
	s_delay_alu instid0(VALU_DEP_2) | instskip(NEXT) | instid1(VALU_DEP_1)
	v_xor_b32_e32 v18, v3, v16
	v_sub_nc_u64_e32 v[16:17], v[18:19], v[16:17]
.LBB47_1128:
	s_mov_b32 s14, 0
.LBB47_1129:
	s_delay_alu instid0(SALU_CYCLE_1)
	s_and_not1_b32 vcc_lo, exec_lo, s14
	s_cbranch_vccnz .LBB47_1131
; %bb.1130:
	global_load_b32 v1, v[14:15], off
	s_wait_loadcnt 0x0
	v_cvt_f32_f16_e32 v1, v1
	s_delay_alu instid0(VALU_DEP_1) | instskip(NEXT) | instid1(VALU_DEP_1)
	v_cvt_i32_f32_e32 v16, v1
	v_ashrrev_i32_e32 v17, 31, v16
.LBB47_1131:
	s_cbranch_execnz .LBB47_1142
.LBB47_1132:
	s_cmp_lt_i32 s0, 6
	s_cbranch_scc1 .LBB47_1135
; %bb.1133:
	s_cmp_gt_i32 s0, 6
	s_cbranch_scc0 .LBB47_1136
; %bb.1134:
	s_wait_loadcnt 0x0
	global_load_b64 v[16:17], v[14:15], off
	s_mov_b32 s14, 0
	s_wait_loadcnt 0x0
	v_trunc_f64_e32 v[16:17], v[16:17]
	s_delay_alu instid0(VALU_DEP_1) | instskip(NEXT) | instid1(VALU_DEP_1)
	v_ldexp_f64 v[18:19], v[16:17], 0xffffffe0
	v_floor_f64_e32 v[18:19], v[18:19]
	s_delay_alu instid0(VALU_DEP_1) | instskip(SKIP_1) | instid1(VALU_DEP_2)
	v_fmamk_f64 v[20:21], v[18:19], 0xc1f00000, v[16:17]
	v_cvt_i32_f64_e32 v17, v[18:19]
	v_cvt_u32_f64_e32 v16, v[20:21]
	s_branch .LBB47_1137
.LBB47_1135:
	s_mov_b32 s14, -1
                                        ; implicit-def: $vgpr16_vgpr17
	s_branch .LBB47_1140
.LBB47_1136:
	s_mov_b32 s14, -1
                                        ; implicit-def: $vgpr16_vgpr17
.LBB47_1137:
	s_delay_alu instid0(SALU_CYCLE_1)
	s_and_not1_b32 vcc_lo, exec_lo, s14
	s_cbranch_vccnz .LBB47_1139
; %bb.1138:
	global_load_b32 v1, v[14:15], off
	s_wait_loadcnt 0x0
	v_trunc_f32_e32 v1, v1
	s_delay_alu instid0(VALU_DEP_1) | instskip(SKIP_1) | instid1(VALU_DEP_2)
	v_mul_f32_e64 v3, 0x2f800000, |v1|
	v_ashrrev_i32_e32 v16, 31, v1
	v_floor_f32_e32 v3, v3
	s_delay_alu instid0(VALU_DEP_1) | instskip(SKIP_1) | instid1(VALU_DEP_4)
	v_fma_f32 v5, 0xcf800000, v3, |v1|
	v_cvt_u32_f32_e32 v1, v3
	v_mov_b32_e32 v17, v16
	s_delay_alu instid0(VALU_DEP_3) | instskip(NEXT) | instid1(VALU_DEP_3)
	v_cvt_u32_f32_e32 v3, v5
	v_xor_b32_e32 v19, v1, v16
	s_delay_alu instid0(VALU_DEP_2) | instskip(NEXT) | instid1(VALU_DEP_1)
	v_xor_b32_e32 v18, v3, v16
	v_sub_nc_u64_e32 v[16:17], v[18:19], v[16:17]
.LBB47_1139:
	s_mov_b32 s14, 0
.LBB47_1140:
	s_delay_alu instid0(SALU_CYCLE_1)
	s_and_not1_b32 vcc_lo, exec_lo, s14
	s_cbranch_vccnz .LBB47_1142
; %bb.1141:
	global_load_u16 v1, v[14:15], off
	s_wait_loadcnt 0x0
	v_cvt_f32_f16_e32 v1, v1
	s_delay_alu instid0(VALU_DEP_1) | instskip(NEXT) | instid1(VALU_DEP_1)
	v_cvt_i32_f32_e32 v16, v1
	v_ashrrev_i32_e32 v17, 31, v16
.LBB47_1142:
	s_cbranch_execnz .LBB47_1161
.LBB47_1143:
	s_cmp_lt_i32 s0, 2
	s_cbranch_scc1 .LBB47_1147
; %bb.1144:
	s_cmp_lt_i32 s0, 3
	s_cbranch_scc1 .LBB47_1148
; %bb.1145:
	s_cmp_gt_i32 s0, 3
	s_cbranch_scc0 .LBB47_1149
; %bb.1146:
	s_wait_loadcnt 0x0
	global_load_b64 v[16:17], v[14:15], off
	s_mov_b32 s14, 0
	s_branch .LBB47_1150
.LBB47_1147:
                                        ; implicit-def: $vgpr16_vgpr17
	s_branch .LBB47_1156
.LBB47_1148:
	s_mov_b32 s14, -1
                                        ; implicit-def: $vgpr16_vgpr17
	s_branch .LBB47_1153
.LBB47_1149:
	s_mov_b32 s14, -1
                                        ; implicit-def: $vgpr16_vgpr17
.LBB47_1150:
	s_delay_alu instid0(SALU_CYCLE_1)
	s_and_not1_b32 vcc_lo, exec_lo, s14
	s_cbranch_vccnz .LBB47_1152
; %bb.1151:
	s_wait_loadcnt 0x0
	global_load_b32 v16, v[14:15], off
	s_wait_loadcnt 0x0
	v_ashrrev_i32_e32 v17, 31, v16
.LBB47_1152:
	s_mov_b32 s14, 0
.LBB47_1153:
	s_delay_alu instid0(SALU_CYCLE_1)
	s_and_not1_b32 vcc_lo, exec_lo, s14
	s_cbranch_vccnz .LBB47_1155
; %bb.1154:
	global_load_u16 v1, v[14:15], off
	s_wait_loadcnt 0x0
	v_bfe_i32 v16, v1, 0, 16
	s_delay_alu instid0(VALU_DEP_1)
	v_ashrrev_i32_e32 v17, 31, v16
.LBB47_1155:
	s_cbranch_execnz .LBB47_1161
.LBB47_1156:
	s_cmp_gt_i32 s0, 0
	s_mov_b32 s0, 0
	s_cbranch_scc0 .LBB47_1158
; %bb.1157:
	global_load_i8 v1, v[14:15], off
	s_wait_loadcnt 0x0
	v_bfe_i32 v16, v1, 0, 16
	s_delay_alu instid0(VALU_DEP_1)
	v_ashrrev_i32_e32 v17, 31, v16
	s_branch .LBB47_1159
.LBB47_1158:
	s_mov_b32 s0, -1
                                        ; implicit-def: $vgpr16_vgpr17
.LBB47_1159:
	s_delay_alu instid0(SALU_CYCLE_1)
	s_and_not1_b32 vcc_lo, exec_lo, s0
	s_cbranch_vccnz .LBB47_1161
; %bb.1160:
	global_load_u8 v1, v[14:15], off
	s_mov_b32 s0, 0
	s_wait_loadcnt 0x1
	v_mov_b32_e32 v17, s0
	s_wait_loadcnt 0x0
	v_and_b32_e32 v16, 0xffff, v1
.LBB47_1161:
	s_branch .LBB47_1028
.LBB47_1162:
	s_mov_b32 s16, 0
	s_mov_b32 s18, 0
                                        ; implicit-def: $vgpr14_vgpr15
                                        ; implicit-def: $sgpr0
	s_branch .LBB47_1852
.LBB47_1163:
	s_or_b32 s1, s12, exec_lo
	s_trap 2
	s_cbranch_execz .LBB47_1115
	s_branch .LBB47_1116
.LBB47_1164:
	s_mov_b32 s15, -1
	s_mov_b32 s17, 0
	s_mov_b32 s0, 0
	s_branch .LBB47_1167
.LBB47_1165:
	s_mov_b32 s17, -1
	s_mov_b32 s20, 0
	s_mov_b32 s0, 0
                                        ; implicit-def: $vgpr12_vgpr13
	s_branch .LBB47_1294
.LBB47_1166:
	s_mov_b32 s0, -1
	s_mov_b32 s17, 0
.LBB47_1167:
                                        ; implicit-def: $vgpr14_vgpr15
.LBB47_1168:
	s_and_b32 vcc_lo, exec_lo, s15
	s_cbranch_vccz .LBB47_1173
; %bb.1169:
	s_cmp_eq_u32 s19, 44
	s_cbranch_scc0 .LBB47_1172
; %bb.1170:
	global_load_u8 v1, v[12:13], off
	s_mov_b32 s0, 0
	s_mov_b32 s17, -1
	s_wait_loadcnt 0x0
	v_lshlrev_b32_e32 v3, 23, v1
	v_cmp_ne_u32_e32 vcc_lo, 0, v1
	s_delay_alu instid0(VALU_DEP_2) | instskip(NEXT) | instid1(VALU_DEP_1)
	v_trunc_f32_e32 v3, v3
	v_mul_f32_e64 v5, 0x2f800000, |v3|
	v_ashrrev_i32_e32 v14, 31, v3
	s_delay_alu instid0(VALU_DEP_2) | instskip(NEXT) | instid1(VALU_DEP_2)
	v_floor_f32_e32 v5, v5
	v_mov_b32_e32 v15, v14
	s_delay_alu instid0(VALU_DEP_2) | instskip(SKIP_1) | instid1(VALU_DEP_2)
	v_fma_f32 v7, 0xcf800000, v5, |v3|
	v_cvt_u32_f32_e32 v3, v5
	v_cvt_u32_f32_e32 v5, v7
	s_delay_alu instid0(VALU_DEP_2) | instskip(NEXT) | instid1(VALU_DEP_2)
	v_xor_b32_e32 v17, v3, v14
	v_xor_b32_e32 v16, v5, v14
	s_delay_alu instid0(VALU_DEP_1) | instskip(NEXT) | instid1(VALU_DEP_1)
	v_sub_nc_u64_e32 v[14:15], v[16:17], v[14:15]
	v_dual_cndmask_b32 v15, 0, v15 :: v_dual_cndmask_b32 v14, 0, v14
	s_branch .LBB47_1173
.LBB47_1171:
	s_mov_b32 s17, -1
	s_mov_b32 s20, 0
	s_mov_b32 s0, 0
                                        ; implicit-def: $vgpr12_vgpr13
	s_branch .LBB47_1289
.LBB47_1172:
	s_mov_b32 s0, -1
                                        ; implicit-def: $vgpr14_vgpr15
.LBB47_1173:
	s_mov_b32 s15, 0
.LBB47_1174:
	s_delay_alu instid0(SALU_CYCLE_1)
	s_and_b32 vcc_lo, exec_lo, s15
	s_cbranch_vccz .LBB47_1178
; %bb.1175:
	s_cmp_eq_u32 s19, 29
	s_cbranch_scc0 .LBB47_1177
; %bb.1176:
	global_load_b64 v[14:15], v[12:13], off
	s_mov_b32 s0, 0
	s_mov_b32 s17, -1
	s_branch .LBB47_1178
.LBB47_1177:
	s_mov_b32 s0, -1
                                        ; implicit-def: $vgpr14_vgpr15
.LBB47_1178:
	s_mov_b32 s15, 0
.LBB47_1179:
	s_delay_alu instid0(SALU_CYCLE_1)
	s_and_b32 vcc_lo, exec_lo, s15
	s_cbranch_vccz .LBB47_1195
; %bb.1180:
	s_cmp_lt_i32 s19, 27
	s_cbranch_scc1 .LBB47_1183
; %bb.1181:
	s_cmp_gt_i32 s19, 27
	s_cbranch_scc0 .LBB47_1184
; %bb.1182:
	s_wait_loadcnt 0x0
	global_load_b32 v14, v[12:13], off
	v_mov_b32_e32 v15, 0
	s_mov_b32 s15, 0
	s_branch .LBB47_1185
.LBB47_1183:
	s_mov_b32 s15, -1
                                        ; implicit-def: $vgpr14_vgpr15
	s_branch .LBB47_1188
.LBB47_1184:
	s_mov_b32 s15, -1
                                        ; implicit-def: $vgpr14_vgpr15
.LBB47_1185:
	s_delay_alu instid0(SALU_CYCLE_1)
	s_and_not1_b32 vcc_lo, exec_lo, s15
	s_cbranch_vccnz .LBB47_1187
; %bb.1186:
	global_load_u16 v1, v[12:13], off
	s_mov_b32 s15, 0
	s_wait_loadcnt 0x1
	v_mov_b32_e32 v15, s15
	s_wait_loadcnt 0x0
	v_and_b32_e32 v14, 0xffff, v1
.LBB47_1187:
	s_mov_b32 s15, 0
.LBB47_1188:
	s_delay_alu instid0(SALU_CYCLE_1)
	s_and_not1_b32 vcc_lo, exec_lo, s15
	s_cbranch_vccnz .LBB47_1194
; %bb.1189:
	global_load_u8 v1, v[12:13], off
	s_mov_b32 s17, 0
	s_mov_b32 s15, exec_lo
	s_wait_loadcnt 0x0
	v_cmpx_lt_i16_e32 0x7f, v1
	s_xor_b32 s15, exec_lo, s15
	s_cbranch_execz .LBB47_1206
; %bb.1190:
	v_cmp_ne_u16_e32 vcc_lo, 0x80, v1
	s_and_b32 s17, vcc_lo, exec_lo
	s_and_not1_saveexec_b32 s15, s15
	s_cbranch_execnz .LBB47_1207
.LBB47_1191:
	s_or_b32 exec_lo, exec_lo, s15
	v_mov_b64_e32 v[14:15], 0
	s_and_saveexec_b32 s15, s17
	s_cbranch_execz .LBB47_1193
.LBB47_1192:
	v_and_b32_e32 v3, 0xffff, v1
	s_delay_alu instid0(VALU_DEP_1) | instskip(SKIP_1) | instid1(VALU_DEP_2)
	v_dual_lshlrev_b32 v1, 24, v1 :: v_dual_bitop2_b32 v5, 7, v3 bitop3:0x40
	v_bfe_u32 v11, v3, 3, 4
	v_and_b32_e32 v1, 0x80000000, v1
	s_delay_alu instid0(VALU_DEP_3) | instskip(NEXT) | instid1(VALU_DEP_3)
	v_clz_i32_u32_e32 v7, v5
	v_cmp_eq_u32_e32 vcc_lo, 0, v11
	s_delay_alu instid0(VALU_DEP_2) | instskip(NEXT) | instid1(VALU_DEP_1)
	v_min_u32_e32 v7, 32, v7
	v_subrev_nc_u32_e32 v9, 28, v7
	v_sub_nc_u32_e32 v7, 29, v7
	s_delay_alu instid0(VALU_DEP_2) | instskip(NEXT) | instid1(VALU_DEP_2)
	v_lshlrev_b32_e32 v3, v9, v3
	v_cndmask_b32_e32 v7, v11, v7, vcc_lo
	s_delay_alu instid0(VALU_DEP_2) | instskip(NEXT) | instid1(VALU_DEP_1)
	v_and_b32_e32 v3, 7, v3
	v_cndmask_b32_e32 v3, v5, v3, vcc_lo
	s_delay_alu instid0(VALU_DEP_3) | instskip(NEXT) | instid1(VALU_DEP_2)
	v_lshl_add_u32 v5, v7, 23, 0x3b800000
	v_lshlrev_b32_e32 v3, 20, v3
	s_delay_alu instid0(VALU_DEP_1) | instskip(NEXT) | instid1(VALU_DEP_1)
	v_or3_b32 v1, v1, v5, v3
	v_trunc_f32_e32 v1, v1
	s_delay_alu instid0(VALU_DEP_1) | instskip(SKIP_1) | instid1(VALU_DEP_2)
	v_mul_f32_e64 v3, 0x2f800000, |v1|
	v_ashrrev_i32_e32 v14, 31, v1
	v_floor_f32_e32 v3, v3
	s_delay_alu instid0(VALU_DEP_2) | instskip(NEXT) | instid1(VALU_DEP_2)
	v_mov_b32_e32 v15, v14
	v_fma_f32 v5, 0xcf800000, v3, |v1|
	v_cvt_u32_f32_e32 v1, v3
	s_delay_alu instid0(VALU_DEP_2) | instskip(NEXT) | instid1(VALU_DEP_2)
	v_cvt_u32_f32_e32 v3, v5
	v_xor_b32_e32 v17, v1, v14
	s_delay_alu instid0(VALU_DEP_2) | instskip(NEXT) | instid1(VALU_DEP_1)
	v_xor_b32_e32 v16, v3, v14
	v_sub_nc_u64_e32 v[14:15], v[16:17], v[14:15]
.LBB47_1193:
	s_or_b32 exec_lo, exec_lo, s15
.LBB47_1194:
	s_mov_b32 s17, -1
.LBB47_1195:
	s_mov_b32 s15, 0
.LBB47_1196:
	s_delay_alu instid0(SALU_CYCLE_1)
	s_and_b32 vcc_lo, exec_lo, s15
	s_cbranch_vccz .LBB47_1227
; %bb.1197:
	s_cmp_gt_i32 s19, 22
	s_cbranch_scc0 .LBB47_1205
; %bb.1198:
	s_cmp_lt_i32 s19, 24
	s_cbranch_scc1 .LBB47_1208
; %bb.1199:
	s_cmp_gt_i32 s19, 24
	s_cbranch_scc0 .LBB47_1209
; %bb.1200:
	global_load_u8 v1, v[12:13], off
	s_mov_b32 s15, exec_lo
	s_wait_loadcnt 0x0
	v_cmpx_lt_i16_e32 0x7f, v1
	s_xor_b32 s15, exec_lo, s15
	s_cbranch_execz .LBB47_1221
; %bb.1201:
	v_cmp_ne_u16_e32 vcc_lo, 0x80, v1
	s_and_b32 s16, vcc_lo, exec_lo
	s_and_not1_saveexec_b32 s15, s15
	s_cbranch_execnz .LBB47_1222
.LBB47_1202:
	s_or_b32 exec_lo, exec_lo, s15
	v_mov_b64_e32 v[14:15], 0
	s_and_saveexec_b32 s15, s16
	s_cbranch_execz .LBB47_1204
.LBB47_1203:
	v_and_b32_e32 v3, 0xffff, v1
	s_delay_alu instid0(VALU_DEP_1) | instskip(SKIP_1) | instid1(VALU_DEP_2)
	v_dual_lshlrev_b32 v1, 24, v1 :: v_dual_bitop2_b32 v5, 3, v3 bitop3:0x40
	v_bfe_u32 v11, v3, 2, 5
	v_and_b32_e32 v1, 0x80000000, v1
	s_delay_alu instid0(VALU_DEP_3) | instskip(NEXT) | instid1(VALU_DEP_3)
	v_clz_i32_u32_e32 v7, v5
	v_cmp_eq_u32_e32 vcc_lo, 0, v11
	s_delay_alu instid0(VALU_DEP_2) | instskip(NEXT) | instid1(VALU_DEP_1)
	v_min_u32_e32 v7, 32, v7
	v_subrev_nc_u32_e32 v9, 29, v7
	v_sub_nc_u32_e32 v7, 30, v7
	s_delay_alu instid0(VALU_DEP_2) | instskip(NEXT) | instid1(VALU_DEP_2)
	v_lshlrev_b32_e32 v3, v9, v3
	v_cndmask_b32_e32 v7, v11, v7, vcc_lo
	s_delay_alu instid0(VALU_DEP_2) | instskip(NEXT) | instid1(VALU_DEP_1)
	v_and_b32_e32 v3, 3, v3
	v_cndmask_b32_e32 v3, v5, v3, vcc_lo
	s_delay_alu instid0(VALU_DEP_3) | instskip(NEXT) | instid1(VALU_DEP_2)
	v_lshl_add_u32 v5, v7, 23, 0x37800000
	v_lshlrev_b32_e32 v3, 21, v3
	s_delay_alu instid0(VALU_DEP_1) | instskip(NEXT) | instid1(VALU_DEP_1)
	v_or3_b32 v1, v1, v5, v3
	v_trunc_f32_e32 v1, v1
	s_delay_alu instid0(VALU_DEP_1) | instskip(SKIP_1) | instid1(VALU_DEP_2)
	v_mul_f32_e64 v3, 0x2f800000, |v1|
	v_ashrrev_i32_e32 v14, 31, v1
	v_floor_f32_e32 v3, v3
	s_delay_alu instid0(VALU_DEP_2) | instskip(NEXT) | instid1(VALU_DEP_2)
	v_mov_b32_e32 v15, v14
	v_fma_f32 v5, 0xcf800000, v3, |v1|
	v_cvt_u32_f32_e32 v1, v3
	s_delay_alu instid0(VALU_DEP_2) | instskip(NEXT) | instid1(VALU_DEP_2)
	v_cvt_u32_f32_e32 v3, v5
	v_xor_b32_e32 v17, v1, v14
	s_delay_alu instid0(VALU_DEP_2) | instskip(NEXT) | instid1(VALU_DEP_1)
	v_xor_b32_e32 v16, v3, v14
	v_sub_nc_u64_e32 v[14:15], v[16:17], v[14:15]
.LBB47_1204:
	s_or_b32 exec_lo, exec_lo, s15
	s_mov_b32 s15, 0
	s_branch .LBB47_1210
.LBB47_1205:
	s_mov_b32 s15, -1
                                        ; implicit-def: $vgpr14_vgpr15
	s_branch .LBB47_1216
.LBB47_1206:
	s_and_not1_saveexec_b32 s15, s15
	s_cbranch_execz .LBB47_1191
.LBB47_1207:
	v_cmp_ne_u16_e32 vcc_lo, 0, v1
	s_and_not1_b32 s17, s17, exec_lo
	s_and_b32 s18, vcc_lo, exec_lo
	s_delay_alu instid0(SALU_CYCLE_1)
	s_or_b32 s17, s17, s18
	s_or_b32 exec_lo, exec_lo, s15
	v_mov_b64_e32 v[14:15], 0
	s_and_saveexec_b32 s15, s17
	s_cbranch_execnz .LBB47_1192
	s_branch .LBB47_1193
.LBB47_1208:
	s_mov_b32 s15, -1
                                        ; implicit-def: $vgpr14_vgpr15
	s_branch .LBB47_1213
.LBB47_1209:
	s_mov_b32 s15, -1
                                        ; implicit-def: $vgpr14_vgpr15
.LBB47_1210:
	s_delay_alu instid0(SALU_CYCLE_1)
	s_and_b32 vcc_lo, exec_lo, s15
	s_cbranch_vccz .LBB47_1212
; %bb.1211:
	global_load_u8 v1, v[12:13], off
	s_wait_loadcnt 0x0
	v_lshlrev_b32_e32 v1, 24, v1
	s_delay_alu instid0(VALU_DEP_1) | instskip(NEXT) | instid1(VALU_DEP_1)
	v_and_b32_e32 v3, 0x7f000000, v1
	v_clz_i32_u32_e32 v5, v3
	v_add_nc_u32_e32 v9, 0x1000000, v3
	v_cmp_ne_u32_e32 vcc_lo, 0, v3
	s_delay_alu instid0(VALU_DEP_3) | instskip(NEXT) | instid1(VALU_DEP_1)
	v_min_u32_e32 v5, 32, v5
	v_sub_nc_u32_e64 v5, v5, 4 clamp
	s_delay_alu instid0(VALU_DEP_1) | instskip(NEXT) | instid1(VALU_DEP_1)
	v_dual_lshlrev_b32 v7, v5, v3 :: v_dual_lshlrev_b32 v5, 23, v5
	v_lshrrev_b32_e32 v7, 4, v7
	s_delay_alu instid0(VALU_DEP_1) | instskip(SKIP_1) | instid1(VALU_DEP_2)
	v_sub_nc_u32_e32 v5, v7, v5
	v_ashrrev_i32_e32 v7, 8, v9
	v_add_nc_u32_e32 v5, 0x3c000000, v5
	s_delay_alu instid0(VALU_DEP_1) | instskip(NEXT) | instid1(VALU_DEP_1)
	v_and_or_b32 v5, 0x7f800000, v7, v5
	v_cndmask_b32_e32 v3, 0, v5, vcc_lo
	s_delay_alu instid0(VALU_DEP_1) | instskip(NEXT) | instid1(VALU_DEP_1)
	v_and_or_b32 v1, 0x80000000, v1, v3
	v_trunc_f32_e32 v1, v1
	s_delay_alu instid0(VALU_DEP_1) | instskip(SKIP_1) | instid1(VALU_DEP_2)
	v_mul_f32_e64 v3, 0x2f800000, |v1|
	v_ashrrev_i32_e32 v14, 31, v1
	v_floor_f32_e32 v3, v3
	s_delay_alu instid0(VALU_DEP_2) | instskip(NEXT) | instid1(VALU_DEP_2)
	v_mov_b32_e32 v15, v14
	v_fma_f32 v5, 0xcf800000, v3, |v1|
	v_cvt_u32_f32_e32 v1, v3
	s_delay_alu instid0(VALU_DEP_2) | instskip(NEXT) | instid1(VALU_DEP_2)
	v_cvt_u32_f32_e32 v3, v5
	v_xor_b32_e32 v17, v1, v14
	s_delay_alu instid0(VALU_DEP_2) | instskip(NEXT) | instid1(VALU_DEP_1)
	v_xor_b32_e32 v16, v3, v14
	v_sub_nc_u64_e32 v[14:15], v[16:17], v[14:15]
.LBB47_1212:
	s_mov_b32 s15, 0
.LBB47_1213:
	s_delay_alu instid0(SALU_CYCLE_1)
	s_and_not1_b32 vcc_lo, exec_lo, s15
	s_cbranch_vccnz .LBB47_1215
; %bb.1214:
	global_load_u8 v1, v[12:13], off
	s_wait_loadcnt 0x0
	v_lshlrev_b32_e32 v3, 25, v1
	v_lshlrev_b16 v1, 8, v1
	s_delay_alu instid0(VALU_DEP_1) | instskip(SKIP_1) | instid1(VALU_DEP_2)
	v_and_or_b32 v7, 0x7f00, v1, 0.5
	v_bfe_i32 v1, v1, 0, 16
	v_add_f32_e32 v7, -0.5, v7
	v_lshrrev_b32_e32 v5, 4, v3
	v_cmp_gt_u32_e32 vcc_lo, 0x8000000, v3
	s_delay_alu instid0(VALU_DEP_2) | instskip(NEXT) | instid1(VALU_DEP_1)
	v_or_b32_e32 v5, 0x70000000, v5
	v_mul_f32_e32 v5, 0x7800000, v5
	s_delay_alu instid0(VALU_DEP_1) | instskip(NEXT) | instid1(VALU_DEP_1)
	v_cndmask_b32_e32 v3, v5, v7, vcc_lo
	v_and_or_b32 v1, 0x80000000, v1, v3
	s_delay_alu instid0(VALU_DEP_1) | instskip(NEXT) | instid1(VALU_DEP_1)
	v_trunc_f32_e32 v1, v1
	v_mul_f32_e64 v3, 0x2f800000, |v1|
	v_ashrrev_i32_e32 v14, 31, v1
	s_delay_alu instid0(VALU_DEP_2) | instskip(NEXT) | instid1(VALU_DEP_2)
	v_floor_f32_e32 v3, v3
	v_mov_b32_e32 v15, v14
	s_delay_alu instid0(VALU_DEP_2) | instskip(SKIP_1) | instid1(VALU_DEP_2)
	v_fma_f32 v5, 0xcf800000, v3, |v1|
	v_cvt_u32_f32_e32 v1, v3
	v_cvt_u32_f32_e32 v3, v5
	s_delay_alu instid0(VALU_DEP_2) | instskip(NEXT) | instid1(VALU_DEP_2)
	v_xor_b32_e32 v17, v1, v14
	v_xor_b32_e32 v16, v3, v14
	s_delay_alu instid0(VALU_DEP_1)
	v_sub_nc_u64_e32 v[14:15], v[16:17], v[14:15]
.LBB47_1215:
	s_mov_b32 s15, 0
	s_mov_b32 s17, -1
.LBB47_1216:
	s_and_not1_b32 vcc_lo, exec_lo, s15
	s_mov_b32 s16, 0
	s_cbranch_vccnz .LBB47_1227
; %bb.1217:
	s_cmp_gt_i32 s19, 14
	s_cbranch_scc0 .LBB47_1220
; %bb.1218:
	s_cmp_eq_u32 s19, 15
	s_cbranch_scc0 .LBB47_1223
; %bb.1219:
	global_load_u16 v1, v[12:13], off
	s_mov_b32 s0, 0
	s_mov_b32 s17, -1
	s_wait_loadcnt 0x0
	v_lshlrev_b32_e32 v1, 16, v1
	s_delay_alu instid0(VALU_DEP_1) | instskip(NEXT) | instid1(VALU_DEP_1)
	v_trunc_f32_e32 v1, v1
	v_mul_f32_e64 v3, 0x2f800000, |v1|
	v_ashrrev_i32_e32 v14, 31, v1
	s_delay_alu instid0(VALU_DEP_2) | instskip(NEXT) | instid1(VALU_DEP_2)
	v_floor_f32_e32 v3, v3
	v_mov_b32_e32 v15, v14
	s_delay_alu instid0(VALU_DEP_2) | instskip(SKIP_1) | instid1(VALU_DEP_2)
	v_fma_f32 v5, 0xcf800000, v3, |v1|
	v_cvt_u32_f32_e32 v1, v3
	v_cvt_u32_f32_e32 v3, v5
	s_delay_alu instid0(VALU_DEP_2) | instskip(NEXT) | instid1(VALU_DEP_2)
	v_xor_b32_e32 v17, v1, v14
	v_xor_b32_e32 v16, v3, v14
	s_delay_alu instid0(VALU_DEP_1)
	v_sub_nc_u64_e32 v[14:15], v[16:17], v[14:15]
	s_branch .LBB47_1224
.LBB47_1220:
	s_mov_b32 s15, -1
                                        ; implicit-def: $vgpr14_vgpr15
	s_branch .LBB47_1225
.LBB47_1221:
	s_and_not1_saveexec_b32 s15, s15
	s_cbranch_execz .LBB47_1202
.LBB47_1222:
	v_cmp_ne_u16_e32 vcc_lo, 0, v1
	s_and_not1_b32 s16, s16, exec_lo
	s_and_b32 s17, vcc_lo, exec_lo
	s_delay_alu instid0(SALU_CYCLE_1)
	s_or_b32 s16, s16, s17
	s_or_b32 exec_lo, exec_lo, s15
	v_mov_b64_e32 v[14:15], 0
	s_and_saveexec_b32 s15, s16
	s_cbranch_execnz .LBB47_1203
	s_branch .LBB47_1204
.LBB47_1223:
	s_mov_b32 s0, -1
                                        ; implicit-def: $vgpr14_vgpr15
.LBB47_1224:
	s_mov_b32 s15, 0
.LBB47_1225:
	s_delay_alu instid0(SALU_CYCLE_1)
	s_and_b32 vcc_lo, exec_lo, s15
	s_cbranch_vccz .LBB47_1227
; %bb.1226:
	s_cmp_lg_u32 s19, 11
	s_mov_b32 s16, -1
	s_cselect_b32 s0, -1, 0
.LBB47_1227:
	s_delay_alu instid0(SALU_CYCLE_1)
	s_and_b32 vcc_lo, exec_lo, s0
	s_mov_b32 s15, s1
	s_cbranch_vccnz .LBB47_1280
; %bb.1228:
	s_and_not1_b32 vcc_lo, exec_lo, s16
	s_cbranch_vccnz .LBB47_1230
.LBB47_1229:
	global_load_u8 v1, v[12:13], off
	s_mov_b32 s0, 0
	s_mov_b32 s17, -1
	s_wait_loadcnt 0x1
	v_mov_b32_e32 v15, s0
	s_wait_loadcnt 0x0
	v_cmp_ne_u16_e32 vcc_lo, 0, v1
	v_cndmask_b32_e64 v14, 0, 1, vcc_lo
.LBB47_1230:
	s_branch .LBB47_1040
.LBB47_1231:
	s_cmp_lt_i32 s19, 5
	s_cbranch_scc1 .LBB47_1236
; %bb.1232:
	s_cmp_lt_i32 s19, 8
	s_cbranch_scc1 .LBB47_1237
; %bb.1233:
	;; [unrolled: 3-line block ×3, first 2 shown]
	s_cmp_gt_i32 s19, 9
	s_cbranch_scc0 .LBB47_1239
; %bb.1235:
	s_wait_loadcnt 0x0
	global_load_b64 v[14:15], v[12:13], off
	s_mov_b32 s0, 0
	s_wait_loadcnt 0x0
	v_trunc_f64_e32 v[14:15], v[14:15]
	s_delay_alu instid0(VALU_DEP_1) | instskip(NEXT) | instid1(VALU_DEP_1)
	v_ldexp_f64 v[16:17], v[14:15], 0xffffffe0
	v_floor_f64_e32 v[16:17], v[16:17]
	s_delay_alu instid0(VALU_DEP_1) | instskip(SKIP_1) | instid1(VALU_DEP_2)
	v_fmamk_f64 v[18:19], v[16:17], 0xc1f00000, v[14:15]
	v_cvt_i32_f64_e32 v15, v[16:17]
	v_cvt_u32_f64_e32 v14, v[18:19]
	s_branch .LBB47_1240
.LBB47_1236:
	s_mov_b32 s0, -1
                                        ; implicit-def: $vgpr14_vgpr15
	s_branch .LBB47_1258
.LBB47_1237:
	s_mov_b32 s0, -1
                                        ; implicit-def: $vgpr14_vgpr15
	s_branch .LBB47_1246
.LBB47_1238:
	s_mov_b32 s0, -1
                                        ; implicit-def: $vgpr14_vgpr15
	s_branch .LBB47_1243
.LBB47_1239:
	s_mov_b32 s0, -1
                                        ; implicit-def: $vgpr14_vgpr15
.LBB47_1240:
	s_delay_alu instid0(SALU_CYCLE_1)
	s_and_not1_b32 vcc_lo, exec_lo, s0
	s_cbranch_vccnz .LBB47_1242
; %bb.1241:
	global_load_b32 v1, v[12:13], off
	s_wait_loadcnt 0x0
	v_trunc_f32_e32 v1, v1
	s_delay_alu instid0(VALU_DEP_1) | instskip(SKIP_1) | instid1(VALU_DEP_2)
	v_mul_f32_e64 v3, 0x2f800000, |v1|
	v_ashrrev_i32_e32 v14, 31, v1
	v_floor_f32_e32 v3, v3
	s_delay_alu instid0(VALU_DEP_1) | instskip(SKIP_1) | instid1(VALU_DEP_4)
	v_fma_f32 v5, 0xcf800000, v3, |v1|
	v_cvt_u32_f32_e32 v1, v3
	v_mov_b32_e32 v15, v14
	s_delay_alu instid0(VALU_DEP_3) | instskip(NEXT) | instid1(VALU_DEP_3)
	v_cvt_u32_f32_e32 v3, v5
	v_xor_b32_e32 v17, v1, v14
	s_delay_alu instid0(VALU_DEP_2) | instskip(NEXT) | instid1(VALU_DEP_1)
	v_xor_b32_e32 v16, v3, v14
	v_sub_nc_u64_e32 v[14:15], v[16:17], v[14:15]
.LBB47_1242:
	s_mov_b32 s0, 0
.LBB47_1243:
	s_delay_alu instid0(SALU_CYCLE_1)
	s_and_not1_b32 vcc_lo, exec_lo, s0
	s_cbranch_vccnz .LBB47_1245
; %bb.1244:
	global_load_b32 v1, v[12:13], off
	s_wait_loadcnt 0x0
	v_cvt_f32_f16_e32 v1, v1
	s_delay_alu instid0(VALU_DEP_1) | instskip(NEXT) | instid1(VALU_DEP_1)
	v_cvt_i32_f32_e32 v14, v1
	v_ashrrev_i32_e32 v15, 31, v14
.LBB47_1245:
	s_mov_b32 s0, 0
.LBB47_1246:
	s_delay_alu instid0(SALU_CYCLE_1)
	s_and_not1_b32 vcc_lo, exec_lo, s0
	s_cbranch_vccnz .LBB47_1257
; %bb.1247:
	s_cmp_lt_i32 s19, 6
	s_cbranch_scc1 .LBB47_1250
; %bb.1248:
	s_cmp_gt_i32 s19, 6
	s_cbranch_scc0 .LBB47_1251
; %bb.1249:
	s_wait_loadcnt 0x0
	global_load_b64 v[14:15], v[12:13], off
	s_mov_b32 s0, 0
	s_wait_loadcnt 0x0
	v_trunc_f64_e32 v[14:15], v[14:15]
	s_delay_alu instid0(VALU_DEP_1) | instskip(NEXT) | instid1(VALU_DEP_1)
	v_ldexp_f64 v[16:17], v[14:15], 0xffffffe0
	v_floor_f64_e32 v[16:17], v[16:17]
	s_delay_alu instid0(VALU_DEP_1) | instskip(SKIP_1) | instid1(VALU_DEP_2)
	v_fmamk_f64 v[18:19], v[16:17], 0xc1f00000, v[14:15]
	v_cvt_i32_f64_e32 v15, v[16:17]
	v_cvt_u32_f64_e32 v14, v[18:19]
	s_branch .LBB47_1252
.LBB47_1250:
	s_mov_b32 s0, -1
                                        ; implicit-def: $vgpr14_vgpr15
	s_branch .LBB47_1255
.LBB47_1251:
	s_mov_b32 s0, -1
                                        ; implicit-def: $vgpr14_vgpr15
.LBB47_1252:
	s_delay_alu instid0(SALU_CYCLE_1)
	s_and_not1_b32 vcc_lo, exec_lo, s0
	s_cbranch_vccnz .LBB47_1254
; %bb.1253:
	global_load_b32 v1, v[12:13], off
	s_wait_loadcnt 0x0
	v_trunc_f32_e32 v1, v1
	s_delay_alu instid0(VALU_DEP_1) | instskip(SKIP_1) | instid1(VALU_DEP_2)
	v_mul_f32_e64 v3, 0x2f800000, |v1|
	v_ashrrev_i32_e32 v14, 31, v1
	v_floor_f32_e32 v3, v3
	s_delay_alu instid0(VALU_DEP_1) | instskip(SKIP_1) | instid1(VALU_DEP_4)
	v_fma_f32 v5, 0xcf800000, v3, |v1|
	v_cvt_u32_f32_e32 v1, v3
	v_mov_b32_e32 v15, v14
	s_delay_alu instid0(VALU_DEP_3) | instskip(NEXT) | instid1(VALU_DEP_3)
	v_cvt_u32_f32_e32 v3, v5
	v_xor_b32_e32 v17, v1, v14
	s_delay_alu instid0(VALU_DEP_2) | instskip(NEXT) | instid1(VALU_DEP_1)
	v_xor_b32_e32 v16, v3, v14
	v_sub_nc_u64_e32 v[14:15], v[16:17], v[14:15]
.LBB47_1254:
	s_mov_b32 s0, 0
.LBB47_1255:
	s_delay_alu instid0(SALU_CYCLE_1)
	s_and_not1_b32 vcc_lo, exec_lo, s0
	s_cbranch_vccnz .LBB47_1257
; %bb.1256:
	global_load_u16 v1, v[12:13], off
	s_wait_loadcnt 0x0
	v_cvt_f32_f16_e32 v1, v1
	s_delay_alu instid0(VALU_DEP_1) | instskip(NEXT) | instid1(VALU_DEP_1)
	v_cvt_i32_f32_e32 v14, v1
	v_ashrrev_i32_e32 v15, 31, v14
.LBB47_1257:
	s_mov_b32 s0, 0
.LBB47_1258:
	s_delay_alu instid0(SALU_CYCLE_1)
	s_and_not1_b32 vcc_lo, exec_lo, s0
	s_cbranch_vccnz .LBB47_1278
; %bb.1259:
	s_cmp_lt_i32 s19, 2
	s_cbranch_scc1 .LBB47_1263
; %bb.1260:
	s_cmp_lt_i32 s19, 3
	s_cbranch_scc1 .LBB47_1264
; %bb.1261:
	s_cmp_gt_i32 s19, 3
	s_cbranch_scc0 .LBB47_1265
; %bb.1262:
	s_wait_loadcnt 0x0
	global_load_b64 v[14:15], v[12:13], off
	s_mov_b32 s0, 0
	s_branch .LBB47_1266
.LBB47_1263:
	s_mov_b32 s0, -1
                                        ; implicit-def: $vgpr14_vgpr15
	s_branch .LBB47_1272
.LBB47_1264:
	s_mov_b32 s0, -1
                                        ; implicit-def: $vgpr14_vgpr15
	s_branch .LBB47_1269
.LBB47_1265:
	s_mov_b32 s0, -1
                                        ; implicit-def: $vgpr14_vgpr15
.LBB47_1266:
	s_delay_alu instid0(SALU_CYCLE_1)
	s_and_not1_b32 vcc_lo, exec_lo, s0
	s_cbranch_vccnz .LBB47_1268
; %bb.1267:
	s_wait_loadcnt 0x0
	global_load_b32 v14, v[12:13], off
	s_wait_loadcnt 0x0
	v_ashrrev_i32_e32 v15, 31, v14
.LBB47_1268:
	s_mov_b32 s0, 0
.LBB47_1269:
	s_delay_alu instid0(SALU_CYCLE_1)
	s_and_not1_b32 vcc_lo, exec_lo, s0
	s_cbranch_vccnz .LBB47_1271
; %bb.1270:
	global_load_u16 v1, v[12:13], off
	s_wait_loadcnt 0x0
	v_bfe_i32 v14, v1, 0, 16
	s_delay_alu instid0(VALU_DEP_1)
	v_ashrrev_i32_e32 v15, 31, v14
.LBB47_1271:
	s_mov_b32 s0, 0
.LBB47_1272:
	s_delay_alu instid0(SALU_CYCLE_1)
	s_and_not1_b32 vcc_lo, exec_lo, s0
	s_cbranch_vccnz .LBB47_1278
; %bb.1273:
	s_cmp_gt_i32 s19, 0
	s_mov_b32 s0, 0
	s_cbranch_scc0 .LBB47_1275
; %bb.1274:
	global_load_i8 v1, v[12:13], off
	s_wait_loadcnt 0x0
	v_bfe_i32 v14, v1, 0, 16
	s_delay_alu instid0(VALU_DEP_1)
	v_ashrrev_i32_e32 v15, 31, v14
	s_branch .LBB47_1276
.LBB47_1275:
	s_mov_b32 s0, -1
                                        ; implicit-def: $vgpr14_vgpr15
.LBB47_1276:
	s_delay_alu instid0(SALU_CYCLE_1)
	s_and_not1_b32 vcc_lo, exec_lo, s0
	s_cbranch_vccnz .LBB47_1278
; %bb.1277:
	global_load_u8 v1, v[12:13], off
	s_mov_b32 s0, 0
	s_wait_loadcnt 0x1
	v_mov_b32_e32 v15, s0
	s_wait_loadcnt 0x0
	v_and_b32_e32 v14, 0xffff, v1
.LBB47_1278:
	s_branch .LBB47_1041
.LBB47_1279:
	s_mov_b32 s17, 0
	s_mov_b32 s18, 0
                                        ; implicit-def: $vgpr14_vgpr15
                                        ; implicit-def: $sgpr0
	s_branch .LBB47_1850
.LBB47_1280:
	s_or_b32 s15, s1, exec_lo
	s_trap 2
	s_cbranch_execz .LBB47_1229
	s_branch .LBB47_1230
.LBB47_1281:
	s_mov_b32 s17, -1
	s_mov_b32 s20, 0
	s_mov_b32 s0, 0
	s_branch .LBB47_1283
.LBB47_1282:
	s_mov_b32 s0, -1
	s_mov_b32 s20, 0
.LBB47_1283:
                                        ; implicit-def: $vgpr12_vgpr13
.LBB47_1284:
	s_and_b32 vcc_lo, exec_lo, s17
	s_cbranch_vccz .LBB47_1288
; %bb.1285:
	s_cmp_eq_u32 s19, 44
	s_cbranch_scc0 .LBB47_1287
; %bb.1286:
	global_load_u8 v1, v[10:11], off
	s_mov_b32 s0, 0
	s_mov_b32 s20, -1
	s_wait_loadcnt 0x0
	v_lshlrev_b32_e32 v3, 23, v1
	v_cmp_ne_u32_e32 vcc_lo, 0, v1
	s_delay_alu instid0(VALU_DEP_2) | instskip(NEXT) | instid1(VALU_DEP_1)
	v_trunc_f32_e32 v3, v3
	v_mul_f32_e64 v5, 0x2f800000, |v3|
	v_ashrrev_i32_e32 v12, 31, v3
	s_delay_alu instid0(VALU_DEP_2) | instskip(NEXT) | instid1(VALU_DEP_2)
	v_floor_f32_e32 v5, v5
	v_mov_b32_e32 v13, v12
	s_delay_alu instid0(VALU_DEP_2) | instskip(SKIP_1) | instid1(VALU_DEP_2)
	v_fma_f32 v7, 0xcf800000, v5, |v3|
	v_cvt_u32_f32_e32 v3, v5
	v_cvt_u32_f32_e32 v5, v7
	s_delay_alu instid0(VALU_DEP_2) | instskip(NEXT) | instid1(VALU_DEP_2)
	v_xor_b32_e32 v15, v3, v12
	v_xor_b32_e32 v14, v5, v12
	s_delay_alu instid0(VALU_DEP_1) | instskip(NEXT) | instid1(VALU_DEP_1)
	v_sub_nc_u64_e32 v[12:13], v[14:15], v[12:13]
	v_dual_cndmask_b32 v13, 0, v13 :: v_dual_cndmask_b32 v12, 0, v12
	s_branch .LBB47_1288
.LBB47_1287:
	s_mov_b32 s0, -1
                                        ; implicit-def: $vgpr12_vgpr13
.LBB47_1288:
	s_mov_b32 s17, 0
.LBB47_1289:
	s_delay_alu instid0(SALU_CYCLE_1)
	s_and_b32 vcc_lo, exec_lo, s17
	s_cbranch_vccz .LBB47_1293
; %bb.1290:
	s_cmp_eq_u32 s19, 29
	s_cbranch_scc0 .LBB47_1292
; %bb.1291:
	global_load_b64 v[12:13], v[10:11], off
	s_mov_b32 s0, 0
	s_mov_b32 s20, -1
	s_branch .LBB47_1293
.LBB47_1292:
	s_mov_b32 s0, -1
                                        ; implicit-def: $vgpr12_vgpr13
.LBB47_1293:
	s_mov_b32 s17, 0
.LBB47_1294:
	s_delay_alu instid0(SALU_CYCLE_1)
	s_and_b32 vcc_lo, exec_lo, s17
	s_cbranch_vccz .LBB47_1310
; %bb.1295:
	s_cmp_lt_i32 s19, 27
	s_cbranch_scc1 .LBB47_1298
; %bb.1296:
	s_cmp_gt_i32 s19, 27
	s_cbranch_scc0 .LBB47_1299
; %bb.1297:
	s_wait_loadcnt 0x0
	global_load_b32 v12, v[10:11], off
	v_mov_b32_e32 v13, 0
	s_mov_b32 s17, 0
	s_branch .LBB47_1300
.LBB47_1298:
	s_mov_b32 s17, -1
                                        ; implicit-def: $vgpr12_vgpr13
	s_branch .LBB47_1303
.LBB47_1299:
	s_mov_b32 s17, -1
                                        ; implicit-def: $vgpr12_vgpr13
.LBB47_1300:
	s_delay_alu instid0(SALU_CYCLE_1)
	s_and_not1_b32 vcc_lo, exec_lo, s17
	s_cbranch_vccnz .LBB47_1302
; %bb.1301:
	global_load_u16 v1, v[10:11], off
	s_mov_b32 s17, 0
	s_wait_loadcnt 0x1
	v_mov_b32_e32 v13, s17
	s_wait_loadcnt 0x0
	v_and_b32_e32 v12, 0xffff, v1
.LBB47_1302:
	s_mov_b32 s17, 0
.LBB47_1303:
	s_delay_alu instid0(SALU_CYCLE_1)
	s_and_not1_b32 vcc_lo, exec_lo, s17
	s_cbranch_vccnz .LBB47_1309
; %bb.1304:
	global_load_u8 v1, v[10:11], off
	s_mov_b32 s20, 0
	s_mov_b32 s17, exec_lo
	s_wait_loadcnt 0x0
	v_cmpx_lt_i16_e32 0x7f, v1
	s_xor_b32 s17, exec_lo, s17
	s_cbranch_execz .LBB47_1321
; %bb.1305:
	v_cmp_ne_u16_e32 vcc_lo, 0x80, v1
	s_and_b32 s20, vcc_lo, exec_lo
	s_and_not1_saveexec_b32 s17, s17
	s_cbranch_execnz .LBB47_1322
.LBB47_1306:
	s_or_b32 exec_lo, exec_lo, s17
	v_mov_b64_e32 v[12:13], 0
	s_and_saveexec_b32 s17, s20
	s_cbranch_execz .LBB47_1308
.LBB47_1307:
	v_and_b32_e32 v3, 0xffff, v1
	s_delay_alu instid0(VALU_DEP_1) | instskip(SKIP_1) | instid1(VALU_DEP_2)
	v_dual_lshlrev_b32 v1, 24, v1 :: v_dual_bitop2_b32 v5, 7, v3 bitop3:0x40
	v_bfe_u32 v12, v3, 3, 4
	v_and_b32_e32 v1, 0x80000000, v1
	s_delay_alu instid0(VALU_DEP_3) | instskip(NEXT) | instid1(VALU_DEP_3)
	v_clz_i32_u32_e32 v7, v5
	v_cmp_eq_u32_e32 vcc_lo, 0, v12
	s_delay_alu instid0(VALU_DEP_2) | instskip(NEXT) | instid1(VALU_DEP_1)
	v_min_u32_e32 v7, 32, v7
	v_subrev_nc_u32_e32 v9, 28, v7
	v_sub_nc_u32_e32 v7, 29, v7
	s_delay_alu instid0(VALU_DEP_2) | instskip(NEXT) | instid1(VALU_DEP_2)
	v_lshlrev_b32_e32 v3, v9, v3
	v_cndmask_b32_e32 v7, v12, v7, vcc_lo
	s_delay_alu instid0(VALU_DEP_2) | instskip(NEXT) | instid1(VALU_DEP_1)
	v_and_b32_e32 v3, 7, v3
	v_cndmask_b32_e32 v3, v5, v3, vcc_lo
	s_delay_alu instid0(VALU_DEP_3) | instskip(NEXT) | instid1(VALU_DEP_2)
	v_lshl_add_u32 v5, v7, 23, 0x3b800000
	v_lshlrev_b32_e32 v3, 20, v3
	s_delay_alu instid0(VALU_DEP_1) | instskip(NEXT) | instid1(VALU_DEP_1)
	v_or3_b32 v1, v1, v5, v3
	v_trunc_f32_e32 v1, v1
	s_delay_alu instid0(VALU_DEP_1) | instskip(SKIP_1) | instid1(VALU_DEP_2)
	v_mul_f32_e64 v3, 0x2f800000, |v1|
	v_ashrrev_i32_e32 v12, 31, v1
	v_floor_f32_e32 v3, v3
	s_delay_alu instid0(VALU_DEP_2) | instskip(NEXT) | instid1(VALU_DEP_2)
	v_mov_b32_e32 v13, v12
	v_fma_f32 v5, 0xcf800000, v3, |v1|
	v_cvt_u32_f32_e32 v1, v3
	s_delay_alu instid0(VALU_DEP_2) | instskip(NEXT) | instid1(VALU_DEP_2)
	v_cvt_u32_f32_e32 v3, v5
	v_xor_b32_e32 v15, v1, v12
	s_delay_alu instid0(VALU_DEP_2) | instskip(NEXT) | instid1(VALU_DEP_1)
	v_xor_b32_e32 v14, v3, v12
	v_sub_nc_u64_e32 v[12:13], v[14:15], v[12:13]
.LBB47_1308:
	s_or_b32 exec_lo, exec_lo, s17
.LBB47_1309:
	s_mov_b32 s20, -1
.LBB47_1310:
	s_mov_b32 s17, 0
.LBB47_1311:
	s_delay_alu instid0(SALU_CYCLE_1)
	s_and_b32 vcc_lo, exec_lo, s17
	s_cbranch_vccz .LBB47_1342
; %bb.1312:
	s_cmp_gt_i32 s19, 22
	s_cbranch_scc0 .LBB47_1320
; %bb.1313:
	s_cmp_lt_i32 s19, 24
	s_cbranch_scc1 .LBB47_1323
; %bb.1314:
	s_cmp_gt_i32 s19, 24
	s_cbranch_scc0 .LBB47_1324
; %bb.1315:
	global_load_u8 v1, v[10:11], off
	s_mov_b32 s17, exec_lo
	s_wait_loadcnt 0x0
	v_cmpx_lt_i16_e32 0x7f, v1
	s_xor_b32 s17, exec_lo, s17
	s_cbranch_execz .LBB47_1336
; %bb.1316:
	v_cmp_ne_u16_e32 vcc_lo, 0x80, v1
	s_and_b32 s18, vcc_lo, exec_lo
	s_and_not1_saveexec_b32 s17, s17
	s_cbranch_execnz .LBB47_1337
.LBB47_1317:
	s_or_b32 exec_lo, exec_lo, s17
	v_mov_b64_e32 v[12:13], 0
	s_and_saveexec_b32 s17, s18
	s_cbranch_execz .LBB47_1319
.LBB47_1318:
	v_and_b32_e32 v3, 0xffff, v1
	s_delay_alu instid0(VALU_DEP_1) | instskip(SKIP_1) | instid1(VALU_DEP_2)
	v_dual_lshlrev_b32 v1, 24, v1 :: v_dual_bitop2_b32 v5, 3, v3 bitop3:0x40
	v_bfe_u32 v12, v3, 2, 5
	v_and_b32_e32 v1, 0x80000000, v1
	s_delay_alu instid0(VALU_DEP_3) | instskip(NEXT) | instid1(VALU_DEP_3)
	v_clz_i32_u32_e32 v7, v5
	v_cmp_eq_u32_e32 vcc_lo, 0, v12
	s_delay_alu instid0(VALU_DEP_2) | instskip(NEXT) | instid1(VALU_DEP_1)
	v_min_u32_e32 v7, 32, v7
	v_subrev_nc_u32_e32 v9, 29, v7
	v_sub_nc_u32_e32 v7, 30, v7
	s_delay_alu instid0(VALU_DEP_2) | instskip(NEXT) | instid1(VALU_DEP_2)
	v_lshlrev_b32_e32 v3, v9, v3
	v_cndmask_b32_e32 v7, v12, v7, vcc_lo
	s_delay_alu instid0(VALU_DEP_2) | instskip(NEXT) | instid1(VALU_DEP_1)
	v_and_b32_e32 v3, 3, v3
	v_cndmask_b32_e32 v3, v5, v3, vcc_lo
	s_delay_alu instid0(VALU_DEP_3) | instskip(NEXT) | instid1(VALU_DEP_2)
	v_lshl_add_u32 v5, v7, 23, 0x37800000
	v_lshlrev_b32_e32 v3, 21, v3
	s_delay_alu instid0(VALU_DEP_1) | instskip(NEXT) | instid1(VALU_DEP_1)
	v_or3_b32 v1, v1, v5, v3
	v_trunc_f32_e32 v1, v1
	s_delay_alu instid0(VALU_DEP_1) | instskip(SKIP_1) | instid1(VALU_DEP_2)
	v_mul_f32_e64 v3, 0x2f800000, |v1|
	v_ashrrev_i32_e32 v12, 31, v1
	v_floor_f32_e32 v3, v3
	s_delay_alu instid0(VALU_DEP_2) | instskip(NEXT) | instid1(VALU_DEP_2)
	v_mov_b32_e32 v13, v12
	v_fma_f32 v5, 0xcf800000, v3, |v1|
	v_cvt_u32_f32_e32 v1, v3
	s_delay_alu instid0(VALU_DEP_2) | instskip(NEXT) | instid1(VALU_DEP_2)
	v_cvt_u32_f32_e32 v3, v5
	v_xor_b32_e32 v15, v1, v12
	s_delay_alu instid0(VALU_DEP_2) | instskip(NEXT) | instid1(VALU_DEP_1)
	v_xor_b32_e32 v14, v3, v12
	v_sub_nc_u64_e32 v[12:13], v[14:15], v[12:13]
.LBB47_1319:
	s_or_b32 exec_lo, exec_lo, s17
	s_mov_b32 s17, 0
	s_branch .LBB47_1325
.LBB47_1320:
	s_mov_b32 s17, -1
                                        ; implicit-def: $vgpr12_vgpr13
	s_branch .LBB47_1331
.LBB47_1321:
	s_and_not1_saveexec_b32 s17, s17
	s_cbranch_execz .LBB47_1306
.LBB47_1322:
	v_cmp_ne_u16_e32 vcc_lo, 0, v1
	s_and_not1_b32 s20, s20, exec_lo
	s_and_b32 s21, vcc_lo, exec_lo
	s_delay_alu instid0(SALU_CYCLE_1)
	s_or_b32 s20, s20, s21
	s_or_b32 exec_lo, exec_lo, s17
	v_mov_b64_e32 v[12:13], 0
	s_and_saveexec_b32 s17, s20
	s_cbranch_execnz .LBB47_1307
	s_branch .LBB47_1308
.LBB47_1323:
	s_mov_b32 s17, -1
                                        ; implicit-def: $vgpr12_vgpr13
	s_branch .LBB47_1328
.LBB47_1324:
	s_mov_b32 s17, -1
                                        ; implicit-def: $vgpr12_vgpr13
.LBB47_1325:
	s_delay_alu instid0(SALU_CYCLE_1)
	s_and_b32 vcc_lo, exec_lo, s17
	s_cbranch_vccz .LBB47_1327
; %bb.1326:
	global_load_u8 v1, v[10:11], off
	s_wait_loadcnt 0x0
	v_lshlrev_b32_e32 v1, 24, v1
	s_delay_alu instid0(VALU_DEP_1) | instskip(NEXT) | instid1(VALU_DEP_1)
	v_and_b32_e32 v3, 0x7f000000, v1
	v_clz_i32_u32_e32 v5, v3
	v_add_nc_u32_e32 v9, 0x1000000, v3
	v_cmp_ne_u32_e32 vcc_lo, 0, v3
	s_delay_alu instid0(VALU_DEP_3) | instskip(NEXT) | instid1(VALU_DEP_1)
	v_min_u32_e32 v5, 32, v5
	v_sub_nc_u32_e64 v5, v5, 4 clamp
	s_delay_alu instid0(VALU_DEP_1) | instskip(NEXT) | instid1(VALU_DEP_1)
	v_dual_lshlrev_b32 v7, v5, v3 :: v_dual_lshlrev_b32 v5, 23, v5
	v_lshrrev_b32_e32 v7, 4, v7
	s_delay_alu instid0(VALU_DEP_1) | instskip(SKIP_1) | instid1(VALU_DEP_2)
	v_sub_nc_u32_e32 v5, v7, v5
	v_ashrrev_i32_e32 v7, 8, v9
	v_add_nc_u32_e32 v5, 0x3c000000, v5
	s_delay_alu instid0(VALU_DEP_1) | instskip(NEXT) | instid1(VALU_DEP_1)
	v_and_or_b32 v5, 0x7f800000, v7, v5
	v_cndmask_b32_e32 v3, 0, v5, vcc_lo
	s_delay_alu instid0(VALU_DEP_1) | instskip(NEXT) | instid1(VALU_DEP_1)
	v_and_or_b32 v1, 0x80000000, v1, v3
	v_trunc_f32_e32 v1, v1
	s_delay_alu instid0(VALU_DEP_1) | instskip(SKIP_1) | instid1(VALU_DEP_2)
	v_mul_f32_e64 v3, 0x2f800000, |v1|
	v_ashrrev_i32_e32 v12, 31, v1
	v_floor_f32_e32 v3, v3
	s_delay_alu instid0(VALU_DEP_2) | instskip(NEXT) | instid1(VALU_DEP_2)
	v_mov_b32_e32 v13, v12
	v_fma_f32 v5, 0xcf800000, v3, |v1|
	v_cvt_u32_f32_e32 v1, v3
	s_delay_alu instid0(VALU_DEP_2) | instskip(NEXT) | instid1(VALU_DEP_2)
	v_cvt_u32_f32_e32 v3, v5
	v_xor_b32_e32 v15, v1, v12
	s_delay_alu instid0(VALU_DEP_2) | instskip(NEXT) | instid1(VALU_DEP_1)
	v_xor_b32_e32 v14, v3, v12
	v_sub_nc_u64_e32 v[12:13], v[14:15], v[12:13]
.LBB47_1327:
	s_mov_b32 s17, 0
.LBB47_1328:
	s_delay_alu instid0(SALU_CYCLE_1)
	s_and_not1_b32 vcc_lo, exec_lo, s17
	s_cbranch_vccnz .LBB47_1330
; %bb.1329:
	global_load_u8 v1, v[10:11], off
	s_wait_loadcnt 0x0
	v_lshlrev_b32_e32 v3, 25, v1
	v_lshlrev_b16 v1, 8, v1
	s_delay_alu instid0(VALU_DEP_1) | instskip(SKIP_1) | instid1(VALU_DEP_2)
	v_and_or_b32 v7, 0x7f00, v1, 0.5
	v_bfe_i32 v1, v1, 0, 16
	v_add_f32_e32 v7, -0.5, v7
	v_lshrrev_b32_e32 v5, 4, v3
	v_cmp_gt_u32_e32 vcc_lo, 0x8000000, v3
	s_delay_alu instid0(VALU_DEP_2) | instskip(NEXT) | instid1(VALU_DEP_1)
	v_or_b32_e32 v5, 0x70000000, v5
	v_mul_f32_e32 v5, 0x7800000, v5
	s_delay_alu instid0(VALU_DEP_1) | instskip(NEXT) | instid1(VALU_DEP_1)
	v_cndmask_b32_e32 v3, v5, v7, vcc_lo
	v_and_or_b32 v1, 0x80000000, v1, v3
	s_delay_alu instid0(VALU_DEP_1) | instskip(NEXT) | instid1(VALU_DEP_1)
	v_trunc_f32_e32 v1, v1
	v_mul_f32_e64 v3, 0x2f800000, |v1|
	v_ashrrev_i32_e32 v12, 31, v1
	s_delay_alu instid0(VALU_DEP_2) | instskip(NEXT) | instid1(VALU_DEP_2)
	v_floor_f32_e32 v3, v3
	v_mov_b32_e32 v13, v12
	s_delay_alu instid0(VALU_DEP_2) | instskip(SKIP_1) | instid1(VALU_DEP_2)
	v_fma_f32 v5, 0xcf800000, v3, |v1|
	v_cvt_u32_f32_e32 v1, v3
	v_cvt_u32_f32_e32 v3, v5
	s_delay_alu instid0(VALU_DEP_2) | instskip(NEXT) | instid1(VALU_DEP_2)
	v_xor_b32_e32 v15, v1, v12
	v_xor_b32_e32 v14, v3, v12
	s_delay_alu instid0(VALU_DEP_1)
	v_sub_nc_u64_e32 v[12:13], v[14:15], v[12:13]
.LBB47_1330:
	s_mov_b32 s17, 0
	s_mov_b32 s20, -1
.LBB47_1331:
	s_and_not1_b32 vcc_lo, exec_lo, s17
	s_mov_b32 s18, 0
	s_cbranch_vccnz .LBB47_1342
; %bb.1332:
	s_cmp_gt_i32 s19, 14
	s_cbranch_scc0 .LBB47_1335
; %bb.1333:
	s_cmp_eq_u32 s19, 15
	s_cbranch_scc0 .LBB47_1338
; %bb.1334:
	global_load_u16 v1, v[10:11], off
	s_mov_b32 s0, 0
	s_mov_b32 s20, -1
	s_wait_loadcnt 0x0
	v_lshlrev_b32_e32 v1, 16, v1
	s_delay_alu instid0(VALU_DEP_1) | instskip(NEXT) | instid1(VALU_DEP_1)
	v_trunc_f32_e32 v1, v1
	v_mul_f32_e64 v3, 0x2f800000, |v1|
	v_ashrrev_i32_e32 v12, 31, v1
	s_delay_alu instid0(VALU_DEP_2) | instskip(NEXT) | instid1(VALU_DEP_2)
	v_floor_f32_e32 v3, v3
	v_mov_b32_e32 v13, v12
	s_delay_alu instid0(VALU_DEP_2) | instskip(SKIP_1) | instid1(VALU_DEP_2)
	v_fma_f32 v5, 0xcf800000, v3, |v1|
	v_cvt_u32_f32_e32 v1, v3
	v_cvt_u32_f32_e32 v3, v5
	s_delay_alu instid0(VALU_DEP_2) | instskip(NEXT) | instid1(VALU_DEP_2)
	v_xor_b32_e32 v15, v1, v12
	v_xor_b32_e32 v14, v3, v12
	s_delay_alu instid0(VALU_DEP_1)
	v_sub_nc_u64_e32 v[12:13], v[14:15], v[12:13]
	s_branch .LBB47_1339
.LBB47_1335:
	s_mov_b32 s17, -1
                                        ; implicit-def: $vgpr12_vgpr13
	s_branch .LBB47_1340
.LBB47_1336:
	s_and_not1_saveexec_b32 s17, s17
	s_cbranch_execz .LBB47_1317
.LBB47_1337:
	v_cmp_ne_u16_e32 vcc_lo, 0, v1
	s_and_not1_b32 s18, s18, exec_lo
	s_and_b32 s20, vcc_lo, exec_lo
	s_delay_alu instid0(SALU_CYCLE_1)
	s_or_b32 s18, s18, s20
	s_or_b32 exec_lo, exec_lo, s17
	v_mov_b64_e32 v[12:13], 0
	s_and_saveexec_b32 s17, s18
	s_cbranch_execnz .LBB47_1318
	s_branch .LBB47_1319
.LBB47_1338:
	s_mov_b32 s0, -1
                                        ; implicit-def: $vgpr12_vgpr13
.LBB47_1339:
	s_mov_b32 s17, 0
.LBB47_1340:
	s_delay_alu instid0(SALU_CYCLE_1)
	s_and_b32 vcc_lo, exec_lo, s17
	s_cbranch_vccz .LBB47_1342
; %bb.1341:
	s_cmp_lg_u32 s19, 11
	s_mov_b32 s18, -1
	s_cselect_b32 s0, -1, 0
.LBB47_1342:
	s_delay_alu instid0(SALU_CYCLE_1)
	s_and_b32 vcc_lo, exec_lo, s0
	s_mov_b32 s17, s15
	s_cbranch_vccnz .LBB47_1409
; %bb.1343:
	s_and_not1_b32 vcc_lo, exec_lo, s18
	s_cbranch_vccnz .LBB47_1345
.LBB47_1344:
	global_load_u8 v1, v[10:11], off
	s_mov_b32 s0, 0
	s_mov_b32 s20, -1
	s_wait_loadcnt 0x1
	v_mov_b32_e32 v13, s0
	s_wait_loadcnt 0x0
	v_cmp_ne_u16_e32 vcc_lo, 0, v1
	v_cndmask_b32_e64 v12, 0, 1, vcc_lo
.LBB47_1345:
	s_mov_b32 s0, 0
.LBB47_1346:
	s_delay_alu instid0(SALU_CYCLE_1)
	s_and_b32 vcc_lo, exec_lo, s0
	s_cbranch_vccz .LBB47_1395
; %bb.1347:
	s_cmp_lt_i32 s19, 5
	s_cbranch_scc1 .LBB47_1352
; %bb.1348:
	s_cmp_lt_i32 s19, 8
	s_cbranch_scc1 .LBB47_1353
; %bb.1349:
	s_cmp_lt_i32 s19, 9
	s_cbranch_scc1 .LBB47_1354
; %bb.1350:
	s_cmp_gt_i32 s19, 9
	s_cbranch_scc0 .LBB47_1355
; %bb.1351:
	s_wait_loadcnt 0x0
	global_load_b64 v[12:13], v[10:11], off
	s_mov_b32 s0, 0
	s_wait_loadcnt 0x0
	v_trunc_f64_e32 v[12:13], v[12:13]
	s_delay_alu instid0(VALU_DEP_1) | instskip(NEXT) | instid1(VALU_DEP_1)
	v_ldexp_f64 v[14:15], v[12:13], 0xffffffe0
	v_floor_f64_e32 v[14:15], v[14:15]
	s_delay_alu instid0(VALU_DEP_1) | instskip(SKIP_1) | instid1(VALU_DEP_2)
	v_fmamk_f64 v[16:17], v[14:15], 0xc1f00000, v[12:13]
	v_cvt_i32_f64_e32 v13, v[14:15]
	v_cvt_u32_f64_e32 v12, v[16:17]
	s_branch .LBB47_1356
.LBB47_1352:
	s_mov_b32 s0, -1
                                        ; implicit-def: $vgpr12_vgpr13
	s_branch .LBB47_1374
.LBB47_1353:
	s_mov_b32 s0, -1
                                        ; implicit-def: $vgpr12_vgpr13
	s_branch .LBB47_1362
.LBB47_1354:
	s_mov_b32 s0, -1
                                        ; implicit-def: $vgpr12_vgpr13
	s_branch .LBB47_1359
.LBB47_1355:
	s_mov_b32 s0, -1
                                        ; implicit-def: $vgpr12_vgpr13
.LBB47_1356:
	s_delay_alu instid0(SALU_CYCLE_1)
	s_and_not1_b32 vcc_lo, exec_lo, s0
	s_cbranch_vccnz .LBB47_1358
; %bb.1357:
	global_load_b32 v1, v[10:11], off
	s_wait_loadcnt 0x0
	v_trunc_f32_e32 v1, v1
	s_delay_alu instid0(VALU_DEP_1) | instskip(SKIP_1) | instid1(VALU_DEP_2)
	v_mul_f32_e64 v3, 0x2f800000, |v1|
	v_ashrrev_i32_e32 v12, 31, v1
	v_floor_f32_e32 v3, v3
	s_delay_alu instid0(VALU_DEP_1) | instskip(SKIP_1) | instid1(VALU_DEP_4)
	v_fma_f32 v5, 0xcf800000, v3, |v1|
	v_cvt_u32_f32_e32 v1, v3
	v_mov_b32_e32 v13, v12
	s_delay_alu instid0(VALU_DEP_3) | instskip(NEXT) | instid1(VALU_DEP_3)
	v_cvt_u32_f32_e32 v3, v5
	v_xor_b32_e32 v15, v1, v12
	s_delay_alu instid0(VALU_DEP_2) | instskip(NEXT) | instid1(VALU_DEP_1)
	v_xor_b32_e32 v14, v3, v12
	v_sub_nc_u64_e32 v[12:13], v[14:15], v[12:13]
.LBB47_1358:
	s_mov_b32 s0, 0
.LBB47_1359:
	s_delay_alu instid0(SALU_CYCLE_1)
	s_and_not1_b32 vcc_lo, exec_lo, s0
	s_cbranch_vccnz .LBB47_1361
; %bb.1360:
	global_load_b32 v1, v[10:11], off
	s_wait_loadcnt 0x0
	v_cvt_f32_f16_e32 v1, v1
	s_delay_alu instid0(VALU_DEP_1) | instskip(NEXT) | instid1(VALU_DEP_1)
	v_cvt_i32_f32_e32 v12, v1
	v_ashrrev_i32_e32 v13, 31, v12
.LBB47_1361:
	s_mov_b32 s0, 0
.LBB47_1362:
	s_delay_alu instid0(SALU_CYCLE_1)
	s_and_not1_b32 vcc_lo, exec_lo, s0
	s_cbranch_vccnz .LBB47_1373
; %bb.1363:
	s_cmp_lt_i32 s19, 6
	s_cbranch_scc1 .LBB47_1366
; %bb.1364:
	s_cmp_gt_i32 s19, 6
	s_cbranch_scc0 .LBB47_1367
; %bb.1365:
	s_wait_loadcnt 0x0
	global_load_b64 v[12:13], v[10:11], off
	s_mov_b32 s0, 0
	s_wait_loadcnt 0x0
	v_trunc_f64_e32 v[12:13], v[12:13]
	s_delay_alu instid0(VALU_DEP_1) | instskip(NEXT) | instid1(VALU_DEP_1)
	v_ldexp_f64 v[14:15], v[12:13], 0xffffffe0
	v_floor_f64_e32 v[14:15], v[14:15]
	s_delay_alu instid0(VALU_DEP_1) | instskip(SKIP_1) | instid1(VALU_DEP_2)
	v_fmamk_f64 v[16:17], v[14:15], 0xc1f00000, v[12:13]
	v_cvt_i32_f64_e32 v13, v[14:15]
	v_cvt_u32_f64_e32 v12, v[16:17]
	s_branch .LBB47_1368
.LBB47_1366:
	s_mov_b32 s0, -1
                                        ; implicit-def: $vgpr12_vgpr13
	s_branch .LBB47_1371
.LBB47_1367:
	s_mov_b32 s0, -1
                                        ; implicit-def: $vgpr12_vgpr13
.LBB47_1368:
	s_delay_alu instid0(SALU_CYCLE_1)
	s_and_not1_b32 vcc_lo, exec_lo, s0
	s_cbranch_vccnz .LBB47_1370
; %bb.1369:
	global_load_b32 v1, v[10:11], off
	s_wait_loadcnt 0x0
	v_trunc_f32_e32 v1, v1
	s_delay_alu instid0(VALU_DEP_1) | instskip(SKIP_1) | instid1(VALU_DEP_2)
	v_mul_f32_e64 v3, 0x2f800000, |v1|
	v_ashrrev_i32_e32 v12, 31, v1
	v_floor_f32_e32 v3, v3
	s_delay_alu instid0(VALU_DEP_1) | instskip(SKIP_1) | instid1(VALU_DEP_4)
	v_fma_f32 v5, 0xcf800000, v3, |v1|
	v_cvt_u32_f32_e32 v1, v3
	v_mov_b32_e32 v13, v12
	s_delay_alu instid0(VALU_DEP_3) | instskip(NEXT) | instid1(VALU_DEP_3)
	v_cvt_u32_f32_e32 v3, v5
	v_xor_b32_e32 v15, v1, v12
	s_delay_alu instid0(VALU_DEP_2) | instskip(NEXT) | instid1(VALU_DEP_1)
	v_xor_b32_e32 v14, v3, v12
	v_sub_nc_u64_e32 v[12:13], v[14:15], v[12:13]
.LBB47_1370:
	s_mov_b32 s0, 0
.LBB47_1371:
	s_delay_alu instid0(SALU_CYCLE_1)
	s_and_not1_b32 vcc_lo, exec_lo, s0
	s_cbranch_vccnz .LBB47_1373
; %bb.1372:
	global_load_u16 v1, v[10:11], off
	s_wait_loadcnt 0x0
	v_cvt_f32_f16_e32 v1, v1
	s_delay_alu instid0(VALU_DEP_1) | instskip(NEXT) | instid1(VALU_DEP_1)
	v_cvt_i32_f32_e32 v12, v1
	v_ashrrev_i32_e32 v13, 31, v12
.LBB47_1373:
	s_mov_b32 s0, 0
.LBB47_1374:
	s_delay_alu instid0(SALU_CYCLE_1)
	s_and_not1_b32 vcc_lo, exec_lo, s0
	s_cbranch_vccnz .LBB47_1394
; %bb.1375:
	s_cmp_lt_i32 s19, 2
	s_cbranch_scc1 .LBB47_1379
; %bb.1376:
	s_cmp_lt_i32 s19, 3
	s_cbranch_scc1 .LBB47_1380
; %bb.1377:
	s_cmp_gt_i32 s19, 3
	s_cbranch_scc0 .LBB47_1381
; %bb.1378:
	s_wait_loadcnt 0x0
	global_load_b64 v[12:13], v[10:11], off
	s_mov_b32 s0, 0
	s_branch .LBB47_1382
.LBB47_1379:
	s_mov_b32 s0, -1
                                        ; implicit-def: $vgpr12_vgpr13
	s_branch .LBB47_1388
.LBB47_1380:
	s_mov_b32 s0, -1
                                        ; implicit-def: $vgpr12_vgpr13
	s_branch .LBB47_1385
.LBB47_1381:
	s_mov_b32 s0, -1
                                        ; implicit-def: $vgpr12_vgpr13
.LBB47_1382:
	s_delay_alu instid0(SALU_CYCLE_1)
	s_and_not1_b32 vcc_lo, exec_lo, s0
	s_cbranch_vccnz .LBB47_1384
; %bb.1383:
	s_wait_loadcnt 0x0
	global_load_b32 v12, v[10:11], off
	s_wait_loadcnt 0x0
	v_ashrrev_i32_e32 v13, 31, v12
.LBB47_1384:
	s_mov_b32 s0, 0
.LBB47_1385:
	s_delay_alu instid0(SALU_CYCLE_1)
	s_and_not1_b32 vcc_lo, exec_lo, s0
	s_cbranch_vccnz .LBB47_1387
; %bb.1386:
	global_load_u16 v1, v[10:11], off
	s_wait_loadcnt 0x0
	v_bfe_i32 v12, v1, 0, 16
	s_delay_alu instid0(VALU_DEP_1)
	v_ashrrev_i32_e32 v13, 31, v12
.LBB47_1387:
	s_mov_b32 s0, 0
.LBB47_1388:
	s_delay_alu instid0(SALU_CYCLE_1)
	s_and_not1_b32 vcc_lo, exec_lo, s0
	s_cbranch_vccnz .LBB47_1394
; %bb.1389:
	s_cmp_gt_i32 s19, 0
	s_mov_b32 s0, 0
	s_cbranch_scc0 .LBB47_1391
; %bb.1390:
	global_load_i8 v1, v[10:11], off
	s_wait_loadcnt 0x0
	v_bfe_i32 v12, v1, 0, 16
	s_delay_alu instid0(VALU_DEP_1)
	v_ashrrev_i32_e32 v13, 31, v12
	s_branch .LBB47_1392
.LBB47_1391:
	s_mov_b32 s0, -1
                                        ; implicit-def: $vgpr12_vgpr13
.LBB47_1392:
	s_delay_alu instid0(SALU_CYCLE_1)
	s_and_not1_b32 vcc_lo, exec_lo, s0
	s_cbranch_vccnz .LBB47_1394
; %bb.1393:
	global_load_u8 v1, v[10:11], off
	s_mov_b32 s0, 0
	s_wait_loadcnt 0x1
	v_mov_b32_e32 v13, s0
	s_wait_loadcnt 0x0
	v_and_b32_e32 v12, 0xffff, v1
.LBB47_1394:
	s_mov_b32 s20, -1
.LBB47_1395:
	s_delay_alu instid0(SALU_CYCLE_1)
	s_and_not1_b32 vcc_lo, exec_lo, s20
	s_cbranch_vccnz .LBB47_1405
; %bb.1396:
	s_wait_loadcnt 0x0
	s_delay_alu instid0(VALU_DEP_1) | instskip(SKIP_4) | instid1(SALU_CYCLE_1)
	v_cmp_gt_i64_e32 vcc_lo, s[8:9], v[12:13]
	v_cmp_le_i64_e64 s0, s[10:11], v[12:13]
	s_or_b32 s0, vcc_lo, s0
	s_wait_xcnt 0x0
	s_and_saveexec_b32 s18, s0
	s_xor_b32 s0, exec_lo, s18
	s_cbranch_execnz .LBB47_1902
.LBB47_1397:
	s_or_saveexec_b32 s18, s0
	s_mov_b32 s20, 0
	s_mov_b32 s21, 0
                                        ; implicit-def: $vgpr14_vgpr15
                                        ; implicit-def: $sgpr0
	s_xor_b32 exec_lo, exec_lo, s18
	s_cbranch_execz .LBB47_1847
; %bb.1398:
	v_mov_b32_e32 v9, 0
	s_cmp_lt_i32 s19, 11
	s_delay_alu instid0(VALU_DEP_1)
	v_add_nc_u64_e32 v[8:9], s[6:7], v[8:9]
	s_cbranch_scc1 .LBB47_1406
; %bb.1399:
	s_cmp_gt_i32 s19, 25
	s_mov_b32 s7, 0
	s_cbranch_scc0 .LBB47_1407
; %bb.1400:
	s_cmp_gt_i32 s19, 28
	s_cbranch_scc0 .LBB47_1408
; %bb.1401:
	s_cmp_gt_i32 s19, 43
	;; [unrolled: 3-line block ×3, first 2 shown]
	s_cbranch_scc0 .LBB47_1411
; %bb.1403:
	s_cmp_eq_u32 s19, 46
	s_mov_b32 s6, 0
	s_cbranch_scc0 .LBB47_1413
; %bb.1404:
	global_load_b32 v1, v[8:9], off
	s_mov_b32 s0, 0
	s_mov_b32 s20, -1
	s_wait_loadcnt 0x0
	v_lshlrev_b32_e32 v1, 16, v1
	s_delay_alu instid0(VALU_DEP_1) | instskip(NEXT) | instid1(VALU_DEP_1)
	v_trunc_f32_e32 v1, v1
	v_mul_f32_e64 v3, 0x2f800000, |v1|
	v_ashrrev_i32_e32 v10, 31, v1
	s_delay_alu instid0(VALU_DEP_2) | instskip(NEXT) | instid1(VALU_DEP_2)
	v_floor_f32_e32 v3, v3
	v_mov_b32_e32 v11, v10
	s_delay_alu instid0(VALU_DEP_2) | instskip(SKIP_1) | instid1(VALU_DEP_2)
	v_fma_f32 v5, 0xcf800000, v3, |v1|
	v_cvt_u32_f32_e32 v1, v3
	v_cvt_u32_f32_e32 v3, v5
	s_delay_alu instid0(VALU_DEP_2) | instskip(NEXT) | instid1(VALU_DEP_2)
	v_xor_b32_e32 v13, v1, v10
	v_xor_b32_e32 v12, v3, v10
	s_delay_alu instid0(VALU_DEP_1)
	v_sub_nc_u64_e32 v[10:11], v[12:13], v[10:11]
	s_branch .LBB47_1415
.LBB47_1405:
	s_mov_b32 s20, 0
	s_mov_b32 s21, 0
                                        ; implicit-def: $vgpr14_vgpr15
                                        ; implicit-def: $sgpr0
	s_branch .LBB47_1848
.LBB47_1406:
	s_mov_b32 s0, -1
	s_mov_b32 s6, s17
                                        ; implicit-def: $vgpr10_vgpr11
	s_branch .LBB47_1477
.LBB47_1407:
	s_mov_b32 s6, -1
	s_mov_b32 s0, 0
                                        ; implicit-def: $vgpr10_vgpr11
	s_branch .LBB47_1442
.LBB47_1408:
	s_mov_b32 s6, -1
	s_mov_b32 s0, 0
                                        ; implicit-def: $vgpr10_vgpr11
	s_branch .LBB47_1425
.LBB47_1409:
	s_or_b32 s17, s15, exec_lo
	s_trap 2
	s_cbranch_execz .LBB47_1344
	s_branch .LBB47_1345
.LBB47_1410:
	s_mov_b32 s6, -1
	s_mov_b32 s0, 0
                                        ; implicit-def: $vgpr10_vgpr11
	s_branch .LBB47_1420
.LBB47_1411:
	s_mov_b32 s6, -1
	s_mov_b32 s0, 0
	s_branch .LBB47_1414
.LBB47_1412:
	s_or_b32 s1, s1, exec_lo
	s_trap 2
                                        ; implicit-def: $vgpr12
                                        ; implicit-def: $vgpr10
                                        ; implicit-def: $vgpr8
                                        ; implicit-def: $vgpr0
                                        ; implicit-def: $vgpr6
                                        ; implicit-def: $vgpr4
                                        ; implicit-def: $vgpr2
	s_branch .LBB47_1029
.LBB47_1413:
	s_mov_b32 s0, -1
.LBB47_1414:
                                        ; implicit-def: $vgpr10_vgpr11
.LBB47_1415:
	s_and_b32 vcc_lo, exec_lo, s6
	s_cbranch_vccz .LBB47_1419
; %bb.1416:
	s_cmp_eq_u32 s19, 44
	s_cbranch_scc0 .LBB47_1418
; %bb.1417:
	global_load_u8 v1, v[8:9], off
	s_mov_b32 s0, 0
	s_mov_b32 s20, -1
	s_wait_loadcnt 0x0
	v_lshlrev_b32_e32 v3, 23, v1
	v_cmp_ne_u32_e32 vcc_lo, 0, v1
	s_delay_alu instid0(VALU_DEP_2) | instskip(NEXT) | instid1(VALU_DEP_1)
	v_trunc_f32_e32 v3, v3
	v_mul_f32_e64 v5, 0x2f800000, |v3|
	v_ashrrev_i32_e32 v10, 31, v3
	s_delay_alu instid0(VALU_DEP_2) | instskip(NEXT) | instid1(VALU_DEP_2)
	v_floor_f32_e32 v5, v5
	v_mov_b32_e32 v11, v10
	s_delay_alu instid0(VALU_DEP_2) | instskip(SKIP_1) | instid1(VALU_DEP_2)
	v_fma_f32 v7, 0xcf800000, v5, |v3|
	v_cvt_u32_f32_e32 v3, v5
	v_cvt_u32_f32_e32 v5, v7
	s_delay_alu instid0(VALU_DEP_2) | instskip(NEXT) | instid1(VALU_DEP_2)
	v_xor_b32_e32 v13, v3, v10
	v_xor_b32_e32 v12, v5, v10
	s_delay_alu instid0(VALU_DEP_1) | instskip(NEXT) | instid1(VALU_DEP_1)
	v_sub_nc_u64_e32 v[10:11], v[12:13], v[10:11]
	v_dual_cndmask_b32 v11, 0, v11 :: v_dual_cndmask_b32 v10, 0, v10
	s_branch .LBB47_1419
.LBB47_1418:
	s_mov_b32 s0, -1
                                        ; implicit-def: $vgpr10_vgpr11
.LBB47_1419:
	s_mov_b32 s6, 0
.LBB47_1420:
	s_delay_alu instid0(SALU_CYCLE_1)
	s_and_b32 vcc_lo, exec_lo, s6
	s_cbranch_vccz .LBB47_1424
; %bb.1421:
	s_cmp_eq_u32 s19, 29
	s_cbranch_scc0 .LBB47_1423
; %bb.1422:
	global_load_b64 v[10:11], v[8:9], off
	s_mov_b32 s0, 0
	s_mov_b32 s20, -1
	s_branch .LBB47_1424
.LBB47_1423:
	s_mov_b32 s0, -1
                                        ; implicit-def: $vgpr10_vgpr11
.LBB47_1424:
	s_mov_b32 s6, 0
.LBB47_1425:
	s_delay_alu instid0(SALU_CYCLE_1)
	s_and_b32 vcc_lo, exec_lo, s6
	s_cbranch_vccz .LBB47_1441
; %bb.1426:
	s_cmp_lt_i32 s19, 27
	s_cbranch_scc1 .LBB47_1429
; %bb.1427:
	s_cmp_gt_i32 s19, 27
	s_cbranch_scc0 .LBB47_1430
; %bb.1428:
	s_wait_loadcnt 0x0
	global_load_b32 v10, v[8:9], off
	v_mov_b32_e32 v11, 0
	s_mov_b32 s6, 0
	s_branch .LBB47_1431
.LBB47_1429:
	s_mov_b32 s6, -1
                                        ; implicit-def: $vgpr10_vgpr11
	s_branch .LBB47_1434
.LBB47_1430:
	s_mov_b32 s6, -1
                                        ; implicit-def: $vgpr10_vgpr11
.LBB47_1431:
	s_delay_alu instid0(SALU_CYCLE_1)
	s_and_not1_b32 vcc_lo, exec_lo, s6
	s_cbranch_vccnz .LBB47_1433
; %bb.1432:
	global_load_u16 v1, v[8:9], off
	s_mov_b32 s6, 0
	s_wait_loadcnt 0x1
	v_mov_b32_e32 v11, s6
	s_wait_loadcnt 0x0
	v_and_b32_e32 v10, 0xffff, v1
.LBB47_1433:
	s_mov_b32 s6, 0
.LBB47_1434:
	s_delay_alu instid0(SALU_CYCLE_1)
	s_and_not1_b32 vcc_lo, exec_lo, s6
	s_cbranch_vccnz .LBB47_1440
; %bb.1435:
	global_load_u8 v1, v[8:9], off
	s_mov_b32 s20, 0
	s_mov_b32 s6, exec_lo
	s_wait_loadcnt 0x0
	v_cmpx_lt_i16_e32 0x7f, v1
	s_xor_b32 s6, exec_lo, s6
	s_cbranch_execz .LBB47_1452
; %bb.1436:
	v_cmp_ne_u16_e32 vcc_lo, 0x80, v1
	s_and_b32 s20, vcc_lo, exec_lo
	s_and_not1_saveexec_b32 s6, s6
	s_cbranch_execnz .LBB47_1453
.LBB47_1437:
	s_or_b32 exec_lo, exec_lo, s6
	v_mov_b64_e32 v[10:11], 0
	s_and_saveexec_b32 s6, s20
	s_cbranch_execz .LBB47_1439
.LBB47_1438:
	v_and_b32_e32 v3, 0xffff, v1
	s_delay_alu instid0(VALU_DEP_1) | instskip(SKIP_1) | instid1(VALU_DEP_2)
	v_dual_lshlrev_b32 v1, 24, v1 :: v_dual_bitop2_b32 v5, 7, v3 bitop3:0x40
	v_bfe_u32 v11, v3, 3, 4
	v_and_b32_e32 v1, 0x80000000, v1
	s_delay_alu instid0(VALU_DEP_3) | instskip(NEXT) | instid1(VALU_DEP_3)
	v_clz_i32_u32_e32 v7, v5
	v_cmp_eq_u32_e32 vcc_lo, 0, v11
	s_delay_alu instid0(VALU_DEP_2) | instskip(NEXT) | instid1(VALU_DEP_1)
	v_min_u32_e32 v7, 32, v7
	v_subrev_nc_u32_e32 v10, 28, v7
	v_sub_nc_u32_e32 v7, 29, v7
	s_delay_alu instid0(VALU_DEP_2) | instskip(NEXT) | instid1(VALU_DEP_2)
	v_lshlrev_b32_e32 v3, v10, v3
	v_cndmask_b32_e32 v7, v11, v7, vcc_lo
	s_delay_alu instid0(VALU_DEP_2) | instskip(NEXT) | instid1(VALU_DEP_1)
	v_and_b32_e32 v3, 7, v3
	v_cndmask_b32_e32 v3, v5, v3, vcc_lo
	s_delay_alu instid0(VALU_DEP_3) | instskip(NEXT) | instid1(VALU_DEP_2)
	v_lshl_add_u32 v5, v7, 23, 0x3b800000
	v_lshlrev_b32_e32 v3, 20, v3
	s_delay_alu instid0(VALU_DEP_1) | instskip(NEXT) | instid1(VALU_DEP_1)
	v_or3_b32 v1, v1, v5, v3
	v_trunc_f32_e32 v1, v1
	s_delay_alu instid0(VALU_DEP_1) | instskip(SKIP_1) | instid1(VALU_DEP_2)
	v_mul_f32_e64 v3, 0x2f800000, |v1|
	v_ashrrev_i32_e32 v10, 31, v1
	v_floor_f32_e32 v3, v3
	s_delay_alu instid0(VALU_DEP_2) | instskip(NEXT) | instid1(VALU_DEP_2)
	v_mov_b32_e32 v11, v10
	v_fma_f32 v5, 0xcf800000, v3, |v1|
	v_cvt_u32_f32_e32 v1, v3
	s_delay_alu instid0(VALU_DEP_2) | instskip(NEXT) | instid1(VALU_DEP_2)
	v_cvt_u32_f32_e32 v3, v5
	v_xor_b32_e32 v13, v1, v10
	s_delay_alu instid0(VALU_DEP_2) | instskip(NEXT) | instid1(VALU_DEP_1)
	v_xor_b32_e32 v12, v3, v10
	v_sub_nc_u64_e32 v[10:11], v[12:13], v[10:11]
.LBB47_1439:
	s_or_b32 exec_lo, exec_lo, s6
.LBB47_1440:
	s_mov_b32 s20, -1
.LBB47_1441:
	s_mov_b32 s6, 0
.LBB47_1442:
	s_delay_alu instid0(SALU_CYCLE_1)
	s_and_b32 vcc_lo, exec_lo, s6
	s_cbranch_vccz .LBB47_1473
; %bb.1443:
	s_cmp_gt_i32 s19, 22
	s_cbranch_scc0 .LBB47_1451
; %bb.1444:
	s_cmp_lt_i32 s19, 24
	s_cbranch_scc1 .LBB47_1454
; %bb.1445:
	s_cmp_gt_i32 s19, 24
	s_cbranch_scc0 .LBB47_1455
; %bb.1446:
	global_load_u8 v1, v[8:9], off
	s_mov_b32 s6, exec_lo
	s_wait_loadcnt 0x0
	v_cmpx_lt_i16_e32 0x7f, v1
	s_xor_b32 s6, exec_lo, s6
	s_cbranch_execz .LBB47_1467
; %bb.1447:
	v_cmp_ne_u16_e32 vcc_lo, 0x80, v1
	s_and_b32 s7, vcc_lo, exec_lo
	s_and_not1_saveexec_b32 s6, s6
	s_cbranch_execnz .LBB47_1468
.LBB47_1448:
	s_or_b32 exec_lo, exec_lo, s6
	v_mov_b64_e32 v[10:11], 0
	s_and_saveexec_b32 s6, s7
	s_cbranch_execz .LBB47_1450
.LBB47_1449:
	v_and_b32_e32 v3, 0xffff, v1
	s_delay_alu instid0(VALU_DEP_1) | instskip(SKIP_1) | instid1(VALU_DEP_2)
	v_dual_lshlrev_b32 v1, 24, v1 :: v_dual_bitop2_b32 v5, 3, v3 bitop3:0x40
	v_bfe_u32 v11, v3, 2, 5
	v_and_b32_e32 v1, 0x80000000, v1
	s_delay_alu instid0(VALU_DEP_3) | instskip(NEXT) | instid1(VALU_DEP_3)
	v_clz_i32_u32_e32 v7, v5
	v_cmp_eq_u32_e32 vcc_lo, 0, v11
	s_delay_alu instid0(VALU_DEP_2) | instskip(NEXT) | instid1(VALU_DEP_1)
	v_min_u32_e32 v7, 32, v7
	v_subrev_nc_u32_e32 v10, 29, v7
	v_sub_nc_u32_e32 v7, 30, v7
	s_delay_alu instid0(VALU_DEP_2) | instskip(NEXT) | instid1(VALU_DEP_2)
	v_lshlrev_b32_e32 v3, v10, v3
	v_cndmask_b32_e32 v7, v11, v7, vcc_lo
	s_delay_alu instid0(VALU_DEP_2) | instskip(NEXT) | instid1(VALU_DEP_1)
	v_and_b32_e32 v3, 3, v3
	v_cndmask_b32_e32 v3, v5, v3, vcc_lo
	s_delay_alu instid0(VALU_DEP_3) | instskip(NEXT) | instid1(VALU_DEP_2)
	v_lshl_add_u32 v5, v7, 23, 0x37800000
	v_lshlrev_b32_e32 v3, 21, v3
	s_delay_alu instid0(VALU_DEP_1) | instskip(NEXT) | instid1(VALU_DEP_1)
	v_or3_b32 v1, v1, v5, v3
	v_trunc_f32_e32 v1, v1
	s_delay_alu instid0(VALU_DEP_1) | instskip(SKIP_1) | instid1(VALU_DEP_2)
	v_mul_f32_e64 v3, 0x2f800000, |v1|
	v_ashrrev_i32_e32 v10, 31, v1
	v_floor_f32_e32 v3, v3
	s_delay_alu instid0(VALU_DEP_2) | instskip(NEXT) | instid1(VALU_DEP_2)
	v_mov_b32_e32 v11, v10
	v_fma_f32 v5, 0xcf800000, v3, |v1|
	v_cvt_u32_f32_e32 v1, v3
	s_delay_alu instid0(VALU_DEP_2) | instskip(NEXT) | instid1(VALU_DEP_2)
	v_cvt_u32_f32_e32 v3, v5
	v_xor_b32_e32 v13, v1, v10
	s_delay_alu instid0(VALU_DEP_2) | instskip(NEXT) | instid1(VALU_DEP_1)
	v_xor_b32_e32 v12, v3, v10
	v_sub_nc_u64_e32 v[10:11], v[12:13], v[10:11]
.LBB47_1450:
	s_or_b32 exec_lo, exec_lo, s6
	s_mov_b32 s6, 0
	s_branch .LBB47_1456
.LBB47_1451:
	s_mov_b32 s6, -1
                                        ; implicit-def: $vgpr10_vgpr11
	s_branch .LBB47_1462
.LBB47_1452:
	s_and_not1_saveexec_b32 s6, s6
	s_cbranch_execz .LBB47_1437
.LBB47_1453:
	v_cmp_ne_u16_e32 vcc_lo, 0, v1
	s_and_not1_b32 s20, s20, exec_lo
	s_and_b32 s21, vcc_lo, exec_lo
	s_delay_alu instid0(SALU_CYCLE_1)
	s_or_b32 s20, s20, s21
	s_or_b32 exec_lo, exec_lo, s6
	v_mov_b64_e32 v[10:11], 0
	s_and_saveexec_b32 s6, s20
	s_cbranch_execnz .LBB47_1438
	s_branch .LBB47_1439
.LBB47_1454:
	s_mov_b32 s6, -1
                                        ; implicit-def: $vgpr10_vgpr11
	s_branch .LBB47_1459
.LBB47_1455:
	s_mov_b32 s6, -1
                                        ; implicit-def: $vgpr10_vgpr11
.LBB47_1456:
	s_delay_alu instid0(SALU_CYCLE_1)
	s_and_b32 vcc_lo, exec_lo, s6
	s_cbranch_vccz .LBB47_1458
; %bb.1457:
	global_load_u8 v1, v[8:9], off
	s_wait_loadcnt 0x0
	v_lshlrev_b32_e32 v1, 24, v1
	s_delay_alu instid0(VALU_DEP_1) | instskip(NEXT) | instid1(VALU_DEP_1)
	v_and_b32_e32 v3, 0x7f000000, v1
	v_clz_i32_u32_e32 v5, v3
	v_cmp_ne_u32_e32 vcc_lo, 0, v3
	v_add_nc_u32_e32 v10, 0x1000000, v3
	s_delay_alu instid0(VALU_DEP_3) | instskip(NEXT) | instid1(VALU_DEP_1)
	v_min_u32_e32 v5, 32, v5
	v_sub_nc_u32_e64 v5, v5, 4 clamp
	s_delay_alu instid0(VALU_DEP_1) | instskip(NEXT) | instid1(VALU_DEP_1)
	v_dual_lshlrev_b32 v7, v5, v3 :: v_dual_lshlrev_b32 v5, 23, v5
	v_lshrrev_b32_e32 v7, 4, v7
	s_delay_alu instid0(VALU_DEP_1) | instskip(NEXT) | instid1(VALU_DEP_1)
	v_dual_sub_nc_u32 v5, v7, v5 :: v_dual_ashrrev_i32 v7, 8, v10
	v_add_nc_u32_e32 v5, 0x3c000000, v5
	s_delay_alu instid0(VALU_DEP_1) | instskip(NEXT) | instid1(VALU_DEP_1)
	v_and_or_b32 v5, 0x7f800000, v7, v5
	v_cndmask_b32_e32 v3, 0, v5, vcc_lo
	s_delay_alu instid0(VALU_DEP_1) | instskip(NEXT) | instid1(VALU_DEP_1)
	v_and_or_b32 v1, 0x80000000, v1, v3
	v_trunc_f32_e32 v1, v1
	s_delay_alu instid0(VALU_DEP_1) | instskip(SKIP_1) | instid1(VALU_DEP_2)
	v_mul_f32_e64 v3, 0x2f800000, |v1|
	v_ashrrev_i32_e32 v10, 31, v1
	v_floor_f32_e32 v3, v3
	s_delay_alu instid0(VALU_DEP_1) | instskip(SKIP_1) | instid1(VALU_DEP_4)
	v_fma_f32 v5, 0xcf800000, v3, |v1|
	v_cvt_u32_f32_e32 v1, v3
	v_mov_b32_e32 v11, v10
	s_delay_alu instid0(VALU_DEP_3) | instskip(NEXT) | instid1(VALU_DEP_3)
	v_cvt_u32_f32_e32 v3, v5
	v_xor_b32_e32 v13, v1, v10
	s_delay_alu instid0(VALU_DEP_2) | instskip(NEXT) | instid1(VALU_DEP_1)
	v_xor_b32_e32 v12, v3, v10
	v_sub_nc_u64_e32 v[10:11], v[12:13], v[10:11]
.LBB47_1458:
	s_mov_b32 s6, 0
.LBB47_1459:
	s_delay_alu instid0(SALU_CYCLE_1)
	s_and_not1_b32 vcc_lo, exec_lo, s6
	s_cbranch_vccnz .LBB47_1461
; %bb.1460:
	global_load_u8 v1, v[8:9], off
	s_wait_loadcnt 0x0
	v_lshlrev_b32_e32 v3, 25, v1
	v_lshlrev_b16 v1, 8, v1
	s_delay_alu instid0(VALU_DEP_1) | instskip(SKIP_1) | instid1(VALU_DEP_2)
	v_and_or_b32 v7, 0x7f00, v1, 0.5
	v_bfe_i32 v1, v1, 0, 16
	v_add_f32_e32 v7, -0.5, v7
	v_lshrrev_b32_e32 v5, 4, v3
	v_cmp_gt_u32_e32 vcc_lo, 0x8000000, v3
	s_delay_alu instid0(VALU_DEP_2) | instskip(NEXT) | instid1(VALU_DEP_1)
	v_or_b32_e32 v5, 0x70000000, v5
	v_mul_f32_e32 v5, 0x7800000, v5
	s_delay_alu instid0(VALU_DEP_1) | instskip(NEXT) | instid1(VALU_DEP_1)
	v_cndmask_b32_e32 v3, v5, v7, vcc_lo
	v_and_or_b32 v1, 0x80000000, v1, v3
	s_delay_alu instid0(VALU_DEP_1) | instskip(NEXT) | instid1(VALU_DEP_1)
	v_trunc_f32_e32 v1, v1
	v_mul_f32_e64 v3, 0x2f800000, |v1|
	v_ashrrev_i32_e32 v10, 31, v1
	s_delay_alu instid0(VALU_DEP_2) | instskip(NEXT) | instid1(VALU_DEP_2)
	v_floor_f32_e32 v3, v3
	v_mov_b32_e32 v11, v10
	s_delay_alu instid0(VALU_DEP_2) | instskip(SKIP_1) | instid1(VALU_DEP_2)
	v_fma_f32 v5, 0xcf800000, v3, |v1|
	v_cvt_u32_f32_e32 v1, v3
	v_cvt_u32_f32_e32 v3, v5
	s_delay_alu instid0(VALU_DEP_2) | instskip(NEXT) | instid1(VALU_DEP_2)
	v_xor_b32_e32 v13, v1, v10
	v_xor_b32_e32 v12, v3, v10
	s_delay_alu instid0(VALU_DEP_1)
	v_sub_nc_u64_e32 v[10:11], v[12:13], v[10:11]
.LBB47_1461:
	s_mov_b32 s6, 0
	s_mov_b32 s20, -1
.LBB47_1462:
	s_and_not1_b32 vcc_lo, exec_lo, s6
	s_mov_b32 s7, 0
	s_cbranch_vccnz .LBB47_1473
; %bb.1463:
	s_cmp_gt_i32 s19, 14
	s_cbranch_scc0 .LBB47_1466
; %bb.1464:
	s_cmp_eq_u32 s19, 15
	s_cbranch_scc0 .LBB47_1469
; %bb.1465:
	global_load_u16 v1, v[8:9], off
	s_mov_b32 s0, 0
	s_mov_b32 s20, -1
	s_wait_loadcnt 0x0
	v_lshlrev_b32_e32 v1, 16, v1
	s_delay_alu instid0(VALU_DEP_1) | instskip(NEXT) | instid1(VALU_DEP_1)
	v_trunc_f32_e32 v1, v1
	v_mul_f32_e64 v3, 0x2f800000, |v1|
	v_ashrrev_i32_e32 v10, 31, v1
	s_delay_alu instid0(VALU_DEP_2) | instskip(NEXT) | instid1(VALU_DEP_2)
	v_floor_f32_e32 v3, v3
	v_mov_b32_e32 v11, v10
	s_delay_alu instid0(VALU_DEP_2) | instskip(SKIP_1) | instid1(VALU_DEP_2)
	v_fma_f32 v5, 0xcf800000, v3, |v1|
	v_cvt_u32_f32_e32 v1, v3
	v_cvt_u32_f32_e32 v3, v5
	s_delay_alu instid0(VALU_DEP_2) | instskip(NEXT) | instid1(VALU_DEP_2)
	v_xor_b32_e32 v13, v1, v10
	v_xor_b32_e32 v12, v3, v10
	s_delay_alu instid0(VALU_DEP_1)
	v_sub_nc_u64_e32 v[10:11], v[12:13], v[10:11]
	s_branch .LBB47_1470
.LBB47_1466:
	s_mov_b32 s6, -1
                                        ; implicit-def: $vgpr10_vgpr11
	s_branch .LBB47_1471
.LBB47_1467:
	s_and_not1_saveexec_b32 s6, s6
	s_cbranch_execz .LBB47_1448
.LBB47_1468:
	v_cmp_ne_u16_e32 vcc_lo, 0, v1
	s_and_not1_b32 s7, s7, exec_lo
	s_and_b32 s20, vcc_lo, exec_lo
	s_delay_alu instid0(SALU_CYCLE_1)
	s_or_b32 s7, s7, s20
	s_or_b32 exec_lo, exec_lo, s6
	v_mov_b64_e32 v[10:11], 0
	s_and_saveexec_b32 s6, s7
	s_cbranch_execnz .LBB47_1449
	s_branch .LBB47_1450
.LBB47_1469:
	s_mov_b32 s0, -1
                                        ; implicit-def: $vgpr10_vgpr11
.LBB47_1470:
	s_mov_b32 s6, 0
.LBB47_1471:
	s_delay_alu instid0(SALU_CYCLE_1)
	s_and_b32 vcc_lo, exec_lo, s6
	s_cbranch_vccz .LBB47_1473
; %bb.1472:
	s_cmp_lg_u32 s19, 11
	s_mov_b32 s7, -1
	s_cselect_b32 s0, -1, 0
.LBB47_1473:
	s_delay_alu instid0(SALU_CYCLE_1)
	s_and_b32 vcc_lo, exec_lo, s0
	s_mov_b32 s6, s17
	s_cbranch_vccnz .LBB47_1896
; %bb.1474:
	s_and_not1_b32 vcc_lo, exec_lo, s7
	s_cbranch_vccnz .LBB47_1476
.LBB47_1475:
	global_load_u8 v1, v[8:9], off
	s_mov_b32 s0, 0
	s_mov_b32 s20, -1
	s_wait_loadcnt 0x1
	v_mov_b32_e32 v11, s0
	s_wait_loadcnt 0x0
	v_cmp_ne_u16_e32 vcc_lo, 0, v1
	v_cndmask_b32_e64 v10, 0, 1, vcc_lo
.LBB47_1476:
	s_mov_b32 s0, 0
.LBB47_1477:
	s_delay_alu instid0(SALU_CYCLE_1)
	s_and_b32 vcc_lo, exec_lo, s0
	s_cbranch_vccz .LBB47_1526
; %bb.1478:
	s_cmp_lt_i32 s19, 5
	s_cbranch_scc1 .LBB47_1483
; %bb.1479:
	s_cmp_lt_i32 s19, 8
	s_cbranch_scc1 .LBB47_1484
; %bb.1480:
	s_cmp_lt_i32 s19, 9
	s_cbranch_scc1 .LBB47_1485
; %bb.1481:
	s_cmp_gt_i32 s19, 9
	s_cbranch_scc0 .LBB47_1486
; %bb.1482:
	s_wait_loadcnt 0x0
	global_load_b64 v[10:11], v[8:9], off
	s_mov_b32 s0, 0
	s_wait_loadcnt 0x0
	v_trunc_f64_e32 v[10:11], v[10:11]
	s_delay_alu instid0(VALU_DEP_1) | instskip(NEXT) | instid1(VALU_DEP_1)
	v_ldexp_f64 v[12:13], v[10:11], 0xffffffe0
	v_floor_f64_e32 v[12:13], v[12:13]
	s_delay_alu instid0(VALU_DEP_1) | instskip(SKIP_1) | instid1(VALU_DEP_2)
	v_fmamk_f64 v[14:15], v[12:13], 0xc1f00000, v[10:11]
	v_cvt_i32_f64_e32 v11, v[12:13]
	v_cvt_u32_f64_e32 v10, v[14:15]
	s_branch .LBB47_1487
.LBB47_1483:
	s_mov_b32 s0, -1
                                        ; implicit-def: $vgpr10_vgpr11
	s_branch .LBB47_1505
.LBB47_1484:
	s_mov_b32 s0, -1
                                        ; implicit-def: $vgpr10_vgpr11
	s_branch .LBB47_1493
.LBB47_1485:
	s_mov_b32 s0, -1
                                        ; implicit-def: $vgpr10_vgpr11
	s_branch .LBB47_1490
.LBB47_1486:
	s_mov_b32 s0, -1
                                        ; implicit-def: $vgpr10_vgpr11
.LBB47_1487:
	s_delay_alu instid0(SALU_CYCLE_1)
	s_and_not1_b32 vcc_lo, exec_lo, s0
	s_cbranch_vccnz .LBB47_1489
; %bb.1488:
	global_load_b32 v1, v[8:9], off
	s_wait_loadcnt 0x0
	v_trunc_f32_e32 v1, v1
	s_delay_alu instid0(VALU_DEP_1) | instskip(SKIP_1) | instid1(VALU_DEP_2)
	v_mul_f32_e64 v3, 0x2f800000, |v1|
	v_ashrrev_i32_e32 v10, 31, v1
	v_floor_f32_e32 v3, v3
	s_delay_alu instid0(VALU_DEP_1) | instskip(SKIP_1) | instid1(VALU_DEP_4)
	v_fma_f32 v5, 0xcf800000, v3, |v1|
	v_cvt_u32_f32_e32 v1, v3
	v_mov_b32_e32 v11, v10
	s_delay_alu instid0(VALU_DEP_3) | instskip(NEXT) | instid1(VALU_DEP_3)
	v_cvt_u32_f32_e32 v3, v5
	v_xor_b32_e32 v13, v1, v10
	s_delay_alu instid0(VALU_DEP_2) | instskip(NEXT) | instid1(VALU_DEP_1)
	v_xor_b32_e32 v12, v3, v10
	v_sub_nc_u64_e32 v[10:11], v[12:13], v[10:11]
.LBB47_1489:
	s_mov_b32 s0, 0
.LBB47_1490:
	s_delay_alu instid0(SALU_CYCLE_1)
	s_and_not1_b32 vcc_lo, exec_lo, s0
	s_cbranch_vccnz .LBB47_1492
; %bb.1491:
	global_load_b32 v1, v[8:9], off
	s_wait_loadcnt 0x0
	v_cvt_f32_f16_e32 v1, v1
	s_delay_alu instid0(VALU_DEP_1) | instskip(NEXT) | instid1(VALU_DEP_1)
	v_cvt_i32_f32_e32 v10, v1
	v_ashrrev_i32_e32 v11, 31, v10
.LBB47_1492:
	s_mov_b32 s0, 0
.LBB47_1493:
	s_delay_alu instid0(SALU_CYCLE_1)
	s_and_not1_b32 vcc_lo, exec_lo, s0
	s_cbranch_vccnz .LBB47_1504
; %bb.1494:
	s_cmp_lt_i32 s19, 6
	s_cbranch_scc1 .LBB47_1497
; %bb.1495:
	s_cmp_gt_i32 s19, 6
	s_cbranch_scc0 .LBB47_1498
; %bb.1496:
	s_wait_loadcnt 0x0
	global_load_b64 v[10:11], v[8:9], off
	s_mov_b32 s0, 0
	s_wait_loadcnt 0x0
	v_trunc_f64_e32 v[10:11], v[10:11]
	s_delay_alu instid0(VALU_DEP_1) | instskip(NEXT) | instid1(VALU_DEP_1)
	v_ldexp_f64 v[12:13], v[10:11], 0xffffffe0
	v_floor_f64_e32 v[12:13], v[12:13]
	s_delay_alu instid0(VALU_DEP_1) | instskip(SKIP_1) | instid1(VALU_DEP_2)
	v_fmamk_f64 v[14:15], v[12:13], 0xc1f00000, v[10:11]
	v_cvt_i32_f64_e32 v11, v[12:13]
	v_cvt_u32_f64_e32 v10, v[14:15]
	s_branch .LBB47_1499
.LBB47_1497:
	s_mov_b32 s0, -1
                                        ; implicit-def: $vgpr10_vgpr11
	s_branch .LBB47_1502
.LBB47_1498:
	s_mov_b32 s0, -1
                                        ; implicit-def: $vgpr10_vgpr11
.LBB47_1499:
	s_delay_alu instid0(SALU_CYCLE_1)
	s_and_not1_b32 vcc_lo, exec_lo, s0
	s_cbranch_vccnz .LBB47_1501
; %bb.1500:
	global_load_b32 v1, v[8:9], off
	s_wait_loadcnt 0x0
	v_trunc_f32_e32 v1, v1
	s_delay_alu instid0(VALU_DEP_1) | instskip(SKIP_1) | instid1(VALU_DEP_2)
	v_mul_f32_e64 v3, 0x2f800000, |v1|
	v_ashrrev_i32_e32 v10, 31, v1
	v_floor_f32_e32 v3, v3
	s_delay_alu instid0(VALU_DEP_1) | instskip(SKIP_1) | instid1(VALU_DEP_4)
	v_fma_f32 v5, 0xcf800000, v3, |v1|
	v_cvt_u32_f32_e32 v1, v3
	v_mov_b32_e32 v11, v10
	s_delay_alu instid0(VALU_DEP_3) | instskip(NEXT) | instid1(VALU_DEP_3)
	v_cvt_u32_f32_e32 v3, v5
	v_xor_b32_e32 v13, v1, v10
	s_delay_alu instid0(VALU_DEP_2) | instskip(NEXT) | instid1(VALU_DEP_1)
	v_xor_b32_e32 v12, v3, v10
	v_sub_nc_u64_e32 v[10:11], v[12:13], v[10:11]
.LBB47_1501:
	s_mov_b32 s0, 0
.LBB47_1502:
	s_delay_alu instid0(SALU_CYCLE_1)
	s_and_not1_b32 vcc_lo, exec_lo, s0
	s_cbranch_vccnz .LBB47_1504
; %bb.1503:
	global_load_u16 v1, v[8:9], off
	s_wait_loadcnt 0x0
	v_cvt_f32_f16_e32 v1, v1
	s_delay_alu instid0(VALU_DEP_1) | instskip(NEXT) | instid1(VALU_DEP_1)
	v_cvt_i32_f32_e32 v10, v1
	v_ashrrev_i32_e32 v11, 31, v10
.LBB47_1504:
	s_mov_b32 s0, 0
.LBB47_1505:
	s_delay_alu instid0(SALU_CYCLE_1)
	s_and_not1_b32 vcc_lo, exec_lo, s0
	s_cbranch_vccnz .LBB47_1525
; %bb.1506:
	s_cmp_lt_i32 s19, 2
	s_cbranch_scc1 .LBB47_1510
; %bb.1507:
	s_cmp_lt_i32 s19, 3
	s_cbranch_scc1 .LBB47_1511
; %bb.1508:
	s_cmp_gt_i32 s19, 3
	s_cbranch_scc0 .LBB47_1512
; %bb.1509:
	s_wait_loadcnt 0x0
	global_load_b64 v[10:11], v[8:9], off
	s_mov_b32 s0, 0
	s_branch .LBB47_1513
.LBB47_1510:
	s_mov_b32 s0, -1
                                        ; implicit-def: $vgpr10_vgpr11
	s_branch .LBB47_1519
.LBB47_1511:
	s_mov_b32 s0, -1
                                        ; implicit-def: $vgpr10_vgpr11
	s_branch .LBB47_1516
.LBB47_1512:
	s_mov_b32 s0, -1
                                        ; implicit-def: $vgpr10_vgpr11
.LBB47_1513:
	s_delay_alu instid0(SALU_CYCLE_1)
	s_and_not1_b32 vcc_lo, exec_lo, s0
	s_cbranch_vccnz .LBB47_1515
; %bb.1514:
	s_wait_loadcnt 0x0
	global_load_b32 v10, v[8:9], off
	s_wait_loadcnt 0x0
	v_ashrrev_i32_e32 v11, 31, v10
.LBB47_1515:
	s_mov_b32 s0, 0
.LBB47_1516:
	s_delay_alu instid0(SALU_CYCLE_1)
	s_and_not1_b32 vcc_lo, exec_lo, s0
	s_cbranch_vccnz .LBB47_1518
; %bb.1517:
	global_load_u16 v1, v[8:9], off
	s_wait_loadcnt 0x0
	v_bfe_i32 v10, v1, 0, 16
	s_delay_alu instid0(VALU_DEP_1)
	v_ashrrev_i32_e32 v11, 31, v10
.LBB47_1518:
	s_mov_b32 s0, 0
.LBB47_1519:
	s_delay_alu instid0(SALU_CYCLE_1)
	s_and_not1_b32 vcc_lo, exec_lo, s0
	s_cbranch_vccnz .LBB47_1525
; %bb.1520:
	s_cmp_gt_i32 s19, 0
	s_mov_b32 s0, 0
	s_cbranch_scc0 .LBB47_1522
; %bb.1521:
	global_load_i8 v1, v[8:9], off
	s_wait_loadcnt 0x0
	v_bfe_i32 v10, v1, 0, 16
	s_delay_alu instid0(VALU_DEP_1)
	v_ashrrev_i32_e32 v11, 31, v10
	s_branch .LBB47_1523
.LBB47_1522:
	s_mov_b32 s0, -1
                                        ; implicit-def: $vgpr10_vgpr11
.LBB47_1523:
	s_delay_alu instid0(SALU_CYCLE_1)
	s_and_not1_b32 vcc_lo, exec_lo, s0
	s_cbranch_vccnz .LBB47_1525
; %bb.1524:
	global_load_u8 v1, v[8:9], off
	s_mov_b32 s0, 0
	s_wait_loadcnt 0x1
	v_mov_b32_e32 v11, s0
	s_wait_loadcnt 0x0
	v_and_b32_e32 v10, 0xffff, v1
.LBB47_1525:
	s_mov_b32 s20, -1
.LBB47_1526:
	s_delay_alu instid0(SALU_CYCLE_1)
	s_and_not1_b32 vcc_lo, exec_lo, s20
	s_cbranch_vccnz .LBB47_1577
; %bb.1527:
	s_wait_loadcnt 0x0
	s_delay_alu instid0(VALU_DEP_1) | instskip(SKIP_4) | instid1(SALU_CYCLE_1)
	v_cmp_gt_i64_e32 vcc_lo, s[8:9], v[10:11]
	v_cmp_le_i64_e64 s0, s[10:11], v[10:11]
	s_or_b32 s0, vcc_lo, s0
	s_wait_xcnt 0x0
	s_and_saveexec_b32 s7, s0
	s_xor_b32 s0, exec_lo, s7
	s_cbranch_execnz .LBB47_1904
.LBB47_1528:
	s_or_saveexec_b32 s7, s0
	s_mov_b32 s8, 0
	s_mov_b32 s9, 0
                                        ; implicit-def: $vgpr14_vgpr15
                                        ; implicit-def: $sgpr0
	s_xor_b32 exec_lo, exec_lo, s7
	s_cbranch_execz .LBB47_1845
; %bb.1529:
	s_load_b32 s0, s[2:3], 0x168
	v_mov_b32_e32 v7, 0
	s_delay_alu instid0(VALU_DEP_1) | instskip(SKIP_2) | instid1(SALU_CYCLE_1)
	v_add_nc_u64_e32 v[6:7], s[4:5], v[6:7]
	s_wait_kmcnt 0x0
	s_and_b32 s0, s0, 0xff
	s_cmp_lt_i32 s0, 11
	s_cbranch_scc1 .LBB47_1578
; %bb.1530:
	s_and_b32 s2, 0xffff, s0
	s_mov_b32 s10, -1
	s_cmp_gt_i32 s2, 25
	s_mov_b32 s3, 0
	s_cbranch_scc0 .LBB47_1555
; %bb.1531:
	s_cmp_gt_i32 s2, 28
	s_cbranch_scc0 .LBB47_1544
; %bb.1532:
	s_cmp_gt_i32 s2, 43
	;; [unrolled: 3-line block ×3, first 2 shown]
	s_cbranch_scc0 .LBB47_1536
; %bb.1534:
	s_mov_b32 s3, -1
	s_mov_b32 s10, 0
	s_cmp_eq_u32 s2, 46
	s_cbranch_scc0 .LBB47_1536
; %bb.1535:
	v_mov_b32_e32 v1, 0
	s_mov_b32 s3, 0
	s_mov_b32 s8, -1
	global_store_b32 v[6:7], v1, off
.LBB47_1536:
	s_and_b32 vcc_lo, exec_lo, s10
	s_cbranch_vccz .LBB47_1539
; %bb.1537:
	s_cmp_eq_u32 s2, 44
	s_mov_b32 s3, -1
	s_cbranch_scc0 .LBB47_1539
; %bb.1538:
	s_wait_xcnt 0x0
	v_mov_b32_e32 v1, 0
	s_mov_b32 s3, 0
	s_mov_b32 s8, -1
	global_store_b8 v[6:7], v1, off
.LBB47_1539:
	s_mov_b32 s10, 0
.LBB47_1540:
	s_delay_alu instid0(SALU_CYCLE_1)
	s_and_b32 vcc_lo, exec_lo, s10
	s_cbranch_vccz .LBB47_1543
; %bb.1541:
	s_cmp_eq_u32 s2, 29
	s_mov_b32 s3, -1
	s_cbranch_scc0 .LBB47_1543
; %bb.1542:
	v_mov_b64_e32 v[8:9], 0
	s_mov_b32 s3, 0
	s_mov_b32 s8, -1
	global_store_b64 v[6:7], v[8:9], off
.LBB47_1543:
	s_mov_b32 s10, 0
.LBB47_1544:
	s_delay_alu instid0(SALU_CYCLE_1)
	s_and_b32 vcc_lo, exec_lo, s10
	s_cbranch_vccz .LBB47_1554
; %bb.1545:
	s_cmp_lt_i32 s2, 27
	s_mov_b32 s8, -1
	s_cbranch_scc1 .LBB47_1551
; %bb.1546:
	s_cmp_gt_i32 s2, 27
	s_cbranch_scc0 .LBB47_1548
; %bb.1547:
	s_wait_xcnt 0x0
	v_mov_b32_e32 v1, 0
	s_mov_b32 s8, 0
	global_store_b32 v[6:7], v1, off
.LBB47_1548:
	s_and_not1_b32 vcc_lo, exec_lo, s8
	s_cbranch_vccnz .LBB47_1550
; %bb.1549:
	s_wait_xcnt 0x0
	v_mov_b32_e32 v1, 0
	global_store_b16 v[6:7], v1, off
.LBB47_1550:
	s_mov_b32 s8, 0
.LBB47_1551:
	s_delay_alu instid0(SALU_CYCLE_1)
	s_and_not1_b32 vcc_lo, exec_lo, s8
	s_cbranch_vccnz .LBB47_1553
; %bb.1552:
	s_wait_xcnt 0x0
	v_mov_b32_e32 v1, 0
	global_store_b8 v[6:7], v1, off
.LBB47_1553:
	s_mov_b32 s8, -1
.LBB47_1554:
	s_mov_b32 s10, 0
.LBB47_1555:
	s_delay_alu instid0(SALU_CYCLE_1)
	s_and_b32 vcc_lo, exec_lo, s10
	s_cbranch_vccz .LBB47_1573
; %bb.1556:
	s_cmp_gt_i32 s2, 22
	s_mov_b32 s9, -1
	s_cbranch_scc0 .LBB47_1566
; %bb.1557:
	s_cmp_lt_i32 s2, 24
	s_mov_b32 s8, -1
	s_cbranch_scc1 .LBB47_1563
; %bb.1558:
	s_cmp_gt_i32 s2, 24
	s_cbranch_scc0 .LBB47_1560
; %bb.1559:
	s_wait_xcnt 0x0
	v_mov_b32_e32 v1, 0
	s_mov_b32 s8, 0
	global_store_b8 v[6:7], v1, off
.LBB47_1560:
	s_and_not1_b32 vcc_lo, exec_lo, s8
	s_cbranch_vccnz .LBB47_1562
; %bb.1561:
	s_wait_xcnt 0x0
	v_mov_b32_e32 v1, 0
	global_store_b8 v[6:7], v1, off
.LBB47_1562:
	s_mov_b32 s8, 0
.LBB47_1563:
	s_delay_alu instid0(SALU_CYCLE_1)
	s_and_not1_b32 vcc_lo, exec_lo, s8
	s_cbranch_vccnz .LBB47_1565
; %bb.1564:
	s_wait_xcnt 0x0
	v_mov_b32_e32 v1, 0
	global_store_b8 v[6:7], v1, off
.LBB47_1565:
	s_mov_b32 s9, 0
	s_mov_b32 s8, -1
.LBB47_1566:
	s_and_not1_b32 vcc_lo, exec_lo, s9
	s_mov_b32 s9, 0
	s_cbranch_vccnz .LBB47_1573
; %bb.1567:
	s_cmp_gt_i32 s2, 14
	s_mov_b32 s9, -1
	s_cbranch_scc0 .LBB47_1571
; %bb.1568:
	s_cmp_eq_u32 s2, 15
	s_mov_b32 s3, -1
	s_cbranch_scc0 .LBB47_1570
; %bb.1569:
	s_wait_xcnt 0x0
	v_mov_b32_e32 v1, 0
	s_mov_b32 s3, 0
	s_mov_b32 s8, -1
	global_store_b16 v[6:7], v1, off
.LBB47_1570:
	s_mov_b32 s9, 0
.LBB47_1571:
	s_delay_alu instid0(SALU_CYCLE_1)
	s_and_b32 vcc_lo, exec_lo, s9
	s_mov_b32 s9, 0
	s_cbranch_vccz .LBB47_1573
; %bb.1572:
	s_cmp_lg_u32 s2, 11
	s_mov_b32 s9, -1
	s_cselect_b32 s3, -1, 0
.LBB47_1573:
	s_delay_alu instid0(SALU_CYCLE_1)
	s_and_b32 vcc_lo, exec_lo, s3
	s_mov_b32 s2, s6
	s_cbranch_vccnz .LBB47_1898
; %bb.1574:
	s_and_not1_b32 vcc_lo, exec_lo, s9
	s_cbranch_vccnz .LBB47_1576
.LBB47_1575:
	s_wait_xcnt 0x0
	v_mov_b32_e32 v1, 0
	s_mov_b32 s8, -1
	global_store_b8 v[6:7], v1, off
.LBB47_1576:
	s_mov_b32 s3, 0
	s_branch .LBB47_1579
.LBB47_1577:
	s_mov_b32 s8, 0
	s_mov_b32 s9, 0
                                        ; implicit-def: $vgpr14_vgpr15
                                        ; implicit-def: $sgpr0
	s_branch .LBB47_1846
.LBB47_1578:
	s_mov_b32 s3, -1
	s_mov_b32 s2, s6
.LBB47_1579:
	s_and_b32 vcc_lo, exec_lo, s3
	s_cbranch_vccz .LBB47_1618
; %bb.1580:
	s_and_b32 s3, 0xffff, s0
	s_mov_b32 s8, -1
	s_cmp_lt_i32 s3, 5
	s_cbranch_scc1 .LBB47_1601
; %bb.1581:
	s_cmp_lt_i32 s3, 8
	s_cbranch_scc1 .LBB47_1591
; %bb.1582:
	;; [unrolled: 3-line block ×3, first 2 shown]
	s_cmp_gt_i32 s3, 9
	s_cbranch_scc0 .LBB47_1585
; %bb.1584:
	s_wait_xcnt 0x0
	v_mov_b32_e32 v8, 0
	s_mov_b32 s8, 0
	s_delay_alu instid0(VALU_DEP_1)
	v_dual_mov_b32 v9, v8 :: v_dual_mov_b32 v10, v8
	v_mov_b32_e32 v11, v8
	global_store_b128 v[6:7], v[8:11], off
.LBB47_1585:
	s_and_not1_b32 vcc_lo, exec_lo, s8
	s_cbranch_vccnz .LBB47_1587
; %bb.1586:
	s_wait_xcnt 0x0
	v_mov_b64_e32 v[8:9], 0
	global_store_b64 v[6:7], v[8:9], off
.LBB47_1587:
	s_mov_b32 s8, 0
.LBB47_1588:
	s_delay_alu instid0(SALU_CYCLE_1)
	s_and_not1_b32 vcc_lo, exec_lo, s8
	s_cbranch_vccnz .LBB47_1590
; %bb.1589:
	s_wait_xcnt 0x0
	v_mov_b32_e32 v1, 0
	global_store_b32 v[6:7], v1, off
.LBB47_1590:
	s_mov_b32 s8, 0
.LBB47_1591:
	s_delay_alu instid0(SALU_CYCLE_1)
	s_and_not1_b32 vcc_lo, exec_lo, s8
	s_cbranch_vccnz .LBB47_1600
; %bb.1592:
	s_cmp_lt_i32 s3, 6
	s_mov_b32 s8, -1
	s_cbranch_scc1 .LBB47_1598
; %bb.1593:
	s_cmp_gt_i32 s3, 6
	s_cbranch_scc0 .LBB47_1595
; %bb.1594:
	s_wait_xcnt 0x0
	v_mov_b64_e32 v[8:9], 0
	s_mov_b32 s8, 0
	global_store_b64 v[6:7], v[8:9], off
.LBB47_1595:
	s_and_not1_b32 vcc_lo, exec_lo, s8
	s_cbranch_vccnz .LBB47_1597
; %bb.1596:
	s_wait_xcnt 0x0
	v_mov_b32_e32 v1, 0
	global_store_b32 v[6:7], v1, off
.LBB47_1597:
	s_mov_b32 s8, 0
.LBB47_1598:
	s_delay_alu instid0(SALU_CYCLE_1)
	s_and_not1_b32 vcc_lo, exec_lo, s8
	s_cbranch_vccnz .LBB47_1600
; %bb.1599:
	s_wait_xcnt 0x0
	v_mov_b32_e32 v1, 0
	global_store_b16 v[6:7], v1, off
.LBB47_1600:
	s_mov_b32 s8, 0
.LBB47_1601:
	s_delay_alu instid0(SALU_CYCLE_1)
	s_and_not1_b32 vcc_lo, exec_lo, s8
	s_cbranch_vccnz .LBB47_1617
; %bb.1602:
	s_cmp_lt_i32 s3, 2
	s_mov_b32 s8, -1
	s_cbranch_scc1 .LBB47_1612
; %bb.1603:
	s_cmp_lt_i32 s3, 3
	s_cbranch_scc1 .LBB47_1609
; %bb.1604:
	s_cmp_gt_i32 s3, 3
	s_cbranch_scc0 .LBB47_1606
; %bb.1605:
	s_wait_xcnt 0x0
	v_mov_b64_e32 v[8:9], 0
	s_mov_b32 s8, 0
	global_store_b64 v[6:7], v[8:9], off
.LBB47_1606:
	s_and_not1_b32 vcc_lo, exec_lo, s8
	s_cbranch_vccnz .LBB47_1608
; %bb.1607:
	s_wait_xcnt 0x0
	v_mov_b32_e32 v1, 0
	global_store_b32 v[6:7], v1, off
.LBB47_1608:
	s_mov_b32 s8, 0
.LBB47_1609:
	s_delay_alu instid0(SALU_CYCLE_1)
	s_and_not1_b32 vcc_lo, exec_lo, s8
	s_cbranch_vccnz .LBB47_1611
; %bb.1610:
	s_wait_xcnt 0x0
	v_mov_b32_e32 v1, 0
	global_store_b16 v[6:7], v1, off
.LBB47_1611:
	s_mov_b32 s8, 0
.LBB47_1612:
	s_delay_alu instid0(SALU_CYCLE_1)
	s_and_not1_b32 vcc_lo, exec_lo, s8
	s_cbranch_vccnz .LBB47_1617
; %bb.1613:
	s_cmp_gt_i32 s3, 0
	s_mov_b32 s3, -1
	s_cbranch_scc0 .LBB47_1615
; %bb.1614:
	s_wait_xcnt 0x0
	v_mov_b32_e32 v1, 0
	s_mov_b32 s3, 0
	global_store_b8 v[6:7], v1, off
.LBB47_1615:
	s_and_not1_b32 vcc_lo, exec_lo, s3
	s_cbranch_vccnz .LBB47_1617
; %bb.1616:
	s_wait_xcnt 0x0
	v_mov_b32_e32 v1, 0
	global_store_b8 v[6:7], v1, off
.LBB47_1617:
	s_mov_b32 s8, -1
.LBB47_1618:
	s_delay_alu instid0(SALU_CYCLE_1)
	s_and_not1_b32 vcc_lo, exec_lo, s8
	s_cbranch_vccnz .LBB47_1843
; %bb.1619:
	v_mov_b32_e32 v5, 0
	s_and_b32 s3, 0xffff, s0
	s_delay_alu instid0(SALU_CYCLE_1) | instskip(NEXT) | instid1(VALU_DEP_1)
	s_cmp_lt_i32 s3, 11
	v_add_nc_u64_e32 v[4:5], s[4:5], v[4:5]
	s_cbranch_scc1 .LBB47_1667
; %bb.1620:
	s_mov_b32 s11, -1
	s_mov_b32 s10, 0
	s_cmp_gt_i32 s3, 25
	s_mov_b32 s9, 0
	s_mov_b32 s8, 0
	s_cbranch_scc0 .LBB47_1645
; %bb.1621:
	s_cmp_gt_i32 s3, 28
	s_cbranch_scc0 .LBB47_1634
; %bb.1622:
	s_cmp_gt_i32 s3, 43
	;; [unrolled: 3-line block ×3, first 2 shown]
	s_cbranch_scc0 .LBB47_1626
; %bb.1624:
	s_mov_b32 s8, -1
	s_mov_b32 s11, 0
	s_cmp_eq_u32 s3, 46
	s_cbranch_scc0 .LBB47_1626
; %bb.1625:
	s_wait_xcnt 0x0
	v_mov_b32_e32 v1, 0
	s_mov_b32 s8, 0
	s_mov_b32 s9, -1
	global_store_b32 v[4:5], v1, off
.LBB47_1626:
	s_and_b32 vcc_lo, exec_lo, s11
	s_cbranch_vccz .LBB47_1629
; %bb.1627:
	s_cmp_eq_u32 s3, 44
	s_mov_b32 s8, -1
	s_cbranch_scc0 .LBB47_1629
; %bb.1628:
	s_wait_xcnt 0x0
	v_mov_b32_e32 v1, 0
	s_mov_b32 s8, 0
	s_mov_b32 s9, -1
	global_store_b8 v[4:5], v1, off
.LBB47_1629:
	s_mov_b32 s11, 0
.LBB47_1630:
	s_delay_alu instid0(SALU_CYCLE_1)
	s_and_b32 vcc_lo, exec_lo, s11
	s_cbranch_vccz .LBB47_1633
; %bb.1631:
	s_cmp_eq_u32 s3, 29
	s_mov_b32 s8, -1
	s_cbranch_scc0 .LBB47_1633
; %bb.1632:
	s_wait_xcnt 0x0
	v_mov_b64_e32 v[6:7], 0
	s_mov_b32 s8, 0
	s_mov_b32 s9, -1
	global_store_b64 v[4:5], v[6:7], off
.LBB47_1633:
	s_mov_b32 s11, 0
.LBB47_1634:
	s_delay_alu instid0(SALU_CYCLE_1)
	s_and_b32 vcc_lo, exec_lo, s11
	s_cbranch_vccz .LBB47_1644
; %bb.1635:
	s_cmp_lt_i32 s3, 27
	s_mov_b32 s9, -1
	s_cbranch_scc1 .LBB47_1641
; %bb.1636:
	s_cmp_gt_i32 s3, 27
	s_cbranch_scc0 .LBB47_1638
; %bb.1637:
	s_wait_xcnt 0x0
	v_mov_b32_e32 v1, 0
	s_mov_b32 s9, 0
	global_store_b32 v[4:5], v1, off
.LBB47_1638:
	s_and_not1_b32 vcc_lo, exec_lo, s9
	s_cbranch_vccnz .LBB47_1640
; %bb.1639:
	s_wait_xcnt 0x0
	v_mov_b32_e32 v1, 0
	global_store_b16 v[4:5], v1, off
.LBB47_1640:
	s_mov_b32 s9, 0
.LBB47_1641:
	s_delay_alu instid0(SALU_CYCLE_1)
	s_and_not1_b32 vcc_lo, exec_lo, s9
	s_cbranch_vccnz .LBB47_1643
; %bb.1642:
	s_wait_xcnt 0x0
	v_mov_b32_e32 v1, 0
	global_store_b8 v[4:5], v1, off
.LBB47_1643:
	s_mov_b32 s9, -1
.LBB47_1644:
	s_mov_b32 s11, 0
.LBB47_1645:
	s_delay_alu instid0(SALU_CYCLE_1)
	s_and_b32 vcc_lo, exec_lo, s11
	s_cbranch_vccz .LBB47_1663
; %bb.1646:
	s_cmp_gt_i32 s3, 22
	s_mov_b32 s10, -1
	s_cbranch_scc0 .LBB47_1656
; %bb.1647:
	s_cmp_lt_i32 s3, 24
	s_mov_b32 s9, -1
	s_cbranch_scc1 .LBB47_1653
; %bb.1648:
	s_cmp_gt_i32 s3, 24
	s_cbranch_scc0 .LBB47_1650
; %bb.1649:
	s_wait_xcnt 0x0
	v_mov_b32_e32 v1, 0
	s_mov_b32 s9, 0
	global_store_b8 v[4:5], v1, off
.LBB47_1650:
	s_and_not1_b32 vcc_lo, exec_lo, s9
	s_cbranch_vccnz .LBB47_1652
; %bb.1651:
	s_wait_xcnt 0x0
	v_mov_b32_e32 v1, 0
	global_store_b8 v[4:5], v1, off
.LBB47_1652:
	s_mov_b32 s9, 0
.LBB47_1653:
	s_delay_alu instid0(SALU_CYCLE_1)
	s_and_not1_b32 vcc_lo, exec_lo, s9
	s_cbranch_vccnz .LBB47_1655
; %bb.1654:
	s_wait_xcnt 0x0
	v_mov_b32_e32 v1, 0
	global_store_b8 v[4:5], v1, off
.LBB47_1655:
	s_mov_b32 s10, 0
	s_mov_b32 s9, -1
.LBB47_1656:
	s_and_not1_b32 vcc_lo, exec_lo, s10
	s_mov_b32 s10, 0
	s_cbranch_vccnz .LBB47_1663
; %bb.1657:
	s_cmp_gt_i32 s3, 14
	s_mov_b32 s10, -1
	s_cbranch_scc0 .LBB47_1661
; %bb.1658:
	s_cmp_eq_u32 s3, 15
	s_mov_b32 s8, -1
	s_cbranch_scc0 .LBB47_1660
; %bb.1659:
	s_wait_xcnt 0x0
	v_mov_b32_e32 v1, 0
	s_mov_b32 s8, 0
	s_mov_b32 s9, -1
	global_store_b16 v[4:5], v1, off
.LBB47_1660:
	s_mov_b32 s10, 0
.LBB47_1661:
	s_delay_alu instid0(SALU_CYCLE_1)
	s_and_b32 vcc_lo, exec_lo, s10
	s_mov_b32 s10, 0
	s_cbranch_vccz .LBB47_1663
; %bb.1662:
	s_cmp_lg_u32 s3, 11
	s_mov_b32 s10, -1
	s_cselect_b32 s8, -1, 0
.LBB47_1663:
	s_delay_alu instid0(SALU_CYCLE_1)
	s_and_b32 vcc_lo, exec_lo, s8
	s_cbranch_vccnz .LBB47_1900
; %bb.1664:
	s_and_not1_b32 vcc_lo, exec_lo, s10
	s_cbranch_vccnz .LBB47_1666
.LBB47_1665:
	s_wait_xcnt 0x0
	v_mov_b32_e32 v1, 0
	s_mov_b32 s9, -1
	global_store_b8 v[4:5], v1, off
.LBB47_1666:
	s_mov_b32 s8, 0
	s_branch .LBB47_1668
.LBB47_1667:
	s_mov_b32 s8, -1
	s_mov_b32 s9, 0
.LBB47_1668:
	s_and_b32 vcc_lo, exec_lo, s8
	s_cbranch_vccz .LBB47_1707
; %bb.1669:
	s_cmp_lt_i32 s3, 5
	s_mov_b32 s8, -1
	s_cbranch_scc1 .LBB47_1690
; %bb.1670:
	s_cmp_lt_i32 s3, 8
	s_cbranch_scc1 .LBB47_1680
; %bb.1671:
	s_cmp_lt_i32 s3, 9
	s_cbranch_scc1 .LBB47_1677
; %bb.1672:
	s_cmp_gt_i32 s3, 9
	s_cbranch_scc0 .LBB47_1674
; %bb.1673:
	s_wait_xcnt 0x0
	v_mov_b32_e32 v6, 0
	s_mov_b32 s8, 0
	s_delay_alu instid0(VALU_DEP_1)
	v_dual_mov_b32 v7, v6 :: v_dual_mov_b32 v8, v6
	v_mov_b32_e32 v9, v6
	global_store_b128 v[4:5], v[6:9], off
.LBB47_1674:
	s_and_not1_b32 vcc_lo, exec_lo, s8
	s_cbranch_vccnz .LBB47_1676
; %bb.1675:
	s_wait_xcnt 0x0
	v_mov_b64_e32 v[6:7], 0
	global_store_b64 v[4:5], v[6:7], off
.LBB47_1676:
	s_mov_b32 s8, 0
.LBB47_1677:
	s_delay_alu instid0(SALU_CYCLE_1)
	s_and_not1_b32 vcc_lo, exec_lo, s8
	s_cbranch_vccnz .LBB47_1679
; %bb.1678:
	s_wait_xcnt 0x0
	v_mov_b32_e32 v1, 0
	global_store_b32 v[4:5], v1, off
.LBB47_1679:
	s_mov_b32 s8, 0
.LBB47_1680:
	s_delay_alu instid0(SALU_CYCLE_1)
	s_and_not1_b32 vcc_lo, exec_lo, s8
	s_cbranch_vccnz .LBB47_1689
; %bb.1681:
	s_cmp_lt_i32 s3, 6
	s_mov_b32 s8, -1
	s_cbranch_scc1 .LBB47_1687
; %bb.1682:
	s_cmp_gt_i32 s3, 6
	s_cbranch_scc0 .LBB47_1684
; %bb.1683:
	s_wait_xcnt 0x0
	v_mov_b64_e32 v[6:7], 0
	s_mov_b32 s8, 0
	global_store_b64 v[4:5], v[6:7], off
.LBB47_1684:
	s_and_not1_b32 vcc_lo, exec_lo, s8
	s_cbranch_vccnz .LBB47_1686
; %bb.1685:
	s_wait_xcnt 0x0
	v_mov_b32_e32 v1, 0
	global_store_b32 v[4:5], v1, off
.LBB47_1686:
	s_mov_b32 s8, 0
.LBB47_1687:
	s_delay_alu instid0(SALU_CYCLE_1)
	s_and_not1_b32 vcc_lo, exec_lo, s8
	s_cbranch_vccnz .LBB47_1689
; %bb.1688:
	s_wait_xcnt 0x0
	v_mov_b32_e32 v1, 0
	global_store_b16 v[4:5], v1, off
.LBB47_1689:
	s_mov_b32 s8, 0
.LBB47_1690:
	s_delay_alu instid0(SALU_CYCLE_1)
	s_and_not1_b32 vcc_lo, exec_lo, s8
	s_cbranch_vccnz .LBB47_1706
; %bb.1691:
	s_cmp_lt_i32 s3, 2
	s_mov_b32 s8, -1
	s_cbranch_scc1 .LBB47_1701
; %bb.1692:
	s_cmp_lt_i32 s3, 3
	s_cbranch_scc1 .LBB47_1698
; %bb.1693:
	s_cmp_gt_i32 s3, 3
	s_cbranch_scc0 .LBB47_1695
; %bb.1694:
	s_wait_xcnt 0x0
	v_mov_b64_e32 v[6:7], 0
	s_mov_b32 s8, 0
	global_store_b64 v[4:5], v[6:7], off
.LBB47_1695:
	s_and_not1_b32 vcc_lo, exec_lo, s8
	s_cbranch_vccnz .LBB47_1697
; %bb.1696:
	s_wait_xcnt 0x0
	v_mov_b32_e32 v1, 0
	global_store_b32 v[4:5], v1, off
.LBB47_1697:
	s_mov_b32 s8, 0
.LBB47_1698:
	s_delay_alu instid0(SALU_CYCLE_1)
	s_and_not1_b32 vcc_lo, exec_lo, s8
	s_cbranch_vccnz .LBB47_1700
; %bb.1699:
	s_wait_xcnt 0x0
	v_mov_b32_e32 v1, 0
	global_store_b16 v[4:5], v1, off
.LBB47_1700:
	s_mov_b32 s8, 0
.LBB47_1701:
	s_delay_alu instid0(SALU_CYCLE_1)
	s_and_not1_b32 vcc_lo, exec_lo, s8
	s_cbranch_vccnz .LBB47_1706
; %bb.1702:
	s_cmp_gt_i32 s3, 0
	s_mov_b32 s8, -1
	s_cbranch_scc0 .LBB47_1704
; %bb.1703:
	s_wait_xcnt 0x0
	v_mov_b32_e32 v1, 0
	s_mov_b32 s8, 0
	global_store_b8 v[4:5], v1, off
.LBB47_1704:
	s_and_not1_b32 vcc_lo, exec_lo, s8
	s_cbranch_vccnz .LBB47_1706
; %bb.1705:
	s_wait_xcnt 0x0
	v_mov_b32_e32 v1, 0
	global_store_b8 v[4:5], v1, off
.LBB47_1706:
	s_mov_b32 s9, -1
.LBB47_1707:
	s_delay_alu instid0(SALU_CYCLE_1)
	s_and_not1_b32 vcc_lo, exec_lo, s9
	s_cbranch_vccnz .LBB47_1843
; %bb.1708:
	v_mov_b32_e32 v3, 0
	s_cmp_lt_i32 s3, 11
	s_delay_alu instid0(VALU_DEP_1)
	v_add_nc_u64_e32 v[2:3], s[4:5], v[2:3]
	s_cbranch_scc1 .LBB47_1756
; %bb.1709:
	s_mov_b32 s11, -1
	s_mov_b32 s10, 0
	s_cmp_gt_i32 s3, 25
	s_mov_b32 s9, 0
	s_mov_b32 s8, 0
	s_cbranch_scc0 .LBB47_1734
; %bb.1710:
	s_cmp_gt_i32 s3, 28
	s_cbranch_scc0 .LBB47_1723
; %bb.1711:
	s_cmp_gt_i32 s3, 43
	;; [unrolled: 3-line block ×3, first 2 shown]
	s_cbranch_scc0 .LBB47_1715
; %bb.1713:
	s_mov_b32 s8, -1
	s_mov_b32 s11, 0
	s_cmp_eq_u32 s3, 46
	s_cbranch_scc0 .LBB47_1715
; %bb.1714:
	s_wait_xcnt 0x0
	v_mov_b32_e32 v1, 0
	s_mov_b32 s8, 0
	s_mov_b32 s9, -1
	global_store_b32 v[2:3], v1, off
.LBB47_1715:
	s_and_b32 vcc_lo, exec_lo, s11
	s_cbranch_vccz .LBB47_1718
; %bb.1716:
	s_cmp_eq_u32 s3, 44
	s_mov_b32 s8, -1
	s_cbranch_scc0 .LBB47_1718
; %bb.1717:
	s_wait_xcnt 0x0
	v_mov_b32_e32 v1, 0
	s_mov_b32 s8, 0
	s_mov_b32 s9, -1
	global_store_b8 v[2:3], v1, off
.LBB47_1718:
	s_mov_b32 s11, 0
.LBB47_1719:
	s_delay_alu instid0(SALU_CYCLE_1)
	s_and_b32 vcc_lo, exec_lo, s11
	s_cbranch_vccz .LBB47_1722
; %bb.1720:
	s_cmp_eq_u32 s3, 29
	s_mov_b32 s8, -1
	s_cbranch_scc0 .LBB47_1722
; %bb.1721:
	s_wait_xcnt 0x0
	v_mov_b64_e32 v[4:5], 0
	s_mov_b32 s8, 0
	s_mov_b32 s9, -1
	global_store_b64 v[2:3], v[4:5], off
.LBB47_1722:
	s_mov_b32 s11, 0
.LBB47_1723:
	s_delay_alu instid0(SALU_CYCLE_1)
	s_and_b32 vcc_lo, exec_lo, s11
	s_cbranch_vccz .LBB47_1733
; %bb.1724:
	s_cmp_lt_i32 s3, 27
	s_mov_b32 s9, -1
	s_cbranch_scc1 .LBB47_1730
; %bb.1725:
	s_cmp_gt_i32 s3, 27
	s_cbranch_scc0 .LBB47_1727
; %bb.1726:
	s_wait_xcnt 0x0
	v_mov_b32_e32 v1, 0
	s_mov_b32 s9, 0
	global_store_b32 v[2:3], v1, off
.LBB47_1727:
	s_and_not1_b32 vcc_lo, exec_lo, s9
	s_cbranch_vccnz .LBB47_1729
; %bb.1728:
	s_wait_xcnt 0x0
	v_mov_b32_e32 v1, 0
	global_store_b16 v[2:3], v1, off
.LBB47_1729:
	s_mov_b32 s9, 0
.LBB47_1730:
	s_delay_alu instid0(SALU_CYCLE_1)
	s_and_not1_b32 vcc_lo, exec_lo, s9
	s_cbranch_vccnz .LBB47_1732
; %bb.1731:
	s_wait_xcnt 0x0
	v_mov_b32_e32 v1, 0
	global_store_b8 v[2:3], v1, off
.LBB47_1732:
	s_mov_b32 s9, -1
.LBB47_1733:
	s_mov_b32 s11, 0
.LBB47_1734:
	s_delay_alu instid0(SALU_CYCLE_1)
	s_and_b32 vcc_lo, exec_lo, s11
	s_cbranch_vccz .LBB47_1752
; %bb.1735:
	s_cmp_gt_i32 s3, 22
	s_mov_b32 s10, -1
	s_cbranch_scc0 .LBB47_1745
; %bb.1736:
	s_cmp_lt_i32 s3, 24
	s_mov_b32 s9, -1
	s_cbranch_scc1 .LBB47_1742
; %bb.1737:
	s_cmp_gt_i32 s3, 24
	s_cbranch_scc0 .LBB47_1739
; %bb.1738:
	s_wait_xcnt 0x0
	v_mov_b32_e32 v1, 0
	s_mov_b32 s9, 0
	global_store_b8 v[2:3], v1, off
.LBB47_1739:
	s_and_not1_b32 vcc_lo, exec_lo, s9
	s_cbranch_vccnz .LBB47_1741
; %bb.1740:
	s_wait_xcnt 0x0
	v_mov_b32_e32 v1, 0
	global_store_b8 v[2:3], v1, off
.LBB47_1741:
	s_mov_b32 s9, 0
.LBB47_1742:
	s_delay_alu instid0(SALU_CYCLE_1)
	s_and_not1_b32 vcc_lo, exec_lo, s9
	s_cbranch_vccnz .LBB47_1744
; %bb.1743:
	s_wait_xcnt 0x0
	v_mov_b32_e32 v1, 0
	global_store_b8 v[2:3], v1, off
.LBB47_1744:
	s_mov_b32 s10, 0
	s_mov_b32 s9, -1
.LBB47_1745:
	s_and_not1_b32 vcc_lo, exec_lo, s10
	s_mov_b32 s10, 0
	s_cbranch_vccnz .LBB47_1752
; %bb.1746:
	s_cmp_gt_i32 s3, 14
	s_mov_b32 s10, -1
	s_cbranch_scc0 .LBB47_1750
; %bb.1747:
	s_cmp_eq_u32 s3, 15
	s_mov_b32 s8, -1
	s_cbranch_scc0 .LBB47_1749
; %bb.1748:
	s_wait_xcnt 0x0
	v_mov_b32_e32 v1, 0
	s_mov_b32 s8, 0
	s_mov_b32 s9, -1
	global_store_b16 v[2:3], v1, off
.LBB47_1749:
	s_mov_b32 s10, 0
.LBB47_1750:
	s_delay_alu instid0(SALU_CYCLE_1)
	s_and_b32 vcc_lo, exec_lo, s10
	s_mov_b32 s10, 0
	s_cbranch_vccz .LBB47_1752
; %bb.1751:
	s_cmp_lg_u32 s3, 11
	s_mov_b32 s10, -1
	s_cselect_b32 s8, -1, 0
.LBB47_1752:
	s_delay_alu instid0(SALU_CYCLE_1)
	s_and_b32 vcc_lo, exec_lo, s8
	s_cbranch_vccnz .LBB47_1901
; %bb.1753:
	s_and_not1_b32 vcc_lo, exec_lo, s10
	s_cbranch_vccnz .LBB47_1755
.LBB47_1754:
	s_wait_xcnt 0x0
	v_mov_b32_e32 v1, 0
	s_mov_b32 s9, -1
	global_store_b8 v[2:3], v1, off
.LBB47_1755:
	s_mov_b32 s8, 0
	s_branch .LBB47_1757
.LBB47_1756:
	s_mov_b32 s8, -1
	s_mov_b32 s9, 0
.LBB47_1757:
	s_and_b32 vcc_lo, exec_lo, s8
	s_cbranch_vccz .LBB47_1796
; %bb.1758:
	s_cmp_lt_i32 s3, 5
	s_mov_b32 s8, -1
	s_cbranch_scc1 .LBB47_1779
; %bb.1759:
	s_cmp_lt_i32 s3, 8
	s_cbranch_scc1 .LBB47_1769
; %bb.1760:
	s_cmp_lt_i32 s3, 9
	s_cbranch_scc1 .LBB47_1766
; %bb.1761:
	s_cmp_gt_i32 s3, 9
	s_cbranch_scc0 .LBB47_1763
; %bb.1762:
	s_wait_xcnt 0x0
	v_mov_b32_e32 v4, 0
	s_mov_b32 s8, 0
	s_delay_alu instid0(VALU_DEP_1)
	v_dual_mov_b32 v5, v4 :: v_dual_mov_b32 v6, v4
	v_mov_b32_e32 v7, v4
	global_store_b128 v[2:3], v[4:7], off
.LBB47_1763:
	s_and_not1_b32 vcc_lo, exec_lo, s8
	s_cbranch_vccnz .LBB47_1765
; %bb.1764:
	s_wait_xcnt 0x0
	v_mov_b64_e32 v[4:5], 0
	global_store_b64 v[2:3], v[4:5], off
.LBB47_1765:
	s_mov_b32 s8, 0
.LBB47_1766:
	s_delay_alu instid0(SALU_CYCLE_1)
	s_and_not1_b32 vcc_lo, exec_lo, s8
	s_cbranch_vccnz .LBB47_1768
; %bb.1767:
	s_wait_xcnt 0x0
	v_mov_b32_e32 v1, 0
	global_store_b32 v[2:3], v1, off
.LBB47_1768:
	s_mov_b32 s8, 0
.LBB47_1769:
	s_delay_alu instid0(SALU_CYCLE_1)
	s_and_not1_b32 vcc_lo, exec_lo, s8
	s_cbranch_vccnz .LBB47_1778
; %bb.1770:
	s_cmp_lt_i32 s3, 6
	s_mov_b32 s8, -1
	s_cbranch_scc1 .LBB47_1776
; %bb.1771:
	s_cmp_gt_i32 s3, 6
	s_cbranch_scc0 .LBB47_1773
; %bb.1772:
	s_wait_xcnt 0x0
	v_mov_b64_e32 v[4:5], 0
	s_mov_b32 s8, 0
	global_store_b64 v[2:3], v[4:5], off
.LBB47_1773:
	s_and_not1_b32 vcc_lo, exec_lo, s8
	s_cbranch_vccnz .LBB47_1775
; %bb.1774:
	s_wait_xcnt 0x0
	v_mov_b32_e32 v1, 0
	global_store_b32 v[2:3], v1, off
.LBB47_1775:
	s_mov_b32 s8, 0
.LBB47_1776:
	s_delay_alu instid0(SALU_CYCLE_1)
	s_and_not1_b32 vcc_lo, exec_lo, s8
	s_cbranch_vccnz .LBB47_1778
; %bb.1777:
	s_wait_xcnt 0x0
	v_mov_b32_e32 v1, 0
	global_store_b16 v[2:3], v1, off
.LBB47_1778:
	s_mov_b32 s8, 0
.LBB47_1779:
	s_delay_alu instid0(SALU_CYCLE_1)
	s_and_not1_b32 vcc_lo, exec_lo, s8
	s_cbranch_vccnz .LBB47_1795
; %bb.1780:
	s_cmp_lt_i32 s3, 2
	s_mov_b32 s8, -1
	s_cbranch_scc1 .LBB47_1790
; %bb.1781:
	s_cmp_lt_i32 s3, 3
	s_cbranch_scc1 .LBB47_1787
; %bb.1782:
	s_cmp_gt_i32 s3, 3
	s_cbranch_scc0 .LBB47_1784
; %bb.1783:
	s_wait_xcnt 0x0
	v_mov_b64_e32 v[4:5], 0
	s_mov_b32 s8, 0
	global_store_b64 v[2:3], v[4:5], off
.LBB47_1784:
	s_and_not1_b32 vcc_lo, exec_lo, s8
	s_cbranch_vccnz .LBB47_1786
; %bb.1785:
	s_wait_xcnt 0x0
	v_mov_b32_e32 v1, 0
	global_store_b32 v[2:3], v1, off
.LBB47_1786:
	s_mov_b32 s8, 0
.LBB47_1787:
	s_delay_alu instid0(SALU_CYCLE_1)
	s_and_not1_b32 vcc_lo, exec_lo, s8
	s_cbranch_vccnz .LBB47_1789
; %bb.1788:
	s_wait_xcnt 0x0
	v_mov_b32_e32 v1, 0
	global_store_b16 v[2:3], v1, off
.LBB47_1789:
	s_mov_b32 s8, 0
.LBB47_1790:
	s_delay_alu instid0(SALU_CYCLE_1)
	s_and_not1_b32 vcc_lo, exec_lo, s8
	s_cbranch_vccnz .LBB47_1795
; %bb.1791:
	s_cmp_gt_i32 s3, 0
	s_mov_b32 s8, -1
	s_cbranch_scc0 .LBB47_1793
; %bb.1792:
	s_wait_xcnt 0x0
	v_mov_b32_e32 v1, 0
	s_mov_b32 s8, 0
	global_store_b8 v[2:3], v1, off
.LBB47_1793:
	s_and_not1_b32 vcc_lo, exec_lo, s8
	s_cbranch_vccnz .LBB47_1795
; %bb.1794:
	s_wait_xcnt 0x0
	v_mov_b32_e32 v1, 0
	global_store_b8 v[2:3], v1, off
.LBB47_1795:
	s_mov_b32 s9, -1
.LBB47_1796:
	s_delay_alu instid0(SALU_CYCLE_1)
	s_and_not1_b32 vcc_lo, exec_lo, s9
	s_cbranch_vccnz .LBB47_1843
; %bb.1797:
	s_wait_xcnt 0x0
	v_mov_b32_e32 v1, 0
	s_cmp_lt_i32 s3, 11
	s_delay_alu instid0(VALU_DEP_1)
	v_add_nc_u64_e32 v[14:15], s[4:5], v[0:1]
	s_cbranch_scc1 .LBB47_1897
; %bb.1798:
	s_mov_b32 s8, -1
	s_mov_b32 s4, 0
	s_cmp_gt_i32 s3, 25
	s_mov_b32 s5, 0
	s_cbranch_scc0 .LBB47_1823
; %bb.1799:
	s_cmp_gt_i32 s3, 28
	s_cbranch_scc0 .LBB47_1813
; %bb.1800:
	s_cmp_gt_i32 s3, 43
	;; [unrolled: 3-line block ×3, first 2 shown]
	s_cbranch_scc0 .LBB47_1805
; %bb.1802:
	s_cmp_eq_u32 s3, 46
	s_mov_b32 s5, -1
	s_cbranch_scc0 .LBB47_1804
; %bb.1803:
	v_mov_b32_e32 v0, 0
	s_mov_b32 s5, 0
	global_store_b32 v[14:15], v0, off
.LBB47_1804:
	s_mov_b32 s8, 0
.LBB47_1805:
	s_delay_alu instid0(SALU_CYCLE_1)
	s_and_b32 vcc_lo, exec_lo, s8
	s_cbranch_vccz .LBB47_1808
; %bb.1806:
	s_cmp_eq_u32 s3, 44
	s_mov_b32 s5, -1
	s_cbranch_scc0 .LBB47_1808
; %bb.1807:
	s_wait_xcnt 0x0
	v_mov_b32_e32 v0, 0
	s_mov_b32 s5, 0
	global_store_b8 v[14:15], v0, off
.LBB47_1808:
	s_mov_b32 s8, 0
.LBB47_1809:
	s_delay_alu instid0(SALU_CYCLE_1)
	s_and_b32 vcc_lo, exec_lo, s8
	s_cbranch_vccz .LBB47_1812
; %bb.1810:
	s_cmp_eq_u32 s3, 29
	s_mov_b32 s5, -1
	s_cbranch_scc0 .LBB47_1812
; %bb.1811:
	s_wait_xcnt 0x0
	v_mov_b64_e32 v[0:1], 0
	s_mov_b32 s5, 0
	global_store_b64 v[14:15], v[0:1], off
.LBB47_1812:
	s_mov_b32 s8, 0
.LBB47_1813:
	s_delay_alu instid0(SALU_CYCLE_1)
	s_and_b32 vcc_lo, exec_lo, s8
	s_cbranch_vccz .LBB47_1822
; %bb.1814:
	s_cmp_lt_i32 s3, 27
	s_mov_b32 s8, -1
	s_cbranch_scc1 .LBB47_1820
; %bb.1815:
	s_cmp_gt_i32 s3, 27
	s_cbranch_scc0 .LBB47_1817
; %bb.1816:
	s_wait_xcnt 0x0
	v_mov_b32_e32 v0, 0
	s_mov_b32 s8, 0
	global_store_b32 v[14:15], v0, off
.LBB47_1817:
	s_and_not1_b32 vcc_lo, exec_lo, s8
	s_cbranch_vccnz .LBB47_1819
; %bb.1818:
	s_wait_xcnt 0x0
	v_mov_b32_e32 v0, 0
	global_store_b16 v[14:15], v0, off
.LBB47_1819:
	s_mov_b32 s8, 0
.LBB47_1820:
	s_delay_alu instid0(SALU_CYCLE_1)
	s_and_not1_b32 vcc_lo, exec_lo, s8
	s_cbranch_vccnz .LBB47_1822
; %bb.1821:
	s_wait_xcnt 0x0
	v_mov_b32_e32 v0, 0
	global_store_b8 v[14:15], v0, off
.LBB47_1822:
	s_mov_b32 s8, 0
.LBB47_1823:
	s_delay_alu instid0(SALU_CYCLE_1)
	s_and_b32 vcc_lo, exec_lo, s8
	s_cbranch_vccz .LBB47_1841
; %bb.1824:
	s_cmp_gt_i32 s3, 22
	s_mov_b32 s4, -1
	s_cbranch_scc0 .LBB47_1834
; %bb.1825:
	s_cmp_lt_i32 s3, 24
	s_cbranch_scc1 .LBB47_1831
; %bb.1826:
	s_cmp_gt_i32 s3, 24
	s_cbranch_scc0 .LBB47_1828
; %bb.1827:
	s_wait_xcnt 0x0
	v_mov_b32_e32 v0, 0
	s_mov_b32 s4, 0
	global_store_b8 v[14:15], v0, off
.LBB47_1828:
	s_and_not1_b32 vcc_lo, exec_lo, s4
	s_cbranch_vccnz .LBB47_1830
; %bb.1829:
	s_wait_xcnt 0x0
	v_mov_b32_e32 v0, 0
	global_store_b8 v[14:15], v0, off
.LBB47_1830:
	s_mov_b32 s4, 0
.LBB47_1831:
	s_delay_alu instid0(SALU_CYCLE_1)
	s_and_not1_b32 vcc_lo, exec_lo, s4
	s_cbranch_vccnz .LBB47_1833
; %bb.1832:
	s_wait_xcnt 0x0
	v_mov_b32_e32 v0, 0
	global_store_b8 v[14:15], v0, off
.LBB47_1833:
	s_mov_b32 s4, 0
.LBB47_1834:
	s_delay_alu instid0(SALU_CYCLE_1)
	s_and_not1_b32 vcc_lo, exec_lo, s4
	s_mov_b32 s4, 0
	s_cbranch_vccnz .LBB47_1841
; %bb.1835:
	s_cmp_gt_i32 s3, 14
	s_mov_b32 s4, -1
	s_cbranch_scc0 .LBB47_1839
; %bb.1836:
	s_cmp_eq_u32 s3, 15
	s_mov_b32 s5, -1
	s_cbranch_scc0 .LBB47_1838
; %bb.1837:
	s_wait_xcnt 0x0
	v_mov_b32_e32 v0, 0
	s_mov_b32 s5, 0
	global_store_b16 v[14:15], v0, off
.LBB47_1838:
	s_mov_b32 s4, 0
.LBB47_1839:
	s_delay_alu instid0(SALU_CYCLE_1)
	s_and_b32 vcc_lo, exec_lo, s4
	s_mov_b32 s4, 0
	s_cbranch_vccz .LBB47_1841
; %bb.1840:
	s_cmp_lg_u32 s3, 11
	s_mov_b32 s4, -1
	s_cselect_b32 s5, -1, 0
.LBB47_1841:
	s_delay_alu instid0(SALU_CYCLE_1)
	s_and_b32 vcc_lo, exec_lo, s5
	s_cbranch_vccnz .LBB47_1903
.LBB47_1842:
	s_mov_b32 s3, 0
	s_branch .LBB47_1844
.LBB47_1843:
	s_mov_b32 s3, 0
	s_mov_b32 s4, 0
                                        ; implicit-def: $vgpr14_vgpr15
                                        ; implicit-def: $sgpr0
.LBB47_1844:
	s_and_b32 s9, s3, exec_lo
	s_and_not1_b32 s3, s6, exec_lo
	s_and_b32 s2, s2, exec_lo
	s_and_b32 s8, s4, exec_lo
	s_or_b32 s6, s3, s2
.LBB47_1845:
	s_wait_xcnt 0x0
	s_or_b32 exec_lo, exec_lo, s7
.LBB47_1846:
	s_delay_alu instid0(SALU_CYCLE_1)
	s_and_not1_b32 s2, s17, exec_lo
	s_and_b32 s3, s6, exec_lo
	s_and_b32 s21, s9, exec_lo
	;; [unrolled: 1-line block ×3, first 2 shown]
	s_or_b32 s17, s2, s3
.LBB47_1847:
	s_wait_xcnt 0x0
	s_or_b32 exec_lo, exec_lo, s18
.LBB47_1848:
	s_delay_alu instid0(SALU_CYCLE_1)
	s_and_not1_b32 s2, s15, exec_lo
	s_and_b32 s3, s17, exec_lo
	s_and_b32 s18, s21, exec_lo
	;; [unrolled: 1-line block ×3, first 2 shown]
	s_or_b32 s15, s2, s3
.LBB47_1849:
	s_wait_xcnt 0x0
	s_or_b32 exec_lo, exec_lo, s16
.LBB47_1850:
	s_delay_alu instid0(SALU_CYCLE_1)
	s_and_not1_b32 s1, s1, exec_lo
	s_and_b32 s2, s15, exec_lo
	s_and_b32 s18, s18, exec_lo
	s_and_b32 s16, s17, exec_lo
	s_or_b32 s1, s1, s2
.LBB47_1851:
	s_wait_xcnt 0x0
	s_or_b32 exec_lo, exec_lo, s14
.LBB47_1852:
	s_delay_alu instid0(SALU_CYCLE_1)
	s_and_not1_b32 s2, s12, exec_lo
	s_and_b32 s1, s1, exec_lo
	s_and_b32 s4, s18, exec_lo
	;; [unrolled: 1-line block ×3, first 2 shown]
	s_or_b32 s12, s2, s1
.LBB47_1853:
	s_wait_xcnt 0x0
	s_or_b32 exec_lo, exec_lo, s13
	s_and_saveexec_b32 s1, s12
	s_cbranch_execz .LBB47_1856
; %bb.1854:
	; divergent unreachable
	s_or_b32 exec_lo, exec_lo, s1
	s_and_saveexec_b32 s1, s35
	s_delay_alu instid0(SALU_CYCLE_1)
	s_xor_b32 s1, exec_lo, s1
	s_cbranch_execnz .LBB47_1857
.LBB47_1855:
	s_or_b32 exec_lo, exec_lo, s1
	s_and_saveexec_b32 s1, s4
	s_cbranch_execnz .LBB47_1858
	s_branch .LBB47_1895
.LBB47_1856:
	s_or_b32 exec_lo, exec_lo, s1
	s_and_saveexec_b32 s1, s35
	s_delay_alu instid0(SALU_CYCLE_1)
	s_xor_b32 s1, exec_lo, s1
	s_cbranch_execz .LBB47_1855
.LBB47_1857:
	v_mov_b32_e32 v0, 0
	s_wait_loadcnt 0x0
	global_store_b8 v[14:15], v0, off
	s_wait_xcnt 0x0
	s_or_b32 exec_lo, exec_lo, s1
	s_and_saveexec_b32 s1, s4
	s_cbranch_execz .LBB47_1895
.LBB47_1858:
	s_sext_i32_i16 s2, s0
	s_mov_b32 s1, -1
	s_cmp_lt_i32 s2, 5
	s_cbranch_scc1 .LBB47_1879
; %bb.1859:
	s_cmp_lt_i32 s2, 8
	s_cbranch_scc1 .LBB47_1869
; %bb.1860:
	;; [unrolled: 3-line block ×3, first 2 shown]
	s_cmp_gt_i32 s2, 9
	s_cbranch_scc0 .LBB47_1863
; %bb.1862:
	v_mov_b32_e32 v0, 0
	s_mov_b32 s1, 0
	s_delay_alu instid0(VALU_DEP_1)
	v_dual_mov_b32 v1, v0 :: v_dual_mov_b32 v2, v0
	v_mov_b32_e32 v3, v0
	s_wait_loadcnt 0x0
	global_store_b128 v[14:15], v[0:3], off
.LBB47_1863:
	s_and_not1_b32 vcc_lo, exec_lo, s1
	s_cbranch_vccnz .LBB47_1865
; %bb.1864:
	s_wait_xcnt 0x0
	v_mov_b64_e32 v[0:1], 0
	s_wait_loadcnt 0x0
	global_store_b64 v[14:15], v[0:1], off
.LBB47_1865:
	s_mov_b32 s1, 0
.LBB47_1866:
	s_delay_alu instid0(SALU_CYCLE_1)
	s_and_not1_b32 vcc_lo, exec_lo, s1
	s_cbranch_vccnz .LBB47_1868
; %bb.1867:
	s_wait_xcnt 0x0
	v_mov_b32_e32 v0, 0
	s_wait_loadcnt 0x0
	global_store_b32 v[14:15], v0, off
.LBB47_1868:
	s_mov_b32 s1, 0
.LBB47_1869:
	s_delay_alu instid0(SALU_CYCLE_1)
	s_and_not1_b32 vcc_lo, exec_lo, s1
	s_cbranch_vccnz .LBB47_1878
; %bb.1870:
	s_sext_i32_i16 s2, s0
	s_mov_b32 s1, -1
	s_cmp_lt_i32 s2, 6
	s_cbranch_scc1 .LBB47_1876
; %bb.1871:
	s_cmp_gt_i32 s2, 6
	s_cbranch_scc0 .LBB47_1873
; %bb.1872:
	s_wait_xcnt 0x0
	v_mov_b64_e32 v[0:1], 0
	s_mov_b32 s1, 0
	s_wait_loadcnt 0x0
	global_store_b64 v[14:15], v[0:1], off
.LBB47_1873:
	s_and_not1_b32 vcc_lo, exec_lo, s1
	s_cbranch_vccnz .LBB47_1875
; %bb.1874:
	s_wait_xcnt 0x0
	v_mov_b32_e32 v0, 0
	s_wait_loadcnt 0x0
	global_store_b32 v[14:15], v0, off
.LBB47_1875:
	s_mov_b32 s1, 0
.LBB47_1876:
	s_delay_alu instid0(SALU_CYCLE_1)
	s_and_not1_b32 vcc_lo, exec_lo, s1
	s_cbranch_vccnz .LBB47_1878
; %bb.1877:
	s_wait_xcnt 0x0
	v_mov_b32_e32 v0, 0
	s_wait_loadcnt 0x0
	global_store_b16 v[14:15], v0, off
.LBB47_1878:
	s_mov_b32 s1, 0
.LBB47_1879:
	s_delay_alu instid0(SALU_CYCLE_1)
	s_and_not1_b32 vcc_lo, exec_lo, s1
	s_cbranch_vccnz .LBB47_1895
; %bb.1880:
	s_sext_i32_i16 s2, s0
	s_mov_b32 s1, -1
	s_cmp_lt_i32 s2, 2
	s_cbranch_scc1 .LBB47_1890
; %bb.1881:
	s_cmp_lt_i32 s2, 3
	s_cbranch_scc1 .LBB47_1887
; %bb.1882:
	s_cmp_gt_i32 s2, 3
	s_cbranch_scc0 .LBB47_1884
; %bb.1883:
	s_wait_xcnt 0x0
	v_mov_b64_e32 v[0:1], 0
	s_mov_b32 s1, 0
	s_wait_loadcnt 0x0
	global_store_b64 v[14:15], v[0:1], off
.LBB47_1884:
	s_and_not1_b32 vcc_lo, exec_lo, s1
	s_cbranch_vccnz .LBB47_1886
; %bb.1885:
	s_wait_xcnt 0x0
	v_mov_b32_e32 v0, 0
	s_wait_loadcnt 0x0
	global_store_b32 v[14:15], v0, off
.LBB47_1886:
	s_mov_b32 s1, 0
.LBB47_1887:
	s_delay_alu instid0(SALU_CYCLE_1)
	s_and_not1_b32 vcc_lo, exec_lo, s1
	s_cbranch_vccnz .LBB47_1889
; %bb.1888:
	s_wait_xcnt 0x0
	v_mov_b32_e32 v0, 0
	s_wait_loadcnt 0x0
	global_store_b16 v[14:15], v0, off
.LBB47_1889:
	s_mov_b32 s1, 0
.LBB47_1890:
	s_delay_alu instid0(SALU_CYCLE_1)
	s_and_not1_b32 vcc_lo, exec_lo, s1
	s_cbranch_vccnz .LBB47_1895
; %bb.1891:
	s_sext_i32_i16 s0, s0
	s_delay_alu instid0(SALU_CYCLE_1)
	s_cmp_gt_i32 s0, 0
	s_mov_b32 s0, -1
	s_cbranch_scc0 .LBB47_1893
; %bb.1892:
	s_wait_xcnt 0x0
	v_mov_b32_e32 v0, 0
	s_mov_b32 s0, 0
	s_wait_loadcnt 0x0
	global_store_b8 v[14:15], v0, off
.LBB47_1893:
	s_and_not1_b32 vcc_lo, exec_lo, s0
	s_cbranch_vccnz .LBB47_1895
; %bb.1894:
	s_wait_xcnt 0x0
	v_mov_b32_e32 v0, 0
	s_wait_loadcnt 0x0
	global_store_b8 v[14:15], v0, off
	s_endpgm
.LBB47_1895:
	s_endpgm
.LBB47_1896:
	s_or_b32 s6, s17, exec_lo
	s_trap 2
	s_cbranch_execz .LBB47_1475
	s_branch .LBB47_1476
.LBB47_1897:
	s_mov_b32 s4, 0
	s_mov_b32 s3, -1
	s_branch .LBB47_1844
.LBB47_1898:
	s_or_b32 s2, s6, exec_lo
	s_trap 2
	s_cbranch_execz .LBB47_1575
	s_branch .LBB47_1576
.LBB47_1899:
	s_or_b32 s15, s15, exec_lo
	s_trap 2
                                        ; implicit-def: $vgpr10
                                        ; implicit-def: $vgpr8
                                        ; implicit-def: $vgpr0
                                        ; implicit-def: $vgpr6
                                        ; implicit-def: $vgpr4
                                        ; implicit-def: $vgpr2
	s_branch .LBB47_1042
.LBB47_1900:
	s_or_b32 s2, s2, exec_lo
	s_trap 2
	s_cbranch_execz .LBB47_1665
	s_branch .LBB47_1666
.LBB47_1901:
	s_or_b32 s2, s2, exec_lo
	s_trap 2
	s_cbranch_execz .LBB47_1754
	s_branch .LBB47_1755
.LBB47_1902:
	s_or_b32 s17, s17, exec_lo
	s_trap 2
                                        ; implicit-def: $vgpr8
                                        ; implicit-def: $vgpr0
                                        ; implicit-def: $vgpr6
                                        ; implicit-def: $vgpr4
                                        ; implicit-def: $vgpr2
	s_branch .LBB47_1397
.LBB47_1903:
	s_mov_b32 s4, 0
	s_or_b32 s2, s2, exec_lo
	s_trap 2
	s_branch .LBB47_1842
.LBB47_1904:
	s_or_b32 s6, s6, exec_lo
	s_trap 2
                                        ; implicit-def: $vgpr0
                                        ; implicit-def: $vgpr6
                                        ; implicit-def: $vgpr4
                                        ; implicit-def: $vgpr2
	s_branch .LBB47_1528
	.section	.rodata,"a",@progbits
	.p2align	6, 0x0
	.amdhsa_kernel _ZN2at6native32elementwise_kernel_manual_unrollILi128ELi4EZNS0_15gpu_kernel_implIZZZNS0_12_GLOBAL__N_142_validate_compressed_sparse_indices_kernelILNS3_8CDimNameE0ENS3_18CUDAKernelLauncherENS3_14EmptyVecKernelENS3_8DummyVecELm0EEEvRKNS_6TensorESB_lllENKUlvE0_clEvENKUlvE0_clEvEUllE_EEvRNS_18TensorIteratorBaseERKT_EUlibE0_EEviT1_
		.amdhsa_group_segment_fixed_size 0
		.amdhsa_private_segment_fixed_size 0
		.amdhsa_kernarg_size 376
		.amdhsa_user_sgpr_count 2
		.amdhsa_user_sgpr_dispatch_ptr 0
		.amdhsa_user_sgpr_queue_ptr 0
		.amdhsa_user_sgpr_kernarg_segment_ptr 1
		.amdhsa_user_sgpr_dispatch_id 0
		.amdhsa_user_sgpr_kernarg_preload_length 0
		.amdhsa_user_sgpr_kernarg_preload_offset 0
		.amdhsa_user_sgpr_private_segment_size 0
		.amdhsa_wavefront_size32 1
		.amdhsa_uses_dynamic_stack 0
		.amdhsa_enable_private_segment 0
		.amdhsa_system_sgpr_workgroup_id_x 1
		.amdhsa_system_sgpr_workgroup_id_y 0
		.amdhsa_system_sgpr_workgroup_id_z 0
		.amdhsa_system_sgpr_workgroup_info 0
		.amdhsa_system_vgpr_workitem_id 0
		.amdhsa_next_free_vgpr 22
		.amdhsa_next_free_sgpr 76
		.amdhsa_named_barrier_count 0
		.amdhsa_reserve_vcc 1
		.amdhsa_float_round_mode_32 0
		.amdhsa_float_round_mode_16_64 0
		.amdhsa_float_denorm_mode_32 3
		.amdhsa_float_denorm_mode_16_64 3
		.amdhsa_fp16_overflow 0
		.amdhsa_memory_ordered 1
		.amdhsa_forward_progress 1
		.amdhsa_inst_pref_size 255
		.amdhsa_round_robin_scheduling 0
		.amdhsa_exception_fp_ieee_invalid_op 0
		.amdhsa_exception_fp_denorm_src 0
		.amdhsa_exception_fp_ieee_div_zero 0
		.amdhsa_exception_fp_ieee_overflow 0
		.amdhsa_exception_fp_ieee_underflow 0
		.amdhsa_exception_fp_ieee_inexact 0
		.amdhsa_exception_int_div_zero 0
	.end_amdhsa_kernel
	.section	.text._ZN2at6native32elementwise_kernel_manual_unrollILi128ELi4EZNS0_15gpu_kernel_implIZZZNS0_12_GLOBAL__N_142_validate_compressed_sparse_indices_kernelILNS3_8CDimNameE0ENS3_18CUDAKernelLauncherENS3_14EmptyVecKernelENS3_8DummyVecELm0EEEvRKNS_6TensorESB_lllENKUlvE0_clEvENKUlvE0_clEvEUllE_EEvRNS_18TensorIteratorBaseERKT_EUlibE0_EEviT1_,"axG",@progbits,_ZN2at6native32elementwise_kernel_manual_unrollILi128ELi4EZNS0_15gpu_kernel_implIZZZNS0_12_GLOBAL__N_142_validate_compressed_sparse_indices_kernelILNS3_8CDimNameE0ENS3_18CUDAKernelLauncherENS3_14EmptyVecKernelENS3_8DummyVecELm0EEEvRKNS_6TensorESB_lllENKUlvE0_clEvENKUlvE0_clEvEUllE_EEvRNS_18TensorIteratorBaseERKT_EUlibE0_EEviT1_,comdat
.Lfunc_end47:
	.size	_ZN2at6native32elementwise_kernel_manual_unrollILi128ELi4EZNS0_15gpu_kernel_implIZZZNS0_12_GLOBAL__N_142_validate_compressed_sparse_indices_kernelILNS3_8CDimNameE0ENS3_18CUDAKernelLauncherENS3_14EmptyVecKernelENS3_8DummyVecELm0EEEvRKNS_6TensorESB_lllENKUlvE0_clEvENKUlvE0_clEvEUllE_EEvRNS_18TensorIteratorBaseERKT_EUlibE0_EEviT1_, .Lfunc_end47-_ZN2at6native32elementwise_kernel_manual_unrollILi128ELi4EZNS0_15gpu_kernel_implIZZZNS0_12_GLOBAL__N_142_validate_compressed_sparse_indices_kernelILNS3_8CDimNameE0ENS3_18CUDAKernelLauncherENS3_14EmptyVecKernelENS3_8DummyVecELm0EEEvRKNS_6TensorESB_lllENKUlvE0_clEvENKUlvE0_clEvEUllE_EEvRNS_18TensorIteratorBaseERKT_EUlibE0_EEviT1_
                                        ; -- End function
	.set _ZN2at6native32elementwise_kernel_manual_unrollILi128ELi4EZNS0_15gpu_kernel_implIZZZNS0_12_GLOBAL__N_142_validate_compressed_sparse_indices_kernelILNS3_8CDimNameE0ENS3_18CUDAKernelLauncherENS3_14EmptyVecKernelENS3_8DummyVecELm0EEEvRKNS_6TensorESB_lllENKUlvE0_clEvENKUlvE0_clEvEUllE_EEvRNS_18TensorIteratorBaseERKT_EUlibE0_EEviT1_.num_vgpr, 22
	.set _ZN2at6native32elementwise_kernel_manual_unrollILi128ELi4EZNS0_15gpu_kernel_implIZZZNS0_12_GLOBAL__N_142_validate_compressed_sparse_indices_kernelILNS3_8CDimNameE0ENS3_18CUDAKernelLauncherENS3_14EmptyVecKernelENS3_8DummyVecELm0EEEvRKNS_6TensorESB_lllENKUlvE0_clEvENKUlvE0_clEvEUllE_EEvRNS_18TensorIteratorBaseERKT_EUlibE0_EEviT1_.num_agpr, 0
	.set _ZN2at6native32elementwise_kernel_manual_unrollILi128ELi4EZNS0_15gpu_kernel_implIZZZNS0_12_GLOBAL__N_142_validate_compressed_sparse_indices_kernelILNS3_8CDimNameE0ENS3_18CUDAKernelLauncherENS3_14EmptyVecKernelENS3_8DummyVecELm0EEEvRKNS_6TensorESB_lllENKUlvE0_clEvENKUlvE0_clEvEUllE_EEvRNS_18TensorIteratorBaseERKT_EUlibE0_EEviT1_.numbered_sgpr, 76
	.set _ZN2at6native32elementwise_kernel_manual_unrollILi128ELi4EZNS0_15gpu_kernel_implIZZZNS0_12_GLOBAL__N_142_validate_compressed_sparse_indices_kernelILNS3_8CDimNameE0ENS3_18CUDAKernelLauncherENS3_14EmptyVecKernelENS3_8DummyVecELm0EEEvRKNS_6TensorESB_lllENKUlvE0_clEvENKUlvE0_clEvEUllE_EEvRNS_18TensorIteratorBaseERKT_EUlibE0_EEviT1_.num_named_barrier, 0
	.set _ZN2at6native32elementwise_kernel_manual_unrollILi128ELi4EZNS0_15gpu_kernel_implIZZZNS0_12_GLOBAL__N_142_validate_compressed_sparse_indices_kernelILNS3_8CDimNameE0ENS3_18CUDAKernelLauncherENS3_14EmptyVecKernelENS3_8DummyVecELm0EEEvRKNS_6TensorESB_lllENKUlvE0_clEvENKUlvE0_clEvEUllE_EEvRNS_18TensorIteratorBaseERKT_EUlibE0_EEviT1_.private_seg_size, 0
	.set _ZN2at6native32elementwise_kernel_manual_unrollILi128ELi4EZNS0_15gpu_kernel_implIZZZNS0_12_GLOBAL__N_142_validate_compressed_sparse_indices_kernelILNS3_8CDimNameE0ENS3_18CUDAKernelLauncherENS3_14EmptyVecKernelENS3_8DummyVecELm0EEEvRKNS_6TensorESB_lllENKUlvE0_clEvENKUlvE0_clEvEUllE_EEvRNS_18TensorIteratorBaseERKT_EUlibE0_EEviT1_.uses_vcc, 1
	.set _ZN2at6native32elementwise_kernel_manual_unrollILi128ELi4EZNS0_15gpu_kernel_implIZZZNS0_12_GLOBAL__N_142_validate_compressed_sparse_indices_kernelILNS3_8CDimNameE0ENS3_18CUDAKernelLauncherENS3_14EmptyVecKernelENS3_8DummyVecELm0EEEvRKNS_6TensorESB_lllENKUlvE0_clEvENKUlvE0_clEvEUllE_EEvRNS_18TensorIteratorBaseERKT_EUlibE0_EEviT1_.uses_flat_scratch, 0
	.set _ZN2at6native32elementwise_kernel_manual_unrollILi128ELi4EZNS0_15gpu_kernel_implIZZZNS0_12_GLOBAL__N_142_validate_compressed_sparse_indices_kernelILNS3_8CDimNameE0ENS3_18CUDAKernelLauncherENS3_14EmptyVecKernelENS3_8DummyVecELm0EEEvRKNS_6TensorESB_lllENKUlvE0_clEvENKUlvE0_clEvEUllE_EEvRNS_18TensorIteratorBaseERKT_EUlibE0_EEviT1_.has_dyn_sized_stack, 0
	.set _ZN2at6native32elementwise_kernel_manual_unrollILi128ELi4EZNS0_15gpu_kernel_implIZZZNS0_12_GLOBAL__N_142_validate_compressed_sparse_indices_kernelILNS3_8CDimNameE0ENS3_18CUDAKernelLauncherENS3_14EmptyVecKernelENS3_8DummyVecELm0EEEvRKNS_6TensorESB_lllENKUlvE0_clEvENKUlvE0_clEvEUllE_EEvRNS_18TensorIteratorBaseERKT_EUlibE0_EEviT1_.has_recursion, 0
	.set _ZN2at6native32elementwise_kernel_manual_unrollILi128ELi4EZNS0_15gpu_kernel_implIZZZNS0_12_GLOBAL__N_142_validate_compressed_sparse_indices_kernelILNS3_8CDimNameE0ENS3_18CUDAKernelLauncherENS3_14EmptyVecKernelENS3_8DummyVecELm0EEEvRKNS_6TensorESB_lllENKUlvE0_clEvENKUlvE0_clEvEUllE_EEvRNS_18TensorIteratorBaseERKT_EUlibE0_EEviT1_.has_indirect_call, 0
	.section	.AMDGPU.csdata,"",@progbits
; Kernel info:
; codeLenInByte = 40364
; TotalNumSgprs: 78
; NumVgprs: 22
; ScratchSize: 0
; MemoryBound: 1
; FloatMode: 240
; IeeeMode: 1
; LDSByteSize: 0 bytes/workgroup (compile time only)
; SGPRBlocks: 0
; VGPRBlocks: 1
; NumSGPRsForWavesPerEU: 78
; NumVGPRsForWavesPerEU: 22
; NamedBarCnt: 0
; Occupancy: 16
; WaveLimiterHint : 1
; COMPUTE_PGM_RSRC2:SCRATCH_EN: 0
; COMPUTE_PGM_RSRC2:USER_SGPR: 2
; COMPUTE_PGM_RSRC2:TRAP_HANDLER: 0
; COMPUTE_PGM_RSRC2:TGID_X_EN: 1
; COMPUTE_PGM_RSRC2:TGID_Y_EN: 0
; COMPUTE_PGM_RSRC2:TGID_Z_EN: 0
; COMPUTE_PGM_RSRC2:TIDIG_COMP_CNT: 0
	.section	.text._ZN2at6native29vectorized_elementwise_kernelILi16EZZZNS0_12_GLOBAL__N_142_validate_compressed_sparse_indices_kernelILNS2_8CDimNameE0ENS2_18CUDAKernelLauncherENS2_14EmptyVecKernelENS2_8DummyVecELm0EEEvRKNS_6TensorESA_lllENKUlvE1_clEvENKUlvE_clEvEUliiiiiE_St5arrayIPcLm6EEEEviT0_T1_,"axG",@progbits,_ZN2at6native29vectorized_elementwise_kernelILi16EZZZNS0_12_GLOBAL__N_142_validate_compressed_sparse_indices_kernelILNS2_8CDimNameE0ENS2_18CUDAKernelLauncherENS2_14EmptyVecKernelENS2_8DummyVecELm0EEEvRKNS_6TensorESA_lllENKUlvE1_clEvENKUlvE_clEvEUliiiiiE_St5arrayIPcLm6EEEEviT0_T1_,comdat
	.globl	_ZN2at6native29vectorized_elementwise_kernelILi16EZZZNS0_12_GLOBAL__N_142_validate_compressed_sparse_indices_kernelILNS2_8CDimNameE0ENS2_18CUDAKernelLauncherENS2_14EmptyVecKernelENS2_8DummyVecELm0EEEvRKNS_6TensorESA_lllENKUlvE1_clEvENKUlvE_clEvEUliiiiiE_St5arrayIPcLm6EEEEviT0_T1_ ; -- Begin function _ZN2at6native29vectorized_elementwise_kernelILi16EZZZNS0_12_GLOBAL__N_142_validate_compressed_sparse_indices_kernelILNS2_8CDimNameE0ENS2_18CUDAKernelLauncherENS2_14EmptyVecKernelENS2_8DummyVecELm0EEEvRKNS_6TensorESA_lllENKUlvE1_clEvENKUlvE_clEvEUliiiiiE_St5arrayIPcLm6EEEEviT0_T1_
	.p2align	8
	.type	_ZN2at6native29vectorized_elementwise_kernelILi16EZZZNS0_12_GLOBAL__N_142_validate_compressed_sparse_indices_kernelILNS2_8CDimNameE0ENS2_18CUDAKernelLauncherENS2_14EmptyVecKernelENS2_8DummyVecELm0EEEvRKNS_6TensorESA_lllENKUlvE1_clEvENKUlvE_clEvEUliiiiiE_St5arrayIPcLm6EEEEviT0_T1_,@function
_ZN2at6native29vectorized_elementwise_kernelILi16EZZZNS0_12_GLOBAL__N_142_validate_compressed_sparse_indices_kernelILNS2_8CDimNameE0ENS2_18CUDAKernelLauncherENS2_14EmptyVecKernelENS2_8DummyVecELm0EEEvRKNS_6TensorESA_lllENKUlvE1_clEvENKUlvE_clEvEUliiiiiE_St5arrayIPcLm6EEEEviT0_T1_: ; @_ZN2at6native29vectorized_elementwise_kernelILi16EZZZNS0_12_GLOBAL__N_142_validate_compressed_sparse_indices_kernelILNS2_8CDimNameE0ENS2_18CUDAKernelLauncherENS2_14EmptyVecKernelENS2_8DummyVecELm0EEEvRKNS_6TensorESA_lllENKUlvE1_clEvENKUlvE_clEvEUliiiiiE_St5arrayIPcLm6EEEEviT0_T1_
; %bb.0:
	s_clause 0x3
	s_load_b32 s3, s[0:1], 0x0
	s_load_b32 s33, s[0:1], 0x8
	s_load_b512 s[4:19], s[0:1], 0x10
	s_load_b256 s[20:27], s[0:1], 0x50
	s_wait_xcnt 0x0
	s_bfe_u32 s0, ttmp6, 0x4000c
	s_and_b32 s1, ttmp6, 15
	s_add_co_i32 s0, s0, 1
	s_getreg_b32 s2, hwreg(HW_REG_IB_STS2, 6, 4)
	s_mul_i32 s0, ttmp9, s0
	s_wait_kmcnt 0x0
	s_mov_b32 s9, 0
	s_add_co_i32 s1, s1, s0
	s_cmp_eq_u32 s2, 0
	s_get_pc_i64 s[28:29]
	s_add_nc_u64 s[28:29], s[28:29], .str.1@rel64+4
	s_cselect_b32 s0, ttmp9, s1
	s_delay_alu instid0(SALU_CYCLE_1)
	s_lshl_b32 s2, s0, 10
	s_mov_b32 s0, -1
	s_sub_co_i32 s5, s3, s2
	s_mov_b32 s3, 0
	s_cmp_gt_i32 s5, 0x3ff
	s_cbranch_scc0 .LBB48_77
; %bb.1:
	s_cmp_eq_u64 s[28:29], 0
	s_cselect_b32 s0, -1, 0
	s_cmp_lg_u64 s[28:29], 0
	s_cbranch_scc0 .LBB48_75
; %bb.2:
	s_ashr_i32 s3, s2, 31
	v_lshlrev_b32_e32 v18, 4, v0
	s_lshl_b64 s[30:31], s[2:3], 2
	s_mov_b32 s0, -1
	s_add_nc_u64 s[36:37], s[18:19], s[30:31]
	s_mov_b32 s3, 0
	global_load_b32 v1, v18, s[36:37]
	s_mov_b32 s48, exec_lo
	s_wait_loadcnt 0x0
	v_cmpx_eq_u32_e64 s33, v1
	s_cbranch_execz .LBB48_74
; %bb.3:
	s_add_nc_u64 s[0:1], s[20:21], s[30:31]
	s_get_pc_i64 s[34:35]
	s_add_nc_u64 s[34:35], s[34:35], .str.2@rel64+4
	global_load_b128 v[14:17], v0, s[0:1] scale_offset
	s_cmp_lg_u64 s[34:35], 0
	v_mov_b32_e32 v19, 0
	s_wait_xcnt 0x0
	s_cselect_b32 s1, -1, 0
	s_mov_b32 s38, -1
	s_mov_b32 s0, 0
	s_mov_b32 s35, 0
	;; [unrolled: 1-line block ×3, first 2 shown]
                                        ; implicit-def: $sgpr49
                                        ; implicit-def: $sgpr50
                                        ; implicit-def: $sgpr34
                                        ; implicit-def: $sgpr53
                                        ; implicit-def: $vgpr10_vgpr11_vgpr12_vgpr13
                                        ; implicit-def: $vgpr2_vgpr3_vgpr4_vgpr5
                                        ; implicit-def: $vgpr6_vgpr7_vgpr8_vgpr9
	s_wait_loadcnt 0x0
	v_cmp_eq_u32_e32 vcc_lo, s6, v14
	s_and_b32 s39, s1, vcc_lo
	s_mov_b32 s1, 0
	s_and_saveexec_b32 s51, s39
	s_cbranch_execz .LBB48_66
; %bb.4:
	s_add_nc_u64 s[0:1], s[22:23], s[30:31]
	s_add_nc_u64 s[34:35], s[24:25], s[30:31]
	s_clause 0x1
	global_load_b128 v[6:9], v0, s[0:1] scale_offset
	global_load_b128 v[2:5], v0, s[34:35] scale_offset
	s_get_pc_i64 s[40:41]
	s_add_nc_u64 s[40:41], s[40:41], .str.3@rel64+4
	s_wait_xcnt 0x0
	s_mov_b32 s35, -1
	s_cmp_lg_u64 s[40:41], 0
	s_mov_b32 s38, 0
	s_cselect_b32 s1, -1, 0
	s_mov_b32 s39, 0
	s_mov_b32 s40, 0
                                        ; implicit-def: $sgpr49
                                        ; implicit-def: $sgpr50
                                        ; implicit-def: $sgpr34
                                        ; implicit-def: $vgpr10_vgpr11_vgpr12_vgpr13
	s_wait_loadcnt 0x0
	v_sub_nc_u32_e32 v1, v2, v6
	s_delay_alu instid0(VALU_DEP_1) | instskip(SKIP_2) | instid1(SALU_CYCLE_1)
	v_cmp_le_i32_e32 vcc_lo, s33, v1
	v_cmp_ge_i32_e64 s0, s4, v1
	s_and_b32 s0, vcc_lo, s0
	s_and_b32 s0, s1, s0
	s_mov_b32 s1, 0
	s_and_saveexec_b32 s52, s0
	s_cbranch_execz .LBB48_65
; %bb.5:
	v_add_nc_u64_e32 v[22:23], s[36:37], v[18:19]
	s_add_nc_u64 s[0:1], s[26:27], s[30:31]
	s_add_co_i32 s34, s8, -1
	global_load_b96 v[18:20], v[22:23], off offset:4
	global_load_b128 v[10:13], v0, s[0:1] scale_offset
	s_wait_xcnt 0x0
	v_cmp_gt_i64_e64 s0, s[6:7], 0
	s_cmp_gt_i32 s34, -1
	v_mov_b64_e32 v[22:23], 0
	s_cselect_b32 s1, -1, 0
	s_delay_alu instid0(SALU_CYCLE_1) | instskip(NEXT) | instid1(SALU_CYCLE_1)
	s_and_b32 s50, s0, s1
	s_and_not1_b32 vcc_lo, exec_lo, s50
	s_cbranch_vccnz .LBB48_12
; %bb.6:
	s_wait_loadcnt 0x0
	v_dual_mov_b32 v22, v10 :: v_dual_ashrrev_i32 v23, 31, v10
	s_mov_b32 s1, 0
	v_mov_b32_e32 v24, 0
	s_mov_b32 s35, s1
	s_mov_b64 s[36:37], 0xffffffff
	v_mul_u64_e32 v[26:27], s[6:7], v[22:23]
	v_mov_b64_e32 v[22:23], 0
	s_lshl_b64 s[40:41], s[34:35], 3
	s_mov_b32 s35, s8
	s_add_nc_u64 s[38:39], s[10:11], s[40:41]
	s_add_nc_u64 s[40:41], s[12:13], s[40:41]
	s_branch .LBB48_8
.LBB48_7:                               ;   in Loop: Header=BB48_8 Depth=1
	s_or_b32 exec_lo, exec_lo, s0
	s_delay_alu instid0(VALU_DEP_1)
	v_mul_u64_e32 v[30:31], s[42:43], v[28:29]
	s_load_b64 s[42:43], s[40:41], 0x0
	s_add_co_i32 s35, s35, -1
	s_add_nc_u64 s[38:39], s[38:39], -8
	s_cmp_eq_u32 s35, 0
	s_wait_xcnt 0x0
	s_add_nc_u64 s[40:41], s[40:41], -8
	s_delay_alu instid0(VALU_DEP_1) | instskip(SKIP_1) | instid1(VALU_DEP_1)
	v_sub_nc_u64_e32 v[26:27], v[26:27], v[30:31]
	s_wait_kmcnt 0x0
	v_mad_nc_u64_u32 v[22:23], v26, s42, v[22:23]
	s_delay_alu instid0(VALU_DEP_1) | instskip(NEXT) | instid1(VALU_DEP_1)
	v_mad_u32 v1, v27, s42, v23
	v_mad_u32 v23, v26, s43, v1
	v_mov_b64_e32 v[26:27], v[28:29]
	s_cbranch_scc1 .LBB48_12
.LBB48_8:                               ; =>This Inner Loop Header: Depth=1
	s_load_b64 s[42:43], s[38:39], 0x0
                                        ; implicit-def: $vgpr28_vgpr29
	s_mov_b32 s0, exec_lo
	s_wait_kmcnt 0x0
	s_delay_alu instid0(VALU_DEP_1) | instskip(NEXT) | instid1(VALU_DEP_1)
	v_or_b32_e32 v25, s43, v27
	v_cmpx_ne_u64_e32 0, v[24:25]
	s_xor_b32 s49, exec_lo, s0
	s_cbranch_execz .LBB48_10
; %bb.9:                                ;   in Loop: Header=BB48_8 Depth=1
	s_ashr_i32 s44, s43, 31
	v_dual_mov_b32 v33, v24 :: v_dual_ashrrev_i32 v28, 31, v27
	s_mov_b32 s45, s44
	v_mov_b32_e32 v41, v24
	s_add_nc_u64 s[46:47], s[42:43], s[44:45]
	s_delay_alu instid0(VALU_DEP_2) | instskip(SKIP_1) | instid1(SALU_CYCLE_1)
	v_mov_b32_e32 v29, v28
	s_xor_b64 s[46:47], s[46:47], s[44:45]
	s_cvt_f32_u32 s0, s46
	s_cvt_f32_u32 s45, s47
	s_sub_nc_u64 s[56:57], 0, s[46:47]
	v_add_nc_u64_e32 v[30:31], v[26:27], v[28:29]
	v_mov_b32_e32 v37, v24
	s_fmamk_f32 s0, s45, 0x4f800000, s0
	s_delay_alu instid0(SALU_CYCLE_3) | instskip(NEXT) | instid1(VALU_DEP_2)
	v_s_rcp_f32 s0, s0
	v_xor_b32_e32 v32, v30, v28
	s_delay_alu instid0(VALU_DEP_3) | instskip(NEXT) | instid1(TRANS32_DEP_1)
	v_xor_b32_e32 v36, v31, v28
	s_mul_f32 s0, s0, 0x5f7ffffc
	s_delay_alu instid0(SALU_CYCLE_3) | instskip(NEXT) | instid1(SALU_CYCLE_3)
	s_mul_f32 s45, s0, 0x2f800000
	s_trunc_f32 s45, s45
	s_delay_alu instid0(SALU_CYCLE_3) | instskip(SKIP_1) | instid1(SALU_CYCLE_2)
	s_fmamk_f32 s0, s45, 0xcf800000, s0
	s_cvt_u32_f32 s55, s45
	s_cvt_u32_f32 s54, s0
	s_delay_alu instid0(SALU_CYCLE_3) | instskip(NEXT) | instid1(SALU_CYCLE_1)
	s_mul_u64 s[58:59], s[56:57], s[54:55]
	s_mul_hi_u32 s61, s54, s59
	s_mul_i32 s60, s54, s59
	s_mul_hi_u32 s0, s54, s58
	s_mul_i32 s53, s55, s58
	s_add_nc_u64 s[60:61], s[0:1], s[60:61]
	s_mul_hi_u32 s45, s55, s58
	s_mul_hi_u32 s62, s55, s59
	s_add_co_u32 s0, s60, s53
	s_add_co_ci_u32 s0, s61, s45
	s_mul_i32 s58, s55, s59
	s_add_co_ci_u32 s59, s62, 0
	s_delay_alu instid0(SALU_CYCLE_1) | instskip(NEXT) | instid1(SALU_CYCLE_1)
	s_add_nc_u64 s[58:59], s[0:1], s[58:59]
	s_add_co_u32 s54, s54, s58
	s_cselect_b32 s0, -1, 0
	s_delay_alu instid0(SALU_CYCLE_1) | instskip(SKIP_1) | instid1(SALU_CYCLE_1)
	s_cmp_lg_u32 s0, 0
	s_add_co_ci_u32 s55, s55, s59
	s_mul_u64 s[56:57], s[56:57], s[54:55]
	s_delay_alu instid0(SALU_CYCLE_1)
	s_mul_hi_u32 s59, s54, s57
	s_mul_i32 s58, s54, s57
	s_mul_hi_u32 s0, s54, s56
	s_mul_i32 s53, s55, s56
	s_add_nc_u64 s[58:59], s[0:1], s[58:59]
	s_mul_hi_u32 s45, s55, s56
	s_mul_hi_u32 s60, s55, s57
	s_add_co_u32 s0, s58, s53
	s_add_co_ci_u32 s0, s59, s45
	s_mul_i32 s56, s55, s57
	s_add_co_ci_u32 s57, s60, 0
	s_delay_alu instid0(SALU_CYCLE_1) | instskip(NEXT) | instid1(SALU_CYCLE_1)
	s_add_nc_u64 s[56:57], s[0:1], s[56:57]
	s_add_co_u32 s54, s54, s56
	s_cselect_b32 s0, -1, 0
	v_mul_hi_u32 v40, v32, s54
	s_cmp_lg_u32 s0, 0
	s_add_co_ci_u32 s0, s55, s57
	s_and_b64 s[56:57], s[54:55], s[36:37]
	v_mul_u64_e32 v[34:35], s[0:1], v[32:33]
	v_mul_u64_e32 v[30:31], s[56:57], v[36:37]
	;; [unrolled: 1-line block ×3, first 2 shown]
	s_delay_alu instid0(VALU_DEP_3) | instskip(NEXT) | instid1(VALU_DEP_1)
	v_add_nc_u64_e32 v[34:35], v[40:41], v[34:35]
	v_add_co_u32 v1, vcc_lo, v34, v30
	s_delay_alu instid0(VALU_DEP_2) | instskip(NEXT) | instid1(VALU_DEP_4)
	v_add_co_ci_u32_e32 v40, vcc_lo, v35, v31, vcc_lo
	v_add_co_ci_u32_e32 v39, vcc_lo, 0, v39, vcc_lo
	s_delay_alu instid0(VALU_DEP_1) | instskip(NEXT) | instid1(VALU_DEP_1)
	v_add_nc_u64_e32 v[30:31], v[40:41], v[38:39]
	v_mul_u64_e32 v[34:35], s[46:47], v[30:31]
	s_delay_alu instid0(VALU_DEP_1) | instskip(NEXT) | instid1(VALU_DEP_2)
	v_sub_nc_u32_e32 v1, v36, v35
	v_sub_co_u32 v10, vcc_lo, v32, v34
	s_delay_alu instid0(VALU_DEP_1) | instskip(NEXT) | instid1(VALU_DEP_3)
	v_sub_co_ci_u32_e64 v25, null, v36, v35, vcc_lo
	v_subrev_co_ci_u32_e64 v1, null, s47, v1, vcc_lo
	s_delay_alu instid0(VALU_DEP_3) | instskip(SKIP_1) | instid1(VALU_DEP_3)
	v_sub_co_u32 v21, s0, v10, s46
	v_add_nc_u64_e32 v[32:33], 2, v[30:31]
	v_subrev_co_ci_u32_e64 v1, null, 0, v1, s0
	s_delay_alu instid0(VALU_DEP_3) | instskip(SKIP_2) | instid1(VALU_DEP_4)
	v_cmp_le_u32_e32 vcc_lo, s46, v21
	v_add_nc_u64_e32 v[34:35], 1, v[30:31]
	v_cndmask_b32_e64 v21, 0, -1, vcc_lo
	v_cmp_le_u32_e32 vcc_lo, s47, v1
	v_cndmask_b32_e64 v29, 0, -1, vcc_lo
	v_cmp_le_u32_e32 vcc_lo, s46, v10
	;; [unrolled: 2-line block ×3, first 2 shown]
	v_cndmask_b32_e64 v36, 0, -1, vcc_lo
	v_cmp_eq_u32_e32 vcc_lo, s47, v1
	v_cndmask_b32_e32 v1, v29, v21, vcc_lo
	v_cmp_eq_u32_e32 vcc_lo, s47, v25
	s_delay_alu instid0(VALU_DEP_4) | instskip(NEXT) | instid1(VALU_DEP_3)
	v_cndmask_b32_e32 v10, v36, v10, vcc_lo
	v_cmp_ne_u32_e32 vcc_lo, 0, v1
	s_delay_alu instid0(VALU_DEP_2) | instskip(SKIP_1) | instid1(VALU_DEP_1)
	v_cmp_ne_u32_e64 s0, 0, v10
	v_dual_cndmask_b32 v1, v35, v33 :: v_dual_cndmask_b32 v10, v34, v32
	v_dual_cndmask_b32 v1, v31, v1, s0 :: v_dual_bitop2_b32 v28, s44, v28 bitop3:0x14
	s_delay_alu instid0(VALU_DEP_1) | instskip(NEXT) | instid1(VALU_DEP_2)
	v_dual_cndmask_b32 v10, v30, v10, s0 :: v_dual_mov_b32 v29, v28
	v_xor_b32_e32 v31, v1, v28
	s_delay_alu instid0(VALU_DEP_2) | instskip(NEXT) | instid1(VALU_DEP_1)
	v_xor_b32_e32 v30, v10, v28
	v_sub_nc_u64_e32 v[28:29], v[30:31], v[28:29]
.LBB48_10:                              ;   in Loop: Header=BB48_8 Depth=1
	s_and_not1_saveexec_b32 s0, s49
	s_cbranch_execz .LBB48_7
; %bb.11:                               ;   in Loop: Header=BB48_8 Depth=1
	v_cvt_f32_u32_e32 v1, s42
	s_sub_co_i32 s44, 0, s42
	v_mov_b32_e32 v29, v24
	s_delay_alu instid0(VALU_DEP_2) | instskip(SKIP_1) | instid1(TRANS32_DEP_1)
	v_rcp_iflag_f32_e32 v1, v1
	v_nop
	v_mul_f32_e32 v1, 0x4f7ffffe, v1
	s_delay_alu instid0(VALU_DEP_1) | instskip(NEXT) | instid1(VALU_DEP_1)
	v_cvt_u32_f32_e32 v1, v1
	v_mul_lo_u32 v10, s44, v1
	s_delay_alu instid0(VALU_DEP_1) | instskip(NEXT) | instid1(VALU_DEP_1)
	v_mul_hi_u32 v10, v1, v10
	v_add_nc_u32_e32 v1, v1, v10
	s_delay_alu instid0(VALU_DEP_1) | instskip(NEXT) | instid1(VALU_DEP_1)
	v_mul_hi_u32 v1, v26, v1
	v_mul_lo_u32 v10, v1, s42
	s_delay_alu instid0(VALU_DEP_1) | instskip(NEXT) | instid1(VALU_DEP_1)
	v_dual_add_nc_u32 v21, 1, v1 :: v_dual_sub_nc_u32 v10, v26, v10
	v_subrev_nc_u32_e32 v25, s42, v10
	v_cmp_le_u32_e32 vcc_lo, s42, v10
	s_delay_alu instid0(VALU_DEP_2) | instskip(NEXT) | instid1(VALU_DEP_4)
	v_cndmask_b32_e32 v10, v10, v25, vcc_lo
	v_cndmask_b32_e32 v1, v1, v21, vcc_lo
	s_delay_alu instid0(VALU_DEP_2) | instskip(NEXT) | instid1(VALU_DEP_2)
	v_cmp_le_u32_e32 vcc_lo, s42, v10
	v_add_nc_u32_e32 v21, 1, v1
	s_delay_alu instid0(VALU_DEP_1)
	v_cndmask_b32_e32 v28, v1, v21, vcc_lo
	s_branch .LBB48_7
.LBB48_12:
	s_get_pc_i64 s[0:1]
	s_add_nc_u64 s[0:1], s[0:1], .str.4@rel64+4
	s_mov_b32 s35, -1
	s_cmp_lg_u64 s[0:1], 0
	s_mov_b32 s0, 0
	s_cselect_b32 s49, -1, 0
	s_mov_b32 s53, 0
	s_mov_b32 s1, exec_lo
	v_cmpx_gt_i32_e64 v2, v6
	s_cbranch_execz .LBB48_18
; %bb.13:
	v_lshlrev_b64_e32 v[22:23], 2, v[22:23]
	v_dual_mov_b32 v24, v6 :: v_dual_ashrrev_i32 v25, 31, v6
	v_dual_mov_b32 v28, v2 :: v_dual_ashrrev_i32 v29, 31, v2
	s_mov_b32 s35, 0
	s_xor_b32 s37, s49, -1
	s_delay_alu instid0(VALU_DEP_2) | instskip(SKIP_1) | instid1(VALU_DEP_2)
	v_lshl_add_u64 v[24:25], v[24:25], 2, v[22:23]
	v_add_nc_u64_e32 v[26:27], s[14:15], v[22:23]
                                        ; implicit-def: $sgpr36
                                        ; implicit-def: $sgpr39
                                        ; implicit-def: $sgpr38
	v_add_nc_u64_e32 v[24:25], s[14:15], v[24:25]
	s_delay_alu instid0(VALU_DEP_1) | instskip(NEXT) | instid1(VALU_DEP_3)
	v_add_nc_u64_e32 v[22:23], 4, v[24:25]
	v_lshl_add_u64 v[24:25], v[28:29], 2, v[26:27]
	s_branch .LBB48_15
.LBB48_14:                              ;   in Loop: Header=BB48_15 Depth=1
	s_or_b32 exec_lo, exec_lo, s40
	s_delay_alu instid0(SALU_CYCLE_1) | instskip(NEXT) | instid1(SALU_CYCLE_1)
	s_and_b32 s40, exec_lo, s39
	s_or_b32 s35, s40, s35
	s_and_not1_b32 s36, s36, exec_lo
	s_and_b32 s40, s38, exec_lo
	s_delay_alu instid0(SALU_CYCLE_1)
	s_or_b32 s36, s36, s40
	s_and_not1_b32 exec_lo, exec_lo, s35
	s_cbranch_execz .LBB48_17
.LBB48_15:                              ; =>This Inner Loop Header: Depth=1
	s_or_b32 s38, s38, exec_lo
	s_or_b32 s39, s39, exec_lo
	s_mov_b32 s40, exec_lo
	s_delay_alu instid0(VALU_DEP_2)
	v_cmpx_lt_u64_e64 v[22:23], v[24:25]
	s_cbranch_execz .LBB48_14
; %bb.16:                               ;   in Loop: Header=BB48_15 Depth=1
	global_load_b64 v[26:27], v[22:23], off offset:-4
	s_wait_xcnt 0x0
	v_add_nc_u64_e32 v[22:23], 4, v[22:23]
	s_and_not1_b32 s39, s39, exec_lo
	s_and_not1_b32 s38, s38, exec_lo
	s_wait_loadcnt 0x0
	v_cmp_ge_i32_e32 vcc_lo, v26, v27
	s_or_b32 s41, s37, vcc_lo
	s_delay_alu instid0(SALU_CYCLE_1) | instskip(NEXT) | instid1(SALU_CYCLE_1)
	s_and_b32 s41, s41, exec_lo
	s_or_b32 s39, s39, s41
	s_branch .LBB48_14
.LBB48_17:
	s_or_b32 exec_lo, exec_lo, s35
	s_delay_alu instid0(SALU_CYCLE_1)
	s_mov_b32 s53, exec_lo
	s_or_not1_b32 s35, s36, exec_lo
.LBB48_18:
	s_or_b32 exec_lo, exec_lo, s1
	s_mov_b32 s36, 0
	s_mov_b32 s37, 0
	;; [unrolled: 1-line block ×3, first 2 shown]
	s_and_saveexec_b32 s54, s35
	s_cbranch_execz .LBB48_64
; %bb.19:
	s_mov_b32 s0, 0
	s_mov_b32 s1, -1
	s_mov_b32 s35, 0
	s_mov_b32 s55, exec_lo
	s_wait_loadcnt 0x1
	v_cmpx_eq_u32_e64 s33, v18
	s_cbranch_execz .LBB48_63
; %bb.20:
	s_mov_b32 s0, -1
	s_mov_b32 s38, 0
	s_mov_b32 s39, 0
	s_mov_b32 s56, exec_lo
	v_cmpx_eq_u32_e64 v15, v14
	s_cbranch_execz .LBB48_62
; %bb.21:
	v_sub_nc_u32_e32 v1, v3, v7
	s_mov_b32 s35, -1
	s_mov_b32 s1, 0
	s_delay_alu instid0(VALU_DEP_1) | instskip(SKIP_2) | instid1(SALU_CYCLE_1)
	v_cmp_le_i32_e32 vcc_lo, s33, v1
	v_cmp_ge_i32_e64 s0, s4, v1
	s_and_b32 s0, vcc_lo, s0
	s_and_saveexec_b32 s57, s0
	s_cbranch_execz .LBB48_61
; %bb.22:
	v_mov_b64_e32 v[22:23], 0
	s_and_not1_b32 vcc_lo, exec_lo, s50
	s_cbranch_vccnz .LBB48_29
; %bb.23:
	s_wait_loadcnt 0x0
	v_dual_mov_b32 v22, v11 :: v_dual_ashrrev_i32 v23, 31, v11
	s_mov_b32 s35, s1
	v_mov_b32_e32 v10, 0
	s_lshl_b64 s[40:41], s[34:35], 3
	s_mov_b64 s[36:37], 0xffffffff
	v_mul_u64_e32 v[24:25], s[6:7], v[22:23]
	v_mov_b64_e32 v[22:23], 0
	s_add_nc_u64 s[38:39], s[10:11], s[40:41]
	s_add_nc_u64 s[40:41], s[12:13], s[40:41]
	s_mov_b32 s35, s8
	s_branch .LBB48_25
.LBB48_24:                              ;   in Loop: Header=BB48_25 Depth=1
	s_or_b32 exec_lo, exec_lo, s0
	s_delay_alu instid0(VALU_DEP_1)
	v_mul_u64_e32 v[28:29], s[42:43], v[26:27]
	s_load_b64 s[42:43], s[40:41], 0x0
	s_add_co_i32 s35, s35, -1
	s_add_nc_u64 s[38:39], s[38:39], -8
	s_cmp_lg_u32 s35, 0
	s_wait_xcnt 0x0
	s_add_nc_u64 s[40:41], s[40:41], -8
	s_delay_alu instid0(VALU_DEP_1) | instskip(SKIP_1) | instid1(VALU_DEP_1)
	v_sub_nc_u64_e32 v[24:25], v[24:25], v[28:29]
	s_wait_kmcnt 0x0
	v_mad_nc_u64_u32 v[22:23], v24, s42, v[22:23]
	s_delay_alu instid0(VALU_DEP_1) | instskip(NEXT) | instid1(VALU_DEP_1)
	v_mad_u32 v1, v25, s42, v23
	v_mad_u32 v23, v24, s43, v1
	v_mov_b64_e32 v[24:25], v[26:27]
	s_cbranch_scc0 .LBB48_29
.LBB48_25:                              ; =>This Inner Loop Header: Depth=1
	s_load_b64 s[42:43], s[38:39], 0x0
                                        ; implicit-def: $vgpr26_vgpr27
	s_mov_b32 s0, exec_lo
	s_wait_kmcnt 0x0
	s_delay_alu instid0(VALU_DEP_1) | instskip(NEXT) | instid1(VALU_DEP_1)
	v_or_b32_e32 v11, s43, v25
	v_cmpx_ne_u64_e32 0, v[10:11]
	s_xor_b32 s58, exec_lo, s0
	s_cbranch_execz .LBB48_27
; %bb.26:                               ;   in Loop: Header=BB48_25 Depth=1
	s_ashr_i32 s44, s43, 31
	v_dual_mov_b32 v31, v10 :: v_dual_ashrrev_i32 v26, 31, v25
	s_mov_b32 s45, s44
	v_mov_b32_e32 v39, v10
	s_add_nc_u64 s[46:47], s[42:43], s[44:45]
	s_delay_alu instid0(VALU_DEP_2) | instskip(SKIP_1) | instid1(SALU_CYCLE_1)
	v_mov_b32_e32 v27, v26
	s_xor_b64 s[46:47], s[46:47], s[44:45]
	s_cvt_f32_u32 s0, s46
	s_cvt_f32_u32 s45, s47
	s_sub_nc_u64 s[62:63], 0, s[46:47]
	v_add_nc_u64_e32 v[28:29], v[24:25], v[26:27]
	v_mov_b32_e32 v35, v10
	s_fmamk_f32 s0, s45, 0x4f800000, s0
	s_delay_alu instid0(SALU_CYCLE_3) | instskip(NEXT) | instid1(VALU_DEP_2)
	v_s_rcp_f32 s0, s0
	v_xor_b32_e32 v30, v28, v26
	s_delay_alu instid0(VALU_DEP_3) | instskip(NEXT) | instid1(TRANS32_DEP_1)
	v_xor_b32_e32 v34, v29, v26
	s_mul_f32 s0, s0, 0x5f7ffffc
	s_delay_alu instid0(SALU_CYCLE_3) | instskip(NEXT) | instid1(SALU_CYCLE_3)
	s_mul_f32 s45, s0, 0x2f800000
	s_trunc_f32 s45, s45
	s_delay_alu instid0(SALU_CYCLE_3) | instskip(SKIP_1) | instid1(SALU_CYCLE_2)
	s_fmamk_f32 s0, s45, 0xcf800000, s0
	s_cvt_u32_f32 s61, s45
	s_cvt_u32_f32 s60, s0
	s_delay_alu instid0(SALU_CYCLE_3) | instskip(NEXT) | instid1(SALU_CYCLE_1)
	s_mul_u64 s[64:65], s[62:63], s[60:61]
	s_mul_hi_u32 s67, s60, s65
	s_mul_i32 s66, s60, s65
	s_mul_hi_u32 s0, s60, s64
	s_mul_i32 s59, s61, s64
	s_add_nc_u64 s[66:67], s[0:1], s[66:67]
	s_mul_hi_u32 s45, s61, s64
	s_mul_hi_u32 s68, s61, s65
	s_add_co_u32 s0, s66, s59
	s_add_co_ci_u32 s0, s67, s45
	s_mul_i32 s64, s61, s65
	s_add_co_ci_u32 s65, s68, 0
	s_delay_alu instid0(SALU_CYCLE_1) | instskip(NEXT) | instid1(SALU_CYCLE_1)
	s_add_nc_u64 s[64:65], s[0:1], s[64:65]
	s_add_co_u32 s60, s60, s64
	s_cselect_b32 s0, -1, 0
	s_delay_alu instid0(SALU_CYCLE_1) | instskip(SKIP_1) | instid1(SALU_CYCLE_1)
	s_cmp_lg_u32 s0, 0
	s_add_co_ci_u32 s61, s61, s65
	s_mul_u64 s[62:63], s[62:63], s[60:61]
	s_delay_alu instid0(SALU_CYCLE_1)
	s_mul_hi_u32 s65, s60, s63
	s_mul_i32 s64, s60, s63
	s_mul_hi_u32 s0, s60, s62
	s_mul_i32 s59, s61, s62
	s_add_nc_u64 s[64:65], s[0:1], s[64:65]
	s_mul_hi_u32 s45, s61, s62
	s_mul_hi_u32 s66, s61, s63
	s_add_co_u32 s0, s64, s59
	s_add_co_ci_u32 s0, s65, s45
	s_mul_i32 s62, s61, s63
	s_add_co_ci_u32 s63, s66, 0
	s_delay_alu instid0(SALU_CYCLE_1) | instskip(NEXT) | instid1(SALU_CYCLE_1)
	s_add_nc_u64 s[62:63], s[0:1], s[62:63]
	s_add_co_u32 s60, s60, s62
	s_cselect_b32 s0, -1, 0
	v_mul_hi_u32 v38, v30, s60
	s_cmp_lg_u32 s0, 0
	s_add_co_ci_u32 s0, s61, s63
	s_and_b64 s[62:63], s[60:61], s[36:37]
	v_mul_u64_e32 v[32:33], s[0:1], v[30:31]
	v_mul_u64_e32 v[28:29], s[62:63], v[34:35]
	;; [unrolled: 1-line block ×3, first 2 shown]
	s_delay_alu instid0(VALU_DEP_3) | instskip(NEXT) | instid1(VALU_DEP_1)
	v_add_nc_u64_e32 v[32:33], v[38:39], v[32:33]
	v_add_co_u32 v1, vcc_lo, v32, v28
	s_delay_alu instid0(VALU_DEP_2) | instskip(NEXT) | instid1(VALU_DEP_4)
	v_add_co_ci_u32_e32 v38, vcc_lo, v33, v29, vcc_lo
	v_add_co_ci_u32_e32 v37, vcc_lo, 0, v37, vcc_lo
	s_delay_alu instid0(VALU_DEP_1) | instskip(NEXT) | instid1(VALU_DEP_1)
	v_add_nc_u64_e32 v[28:29], v[38:39], v[36:37]
	v_mul_u64_e32 v[32:33], s[46:47], v[28:29]
	s_delay_alu instid0(VALU_DEP_1) | instskip(SKIP_1) | instid1(VALU_DEP_3)
	v_sub_co_u32 v2, vcc_lo, v30, v32
	v_add_nc_u64_e32 v[30:31], 2, v[28:29]
	v_sub_nc_u32_e32 v1, v34, v33
	v_sub_co_ci_u32_e64 v11, null, v34, v33, vcc_lo
	s_delay_alu instid0(VALU_DEP_4) | instskip(NEXT) | instid1(VALU_DEP_3)
	v_sub_co_u32 v6, s0, v2, s46
	v_subrev_co_ci_u32_e64 v1, null, s47, v1, vcc_lo
	v_add_nc_u64_e32 v[32:33], 1, v[28:29]
	s_delay_alu instid0(VALU_DEP_3) | instskip(NEXT) | instid1(VALU_DEP_3)
	v_cmp_le_u32_e32 vcc_lo, s46, v6
	v_subrev_co_ci_u32_e64 v1, null, 0, v1, s0
	v_cndmask_b32_e64 v6, 0, -1, vcc_lo
	s_delay_alu instid0(VALU_DEP_2)
	v_cmp_le_u32_e32 vcc_lo, s47, v1
	v_cndmask_b32_e64 v15, 0, -1, vcc_lo
	v_cmp_le_u32_e32 vcc_lo, s46, v2
	v_cndmask_b32_e64 v2, 0, -1, vcc_lo
	;; [unrolled: 2-line block ×3, first 2 shown]
	v_cmp_eq_u32_e32 vcc_lo, s47, v1
	v_cndmask_b32_e32 v1, v15, v6, vcc_lo
	v_cmp_eq_u32_e32 vcc_lo, s47, v11
	s_delay_alu instid0(VALU_DEP_4) | instskip(NEXT) | instid1(VALU_DEP_3)
	v_cndmask_b32_e32 v2, v18, v2, vcc_lo
	v_cmp_ne_u32_e32 vcc_lo, 0, v1
	v_cndmask_b32_e32 v1, v33, v31, vcc_lo
	s_delay_alu instid0(VALU_DEP_3) | instskip(SKIP_1) | instid1(VALU_DEP_2)
	v_cmp_ne_u32_e64 s0, 0, v2
	v_cndmask_b32_e32 v2, v32, v30, vcc_lo
	v_dual_cndmask_b32 v1, v29, v1, s0 :: v_dual_bitop2_b32 v26, s44, v26 bitop3:0x14
	s_delay_alu instid0(VALU_DEP_1) | instskip(NEXT) | instid1(VALU_DEP_2)
	v_dual_cndmask_b32 v2, v28, v2, s0 :: v_dual_mov_b32 v27, v26
	v_xor_b32_e32 v29, v1, v26
	s_delay_alu instid0(VALU_DEP_2) | instskip(NEXT) | instid1(VALU_DEP_1)
	v_xor_b32_e32 v28, v2, v26
	v_sub_nc_u64_e32 v[26:27], v[28:29], v[26:27]
.LBB48_27:                              ;   in Loop: Header=BB48_25 Depth=1
	s_and_not1_saveexec_b32 s0, s58
	s_cbranch_execz .LBB48_24
; %bb.28:                               ;   in Loop: Header=BB48_25 Depth=1
	v_cvt_f32_u32_e32 v1, s42
	s_sub_co_i32 s44, 0, s42
	v_mov_b32_e32 v27, v10
	s_delay_alu instid0(VALU_DEP_2) | instskip(SKIP_1) | instid1(TRANS32_DEP_1)
	v_rcp_iflag_f32_e32 v1, v1
	v_nop
	v_mul_f32_e32 v1, 0x4f7ffffe, v1
	s_delay_alu instid0(VALU_DEP_1) | instskip(NEXT) | instid1(VALU_DEP_1)
	v_cvt_u32_f32_e32 v1, v1
	v_mul_lo_u32 v2, s44, v1
	s_delay_alu instid0(VALU_DEP_1) | instskip(NEXT) | instid1(VALU_DEP_1)
	v_mul_hi_u32 v2, v1, v2
	v_add_nc_u32_e32 v1, v1, v2
	s_delay_alu instid0(VALU_DEP_1) | instskip(NEXT) | instid1(VALU_DEP_1)
	v_mul_hi_u32 v1, v24, v1
	v_mul_lo_u32 v2, v1, s42
	s_delay_alu instid0(VALU_DEP_1) | instskip(NEXT) | instid1(VALU_DEP_1)
	v_dual_add_nc_u32 v6, 1, v1 :: v_dual_sub_nc_u32 v2, v24, v2
	v_subrev_nc_u32_e32 v11, s42, v2
	v_cmp_le_u32_e32 vcc_lo, s42, v2
	s_delay_alu instid0(VALU_DEP_2) | instskip(NEXT) | instid1(VALU_DEP_1)
	v_dual_cndmask_b32 v2, v2, v11 :: v_dual_cndmask_b32 v1, v1, v6
	v_cmp_le_u32_e32 vcc_lo, s42, v2
	s_delay_alu instid0(VALU_DEP_2) | instskip(NEXT) | instid1(VALU_DEP_1)
	v_add_nc_u32_e32 v6, 1, v1
	v_cndmask_b32_e32 v26, v1, v6, vcc_lo
	s_branch .LBB48_24
.LBB48_29:
	s_mov_b32 s35, -1
	s_mov_b32 s0, 0
	s_mov_b32 s58, 0
	s_mov_b32 s1, exec_lo
	v_cmpx_gt_i32_e64 v3, v7
	s_cbranch_execz .LBB48_35
; %bb.30:
	s_wait_loadcnt 0x0
	s_delay_alu instid0(VALU_DEP_2) | instskip(SKIP_3) | instid1(VALU_DEP_1)
	v_lshlrev_b64_e32 v[10:11], 2, v[22:23]
	v_dual_mov_b32 v22, v7 :: v_dual_ashrrev_i32 v23, 31, v7
	s_mov_b32 s35, 0
	s_xor_b32 s37, s49, -1
                                        ; implicit-def: $sgpr36
                                        ; implicit-def: $sgpr39
                                        ; implicit-def: $sgpr38
	v_lshl_add_u64 v[6:7], v[22:23], 2, v[10:11]
	v_add_nc_u64_e32 v[10:11], s[14:15], v[10:11]
	v_dual_mov_b32 v22, v3 :: v_dual_ashrrev_i32 v23, 31, v3
	s_delay_alu instid0(VALU_DEP_3) | instskip(NEXT) | instid1(VALU_DEP_1)
	v_add_nc_u64_e32 v[6:7], s[14:15], v[6:7]
	v_add_nc_u64_e32 v[2:3], 4, v[6:7]
	s_delay_alu instid0(VALU_DEP_3)
	v_lshl_add_u64 v[6:7], v[22:23], 2, v[10:11]
	s_branch .LBB48_32
.LBB48_31:                              ;   in Loop: Header=BB48_32 Depth=1
	s_or_b32 exec_lo, exec_lo, s40
	s_delay_alu instid0(SALU_CYCLE_1) | instskip(NEXT) | instid1(SALU_CYCLE_1)
	s_and_b32 s40, exec_lo, s39
	s_or_b32 s35, s40, s35
	s_and_not1_b32 s36, s36, exec_lo
	s_and_b32 s40, s38, exec_lo
	s_delay_alu instid0(SALU_CYCLE_1)
	s_or_b32 s36, s36, s40
	s_and_not1_b32 exec_lo, exec_lo, s35
	s_cbranch_execz .LBB48_34
.LBB48_32:                              ; =>This Inner Loop Header: Depth=1
	s_or_b32 s38, s38, exec_lo
	s_or_b32 s39, s39, exec_lo
	s_mov_b32 s40, exec_lo
	s_delay_alu instid0(VALU_DEP_2)
	v_cmpx_lt_u64_e64 v[2:3], v[6:7]
	s_cbranch_execz .LBB48_31
; %bb.33:                               ;   in Loop: Header=BB48_32 Depth=1
	global_load_b64 v[10:11], v[2:3], off offset:-4
	s_and_not1_b32 s39, s39, exec_lo
	s_wait_xcnt 0x0
	v_add_nc_u64_e32 v[2:3], 4, v[2:3]
	s_and_not1_b32 s38, s38, exec_lo
	s_wait_loadcnt 0x0
	v_cmp_ge_i32_e32 vcc_lo, v10, v11
	s_or_b32 s41, s37, vcc_lo
	s_delay_alu instid0(SALU_CYCLE_1) | instskip(NEXT) | instid1(SALU_CYCLE_1)
	s_and_b32 s41, s41, exec_lo
	s_or_b32 s39, s39, s41
	s_branch .LBB48_31
.LBB48_34:
	s_or_b32 exec_lo, exec_lo, s35
	s_delay_alu instid0(SALU_CYCLE_1)
	s_mov_b32 s58, exec_lo
	s_or_not1_b32 s35, s36, exec_lo
.LBB48_35:
	s_or_b32 exec_lo, exec_lo, s1
	s_mov_b32 s1, 0
	s_mov_b32 s36, 0
	;; [unrolled: 1-line block ×3, first 2 shown]
	s_and_saveexec_b32 s59, s35
	s_cbranch_execz .LBB48_60
; %bb.36:
	s_mov_b32 s0, 0
	s_mov_b32 s1, -1
	s_mov_b32 s35, 0
	s_mov_b32 s60, exec_lo
	v_cmpx_eq_u32_e64 s33, v19
	s_cbranch_execz .LBB48_59
; %bb.37:
	s_mov_b32 s0, -1
	s_mov_b32 s38, 0
	s_mov_b32 s39, 0
	s_mov_b32 s61, exec_lo
	v_cmpx_eq_u32_e64 v16, v14
	s_cbranch_execz .LBB48_58
; %bb.38:
	v_sub_nc_u32_e32 v1, v4, v8
	s_mov_b32 s35, -1
	s_mov_b32 s1, 0
	s_delay_alu instid0(VALU_DEP_1) | instskip(SKIP_2) | instid1(SALU_CYCLE_1)
	v_cmp_le_i32_e32 vcc_lo, s33, v1
	v_cmp_ge_i32_e64 s0, s4, v1
	s_and_b32 s0, vcc_lo, s0
	s_and_saveexec_b32 s62, s0
	s_cbranch_execz .LBB48_57
; %bb.39:
	v_mov_b64_e32 v[2:3], 0
	s_and_not1_b32 vcc_lo, exec_lo, s50
	s_cbranch_vccnz .LBB48_46
; %bb.40:
	s_wait_loadcnt 0x0
	v_dual_mov_b32 v2, v12 :: v_dual_ashrrev_i32 v3, 31, v12
	s_mov_b32 s35, s1
	v_mov_b32_e32 v6, 0
	s_lshl_b64 s[40:41], s[34:35], 3
	s_mov_b64 s[36:37], 0xffffffff
	v_mul_u64_e32 v[10:11], s[6:7], v[2:3]
	v_mov_b64_e32 v[2:3], 0
	s_add_nc_u64 s[38:39], s[10:11], s[40:41]
	s_add_nc_u64 s[40:41], s[12:13], s[40:41]
	s_mov_b32 s35, s8
	s_branch .LBB48_42
.LBB48_41:                              ;   in Loop: Header=BB48_42 Depth=1
	s_or_b32 exec_lo, exec_lo, s0
	s_delay_alu instid0(VALU_DEP_1)
	v_mul_u64_e32 v[22:23], s[42:43], v[18:19]
	s_load_b64 s[42:43], s[40:41], 0x0
	s_add_co_i32 s35, s35, -1
	s_add_nc_u64 s[38:39], s[38:39], -8
	s_cmp_lg_u32 s35, 0
	s_wait_xcnt 0x0
	s_add_nc_u64 s[40:41], s[40:41], -8
	s_delay_alu instid0(VALU_DEP_1) | instskip(SKIP_1) | instid1(VALU_DEP_1)
	v_sub_nc_u64_e32 v[10:11], v[10:11], v[22:23]
	s_wait_kmcnt 0x0
	v_mad_nc_u64_u32 v[2:3], v10, s42, v[2:3]
	s_delay_alu instid0(VALU_DEP_1) | instskip(NEXT) | instid1(VALU_DEP_1)
	v_mad_u32 v1, v11, s42, v3
	v_mad_u32 v3, v10, s43, v1
	v_mov_b64_e32 v[10:11], v[18:19]
	s_cbranch_scc0 .LBB48_46
.LBB48_42:                              ; =>This Inner Loop Header: Depth=1
	s_load_b64 s[42:43], s[38:39], 0x0
                                        ; implicit-def: $vgpr18_vgpr19
	s_mov_b32 s0, exec_lo
	s_wait_kmcnt 0x0
	s_delay_alu instid0(VALU_DEP_1) | instskip(NEXT) | instid1(VALU_DEP_1)
	v_or_b32_e32 v7, s43, v11
	v_cmpx_ne_u64_e32 0, v[6:7]
	s_xor_b32 s63, exec_lo, s0
	s_cbranch_execz .LBB48_44
; %bb.43:                               ;   in Loop: Header=BB48_42 Depth=1
	s_ashr_i32 s44, s43, 31
	v_dual_mov_b32 v25, v6 :: v_dual_ashrrev_i32 v18, 31, v11
	s_mov_b32 s45, s44
	v_mov_b32_e32 v29, v6
	s_add_nc_u64 s[46:47], s[42:43], s[44:45]
	s_delay_alu instid0(VALU_DEP_2)
	v_mov_b32_e32 v19, v18
	s_xor_b64 s[46:47], s[46:47], s[44:45]
	v_mov_b32_e32 v33, v6
	s_cvt_f32_u32 s0, s46
	s_cvt_f32_u32 s45, s47
	s_sub_nc_u64 s[66:67], 0, s[46:47]
	v_add_nc_u64_e32 v[22:23], v[10:11], v[18:19]
	s_delay_alu instid0(SALU_CYCLE_1) | instskip(NEXT) | instid1(SALU_CYCLE_3)
	s_fmamk_f32 s0, s45, 0x4f800000, s0
	v_s_rcp_f32 s0, s0
	s_delay_alu instid0(VALU_DEP_1) | instskip(NEXT) | instid1(VALU_DEP_2)
	v_xor_b32_e32 v28, v23, v18
	v_xor_b32_e32 v24, v22, v18
	s_delay_alu instid0(TRANS32_DEP_1) | instskip(NEXT) | instid1(SALU_CYCLE_3)
	s_mul_f32 s0, s0, 0x5f7ffffc
	s_mul_f32 s45, s0, 0x2f800000
	s_delay_alu instid0(SALU_CYCLE_3) | instskip(NEXT) | instid1(SALU_CYCLE_3)
	s_trunc_f32 s45, s45
	s_fmamk_f32 s0, s45, 0xcf800000, s0
	s_cvt_u32_f32 s65, s45
	s_delay_alu instid0(SALU_CYCLE_2) | instskip(NEXT) | instid1(SALU_CYCLE_3)
	s_cvt_u32_f32 s64, s0
	s_mul_u64 s[68:69], s[66:67], s[64:65]
	s_delay_alu instid0(SALU_CYCLE_1)
	s_mul_hi_u32 s71, s64, s69
	s_mul_i32 s70, s64, s69
	s_mul_hi_u32 s0, s64, s68
	s_mul_i32 s72, s65, s68
	s_add_nc_u64 s[70:71], s[0:1], s[70:71]
	s_mul_hi_u32 s45, s65, s68
	s_mul_hi_u32 s73, s65, s69
	s_add_co_u32 s0, s70, s72
	s_add_co_ci_u32 s0, s71, s45
	s_mul_i32 s68, s65, s69
	s_add_co_ci_u32 s69, s73, 0
	s_delay_alu instid0(SALU_CYCLE_1) | instskip(NEXT) | instid1(SALU_CYCLE_1)
	s_add_nc_u64 s[68:69], s[0:1], s[68:69]
	s_add_co_u32 s64, s64, s68
	s_cselect_b32 s0, -1, 0
	s_delay_alu instid0(SALU_CYCLE_1) | instskip(SKIP_1) | instid1(SALU_CYCLE_1)
	s_cmp_lg_u32 s0, 0
	s_add_co_ci_u32 s65, s65, s69
	s_mul_u64 s[66:67], s[66:67], s[64:65]
	s_delay_alu instid0(SALU_CYCLE_1)
	s_mul_hi_u32 s69, s64, s67
	s_mul_i32 s68, s64, s67
	s_mul_hi_u32 s0, s64, s66
	s_mul_i32 s70, s65, s66
	s_add_nc_u64 s[68:69], s[0:1], s[68:69]
	s_mul_hi_u32 s45, s65, s66
	s_mul_hi_u32 s71, s65, s67
	s_add_co_u32 s0, s68, s70
	s_add_co_ci_u32 s0, s69, s45
	s_mul_i32 s66, s65, s67
	s_add_co_ci_u32 s67, s71, 0
	s_delay_alu instid0(SALU_CYCLE_1) | instskip(NEXT) | instid1(SALU_CYCLE_1)
	s_add_nc_u64 s[66:67], s[0:1], s[66:67]
	s_add_co_u32 s64, s64, s66
	s_cselect_b32 s0, -1, 0
	v_mul_hi_u32 v32, v24, s64
	s_cmp_lg_u32 s0, 0
	s_add_co_ci_u32 s0, s65, s67
	s_and_b64 s[66:67], s[64:65], s[36:37]
	v_mul_u64_e32 v[26:27], s[0:1], v[24:25]
	v_mul_u64_e32 v[22:23], s[66:67], v[28:29]
	;; [unrolled: 1-line block ×3, first 2 shown]
	s_delay_alu instid0(VALU_DEP_3) | instskip(NEXT) | instid1(VALU_DEP_1)
	v_add_nc_u64_e32 v[26:27], v[32:33], v[26:27]
	v_add_co_u32 v1, vcc_lo, v26, v22
	s_delay_alu instid0(VALU_DEP_2) | instskip(NEXT) | instid1(VALU_DEP_4)
	v_add_co_ci_u32_e32 v32, vcc_lo, v27, v23, vcc_lo
	v_add_co_ci_u32_e32 v31, vcc_lo, 0, v31, vcc_lo
	s_delay_alu instid0(VALU_DEP_1) | instskip(NEXT) | instid1(VALU_DEP_1)
	v_add_nc_u64_e32 v[22:23], v[32:33], v[30:31]
	v_mul_u64_e32 v[26:27], s[46:47], v[22:23]
	s_delay_alu instid0(VALU_DEP_1) | instskip(NEXT) | instid1(VALU_DEP_2)
	v_sub_nc_u32_e32 v1, v28, v27
	v_sub_co_u32 v7, vcc_lo, v24, v26
	s_delay_alu instid0(VALU_DEP_1) | instskip(NEXT) | instid1(VALU_DEP_3)
	v_sub_co_ci_u32_e64 v15, null, v28, v27, vcc_lo
	v_subrev_co_ci_u32_e64 v1, null, s47, v1, vcc_lo
	s_delay_alu instid0(VALU_DEP_3) | instskip(SKIP_1) | instid1(VALU_DEP_3)
	v_sub_co_u32 v12, s0, v7, s46
	v_add_nc_u64_e32 v[24:25], 2, v[22:23]
	v_subrev_co_ci_u32_e64 v1, null, 0, v1, s0
	s_delay_alu instid0(VALU_DEP_3) | instskip(SKIP_2) | instid1(VALU_DEP_4)
	v_cmp_le_u32_e32 vcc_lo, s46, v12
	v_add_nc_u64_e32 v[26:27], 1, v[22:23]
	v_cndmask_b32_e64 v12, 0, -1, vcc_lo
	v_cmp_le_u32_e32 vcc_lo, s47, v1
	v_cndmask_b32_e64 v16, 0, -1, vcc_lo
	v_cmp_le_u32_e32 vcc_lo, s46, v7
	;; [unrolled: 2-line block ×3, first 2 shown]
	v_cndmask_b32_e64 v19, 0, -1, vcc_lo
	v_cmp_eq_u32_e32 vcc_lo, s47, v1
	v_cndmask_b32_e32 v1, v16, v12, vcc_lo
	v_cmp_eq_u32_e32 vcc_lo, s47, v15
	s_delay_alu instid0(VALU_DEP_4) | instskip(NEXT) | instid1(VALU_DEP_3)
	v_cndmask_b32_e32 v7, v19, v7, vcc_lo
	v_cmp_ne_u32_e32 vcc_lo, 0, v1
	s_delay_alu instid0(VALU_DEP_2) | instskip(SKIP_1) | instid1(VALU_DEP_1)
	v_cmp_ne_u32_e64 s0, 0, v7
	v_dual_cndmask_b32 v1, v27, v25, vcc_lo :: v_dual_cndmask_b32 v7, v26, v24, vcc_lo
	v_dual_cndmask_b32 v1, v23, v1, s0 :: v_dual_bitop2_b32 v18, s44, v18 bitop3:0x14
	s_delay_alu instid0(VALU_DEP_1) | instskip(NEXT) | instid1(VALU_DEP_1)
	v_dual_cndmask_b32 v7, v22, v7, s0 :: v_dual_bitop2_b32 v23, v1, v18 bitop3:0x14
	v_dual_mov_b32 v19, v18 :: v_dual_bitop2_b32 v22, v7, v18 bitop3:0x14
	s_delay_alu instid0(VALU_DEP_1)
	v_sub_nc_u64_e32 v[18:19], v[22:23], v[18:19]
.LBB48_44:                              ;   in Loop: Header=BB48_42 Depth=1
	s_and_not1_saveexec_b32 s0, s63
	s_cbranch_execz .LBB48_41
; %bb.45:                               ;   in Loop: Header=BB48_42 Depth=1
	v_cvt_f32_u32_e32 v1, s42
	s_sub_co_i32 s44, 0, s42
	v_mov_b32_e32 v19, v6
	s_delay_alu instid0(VALU_DEP_2) | instskip(SKIP_1) | instid1(TRANS32_DEP_1)
	v_rcp_iflag_f32_e32 v1, v1
	v_nop
	v_mul_f32_e32 v1, 0x4f7ffffe, v1
	s_delay_alu instid0(VALU_DEP_1) | instskip(NEXT) | instid1(VALU_DEP_1)
	v_cvt_u32_f32_e32 v1, v1
	v_mul_lo_u32 v7, s44, v1
	s_delay_alu instid0(VALU_DEP_1) | instskip(NEXT) | instid1(VALU_DEP_1)
	v_mul_hi_u32 v7, v1, v7
	v_add_nc_u32_e32 v1, v1, v7
	s_delay_alu instid0(VALU_DEP_1) | instskip(NEXT) | instid1(VALU_DEP_1)
	v_mul_hi_u32 v1, v10, v1
	v_mul_lo_u32 v7, v1, s42
	s_delay_alu instid0(VALU_DEP_1) | instskip(NEXT) | instid1(VALU_DEP_1)
	v_sub_nc_u32_e32 v7, v10, v7
	v_subrev_nc_u32_e32 v15, s42, v7
	v_cmp_le_u32_e32 vcc_lo, s42, v7
	s_delay_alu instid0(VALU_DEP_2) | instskip(NEXT) | instid1(VALU_DEP_1)
	v_dual_cndmask_b32 v7, v7, v15 :: v_dual_add_nc_u32 v12, 1, v1
	v_cndmask_b32_e32 v1, v1, v12, vcc_lo
	s_delay_alu instid0(VALU_DEP_2) | instskip(NEXT) | instid1(VALU_DEP_2)
	v_cmp_le_u32_e32 vcc_lo, s42, v7
	v_add_nc_u32_e32 v12, 1, v1
	s_delay_alu instid0(VALU_DEP_1)
	v_cndmask_b32_e32 v18, v1, v12, vcc_lo
	s_branch .LBB48_41
.LBB48_46:
	s_mov_b32 s38, -1
	s_mov_b32 s0, 0
	s_mov_b32 s35, 0
	s_mov_b32 s1, exec_lo
	v_cmpx_gt_i32_e64 v4, v8
	s_cbranch_execz .LBB48_52
; %bb.47:
	s_delay_alu instid0(VALU_DEP_2) | instskip(SKIP_3) | instid1(VALU_DEP_2)
	v_lshlrev_b64_e32 v[2:3], 2, v[2:3]
	v_dual_mov_b32 v6, v8 :: v_dual_ashrrev_i32 v7, 31, v8
	v_dual_mov_b32 v18, v4 :: v_dual_ashrrev_i32 v19, 31, v4
	s_xor_b32 s37, s49, -1
                                        ; implicit-def: $sgpr36
                                        ; implicit-def: $sgpr39
                                        ; implicit-def: $sgpr38
	v_lshl_add_u64 v[6:7], v[6:7], 2, v[2:3]
	s_wait_loadcnt 0x0
	v_add_nc_u64_e32 v[10:11], s[14:15], v[2:3]
	s_delay_alu instid0(VALU_DEP_2) | instskip(NEXT) | instid1(VALU_DEP_1)
	v_add_nc_u64_e32 v[6:7], s[14:15], v[6:7]
	v_add_nc_u64_e32 v[2:3], 4, v[6:7]
	s_delay_alu instid0(VALU_DEP_3)
	v_lshl_add_u64 v[6:7], v[18:19], 2, v[10:11]
	s_branch .LBB48_49
.LBB48_48:                              ;   in Loop: Header=BB48_49 Depth=1
	s_or_b32 exec_lo, exec_lo, s40
	s_delay_alu instid0(SALU_CYCLE_1) | instskip(NEXT) | instid1(SALU_CYCLE_1)
	s_and_b32 s40, exec_lo, s39
	s_or_b32 s35, s40, s35
	s_and_not1_b32 s36, s36, exec_lo
	s_and_b32 s40, s38, exec_lo
	s_delay_alu instid0(SALU_CYCLE_1)
	s_or_b32 s36, s36, s40
	s_and_not1_b32 exec_lo, exec_lo, s35
	s_cbranch_execz .LBB48_51
.LBB48_49:                              ; =>This Inner Loop Header: Depth=1
	s_or_b32 s38, s38, exec_lo
	s_or_b32 s39, s39, exec_lo
	s_mov_b32 s40, exec_lo
	s_delay_alu instid0(VALU_DEP_2)
	v_cmpx_lt_u64_e64 v[2:3], v[6:7]
	s_cbranch_execz .LBB48_48
; %bb.50:                               ;   in Loop: Header=BB48_49 Depth=1
	global_load_b64 v[10:11], v[2:3], off offset:-4
	s_and_not1_b32 s39, s39, exec_lo
	s_wait_xcnt 0x0
	v_add_nc_u64_e32 v[2:3], 4, v[2:3]
	s_and_not1_b32 s38, s38, exec_lo
	s_wait_loadcnt 0x0
	v_cmp_ge_i32_e32 vcc_lo, v10, v11
	s_or_b32 s41, s37, vcc_lo
	s_delay_alu instid0(SALU_CYCLE_1) | instskip(NEXT) | instid1(SALU_CYCLE_1)
	s_and_b32 s41, s41, exec_lo
	s_or_b32 s39, s39, s41
	s_branch .LBB48_48
.LBB48_51:
	s_or_b32 exec_lo, exec_lo, s35
	s_delay_alu instid0(SALU_CYCLE_1)
	s_mov_b32 s35, exec_lo
	s_or_not1_b32 s38, s36, exec_lo
.LBB48_52:
	s_or_b32 exec_lo, exec_lo, s1
	s_mov_b32 s36, 0
	s_mov_b32 s37, 0
	s_and_saveexec_b32 s1, s38
	s_cbranch_execz .LBB48_56
; %bb.53:
	s_mov_b32 s0, 0
	s_mov_b32 s37, -1
	s_mov_b32 s38, exec_lo
	v_cmpx_eq_u32_e64 s33, v20
	s_xor_b32 s38, exec_lo, s38
; %bb.54:
	v_cmp_ne_u32_e32 vcc_lo, v17, v14
	s_mov_b32 s36, exec_lo
	s_xor_b32 s37, exec_lo, -1
	s_and_b32 s0, vcc_lo, exec_lo
; %bb.55:
	s_or_b32 exec_lo, exec_lo, s38
	s_delay_alu instid0(SALU_CYCLE_1)
	s_and_b32 s37, s37, exec_lo
	s_and_not1_b32 s35, s35, exec_lo
	s_and_b32 s36, s36, exec_lo
	s_and_b32 s0, s0, exec_lo
.LBB48_56:
	s_or_b32 exec_lo, exec_lo, s1
	s_delay_alu instid0(SALU_CYCLE_1)
	s_and_b32 s38, s37, exec_lo
	s_and_b32 s37, s35, exec_lo
	s_xor_b32 s35, exec_lo, -1
	s_and_b32 s36, s36, exec_lo
	s_and_b32 s1, s0, exec_lo
.LBB48_57:
	s_or_b32 exec_lo, exec_lo, s62
	s_delay_alu instid0(SALU_CYCLE_1)
	s_and_b32 s39, s38, exec_lo
	s_and_b32 s37, s37, exec_lo
	;; [unrolled: 1-line block ×4, first 2 shown]
	s_or_not1_b32 s0, s1, exec_lo
.LBB48_58:
	s_or_b32 exec_lo, exec_lo, s61
	s_delay_alu instid0(SALU_CYCLE_1)
	s_or_not1_b32 s1, s39, exec_lo
	s_and_b32 s37, s37, exec_lo
	s_and_b32 s36, s38, exec_lo
	;; [unrolled: 1-line block ×4, first 2 shown]
.LBB48_59:
	s_or_b32 exec_lo, exec_lo, s60
	s_delay_alu instid0(SALU_CYCLE_1)
	s_and_not1_b32 s38, s58, exec_lo
	s_and_b32 s39, s37, exec_lo
	s_and_b32 s37, s1, exec_lo
	s_or_b32 s58, s38, s39
	s_and_b32 s36, s36, exec_lo
	s_and_b32 s1, s35, exec_lo
	;; [unrolled: 1-line block ×3, first 2 shown]
.LBB48_60:
	s_or_b32 exec_lo, exec_lo, s59
	s_delay_alu instid0(SALU_CYCLE_1)
	s_and_b32 s38, s37, exec_lo
	s_and_b32 s37, s58, exec_lo
	s_or_not1_b32 s35, s36, exec_lo
	s_and_b32 s36, s1, exec_lo
	s_and_b32 s1, s0, exec_lo
.LBB48_61:
	s_or_b32 exec_lo, exec_lo, s57
	s_delay_alu instid0(SALU_CYCLE_1)
	s_and_b32 s39, s38, exec_lo
	s_and_b32 s37, s37, exec_lo
	;; [unrolled: 1-line block ×4, first 2 shown]
	s_or_not1_b32 s0, s1, exec_lo
.LBB48_62:
	s_or_b32 exec_lo, exec_lo, s56
	s_delay_alu instid0(SALU_CYCLE_1)
	s_or_not1_b32 s1, s39, exec_lo
	s_and_b32 s37, s37, exec_lo
	s_and_b32 s36, s38, exec_lo
	;; [unrolled: 1-line block ×4, first 2 shown]
.LBB48_63:
	s_or_b32 exec_lo, exec_lo, s55
	s_delay_alu instid0(SALU_CYCLE_1)
	s_and_not1_b32 s38, s53, exec_lo
	s_and_b32 s37, s37, exec_lo
	s_and_b32 s1, s1, exec_lo
	s_or_b32 s53, s38, s37
	s_and_b32 s37, s36, exec_lo
	s_and_b32 s36, s35, exec_lo
	;; [unrolled: 1-line block ×3, first 2 shown]
.LBB48_64:
	s_or_b32 exec_lo, exec_lo, s54
	s_delay_alu instid0(SALU_CYCLE_1)
	s_and_b32 s1, s1, exec_lo
	s_and_b32 s40, s53, exec_lo
	s_or_not1_b32 s35, s37, exec_lo
	s_and_b32 s39, s36, exec_lo
	s_and_b32 s38, s0, exec_lo
.LBB48_65:
	s_or_b32 exec_lo, exec_lo, s52
	s_delay_alu instid0(SALU_CYCLE_1)
	s_and_b32 s1, s1, exec_lo
	s_and_b32 s52, s40, exec_lo
	;; [unrolled: 1-line block ×4, first 2 shown]
	s_or_not1_b32 s38, s38, exec_lo
	s_mov_b32 s53, s8
.LBB48_66:
	s_or_b32 exec_lo, exec_lo, s51
	s_and_saveexec_b32 s36, s38
	s_cbranch_execnz .LBB48_212
.LBB48_67:
	s_or_b32 exec_lo, exec_lo, s36
	s_mov_b32 s36, 0
	s_and_saveexec_b32 s37, s0
	s_delay_alu instid0(SALU_CYCLE_1)
	s_xor_b32 s37, exec_lo, s37
	s_cbranch_execz .LBB48_106
; %bb.68:
	v_sub_nc_u32_e32 v1, v5, v9
	s_and_not1_b32 s35, s35, exec_lo
	s_mov_b32 s36, exec_lo
	s_delay_alu instid0(VALU_DEP_1) | instskip(SKIP_2) | instid1(SALU_CYCLE_1)
	v_cmp_gt_i32_e32 vcc_lo, s33, v1
	v_cmp_lt_i32_e64 s0, s4, v1
	s_or_b32 s0, vcc_lo, s0
	s_and_b32 s0, s0, exec_lo
	s_delay_alu instid0(SALU_CYCLE_1)
	s_or_b32 s35, s35, s0
	s_or_b32 exec_lo, exec_lo, s37
	s_and_saveexec_b32 s0, s35
	s_cbranch_execz .LBB48_107
.LBB48_69:
	s_or_b32 s3, s3, exec_lo
	s_and_not1_b32 s36, s36, exec_lo
	s_trap 2
	s_or_b32 exec_lo, exec_lo, s0
	s_mov_b32 s0, 0
	s_and_saveexec_b32 s51, s36
	s_cbranch_execnz .LBB48_108
.LBB48_70:
	s_or_b32 exec_lo, exec_lo, s51
	s_and_saveexec_b32 s34, s52
	s_cbranch_execnz .LBB48_175
.LBB48_71:
	s_or_b32 exec_lo, exec_lo, s34
	s_and_saveexec_b32 s34, s0
	s_delay_alu instid0(SALU_CYCLE_1)
	s_xor_b32 s0, exec_lo, s34
	s_cbranch_execz .LBB48_73
.LBB48_72:
	v_mov_b32_e32 v2, 0
	s_add_nc_u64 s[30:31], s[16:17], s[30:31]
	s_delay_alu instid0(VALU_DEP_1)
	v_dual_mov_b32 v3, v2 :: v_dual_mov_b32 v4, v2
	v_mov_b32_e32 v5, v2
	global_store_b128 v0, v[2:5], s[30:31] scale_offset
.LBB48_73:
	s_wait_xcnt 0x0
	s_or_b32 exec_lo, exec_lo, s0
	s_delay_alu instid0(SALU_CYCLE_1)
	s_and_b32 s3, s3, exec_lo
	s_or_not1_b32 s0, s1, exec_lo
.LBB48_74:
	s_or_b32 exec_lo, exec_lo, s48
.LBB48_75:
	s_and_saveexec_b32 s1, s0
	s_delay_alu instid0(SALU_CYCLE_1)
	s_xor_b32 s0, exec_lo, s1
	s_cbranch_execnz .LBB48_210
.LBB48_76:
	s_or_b32 exec_lo, exec_lo, s0
	s_mov_b32 s0, 0
.LBB48_77:
	s_delay_alu instid0(SALU_CYCLE_1)
	s_and_b32 vcc_lo, exec_lo, s0
	s_cbranch_vccz .LBB48_97
; %bb.78:
	v_mov_b64_e32 v[6:7], 0
	v_cmp_gt_i32_e64 s0, s5, v0
	v_dual_mov_b32 v3, 0 :: v_dual_mov_b32 v1, 0
	v_or_b32_e32 v15, 0x100, v0
	v_dual_mov_b32 v2, 0 :: v_dual_mov_b32 v4, 0
	s_wait_loadcnt 0x0
	v_dual_mov_b32 v11, 0 :: v_dual_mov_b32 v9, 0
	v_dual_mov_b32 v10, 0 :: v_dual_mov_b32 v8, 0
	;; [unrolled: 1-line block ×7, first 2 shown]
	v_mov_b32_e32 v24, 0
	s_and_saveexec_b32 s1, s0
	s_cbranch_execz .LBB48_86
; %bb.79:
	v_dual_mov_b32 v18, 0 :: v_dual_bitop2_b32 v1, s2, v0 bitop3:0x54
	v_mov_b64_e32 v[6:7], 0
	v_dual_mov_b32 v14, 0 :: v_dual_mov_b32 v16, 0
	s_clause 0x4
	global_load_b32 v23, v1, s[18:19] scale_offset
	global_load_b32 v21, v1, s[20:21] scale_offset
	;; [unrolled: 1-line block ×5, first 2 shown]
	v_dual_mov_b32 v17, 0 :: v_dual_mov_b32 v19, 0
	v_dual_mov_b32 v13, 0 :: v_dual_mov_b32 v8, 0
	;; [unrolled: 1-line block ×4, first 2 shown]
	s_wait_xcnt 0x0
	v_dual_mov_b32 v2, 0 :: v_dual_mov_b32 v1, 0
	v_mov_b32_e32 v3, 0
	s_mov_b32 s9, exec_lo
	v_cmpx_gt_u32_e64 s5, v15
	s_cbranch_execz .LBB48_85
; %bb.80:
	v_dual_mov_b32 v13, 0 :: v_dual_add_nc_u32 v12, s2, v0
	v_or_b32_e32 v1, 0x200, v0
	v_mov_b64_e32 v[6:7], 0
	v_dual_mov_b32 v8, 0 :: v_dual_mov_b32 v10, 0
	s_clause 0x4
	global_load_b32 v19, v12, s[18:19] offset:1024 scale_offset
	global_load_b32 v17, v12, s[20:21] offset:1024 scale_offset
	;; [unrolled: 1-line block ×5, first 2 shown]
	v_cmp_gt_u32_e32 vcc_lo, s5, v1
	v_dual_mov_b32 v9, 0 :: v_dual_mov_b32 v11, 0
	v_dual_mov_b32 v4, 0 :: v_dual_mov_b32 v2, 0
	;; [unrolled: 1-line block ×3, first 2 shown]
	s_wait_xcnt 0x0
	s_and_saveexec_b32 s30, vcc_lo
	s_cbranch_execz .LBB48_84
; %bb.81:
	v_lshlrev_b64_e32 v[2:3], 2, v[12:13]
	v_or_b32_e32 v1, 0x300, v0
	v_mov_b64_e32 v[6:7], 0
	s_delay_alu instid0(VALU_DEP_2) | instskip(NEXT) | instid1(VALU_DEP_4)
	v_cmp_gt_u32_e32 vcc_lo, s5, v1
	v_add_nc_u64_e32 v[4:5], s[18:19], v[2:3]
	v_add_nc_u64_e32 v[26:27], s[20:21], v[2:3]
	;; [unrolled: 1-line block ×5, first 2 shown]
	v_dual_mov_b32 v2, 0 :: v_dual_mov_b32 v1, 0
	global_load_b32 v11, v[4:5], off offset:2048
	global_load_b32 v9, v[26:27], off offset:2048
	;; [unrolled: 1-line block ×5, first 2 shown]
	v_mov_b32_e32 v3, 0
	s_wait_xcnt 0x0
	s_and_saveexec_b32 s18, vcc_lo
	s_cbranch_execz .LBB48_83
; %bb.82:
	global_load_b32 v6, v[28:29], off offset:3072
	global_load_b32 v3, v[4:5], off offset:3072
	;; [unrolled: 1-line block ×5, first 2 shown]
	s_wait_loadcnt 0x4
	v_ashrrev_i32_e32 v7, 31, v6
.LBB48_83:
	s_wait_xcnt 0x0
	s_or_b32 exec_lo, exec_lo, s18
	s_wait_loadcnt 0x0
	v_dual_mov_b32 v4, v13 :: v_dual_mov_b32 v13, v12
.LBB48_84:
	s_or_b32 exec_lo, exec_lo, s30
.LBB48_85:
	s_delay_alu instid0(SALU_CYCLE_1)
	s_or_b32 exec_lo, exec_lo, s9
.LBB48_86:
	s_delay_alu instid0(SALU_CYCLE_1)
	s_or_b32 exec_lo, exec_lo, s1
	s_get_pc_i64 s[18:19]
	s_add_nc_u64 s[18:19], s[18:19], .str.2@rel64+4
	s_cmp_lg_u64 s[28:29], 0
	s_get_pc_i64 s[20:21]
	s_add_nc_u64 s[20:21], s[20:21], .str.3@rel64+4
	s_cselect_b32 s42, -1, 0
	s_cmp_lg_u64 s[18:19], 0
	v_cmp_gt_i64_e64 s9, s[6:7], 0
	s_cselect_b32 s39, -1, 0
	s_cmp_lg_u64 s[20:21], 0
	s_get_pc_i64 s[20:21]
	s_add_nc_u64 s[20:21], s[20:21], .str.4@rel64+4
	s_cselect_b32 s38, -1, 0
	s_add_co_i32 s18, s8, -1
	s_mov_b32 s1, -1
	s_cmp_gt_i32 s18, -1
	s_mov_b32 s48, 0
	s_cselect_b32 s19, -1, 0
	s_mov_b32 s46, 0
	s_and_b32 s37, s9, s19
	s_cmp_lg_u64 s[20:21], 0
	s_mov_b32 s44, 0
	s_cselect_b32 s36, -1, 0
	s_mov_b32 s43, 0
	s_mov_b32 s41, 0
	s_and_saveexec_b32 s9, s0
	s_cbranch_execz .LBB48_130
; %bb.87:
	s_wait_loadcnt 0x4
	v_cmp_eq_u32_e32 vcc_lo, s33, v23
	s_mov_b32 s19, -1
	s_mov_b32 s1, 0
	s_mov_b32 s20, 0
	;; [unrolled: 1-line block ×3, first 2 shown]
	s_and_b32 s23, s42, vcc_lo
	s_mov_b32 s22, 0
	s_and_saveexec_b32 s40, s23
	s_cbranch_execz .LBB48_129
; %bb.88:
	s_wait_loadcnt 0x3
	v_cmp_eq_u32_e32 vcc_lo, s6, v21
	s_and_b32 s22, s39, vcc_lo
	s_delay_alu instid0(SALU_CYCLE_1)
	s_and_saveexec_b32 s41, s22
	s_cbranch_execz .LBB48_128
; %bb.89:
	s_wait_loadcnt 0x1
	v_sub_nc_u32_e32 v5, v20, v22
	s_delay_alu instid0(VALU_DEP_1)
	v_cmp_le_i32_e32 vcc_lo, s33, v5
	v_cmp_ge_i32_e64 s1, s4, v5
	s_and_b32 s20, vcc_lo, s1
	s_mov_b32 s1, 0
	s_and_b32 s21, s38, s20
	s_mov_b32 s20, 0
	s_and_saveexec_b32 s43, s21
	s_cbranch_execz .LBB48_127
; %bb.90:
	v_mov_b64_e32 v[26:27], 0
	s_and_not1_b32 vcc_lo, exec_lo, s37
	s_cbranch_vccnz .LBB48_115
; %bb.91:
	s_wait_loadcnt 0x0
	v_ashrrev_i32_e32 v25, 31, v24
	s_mov_b32 s21, 0
	v_mov_b64_e32 v[26:27], 0
	s_mov_b32 s19, s21
	s_mov_b64 s[22:23], 0xffffffff
	v_mul_u64_e32 v[28:29], s[6:7], v[24:25]
	v_mov_b32_e32 v24, 0
	s_lshl_b64 s[26:27], s[18:19], 3
	s_mov_b32 s19, s8
	s_add_nc_u64 s[24:25], s[10:11], s[26:27]
	s_add_nc_u64 s[26:27], s[12:13], s[26:27]
	s_branch .LBB48_93
.LBB48_92:                              ;   in Loop: Header=BB48_93 Depth=1
	s_or_b32 exec_lo, exec_lo, s1
	s_delay_alu instid0(VALU_DEP_1)
	v_mul_u64_e32 v[32:33], s[28:29], v[30:31]
	s_load_b64 s[28:29], s[26:27], 0x0
	s_add_co_i32 s19, s19, -1
	s_add_nc_u64 s[24:25], s[24:25], -8
	s_cmp_eq_u32 s19, 0
	s_wait_xcnt 0x0
	s_add_nc_u64 s[26:27], s[26:27], -8
	s_delay_alu instid0(VALU_DEP_1) | instskip(SKIP_1) | instid1(VALU_DEP_1)
	v_sub_nc_u64_e32 v[28:29], v[28:29], v[32:33]
	s_wait_kmcnt 0x0
	v_mad_nc_u64_u32 v[26:27], v28, s28, v[26:27]
	s_delay_alu instid0(VALU_DEP_1) | instskip(NEXT) | instid1(VALU_DEP_1)
	v_mad_u32 v5, v29, s28, v27
	v_mad_u32 v27, v28, s29, v5
	v_mov_b64_e32 v[28:29], v[30:31]
	s_cbranch_scc1 .LBB48_115
.LBB48_93:                              ; =>This Inner Loop Header: Depth=1
	s_load_b64 s[28:29], s[24:25], 0x0
                                        ; implicit-def: $vgpr30_vgpr31
	s_mov_b32 s1, exec_lo
	s_wait_kmcnt 0x0
	s_delay_alu instid0(VALU_DEP_1) | instskip(NEXT) | instid1(VALU_DEP_1)
	v_or_b32_e32 v25, s29, v29
	v_cmpx_ne_u64_e32 0, v[24:25]
	s_xor_b32 s44, exec_lo, s1
	s_cbranch_execz .LBB48_95
; %bb.94:                               ;   in Loop: Header=BB48_93 Depth=1
	s_ashr_i32 s30, s29, 31
	v_dual_mov_b32 v35, v24 :: v_dual_ashrrev_i32 v30, 31, v29
	s_mov_b32 s31, s30
	s_delay_alu instid0(SALU_CYCLE_1) | instskip(NEXT) | instid1(VALU_DEP_1)
	s_add_nc_u64 s[34:35], s[28:29], s[30:31]
	v_mov_b32_e32 v31, v30
	s_xor_b64 s[34:35], s[34:35], s[30:31]
	s_delay_alu instid0(SALU_CYCLE_1)
	s_cvt_f32_u32 s1, s34
	s_cvt_f32_u32 s20, s35
	s_sub_nc_u64 s[50:51], 0, s[34:35]
	v_add_nc_u64_e32 v[32:33], v[28:29], v[30:31]
	v_mov_b32_e32 v39, v24
	s_fmamk_f32 s1, s20, 0x4f800000, s1
	s_delay_alu instid0(SALU_CYCLE_3) | instskip(NEXT) | instid1(VALU_DEP_2)
	v_s_rcp_f32 s1, s1
	v_xor_b32_e32 v34, v32, v30
	s_delay_alu instid0(VALU_DEP_3) | instskip(NEXT) | instid1(TRANS32_DEP_1)
	v_dual_mov_b32 v43, v24 :: v_dual_bitop2_b32 v38, v33, v30 bitop3:0x14
	s_mul_f32 s1, s1, 0x5f7ffffc
	s_delay_alu instid0(SALU_CYCLE_3) | instskip(NEXT) | instid1(SALU_CYCLE_3)
	s_mul_f32 s20, s1, 0x2f800000
	s_trunc_f32 s20, s20
	s_delay_alu instid0(SALU_CYCLE_3) | instskip(SKIP_1) | instid1(SALU_CYCLE_2)
	s_fmamk_f32 s1, s20, 0xcf800000, s1
	s_cvt_u32_f32 s47, s20
	s_cvt_u32_f32 s46, s1
	s_delay_alu instid0(SALU_CYCLE_3) | instskip(NEXT) | instid1(SALU_CYCLE_1)
	s_mul_u64 s[52:53], s[50:51], s[46:47]
	s_mul_hi_u32 s55, s46, s53
	s_mul_i32 s54, s46, s53
	s_mul_hi_u32 s20, s46, s52
	s_mul_i32 s31, s47, s52
	s_add_nc_u64 s[54:55], s[20:21], s[54:55]
	s_mul_hi_u32 s1, s47, s52
	s_mul_hi_u32 s45, s47, s53
	s_add_co_u32 s20, s54, s31
	s_add_co_ci_u32 s20, s55, s1
	s_mul_i32 s52, s47, s53
	s_add_co_ci_u32 s53, s45, 0
	s_delay_alu instid0(SALU_CYCLE_1) | instskip(NEXT) | instid1(SALU_CYCLE_1)
	s_add_nc_u64 s[52:53], s[20:21], s[52:53]
	s_add_co_u32 s46, s46, s52
	s_cselect_b32 s1, -1, 0
	s_delay_alu instid0(SALU_CYCLE_1) | instskip(SKIP_1) | instid1(SALU_CYCLE_1)
	s_cmp_lg_u32 s1, 0
	s_add_co_ci_u32 s47, s47, s53
	s_mul_u64 s[50:51], s[50:51], s[46:47]
	s_delay_alu instid0(SALU_CYCLE_1)
	s_mul_hi_u32 s53, s46, s51
	s_mul_i32 s52, s46, s51
	s_mul_hi_u32 s20, s46, s50
	s_mul_i32 s31, s47, s50
	s_add_nc_u64 s[52:53], s[20:21], s[52:53]
	s_mul_hi_u32 s1, s47, s50
	s_mul_hi_u32 s45, s47, s51
	s_add_co_u32 s20, s52, s31
	s_add_co_ci_u32 s20, s53, s1
	s_mul_i32 s50, s47, s51
	s_add_co_ci_u32 s51, s45, 0
	s_delay_alu instid0(SALU_CYCLE_1) | instskip(NEXT) | instid1(SALU_CYCLE_1)
	s_add_nc_u64 s[50:51], s[20:21], s[50:51]
	s_add_co_u32 s46, s46, s50
	s_cselect_b32 s1, -1, 0
	v_mul_hi_u32 v42, v34, s46
	s_cmp_lg_u32 s1, 0
	s_add_co_ci_u32 s20, s47, s51
	s_and_b64 s[50:51], s[46:47], s[22:23]
	v_mul_u64_e32 v[36:37], s[20:21], v[34:35]
	v_mul_u64_e32 v[32:33], s[50:51], v[38:39]
	;; [unrolled: 1-line block ×3, first 2 shown]
	s_delay_alu instid0(VALU_DEP_3) | instskip(NEXT) | instid1(VALU_DEP_1)
	v_add_nc_u64_e32 v[36:37], v[42:43], v[36:37]
	v_add_co_u32 v5, vcc_lo, v36, v32
	s_delay_alu instid0(VALU_DEP_2) | instskip(NEXT) | instid1(VALU_DEP_4)
	v_add_co_ci_u32_e32 v42, vcc_lo, v37, v33, vcc_lo
	v_add_co_ci_u32_e32 v41, vcc_lo, 0, v41, vcc_lo
	s_delay_alu instid0(VALU_DEP_1) | instskip(NEXT) | instid1(VALU_DEP_1)
	v_add_nc_u64_e32 v[32:33], v[42:43], v[40:41]
	v_mul_u64_e32 v[36:37], s[34:35], v[32:33]
	s_delay_alu instid0(VALU_DEP_1) | instskip(NEXT) | instid1(VALU_DEP_2)
	v_sub_nc_u32_e32 v5, v38, v37
	v_sub_co_u32 v12, vcc_lo, v34, v36
	s_delay_alu instid0(VALU_DEP_1) | instskip(NEXT) | instid1(VALU_DEP_3)
	v_sub_co_ci_u32_e64 v23, null, v38, v37, vcc_lo
	v_subrev_co_ci_u32_e64 v5, null, s35, v5, vcc_lo
	s_delay_alu instid0(VALU_DEP_3) | instskip(SKIP_1) | instid1(VALU_DEP_3)
	v_sub_co_u32 v21, s1, v12, s34
	v_add_nc_u64_e32 v[34:35], 2, v[32:33]
	v_subrev_co_ci_u32_e64 v5, null, 0, v5, s1
	s_delay_alu instid0(VALU_DEP_3) | instskip(SKIP_2) | instid1(VALU_DEP_4)
	v_cmp_le_u32_e32 vcc_lo, s34, v21
	v_add_nc_u64_e32 v[36:37], 1, v[32:33]
	v_cndmask_b32_e64 v21, 0, -1, vcc_lo
	v_cmp_le_u32_e32 vcc_lo, s35, v5
	v_cndmask_b32_e64 v25, 0, -1, vcc_lo
	v_cmp_le_u32_e32 vcc_lo, s34, v12
	v_cndmask_b32_e64 v12, 0, -1, vcc_lo
	v_cmp_le_u32_e32 vcc_lo, s35, v23
	v_cndmask_b32_e64 v31, 0, -1, vcc_lo
	v_cmp_eq_u32_e32 vcc_lo, s35, v5
	v_cndmask_b32_e32 v5, v25, v21, vcc_lo
	v_cmp_eq_u32_e32 vcc_lo, s35, v23
	s_delay_alu instid0(VALU_DEP_4) | instskip(NEXT) | instid1(VALU_DEP_3)
	v_cndmask_b32_e32 v12, v31, v12, vcc_lo
	v_cmp_ne_u32_e32 vcc_lo, 0, v5
	s_delay_alu instid0(VALU_DEP_2) | instskip(SKIP_1) | instid1(VALU_DEP_1)
	v_cmp_ne_u32_e64 s1, 0, v12
	v_dual_cndmask_b32 v5, v37, v35 :: v_dual_cndmask_b32 v12, v36, v34
	v_dual_cndmask_b32 v5, v33, v5, s1 :: v_dual_bitop2_b32 v30, s30, v30 bitop3:0x14
	s_delay_alu instid0(VALU_DEP_1) | instskip(NEXT) | instid1(VALU_DEP_2)
	v_dual_cndmask_b32 v12, v32, v12, s1 :: v_dual_mov_b32 v31, v30
	v_xor_b32_e32 v33, v5, v30
	s_delay_alu instid0(VALU_DEP_2) | instskip(NEXT) | instid1(VALU_DEP_1)
	v_xor_b32_e32 v32, v12, v30
	v_sub_nc_u64_e32 v[30:31], v[32:33], v[30:31]
.LBB48_95:                              ;   in Loop: Header=BB48_93 Depth=1
	s_and_not1_saveexec_b32 s1, s44
	s_cbranch_execz .LBB48_92
; %bb.96:                               ;   in Loop: Header=BB48_93 Depth=1
	v_cvt_f32_u32_e32 v5, s28
	s_sub_co_i32 s20, 0, s28
	v_mov_b32_e32 v31, v24
	s_delay_alu instid0(VALU_DEP_2) | instskip(SKIP_1) | instid1(TRANS32_DEP_1)
	v_rcp_iflag_f32_e32 v5, v5
	v_nop
	v_mul_f32_e32 v5, 0x4f7ffffe, v5
	s_delay_alu instid0(VALU_DEP_1) | instskip(NEXT) | instid1(VALU_DEP_1)
	v_cvt_u32_f32_e32 v5, v5
	v_mul_lo_u32 v12, s20, v5
	s_delay_alu instid0(VALU_DEP_1) | instskip(NEXT) | instid1(VALU_DEP_1)
	v_mul_hi_u32 v12, v5, v12
	v_add_nc_u32_e32 v5, v5, v12
	s_delay_alu instid0(VALU_DEP_1) | instskip(NEXT) | instid1(VALU_DEP_1)
	v_mul_hi_u32 v5, v28, v5
	v_mul_lo_u32 v12, v5, s28
	s_delay_alu instid0(VALU_DEP_1) | instskip(NEXT) | instid1(VALU_DEP_1)
	v_dual_add_nc_u32 v21, 1, v5 :: v_dual_sub_nc_u32 v12, v28, v12
	v_subrev_nc_u32_e32 v23, s28, v12
	v_cmp_le_u32_e32 vcc_lo, s28, v12
	s_delay_alu instid0(VALU_DEP_2) | instskip(NEXT) | instid1(VALU_DEP_1)
	v_dual_cndmask_b32 v12, v12, v23 :: v_dual_cndmask_b32 v5, v5, v21
	v_cmp_le_u32_e32 vcc_lo, s28, v12
	s_delay_alu instid0(VALU_DEP_2) | instskip(NEXT) | instid1(VALU_DEP_1)
	v_add_nc_u32_e32 v21, 1, v5
	v_cndmask_b32_e32 v30, v5, v21, vcc_lo
	s_branch .LBB48_92
.LBB48_97:
                                        ; implicit-def: $sgpr0
                                        ; implicit-def: $sgpr40
                                        ; implicit-def: $sgpr45
                                        ; implicit-def: $sgpr24
                                        ; implicit-def: $vgpr0
	s_and_saveexec_b32 s1, s3
.LBB48_98:
	; divergent unreachable
.LBB48_99:
	s_delay_alu instid0(SALU_CYCLE_1)
	s_or_b32 exec_lo, exec_lo, s1
	s_and_saveexec_b32 s1, s9
	s_cbranch_execz .LBB48_105
; %bb.100:
	s_and_b32 exec_lo, exec_lo, s0
	s_cbranch_execz .LBB48_105
; %bb.101:
	v_dual_mov_b32 v1, 0 :: v_dual_bitop2_b32 v2, s2, v0 bitop3:0x54
	global_store_b32 v2, v1, s[16:17] scale_offset
	s_wait_xcnt 0x0
	s_and_b32 exec_lo, exec_lo, s40
	s_cbranch_execz .LBB48_105
; %bb.102:
	v_add_nc_u32_e32 v0, s2, v0
	global_store_b32 v0, v1, s[16:17] offset:1024 scale_offset
	s_wait_xcnt 0x0
	s_and_b32 exec_lo, exec_lo, s45
	s_cbranch_execz .LBB48_105
; %bb.103:
	v_lshl_add_u64 v[0:1], v[0:1], 2, s[16:17]
	v_mov_b32_e32 v2, 0
	global_store_b32 v[0:1], v2, off offset:2048
	s_wait_xcnt 0x0
	s_and_b32 exec_lo, exec_lo, s24
	s_cbranch_execz .LBB48_105
; %bb.104:
	global_store_b32 v[0:1], v2, off offset:3072
.LBB48_105:
	s_endpgm
.LBB48_106:
	s_or_b32 exec_lo, exec_lo, s37
	s_and_saveexec_b32 s0, s35
	s_cbranch_execnz .LBB48_69
.LBB48_107:
	s_or_b32 exec_lo, exec_lo, s0
	s_mov_b32 s0, 0
	s_and_saveexec_b32 s51, s36
	s_cbranch_execz .LBB48_70
.LBB48_108:
	v_mov_b64_e32 v[2:3], 0
	s_and_not1_b32 vcc_lo, exec_lo, s50
	s_cbranch_vccnz .LBB48_120
; %bb.109:
	s_wait_loadcnt 0x0
	v_dual_mov_b32 v2, v13 :: v_dual_ashrrev_i32 v3, 31, v13
	s_mov_b32 s35, 0
	v_mov_b32_e32 v6, 0
	s_lshl_b64 s[40:41], s[34:35], 3
	s_mov_b64 s[36:37], 0xffffffff
	v_mul_u64_e32 v[10:11], s[6:7], v[2:3]
	v_mov_b64_e32 v[2:3], 0
	s_add_nc_u64 s[38:39], s[10:11], s[40:41]
	s_add_nc_u64 s[40:41], s[12:13], s[40:41]
	s_branch .LBB48_111
.LBB48_110:                             ;   in Loop: Header=BB48_111 Depth=1
	s_or_b32 exec_lo, exec_lo, s0
	s_delay_alu instid0(VALU_DEP_1)
	v_mul_u64_e32 v[14:15], s[42:43], v[12:13]
	s_load_b64 s[42:43], s[40:41], 0x0
	s_add_co_i32 s53, s53, -1
	s_add_nc_u64 s[38:39], s[38:39], -8
	s_cmp_lg_u32 s53, 0
	s_wait_xcnt 0x0
	s_add_nc_u64 s[40:41], s[40:41], -8
	s_delay_alu instid0(VALU_DEP_1) | instskip(SKIP_1) | instid1(VALU_DEP_1)
	v_sub_nc_u64_e32 v[10:11], v[10:11], v[14:15]
	s_wait_kmcnt 0x0
	v_mad_nc_u64_u32 v[2:3], v10, s42, v[2:3]
	s_delay_alu instid0(VALU_DEP_1) | instskip(NEXT) | instid1(VALU_DEP_1)
	v_mad_u32 v1, v11, s42, v3
	v_mad_u32 v3, v10, s43, v1
	v_mov_b64_e32 v[10:11], v[12:13]
	s_cbranch_scc0 .LBB48_120
.LBB48_111:                             ; =>This Inner Loop Header: Depth=1
	s_load_b64 s[42:43], s[38:39], 0x0
                                        ; implicit-def: $vgpr12_vgpr13
	s_mov_b32 s0, exec_lo
	s_wait_kmcnt 0x0
	s_delay_alu instid0(VALU_DEP_1) | instskip(NEXT) | instid1(VALU_DEP_1)
	v_or_b32_e32 v7, s43, v11
	v_cmpx_ne_u64_e32 0, v[6:7]
	s_xor_b32 s50, exec_lo, s0
	s_cbranch_execz .LBB48_113
; %bb.112:                              ;   in Loop: Header=BB48_111 Depth=1
	s_ashr_i32 s44, s43, 31
	v_dual_mov_b32 v17, v6 :: v_dual_ashrrev_i32 v12, 31, v11
	s_mov_b32 s45, s44
	s_delay_alu instid0(SALU_CYCLE_1) | instskip(NEXT) | instid1(VALU_DEP_1)
	s_add_nc_u64 s[46:47], s[42:43], s[44:45]
	v_mov_b32_e32 v13, v12
	s_xor_b64 s[46:47], s[46:47], s[44:45]
	s_delay_alu instid0(SALU_CYCLE_1)
	s_cvt_f32_u32 s0, s46
	s_cvt_f32_u32 s34, s47
	s_sub_nc_u64 s[56:57], 0, s[46:47]
	v_add_nc_u64_e32 v[14:15], v[10:11], v[12:13]
	v_mov_b32_e32 v21, v6
	s_fmamk_f32 s0, s34, 0x4f800000, s0
	s_delay_alu instid0(SALU_CYCLE_3) | instskip(NEXT) | instid1(VALU_DEP_2)
	v_s_rcp_f32 s0, s0
	v_xor_b32_e32 v16, v14, v12
	s_delay_alu instid0(VALU_DEP_3) | instskip(NEXT) | instid1(TRANS32_DEP_1)
	v_dual_mov_b32 v25, v6 :: v_dual_bitop2_b32 v20, v15, v12 bitop3:0x14
	s_mul_f32 s0, s0, 0x5f7ffffc
	s_delay_alu instid0(SALU_CYCLE_3) | instskip(NEXT) | instid1(SALU_CYCLE_3)
	s_mul_f32 s34, s0, 0x2f800000
	s_trunc_f32 s34, s34
	s_delay_alu instid0(SALU_CYCLE_3) | instskip(SKIP_1) | instid1(SALU_CYCLE_2)
	s_fmamk_f32 s0, s34, 0xcf800000, s0
	s_cvt_u32_f32 s55, s34
	s_cvt_u32_f32 s54, s0
	s_delay_alu instid0(SALU_CYCLE_3) | instskip(NEXT) | instid1(SALU_CYCLE_1)
	s_mul_u64 s[58:59], s[56:57], s[54:55]
	s_mul_hi_u32 s61, s54, s59
	s_mul_i32 s60, s54, s59
	s_mul_hi_u32 s34, s54, s58
	s_mul_i32 s45, s55, s58
	s_add_nc_u64 s[60:61], s[34:35], s[60:61]
	s_mul_hi_u32 s0, s55, s58
	s_mul_hi_u32 s62, s55, s59
	s_add_co_u32 s34, s60, s45
	s_add_co_ci_u32 s34, s61, s0
	s_mul_i32 s58, s55, s59
	s_add_co_ci_u32 s59, s62, 0
	s_delay_alu instid0(SALU_CYCLE_1) | instskip(NEXT) | instid1(SALU_CYCLE_1)
	s_add_nc_u64 s[58:59], s[34:35], s[58:59]
	s_add_co_u32 s54, s54, s58
	s_cselect_b32 s0, -1, 0
	s_delay_alu instid0(SALU_CYCLE_1) | instskip(SKIP_1) | instid1(SALU_CYCLE_1)
	s_cmp_lg_u32 s0, 0
	s_add_co_ci_u32 s55, s55, s59
	s_mul_u64 s[56:57], s[56:57], s[54:55]
	s_delay_alu instid0(SALU_CYCLE_1)
	s_mul_hi_u32 s59, s54, s57
	s_mul_i32 s58, s54, s57
	s_mul_hi_u32 s34, s54, s56
	s_mul_i32 s45, s55, s56
	s_add_nc_u64 s[58:59], s[34:35], s[58:59]
	s_mul_hi_u32 s0, s55, s56
	s_mul_hi_u32 s60, s55, s57
	s_add_co_u32 s34, s58, s45
	s_add_co_ci_u32 s34, s59, s0
	s_mul_i32 s56, s55, s57
	s_add_co_ci_u32 s57, s60, 0
	s_delay_alu instid0(SALU_CYCLE_1) | instskip(NEXT) | instid1(SALU_CYCLE_1)
	s_add_nc_u64 s[56:57], s[34:35], s[56:57]
	s_add_co_u32 s0, s54, s56
	s_cselect_b32 s34, -1, 0
	v_mul_hi_u32 v24, v16, s0
	s_cmp_lg_u32 s34, 0
	s_add_co_ci_u32 s34, s55, s57
	s_and_b64 s[54:55], s[0:1], s[36:37]
	v_mul_u64_e32 v[18:19], s[34:35], v[16:17]
	v_mul_u64_e32 v[14:15], s[54:55], v[20:21]
	;; [unrolled: 1-line block ×3, first 2 shown]
	s_delay_alu instid0(VALU_DEP_3) | instskip(NEXT) | instid1(VALU_DEP_1)
	v_add_nc_u64_e32 v[18:19], v[24:25], v[18:19]
	v_add_co_u32 v1, vcc_lo, v18, v14
	s_delay_alu instid0(VALU_DEP_2) | instskip(NEXT) | instid1(VALU_DEP_4)
	v_add_co_ci_u32_e32 v24, vcc_lo, v19, v15, vcc_lo
	v_add_co_ci_u32_e32 v23, vcc_lo, 0, v23, vcc_lo
	s_delay_alu instid0(VALU_DEP_1) | instskip(NEXT) | instid1(VALU_DEP_1)
	v_add_nc_u64_e32 v[14:15], v[24:25], v[22:23]
	v_mul_u64_e32 v[18:19], s[46:47], v[14:15]
	s_delay_alu instid0(VALU_DEP_1) | instskip(NEXT) | instid1(VALU_DEP_2)
	v_sub_nc_u32_e32 v1, v20, v19
	v_sub_co_u32 v4, vcc_lo, v16, v18
	s_delay_alu instid0(VALU_DEP_1) | instskip(NEXT) | instid1(VALU_DEP_3)
	v_sub_co_ci_u32_e64 v8, null, v20, v19, vcc_lo
	v_subrev_co_ci_u32_e64 v1, null, s47, v1, vcc_lo
	s_delay_alu instid0(VALU_DEP_3) | instskip(SKIP_1) | instid1(VALU_DEP_3)
	v_sub_co_u32 v7, s0, v4, s46
	v_add_nc_u64_e32 v[16:17], 2, v[14:15]
	v_subrev_co_ci_u32_e64 v1, null, 0, v1, s0
	s_delay_alu instid0(VALU_DEP_3) | instskip(SKIP_2) | instid1(VALU_DEP_4)
	v_cmp_le_u32_e32 vcc_lo, s46, v7
	v_add_nc_u64_e32 v[18:19], 1, v[14:15]
	v_cndmask_b32_e64 v7, 0, -1, vcc_lo
	v_cmp_le_u32_e32 vcc_lo, s47, v1
	v_cndmask_b32_e64 v13, 0, -1, vcc_lo
	v_cmp_le_u32_e32 vcc_lo, s46, v4
	;; [unrolled: 2-line block ×3, first 2 shown]
	v_cndmask_b32_e64 v20, 0, -1, vcc_lo
	v_cmp_eq_u32_e32 vcc_lo, s47, v1
	v_cndmask_b32_e32 v1, v13, v7, vcc_lo
	v_cmp_eq_u32_e32 vcc_lo, s47, v8
	s_delay_alu instid0(VALU_DEP_4) | instskip(NEXT) | instid1(VALU_DEP_3)
	v_cndmask_b32_e32 v4, v20, v4, vcc_lo
	v_cmp_ne_u32_e32 vcc_lo, 0, v1
	s_delay_alu instid0(VALU_DEP_2) | instskip(SKIP_1) | instid1(VALU_DEP_1)
	v_cmp_ne_u32_e64 s0, 0, v4
	v_dual_cndmask_b32 v1, v19, v17 :: v_dual_cndmask_b32 v4, v18, v16
	v_dual_cndmask_b32 v1, v15, v1, s0 :: v_dual_bitop2_b32 v12, s44, v12 bitop3:0x14
	s_delay_alu instid0(VALU_DEP_1) | instskip(NEXT) | instid1(VALU_DEP_2)
	v_dual_cndmask_b32 v4, v14, v4, s0 :: v_dual_mov_b32 v13, v12
	v_xor_b32_e32 v15, v1, v12
	s_delay_alu instid0(VALU_DEP_2) | instskip(NEXT) | instid1(VALU_DEP_1)
	v_xor_b32_e32 v14, v4, v12
	v_sub_nc_u64_e32 v[12:13], v[14:15], v[12:13]
.LBB48_113:                             ;   in Loop: Header=BB48_111 Depth=1
	s_and_not1_saveexec_b32 s0, s50
	s_cbranch_execz .LBB48_110
; %bb.114:                              ;   in Loop: Header=BB48_111 Depth=1
	v_cvt_f32_u32_e32 v1, s42
	s_sub_co_i32 s34, 0, s42
	v_mov_b32_e32 v13, v6
	s_delay_alu instid0(VALU_DEP_2) | instskip(SKIP_1) | instid1(TRANS32_DEP_1)
	v_rcp_iflag_f32_e32 v1, v1
	v_nop
	v_mul_f32_e32 v1, 0x4f7ffffe, v1
	s_delay_alu instid0(VALU_DEP_1) | instskip(NEXT) | instid1(VALU_DEP_1)
	v_cvt_u32_f32_e32 v1, v1
	v_mul_lo_u32 v4, s34, v1
	s_delay_alu instid0(VALU_DEP_1) | instskip(NEXT) | instid1(VALU_DEP_1)
	v_mul_hi_u32 v4, v1, v4
	v_add_nc_u32_e32 v1, v1, v4
	s_delay_alu instid0(VALU_DEP_1) | instskip(NEXT) | instid1(VALU_DEP_1)
	v_mul_hi_u32 v1, v10, v1
	v_mul_lo_u32 v4, v1, s42
	s_delay_alu instid0(VALU_DEP_1) | instskip(NEXT) | instid1(VALU_DEP_1)
	v_sub_nc_u32_e32 v4, v10, v4
	v_subrev_nc_u32_e32 v8, s42, v4
	v_cmp_le_u32_e32 vcc_lo, s42, v4
	s_delay_alu instid0(VALU_DEP_2) | instskip(NEXT) | instid1(VALU_DEP_1)
	v_dual_cndmask_b32 v4, v4, v8 :: v_dual_add_nc_u32 v7, 1, v1
	v_cndmask_b32_e32 v1, v1, v7, vcc_lo
	s_delay_alu instid0(VALU_DEP_2) | instskip(NEXT) | instid1(VALU_DEP_2)
	v_cmp_le_u32_e32 vcc_lo, s42, v4
	v_add_nc_u32_e32 v7, 1, v1
	s_delay_alu instid0(VALU_DEP_1)
	v_cndmask_b32_e32 v12, v1, v7, vcc_lo
	s_branch .LBB48_110
.LBB48_115:
	s_mov_b32 s21, -1
	s_mov_b32 s19, 0
	s_mov_b32 s1, exec_lo
	v_cmpx_gt_i32_e64 v20, v22
	s_cbranch_execz .LBB48_126
; %bb.116:
	s_wait_loadcnt 0x0
	s_delay_alu instid0(VALU_DEP_2) | instskip(SKIP_2) | instid1(VALU_DEP_1)
	v_lshlrev_b64_e32 v[24:25], 2, v[26:27]
	v_dual_ashrrev_i32 v23, 31, v22 :: v_dual_ashrrev_i32 v21, 31, v20
	s_xor_b32 s21, s36, -1
                                        ; implicit-def: $sgpr20
                                        ; implicit-def: $sgpr23
                                        ; implicit-def: $sgpr22
	v_lshl_add_u64 v[22:23], v[22:23], 2, v[24:25]
	v_add_nc_u64_e32 v[24:25], s[14:15], v[24:25]
	s_delay_alu instid0(VALU_DEP_2) | instskip(NEXT) | instid1(VALU_DEP_2)
	v_add_nc_u64_e32 v[22:23], s[14:15], v[22:23]
	v_lshl_add_u64 v[20:21], v[20:21], 2, v[24:25]
	s_delay_alu instid0(VALU_DEP_2)
	v_add_nc_u64_e32 v[22:23], 4, v[22:23]
	s_branch .LBB48_118
.LBB48_117:                             ;   in Loop: Header=BB48_118 Depth=1
	s_or_b32 exec_lo, exec_lo, s24
	s_delay_alu instid0(SALU_CYCLE_1) | instskip(NEXT) | instid1(SALU_CYCLE_1)
	s_and_b32 s24, exec_lo, s23
	s_or_b32 s19, s24, s19
	s_and_not1_b32 s20, s20, exec_lo
	s_and_b32 s24, s22, exec_lo
	s_delay_alu instid0(SALU_CYCLE_1)
	s_or_b32 s20, s20, s24
	s_and_not1_b32 exec_lo, exec_lo, s19
	s_cbranch_execz .LBB48_125
.LBB48_118:                             ; =>This Inner Loop Header: Depth=1
	s_or_b32 s22, s22, exec_lo
	s_or_b32 s23, s23, exec_lo
	s_mov_b32 s24, exec_lo
	s_delay_alu instid0(VALU_DEP_1)
	v_cmpx_lt_u64_e64 v[22:23], v[20:21]
	s_cbranch_execz .LBB48_117
; %bb.119:                              ;   in Loop: Header=BB48_118 Depth=1
	global_load_b64 v[24:25], v[22:23], off offset:-4
	s_wait_xcnt 0x0
	v_add_nc_u64_e32 v[22:23], 4, v[22:23]
	s_and_not1_b32 s23, s23, exec_lo
	s_and_not1_b32 s22, s22, exec_lo
	s_wait_loadcnt 0x0
	v_cmp_ge_i32_e32 vcc_lo, v24, v25
	s_or_b32 s25, s21, vcc_lo
	s_delay_alu instid0(SALU_CYCLE_1) | instskip(NEXT) | instid1(SALU_CYCLE_1)
	s_and_b32 s25, s25, exec_lo
	s_or_b32 s23, s23, s25
	s_branch .LBB48_117
.LBB48_120:
	s_mov_b32 s34, s52
	s_mov_b32 s0, exec_lo
	v_cmpx_gt_i32_e64 v5, v9
	s_cbranch_execz .LBB48_174
; %bb.121:
	s_delay_alu instid0(VALU_DEP_2)
	v_lshlrev_b64_e32 v[2:3], 2, v[2:3]
	v_dual_mov_b32 v6, v9 :: v_dual_ashrrev_i32 v7, 31, v9
	s_wait_loadcnt 0x0
	v_dual_mov_b32 v10, v5 :: v_dual_ashrrev_i32 v11, 31, v5
	s_mov_b32 s34, 0
	s_xor_b32 s36, s49, -1
	s_delay_alu instid0(VALU_DEP_3) | instskip(SKIP_1) | instid1(VALU_DEP_2)
	v_lshl_add_u64 v[6:7], v[6:7], 2, v[2:3]
	v_add_nc_u64_e32 v[8:9], s[14:15], v[2:3]
                                        ; implicit-def: $sgpr35
                                        ; implicit-def: $sgpr38
                                        ; implicit-def: $sgpr37
	v_add_nc_u64_e32 v[6:7], s[14:15], v[6:7]
	s_delay_alu instid0(VALU_DEP_2) | instskip(NEXT) | instid1(VALU_DEP_2)
	v_lshl_add_u64 v[4:5], v[10:11], 2, v[8:9]
	v_add_nc_u64_e32 v[2:3], 4, v[6:7]
	s_branch .LBB48_123
.LBB48_122:                             ;   in Loop: Header=BB48_123 Depth=1
	s_or_b32 exec_lo, exec_lo, s39
	s_xor_b32 s39, s37, -1
	s_and_b32 s40, exec_lo, s38
	s_delay_alu instid0(SALU_CYCLE_1) | instskip(SKIP_2) | instid1(SALU_CYCLE_1)
	s_or_b32 s34, s40, s34
	s_and_not1_b32 s35, s35, exec_lo
	s_and_b32 s39, s39, exec_lo
	s_or_b32 s35, s35, s39
	s_and_not1_b32 exec_lo, exec_lo, s34
	s_cbranch_execz .LBB48_173
.LBB48_123:                             ; =>This Inner Loop Header: Depth=1
	s_or_b32 s37, s37, exec_lo
	s_or_b32 s38, s38, exec_lo
	s_mov_b32 s39, exec_lo
	s_delay_alu instid0(VALU_DEP_1)
	v_cmpx_lt_u64_e64 v[2:3], v[4:5]
	s_cbranch_execz .LBB48_122
; %bb.124:                              ;   in Loop: Header=BB48_123 Depth=1
	global_load_b64 v[6:7], v[2:3], off offset:-4
	s_wait_xcnt 0x0
	v_add_nc_u64_e32 v[2:3], 4, v[2:3]
	s_and_not1_b32 s38, s38, exec_lo
	s_and_not1_b32 s37, s37, exec_lo
	s_wait_loadcnt 0x0
	v_cmp_ge_i32_e32 vcc_lo, v6, v7
	s_or_b32 s40, s36, vcc_lo
	s_delay_alu instid0(SALU_CYCLE_1) | instskip(NEXT) | instid1(SALU_CYCLE_1)
	s_and_b32 s40, s40, exec_lo
	s_or_b32 s38, s38, s40
	s_branch .LBB48_122
.LBB48_125:
	s_or_b32 exec_lo, exec_lo, s19
	s_delay_alu instid0(SALU_CYCLE_1)
	s_mov_b32 s19, exec_lo
	s_or_not1_b32 s21, s20, exec_lo
.LBB48_126:
	s_or_b32 exec_lo, exec_lo, s1
	s_delay_alu instid0(SALU_CYCLE_1)
	s_and_b32 s20, s19, exec_lo
	s_xor_b32 s19, exec_lo, -1
	s_and_b32 s1, s21, exec_lo
.LBB48_127:
	s_or_b32 exec_lo, exec_lo, s43
	s_delay_alu instid0(SALU_CYCLE_1)
	s_and_b32 s21, s20, exec_lo
	s_and_b32 s20, s19, exec_lo
	s_xor_b32 s19, exec_lo, -1
	s_and_b32 s1, s1, exec_lo
.LBB48_128:
	s_or_b32 exec_lo, exec_lo, s41
	s_delay_alu instid0(SALU_CYCLE_1)
	s_and_b32 s22, s21, exec_lo
	s_and_b32 s21, s20, exec_lo
	;; [unrolled: 1-line block ×3, first 2 shown]
	s_xor_b32 s19, exec_lo, -1
	s_and_b32 s1, s1, exec_lo
.LBB48_129:
	s_or_b32 exec_lo, exec_lo, s40
	s_delay_alu instid0(SALU_CYCLE_1)
	s_and_b32 s41, s22, exec_lo
	s_and_b32 s43, s21, exec_lo
	;; [unrolled: 1-line block ×4, first 2 shown]
	s_or_not1_b32 s1, s1, exec_lo
.LBB48_130:
	s_or_b32 exec_lo, exec_lo, s9
	s_mov_b32 s9, 0
                                        ; implicit-def: $sgpr40
                                        ; implicit-def: $sgpr45
                                        ; implicit-def: $sgpr24
	s_and_saveexec_b32 s47, s1
	s_cbranch_execz .LBB48_142
; %bb.131:
	v_cmp_gt_i32_e64 s40, s5, v15
	s_mov_b32 s1, -1
	s_mov_b32 s52, 0
	s_mov_b32 s48, s46
	;; [unrolled: 1-line block ×4, first 2 shown]
	s_and_saveexec_b32 s45, s40
	s_cbranch_execz .LBB48_181
; %bb.132:
	s_wait_loadcnt 0x4
	v_cmp_eq_u32_e32 vcc_lo, s33, v19
	s_mov_b32 s19, -1
	s_mov_b32 s1, 0
	s_mov_b32 s21, s44
	;; [unrolled: 1-line block ×3, first 2 shown]
	s_and_b32 s23, s42, vcc_lo
	s_mov_b32 s20, 0
	s_and_saveexec_b32 s9, s23
	s_cbranch_execz .LBB48_180
; %bb.133:
	s_wait_loadcnt 0x3
	v_cmp_eq_u32_e32 vcc_lo, s6, v17
	s_mov_b32 s21, s43
	s_and_b32 s22, s39, vcc_lo
	s_delay_alu instid0(SALU_CYCLE_1)
	s_and_saveexec_b32 s48, s22
	s_cbranch_execz .LBB48_179
; %bb.134:
	s_wait_loadcnt 0x1
	v_sub_nc_u32_e32 v5, v14, v16
	s_delay_alu instid0(VALU_DEP_1)
	v_cmp_le_i32_e32 vcc_lo, s33, v5
	v_cmp_ge_i32_e64 s1, s4, v5
	s_and_b32 s20, vcc_lo, s1
	s_mov_b32 s1, 0
	s_and_b32 s21, s38, s20
	s_mov_b32 s20, 0
	s_and_saveexec_b32 s49, s21
	s_cbranch_execz .LBB48_178
; %bb.135:
	v_mov_b64_e32 v[20:21], 0
	s_and_not1_b32 vcc_lo, exec_lo, s37
	s_cbranch_vccnz .LBB48_168
; %bb.136:
	s_wait_loadcnt 0x0
	v_ashrrev_i32_e32 v19, 31, v18
	s_mov_b32 s21, 0
	v_mov_b64_e32 v[20:21], 0
	s_mov_b32 s19, s21
	s_mov_b64 s[22:23], 0xffffffff
	v_mul_u64_e32 v[22:23], s[6:7], v[18:19]
	v_mov_b32_e32 v18, 0
	s_lshl_b64 s[26:27], s[18:19], 3
	s_mov_b32 s19, s8
	s_add_nc_u64 s[24:25], s[10:11], s[26:27]
	s_add_nc_u64 s[26:27], s[12:13], s[26:27]
	s_branch .LBB48_138
.LBB48_137:                             ;   in Loop: Header=BB48_138 Depth=1
	s_or_b32 exec_lo, exec_lo, s1
	s_delay_alu instid0(VALU_DEP_1)
	v_mul_u64_e32 v[26:27], s[28:29], v[24:25]
	s_load_b64 s[28:29], s[26:27], 0x0
	s_add_co_i32 s19, s19, -1
	s_add_nc_u64 s[24:25], s[24:25], -8
	s_cmp_lg_u32 s19, 0
	s_wait_xcnt 0x0
	s_add_nc_u64 s[26:27], s[26:27], -8
	s_delay_alu instid0(VALU_DEP_1) | instskip(SKIP_1) | instid1(VALU_DEP_1)
	v_sub_nc_u64_e32 v[22:23], v[22:23], v[26:27]
	s_wait_kmcnt 0x0
	v_mad_nc_u64_u32 v[20:21], v22, s28, v[20:21]
	s_delay_alu instid0(VALU_DEP_1) | instskip(NEXT) | instid1(VALU_DEP_1)
	v_mad_u32 v5, v23, s28, v21
	v_mad_u32 v21, v22, s29, v5
	v_mov_b64_e32 v[22:23], v[24:25]
	s_cbranch_scc0 .LBB48_168
.LBB48_138:                             ; =>This Inner Loop Header: Depth=1
	s_load_b64 s[28:29], s[24:25], 0x0
                                        ; implicit-def: $vgpr24_vgpr25
	s_mov_b32 s1, exec_lo
	s_wait_kmcnt 0x0
	s_delay_alu instid0(VALU_DEP_1) | instskip(NEXT) | instid1(VALU_DEP_1)
	v_or_b32_e32 v19, s29, v23
	v_cmpx_ne_u64_e32 0, v[18:19]
	s_xor_b32 s50, exec_lo, s1
	s_cbranch_execz .LBB48_140
; %bb.139:                              ;   in Loop: Header=BB48_138 Depth=1
	s_ashr_i32 s30, s29, 31
	v_dual_mov_b32 v29, v18 :: v_dual_ashrrev_i32 v24, 31, v23
	s_mov_b32 s31, s30
	s_delay_alu instid0(SALU_CYCLE_1) | instskip(NEXT) | instid1(VALU_DEP_1)
	s_add_nc_u64 s[34:35], s[28:29], s[30:31]
	v_mov_b32_e32 v25, v24
	s_xor_b64 s[34:35], s[34:35], s[30:31]
	s_delay_alu instid0(SALU_CYCLE_1)
	s_cvt_f32_u32 s1, s34
	s_cvt_f32_u32 s20, s35
	s_sub_nc_u64 s[56:57], 0, s[34:35]
	v_add_nc_u64_e32 v[26:27], v[22:23], v[24:25]
	v_mov_b32_e32 v33, v18
	s_fmamk_f32 s1, s20, 0x4f800000, s1
	s_delay_alu instid0(SALU_CYCLE_3) | instskip(NEXT) | instid1(VALU_DEP_2)
	v_s_rcp_f32 s1, s1
	v_xor_b32_e32 v28, v26, v24
	s_delay_alu instid0(VALU_DEP_3) | instskip(NEXT) | instid1(TRANS32_DEP_1)
	v_dual_mov_b32 v37, v18 :: v_dual_bitop2_b32 v32, v27, v24 bitop3:0x14
	s_mul_f32 s1, s1, 0x5f7ffffc
	s_delay_alu instid0(SALU_CYCLE_3) | instskip(NEXT) | instid1(SALU_CYCLE_3)
	s_mul_f32 s20, s1, 0x2f800000
	s_trunc_f32 s20, s20
	s_delay_alu instid0(SALU_CYCLE_3) | instskip(SKIP_1) | instid1(SALU_CYCLE_2)
	s_fmamk_f32 s1, s20, 0xcf800000, s1
	s_cvt_u32_f32 s55, s20
	s_cvt_u32_f32 s54, s1
	s_delay_alu instid0(SALU_CYCLE_3) | instskip(NEXT) | instid1(SALU_CYCLE_1)
	s_mul_u64 s[58:59], s[56:57], s[54:55]
	s_mul_hi_u32 s61, s54, s59
	s_mul_i32 s60, s54, s59
	s_mul_hi_u32 s20, s54, s58
	s_mul_i32 s31, s55, s58
	s_add_nc_u64 s[60:61], s[20:21], s[60:61]
	s_mul_hi_u32 s1, s55, s58
	s_mul_hi_u32 s51, s55, s59
	s_add_co_u32 s20, s60, s31
	s_add_co_ci_u32 s20, s61, s1
	s_mul_i32 s58, s55, s59
	s_add_co_ci_u32 s59, s51, 0
	s_delay_alu instid0(SALU_CYCLE_1) | instskip(NEXT) | instid1(SALU_CYCLE_1)
	s_add_nc_u64 s[58:59], s[20:21], s[58:59]
	s_add_co_u32 s54, s54, s58
	s_cselect_b32 s1, -1, 0
	s_delay_alu instid0(SALU_CYCLE_1) | instskip(SKIP_1) | instid1(SALU_CYCLE_1)
	s_cmp_lg_u32 s1, 0
	s_add_co_ci_u32 s55, s55, s59
	s_mul_u64 s[56:57], s[56:57], s[54:55]
	s_delay_alu instid0(SALU_CYCLE_1)
	s_mul_hi_u32 s59, s54, s57
	s_mul_i32 s58, s54, s57
	s_mul_hi_u32 s20, s54, s56
	s_mul_i32 s31, s55, s56
	s_add_nc_u64 s[58:59], s[20:21], s[58:59]
	s_mul_hi_u32 s1, s55, s56
	s_mul_hi_u32 s51, s55, s57
	s_add_co_u32 s20, s58, s31
	s_add_co_ci_u32 s20, s59, s1
	s_mul_i32 s56, s55, s57
	s_add_co_ci_u32 s57, s51, 0
	s_delay_alu instid0(SALU_CYCLE_1) | instskip(NEXT) | instid1(SALU_CYCLE_1)
	s_add_nc_u64 s[56:57], s[20:21], s[56:57]
	s_add_co_u32 s54, s54, s56
	s_cselect_b32 s1, -1, 0
	v_mul_hi_u32 v36, v28, s54
	s_cmp_lg_u32 s1, 0
	s_add_co_ci_u32 s20, s55, s57
	s_and_b64 s[56:57], s[54:55], s[22:23]
	v_mul_u64_e32 v[30:31], s[20:21], v[28:29]
	v_mul_u64_e32 v[26:27], s[56:57], v[32:33]
	;; [unrolled: 1-line block ×3, first 2 shown]
	s_delay_alu instid0(VALU_DEP_3) | instskip(NEXT) | instid1(VALU_DEP_1)
	v_add_nc_u64_e32 v[30:31], v[36:37], v[30:31]
	v_add_co_u32 v5, vcc_lo, v30, v26
	s_delay_alu instid0(VALU_DEP_2) | instskip(NEXT) | instid1(VALU_DEP_4)
	v_add_co_ci_u32_e32 v36, vcc_lo, v31, v27, vcc_lo
	v_add_co_ci_u32_e32 v35, vcc_lo, 0, v35, vcc_lo
	s_delay_alu instid0(VALU_DEP_1) | instskip(NEXT) | instid1(VALU_DEP_1)
	v_add_nc_u64_e32 v[26:27], v[36:37], v[34:35]
	v_mul_u64_e32 v[30:31], s[34:35], v[26:27]
	s_delay_alu instid0(VALU_DEP_1) | instskip(NEXT) | instid1(VALU_DEP_2)
	v_sub_nc_u32_e32 v5, v32, v31
	v_sub_co_u32 v12, vcc_lo, v28, v30
	s_delay_alu instid0(VALU_DEP_1) | instskip(NEXT) | instid1(VALU_DEP_3)
	v_sub_co_ci_u32_e64 v17, null, v32, v31, vcc_lo
	v_subrev_co_ci_u32_e64 v5, null, s35, v5, vcc_lo
	s_delay_alu instid0(VALU_DEP_3) | instskip(SKIP_1) | instid1(VALU_DEP_3)
	v_sub_co_u32 v15, s1, v12, s34
	v_add_nc_u64_e32 v[28:29], 2, v[26:27]
	v_subrev_co_ci_u32_e64 v5, null, 0, v5, s1
	s_delay_alu instid0(VALU_DEP_3) | instskip(SKIP_2) | instid1(VALU_DEP_4)
	v_cmp_le_u32_e32 vcc_lo, s34, v15
	v_add_nc_u64_e32 v[30:31], 1, v[26:27]
	v_cndmask_b32_e64 v15, 0, -1, vcc_lo
	v_cmp_le_u32_e32 vcc_lo, s35, v5
	v_cndmask_b32_e64 v19, 0, -1, vcc_lo
	v_cmp_le_u32_e32 vcc_lo, s34, v12
	;; [unrolled: 2-line block ×3, first 2 shown]
	v_cndmask_b32_e64 v25, 0, -1, vcc_lo
	v_cmp_eq_u32_e32 vcc_lo, s35, v5
	v_cndmask_b32_e32 v5, v19, v15, vcc_lo
	v_cmp_eq_u32_e32 vcc_lo, s35, v17
	s_delay_alu instid0(VALU_DEP_4) | instskip(NEXT) | instid1(VALU_DEP_3)
	v_cndmask_b32_e32 v12, v25, v12, vcc_lo
	v_cmp_ne_u32_e32 vcc_lo, 0, v5
	s_delay_alu instid0(VALU_DEP_2) | instskip(SKIP_1) | instid1(VALU_DEP_1)
	v_cmp_ne_u32_e64 s1, 0, v12
	v_dual_cndmask_b32 v5, v31, v29 :: v_dual_cndmask_b32 v12, v30, v28
	v_dual_cndmask_b32 v5, v27, v5, s1 :: v_dual_bitop2_b32 v24, s30, v24 bitop3:0x14
	s_delay_alu instid0(VALU_DEP_1) | instskip(NEXT) | instid1(VALU_DEP_2)
	v_dual_cndmask_b32 v12, v26, v12, s1 :: v_dual_mov_b32 v25, v24
	v_xor_b32_e32 v27, v5, v24
	s_delay_alu instid0(VALU_DEP_2) | instskip(NEXT) | instid1(VALU_DEP_1)
	v_xor_b32_e32 v26, v12, v24
	v_sub_nc_u64_e32 v[24:25], v[26:27], v[24:25]
.LBB48_140:                             ;   in Loop: Header=BB48_138 Depth=1
	s_and_not1_saveexec_b32 s1, s50
	s_cbranch_execz .LBB48_137
; %bb.141:                              ;   in Loop: Header=BB48_138 Depth=1
	v_cvt_f32_u32_e32 v5, s28
	s_sub_co_i32 s20, 0, s28
	v_mov_b32_e32 v25, v18
	s_delay_alu instid0(VALU_DEP_2) | instskip(SKIP_1) | instid1(TRANS32_DEP_1)
	v_rcp_iflag_f32_e32 v5, v5
	v_nop
	v_mul_f32_e32 v5, 0x4f7ffffe, v5
	s_delay_alu instid0(VALU_DEP_1) | instskip(NEXT) | instid1(VALU_DEP_1)
	v_cvt_u32_f32_e32 v5, v5
	v_mul_lo_u32 v12, s20, v5
	s_delay_alu instid0(VALU_DEP_1) | instskip(NEXT) | instid1(VALU_DEP_1)
	v_mul_hi_u32 v12, v5, v12
	v_add_nc_u32_e32 v5, v5, v12
	s_delay_alu instid0(VALU_DEP_1) | instskip(NEXT) | instid1(VALU_DEP_1)
	v_mul_hi_u32 v5, v22, v5
	v_mul_lo_u32 v12, v5, s28
	s_delay_alu instid0(VALU_DEP_1) | instskip(NEXT) | instid1(VALU_DEP_1)
	v_dual_add_nc_u32 v15, 1, v5 :: v_dual_sub_nc_u32 v12, v22, v12
	v_subrev_nc_u32_e32 v17, s28, v12
	v_cmp_le_u32_e32 vcc_lo, s28, v12
	s_delay_alu instid0(VALU_DEP_2) | instskip(NEXT) | instid1(VALU_DEP_1)
	v_dual_cndmask_b32 v12, v12, v17 :: v_dual_cndmask_b32 v5, v5, v15
	v_cmp_le_u32_e32 vcc_lo, s28, v12
	s_delay_alu instid0(VALU_DEP_2) | instskip(NEXT) | instid1(VALU_DEP_1)
	v_add_nc_u32_e32 v15, 1, v5
	v_cndmask_b32_e32 v24, v5, v15, vcc_lo
	s_branch .LBB48_137
.LBB48_142:
	s_or_b32 exec_lo, exec_lo, s47
	s_and_saveexec_b32 s1, s46
	s_cbranch_execnz .LBB48_209
.LBB48_143:
	s_or_b32 exec_lo, exec_lo, s1
	s_mov_b32 s1, 0
	s_and_saveexec_b32 s5, s48
	s_delay_alu instid0(SALU_CYCLE_1)
	s_xor_b32 s5, exec_lo, s5
; %bb.144:
	v_cmp_ne_u32_e32 vcc_lo, s6, v1
	s_xor_b32 s19, s39, -1
	s_and_not1_b32 s20, s44, exec_lo
	s_mov_b32 s1, exec_lo
	s_or_b32 s19, s19, vcc_lo
	s_delay_alu instid0(SALU_CYCLE_1) | instskip(NEXT) | instid1(SALU_CYCLE_1)
	s_and_b32 s19, s19, exec_lo
	s_or_b32 s44, s20, s19
; %bb.145:
	s_or_b32 exec_lo, exec_lo, s5
	s_and_saveexec_b32 s5, s44
	s_cbranch_execnz .LBB48_211
.LBB48_146:
	s_or_b32 exec_lo, exec_lo, s5
	s_mov_b32 s5, 0
	s_and_saveexec_b32 s19, s1
	s_delay_alu instid0(SALU_CYCLE_1)
	s_xor_b32 s19, exec_lo, s19
	s_cbranch_execz .LBB48_151
; %bb.147:
	v_sub_nc_u32_e32 v1, v4, v2
	s_mov_b32 s5, exec_lo
	s_delay_alu instid0(VALU_DEP_1) | instskip(SKIP_3) | instid1(SALU_CYCLE_1)
	v_cmp_le_i32_e32 vcc_lo, s33, v1
	v_cmp_ge_i32_e64 s1, s4, v1
	s_and_not1_b32 s4, s43, exec_lo
	s_and_b32 s1, vcc_lo, s1
	s_and_b32 s1, s38, s1
	s_delay_alu instid0(SALU_CYCLE_1) | instskip(NEXT) | instid1(SALU_CYCLE_1)
	s_xor_b32 s1, s1, -1
	s_and_b32 s1, s1, exec_lo
	s_delay_alu instid0(SALU_CYCLE_1)
	s_or_b32 s43, s4, s1
	s_or_b32 exec_lo, exec_lo, s19
	s_and_saveexec_b32 s1, s43
	s_cbranch_execz .LBB48_152
.LBB48_148:
	s_or_b32 s3, s3, exec_lo
	s_and_not1_b32 s5, s5, exec_lo
	s_trap 2
	s_or_b32 exec_lo, exec_lo, s1
	s_and_saveexec_b32 s25, s5
	s_cbranch_execnz .LBB48_153
.LBB48_149:
	s_or_b32 exec_lo, exec_lo, s25
	s_and_saveexec_b32 s1, s41
	s_cbranch_execnz .LBB48_167
.LBB48_150:
	s_or_b32 exec_lo, exec_lo, s1
	s_and_saveexec_b32 s1, s3
	s_cbranch_execnz .LBB48_98
	s_branch .LBB48_99
.LBB48_151:
	s_or_b32 exec_lo, exec_lo, s19
	s_and_saveexec_b32 s1, s43
	s_cbranch_execnz .LBB48_148
.LBB48_152:
	s_or_b32 exec_lo, exec_lo, s1
	s_and_saveexec_b32 s25, s5
	s_cbranch_execz .LBB48_149
.LBB48_153:
	v_mov_b64_e32 v[8:9], 0
	s_and_not1_b32 vcc_lo, exec_lo, s37
	s_cbranch_vccnz .LBB48_160
; %bb.154:
	v_mul_u64_e32 v[10:11], s[6:7], v[6:7]
	v_mov_b64_e32 v[8:9], 0
	s_mov_b32 s19, 0
	v_mov_b32_e32 v6, 0
	s_lshl_b64 s[20:21], s[18:19], 3
	s_mov_b64 s[4:5], 0xffffffff
	s_add_nc_u64 s[6:7], s[10:11], s[20:21]
	s_add_nc_u64 s[10:11], s[12:13], s[20:21]
	s_branch .LBB48_156
.LBB48_155:                             ;   in Loop: Header=BB48_156 Depth=1
	s_or_b32 exec_lo, exec_lo, s1
	s_wait_loadcnt 0x1
	s_delay_alu instid0(VALU_DEP_1)
	v_mul_u64_e32 v[14:15], s[12:13], v[12:13]
	s_load_b64 s[12:13], s[10:11], 0x0
	s_add_co_i32 s8, s8, -1
	s_add_nc_u64 s[6:7], s[6:7], -8
	s_cmp_lg_u32 s8, 0
	s_wait_xcnt 0x0
	s_add_nc_u64 s[10:11], s[10:11], -8
	s_delay_alu instid0(VALU_DEP_1) | instskip(SKIP_1) | instid1(VALU_DEP_1)
	v_sub_nc_u64_e32 v[10:11], v[10:11], v[14:15]
	s_wait_kmcnt 0x0
	v_mad_nc_u64_u32 v[8:9], v10, s12, v[8:9]
	s_delay_alu instid0(VALU_DEP_1) | instskip(NEXT) | instid1(VALU_DEP_1)
	v_mad_u32 v1, v11, s12, v9
	v_mad_u32 v9, v10, s13, v1
	v_mov_b64_e32 v[10:11], v[12:13]
	s_cbranch_scc0 .LBB48_160
.LBB48_156:                             ; =>This Inner Loop Header: Depth=1
	s_load_b64 s[12:13], s[6:7], 0x0
                                        ; implicit-def: $vgpr12_vgpr13
	s_mov_b32 s1, exec_lo
	s_wait_kmcnt 0x0
	s_delay_alu instid0(VALU_DEP_1) | instskip(NEXT) | instid1(VALU_DEP_1)
	v_or_b32_e32 v7, s13, v11
	v_cmpx_ne_u64_e32 0, v[6:7]
	s_xor_b32 s26, exec_lo, s1
	s_cbranch_execz .LBB48_158
; %bb.157:                              ;   in Loop: Header=BB48_156 Depth=1
	s_ashr_i32 s20, s13, 31
	s_wait_loadcnt 0x3
	v_dual_mov_b32 v17, v6 :: v_dual_ashrrev_i32 v12, 31, v11
	s_mov_b32 s21, s20
	s_delay_alu instid0(SALU_CYCLE_1) | instskip(NEXT) | instid1(VALU_DEP_1)
	s_add_nc_u64 s[22:23], s[12:13], s[20:21]
	v_mov_b32_e32 v13, v12
	s_xor_b64 s[22:23], s[22:23], s[20:21]
	s_delay_alu instid0(SALU_CYCLE_1)
	s_cvt_f32_u32 s1, s22
	s_cvt_f32_u32 s18, s23
	s_sub_nc_u64 s[30:31], 0, s[22:23]
	s_wait_loadcnt 0x1
	v_add_nc_u64_e32 v[14:15], v[10:11], v[12:13]
	v_mov_b32_e32 v21, v6
	s_fmamk_f32 s1, s18, 0x4f800000, s1
	s_delay_alu instid0(SALU_CYCLE_3) | instskip(NEXT) | instid1(VALU_DEP_2)
	v_s_rcp_f32 s1, s1
	v_xor_b32_e32 v16, v14, v12
	s_delay_alu instid0(VALU_DEP_3) | instskip(NEXT) | instid1(TRANS32_DEP_1)
	v_dual_mov_b32 v25, v6 :: v_dual_bitop2_b32 v20, v15, v12 bitop3:0x14
	s_mul_f32 s1, s1, 0x5f7ffffc
	s_delay_alu instid0(SALU_CYCLE_3) | instskip(NEXT) | instid1(SALU_CYCLE_3)
	s_mul_f32 s18, s1, 0x2f800000
	s_trunc_f32 s18, s18
	s_delay_alu instid0(SALU_CYCLE_3) | instskip(SKIP_1) | instid1(SALU_CYCLE_2)
	s_fmamk_f32 s1, s18, 0xcf800000, s1
	s_cvt_u32_f32 s29, s18
	s_cvt_u32_f32 s28, s1
	s_delay_alu instid0(SALU_CYCLE_3) | instskip(NEXT) | instid1(SALU_CYCLE_1)
	s_mul_u64 s[34:35], s[30:31], s[28:29]
	s_mul_hi_u32 s39, s28, s35
	s_mul_i32 s38, s28, s35
	s_mul_hi_u32 s18, s28, s34
	s_mul_i32 s21, s29, s34
	s_add_nc_u64 s[38:39], s[18:19], s[38:39]
	s_mul_hi_u32 s1, s29, s34
	s_mul_hi_u32 s27, s29, s35
	s_add_co_u32 s18, s38, s21
	s_add_co_ci_u32 s18, s39, s1
	s_mul_i32 s34, s29, s35
	s_add_co_ci_u32 s35, s27, 0
	s_delay_alu instid0(SALU_CYCLE_1) | instskip(NEXT) | instid1(SALU_CYCLE_1)
	s_add_nc_u64 s[34:35], s[18:19], s[34:35]
	s_add_co_u32 s28, s28, s34
	s_cselect_b32 s1, -1, 0
	s_delay_alu instid0(SALU_CYCLE_1) | instskip(SKIP_1) | instid1(SALU_CYCLE_1)
	s_cmp_lg_u32 s1, 0
	s_add_co_ci_u32 s29, s29, s35
	s_mul_u64 s[30:31], s[30:31], s[28:29]
	s_delay_alu instid0(SALU_CYCLE_1)
	s_mul_hi_u32 s35, s28, s31
	s_mul_i32 s34, s28, s31
	s_mul_hi_u32 s18, s28, s30
	s_mul_i32 s21, s29, s30
	s_add_nc_u64 s[34:35], s[18:19], s[34:35]
	s_mul_hi_u32 s1, s29, s30
	s_mul_hi_u32 s27, s29, s31
	s_add_co_u32 s18, s34, s21
	s_add_co_ci_u32 s18, s35, s1
	s_mul_i32 s30, s29, s31
	s_add_co_ci_u32 s31, s27, 0
	s_delay_alu instid0(SALU_CYCLE_1) | instskip(NEXT) | instid1(SALU_CYCLE_1)
	s_add_nc_u64 s[30:31], s[18:19], s[30:31]
	s_add_co_u32 s28, s28, s30
	s_cselect_b32 s1, -1, 0
	s_wait_loadcnt 0x0
	v_mul_hi_u32 v24, v16, s28
	s_cmp_lg_u32 s1, 0
	s_add_co_ci_u32 s18, s29, s31
	s_and_b64 s[30:31], s[28:29], s[4:5]
	v_mul_u64_e32 v[18:19], s[18:19], v[16:17]
	v_mul_u64_e32 v[14:15], s[30:31], v[20:21]
	;; [unrolled: 1-line block ×3, first 2 shown]
	s_delay_alu instid0(VALU_DEP_3) | instskip(NEXT) | instid1(VALU_DEP_1)
	v_add_nc_u64_e32 v[18:19], v[24:25], v[18:19]
	v_add_co_u32 v1, vcc_lo, v18, v14
	s_delay_alu instid0(VALU_DEP_2) | instskip(NEXT) | instid1(VALU_DEP_4)
	v_add_co_ci_u32_e32 v24, vcc_lo, v19, v15, vcc_lo
	v_add_co_ci_u32_e32 v23, vcc_lo, 0, v23, vcc_lo
	s_delay_alu instid0(VALU_DEP_1) | instskip(NEXT) | instid1(VALU_DEP_1)
	v_add_nc_u64_e32 v[14:15], v[24:25], v[22:23]
	v_mul_u64_e32 v[18:19], s[22:23], v[14:15]
	s_delay_alu instid0(VALU_DEP_1) | instskip(NEXT) | instid1(VALU_DEP_2)
	v_sub_nc_u32_e32 v1, v20, v19
	v_sub_co_u32 v3, vcc_lo, v16, v18
	s_delay_alu instid0(VALU_DEP_1) | instskip(NEXT) | instid1(VALU_DEP_3)
	v_sub_co_ci_u32_e64 v7, null, v20, v19, vcc_lo
	v_subrev_co_ci_u32_e64 v1, null, s23, v1, vcc_lo
	s_delay_alu instid0(VALU_DEP_3) | instskip(SKIP_1) | instid1(VALU_DEP_3)
	v_sub_co_u32 v5, s1, v3, s22
	v_add_nc_u64_e32 v[16:17], 2, v[14:15]
	v_subrev_co_ci_u32_e64 v1, null, 0, v1, s1
	s_delay_alu instid0(VALU_DEP_3) | instskip(SKIP_2) | instid1(VALU_DEP_4)
	v_cmp_le_u32_e32 vcc_lo, s22, v5
	v_add_nc_u64_e32 v[18:19], 1, v[14:15]
	v_cndmask_b32_e64 v5, 0, -1, vcc_lo
	v_cmp_le_u32_e32 vcc_lo, s23, v1
	v_cndmask_b32_e64 v13, 0, -1, vcc_lo
	v_cmp_le_u32_e32 vcc_lo, s22, v3
	v_cndmask_b32_e64 v3, 0, -1, vcc_lo
	v_cmp_le_u32_e32 vcc_lo, s23, v7
	v_cndmask_b32_e64 v20, 0, -1, vcc_lo
	v_cmp_eq_u32_e32 vcc_lo, s23, v1
	v_cndmask_b32_e32 v1, v13, v5, vcc_lo
	v_cmp_eq_u32_e32 vcc_lo, s23, v7
	s_delay_alu instid0(VALU_DEP_4) | instskip(NEXT) | instid1(VALU_DEP_3)
	v_cndmask_b32_e32 v3, v20, v3, vcc_lo
	v_cmp_ne_u32_e32 vcc_lo, 0, v1
	s_delay_alu instid0(VALU_DEP_2) | instskip(SKIP_1) | instid1(VALU_DEP_1)
	v_cmp_ne_u32_e64 s1, 0, v3
	v_dual_cndmask_b32 v1, v19, v17, vcc_lo :: v_dual_cndmask_b32 v3, v18, v16, vcc_lo
	v_dual_cndmask_b32 v1, v15, v1, s1 :: v_dual_bitop2_b32 v12, s20, v12 bitop3:0x14
	s_delay_alu instid0(VALU_DEP_1) | instskip(NEXT) | instid1(VALU_DEP_2)
	v_dual_cndmask_b32 v3, v14, v3, s1 :: v_dual_mov_b32 v13, v12
	v_xor_b32_e32 v15, v1, v12
	s_delay_alu instid0(VALU_DEP_2) | instskip(NEXT) | instid1(VALU_DEP_1)
	v_xor_b32_e32 v14, v3, v12
	v_sub_nc_u64_e32 v[12:13], v[14:15], v[12:13]
.LBB48_158:                             ;   in Loop: Header=BB48_156 Depth=1
	s_and_not1_saveexec_b32 s1, s26
	s_cbranch_execz .LBB48_155
; %bb.159:                              ;   in Loop: Header=BB48_156 Depth=1
	v_cvt_f32_u32_e32 v1, s12
	s_sub_co_i32 s18, 0, s12
	v_mov_b32_e32 v13, v6
	s_delay_alu instid0(VALU_DEP_2) | instskip(SKIP_1) | instid1(TRANS32_DEP_1)
	v_rcp_iflag_f32_e32 v1, v1
	v_nop
	v_mul_f32_e32 v1, 0x4f7ffffe, v1
	s_delay_alu instid0(VALU_DEP_1) | instskip(NEXT) | instid1(VALU_DEP_1)
	v_cvt_u32_f32_e32 v1, v1
	v_mul_lo_u32 v3, s18, v1
	s_delay_alu instid0(VALU_DEP_1) | instskip(NEXT) | instid1(VALU_DEP_1)
	v_mul_hi_u32 v3, v1, v3
	v_add_nc_u32_e32 v1, v1, v3
	s_delay_alu instid0(VALU_DEP_1) | instskip(NEXT) | instid1(VALU_DEP_1)
	v_mul_hi_u32 v1, v10, v1
	v_mul_lo_u32 v3, v1, s12
	s_delay_alu instid0(VALU_DEP_1) | instskip(NEXT) | instid1(VALU_DEP_1)
	v_sub_nc_u32_e32 v3, v10, v3
	v_subrev_nc_u32_e32 v7, s12, v3
	v_cmp_le_u32_e32 vcc_lo, s12, v3
	s_delay_alu instid0(VALU_DEP_2) | instskip(NEXT) | instid1(VALU_DEP_1)
	v_dual_add_nc_u32 v5, 1, v1 :: v_dual_cndmask_b32 v3, v3, v7, vcc_lo
	v_cndmask_b32_e32 v1, v1, v5, vcc_lo
	s_delay_alu instid0(VALU_DEP_2) | instskip(NEXT) | instid1(VALU_DEP_2)
	v_cmp_le_u32_e32 vcc_lo, s12, v3
	v_add_nc_u32_e32 v5, 1, v1
	s_delay_alu instid0(VALU_DEP_1)
	v_cndmask_b32_e32 v12, v1, v5, vcc_lo
	s_branch .LBB48_155
.LBB48_160:
	s_mov_b32 s4, s41
	s_mov_b32 s1, exec_lo
	v_cmpx_gt_i32_e64 v4, v2
	s_cbranch_execz .LBB48_166
; %bb.161:
	s_delay_alu instid0(VALU_DEP_2) | instskip(SKIP_3) | instid1(VALU_DEP_1)
	v_lshlrev_b64_e32 v[6:7], 2, v[8:9]
	v_dual_ashrrev_i32 v3, 31, v2 :: v_dual_ashrrev_i32 v5, 31, v4
	s_mov_b32 s4, 0
	s_xor_b32 s6, s36, -1
                                        ; implicit-def: $sgpr5
                                        ; implicit-def: $sgpr8
                                        ; implicit-def: $sgpr7
	v_lshl_add_u64 v[2:3], v[2:3], 2, v[6:7]
	v_add_nc_u64_e32 v[6:7], s[14:15], v[6:7]
	s_delay_alu instid0(VALU_DEP_2) | instskip(NEXT) | instid1(VALU_DEP_2)
	v_add_nc_u64_e32 v[2:3], s[14:15], v[2:3]
	v_lshl_add_u64 v[4:5], v[4:5], 2, v[6:7]
	s_delay_alu instid0(VALU_DEP_2)
	v_add_nc_u64_e32 v[2:3], 4, v[2:3]
	s_branch .LBB48_163
.LBB48_162:                             ;   in Loop: Header=BB48_163 Depth=1
	s_or_b32 exec_lo, exec_lo, s10
	s_xor_b32 s10, s7, -1
	s_and_b32 s11, exec_lo, s8
	s_delay_alu instid0(SALU_CYCLE_1) | instskip(SKIP_2) | instid1(SALU_CYCLE_1)
	s_or_b32 s4, s11, s4
	s_and_not1_b32 s5, s5, exec_lo
	s_and_b32 s10, s10, exec_lo
	s_or_b32 s5, s5, s10
	s_and_not1_b32 exec_lo, exec_lo, s4
	s_cbranch_execz .LBB48_165
.LBB48_163:                             ; =>This Inner Loop Header: Depth=1
	s_or_b32 s7, s7, exec_lo
	s_or_b32 s8, s8, exec_lo
	s_mov_b32 s10, exec_lo
	s_delay_alu instid0(VALU_DEP_1)
	v_cmpx_lt_u64_e64 v[2:3], v[4:5]
	s_cbranch_execz .LBB48_162
; %bb.164:                              ;   in Loop: Header=BB48_163 Depth=1
	global_load_b64 v[6:7], v[2:3], off offset:-4
	s_wait_xcnt 0x0
	v_add_nc_u64_e32 v[2:3], 4, v[2:3]
	s_and_not1_b32 s8, s8, exec_lo
	s_and_not1_b32 s7, s7, exec_lo
	s_wait_loadcnt 0x0
	v_cmp_ge_i32_e32 vcc_lo, v6, v7
	s_or_b32 s11, s6, vcc_lo
	s_delay_alu instid0(SALU_CYCLE_1) | instskip(NEXT) | instid1(SALU_CYCLE_1)
	s_and_b32 s11, s11, exec_lo
	s_or_b32 s8, s8, s11
	s_branch .LBB48_162
.LBB48_165:
	s_or_b32 exec_lo, exec_lo, s4
	s_delay_alu instid0(SALU_CYCLE_1) | instskip(SKIP_1) | instid1(SALU_CYCLE_1)
	s_and_not1_b32 s4, s41, exec_lo
	s_and_b32 s5, s5, exec_lo
	s_or_b32 s4, s4, s5
.LBB48_166:
	s_or_b32 exec_lo, exec_lo, s1
	s_delay_alu instid0(SALU_CYCLE_1)
	s_and_not1_b32 s1, s41, exec_lo
	s_and_b32 s4, s4, exec_lo
	s_or_b32 s9, s9, exec_lo
	s_or_b32 s41, s1, s4
	s_or_b32 exec_lo, exec_lo, s25
	s_and_saveexec_b32 s1, s41
	s_cbranch_execz .LBB48_150
.LBB48_167:
	s_and_not1_b32 s9, s9, exec_lo
	s_or_b32 s3, s3, exec_lo
	s_trap 2
	s_or_b32 exec_lo, exec_lo, s1
	s_and_saveexec_b32 s1, s3
	s_cbranch_execnz .LBB48_98
	s_branch .LBB48_99
.LBB48_168:
	s_mov_b32 s21, -1
	s_mov_b32 s19, 0
	s_mov_b32 s1, exec_lo
	v_cmpx_gt_i32_e64 v14, v16
	s_cbranch_execz .LBB48_177
; %bb.169:
	s_wait_loadcnt 0x0
	s_delay_alu instid0(VALU_DEP_2) | instskip(SKIP_2) | instid1(VALU_DEP_1)
	v_lshlrev_b64_e32 v[18:19], 2, v[20:21]
	v_dual_ashrrev_i32 v17, 31, v16 :: v_dual_ashrrev_i32 v15, 31, v14
	s_xor_b32 s21, s36, -1
                                        ; implicit-def: $sgpr20
                                        ; implicit-def: $sgpr23
                                        ; implicit-def: $sgpr22
	v_lshl_add_u64 v[16:17], v[16:17], 2, v[18:19]
	v_add_nc_u64_e32 v[18:19], s[14:15], v[18:19]
	s_delay_alu instid0(VALU_DEP_2) | instskip(NEXT) | instid1(VALU_DEP_2)
	v_add_nc_u64_e32 v[16:17], s[14:15], v[16:17]
	v_lshl_add_u64 v[14:15], v[14:15], 2, v[18:19]
	s_delay_alu instid0(VALU_DEP_2)
	v_add_nc_u64_e32 v[16:17], 4, v[16:17]
	s_branch .LBB48_171
.LBB48_170:                             ;   in Loop: Header=BB48_171 Depth=1
	s_or_b32 exec_lo, exec_lo, s24
	s_delay_alu instid0(SALU_CYCLE_1) | instskip(NEXT) | instid1(SALU_CYCLE_1)
	s_and_b32 s24, exec_lo, s23
	s_or_b32 s19, s24, s19
	s_and_not1_b32 s20, s20, exec_lo
	s_and_b32 s24, s22, exec_lo
	s_delay_alu instid0(SALU_CYCLE_1)
	s_or_b32 s20, s20, s24
	s_and_not1_b32 exec_lo, exec_lo, s19
	s_cbranch_execz .LBB48_176
.LBB48_171:                             ; =>This Inner Loop Header: Depth=1
	s_or_b32 s22, s22, exec_lo
	s_or_b32 s23, s23, exec_lo
	s_mov_b32 s24, exec_lo
	s_delay_alu instid0(VALU_DEP_1)
	v_cmpx_lt_u64_e64 v[16:17], v[14:15]
	s_cbranch_execz .LBB48_170
; %bb.172:                              ;   in Loop: Header=BB48_171 Depth=1
	global_load_b64 v[18:19], v[16:17], off offset:-4
	s_wait_xcnt 0x0
	v_add_nc_u64_e32 v[16:17], 4, v[16:17]
	s_and_not1_b32 s23, s23, exec_lo
	s_and_not1_b32 s22, s22, exec_lo
	s_wait_loadcnt 0x0
	v_cmp_ge_i32_e32 vcc_lo, v18, v19
	s_or_b32 s25, s21, vcc_lo
	s_delay_alu instid0(SALU_CYCLE_1) | instskip(NEXT) | instid1(SALU_CYCLE_1)
	s_and_b32 s25, s25, exec_lo
	s_or_b32 s23, s23, s25
	s_branch .LBB48_170
.LBB48_173:
	s_or_b32 exec_lo, exec_lo, s34
	s_delay_alu instid0(SALU_CYCLE_1) | instskip(SKIP_1) | instid1(SALU_CYCLE_1)
	s_and_not1_b32 s34, s52, exec_lo
	s_and_b32 s35, s35, exec_lo
	s_or_b32 s34, s34, s35
.LBB48_174:
	s_or_b32 exec_lo, exec_lo, s0
	s_delay_alu instid0(SALU_CYCLE_1)
	s_and_not1_b32 s35, s52, exec_lo
	s_and_b32 s34, s34, exec_lo
	s_mov_b32 s0, exec_lo
	s_or_b32 s52, s35, s34
	s_or_b32 exec_lo, exec_lo, s51
	s_and_saveexec_b32 s34, s52
	s_cbranch_execz .LBB48_71
.LBB48_175:
	s_or_b32 s3, s3, exec_lo
	s_and_not1_b32 s0, s0, exec_lo
	s_trap 2
	s_or_b32 exec_lo, exec_lo, s34
	s_and_saveexec_b32 s34, s0
	s_delay_alu instid0(SALU_CYCLE_1)
	s_xor_b32 s0, exec_lo, s34
	s_cbranch_execnz .LBB48_72
	s_branch .LBB48_73
.LBB48_176:
	s_or_b32 exec_lo, exec_lo, s19
	s_delay_alu instid0(SALU_CYCLE_1)
	s_mov_b32 s19, exec_lo
	s_or_not1_b32 s21, s20, exec_lo
.LBB48_177:
	s_or_b32 exec_lo, exec_lo, s1
	s_delay_alu instid0(SALU_CYCLE_1)
	s_and_b32 s20, s19, exec_lo
	s_xor_b32 s19, exec_lo, -1
	s_and_b32 s1, s21, exec_lo
.LBB48_178:
	s_or_b32 exec_lo, exec_lo, s49
	s_delay_alu instid0(SALU_CYCLE_1)
	s_and_not1_b32 s21, s43, exec_lo
	s_and_b32 s19, s19, exec_lo
	s_and_b32 s20, s20, exec_lo
	s_or_b32 s21, s21, s19
	s_xor_b32 s19, exec_lo, -1
	s_and_b32 s1, s1, exec_lo
.LBB48_179:
	s_or_b32 exec_lo, exec_lo, s48
	s_delay_alu instid0(SALU_CYCLE_1)
	s_and_not1_b32 s22, s43, exec_lo
	s_and_b32 s21, s21, exec_lo
	s_and_not1_b32 s23, s44, exec_lo
	s_and_b32 s19, s19, exec_lo
	s_and_b32 s20, s20, exec_lo
	s_or_b32 s22, s22, s21
	s_or_b32 s21, s23, s19
	s_xor_b32 s19, exec_lo, -1
	s_and_b32 s1, s1, exec_lo
.LBB48_180:
	s_or_b32 exec_lo, exec_lo, s9
	s_delay_alu instid0(SALU_CYCLE_1)
	s_and_not1_b32 s23, s43, exec_lo
	s_and_b32 s22, s22, exec_lo
	s_and_b32 s9, s20, exec_lo
	s_or_b32 s49, s23, s22
	s_and_not1_b32 s20, s44, exec_lo
	s_and_b32 s21, s21, exec_lo
	s_and_not1_b32 s22, s46, exec_lo
	s_and_b32 s19, s19, exec_lo
	s_or_b32 s50, s20, s21
	s_or_b32 s48, s22, s19
	s_or_not1_b32 s1, s1, exec_lo
.LBB48_181:
	s_or_b32 exec_lo, exec_lo, s45
	s_mov_b32 s21, 0
                                        ; implicit-def: $sgpr45
                                        ; implicit-def: $sgpr24
	s_and_saveexec_b32 s51, s1
	s_cbranch_execz .LBB48_208
; %bb.182:
	v_or_b32_e32 v5, 0x200, v0
	s_mov_b32 s25, -1
	s_mov_b32 s52, 0
	s_mov_b32 s1, s48
	;; [unrolled: 1-line block ×3, first 2 shown]
	v_cmp_gt_i32_e64 s45, s5, v5
	s_mov_b32 s19, s49
	s_and_saveexec_b32 s53, s45
	s_cbranch_execz .LBB48_203
; %bb.183:
	v_cmp_eq_u32_e32 vcc_lo, s33, v11
	s_mov_b32 s1, -1
	s_mov_b32 s22, 0
	s_mov_b32 s23, s50
	;; [unrolled: 1-line block ×3, first 2 shown]
	s_and_b32 s20, s42, vcc_lo
	s_mov_b32 s19, 0
	s_and_saveexec_b32 s54, s20
	s_cbranch_execz .LBB48_202
; %bb.184:
	v_cmp_eq_u32_e32 vcc_lo, s6, v9
	s_mov_b32 s20, 0
	s_mov_b32 s21, s49
	s_and_b32 s19, s39, vcc_lo
	s_delay_alu instid0(SALU_CYCLE_1)
	s_and_saveexec_b32 s55, s19
	s_cbranch_execz .LBB48_201
; %bb.185:
	v_sub_nc_u32_e32 v5, v8, v10
	s_mov_b32 s20, -1
	s_mov_b32 s19, 0
	s_delay_alu instid0(VALU_DEP_1) | instskip(SKIP_2) | instid1(SALU_CYCLE_1)
	v_cmp_le_i32_e32 vcc_lo, s33, v5
	v_cmp_ge_i32_e64 s1, s4, v5
	s_and_b32 s1, vcc_lo, s1
	s_and_b32 s21, s38, s1
	s_mov_b32 s1, 0
	s_and_saveexec_b32 s56, s21
	s_cbranch_execz .LBB48_200
; %bb.186:
	s_wait_loadcnt 0x1
	v_mov_b64_e32 v[14:15], 0
	s_and_not1_b32 vcc_lo, exec_lo, s37
	s_cbranch_vccnz .LBB48_193
; %bb.187:
	v_dual_mov_b32 v14, v13 :: v_dual_ashrrev_i32 v15, 31, v13
	s_mov_b32 s21, 0
	v_mov_b32_e32 v12, 0
	s_mov_b32 s19, s21
	s_mov_b64 s[22:23], 0xffffffff
	v_mul_u64_e32 v[16:17], s[6:7], v[14:15]
	v_mov_b64_e32 v[14:15], 0
	s_lshl_b64 s[26:27], s[18:19], 3
	s_mov_b32 s19, s8
	s_add_nc_u64 s[24:25], s[10:11], s[26:27]
	s_add_nc_u64 s[26:27], s[12:13], s[26:27]
	s_branch .LBB48_189
.LBB48_188:                             ;   in Loop: Header=BB48_189 Depth=1
	s_or_b32 exec_lo, exec_lo, s1
	s_wait_loadcnt 0x0
	s_delay_alu instid0(VALU_DEP_1)
	v_mul_u64_e32 v[20:21], s[28:29], v[18:19]
	s_load_b64 s[28:29], s[26:27], 0x0
	s_add_co_i32 s19, s19, -1
	s_add_nc_u64 s[24:25], s[24:25], -8
	s_cmp_lg_u32 s19, 0
	s_wait_xcnt 0x0
	s_add_nc_u64 s[26:27], s[26:27], -8
	s_delay_alu instid0(VALU_DEP_1) | instskip(SKIP_1) | instid1(VALU_DEP_1)
	v_sub_nc_u64_e32 v[16:17], v[16:17], v[20:21]
	s_wait_kmcnt 0x0
	v_mad_nc_u64_u32 v[14:15], v16, s28, v[14:15]
	s_delay_alu instid0(VALU_DEP_1) | instskip(NEXT) | instid1(VALU_DEP_1)
	v_mad_u32 v5, v17, s28, v15
	v_mad_u32 v15, v16, s29, v5
	v_mov_b64_e32 v[16:17], v[18:19]
	s_cbranch_scc0 .LBB48_193
.LBB48_189:                             ; =>This Inner Loop Header: Depth=1
	s_load_b64 s[28:29], s[24:25], 0x0
                                        ; implicit-def: $vgpr18_vgpr19
	s_mov_b32 s1, exec_lo
	s_wait_kmcnt 0x0
	s_delay_alu instid0(VALU_DEP_1) | instskip(NEXT) | instid1(VALU_DEP_1)
	v_or_b32_e32 v13, s29, v17
	v_cmpx_ne_u64_e32 0, v[12:13]
	s_xor_b32 s57, exec_lo, s1
	s_cbranch_execz .LBB48_191
; %bb.190:                              ;   in Loop: Header=BB48_189 Depth=1
	s_ashr_i32 s30, s29, 31
	s_wait_loadcnt 0x0
	v_dual_mov_b32 v23, v12 :: v_dual_ashrrev_i32 v18, 31, v17
	s_mov_b32 s31, s30
	s_delay_alu instid0(SALU_CYCLE_1) | instskip(NEXT) | instid1(VALU_DEP_1)
	s_add_nc_u64 s[34:35], s[28:29], s[30:31]
	v_mov_b32_e32 v19, v18
	s_xor_b64 s[34:35], s[34:35], s[30:31]
	s_delay_alu instid0(SALU_CYCLE_1)
	s_cvt_f32_u32 s1, s34
	s_cvt_f32_u32 s20, s35
	s_sub_nc_u64 s[60:61], 0, s[34:35]
	v_add_nc_u64_e32 v[20:21], v[16:17], v[18:19]
	v_mov_b32_e32 v27, v12
	s_fmamk_f32 s1, s20, 0x4f800000, s1
	s_delay_alu instid0(SALU_CYCLE_3) | instskip(NEXT) | instid1(VALU_DEP_2)
	v_s_rcp_f32 s1, s1
	v_xor_b32_e32 v22, v20, v18
	s_delay_alu instid0(VALU_DEP_3) | instskip(NEXT) | instid1(TRANS32_DEP_1)
	v_dual_mov_b32 v31, v12 :: v_dual_bitop2_b32 v26, v21, v18 bitop3:0x14
	s_mul_f32 s1, s1, 0x5f7ffffc
	s_delay_alu instid0(SALU_CYCLE_3) | instskip(NEXT) | instid1(SALU_CYCLE_3)
	s_mul_f32 s20, s1, 0x2f800000
	s_trunc_f32 s20, s20
	s_delay_alu instid0(SALU_CYCLE_3) | instskip(SKIP_1) | instid1(SALU_CYCLE_2)
	s_fmamk_f32 s1, s20, 0xcf800000, s1
	s_cvt_u32_f32 s59, s20
	s_cvt_u32_f32 s58, s1
	s_delay_alu instid0(SALU_CYCLE_3) | instskip(NEXT) | instid1(SALU_CYCLE_1)
	s_mul_u64 s[62:63], s[60:61], s[58:59]
	s_mul_hi_u32 s65, s58, s63
	s_mul_i32 s64, s58, s63
	s_mul_hi_u32 s20, s58, s62
	s_mul_i32 s31, s59, s62
	s_add_nc_u64 s[64:65], s[20:21], s[64:65]
	s_mul_hi_u32 s1, s59, s62
	s_mul_hi_u32 s66, s59, s63
	s_add_co_u32 s20, s64, s31
	s_add_co_ci_u32 s20, s65, s1
	s_mul_i32 s62, s59, s63
	s_add_co_ci_u32 s63, s66, 0
	s_delay_alu instid0(SALU_CYCLE_1) | instskip(NEXT) | instid1(SALU_CYCLE_1)
	s_add_nc_u64 s[62:63], s[20:21], s[62:63]
	s_add_co_u32 s58, s58, s62
	s_cselect_b32 s1, -1, 0
	s_delay_alu instid0(SALU_CYCLE_1) | instskip(SKIP_1) | instid1(SALU_CYCLE_1)
	s_cmp_lg_u32 s1, 0
	s_add_co_ci_u32 s59, s59, s63
	s_mul_u64 s[60:61], s[60:61], s[58:59]
	s_delay_alu instid0(SALU_CYCLE_1)
	s_mul_hi_u32 s63, s58, s61
	s_mul_i32 s62, s58, s61
	s_mul_hi_u32 s20, s58, s60
	s_mul_i32 s31, s59, s60
	s_add_nc_u64 s[62:63], s[20:21], s[62:63]
	s_mul_hi_u32 s1, s59, s60
	s_mul_hi_u32 s64, s59, s61
	s_add_co_u32 s20, s62, s31
	s_add_co_ci_u32 s20, s63, s1
	s_mul_i32 s60, s59, s61
	s_add_co_ci_u32 s61, s64, 0
	s_delay_alu instid0(SALU_CYCLE_1) | instskip(NEXT) | instid1(SALU_CYCLE_1)
	s_add_nc_u64 s[60:61], s[20:21], s[60:61]
	s_add_co_u32 s58, s58, s60
	s_cselect_b32 s1, -1, 0
	v_mul_hi_u32 v30, v22, s58
	s_cmp_lg_u32 s1, 0
	s_add_co_ci_u32 s20, s59, s61
	s_and_b64 s[60:61], s[58:59], s[22:23]
	v_mul_u64_e32 v[24:25], s[20:21], v[22:23]
	v_mul_u64_e32 v[20:21], s[60:61], v[26:27]
	;; [unrolled: 1-line block ×3, first 2 shown]
	s_delay_alu instid0(VALU_DEP_3) | instskip(NEXT) | instid1(VALU_DEP_1)
	v_add_nc_u64_e32 v[24:25], v[30:31], v[24:25]
	v_add_co_u32 v5, vcc_lo, v24, v20
	s_delay_alu instid0(VALU_DEP_2) | instskip(NEXT) | instid1(VALU_DEP_4)
	v_add_co_ci_u32_e32 v30, vcc_lo, v25, v21, vcc_lo
	v_add_co_ci_u32_e32 v29, vcc_lo, 0, v29, vcc_lo
	s_delay_alu instid0(VALU_DEP_1) | instskip(NEXT) | instid1(VALU_DEP_1)
	v_add_nc_u64_e32 v[20:21], v[30:31], v[28:29]
	v_mul_u64_e32 v[24:25], s[34:35], v[20:21]
	s_delay_alu instid0(VALU_DEP_1) | instskip(NEXT) | instid1(VALU_DEP_2)
	v_sub_nc_u32_e32 v5, v26, v25
	v_sub_co_u32 v9, vcc_lo, v22, v24
	s_delay_alu instid0(VALU_DEP_1) | instskip(NEXT) | instid1(VALU_DEP_3)
	v_sub_co_ci_u32_e64 v13, null, v26, v25, vcc_lo
	v_subrev_co_ci_u32_e64 v5, null, s35, v5, vcc_lo
	s_delay_alu instid0(VALU_DEP_3) | instskip(SKIP_1) | instid1(VALU_DEP_3)
	v_sub_co_u32 v11, s1, v9, s34
	v_add_nc_u64_e32 v[22:23], 2, v[20:21]
	v_subrev_co_ci_u32_e64 v5, null, 0, v5, s1
	s_delay_alu instid0(VALU_DEP_3) | instskip(SKIP_2) | instid1(VALU_DEP_4)
	v_cmp_le_u32_e32 vcc_lo, s34, v11
	v_add_nc_u64_e32 v[24:25], 1, v[20:21]
	v_cndmask_b32_e64 v11, 0, -1, vcc_lo
	v_cmp_le_u32_e32 vcc_lo, s35, v5
	v_cndmask_b32_e64 v19, 0, -1, vcc_lo
	v_cmp_le_u32_e32 vcc_lo, s34, v9
	;; [unrolled: 2-line block ×3, first 2 shown]
	v_cndmask_b32_e64 v26, 0, -1, vcc_lo
	v_cmp_eq_u32_e32 vcc_lo, s35, v5
	v_cndmask_b32_e32 v5, v19, v11, vcc_lo
	v_cmp_eq_u32_e32 vcc_lo, s35, v13
	s_delay_alu instid0(VALU_DEP_4) | instskip(NEXT) | instid1(VALU_DEP_3)
	v_cndmask_b32_e32 v9, v26, v9, vcc_lo
	v_cmp_ne_u32_e32 vcc_lo, 0, v5
	s_delay_alu instid0(VALU_DEP_2) | instskip(SKIP_1) | instid1(VALU_DEP_1)
	v_cmp_ne_u32_e64 s1, 0, v9
	v_dual_cndmask_b32 v5, v25, v23, vcc_lo :: v_dual_cndmask_b32 v9, v24, v22, vcc_lo
	v_dual_cndmask_b32 v5, v21, v5, s1 :: v_dual_bitop2_b32 v18, s30, v18 bitop3:0x14
	s_delay_alu instid0(VALU_DEP_1) | instskip(NEXT) | instid1(VALU_DEP_2)
	v_dual_cndmask_b32 v9, v20, v9, s1 :: v_dual_mov_b32 v19, v18
	v_xor_b32_e32 v21, v5, v18
	s_delay_alu instid0(VALU_DEP_2) | instskip(NEXT) | instid1(VALU_DEP_1)
	v_xor_b32_e32 v20, v9, v18
	v_sub_nc_u64_e32 v[18:19], v[20:21], v[18:19]
.LBB48_191:                             ;   in Loop: Header=BB48_189 Depth=1
	s_and_not1_saveexec_b32 s1, s57
	s_cbranch_execz .LBB48_188
; %bb.192:                              ;   in Loop: Header=BB48_189 Depth=1
	v_cvt_f32_u32_e32 v5, s28
	s_sub_co_i32 s20, 0, s28
	v_mov_b32_e32 v19, v12
	s_delay_alu instid0(VALU_DEP_2) | instskip(SKIP_1) | instid1(TRANS32_DEP_1)
	v_rcp_iflag_f32_e32 v5, v5
	v_nop
	v_mul_f32_e32 v5, 0x4f7ffffe, v5
	s_delay_alu instid0(VALU_DEP_1) | instskip(NEXT) | instid1(VALU_DEP_1)
	v_cvt_u32_f32_e32 v5, v5
	v_mul_lo_u32 v9, s20, v5
	s_delay_alu instid0(VALU_DEP_1) | instskip(NEXT) | instid1(VALU_DEP_1)
	v_mul_hi_u32 v9, v5, v9
	v_add_nc_u32_e32 v5, v5, v9
	s_delay_alu instid0(VALU_DEP_1) | instskip(NEXT) | instid1(VALU_DEP_1)
	v_mul_hi_u32 v5, v16, v5
	v_mul_lo_u32 v9, v5, s28
	v_add_nc_u32_e32 v11, 1, v5
	s_delay_alu instid0(VALU_DEP_2) | instskip(NEXT) | instid1(VALU_DEP_1)
	v_sub_nc_u32_e32 v9, v16, v9
	v_subrev_nc_u32_e32 v13, s28, v9
	v_cmp_le_u32_e32 vcc_lo, s28, v9
	s_delay_alu instid0(VALU_DEP_2) | instskip(SKIP_1) | instid1(VALU_DEP_2)
	v_cndmask_b32_e32 v9, v9, v13, vcc_lo
	v_cndmask_b32_e32 v5, v5, v11, vcc_lo
	v_cmp_le_u32_e32 vcc_lo, s28, v9
	s_delay_alu instid0(VALU_DEP_2) | instskip(SKIP_1) | instid1(VALU_DEP_1)
	v_add_nc_u32_e32 v11, 1, v5
	s_wait_loadcnt 0x0
	v_cndmask_b32_e32 v18, v5, v11, vcc_lo
	s_branch .LBB48_188
.LBB48_193:
	s_mov_b32 s19, -1
	s_mov_b32 s21, 0
	s_mov_b32 s1, exec_lo
	v_cmpx_gt_i32_e64 v8, v10
	s_cbranch_execz .LBB48_199
; %bb.194:
	s_delay_alu instid0(VALU_DEP_2) | instskip(SKIP_3) | instid1(VALU_DEP_1)
	v_lshlrev_b64_e32 v[12:13], 2, v[14:15]
	v_dual_ashrrev_i32 v11, 31, v10 :: v_dual_ashrrev_i32 v9, 31, v8
	s_mov_b32 s19, 0
	s_xor_b32 s21, s36, -1
                                        ; implicit-def: $sgpr20
                                        ; implicit-def: $sgpr23
                                        ; implicit-def: $sgpr22
	v_lshl_add_u64 v[10:11], v[10:11], 2, v[12:13]
	v_add_nc_u64_e32 v[12:13], s[14:15], v[12:13]
	s_delay_alu instid0(VALU_DEP_2) | instskip(NEXT) | instid1(VALU_DEP_2)
	v_add_nc_u64_e32 v[10:11], s[14:15], v[10:11]
	v_lshl_add_u64 v[8:9], v[8:9], 2, v[12:13]
	s_delay_alu instid0(VALU_DEP_2)
	v_add_nc_u64_e32 v[10:11], 4, v[10:11]
	s_branch .LBB48_196
.LBB48_195:                             ;   in Loop: Header=BB48_196 Depth=1
	s_or_b32 exec_lo, exec_lo, s24
	s_delay_alu instid0(SALU_CYCLE_1) | instskip(NEXT) | instid1(SALU_CYCLE_1)
	s_and_b32 s24, exec_lo, s23
	s_or_b32 s19, s24, s19
	s_and_not1_b32 s20, s20, exec_lo
	s_and_b32 s24, s22, exec_lo
	s_delay_alu instid0(SALU_CYCLE_1)
	s_or_b32 s20, s20, s24
	s_and_not1_b32 exec_lo, exec_lo, s19
	s_cbranch_execz .LBB48_198
.LBB48_196:                             ; =>This Inner Loop Header: Depth=1
	s_or_b32 s22, s22, exec_lo
	s_or_b32 s23, s23, exec_lo
	s_mov_b32 s24, exec_lo
	s_delay_alu instid0(VALU_DEP_1)
	v_cmpx_lt_u64_e64 v[10:11], v[8:9]
	s_cbranch_execz .LBB48_195
; %bb.197:                              ;   in Loop: Header=BB48_196 Depth=1
	global_load_b64 v[12:13], v[10:11], off offset:-4
	s_wait_xcnt 0x0
	v_add_nc_u64_e32 v[10:11], 4, v[10:11]
	s_and_not1_b32 s23, s23, exec_lo
	s_and_not1_b32 s22, s22, exec_lo
	s_wait_loadcnt 0x0
	v_cmp_ge_i32_e32 vcc_lo, v12, v13
	s_or_b32 s25, s21, vcc_lo
	s_delay_alu instid0(SALU_CYCLE_1) | instskip(NEXT) | instid1(SALU_CYCLE_1)
	s_and_b32 s25, s25, exec_lo
	s_or_b32 s23, s23, s25
	s_branch .LBB48_195
.LBB48_198:
	s_or_b32 exec_lo, exec_lo, s19
	s_delay_alu instid0(SALU_CYCLE_1)
	s_mov_b32 s21, exec_lo
	s_or_not1_b32 s19, s20, exec_lo
.LBB48_199:
	s_or_b32 exec_lo, exec_lo, s1
	s_delay_alu instid0(SALU_CYCLE_1)
	s_and_b32 s1, s21, exec_lo
	s_xor_b32 s20, exec_lo, -1
	s_and_b32 s19, s19, exec_lo
.LBB48_200:
	s_or_b32 exec_lo, exec_lo, s56
	s_delay_alu instid0(SALU_CYCLE_1)
	s_and_not1_b32 s21, s49, exec_lo
	s_and_b32 s20, s20, exec_lo
	s_and_b32 s22, s1, exec_lo
	s_or_b32 s21, s21, s20
	s_xor_b32 s1, exec_lo, -1
	s_and_b32 s20, s19, exec_lo
.LBB48_201:
	s_or_b32 exec_lo, exec_lo, s55
	s_delay_alu instid0(SALU_CYCLE_1)
	s_and_b32 s19, s22, exec_lo
	s_and_not1_b32 s22, s49, exec_lo
	s_and_b32 s21, s21, exec_lo
	s_and_not1_b32 s23, s50, exec_lo
	s_and_b32 s1, s1, exec_lo
	s_or_b32 s21, s22, s21
	s_or_b32 s23, s23, s1
	s_xor_b32 s1, exec_lo, -1
	s_and_b32 s22, s20, exec_lo
.LBB48_202:
	s_or_b32 exec_lo, exec_lo, s54
	s_delay_alu instid0(SALU_CYCLE_1)
	s_and_not1_b32 s20, s49, exec_lo
	s_and_b32 s24, s21, exec_lo
	s_and_b32 s21, s19, exec_lo
	s_or_b32 s19, s20, s24
	s_and_not1_b32 s20, s50, exec_lo
	s_and_b32 s23, s23, exec_lo
	s_and_not1_b32 s24, s48, exec_lo
	s_and_b32 s1, s1, exec_lo
	s_or_b32 s20, s20, s23
	s_or_b32 s1, s24, s1
	s_or_not1_b32 s25, s22, exec_lo
.LBB48_203:
	s_or_b32 exec_lo, exec_lo, s53
	s_mov_b32 s23, 0
                                        ; implicit-def: $sgpr24
	s_and_saveexec_b32 s22, s25
	s_cbranch_execz .LBB48_207
; %bb.204:
	v_or_b32_e32 v5, 0x300, v0
	s_mov_b32 s23, -1
	s_mov_b32 s25, s1
	s_delay_alu instid0(VALU_DEP_1) | instskip(SKIP_2) | instid1(SALU_CYCLE_1)
	v_cmp_gt_i32_e64 s24, s5, v5
	s_mov_b32 s5, 0
	s_and_saveexec_b32 s26, s24
	s_xor_b32 s26, exec_lo, s26
; %bb.205:
	v_cmp_ne_u32_e32 vcc_lo, s33, v3
	s_xor_b32 s23, s42, -1
	s_and_not1_b32 s25, s1, exec_lo
	s_mov_b32 s5, exec_lo
	s_or_b32 s23, s23, vcc_lo
	s_delay_alu instid0(SALU_CYCLE_1)
	s_and_b32 s27, s23, exec_lo
	s_xor_b32 s23, exec_lo, -1
	s_or_b32 s25, s25, s27
; %bb.206:
	s_or_b32 exec_lo, exec_lo, s26
	s_delay_alu instid0(SALU_CYCLE_1)
	s_and_not1_b32 s1, s1, exec_lo
	s_and_b32 s25, s25, exec_lo
	s_and_b32 s23, s23, exec_lo
	s_and_not1_b32 s21, s21, exec_lo
	s_and_b32 s52, s5, exec_lo
	s_or_b32 s1, s1, s25
.LBB48_207:
	s_or_b32 exec_lo, exec_lo, s22
	s_delay_alu instid0(SALU_CYCLE_1)
	s_and_not1_b32 s5, s9, exec_lo
	s_and_b32 s9, s21, exec_lo
	s_and_b32 s19, s19, exec_lo
	s_or_b32 s9, s5, s9
	s_and_not1_b32 s5, s49, exec_lo
	s_and_not1_b32 s22, s50, exec_lo
	s_and_b32 s20, s20, exec_lo
	s_or_b32 s49, s5, s19
	s_and_not1_b32 s5, s48, exec_lo
	s_and_b32 s1, s1, exec_lo
	s_and_b32 s21, s23, exec_lo
	s_or_b32 s50, s22, s20
	s_and_b32 s52, s52, exec_lo
	s_or_b32 s48, s5, s1
.LBB48_208:
	s_or_b32 exec_lo, exec_lo, s51
	s_delay_alu instid0(SALU_CYCLE_1)
	s_and_not1_b32 s1, s41, exec_lo
	s_and_b32 s5, s9, exec_lo
	s_and_not1_b32 s19, s44, exec_lo
	s_or_b32 s41, s1, s5
	s_and_not1_b32 s1, s43, exec_lo
	s_and_b32 s5, s49, exec_lo
	s_and_b32 s20, s50, exec_lo
	s_or_b32 s43, s1, s5
	s_and_not1_b32 s1, s46, exec_lo
	s_and_b32 s5, s48, exec_lo
	s_and_b32 s9, s21, exec_lo
	s_or_b32 s44, s19, s20
	s_and_b32 s48, s52, exec_lo
	s_or_b32 s46, s1, s5
	s_or_b32 exec_lo, exec_lo, s47
	s_and_saveexec_b32 s1, s46
	s_cbranch_execz .LBB48_143
.LBB48_209:
	s_or_b32 s3, s3, exec_lo
	s_and_not1_b32 s48, s48, exec_lo
	s_trap 2
	s_branch .LBB48_143
.LBB48_210:
	s_or_b32 s3, s3, exec_lo
	s_trap 2
	s_branch .LBB48_76
.LBB48_211:
	s_or_b32 s3, s3, exec_lo
	s_and_not1_b32 s1, s1, exec_lo
	s_trap 2
	s_branch .LBB48_146
.LBB48_212:
	s_mov_b32 s3, exec_lo
	s_and_not1_b32 s0, s0, exec_lo
	s_trap 2
	s_branch .LBB48_67
	.section	.rodata,"a",@progbits
	.p2align	6, 0x0
	.amdhsa_kernel _ZN2at6native29vectorized_elementwise_kernelILi16EZZZNS0_12_GLOBAL__N_142_validate_compressed_sparse_indices_kernelILNS2_8CDimNameE0ENS2_18CUDAKernelLauncherENS2_14EmptyVecKernelENS2_8DummyVecELm0EEEvRKNS_6TensorESA_lllENKUlvE1_clEvENKUlvE_clEvEUliiiiiE_St5arrayIPcLm6EEEEviT0_T1_
		.amdhsa_group_segment_fixed_size 0
		.amdhsa_private_segment_fixed_size 0
		.amdhsa_kernarg_size 112
		.amdhsa_user_sgpr_count 2
		.amdhsa_user_sgpr_dispatch_ptr 0
		.amdhsa_user_sgpr_queue_ptr 0
		.amdhsa_user_sgpr_kernarg_segment_ptr 1
		.amdhsa_user_sgpr_dispatch_id 0
		.amdhsa_user_sgpr_kernarg_preload_length 0
		.amdhsa_user_sgpr_kernarg_preload_offset 0
		.amdhsa_user_sgpr_private_segment_size 0
		.amdhsa_wavefront_size32 1
		.amdhsa_uses_dynamic_stack 0
		.amdhsa_enable_private_segment 0
		.amdhsa_system_sgpr_workgroup_id_x 1
		.amdhsa_system_sgpr_workgroup_id_y 0
		.amdhsa_system_sgpr_workgroup_id_z 0
		.amdhsa_system_sgpr_workgroup_info 0
		.amdhsa_system_vgpr_workitem_id 0
		.amdhsa_next_free_vgpr 44
		.amdhsa_next_free_sgpr 74
		.amdhsa_named_barrier_count 0
		.amdhsa_reserve_vcc 1
		.amdhsa_float_round_mode_32 0
		.amdhsa_float_round_mode_16_64 0
		.amdhsa_float_denorm_mode_32 3
		.amdhsa_float_denorm_mode_16_64 3
		.amdhsa_fp16_overflow 0
		.amdhsa_memory_ordered 1
		.amdhsa_forward_progress 1
		.amdhsa_inst_pref_size 103
		.amdhsa_round_robin_scheduling 0
		.amdhsa_exception_fp_ieee_invalid_op 0
		.amdhsa_exception_fp_denorm_src 0
		.amdhsa_exception_fp_ieee_div_zero 0
		.amdhsa_exception_fp_ieee_overflow 0
		.amdhsa_exception_fp_ieee_underflow 0
		.amdhsa_exception_fp_ieee_inexact 0
		.amdhsa_exception_int_div_zero 0
	.end_amdhsa_kernel
	.section	.text._ZN2at6native29vectorized_elementwise_kernelILi16EZZZNS0_12_GLOBAL__N_142_validate_compressed_sparse_indices_kernelILNS2_8CDimNameE0ENS2_18CUDAKernelLauncherENS2_14EmptyVecKernelENS2_8DummyVecELm0EEEvRKNS_6TensorESA_lllENKUlvE1_clEvENKUlvE_clEvEUliiiiiE_St5arrayIPcLm6EEEEviT0_T1_,"axG",@progbits,_ZN2at6native29vectorized_elementwise_kernelILi16EZZZNS0_12_GLOBAL__N_142_validate_compressed_sparse_indices_kernelILNS2_8CDimNameE0ENS2_18CUDAKernelLauncherENS2_14EmptyVecKernelENS2_8DummyVecELm0EEEvRKNS_6TensorESA_lllENKUlvE1_clEvENKUlvE_clEvEUliiiiiE_St5arrayIPcLm6EEEEviT0_T1_,comdat
.Lfunc_end48:
	.size	_ZN2at6native29vectorized_elementwise_kernelILi16EZZZNS0_12_GLOBAL__N_142_validate_compressed_sparse_indices_kernelILNS2_8CDimNameE0ENS2_18CUDAKernelLauncherENS2_14EmptyVecKernelENS2_8DummyVecELm0EEEvRKNS_6TensorESA_lllENKUlvE1_clEvENKUlvE_clEvEUliiiiiE_St5arrayIPcLm6EEEEviT0_T1_, .Lfunc_end48-_ZN2at6native29vectorized_elementwise_kernelILi16EZZZNS0_12_GLOBAL__N_142_validate_compressed_sparse_indices_kernelILNS2_8CDimNameE0ENS2_18CUDAKernelLauncherENS2_14EmptyVecKernelENS2_8DummyVecELm0EEEvRKNS_6TensorESA_lllENKUlvE1_clEvENKUlvE_clEvEUliiiiiE_St5arrayIPcLm6EEEEviT0_T1_
                                        ; -- End function
	.set _ZN2at6native29vectorized_elementwise_kernelILi16EZZZNS0_12_GLOBAL__N_142_validate_compressed_sparse_indices_kernelILNS2_8CDimNameE0ENS2_18CUDAKernelLauncherENS2_14EmptyVecKernelENS2_8DummyVecELm0EEEvRKNS_6TensorESA_lllENKUlvE1_clEvENKUlvE_clEvEUliiiiiE_St5arrayIPcLm6EEEEviT0_T1_.num_vgpr, 44
	.set _ZN2at6native29vectorized_elementwise_kernelILi16EZZZNS0_12_GLOBAL__N_142_validate_compressed_sparse_indices_kernelILNS2_8CDimNameE0ENS2_18CUDAKernelLauncherENS2_14EmptyVecKernelENS2_8DummyVecELm0EEEvRKNS_6TensorESA_lllENKUlvE1_clEvENKUlvE_clEvEUliiiiiE_St5arrayIPcLm6EEEEviT0_T1_.num_agpr, 0
	.set _ZN2at6native29vectorized_elementwise_kernelILi16EZZZNS0_12_GLOBAL__N_142_validate_compressed_sparse_indices_kernelILNS2_8CDimNameE0ENS2_18CUDAKernelLauncherENS2_14EmptyVecKernelENS2_8DummyVecELm0EEEvRKNS_6TensorESA_lllENKUlvE1_clEvENKUlvE_clEvEUliiiiiE_St5arrayIPcLm6EEEEviT0_T1_.numbered_sgpr, 74
	.set _ZN2at6native29vectorized_elementwise_kernelILi16EZZZNS0_12_GLOBAL__N_142_validate_compressed_sparse_indices_kernelILNS2_8CDimNameE0ENS2_18CUDAKernelLauncherENS2_14EmptyVecKernelENS2_8DummyVecELm0EEEvRKNS_6TensorESA_lllENKUlvE1_clEvENKUlvE_clEvEUliiiiiE_St5arrayIPcLm6EEEEviT0_T1_.num_named_barrier, 0
	.set _ZN2at6native29vectorized_elementwise_kernelILi16EZZZNS0_12_GLOBAL__N_142_validate_compressed_sparse_indices_kernelILNS2_8CDimNameE0ENS2_18CUDAKernelLauncherENS2_14EmptyVecKernelENS2_8DummyVecELm0EEEvRKNS_6TensorESA_lllENKUlvE1_clEvENKUlvE_clEvEUliiiiiE_St5arrayIPcLm6EEEEviT0_T1_.private_seg_size, 0
	.set _ZN2at6native29vectorized_elementwise_kernelILi16EZZZNS0_12_GLOBAL__N_142_validate_compressed_sparse_indices_kernelILNS2_8CDimNameE0ENS2_18CUDAKernelLauncherENS2_14EmptyVecKernelENS2_8DummyVecELm0EEEvRKNS_6TensorESA_lllENKUlvE1_clEvENKUlvE_clEvEUliiiiiE_St5arrayIPcLm6EEEEviT0_T1_.uses_vcc, 1
	.set _ZN2at6native29vectorized_elementwise_kernelILi16EZZZNS0_12_GLOBAL__N_142_validate_compressed_sparse_indices_kernelILNS2_8CDimNameE0ENS2_18CUDAKernelLauncherENS2_14EmptyVecKernelENS2_8DummyVecELm0EEEvRKNS_6TensorESA_lllENKUlvE1_clEvENKUlvE_clEvEUliiiiiE_St5arrayIPcLm6EEEEviT0_T1_.uses_flat_scratch, 0
	.set _ZN2at6native29vectorized_elementwise_kernelILi16EZZZNS0_12_GLOBAL__N_142_validate_compressed_sparse_indices_kernelILNS2_8CDimNameE0ENS2_18CUDAKernelLauncherENS2_14EmptyVecKernelENS2_8DummyVecELm0EEEvRKNS_6TensorESA_lllENKUlvE1_clEvENKUlvE_clEvEUliiiiiE_St5arrayIPcLm6EEEEviT0_T1_.has_dyn_sized_stack, 0
	.set _ZN2at6native29vectorized_elementwise_kernelILi16EZZZNS0_12_GLOBAL__N_142_validate_compressed_sparse_indices_kernelILNS2_8CDimNameE0ENS2_18CUDAKernelLauncherENS2_14EmptyVecKernelENS2_8DummyVecELm0EEEvRKNS_6TensorESA_lllENKUlvE1_clEvENKUlvE_clEvEUliiiiiE_St5arrayIPcLm6EEEEviT0_T1_.has_recursion, 0
	.set _ZN2at6native29vectorized_elementwise_kernelILi16EZZZNS0_12_GLOBAL__N_142_validate_compressed_sparse_indices_kernelILNS2_8CDimNameE0ENS2_18CUDAKernelLauncherENS2_14EmptyVecKernelENS2_8DummyVecELm0EEEvRKNS_6TensorESA_lllENKUlvE1_clEvENKUlvE_clEvEUliiiiiE_St5arrayIPcLm6EEEEviT0_T1_.has_indirect_call, 0
	.section	.AMDGPU.csdata,"",@progbits
; Kernel info:
; codeLenInByte = 13060
; TotalNumSgprs: 76
; NumVgprs: 44
; ScratchSize: 0
; MemoryBound: 0
; FloatMode: 240
; IeeeMode: 1
; LDSByteSize: 0 bytes/workgroup (compile time only)
; SGPRBlocks: 0
; VGPRBlocks: 2
; NumSGPRsForWavesPerEU: 76
; NumVGPRsForWavesPerEU: 44
; NamedBarCnt: 0
; Occupancy: 16
; WaveLimiterHint : 0
; COMPUTE_PGM_RSRC2:SCRATCH_EN: 0
; COMPUTE_PGM_RSRC2:USER_SGPR: 2
; COMPUTE_PGM_RSRC2:TRAP_HANDLER: 0
; COMPUTE_PGM_RSRC2:TGID_X_EN: 1
; COMPUTE_PGM_RSRC2:TGID_Y_EN: 0
; COMPUTE_PGM_RSRC2:TGID_Z_EN: 0
; COMPUTE_PGM_RSRC2:TIDIG_COMP_CNT: 0
	.section	.text._ZN2at6native29vectorized_elementwise_kernelILi8EZZZNS0_12_GLOBAL__N_142_validate_compressed_sparse_indices_kernelILNS2_8CDimNameE0ENS2_18CUDAKernelLauncherENS2_14EmptyVecKernelENS2_8DummyVecELm0EEEvRKNS_6TensorESA_lllENKUlvE1_clEvENKUlvE_clEvEUliiiiiE_St5arrayIPcLm6EEEEviT0_T1_,"axG",@progbits,_ZN2at6native29vectorized_elementwise_kernelILi8EZZZNS0_12_GLOBAL__N_142_validate_compressed_sparse_indices_kernelILNS2_8CDimNameE0ENS2_18CUDAKernelLauncherENS2_14EmptyVecKernelENS2_8DummyVecELm0EEEvRKNS_6TensorESA_lllENKUlvE1_clEvENKUlvE_clEvEUliiiiiE_St5arrayIPcLm6EEEEviT0_T1_,comdat
	.globl	_ZN2at6native29vectorized_elementwise_kernelILi8EZZZNS0_12_GLOBAL__N_142_validate_compressed_sparse_indices_kernelILNS2_8CDimNameE0ENS2_18CUDAKernelLauncherENS2_14EmptyVecKernelENS2_8DummyVecELm0EEEvRKNS_6TensorESA_lllENKUlvE1_clEvENKUlvE_clEvEUliiiiiE_St5arrayIPcLm6EEEEviT0_T1_ ; -- Begin function _ZN2at6native29vectorized_elementwise_kernelILi8EZZZNS0_12_GLOBAL__N_142_validate_compressed_sparse_indices_kernelILNS2_8CDimNameE0ENS2_18CUDAKernelLauncherENS2_14EmptyVecKernelENS2_8DummyVecELm0EEEvRKNS_6TensorESA_lllENKUlvE1_clEvENKUlvE_clEvEUliiiiiE_St5arrayIPcLm6EEEEviT0_T1_
	.p2align	8
	.type	_ZN2at6native29vectorized_elementwise_kernelILi8EZZZNS0_12_GLOBAL__N_142_validate_compressed_sparse_indices_kernelILNS2_8CDimNameE0ENS2_18CUDAKernelLauncherENS2_14EmptyVecKernelENS2_8DummyVecELm0EEEvRKNS_6TensorESA_lllENKUlvE1_clEvENKUlvE_clEvEUliiiiiE_St5arrayIPcLm6EEEEviT0_T1_,@function
_ZN2at6native29vectorized_elementwise_kernelILi8EZZZNS0_12_GLOBAL__N_142_validate_compressed_sparse_indices_kernelILNS2_8CDimNameE0ENS2_18CUDAKernelLauncherENS2_14EmptyVecKernelENS2_8DummyVecELm0EEEvRKNS_6TensorESA_lllENKUlvE1_clEvENKUlvE_clEvEUliiiiiE_St5arrayIPcLm6EEEEviT0_T1_: ; @_ZN2at6native29vectorized_elementwise_kernelILi8EZZZNS0_12_GLOBAL__N_142_validate_compressed_sparse_indices_kernelILNS2_8CDimNameE0ENS2_18CUDAKernelLauncherENS2_14EmptyVecKernelENS2_8DummyVecELm0EEEvRKNS_6TensorESA_lllENKUlvE1_clEvENKUlvE_clEvEUliiiiiE_St5arrayIPcLm6EEEEviT0_T1_
; %bb.0:
	s_clause 0x3
	s_load_b32 s3, s[0:1], 0x0
	s_load_b32 s33, s[0:1], 0x8
	s_load_b512 s[4:19], s[0:1], 0x10
	s_load_b256 s[20:27], s[0:1], 0x50
	s_wait_xcnt 0x0
	s_bfe_u32 s0, ttmp6, 0x4000c
	s_and_b32 s1, ttmp6, 15
	s_add_co_i32 s0, s0, 1
	s_getreg_b32 s2, hwreg(HW_REG_IB_STS2, 6, 4)
	s_mul_i32 s0, ttmp9, s0
	s_wait_kmcnt 0x0
	s_mov_b32 s9, 0
	s_add_co_i32 s1, s1, s0
	s_cmp_eq_u32 s2, 0
	s_get_pc_i64 s[28:29]
	s_add_nc_u64 s[28:29], s[28:29], .str.1@rel64+4
	s_cselect_b32 s0, ttmp9, s1
	s_delay_alu instid0(SALU_CYCLE_1)
	s_lshl_b32 s2, s0, 10
	s_mov_b32 s0, -1
	s_sub_co_i32 s5, s3, s2
	s_mov_b32 s3, 0
	s_cmp_gt_i32 s5, 0x3ff
	s_cbranch_scc0 .LBB49_77
; %bb.1:
	s_cmp_eq_u64 s[28:29], 0
	s_cselect_b32 s0, -1, 0
	s_cmp_lg_u64 s[28:29], 0
	s_cbranch_scc0 .LBB49_75
; %bb.2:
	s_ashr_i32 s3, s2, 31
	v_lshlrev_b32_e32 v18, 4, v0
	s_lshl_b64 s[30:31], s[2:3], 2
	s_mov_b32 s0, -1
	s_add_nc_u64 s[36:37], s[18:19], s[30:31]
	s_mov_b32 s3, 0
	global_load_b32 v1, v18, s[36:37]
	s_mov_b32 s48, exec_lo
	s_wait_loadcnt 0x0
	v_cmpx_eq_u32_e64 s33, v1
	s_cbranch_execz .LBB49_74
; %bb.3:
	s_add_nc_u64 s[0:1], s[20:21], s[30:31]
	s_get_pc_i64 s[34:35]
	s_add_nc_u64 s[34:35], s[34:35], .str.2@rel64+4
	global_load_b128 v[14:17], v0, s[0:1] scale_offset
	s_cmp_lg_u64 s[34:35], 0
	v_mov_b32_e32 v19, 0
	s_wait_xcnt 0x0
	s_cselect_b32 s1, -1, 0
	s_mov_b32 s38, -1
	s_mov_b32 s0, 0
	s_mov_b32 s35, 0
	;; [unrolled: 1-line block ×3, first 2 shown]
                                        ; implicit-def: $sgpr49
                                        ; implicit-def: $sgpr50
                                        ; implicit-def: $sgpr34
                                        ; implicit-def: $sgpr53
                                        ; implicit-def: $vgpr10_vgpr11_vgpr12_vgpr13
                                        ; implicit-def: $vgpr2_vgpr3_vgpr4_vgpr5
                                        ; implicit-def: $vgpr6_vgpr7_vgpr8_vgpr9
	s_wait_loadcnt 0x0
	v_cmp_eq_u32_e32 vcc_lo, s6, v14
	s_and_b32 s39, s1, vcc_lo
	s_mov_b32 s1, 0
	s_and_saveexec_b32 s51, s39
	s_cbranch_execz .LBB49_66
; %bb.4:
	s_add_nc_u64 s[0:1], s[22:23], s[30:31]
	s_add_nc_u64 s[34:35], s[24:25], s[30:31]
	s_clause 0x1
	global_load_b128 v[6:9], v0, s[0:1] scale_offset
	global_load_b128 v[2:5], v0, s[34:35] scale_offset
	s_get_pc_i64 s[40:41]
	s_add_nc_u64 s[40:41], s[40:41], .str.3@rel64+4
	s_wait_xcnt 0x0
	s_mov_b32 s35, -1
	s_cmp_lg_u64 s[40:41], 0
	s_mov_b32 s38, 0
	s_cselect_b32 s1, -1, 0
	s_mov_b32 s39, 0
	s_mov_b32 s40, 0
                                        ; implicit-def: $sgpr49
                                        ; implicit-def: $sgpr50
                                        ; implicit-def: $sgpr34
                                        ; implicit-def: $vgpr10_vgpr11_vgpr12_vgpr13
	s_wait_loadcnt 0x0
	v_sub_nc_u32_e32 v1, v2, v6
	s_delay_alu instid0(VALU_DEP_1) | instskip(SKIP_2) | instid1(SALU_CYCLE_1)
	v_cmp_le_i32_e32 vcc_lo, s33, v1
	v_cmp_ge_i32_e64 s0, s4, v1
	s_and_b32 s0, vcc_lo, s0
	s_and_b32 s0, s1, s0
	s_mov_b32 s1, 0
	s_and_saveexec_b32 s52, s0
	s_cbranch_execz .LBB49_65
; %bb.5:
	v_add_nc_u64_e32 v[22:23], s[36:37], v[18:19]
	s_add_nc_u64 s[0:1], s[26:27], s[30:31]
	s_add_co_i32 s34, s8, -1
	global_load_b96 v[18:20], v[22:23], off offset:4
	global_load_b128 v[10:13], v0, s[0:1] scale_offset
	s_wait_xcnt 0x0
	v_cmp_gt_i64_e64 s0, s[6:7], 0
	s_cmp_gt_i32 s34, -1
	v_mov_b64_e32 v[22:23], 0
	s_cselect_b32 s1, -1, 0
	s_delay_alu instid0(SALU_CYCLE_1) | instskip(NEXT) | instid1(SALU_CYCLE_1)
	s_and_b32 s50, s0, s1
	s_and_not1_b32 vcc_lo, exec_lo, s50
	s_cbranch_vccnz .LBB49_12
; %bb.6:
	s_wait_loadcnt 0x0
	v_dual_mov_b32 v22, v10 :: v_dual_ashrrev_i32 v23, 31, v10
	s_mov_b32 s1, 0
	v_mov_b32_e32 v24, 0
	s_mov_b32 s35, s1
	s_mov_b64 s[36:37], 0xffffffff
	v_mul_u64_e32 v[26:27], s[6:7], v[22:23]
	v_mov_b64_e32 v[22:23], 0
	s_lshl_b64 s[40:41], s[34:35], 3
	s_mov_b32 s35, s8
	s_add_nc_u64 s[38:39], s[10:11], s[40:41]
	s_add_nc_u64 s[40:41], s[12:13], s[40:41]
	s_branch .LBB49_8
.LBB49_7:                               ;   in Loop: Header=BB49_8 Depth=1
	s_or_b32 exec_lo, exec_lo, s0
	s_delay_alu instid0(VALU_DEP_1)
	v_mul_u64_e32 v[30:31], s[42:43], v[28:29]
	s_load_b64 s[42:43], s[40:41], 0x0
	s_add_co_i32 s35, s35, -1
	s_add_nc_u64 s[38:39], s[38:39], -8
	s_cmp_eq_u32 s35, 0
	s_wait_xcnt 0x0
	s_add_nc_u64 s[40:41], s[40:41], -8
	s_delay_alu instid0(VALU_DEP_1) | instskip(SKIP_1) | instid1(VALU_DEP_1)
	v_sub_nc_u64_e32 v[26:27], v[26:27], v[30:31]
	s_wait_kmcnt 0x0
	v_mad_nc_u64_u32 v[22:23], v26, s42, v[22:23]
	s_delay_alu instid0(VALU_DEP_1) | instskip(NEXT) | instid1(VALU_DEP_1)
	v_mad_u32 v1, v27, s42, v23
	v_mad_u32 v23, v26, s43, v1
	v_mov_b64_e32 v[26:27], v[28:29]
	s_cbranch_scc1 .LBB49_12
.LBB49_8:                               ; =>This Inner Loop Header: Depth=1
	s_load_b64 s[42:43], s[38:39], 0x0
                                        ; implicit-def: $vgpr28_vgpr29
	s_mov_b32 s0, exec_lo
	s_wait_kmcnt 0x0
	s_delay_alu instid0(VALU_DEP_1) | instskip(NEXT) | instid1(VALU_DEP_1)
	v_or_b32_e32 v25, s43, v27
	v_cmpx_ne_u64_e32 0, v[24:25]
	s_xor_b32 s49, exec_lo, s0
	s_cbranch_execz .LBB49_10
; %bb.9:                                ;   in Loop: Header=BB49_8 Depth=1
	s_ashr_i32 s44, s43, 31
	v_dual_mov_b32 v33, v24 :: v_dual_ashrrev_i32 v28, 31, v27
	s_mov_b32 s45, s44
	v_mov_b32_e32 v41, v24
	s_add_nc_u64 s[46:47], s[42:43], s[44:45]
	s_delay_alu instid0(VALU_DEP_2) | instskip(SKIP_1) | instid1(SALU_CYCLE_1)
	v_mov_b32_e32 v29, v28
	s_xor_b64 s[46:47], s[46:47], s[44:45]
	s_cvt_f32_u32 s0, s46
	s_cvt_f32_u32 s45, s47
	s_sub_nc_u64 s[56:57], 0, s[46:47]
	v_add_nc_u64_e32 v[30:31], v[26:27], v[28:29]
	v_mov_b32_e32 v37, v24
	s_fmamk_f32 s0, s45, 0x4f800000, s0
	s_delay_alu instid0(SALU_CYCLE_3) | instskip(NEXT) | instid1(VALU_DEP_2)
	v_s_rcp_f32 s0, s0
	v_xor_b32_e32 v32, v30, v28
	s_delay_alu instid0(VALU_DEP_3) | instskip(NEXT) | instid1(TRANS32_DEP_1)
	v_xor_b32_e32 v36, v31, v28
	s_mul_f32 s0, s0, 0x5f7ffffc
	s_delay_alu instid0(SALU_CYCLE_3) | instskip(NEXT) | instid1(SALU_CYCLE_3)
	s_mul_f32 s45, s0, 0x2f800000
	s_trunc_f32 s45, s45
	s_delay_alu instid0(SALU_CYCLE_3) | instskip(SKIP_1) | instid1(SALU_CYCLE_2)
	s_fmamk_f32 s0, s45, 0xcf800000, s0
	s_cvt_u32_f32 s55, s45
	s_cvt_u32_f32 s54, s0
	s_delay_alu instid0(SALU_CYCLE_3) | instskip(NEXT) | instid1(SALU_CYCLE_1)
	s_mul_u64 s[58:59], s[56:57], s[54:55]
	s_mul_hi_u32 s61, s54, s59
	s_mul_i32 s60, s54, s59
	s_mul_hi_u32 s0, s54, s58
	s_mul_i32 s53, s55, s58
	s_add_nc_u64 s[60:61], s[0:1], s[60:61]
	s_mul_hi_u32 s45, s55, s58
	s_mul_hi_u32 s62, s55, s59
	s_add_co_u32 s0, s60, s53
	s_add_co_ci_u32 s0, s61, s45
	s_mul_i32 s58, s55, s59
	s_add_co_ci_u32 s59, s62, 0
	s_delay_alu instid0(SALU_CYCLE_1) | instskip(NEXT) | instid1(SALU_CYCLE_1)
	s_add_nc_u64 s[58:59], s[0:1], s[58:59]
	s_add_co_u32 s54, s54, s58
	s_cselect_b32 s0, -1, 0
	s_delay_alu instid0(SALU_CYCLE_1) | instskip(SKIP_1) | instid1(SALU_CYCLE_1)
	s_cmp_lg_u32 s0, 0
	s_add_co_ci_u32 s55, s55, s59
	s_mul_u64 s[56:57], s[56:57], s[54:55]
	s_delay_alu instid0(SALU_CYCLE_1)
	s_mul_hi_u32 s59, s54, s57
	s_mul_i32 s58, s54, s57
	s_mul_hi_u32 s0, s54, s56
	s_mul_i32 s53, s55, s56
	s_add_nc_u64 s[58:59], s[0:1], s[58:59]
	s_mul_hi_u32 s45, s55, s56
	s_mul_hi_u32 s60, s55, s57
	s_add_co_u32 s0, s58, s53
	s_add_co_ci_u32 s0, s59, s45
	s_mul_i32 s56, s55, s57
	s_add_co_ci_u32 s57, s60, 0
	s_delay_alu instid0(SALU_CYCLE_1) | instskip(NEXT) | instid1(SALU_CYCLE_1)
	s_add_nc_u64 s[56:57], s[0:1], s[56:57]
	s_add_co_u32 s54, s54, s56
	s_cselect_b32 s0, -1, 0
	v_mul_hi_u32 v40, v32, s54
	s_cmp_lg_u32 s0, 0
	s_add_co_ci_u32 s0, s55, s57
	s_and_b64 s[56:57], s[54:55], s[36:37]
	v_mul_u64_e32 v[34:35], s[0:1], v[32:33]
	v_mul_u64_e32 v[30:31], s[56:57], v[36:37]
	;; [unrolled: 1-line block ×3, first 2 shown]
	s_delay_alu instid0(VALU_DEP_3) | instskip(NEXT) | instid1(VALU_DEP_1)
	v_add_nc_u64_e32 v[34:35], v[40:41], v[34:35]
	v_add_co_u32 v1, vcc_lo, v34, v30
	s_delay_alu instid0(VALU_DEP_2) | instskip(NEXT) | instid1(VALU_DEP_4)
	v_add_co_ci_u32_e32 v40, vcc_lo, v35, v31, vcc_lo
	v_add_co_ci_u32_e32 v39, vcc_lo, 0, v39, vcc_lo
	s_delay_alu instid0(VALU_DEP_1) | instskip(NEXT) | instid1(VALU_DEP_1)
	v_add_nc_u64_e32 v[30:31], v[40:41], v[38:39]
	v_mul_u64_e32 v[34:35], s[46:47], v[30:31]
	s_delay_alu instid0(VALU_DEP_1) | instskip(NEXT) | instid1(VALU_DEP_2)
	v_sub_nc_u32_e32 v1, v36, v35
	v_sub_co_u32 v10, vcc_lo, v32, v34
	s_delay_alu instid0(VALU_DEP_1) | instskip(NEXT) | instid1(VALU_DEP_3)
	v_sub_co_ci_u32_e64 v25, null, v36, v35, vcc_lo
	v_subrev_co_ci_u32_e64 v1, null, s47, v1, vcc_lo
	s_delay_alu instid0(VALU_DEP_3) | instskip(SKIP_1) | instid1(VALU_DEP_3)
	v_sub_co_u32 v21, s0, v10, s46
	v_add_nc_u64_e32 v[32:33], 2, v[30:31]
	v_subrev_co_ci_u32_e64 v1, null, 0, v1, s0
	s_delay_alu instid0(VALU_DEP_3) | instskip(SKIP_2) | instid1(VALU_DEP_4)
	v_cmp_le_u32_e32 vcc_lo, s46, v21
	v_add_nc_u64_e32 v[34:35], 1, v[30:31]
	v_cndmask_b32_e64 v21, 0, -1, vcc_lo
	v_cmp_le_u32_e32 vcc_lo, s47, v1
	v_cndmask_b32_e64 v29, 0, -1, vcc_lo
	v_cmp_le_u32_e32 vcc_lo, s46, v10
	;; [unrolled: 2-line block ×3, first 2 shown]
	v_cndmask_b32_e64 v36, 0, -1, vcc_lo
	v_cmp_eq_u32_e32 vcc_lo, s47, v1
	v_cndmask_b32_e32 v1, v29, v21, vcc_lo
	v_cmp_eq_u32_e32 vcc_lo, s47, v25
	s_delay_alu instid0(VALU_DEP_4) | instskip(NEXT) | instid1(VALU_DEP_3)
	v_cndmask_b32_e32 v10, v36, v10, vcc_lo
	v_cmp_ne_u32_e32 vcc_lo, 0, v1
	s_delay_alu instid0(VALU_DEP_2) | instskip(SKIP_1) | instid1(VALU_DEP_1)
	v_cmp_ne_u32_e64 s0, 0, v10
	v_dual_cndmask_b32 v1, v35, v33 :: v_dual_cndmask_b32 v10, v34, v32
	v_dual_cndmask_b32 v1, v31, v1, s0 :: v_dual_bitop2_b32 v28, s44, v28 bitop3:0x14
	s_delay_alu instid0(VALU_DEP_1) | instskip(NEXT) | instid1(VALU_DEP_2)
	v_dual_cndmask_b32 v10, v30, v10, s0 :: v_dual_mov_b32 v29, v28
	v_xor_b32_e32 v31, v1, v28
	s_delay_alu instid0(VALU_DEP_2) | instskip(NEXT) | instid1(VALU_DEP_1)
	v_xor_b32_e32 v30, v10, v28
	v_sub_nc_u64_e32 v[28:29], v[30:31], v[28:29]
.LBB49_10:                              ;   in Loop: Header=BB49_8 Depth=1
	s_and_not1_saveexec_b32 s0, s49
	s_cbranch_execz .LBB49_7
; %bb.11:                               ;   in Loop: Header=BB49_8 Depth=1
	v_cvt_f32_u32_e32 v1, s42
	s_sub_co_i32 s44, 0, s42
	v_mov_b32_e32 v29, v24
	s_delay_alu instid0(VALU_DEP_2) | instskip(SKIP_1) | instid1(TRANS32_DEP_1)
	v_rcp_iflag_f32_e32 v1, v1
	v_nop
	v_mul_f32_e32 v1, 0x4f7ffffe, v1
	s_delay_alu instid0(VALU_DEP_1) | instskip(NEXT) | instid1(VALU_DEP_1)
	v_cvt_u32_f32_e32 v1, v1
	v_mul_lo_u32 v10, s44, v1
	s_delay_alu instid0(VALU_DEP_1) | instskip(NEXT) | instid1(VALU_DEP_1)
	v_mul_hi_u32 v10, v1, v10
	v_add_nc_u32_e32 v1, v1, v10
	s_delay_alu instid0(VALU_DEP_1) | instskip(NEXT) | instid1(VALU_DEP_1)
	v_mul_hi_u32 v1, v26, v1
	v_mul_lo_u32 v10, v1, s42
	s_delay_alu instid0(VALU_DEP_1) | instskip(NEXT) | instid1(VALU_DEP_1)
	v_dual_add_nc_u32 v21, 1, v1 :: v_dual_sub_nc_u32 v10, v26, v10
	v_subrev_nc_u32_e32 v25, s42, v10
	v_cmp_le_u32_e32 vcc_lo, s42, v10
	s_delay_alu instid0(VALU_DEP_2) | instskip(NEXT) | instid1(VALU_DEP_4)
	v_cndmask_b32_e32 v10, v10, v25, vcc_lo
	v_cndmask_b32_e32 v1, v1, v21, vcc_lo
	s_delay_alu instid0(VALU_DEP_2) | instskip(NEXT) | instid1(VALU_DEP_2)
	v_cmp_le_u32_e32 vcc_lo, s42, v10
	v_add_nc_u32_e32 v21, 1, v1
	s_delay_alu instid0(VALU_DEP_1)
	v_cndmask_b32_e32 v28, v1, v21, vcc_lo
	s_branch .LBB49_7
.LBB49_12:
	s_get_pc_i64 s[0:1]
	s_add_nc_u64 s[0:1], s[0:1], .str.4@rel64+4
	s_mov_b32 s35, -1
	s_cmp_lg_u64 s[0:1], 0
	s_mov_b32 s0, 0
	s_cselect_b32 s49, -1, 0
	s_mov_b32 s53, 0
	s_mov_b32 s1, exec_lo
	v_cmpx_gt_i32_e64 v2, v6
	s_cbranch_execz .LBB49_18
; %bb.13:
	v_lshlrev_b64_e32 v[22:23], 2, v[22:23]
	v_dual_mov_b32 v24, v6 :: v_dual_ashrrev_i32 v25, 31, v6
	v_dual_mov_b32 v28, v2 :: v_dual_ashrrev_i32 v29, 31, v2
	s_mov_b32 s35, 0
	s_xor_b32 s37, s49, -1
	s_delay_alu instid0(VALU_DEP_2) | instskip(SKIP_1) | instid1(VALU_DEP_2)
	v_lshl_add_u64 v[24:25], v[24:25], 2, v[22:23]
	v_add_nc_u64_e32 v[26:27], s[14:15], v[22:23]
                                        ; implicit-def: $sgpr36
                                        ; implicit-def: $sgpr39
                                        ; implicit-def: $sgpr38
	v_add_nc_u64_e32 v[24:25], s[14:15], v[24:25]
	s_delay_alu instid0(VALU_DEP_1) | instskip(NEXT) | instid1(VALU_DEP_3)
	v_add_nc_u64_e32 v[22:23], 4, v[24:25]
	v_lshl_add_u64 v[24:25], v[28:29], 2, v[26:27]
	s_branch .LBB49_15
.LBB49_14:                              ;   in Loop: Header=BB49_15 Depth=1
	s_or_b32 exec_lo, exec_lo, s40
	s_delay_alu instid0(SALU_CYCLE_1) | instskip(NEXT) | instid1(SALU_CYCLE_1)
	s_and_b32 s40, exec_lo, s39
	s_or_b32 s35, s40, s35
	s_and_not1_b32 s36, s36, exec_lo
	s_and_b32 s40, s38, exec_lo
	s_delay_alu instid0(SALU_CYCLE_1)
	s_or_b32 s36, s36, s40
	s_and_not1_b32 exec_lo, exec_lo, s35
	s_cbranch_execz .LBB49_17
.LBB49_15:                              ; =>This Inner Loop Header: Depth=1
	s_or_b32 s38, s38, exec_lo
	s_or_b32 s39, s39, exec_lo
	s_mov_b32 s40, exec_lo
	s_delay_alu instid0(VALU_DEP_2)
	v_cmpx_lt_u64_e64 v[22:23], v[24:25]
	s_cbranch_execz .LBB49_14
; %bb.16:                               ;   in Loop: Header=BB49_15 Depth=1
	global_load_b64 v[26:27], v[22:23], off offset:-4
	s_wait_xcnt 0x0
	v_add_nc_u64_e32 v[22:23], 4, v[22:23]
	s_and_not1_b32 s39, s39, exec_lo
	s_and_not1_b32 s38, s38, exec_lo
	s_wait_loadcnt 0x0
	v_cmp_ge_i32_e32 vcc_lo, v26, v27
	s_or_b32 s41, s37, vcc_lo
	s_delay_alu instid0(SALU_CYCLE_1) | instskip(NEXT) | instid1(SALU_CYCLE_1)
	s_and_b32 s41, s41, exec_lo
	s_or_b32 s39, s39, s41
	s_branch .LBB49_14
.LBB49_17:
	s_or_b32 exec_lo, exec_lo, s35
	s_delay_alu instid0(SALU_CYCLE_1)
	s_mov_b32 s53, exec_lo
	s_or_not1_b32 s35, s36, exec_lo
.LBB49_18:
	s_or_b32 exec_lo, exec_lo, s1
	s_mov_b32 s36, 0
	s_mov_b32 s37, 0
	;; [unrolled: 1-line block ×3, first 2 shown]
	s_and_saveexec_b32 s54, s35
	s_cbranch_execz .LBB49_64
; %bb.19:
	s_mov_b32 s0, 0
	s_mov_b32 s1, -1
	s_mov_b32 s35, 0
	s_mov_b32 s55, exec_lo
	s_wait_loadcnt 0x1
	v_cmpx_eq_u32_e64 s33, v18
	s_cbranch_execz .LBB49_63
; %bb.20:
	s_mov_b32 s0, -1
	s_mov_b32 s38, 0
	s_mov_b32 s39, 0
	s_mov_b32 s56, exec_lo
	v_cmpx_eq_u32_e64 v15, v14
	s_cbranch_execz .LBB49_62
; %bb.21:
	v_sub_nc_u32_e32 v1, v3, v7
	s_mov_b32 s35, -1
	s_mov_b32 s1, 0
	s_delay_alu instid0(VALU_DEP_1) | instskip(SKIP_2) | instid1(SALU_CYCLE_1)
	v_cmp_le_i32_e32 vcc_lo, s33, v1
	v_cmp_ge_i32_e64 s0, s4, v1
	s_and_b32 s0, vcc_lo, s0
	s_and_saveexec_b32 s57, s0
	s_cbranch_execz .LBB49_61
; %bb.22:
	v_mov_b64_e32 v[22:23], 0
	s_and_not1_b32 vcc_lo, exec_lo, s50
	s_cbranch_vccnz .LBB49_29
; %bb.23:
	s_wait_loadcnt 0x0
	v_dual_mov_b32 v22, v11 :: v_dual_ashrrev_i32 v23, 31, v11
	s_mov_b32 s35, s1
	v_mov_b32_e32 v10, 0
	s_lshl_b64 s[40:41], s[34:35], 3
	s_mov_b64 s[36:37], 0xffffffff
	v_mul_u64_e32 v[24:25], s[6:7], v[22:23]
	v_mov_b64_e32 v[22:23], 0
	s_add_nc_u64 s[38:39], s[10:11], s[40:41]
	s_add_nc_u64 s[40:41], s[12:13], s[40:41]
	s_mov_b32 s35, s8
	s_branch .LBB49_25
.LBB49_24:                              ;   in Loop: Header=BB49_25 Depth=1
	s_or_b32 exec_lo, exec_lo, s0
	s_delay_alu instid0(VALU_DEP_1)
	v_mul_u64_e32 v[28:29], s[42:43], v[26:27]
	s_load_b64 s[42:43], s[40:41], 0x0
	s_add_co_i32 s35, s35, -1
	s_add_nc_u64 s[38:39], s[38:39], -8
	s_cmp_lg_u32 s35, 0
	s_wait_xcnt 0x0
	s_add_nc_u64 s[40:41], s[40:41], -8
	s_delay_alu instid0(VALU_DEP_1) | instskip(SKIP_1) | instid1(VALU_DEP_1)
	v_sub_nc_u64_e32 v[24:25], v[24:25], v[28:29]
	s_wait_kmcnt 0x0
	v_mad_nc_u64_u32 v[22:23], v24, s42, v[22:23]
	s_delay_alu instid0(VALU_DEP_1) | instskip(NEXT) | instid1(VALU_DEP_1)
	v_mad_u32 v1, v25, s42, v23
	v_mad_u32 v23, v24, s43, v1
	v_mov_b64_e32 v[24:25], v[26:27]
	s_cbranch_scc0 .LBB49_29
.LBB49_25:                              ; =>This Inner Loop Header: Depth=1
	s_load_b64 s[42:43], s[38:39], 0x0
                                        ; implicit-def: $vgpr26_vgpr27
	s_mov_b32 s0, exec_lo
	s_wait_kmcnt 0x0
	s_delay_alu instid0(VALU_DEP_1) | instskip(NEXT) | instid1(VALU_DEP_1)
	v_or_b32_e32 v11, s43, v25
	v_cmpx_ne_u64_e32 0, v[10:11]
	s_xor_b32 s58, exec_lo, s0
	s_cbranch_execz .LBB49_27
; %bb.26:                               ;   in Loop: Header=BB49_25 Depth=1
	s_ashr_i32 s44, s43, 31
	v_dual_mov_b32 v31, v10 :: v_dual_ashrrev_i32 v26, 31, v25
	s_mov_b32 s45, s44
	v_mov_b32_e32 v39, v10
	s_add_nc_u64 s[46:47], s[42:43], s[44:45]
	s_delay_alu instid0(VALU_DEP_2) | instskip(SKIP_1) | instid1(SALU_CYCLE_1)
	v_mov_b32_e32 v27, v26
	s_xor_b64 s[46:47], s[46:47], s[44:45]
	s_cvt_f32_u32 s0, s46
	s_cvt_f32_u32 s45, s47
	s_sub_nc_u64 s[62:63], 0, s[46:47]
	v_add_nc_u64_e32 v[28:29], v[24:25], v[26:27]
	v_mov_b32_e32 v35, v10
	s_fmamk_f32 s0, s45, 0x4f800000, s0
	s_delay_alu instid0(SALU_CYCLE_3) | instskip(NEXT) | instid1(VALU_DEP_2)
	v_s_rcp_f32 s0, s0
	v_xor_b32_e32 v30, v28, v26
	s_delay_alu instid0(VALU_DEP_3) | instskip(NEXT) | instid1(TRANS32_DEP_1)
	v_xor_b32_e32 v34, v29, v26
	s_mul_f32 s0, s0, 0x5f7ffffc
	s_delay_alu instid0(SALU_CYCLE_3) | instskip(NEXT) | instid1(SALU_CYCLE_3)
	s_mul_f32 s45, s0, 0x2f800000
	s_trunc_f32 s45, s45
	s_delay_alu instid0(SALU_CYCLE_3) | instskip(SKIP_1) | instid1(SALU_CYCLE_2)
	s_fmamk_f32 s0, s45, 0xcf800000, s0
	s_cvt_u32_f32 s61, s45
	s_cvt_u32_f32 s60, s0
	s_delay_alu instid0(SALU_CYCLE_3) | instskip(NEXT) | instid1(SALU_CYCLE_1)
	s_mul_u64 s[64:65], s[62:63], s[60:61]
	s_mul_hi_u32 s67, s60, s65
	s_mul_i32 s66, s60, s65
	s_mul_hi_u32 s0, s60, s64
	s_mul_i32 s59, s61, s64
	s_add_nc_u64 s[66:67], s[0:1], s[66:67]
	s_mul_hi_u32 s45, s61, s64
	s_mul_hi_u32 s68, s61, s65
	s_add_co_u32 s0, s66, s59
	s_add_co_ci_u32 s0, s67, s45
	s_mul_i32 s64, s61, s65
	s_add_co_ci_u32 s65, s68, 0
	s_delay_alu instid0(SALU_CYCLE_1) | instskip(NEXT) | instid1(SALU_CYCLE_1)
	s_add_nc_u64 s[64:65], s[0:1], s[64:65]
	s_add_co_u32 s60, s60, s64
	s_cselect_b32 s0, -1, 0
	s_delay_alu instid0(SALU_CYCLE_1) | instskip(SKIP_1) | instid1(SALU_CYCLE_1)
	s_cmp_lg_u32 s0, 0
	s_add_co_ci_u32 s61, s61, s65
	s_mul_u64 s[62:63], s[62:63], s[60:61]
	s_delay_alu instid0(SALU_CYCLE_1)
	s_mul_hi_u32 s65, s60, s63
	s_mul_i32 s64, s60, s63
	s_mul_hi_u32 s0, s60, s62
	s_mul_i32 s59, s61, s62
	s_add_nc_u64 s[64:65], s[0:1], s[64:65]
	s_mul_hi_u32 s45, s61, s62
	s_mul_hi_u32 s66, s61, s63
	s_add_co_u32 s0, s64, s59
	s_add_co_ci_u32 s0, s65, s45
	s_mul_i32 s62, s61, s63
	s_add_co_ci_u32 s63, s66, 0
	s_delay_alu instid0(SALU_CYCLE_1) | instskip(NEXT) | instid1(SALU_CYCLE_1)
	s_add_nc_u64 s[62:63], s[0:1], s[62:63]
	s_add_co_u32 s60, s60, s62
	s_cselect_b32 s0, -1, 0
	v_mul_hi_u32 v38, v30, s60
	s_cmp_lg_u32 s0, 0
	s_add_co_ci_u32 s0, s61, s63
	s_and_b64 s[62:63], s[60:61], s[36:37]
	v_mul_u64_e32 v[32:33], s[0:1], v[30:31]
	v_mul_u64_e32 v[28:29], s[62:63], v[34:35]
	;; [unrolled: 1-line block ×3, first 2 shown]
	s_delay_alu instid0(VALU_DEP_3) | instskip(NEXT) | instid1(VALU_DEP_1)
	v_add_nc_u64_e32 v[32:33], v[38:39], v[32:33]
	v_add_co_u32 v1, vcc_lo, v32, v28
	s_delay_alu instid0(VALU_DEP_2) | instskip(NEXT) | instid1(VALU_DEP_4)
	v_add_co_ci_u32_e32 v38, vcc_lo, v33, v29, vcc_lo
	v_add_co_ci_u32_e32 v37, vcc_lo, 0, v37, vcc_lo
	s_delay_alu instid0(VALU_DEP_1) | instskip(NEXT) | instid1(VALU_DEP_1)
	v_add_nc_u64_e32 v[28:29], v[38:39], v[36:37]
	v_mul_u64_e32 v[32:33], s[46:47], v[28:29]
	s_delay_alu instid0(VALU_DEP_1) | instskip(SKIP_1) | instid1(VALU_DEP_3)
	v_sub_co_u32 v2, vcc_lo, v30, v32
	v_add_nc_u64_e32 v[30:31], 2, v[28:29]
	v_sub_nc_u32_e32 v1, v34, v33
	v_sub_co_ci_u32_e64 v11, null, v34, v33, vcc_lo
	s_delay_alu instid0(VALU_DEP_4) | instskip(NEXT) | instid1(VALU_DEP_3)
	v_sub_co_u32 v6, s0, v2, s46
	v_subrev_co_ci_u32_e64 v1, null, s47, v1, vcc_lo
	v_add_nc_u64_e32 v[32:33], 1, v[28:29]
	s_delay_alu instid0(VALU_DEP_3) | instskip(NEXT) | instid1(VALU_DEP_3)
	v_cmp_le_u32_e32 vcc_lo, s46, v6
	v_subrev_co_ci_u32_e64 v1, null, 0, v1, s0
	v_cndmask_b32_e64 v6, 0, -1, vcc_lo
	s_delay_alu instid0(VALU_DEP_2)
	v_cmp_le_u32_e32 vcc_lo, s47, v1
	v_cndmask_b32_e64 v15, 0, -1, vcc_lo
	v_cmp_le_u32_e32 vcc_lo, s46, v2
	v_cndmask_b32_e64 v2, 0, -1, vcc_lo
	;; [unrolled: 2-line block ×3, first 2 shown]
	v_cmp_eq_u32_e32 vcc_lo, s47, v1
	v_cndmask_b32_e32 v1, v15, v6, vcc_lo
	v_cmp_eq_u32_e32 vcc_lo, s47, v11
	s_delay_alu instid0(VALU_DEP_4) | instskip(NEXT) | instid1(VALU_DEP_3)
	v_cndmask_b32_e32 v2, v18, v2, vcc_lo
	v_cmp_ne_u32_e32 vcc_lo, 0, v1
	v_cndmask_b32_e32 v1, v33, v31, vcc_lo
	s_delay_alu instid0(VALU_DEP_3) | instskip(SKIP_1) | instid1(VALU_DEP_2)
	v_cmp_ne_u32_e64 s0, 0, v2
	v_cndmask_b32_e32 v2, v32, v30, vcc_lo
	v_dual_cndmask_b32 v1, v29, v1, s0 :: v_dual_bitop2_b32 v26, s44, v26 bitop3:0x14
	s_delay_alu instid0(VALU_DEP_1) | instskip(NEXT) | instid1(VALU_DEP_2)
	v_dual_cndmask_b32 v2, v28, v2, s0 :: v_dual_mov_b32 v27, v26
	v_xor_b32_e32 v29, v1, v26
	s_delay_alu instid0(VALU_DEP_2) | instskip(NEXT) | instid1(VALU_DEP_1)
	v_xor_b32_e32 v28, v2, v26
	v_sub_nc_u64_e32 v[26:27], v[28:29], v[26:27]
.LBB49_27:                              ;   in Loop: Header=BB49_25 Depth=1
	s_and_not1_saveexec_b32 s0, s58
	s_cbranch_execz .LBB49_24
; %bb.28:                               ;   in Loop: Header=BB49_25 Depth=1
	v_cvt_f32_u32_e32 v1, s42
	s_sub_co_i32 s44, 0, s42
	v_mov_b32_e32 v27, v10
	s_delay_alu instid0(VALU_DEP_2) | instskip(SKIP_1) | instid1(TRANS32_DEP_1)
	v_rcp_iflag_f32_e32 v1, v1
	v_nop
	v_mul_f32_e32 v1, 0x4f7ffffe, v1
	s_delay_alu instid0(VALU_DEP_1) | instskip(NEXT) | instid1(VALU_DEP_1)
	v_cvt_u32_f32_e32 v1, v1
	v_mul_lo_u32 v2, s44, v1
	s_delay_alu instid0(VALU_DEP_1) | instskip(NEXT) | instid1(VALU_DEP_1)
	v_mul_hi_u32 v2, v1, v2
	v_add_nc_u32_e32 v1, v1, v2
	s_delay_alu instid0(VALU_DEP_1) | instskip(NEXT) | instid1(VALU_DEP_1)
	v_mul_hi_u32 v1, v24, v1
	v_mul_lo_u32 v2, v1, s42
	s_delay_alu instid0(VALU_DEP_1) | instskip(NEXT) | instid1(VALU_DEP_1)
	v_dual_add_nc_u32 v6, 1, v1 :: v_dual_sub_nc_u32 v2, v24, v2
	v_subrev_nc_u32_e32 v11, s42, v2
	v_cmp_le_u32_e32 vcc_lo, s42, v2
	s_delay_alu instid0(VALU_DEP_2) | instskip(NEXT) | instid1(VALU_DEP_1)
	v_dual_cndmask_b32 v2, v2, v11 :: v_dual_cndmask_b32 v1, v1, v6
	v_cmp_le_u32_e32 vcc_lo, s42, v2
	s_delay_alu instid0(VALU_DEP_2) | instskip(NEXT) | instid1(VALU_DEP_1)
	v_add_nc_u32_e32 v6, 1, v1
	v_cndmask_b32_e32 v26, v1, v6, vcc_lo
	s_branch .LBB49_24
.LBB49_29:
	s_mov_b32 s35, -1
	s_mov_b32 s0, 0
	s_mov_b32 s58, 0
	s_mov_b32 s1, exec_lo
	v_cmpx_gt_i32_e64 v3, v7
	s_cbranch_execz .LBB49_35
; %bb.30:
	s_wait_loadcnt 0x0
	s_delay_alu instid0(VALU_DEP_2) | instskip(SKIP_3) | instid1(VALU_DEP_1)
	v_lshlrev_b64_e32 v[10:11], 2, v[22:23]
	v_dual_mov_b32 v22, v7 :: v_dual_ashrrev_i32 v23, 31, v7
	s_mov_b32 s35, 0
	s_xor_b32 s37, s49, -1
                                        ; implicit-def: $sgpr36
                                        ; implicit-def: $sgpr39
                                        ; implicit-def: $sgpr38
	v_lshl_add_u64 v[6:7], v[22:23], 2, v[10:11]
	v_add_nc_u64_e32 v[10:11], s[14:15], v[10:11]
	v_dual_mov_b32 v22, v3 :: v_dual_ashrrev_i32 v23, 31, v3
	s_delay_alu instid0(VALU_DEP_3) | instskip(NEXT) | instid1(VALU_DEP_1)
	v_add_nc_u64_e32 v[6:7], s[14:15], v[6:7]
	v_add_nc_u64_e32 v[2:3], 4, v[6:7]
	s_delay_alu instid0(VALU_DEP_3)
	v_lshl_add_u64 v[6:7], v[22:23], 2, v[10:11]
	s_branch .LBB49_32
.LBB49_31:                              ;   in Loop: Header=BB49_32 Depth=1
	s_or_b32 exec_lo, exec_lo, s40
	s_delay_alu instid0(SALU_CYCLE_1) | instskip(NEXT) | instid1(SALU_CYCLE_1)
	s_and_b32 s40, exec_lo, s39
	s_or_b32 s35, s40, s35
	s_and_not1_b32 s36, s36, exec_lo
	s_and_b32 s40, s38, exec_lo
	s_delay_alu instid0(SALU_CYCLE_1)
	s_or_b32 s36, s36, s40
	s_and_not1_b32 exec_lo, exec_lo, s35
	s_cbranch_execz .LBB49_34
.LBB49_32:                              ; =>This Inner Loop Header: Depth=1
	s_or_b32 s38, s38, exec_lo
	s_or_b32 s39, s39, exec_lo
	s_mov_b32 s40, exec_lo
	s_delay_alu instid0(VALU_DEP_2)
	v_cmpx_lt_u64_e64 v[2:3], v[6:7]
	s_cbranch_execz .LBB49_31
; %bb.33:                               ;   in Loop: Header=BB49_32 Depth=1
	global_load_b64 v[10:11], v[2:3], off offset:-4
	s_and_not1_b32 s39, s39, exec_lo
	s_wait_xcnt 0x0
	v_add_nc_u64_e32 v[2:3], 4, v[2:3]
	s_and_not1_b32 s38, s38, exec_lo
	s_wait_loadcnt 0x0
	v_cmp_ge_i32_e32 vcc_lo, v10, v11
	s_or_b32 s41, s37, vcc_lo
	s_delay_alu instid0(SALU_CYCLE_1) | instskip(NEXT) | instid1(SALU_CYCLE_1)
	s_and_b32 s41, s41, exec_lo
	s_or_b32 s39, s39, s41
	s_branch .LBB49_31
.LBB49_34:
	s_or_b32 exec_lo, exec_lo, s35
	s_delay_alu instid0(SALU_CYCLE_1)
	s_mov_b32 s58, exec_lo
	s_or_not1_b32 s35, s36, exec_lo
.LBB49_35:
	s_or_b32 exec_lo, exec_lo, s1
	s_mov_b32 s1, 0
	s_mov_b32 s36, 0
	;; [unrolled: 1-line block ×3, first 2 shown]
	s_and_saveexec_b32 s59, s35
	s_cbranch_execz .LBB49_60
; %bb.36:
	s_mov_b32 s0, 0
	s_mov_b32 s1, -1
	s_mov_b32 s35, 0
	s_mov_b32 s60, exec_lo
	v_cmpx_eq_u32_e64 s33, v19
	s_cbranch_execz .LBB49_59
; %bb.37:
	s_mov_b32 s0, -1
	s_mov_b32 s38, 0
	s_mov_b32 s39, 0
	s_mov_b32 s61, exec_lo
	v_cmpx_eq_u32_e64 v16, v14
	s_cbranch_execz .LBB49_58
; %bb.38:
	v_sub_nc_u32_e32 v1, v4, v8
	s_mov_b32 s35, -1
	s_mov_b32 s1, 0
	s_delay_alu instid0(VALU_DEP_1) | instskip(SKIP_2) | instid1(SALU_CYCLE_1)
	v_cmp_le_i32_e32 vcc_lo, s33, v1
	v_cmp_ge_i32_e64 s0, s4, v1
	s_and_b32 s0, vcc_lo, s0
	s_and_saveexec_b32 s62, s0
	s_cbranch_execz .LBB49_57
; %bb.39:
	v_mov_b64_e32 v[2:3], 0
	s_and_not1_b32 vcc_lo, exec_lo, s50
	s_cbranch_vccnz .LBB49_46
; %bb.40:
	s_wait_loadcnt 0x0
	v_dual_mov_b32 v2, v12 :: v_dual_ashrrev_i32 v3, 31, v12
	s_mov_b32 s35, s1
	v_mov_b32_e32 v6, 0
	s_lshl_b64 s[40:41], s[34:35], 3
	s_mov_b64 s[36:37], 0xffffffff
	v_mul_u64_e32 v[10:11], s[6:7], v[2:3]
	v_mov_b64_e32 v[2:3], 0
	s_add_nc_u64 s[38:39], s[10:11], s[40:41]
	s_add_nc_u64 s[40:41], s[12:13], s[40:41]
	s_mov_b32 s35, s8
	s_branch .LBB49_42
.LBB49_41:                              ;   in Loop: Header=BB49_42 Depth=1
	s_or_b32 exec_lo, exec_lo, s0
	s_delay_alu instid0(VALU_DEP_1)
	v_mul_u64_e32 v[22:23], s[42:43], v[18:19]
	s_load_b64 s[42:43], s[40:41], 0x0
	s_add_co_i32 s35, s35, -1
	s_add_nc_u64 s[38:39], s[38:39], -8
	s_cmp_lg_u32 s35, 0
	s_wait_xcnt 0x0
	s_add_nc_u64 s[40:41], s[40:41], -8
	s_delay_alu instid0(VALU_DEP_1) | instskip(SKIP_1) | instid1(VALU_DEP_1)
	v_sub_nc_u64_e32 v[10:11], v[10:11], v[22:23]
	s_wait_kmcnt 0x0
	v_mad_nc_u64_u32 v[2:3], v10, s42, v[2:3]
	s_delay_alu instid0(VALU_DEP_1) | instskip(NEXT) | instid1(VALU_DEP_1)
	v_mad_u32 v1, v11, s42, v3
	v_mad_u32 v3, v10, s43, v1
	v_mov_b64_e32 v[10:11], v[18:19]
	s_cbranch_scc0 .LBB49_46
.LBB49_42:                              ; =>This Inner Loop Header: Depth=1
	s_load_b64 s[42:43], s[38:39], 0x0
                                        ; implicit-def: $vgpr18_vgpr19
	s_mov_b32 s0, exec_lo
	s_wait_kmcnt 0x0
	s_delay_alu instid0(VALU_DEP_1) | instskip(NEXT) | instid1(VALU_DEP_1)
	v_or_b32_e32 v7, s43, v11
	v_cmpx_ne_u64_e32 0, v[6:7]
	s_xor_b32 s63, exec_lo, s0
	s_cbranch_execz .LBB49_44
; %bb.43:                               ;   in Loop: Header=BB49_42 Depth=1
	s_ashr_i32 s44, s43, 31
	v_dual_mov_b32 v25, v6 :: v_dual_ashrrev_i32 v18, 31, v11
	s_mov_b32 s45, s44
	v_mov_b32_e32 v29, v6
	s_add_nc_u64 s[46:47], s[42:43], s[44:45]
	s_delay_alu instid0(VALU_DEP_2)
	v_mov_b32_e32 v19, v18
	s_xor_b64 s[46:47], s[46:47], s[44:45]
	v_mov_b32_e32 v33, v6
	s_cvt_f32_u32 s0, s46
	s_cvt_f32_u32 s45, s47
	s_sub_nc_u64 s[66:67], 0, s[46:47]
	v_add_nc_u64_e32 v[22:23], v[10:11], v[18:19]
	s_delay_alu instid0(SALU_CYCLE_1) | instskip(NEXT) | instid1(SALU_CYCLE_3)
	s_fmamk_f32 s0, s45, 0x4f800000, s0
	v_s_rcp_f32 s0, s0
	s_delay_alu instid0(VALU_DEP_1) | instskip(NEXT) | instid1(VALU_DEP_2)
	v_xor_b32_e32 v28, v23, v18
	v_xor_b32_e32 v24, v22, v18
	s_delay_alu instid0(TRANS32_DEP_1) | instskip(NEXT) | instid1(SALU_CYCLE_3)
	s_mul_f32 s0, s0, 0x5f7ffffc
	s_mul_f32 s45, s0, 0x2f800000
	s_delay_alu instid0(SALU_CYCLE_3) | instskip(NEXT) | instid1(SALU_CYCLE_3)
	s_trunc_f32 s45, s45
	s_fmamk_f32 s0, s45, 0xcf800000, s0
	s_cvt_u32_f32 s65, s45
	s_delay_alu instid0(SALU_CYCLE_2) | instskip(NEXT) | instid1(SALU_CYCLE_3)
	s_cvt_u32_f32 s64, s0
	s_mul_u64 s[68:69], s[66:67], s[64:65]
	s_delay_alu instid0(SALU_CYCLE_1)
	s_mul_hi_u32 s71, s64, s69
	s_mul_i32 s70, s64, s69
	s_mul_hi_u32 s0, s64, s68
	s_mul_i32 s72, s65, s68
	s_add_nc_u64 s[70:71], s[0:1], s[70:71]
	s_mul_hi_u32 s45, s65, s68
	s_mul_hi_u32 s73, s65, s69
	s_add_co_u32 s0, s70, s72
	s_add_co_ci_u32 s0, s71, s45
	s_mul_i32 s68, s65, s69
	s_add_co_ci_u32 s69, s73, 0
	s_delay_alu instid0(SALU_CYCLE_1) | instskip(NEXT) | instid1(SALU_CYCLE_1)
	s_add_nc_u64 s[68:69], s[0:1], s[68:69]
	s_add_co_u32 s64, s64, s68
	s_cselect_b32 s0, -1, 0
	s_delay_alu instid0(SALU_CYCLE_1) | instskip(SKIP_1) | instid1(SALU_CYCLE_1)
	s_cmp_lg_u32 s0, 0
	s_add_co_ci_u32 s65, s65, s69
	s_mul_u64 s[66:67], s[66:67], s[64:65]
	s_delay_alu instid0(SALU_CYCLE_1)
	s_mul_hi_u32 s69, s64, s67
	s_mul_i32 s68, s64, s67
	s_mul_hi_u32 s0, s64, s66
	s_mul_i32 s70, s65, s66
	s_add_nc_u64 s[68:69], s[0:1], s[68:69]
	s_mul_hi_u32 s45, s65, s66
	s_mul_hi_u32 s71, s65, s67
	s_add_co_u32 s0, s68, s70
	s_add_co_ci_u32 s0, s69, s45
	s_mul_i32 s66, s65, s67
	s_add_co_ci_u32 s67, s71, 0
	s_delay_alu instid0(SALU_CYCLE_1) | instskip(NEXT) | instid1(SALU_CYCLE_1)
	s_add_nc_u64 s[66:67], s[0:1], s[66:67]
	s_add_co_u32 s64, s64, s66
	s_cselect_b32 s0, -1, 0
	v_mul_hi_u32 v32, v24, s64
	s_cmp_lg_u32 s0, 0
	s_add_co_ci_u32 s0, s65, s67
	s_and_b64 s[66:67], s[64:65], s[36:37]
	v_mul_u64_e32 v[26:27], s[0:1], v[24:25]
	v_mul_u64_e32 v[22:23], s[66:67], v[28:29]
	;; [unrolled: 1-line block ×3, first 2 shown]
	s_delay_alu instid0(VALU_DEP_3) | instskip(NEXT) | instid1(VALU_DEP_1)
	v_add_nc_u64_e32 v[26:27], v[32:33], v[26:27]
	v_add_co_u32 v1, vcc_lo, v26, v22
	s_delay_alu instid0(VALU_DEP_2) | instskip(NEXT) | instid1(VALU_DEP_4)
	v_add_co_ci_u32_e32 v32, vcc_lo, v27, v23, vcc_lo
	v_add_co_ci_u32_e32 v31, vcc_lo, 0, v31, vcc_lo
	s_delay_alu instid0(VALU_DEP_1) | instskip(NEXT) | instid1(VALU_DEP_1)
	v_add_nc_u64_e32 v[22:23], v[32:33], v[30:31]
	v_mul_u64_e32 v[26:27], s[46:47], v[22:23]
	s_delay_alu instid0(VALU_DEP_1) | instskip(NEXT) | instid1(VALU_DEP_2)
	v_sub_nc_u32_e32 v1, v28, v27
	v_sub_co_u32 v7, vcc_lo, v24, v26
	s_delay_alu instid0(VALU_DEP_1) | instskip(NEXT) | instid1(VALU_DEP_3)
	v_sub_co_ci_u32_e64 v15, null, v28, v27, vcc_lo
	v_subrev_co_ci_u32_e64 v1, null, s47, v1, vcc_lo
	s_delay_alu instid0(VALU_DEP_3) | instskip(SKIP_1) | instid1(VALU_DEP_3)
	v_sub_co_u32 v12, s0, v7, s46
	v_add_nc_u64_e32 v[24:25], 2, v[22:23]
	v_subrev_co_ci_u32_e64 v1, null, 0, v1, s0
	s_delay_alu instid0(VALU_DEP_3) | instskip(SKIP_2) | instid1(VALU_DEP_4)
	v_cmp_le_u32_e32 vcc_lo, s46, v12
	v_add_nc_u64_e32 v[26:27], 1, v[22:23]
	v_cndmask_b32_e64 v12, 0, -1, vcc_lo
	v_cmp_le_u32_e32 vcc_lo, s47, v1
	v_cndmask_b32_e64 v16, 0, -1, vcc_lo
	v_cmp_le_u32_e32 vcc_lo, s46, v7
	;; [unrolled: 2-line block ×3, first 2 shown]
	v_cndmask_b32_e64 v19, 0, -1, vcc_lo
	v_cmp_eq_u32_e32 vcc_lo, s47, v1
	v_cndmask_b32_e32 v1, v16, v12, vcc_lo
	v_cmp_eq_u32_e32 vcc_lo, s47, v15
	s_delay_alu instid0(VALU_DEP_4) | instskip(NEXT) | instid1(VALU_DEP_3)
	v_cndmask_b32_e32 v7, v19, v7, vcc_lo
	v_cmp_ne_u32_e32 vcc_lo, 0, v1
	s_delay_alu instid0(VALU_DEP_2) | instskip(SKIP_1) | instid1(VALU_DEP_1)
	v_cmp_ne_u32_e64 s0, 0, v7
	v_dual_cndmask_b32 v1, v27, v25, vcc_lo :: v_dual_cndmask_b32 v7, v26, v24, vcc_lo
	v_dual_cndmask_b32 v1, v23, v1, s0 :: v_dual_bitop2_b32 v18, s44, v18 bitop3:0x14
	s_delay_alu instid0(VALU_DEP_1) | instskip(NEXT) | instid1(VALU_DEP_1)
	v_dual_cndmask_b32 v7, v22, v7, s0 :: v_dual_bitop2_b32 v23, v1, v18 bitop3:0x14
	v_dual_mov_b32 v19, v18 :: v_dual_bitop2_b32 v22, v7, v18 bitop3:0x14
	s_delay_alu instid0(VALU_DEP_1)
	v_sub_nc_u64_e32 v[18:19], v[22:23], v[18:19]
.LBB49_44:                              ;   in Loop: Header=BB49_42 Depth=1
	s_and_not1_saveexec_b32 s0, s63
	s_cbranch_execz .LBB49_41
; %bb.45:                               ;   in Loop: Header=BB49_42 Depth=1
	v_cvt_f32_u32_e32 v1, s42
	s_sub_co_i32 s44, 0, s42
	v_mov_b32_e32 v19, v6
	s_delay_alu instid0(VALU_DEP_2) | instskip(SKIP_1) | instid1(TRANS32_DEP_1)
	v_rcp_iflag_f32_e32 v1, v1
	v_nop
	v_mul_f32_e32 v1, 0x4f7ffffe, v1
	s_delay_alu instid0(VALU_DEP_1) | instskip(NEXT) | instid1(VALU_DEP_1)
	v_cvt_u32_f32_e32 v1, v1
	v_mul_lo_u32 v7, s44, v1
	s_delay_alu instid0(VALU_DEP_1) | instskip(NEXT) | instid1(VALU_DEP_1)
	v_mul_hi_u32 v7, v1, v7
	v_add_nc_u32_e32 v1, v1, v7
	s_delay_alu instid0(VALU_DEP_1) | instskip(NEXT) | instid1(VALU_DEP_1)
	v_mul_hi_u32 v1, v10, v1
	v_mul_lo_u32 v7, v1, s42
	s_delay_alu instid0(VALU_DEP_1) | instskip(NEXT) | instid1(VALU_DEP_1)
	v_sub_nc_u32_e32 v7, v10, v7
	v_subrev_nc_u32_e32 v15, s42, v7
	v_cmp_le_u32_e32 vcc_lo, s42, v7
	s_delay_alu instid0(VALU_DEP_2) | instskip(NEXT) | instid1(VALU_DEP_1)
	v_dual_cndmask_b32 v7, v7, v15 :: v_dual_add_nc_u32 v12, 1, v1
	v_cndmask_b32_e32 v1, v1, v12, vcc_lo
	s_delay_alu instid0(VALU_DEP_2) | instskip(NEXT) | instid1(VALU_DEP_2)
	v_cmp_le_u32_e32 vcc_lo, s42, v7
	v_add_nc_u32_e32 v12, 1, v1
	s_delay_alu instid0(VALU_DEP_1)
	v_cndmask_b32_e32 v18, v1, v12, vcc_lo
	s_branch .LBB49_41
.LBB49_46:
	s_mov_b32 s38, -1
	s_mov_b32 s0, 0
	s_mov_b32 s35, 0
	s_mov_b32 s1, exec_lo
	v_cmpx_gt_i32_e64 v4, v8
	s_cbranch_execz .LBB49_52
; %bb.47:
	s_delay_alu instid0(VALU_DEP_2) | instskip(SKIP_3) | instid1(VALU_DEP_2)
	v_lshlrev_b64_e32 v[2:3], 2, v[2:3]
	v_dual_mov_b32 v6, v8 :: v_dual_ashrrev_i32 v7, 31, v8
	v_dual_mov_b32 v18, v4 :: v_dual_ashrrev_i32 v19, 31, v4
	s_xor_b32 s37, s49, -1
                                        ; implicit-def: $sgpr36
                                        ; implicit-def: $sgpr39
                                        ; implicit-def: $sgpr38
	v_lshl_add_u64 v[6:7], v[6:7], 2, v[2:3]
	s_wait_loadcnt 0x0
	v_add_nc_u64_e32 v[10:11], s[14:15], v[2:3]
	s_delay_alu instid0(VALU_DEP_2) | instskip(NEXT) | instid1(VALU_DEP_1)
	v_add_nc_u64_e32 v[6:7], s[14:15], v[6:7]
	v_add_nc_u64_e32 v[2:3], 4, v[6:7]
	s_delay_alu instid0(VALU_DEP_3)
	v_lshl_add_u64 v[6:7], v[18:19], 2, v[10:11]
	s_branch .LBB49_49
.LBB49_48:                              ;   in Loop: Header=BB49_49 Depth=1
	s_or_b32 exec_lo, exec_lo, s40
	s_delay_alu instid0(SALU_CYCLE_1) | instskip(NEXT) | instid1(SALU_CYCLE_1)
	s_and_b32 s40, exec_lo, s39
	s_or_b32 s35, s40, s35
	s_and_not1_b32 s36, s36, exec_lo
	s_and_b32 s40, s38, exec_lo
	s_delay_alu instid0(SALU_CYCLE_1)
	s_or_b32 s36, s36, s40
	s_and_not1_b32 exec_lo, exec_lo, s35
	s_cbranch_execz .LBB49_51
.LBB49_49:                              ; =>This Inner Loop Header: Depth=1
	s_or_b32 s38, s38, exec_lo
	s_or_b32 s39, s39, exec_lo
	s_mov_b32 s40, exec_lo
	s_delay_alu instid0(VALU_DEP_2)
	v_cmpx_lt_u64_e64 v[2:3], v[6:7]
	s_cbranch_execz .LBB49_48
; %bb.50:                               ;   in Loop: Header=BB49_49 Depth=1
	global_load_b64 v[10:11], v[2:3], off offset:-4
	s_and_not1_b32 s39, s39, exec_lo
	s_wait_xcnt 0x0
	v_add_nc_u64_e32 v[2:3], 4, v[2:3]
	s_and_not1_b32 s38, s38, exec_lo
	s_wait_loadcnt 0x0
	v_cmp_ge_i32_e32 vcc_lo, v10, v11
	s_or_b32 s41, s37, vcc_lo
	s_delay_alu instid0(SALU_CYCLE_1) | instskip(NEXT) | instid1(SALU_CYCLE_1)
	s_and_b32 s41, s41, exec_lo
	s_or_b32 s39, s39, s41
	s_branch .LBB49_48
.LBB49_51:
	s_or_b32 exec_lo, exec_lo, s35
	s_delay_alu instid0(SALU_CYCLE_1)
	s_mov_b32 s35, exec_lo
	s_or_not1_b32 s38, s36, exec_lo
.LBB49_52:
	s_or_b32 exec_lo, exec_lo, s1
	s_mov_b32 s36, 0
	s_mov_b32 s37, 0
	s_and_saveexec_b32 s1, s38
	s_cbranch_execz .LBB49_56
; %bb.53:
	s_mov_b32 s0, 0
	s_mov_b32 s37, -1
	s_mov_b32 s38, exec_lo
	v_cmpx_eq_u32_e64 s33, v20
	s_xor_b32 s38, exec_lo, s38
; %bb.54:
	v_cmp_ne_u32_e32 vcc_lo, v17, v14
	s_mov_b32 s36, exec_lo
	s_xor_b32 s37, exec_lo, -1
	s_and_b32 s0, vcc_lo, exec_lo
; %bb.55:
	s_or_b32 exec_lo, exec_lo, s38
	s_delay_alu instid0(SALU_CYCLE_1)
	s_and_b32 s37, s37, exec_lo
	s_and_not1_b32 s35, s35, exec_lo
	s_and_b32 s36, s36, exec_lo
	s_and_b32 s0, s0, exec_lo
.LBB49_56:
	s_or_b32 exec_lo, exec_lo, s1
	s_delay_alu instid0(SALU_CYCLE_1)
	s_and_b32 s38, s37, exec_lo
	s_and_b32 s37, s35, exec_lo
	s_xor_b32 s35, exec_lo, -1
	s_and_b32 s36, s36, exec_lo
	s_and_b32 s1, s0, exec_lo
.LBB49_57:
	s_or_b32 exec_lo, exec_lo, s62
	s_delay_alu instid0(SALU_CYCLE_1)
	s_and_b32 s39, s38, exec_lo
	s_and_b32 s37, s37, exec_lo
	;; [unrolled: 1-line block ×4, first 2 shown]
	s_or_not1_b32 s0, s1, exec_lo
.LBB49_58:
	s_or_b32 exec_lo, exec_lo, s61
	s_delay_alu instid0(SALU_CYCLE_1)
	s_or_not1_b32 s1, s39, exec_lo
	s_and_b32 s37, s37, exec_lo
	s_and_b32 s36, s38, exec_lo
	;; [unrolled: 1-line block ×4, first 2 shown]
.LBB49_59:
	s_or_b32 exec_lo, exec_lo, s60
	s_delay_alu instid0(SALU_CYCLE_1)
	s_and_not1_b32 s38, s58, exec_lo
	s_and_b32 s39, s37, exec_lo
	s_and_b32 s37, s1, exec_lo
	s_or_b32 s58, s38, s39
	s_and_b32 s36, s36, exec_lo
	s_and_b32 s1, s35, exec_lo
	;; [unrolled: 1-line block ×3, first 2 shown]
.LBB49_60:
	s_or_b32 exec_lo, exec_lo, s59
	s_delay_alu instid0(SALU_CYCLE_1)
	s_and_b32 s38, s37, exec_lo
	s_and_b32 s37, s58, exec_lo
	s_or_not1_b32 s35, s36, exec_lo
	s_and_b32 s36, s1, exec_lo
	s_and_b32 s1, s0, exec_lo
.LBB49_61:
	s_or_b32 exec_lo, exec_lo, s57
	s_delay_alu instid0(SALU_CYCLE_1)
	s_and_b32 s39, s38, exec_lo
	s_and_b32 s37, s37, exec_lo
	;; [unrolled: 1-line block ×4, first 2 shown]
	s_or_not1_b32 s0, s1, exec_lo
.LBB49_62:
	s_or_b32 exec_lo, exec_lo, s56
	s_delay_alu instid0(SALU_CYCLE_1)
	s_or_not1_b32 s1, s39, exec_lo
	s_and_b32 s37, s37, exec_lo
	s_and_b32 s36, s38, exec_lo
	;; [unrolled: 1-line block ×4, first 2 shown]
.LBB49_63:
	s_or_b32 exec_lo, exec_lo, s55
	s_delay_alu instid0(SALU_CYCLE_1)
	s_and_not1_b32 s38, s53, exec_lo
	s_and_b32 s37, s37, exec_lo
	s_and_b32 s1, s1, exec_lo
	s_or_b32 s53, s38, s37
	s_and_b32 s37, s36, exec_lo
	s_and_b32 s36, s35, exec_lo
	;; [unrolled: 1-line block ×3, first 2 shown]
.LBB49_64:
	s_or_b32 exec_lo, exec_lo, s54
	s_delay_alu instid0(SALU_CYCLE_1)
	s_and_b32 s1, s1, exec_lo
	s_and_b32 s40, s53, exec_lo
	s_or_not1_b32 s35, s37, exec_lo
	s_and_b32 s39, s36, exec_lo
	s_and_b32 s38, s0, exec_lo
.LBB49_65:
	s_or_b32 exec_lo, exec_lo, s52
	s_delay_alu instid0(SALU_CYCLE_1)
	s_and_b32 s1, s1, exec_lo
	s_and_b32 s52, s40, exec_lo
	;; [unrolled: 1-line block ×4, first 2 shown]
	s_or_not1_b32 s38, s38, exec_lo
	s_mov_b32 s53, s8
.LBB49_66:
	s_or_b32 exec_lo, exec_lo, s51
	s_and_saveexec_b32 s36, s38
	s_cbranch_execnz .LBB49_212
.LBB49_67:
	s_or_b32 exec_lo, exec_lo, s36
	s_mov_b32 s36, 0
	s_and_saveexec_b32 s37, s0
	s_delay_alu instid0(SALU_CYCLE_1)
	s_xor_b32 s37, exec_lo, s37
	s_cbranch_execz .LBB49_106
; %bb.68:
	v_sub_nc_u32_e32 v1, v5, v9
	s_and_not1_b32 s35, s35, exec_lo
	s_mov_b32 s36, exec_lo
	s_delay_alu instid0(VALU_DEP_1) | instskip(SKIP_2) | instid1(SALU_CYCLE_1)
	v_cmp_gt_i32_e32 vcc_lo, s33, v1
	v_cmp_lt_i32_e64 s0, s4, v1
	s_or_b32 s0, vcc_lo, s0
	s_and_b32 s0, s0, exec_lo
	s_delay_alu instid0(SALU_CYCLE_1)
	s_or_b32 s35, s35, s0
	s_or_b32 exec_lo, exec_lo, s37
	s_and_saveexec_b32 s0, s35
	s_cbranch_execz .LBB49_107
.LBB49_69:
	s_or_b32 s3, s3, exec_lo
	s_and_not1_b32 s36, s36, exec_lo
	s_trap 2
	s_or_b32 exec_lo, exec_lo, s0
	s_mov_b32 s0, 0
	s_and_saveexec_b32 s51, s36
	s_cbranch_execnz .LBB49_108
.LBB49_70:
	s_or_b32 exec_lo, exec_lo, s51
	s_and_saveexec_b32 s34, s52
	s_cbranch_execnz .LBB49_175
.LBB49_71:
	s_or_b32 exec_lo, exec_lo, s34
	s_and_saveexec_b32 s34, s0
	s_delay_alu instid0(SALU_CYCLE_1)
	s_xor_b32 s0, exec_lo, s34
	s_cbranch_execz .LBB49_73
.LBB49_72:
	v_mov_b32_e32 v2, 0
	s_add_nc_u64 s[30:31], s[16:17], s[30:31]
	s_delay_alu instid0(VALU_DEP_1)
	v_dual_mov_b32 v3, v2 :: v_dual_mov_b32 v4, v2
	v_mov_b32_e32 v5, v2
	global_store_b128 v0, v[2:5], s[30:31] scale_offset
.LBB49_73:
	s_wait_xcnt 0x0
	s_or_b32 exec_lo, exec_lo, s0
	s_delay_alu instid0(SALU_CYCLE_1)
	s_and_b32 s3, s3, exec_lo
	s_or_not1_b32 s0, s1, exec_lo
.LBB49_74:
	s_or_b32 exec_lo, exec_lo, s48
.LBB49_75:
	s_and_saveexec_b32 s1, s0
	s_delay_alu instid0(SALU_CYCLE_1)
	s_xor_b32 s0, exec_lo, s1
	s_cbranch_execnz .LBB49_210
.LBB49_76:
	s_or_b32 exec_lo, exec_lo, s0
	s_mov_b32 s0, 0
.LBB49_77:
	s_delay_alu instid0(SALU_CYCLE_1)
	s_and_b32 vcc_lo, exec_lo, s0
	s_cbranch_vccz .LBB49_97
; %bb.78:
	v_mov_b64_e32 v[6:7], 0
	v_cmp_gt_i32_e64 s0, s5, v0
	v_dual_mov_b32 v3, 0 :: v_dual_mov_b32 v1, 0
	v_or_b32_e32 v15, 0x100, v0
	v_dual_mov_b32 v2, 0 :: v_dual_mov_b32 v4, 0
	s_wait_loadcnt 0x0
	v_dual_mov_b32 v11, 0 :: v_dual_mov_b32 v9, 0
	v_dual_mov_b32 v10, 0 :: v_dual_mov_b32 v8, 0
	;; [unrolled: 1-line block ×7, first 2 shown]
	v_mov_b32_e32 v24, 0
	s_and_saveexec_b32 s1, s0
	s_cbranch_execz .LBB49_86
; %bb.79:
	v_dual_mov_b32 v18, 0 :: v_dual_bitop2_b32 v1, s2, v0 bitop3:0x54
	v_mov_b64_e32 v[6:7], 0
	v_dual_mov_b32 v14, 0 :: v_dual_mov_b32 v16, 0
	s_clause 0x4
	global_load_b32 v23, v1, s[18:19] scale_offset
	global_load_b32 v21, v1, s[20:21] scale_offset
	;; [unrolled: 1-line block ×5, first 2 shown]
	v_dual_mov_b32 v17, 0 :: v_dual_mov_b32 v19, 0
	v_dual_mov_b32 v13, 0 :: v_dual_mov_b32 v8, 0
	;; [unrolled: 1-line block ×4, first 2 shown]
	s_wait_xcnt 0x0
	v_dual_mov_b32 v2, 0 :: v_dual_mov_b32 v1, 0
	v_mov_b32_e32 v3, 0
	s_mov_b32 s9, exec_lo
	v_cmpx_gt_u32_e64 s5, v15
	s_cbranch_execz .LBB49_85
; %bb.80:
	v_dual_mov_b32 v13, 0 :: v_dual_add_nc_u32 v12, s2, v0
	v_or_b32_e32 v1, 0x200, v0
	v_mov_b64_e32 v[6:7], 0
	v_dual_mov_b32 v8, 0 :: v_dual_mov_b32 v10, 0
	s_clause 0x4
	global_load_b32 v19, v12, s[18:19] offset:1024 scale_offset
	global_load_b32 v17, v12, s[20:21] offset:1024 scale_offset
	;; [unrolled: 1-line block ×5, first 2 shown]
	v_cmp_gt_u32_e32 vcc_lo, s5, v1
	v_dual_mov_b32 v9, 0 :: v_dual_mov_b32 v11, 0
	v_dual_mov_b32 v4, 0 :: v_dual_mov_b32 v2, 0
	;; [unrolled: 1-line block ×3, first 2 shown]
	s_wait_xcnt 0x0
	s_and_saveexec_b32 s30, vcc_lo
	s_cbranch_execz .LBB49_84
; %bb.81:
	v_lshlrev_b64_e32 v[2:3], 2, v[12:13]
	v_or_b32_e32 v1, 0x300, v0
	v_mov_b64_e32 v[6:7], 0
	s_delay_alu instid0(VALU_DEP_2) | instskip(NEXT) | instid1(VALU_DEP_4)
	v_cmp_gt_u32_e32 vcc_lo, s5, v1
	v_add_nc_u64_e32 v[4:5], s[18:19], v[2:3]
	v_add_nc_u64_e32 v[26:27], s[20:21], v[2:3]
	;; [unrolled: 1-line block ×5, first 2 shown]
	v_dual_mov_b32 v2, 0 :: v_dual_mov_b32 v1, 0
	global_load_b32 v11, v[4:5], off offset:2048
	global_load_b32 v9, v[26:27], off offset:2048
	;; [unrolled: 1-line block ×5, first 2 shown]
	v_mov_b32_e32 v3, 0
	s_wait_xcnt 0x0
	s_and_saveexec_b32 s18, vcc_lo
	s_cbranch_execz .LBB49_83
; %bb.82:
	global_load_b32 v6, v[28:29], off offset:3072
	global_load_b32 v3, v[4:5], off offset:3072
	;; [unrolled: 1-line block ×5, first 2 shown]
	s_wait_loadcnt 0x4
	v_ashrrev_i32_e32 v7, 31, v6
.LBB49_83:
	s_wait_xcnt 0x0
	s_or_b32 exec_lo, exec_lo, s18
	s_wait_loadcnt 0x0
	v_dual_mov_b32 v4, v13 :: v_dual_mov_b32 v13, v12
.LBB49_84:
	s_or_b32 exec_lo, exec_lo, s30
.LBB49_85:
	s_delay_alu instid0(SALU_CYCLE_1)
	s_or_b32 exec_lo, exec_lo, s9
.LBB49_86:
	s_delay_alu instid0(SALU_CYCLE_1)
	s_or_b32 exec_lo, exec_lo, s1
	s_get_pc_i64 s[18:19]
	s_add_nc_u64 s[18:19], s[18:19], .str.2@rel64+4
	s_cmp_lg_u64 s[28:29], 0
	s_get_pc_i64 s[20:21]
	s_add_nc_u64 s[20:21], s[20:21], .str.3@rel64+4
	s_cselect_b32 s42, -1, 0
	s_cmp_lg_u64 s[18:19], 0
	v_cmp_gt_i64_e64 s9, s[6:7], 0
	s_cselect_b32 s39, -1, 0
	s_cmp_lg_u64 s[20:21], 0
	s_get_pc_i64 s[20:21]
	s_add_nc_u64 s[20:21], s[20:21], .str.4@rel64+4
	s_cselect_b32 s38, -1, 0
	s_add_co_i32 s18, s8, -1
	s_mov_b32 s1, -1
	s_cmp_gt_i32 s18, -1
	s_mov_b32 s48, 0
	s_cselect_b32 s19, -1, 0
	s_mov_b32 s46, 0
	s_and_b32 s37, s9, s19
	s_cmp_lg_u64 s[20:21], 0
	s_mov_b32 s44, 0
	s_cselect_b32 s36, -1, 0
	s_mov_b32 s43, 0
	s_mov_b32 s41, 0
	s_and_saveexec_b32 s9, s0
	s_cbranch_execz .LBB49_130
; %bb.87:
	s_wait_loadcnt 0x4
	v_cmp_eq_u32_e32 vcc_lo, s33, v23
	s_mov_b32 s19, -1
	s_mov_b32 s1, 0
	s_mov_b32 s20, 0
	;; [unrolled: 1-line block ×3, first 2 shown]
	s_and_b32 s23, s42, vcc_lo
	s_mov_b32 s22, 0
	s_and_saveexec_b32 s40, s23
	s_cbranch_execz .LBB49_129
; %bb.88:
	s_wait_loadcnt 0x3
	v_cmp_eq_u32_e32 vcc_lo, s6, v21
	s_and_b32 s22, s39, vcc_lo
	s_delay_alu instid0(SALU_CYCLE_1)
	s_and_saveexec_b32 s41, s22
	s_cbranch_execz .LBB49_128
; %bb.89:
	s_wait_loadcnt 0x1
	v_sub_nc_u32_e32 v5, v20, v22
	s_delay_alu instid0(VALU_DEP_1)
	v_cmp_le_i32_e32 vcc_lo, s33, v5
	v_cmp_ge_i32_e64 s1, s4, v5
	s_and_b32 s20, vcc_lo, s1
	s_mov_b32 s1, 0
	s_and_b32 s21, s38, s20
	s_mov_b32 s20, 0
	s_and_saveexec_b32 s43, s21
	s_cbranch_execz .LBB49_127
; %bb.90:
	v_mov_b64_e32 v[26:27], 0
	s_and_not1_b32 vcc_lo, exec_lo, s37
	s_cbranch_vccnz .LBB49_115
; %bb.91:
	s_wait_loadcnt 0x0
	v_ashrrev_i32_e32 v25, 31, v24
	s_mov_b32 s21, 0
	v_mov_b64_e32 v[26:27], 0
	s_mov_b32 s19, s21
	s_mov_b64 s[22:23], 0xffffffff
	v_mul_u64_e32 v[28:29], s[6:7], v[24:25]
	v_mov_b32_e32 v24, 0
	s_lshl_b64 s[26:27], s[18:19], 3
	s_mov_b32 s19, s8
	s_add_nc_u64 s[24:25], s[10:11], s[26:27]
	s_add_nc_u64 s[26:27], s[12:13], s[26:27]
	s_branch .LBB49_93
.LBB49_92:                              ;   in Loop: Header=BB49_93 Depth=1
	s_or_b32 exec_lo, exec_lo, s1
	s_delay_alu instid0(VALU_DEP_1)
	v_mul_u64_e32 v[32:33], s[28:29], v[30:31]
	s_load_b64 s[28:29], s[26:27], 0x0
	s_add_co_i32 s19, s19, -1
	s_add_nc_u64 s[24:25], s[24:25], -8
	s_cmp_eq_u32 s19, 0
	s_wait_xcnt 0x0
	s_add_nc_u64 s[26:27], s[26:27], -8
	s_delay_alu instid0(VALU_DEP_1) | instskip(SKIP_1) | instid1(VALU_DEP_1)
	v_sub_nc_u64_e32 v[28:29], v[28:29], v[32:33]
	s_wait_kmcnt 0x0
	v_mad_nc_u64_u32 v[26:27], v28, s28, v[26:27]
	s_delay_alu instid0(VALU_DEP_1) | instskip(NEXT) | instid1(VALU_DEP_1)
	v_mad_u32 v5, v29, s28, v27
	v_mad_u32 v27, v28, s29, v5
	v_mov_b64_e32 v[28:29], v[30:31]
	s_cbranch_scc1 .LBB49_115
.LBB49_93:                              ; =>This Inner Loop Header: Depth=1
	s_load_b64 s[28:29], s[24:25], 0x0
                                        ; implicit-def: $vgpr30_vgpr31
	s_mov_b32 s1, exec_lo
	s_wait_kmcnt 0x0
	s_delay_alu instid0(VALU_DEP_1) | instskip(NEXT) | instid1(VALU_DEP_1)
	v_or_b32_e32 v25, s29, v29
	v_cmpx_ne_u64_e32 0, v[24:25]
	s_xor_b32 s44, exec_lo, s1
	s_cbranch_execz .LBB49_95
; %bb.94:                               ;   in Loop: Header=BB49_93 Depth=1
	s_ashr_i32 s30, s29, 31
	v_dual_mov_b32 v35, v24 :: v_dual_ashrrev_i32 v30, 31, v29
	s_mov_b32 s31, s30
	s_delay_alu instid0(SALU_CYCLE_1) | instskip(NEXT) | instid1(VALU_DEP_1)
	s_add_nc_u64 s[34:35], s[28:29], s[30:31]
	v_mov_b32_e32 v31, v30
	s_xor_b64 s[34:35], s[34:35], s[30:31]
	s_delay_alu instid0(SALU_CYCLE_1)
	s_cvt_f32_u32 s1, s34
	s_cvt_f32_u32 s20, s35
	s_sub_nc_u64 s[50:51], 0, s[34:35]
	v_add_nc_u64_e32 v[32:33], v[28:29], v[30:31]
	v_mov_b32_e32 v39, v24
	s_fmamk_f32 s1, s20, 0x4f800000, s1
	s_delay_alu instid0(SALU_CYCLE_3) | instskip(NEXT) | instid1(VALU_DEP_2)
	v_s_rcp_f32 s1, s1
	v_xor_b32_e32 v34, v32, v30
	s_delay_alu instid0(VALU_DEP_3) | instskip(NEXT) | instid1(TRANS32_DEP_1)
	v_dual_mov_b32 v43, v24 :: v_dual_bitop2_b32 v38, v33, v30 bitop3:0x14
	s_mul_f32 s1, s1, 0x5f7ffffc
	s_delay_alu instid0(SALU_CYCLE_3) | instskip(NEXT) | instid1(SALU_CYCLE_3)
	s_mul_f32 s20, s1, 0x2f800000
	s_trunc_f32 s20, s20
	s_delay_alu instid0(SALU_CYCLE_3) | instskip(SKIP_1) | instid1(SALU_CYCLE_2)
	s_fmamk_f32 s1, s20, 0xcf800000, s1
	s_cvt_u32_f32 s47, s20
	s_cvt_u32_f32 s46, s1
	s_delay_alu instid0(SALU_CYCLE_3) | instskip(NEXT) | instid1(SALU_CYCLE_1)
	s_mul_u64 s[52:53], s[50:51], s[46:47]
	s_mul_hi_u32 s55, s46, s53
	s_mul_i32 s54, s46, s53
	s_mul_hi_u32 s20, s46, s52
	s_mul_i32 s31, s47, s52
	s_add_nc_u64 s[54:55], s[20:21], s[54:55]
	s_mul_hi_u32 s1, s47, s52
	s_mul_hi_u32 s45, s47, s53
	s_add_co_u32 s20, s54, s31
	s_add_co_ci_u32 s20, s55, s1
	s_mul_i32 s52, s47, s53
	s_add_co_ci_u32 s53, s45, 0
	s_delay_alu instid0(SALU_CYCLE_1) | instskip(NEXT) | instid1(SALU_CYCLE_1)
	s_add_nc_u64 s[52:53], s[20:21], s[52:53]
	s_add_co_u32 s46, s46, s52
	s_cselect_b32 s1, -1, 0
	s_delay_alu instid0(SALU_CYCLE_1) | instskip(SKIP_1) | instid1(SALU_CYCLE_1)
	s_cmp_lg_u32 s1, 0
	s_add_co_ci_u32 s47, s47, s53
	s_mul_u64 s[50:51], s[50:51], s[46:47]
	s_delay_alu instid0(SALU_CYCLE_1)
	s_mul_hi_u32 s53, s46, s51
	s_mul_i32 s52, s46, s51
	s_mul_hi_u32 s20, s46, s50
	s_mul_i32 s31, s47, s50
	s_add_nc_u64 s[52:53], s[20:21], s[52:53]
	s_mul_hi_u32 s1, s47, s50
	s_mul_hi_u32 s45, s47, s51
	s_add_co_u32 s20, s52, s31
	s_add_co_ci_u32 s20, s53, s1
	s_mul_i32 s50, s47, s51
	s_add_co_ci_u32 s51, s45, 0
	s_delay_alu instid0(SALU_CYCLE_1) | instskip(NEXT) | instid1(SALU_CYCLE_1)
	s_add_nc_u64 s[50:51], s[20:21], s[50:51]
	s_add_co_u32 s46, s46, s50
	s_cselect_b32 s1, -1, 0
	v_mul_hi_u32 v42, v34, s46
	s_cmp_lg_u32 s1, 0
	s_add_co_ci_u32 s20, s47, s51
	s_and_b64 s[50:51], s[46:47], s[22:23]
	v_mul_u64_e32 v[36:37], s[20:21], v[34:35]
	v_mul_u64_e32 v[32:33], s[50:51], v[38:39]
	;; [unrolled: 1-line block ×3, first 2 shown]
	s_delay_alu instid0(VALU_DEP_3) | instskip(NEXT) | instid1(VALU_DEP_1)
	v_add_nc_u64_e32 v[36:37], v[42:43], v[36:37]
	v_add_co_u32 v5, vcc_lo, v36, v32
	s_delay_alu instid0(VALU_DEP_2) | instskip(NEXT) | instid1(VALU_DEP_4)
	v_add_co_ci_u32_e32 v42, vcc_lo, v37, v33, vcc_lo
	v_add_co_ci_u32_e32 v41, vcc_lo, 0, v41, vcc_lo
	s_delay_alu instid0(VALU_DEP_1) | instskip(NEXT) | instid1(VALU_DEP_1)
	v_add_nc_u64_e32 v[32:33], v[42:43], v[40:41]
	v_mul_u64_e32 v[36:37], s[34:35], v[32:33]
	s_delay_alu instid0(VALU_DEP_1) | instskip(NEXT) | instid1(VALU_DEP_2)
	v_sub_nc_u32_e32 v5, v38, v37
	v_sub_co_u32 v12, vcc_lo, v34, v36
	s_delay_alu instid0(VALU_DEP_1) | instskip(NEXT) | instid1(VALU_DEP_3)
	v_sub_co_ci_u32_e64 v23, null, v38, v37, vcc_lo
	v_subrev_co_ci_u32_e64 v5, null, s35, v5, vcc_lo
	s_delay_alu instid0(VALU_DEP_3) | instskip(SKIP_1) | instid1(VALU_DEP_3)
	v_sub_co_u32 v21, s1, v12, s34
	v_add_nc_u64_e32 v[34:35], 2, v[32:33]
	v_subrev_co_ci_u32_e64 v5, null, 0, v5, s1
	s_delay_alu instid0(VALU_DEP_3) | instskip(SKIP_2) | instid1(VALU_DEP_4)
	v_cmp_le_u32_e32 vcc_lo, s34, v21
	v_add_nc_u64_e32 v[36:37], 1, v[32:33]
	v_cndmask_b32_e64 v21, 0, -1, vcc_lo
	v_cmp_le_u32_e32 vcc_lo, s35, v5
	v_cndmask_b32_e64 v25, 0, -1, vcc_lo
	v_cmp_le_u32_e32 vcc_lo, s34, v12
	;; [unrolled: 2-line block ×3, first 2 shown]
	v_cndmask_b32_e64 v31, 0, -1, vcc_lo
	v_cmp_eq_u32_e32 vcc_lo, s35, v5
	v_cndmask_b32_e32 v5, v25, v21, vcc_lo
	v_cmp_eq_u32_e32 vcc_lo, s35, v23
	s_delay_alu instid0(VALU_DEP_4) | instskip(NEXT) | instid1(VALU_DEP_3)
	v_cndmask_b32_e32 v12, v31, v12, vcc_lo
	v_cmp_ne_u32_e32 vcc_lo, 0, v5
	s_delay_alu instid0(VALU_DEP_2) | instskip(SKIP_1) | instid1(VALU_DEP_1)
	v_cmp_ne_u32_e64 s1, 0, v12
	v_dual_cndmask_b32 v5, v37, v35 :: v_dual_cndmask_b32 v12, v36, v34
	v_dual_cndmask_b32 v5, v33, v5, s1 :: v_dual_bitop2_b32 v30, s30, v30 bitop3:0x14
	s_delay_alu instid0(VALU_DEP_1) | instskip(NEXT) | instid1(VALU_DEP_2)
	v_dual_cndmask_b32 v12, v32, v12, s1 :: v_dual_mov_b32 v31, v30
	v_xor_b32_e32 v33, v5, v30
	s_delay_alu instid0(VALU_DEP_2) | instskip(NEXT) | instid1(VALU_DEP_1)
	v_xor_b32_e32 v32, v12, v30
	v_sub_nc_u64_e32 v[30:31], v[32:33], v[30:31]
.LBB49_95:                              ;   in Loop: Header=BB49_93 Depth=1
	s_and_not1_saveexec_b32 s1, s44
	s_cbranch_execz .LBB49_92
; %bb.96:                               ;   in Loop: Header=BB49_93 Depth=1
	v_cvt_f32_u32_e32 v5, s28
	s_sub_co_i32 s20, 0, s28
	v_mov_b32_e32 v31, v24
	s_delay_alu instid0(VALU_DEP_2) | instskip(SKIP_1) | instid1(TRANS32_DEP_1)
	v_rcp_iflag_f32_e32 v5, v5
	v_nop
	v_mul_f32_e32 v5, 0x4f7ffffe, v5
	s_delay_alu instid0(VALU_DEP_1) | instskip(NEXT) | instid1(VALU_DEP_1)
	v_cvt_u32_f32_e32 v5, v5
	v_mul_lo_u32 v12, s20, v5
	s_delay_alu instid0(VALU_DEP_1) | instskip(NEXT) | instid1(VALU_DEP_1)
	v_mul_hi_u32 v12, v5, v12
	v_add_nc_u32_e32 v5, v5, v12
	s_delay_alu instid0(VALU_DEP_1) | instskip(NEXT) | instid1(VALU_DEP_1)
	v_mul_hi_u32 v5, v28, v5
	v_mul_lo_u32 v12, v5, s28
	s_delay_alu instid0(VALU_DEP_1) | instskip(NEXT) | instid1(VALU_DEP_1)
	v_dual_add_nc_u32 v21, 1, v5 :: v_dual_sub_nc_u32 v12, v28, v12
	v_subrev_nc_u32_e32 v23, s28, v12
	v_cmp_le_u32_e32 vcc_lo, s28, v12
	s_delay_alu instid0(VALU_DEP_2) | instskip(NEXT) | instid1(VALU_DEP_1)
	v_dual_cndmask_b32 v12, v12, v23 :: v_dual_cndmask_b32 v5, v5, v21
	v_cmp_le_u32_e32 vcc_lo, s28, v12
	s_delay_alu instid0(VALU_DEP_2) | instskip(NEXT) | instid1(VALU_DEP_1)
	v_add_nc_u32_e32 v21, 1, v5
	v_cndmask_b32_e32 v30, v5, v21, vcc_lo
	s_branch .LBB49_92
.LBB49_97:
                                        ; implicit-def: $sgpr0
                                        ; implicit-def: $sgpr40
                                        ; implicit-def: $sgpr45
                                        ; implicit-def: $sgpr24
                                        ; implicit-def: $vgpr0
	s_and_saveexec_b32 s1, s3
.LBB49_98:
	; divergent unreachable
.LBB49_99:
	s_delay_alu instid0(SALU_CYCLE_1)
	s_or_b32 exec_lo, exec_lo, s1
	s_and_saveexec_b32 s1, s9
	s_cbranch_execz .LBB49_105
; %bb.100:
	s_and_b32 exec_lo, exec_lo, s0
	s_cbranch_execz .LBB49_105
; %bb.101:
	v_dual_mov_b32 v1, 0 :: v_dual_bitop2_b32 v2, s2, v0 bitop3:0x54
	global_store_b32 v2, v1, s[16:17] scale_offset
	s_wait_xcnt 0x0
	s_and_b32 exec_lo, exec_lo, s40
	s_cbranch_execz .LBB49_105
; %bb.102:
	v_add_nc_u32_e32 v0, s2, v0
	global_store_b32 v0, v1, s[16:17] offset:1024 scale_offset
	s_wait_xcnt 0x0
	s_and_b32 exec_lo, exec_lo, s45
	s_cbranch_execz .LBB49_105
; %bb.103:
	v_lshl_add_u64 v[0:1], v[0:1], 2, s[16:17]
	v_mov_b32_e32 v2, 0
	global_store_b32 v[0:1], v2, off offset:2048
	s_wait_xcnt 0x0
	s_and_b32 exec_lo, exec_lo, s24
	s_cbranch_execz .LBB49_105
; %bb.104:
	global_store_b32 v[0:1], v2, off offset:3072
.LBB49_105:
	s_endpgm
.LBB49_106:
	s_or_b32 exec_lo, exec_lo, s37
	s_and_saveexec_b32 s0, s35
	s_cbranch_execnz .LBB49_69
.LBB49_107:
	s_or_b32 exec_lo, exec_lo, s0
	s_mov_b32 s0, 0
	s_and_saveexec_b32 s51, s36
	s_cbranch_execz .LBB49_70
.LBB49_108:
	v_mov_b64_e32 v[2:3], 0
	s_and_not1_b32 vcc_lo, exec_lo, s50
	s_cbranch_vccnz .LBB49_120
; %bb.109:
	s_wait_loadcnt 0x0
	v_dual_mov_b32 v2, v13 :: v_dual_ashrrev_i32 v3, 31, v13
	s_mov_b32 s35, 0
	v_mov_b32_e32 v6, 0
	s_lshl_b64 s[40:41], s[34:35], 3
	s_mov_b64 s[36:37], 0xffffffff
	v_mul_u64_e32 v[10:11], s[6:7], v[2:3]
	v_mov_b64_e32 v[2:3], 0
	s_add_nc_u64 s[38:39], s[10:11], s[40:41]
	s_add_nc_u64 s[40:41], s[12:13], s[40:41]
	s_branch .LBB49_111
.LBB49_110:                             ;   in Loop: Header=BB49_111 Depth=1
	s_or_b32 exec_lo, exec_lo, s0
	s_delay_alu instid0(VALU_DEP_1)
	v_mul_u64_e32 v[14:15], s[42:43], v[12:13]
	s_load_b64 s[42:43], s[40:41], 0x0
	s_add_co_i32 s53, s53, -1
	s_add_nc_u64 s[38:39], s[38:39], -8
	s_cmp_lg_u32 s53, 0
	s_wait_xcnt 0x0
	s_add_nc_u64 s[40:41], s[40:41], -8
	s_delay_alu instid0(VALU_DEP_1) | instskip(SKIP_1) | instid1(VALU_DEP_1)
	v_sub_nc_u64_e32 v[10:11], v[10:11], v[14:15]
	s_wait_kmcnt 0x0
	v_mad_nc_u64_u32 v[2:3], v10, s42, v[2:3]
	s_delay_alu instid0(VALU_DEP_1) | instskip(NEXT) | instid1(VALU_DEP_1)
	v_mad_u32 v1, v11, s42, v3
	v_mad_u32 v3, v10, s43, v1
	v_mov_b64_e32 v[10:11], v[12:13]
	s_cbranch_scc0 .LBB49_120
.LBB49_111:                             ; =>This Inner Loop Header: Depth=1
	s_load_b64 s[42:43], s[38:39], 0x0
                                        ; implicit-def: $vgpr12_vgpr13
	s_mov_b32 s0, exec_lo
	s_wait_kmcnt 0x0
	s_delay_alu instid0(VALU_DEP_1) | instskip(NEXT) | instid1(VALU_DEP_1)
	v_or_b32_e32 v7, s43, v11
	v_cmpx_ne_u64_e32 0, v[6:7]
	s_xor_b32 s50, exec_lo, s0
	s_cbranch_execz .LBB49_113
; %bb.112:                              ;   in Loop: Header=BB49_111 Depth=1
	s_ashr_i32 s44, s43, 31
	v_dual_mov_b32 v17, v6 :: v_dual_ashrrev_i32 v12, 31, v11
	s_mov_b32 s45, s44
	s_delay_alu instid0(SALU_CYCLE_1) | instskip(NEXT) | instid1(VALU_DEP_1)
	s_add_nc_u64 s[46:47], s[42:43], s[44:45]
	v_mov_b32_e32 v13, v12
	s_xor_b64 s[46:47], s[46:47], s[44:45]
	s_delay_alu instid0(SALU_CYCLE_1)
	s_cvt_f32_u32 s0, s46
	s_cvt_f32_u32 s34, s47
	s_sub_nc_u64 s[56:57], 0, s[46:47]
	v_add_nc_u64_e32 v[14:15], v[10:11], v[12:13]
	v_mov_b32_e32 v21, v6
	s_fmamk_f32 s0, s34, 0x4f800000, s0
	s_delay_alu instid0(SALU_CYCLE_3) | instskip(NEXT) | instid1(VALU_DEP_2)
	v_s_rcp_f32 s0, s0
	v_xor_b32_e32 v16, v14, v12
	s_delay_alu instid0(VALU_DEP_3) | instskip(NEXT) | instid1(TRANS32_DEP_1)
	v_dual_mov_b32 v25, v6 :: v_dual_bitop2_b32 v20, v15, v12 bitop3:0x14
	s_mul_f32 s0, s0, 0x5f7ffffc
	s_delay_alu instid0(SALU_CYCLE_3) | instskip(NEXT) | instid1(SALU_CYCLE_3)
	s_mul_f32 s34, s0, 0x2f800000
	s_trunc_f32 s34, s34
	s_delay_alu instid0(SALU_CYCLE_3) | instskip(SKIP_1) | instid1(SALU_CYCLE_2)
	s_fmamk_f32 s0, s34, 0xcf800000, s0
	s_cvt_u32_f32 s55, s34
	s_cvt_u32_f32 s54, s0
	s_delay_alu instid0(SALU_CYCLE_3) | instskip(NEXT) | instid1(SALU_CYCLE_1)
	s_mul_u64 s[58:59], s[56:57], s[54:55]
	s_mul_hi_u32 s61, s54, s59
	s_mul_i32 s60, s54, s59
	s_mul_hi_u32 s34, s54, s58
	s_mul_i32 s45, s55, s58
	s_add_nc_u64 s[60:61], s[34:35], s[60:61]
	s_mul_hi_u32 s0, s55, s58
	s_mul_hi_u32 s62, s55, s59
	s_add_co_u32 s34, s60, s45
	s_add_co_ci_u32 s34, s61, s0
	s_mul_i32 s58, s55, s59
	s_add_co_ci_u32 s59, s62, 0
	s_delay_alu instid0(SALU_CYCLE_1) | instskip(NEXT) | instid1(SALU_CYCLE_1)
	s_add_nc_u64 s[58:59], s[34:35], s[58:59]
	s_add_co_u32 s54, s54, s58
	s_cselect_b32 s0, -1, 0
	s_delay_alu instid0(SALU_CYCLE_1) | instskip(SKIP_1) | instid1(SALU_CYCLE_1)
	s_cmp_lg_u32 s0, 0
	s_add_co_ci_u32 s55, s55, s59
	s_mul_u64 s[56:57], s[56:57], s[54:55]
	s_delay_alu instid0(SALU_CYCLE_1)
	s_mul_hi_u32 s59, s54, s57
	s_mul_i32 s58, s54, s57
	s_mul_hi_u32 s34, s54, s56
	s_mul_i32 s45, s55, s56
	s_add_nc_u64 s[58:59], s[34:35], s[58:59]
	s_mul_hi_u32 s0, s55, s56
	s_mul_hi_u32 s60, s55, s57
	s_add_co_u32 s34, s58, s45
	s_add_co_ci_u32 s34, s59, s0
	s_mul_i32 s56, s55, s57
	s_add_co_ci_u32 s57, s60, 0
	s_delay_alu instid0(SALU_CYCLE_1) | instskip(NEXT) | instid1(SALU_CYCLE_1)
	s_add_nc_u64 s[56:57], s[34:35], s[56:57]
	s_add_co_u32 s0, s54, s56
	s_cselect_b32 s34, -1, 0
	v_mul_hi_u32 v24, v16, s0
	s_cmp_lg_u32 s34, 0
	s_add_co_ci_u32 s34, s55, s57
	s_and_b64 s[54:55], s[0:1], s[36:37]
	v_mul_u64_e32 v[18:19], s[34:35], v[16:17]
	v_mul_u64_e32 v[14:15], s[54:55], v[20:21]
	;; [unrolled: 1-line block ×3, first 2 shown]
	s_delay_alu instid0(VALU_DEP_3) | instskip(NEXT) | instid1(VALU_DEP_1)
	v_add_nc_u64_e32 v[18:19], v[24:25], v[18:19]
	v_add_co_u32 v1, vcc_lo, v18, v14
	s_delay_alu instid0(VALU_DEP_2) | instskip(NEXT) | instid1(VALU_DEP_4)
	v_add_co_ci_u32_e32 v24, vcc_lo, v19, v15, vcc_lo
	v_add_co_ci_u32_e32 v23, vcc_lo, 0, v23, vcc_lo
	s_delay_alu instid0(VALU_DEP_1) | instskip(NEXT) | instid1(VALU_DEP_1)
	v_add_nc_u64_e32 v[14:15], v[24:25], v[22:23]
	v_mul_u64_e32 v[18:19], s[46:47], v[14:15]
	s_delay_alu instid0(VALU_DEP_1) | instskip(NEXT) | instid1(VALU_DEP_2)
	v_sub_nc_u32_e32 v1, v20, v19
	v_sub_co_u32 v4, vcc_lo, v16, v18
	s_delay_alu instid0(VALU_DEP_1) | instskip(NEXT) | instid1(VALU_DEP_3)
	v_sub_co_ci_u32_e64 v8, null, v20, v19, vcc_lo
	v_subrev_co_ci_u32_e64 v1, null, s47, v1, vcc_lo
	s_delay_alu instid0(VALU_DEP_3) | instskip(SKIP_1) | instid1(VALU_DEP_3)
	v_sub_co_u32 v7, s0, v4, s46
	v_add_nc_u64_e32 v[16:17], 2, v[14:15]
	v_subrev_co_ci_u32_e64 v1, null, 0, v1, s0
	s_delay_alu instid0(VALU_DEP_3) | instskip(SKIP_2) | instid1(VALU_DEP_4)
	v_cmp_le_u32_e32 vcc_lo, s46, v7
	v_add_nc_u64_e32 v[18:19], 1, v[14:15]
	v_cndmask_b32_e64 v7, 0, -1, vcc_lo
	v_cmp_le_u32_e32 vcc_lo, s47, v1
	v_cndmask_b32_e64 v13, 0, -1, vcc_lo
	v_cmp_le_u32_e32 vcc_lo, s46, v4
	;; [unrolled: 2-line block ×3, first 2 shown]
	v_cndmask_b32_e64 v20, 0, -1, vcc_lo
	v_cmp_eq_u32_e32 vcc_lo, s47, v1
	v_cndmask_b32_e32 v1, v13, v7, vcc_lo
	v_cmp_eq_u32_e32 vcc_lo, s47, v8
	s_delay_alu instid0(VALU_DEP_4) | instskip(NEXT) | instid1(VALU_DEP_3)
	v_cndmask_b32_e32 v4, v20, v4, vcc_lo
	v_cmp_ne_u32_e32 vcc_lo, 0, v1
	s_delay_alu instid0(VALU_DEP_2) | instskip(SKIP_1) | instid1(VALU_DEP_1)
	v_cmp_ne_u32_e64 s0, 0, v4
	v_dual_cndmask_b32 v1, v19, v17 :: v_dual_cndmask_b32 v4, v18, v16
	v_dual_cndmask_b32 v1, v15, v1, s0 :: v_dual_bitop2_b32 v12, s44, v12 bitop3:0x14
	s_delay_alu instid0(VALU_DEP_1) | instskip(NEXT) | instid1(VALU_DEP_2)
	v_dual_cndmask_b32 v4, v14, v4, s0 :: v_dual_mov_b32 v13, v12
	v_xor_b32_e32 v15, v1, v12
	s_delay_alu instid0(VALU_DEP_2) | instskip(NEXT) | instid1(VALU_DEP_1)
	v_xor_b32_e32 v14, v4, v12
	v_sub_nc_u64_e32 v[12:13], v[14:15], v[12:13]
.LBB49_113:                             ;   in Loop: Header=BB49_111 Depth=1
	s_and_not1_saveexec_b32 s0, s50
	s_cbranch_execz .LBB49_110
; %bb.114:                              ;   in Loop: Header=BB49_111 Depth=1
	v_cvt_f32_u32_e32 v1, s42
	s_sub_co_i32 s34, 0, s42
	v_mov_b32_e32 v13, v6
	s_delay_alu instid0(VALU_DEP_2) | instskip(SKIP_1) | instid1(TRANS32_DEP_1)
	v_rcp_iflag_f32_e32 v1, v1
	v_nop
	v_mul_f32_e32 v1, 0x4f7ffffe, v1
	s_delay_alu instid0(VALU_DEP_1) | instskip(NEXT) | instid1(VALU_DEP_1)
	v_cvt_u32_f32_e32 v1, v1
	v_mul_lo_u32 v4, s34, v1
	s_delay_alu instid0(VALU_DEP_1) | instskip(NEXT) | instid1(VALU_DEP_1)
	v_mul_hi_u32 v4, v1, v4
	v_add_nc_u32_e32 v1, v1, v4
	s_delay_alu instid0(VALU_DEP_1) | instskip(NEXT) | instid1(VALU_DEP_1)
	v_mul_hi_u32 v1, v10, v1
	v_mul_lo_u32 v4, v1, s42
	s_delay_alu instid0(VALU_DEP_1) | instskip(NEXT) | instid1(VALU_DEP_1)
	v_sub_nc_u32_e32 v4, v10, v4
	v_subrev_nc_u32_e32 v8, s42, v4
	v_cmp_le_u32_e32 vcc_lo, s42, v4
	s_delay_alu instid0(VALU_DEP_2) | instskip(NEXT) | instid1(VALU_DEP_1)
	v_dual_cndmask_b32 v4, v4, v8 :: v_dual_add_nc_u32 v7, 1, v1
	v_cndmask_b32_e32 v1, v1, v7, vcc_lo
	s_delay_alu instid0(VALU_DEP_2) | instskip(NEXT) | instid1(VALU_DEP_2)
	v_cmp_le_u32_e32 vcc_lo, s42, v4
	v_add_nc_u32_e32 v7, 1, v1
	s_delay_alu instid0(VALU_DEP_1)
	v_cndmask_b32_e32 v12, v1, v7, vcc_lo
	s_branch .LBB49_110
.LBB49_115:
	s_mov_b32 s21, -1
	s_mov_b32 s19, 0
	s_mov_b32 s1, exec_lo
	v_cmpx_gt_i32_e64 v20, v22
	s_cbranch_execz .LBB49_126
; %bb.116:
	s_wait_loadcnt 0x0
	s_delay_alu instid0(VALU_DEP_2) | instskip(SKIP_2) | instid1(VALU_DEP_1)
	v_lshlrev_b64_e32 v[24:25], 2, v[26:27]
	v_dual_ashrrev_i32 v23, 31, v22 :: v_dual_ashrrev_i32 v21, 31, v20
	s_xor_b32 s21, s36, -1
                                        ; implicit-def: $sgpr20
                                        ; implicit-def: $sgpr23
                                        ; implicit-def: $sgpr22
	v_lshl_add_u64 v[22:23], v[22:23], 2, v[24:25]
	v_add_nc_u64_e32 v[24:25], s[14:15], v[24:25]
	s_delay_alu instid0(VALU_DEP_2) | instskip(NEXT) | instid1(VALU_DEP_2)
	v_add_nc_u64_e32 v[22:23], s[14:15], v[22:23]
	v_lshl_add_u64 v[20:21], v[20:21], 2, v[24:25]
	s_delay_alu instid0(VALU_DEP_2)
	v_add_nc_u64_e32 v[22:23], 4, v[22:23]
	s_branch .LBB49_118
.LBB49_117:                             ;   in Loop: Header=BB49_118 Depth=1
	s_or_b32 exec_lo, exec_lo, s24
	s_delay_alu instid0(SALU_CYCLE_1) | instskip(NEXT) | instid1(SALU_CYCLE_1)
	s_and_b32 s24, exec_lo, s23
	s_or_b32 s19, s24, s19
	s_and_not1_b32 s20, s20, exec_lo
	s_and_b32 s24, s22, exec_lo
	s_delay_alu instid0(SALU_CYCLE_1)
	s_or_b32 s20, s20, s24
	s_and_not1_b32 exec_lo, exec_lo, s19
	s_cbranch_execz .LBB49_125
.LBB49_118:                             ; =>This Inner Loop Header: Depth=1
	s_or_b32 s22, s22, exec_lo
	s_or_b32 s23, s23, exec_lo
	s_mov_b32 s24, exec_lo
	s_delay_alu instid0(VALU_DEP_1)
	v_cmpx_lt_u64_e64 v[22:23], v[20:21]
	s_cbranch_execz .LBB49_117
; %bb.119:                              ;   in Loop: Header=BB49_118 Depth=1
	global_load_b64 v[24:25], v[22:23], off offset:-4
	s_wait_xcnt 0x0
	v_add_nc_u64_e32 v[22:23], 4, v[22:23]
	s_and_not1_b32 s23, s23, exec_lo
	s_and_not1_b32 s22, s22, exec_lo
	s_wait_loadcnt 0x0
	v_cmp_ge_i32_e32 vcc_lo, v24, v25
	s_or_b32 s25, s21, vcc_lo
	s_delay_alu instid0(SALU_CYCLE_1) | instskip(NEXT) | instid1(SALU_CYCLE_1)
	s_and_b32 s25, s25, exec_lo
	s_or_b32 s23, s23, s25
	s_branch .LBB49_117
.LBB49_120:
	s_mov_b32 s34, s52
	s_mov_b32 s0, exec_lo
	v_cmpx_gt_i32_e64 v5, v9
	s_cbranch_execz .LBB49_174
; %bb.121:
	s_delay_alu instid0(VALU_DEP_2)
	v_lshlrev_b64_e32 v[2:3], 2, v[2:3]
	v_dual_mov_b32 v6, v9 :: v_dual_ashrrev_i32 v7, 31, v9
	s_wait_loadcnt 0x0
	v_dual_mov_b32 v10, v5 :: v_dual_ashrrev_i32 v11, 31, v5
	s_mov_b32 s34, 0
	s_xor_b32 s36, s49, -1
	s_delay_alu instid0(VALU_DEP_3) | instskip(SKIP_1) | instid1(VALU_DEP_2)
	v_lshl_add_u64 v[6:7], v[6:7], 2, v[2:3]
	v_add_nc_u64_e32 v[8:9], s[14:15], v[2:3]
                                        ; implicit-def: $sgpr35
                                        ; implicit-def: $sgpr38
                                        ; implicit-def: $sgpr37
	v_add_nc_u64_e32 v[6:7], s[14:15], v[6:7]
	s_delay_alu instid0(VALU_DEP_2) | instskip(NEXT) | instid1(VALU_DEP_2)
	v_lshl_add_u64 v[4:5], v[10:11], 2, v[8:9]
	v_add_nc_u64_e32 v[2:3], 4, v[6:7]
	s_branch .LBB49_123
.LBB49_122:                             ;   in Loop: Header=BB49_123 Depth=1
	s_or_b32 exec_lo, exec_lo, s39
	s_xor_b32 s39, s37, -1
	s_and_b32 s40, exec_lo, s38
	s_delay_alu instid0(SALU_CYCLE_1) | instskip(SKIP_2) | instid1(SALU_CYCLE_1)
	s_or_b32 s34, s40, s34
	s_and_not1_b32 s35, s35, exec_lo
	s_and_b32 s39, s39, exec_lo
	s_or_b32 s35, s35, s39
	s_and_not1_b32 exec_lo, exec_lo, s34
	s_cbranch_execz .LBB49_173
.LBB49_123:                             ; =>This Inner Loop Header: Depth=1
	s_or_b32 s37, s37, exec_lo
	s_or_b32 s38, s38, exec_lo
	s_mov_b32 s39, exec_lo
	s_delay_alu instid0(VALU_DEP_1)
	v_cmpx_lt_u64_e64 v[2:3], v[4:5]
	s_cbranch_execz .LBB49_122
; %bb.124:                              ;   in Loop: Header=BB49_123 Depth=1
	global_load_b64 v[6:7], v[2:3], off offset:-4
	s_wait_xcnt 0x0
	v_add_nc_u64_e32 v[2:3], 4, v[2:3]
	s_and_not1_b32 s38, s38, exec_lo
	s_and_not1_b32 s37, s37, exec_lo
	s_wait_loadcnt 0x0
	v_cmp_ge_i32_e32 vcc_lo, v6, v7
	s_or_b32 s40, s36, vcc_lo
	s_delay_alu instid0(SALU_CYCLE_1) | instskip(NEXT) | instid1(SALU_CYCLE_1)
	s_and_b32 s40, s40, exec_lo
	s_or_b32 s38, s38, s40
	s_branch .LBB49_122
.LBB49_125:
	s_or_b32 exec_lo, exec_lo, s19
	s_delay_alu instid0(SALU_CYCLE_1)
	s_mov_b32 s19, exec_lo
	s_or_not1_b32 s21, s20, exec_lo
.LBB49_126:
	s_or_b32 exec_lo, exec_lo, s1
	s_delay_alu instid0(SALU_CYCLE_1)
	s_and_b32 s20, s19, exec_lo
	s_xor_b32 s19, exec_lo, -1
	s_and_b32 s1, s21, exec_lo
.LBB49_127:
	s_or_b32 exec_lo, exec_lo, s43
	s_delay_alu instid0(SALU_CYCLE_1)
	s_and_b32 s21, s20, exec_lo
	s_and_b32 s20, s19, exec_lo
	s_xor_b32 s19, exec_lo, -1
	s_and_b32 s1, s1, exec_lo
.LBB49_128:
	s_or_b32 exec_lo, exec_lo, s41
	s_delay_alu instid0(SALU_CYCLE_1)
	s_and_b32 s22, s21, exec_lo
	s_and_b32 s21, s20, exec_lo
	;; [unrolled: 1-line block ×3, first 2 shown]
	s_xor_b32 s19, exec_lo, -1
	s_and_b32 s1, s1, exec_lo
.LBB49_129:
	s_or_b32 exec_lo, exec_lo, s40
	s_delay_alu instid0(SALU_CYCLE_1)
	s_and_b32 s41, s22, exec_lo
	s_and_b32 s43, s21, exec_lo
	;; [unrolled: 1-line block ×4, first 2 shown]
	s_or_not1_b32 s1, s1, exec_lo
.LBB49_130:
	s_or_b32 exec_lo, exec_lo, s9
	s_mov_b32 s9, 0
                                        ; implicit-def: $sgpr40
                                        ; implicit-def: $sgpr45
                                        ; implicit-def: $sgpr24
	s_and_saveexec_b32 s47, s1
	s_cbranch_execz .LBB49_142
; %bb.131:
	v_cmp_gt_i32_e64 s40, s5, v15
	s_mov_b32 s1, -1
	s_mov_b32 s52, 0
	s_mov_b32 s48, s46
	;; [unrolled: 1-line block ×4, first 2 shown]
	s_and_saveexec_b32 s45, s40
	s_cbranch_execz .LBB49_181
; %bb.132:
	s_wait_loadcnt 0x4
	v_cmp_eq_u32_e32 vcc_lo, s33, v19
	s_mov_b32 s19, -1
	s_mov_b32 s1, 0
	s_mov_b32 s21, s44
	;; [unrolled: 1-line block ×3, first 2 shown]
	s_and_b32 s23, s42, vcc_lo
	s_mov_b32 s20, 0
	s_and_saveexec_b32 s9, s23
	s_cbranch_execz .LBB49_180
; %bb.133:
	s_wait_loadcnt 0x3
	v_cmp_eq_u32_e32 vcc_lo, s6, v17
	s_mov_b32 s21, s43
	s_and_b32 s22, s39, vcc_lo
	s_delay_alu instid0(SALU_CYCLE_1)
	s_and_saveexec_b32 s48, s22
	s_cbranch_execz .LBB49_179
; %bb.134:
	s_wait_loadcnt 0x1
	v_sub_nc_u32_e32 v5, v14, v16
	s_delay_alu instid0(VALU_DEP_1)
	v_cmp_le_i32_e32 vcc_lo, s33, v5
	v_cmp_ge_i32_e64 s1, s4, v5
	s_and_b32 s20, vcc_lo, s1
	s_mov_b32 s1, 0
	s_and_b32 s21, s38, s20
	s_mov_b32 s20, 0
	s_and_saveexec_b32 s49, s21
	s_cbranch_execz .LBB49_178
; %bb.135:
	v_mov_b64_e32 v[20:21], 0
	s_and_not1_b32 vcc_lo, exec_lo, s37
	s_cbranch_vccnz .LBB49_168
; %bb.136:
	s_wait_loadcnt 0x0
	v_ashrrev_i32_e32 v19, 31, v18
	s_mov_b32 s21, 0
	v_mov_b64_e32 v[20:21], 0
	s_mov_b32 s19, s21
	s_mov_b64 s[22:23], 0xffffffff
	v_mul_u64_e32 v[22:23], s[6:7], v[18:19]
	v_mov_b32_e32 v18, 0
	s_lshl_b64 s[26:27], s[18:19], 3
	s_mov_b32 s19, s8
	s_add_nc_u64 s[24:25], s[10:11], s[26:27]
	s_add_nc_u64 s[26:27], s[12:13], s[26:27]
	s_branch .LBB49_138
.LBB49_137:                             ;   in Loop: Header=BB49_138 Depth=1
	s_or_b32 exec_lo, exec_lo, s1
	s_delay_alu instid0(VALU_DEP_1)
	v_mul_u64_e32 v[26:27], s[28:29], v[24:25]
	s_load_b64 s[28:29], s[26:27], 0x0
	s_add_co_i32 s19, s19, -1
	s_add_nc_u64 s[24:25], s[24:25], -8
	s_cmp_lg_u32 s19, 0
	s_wait_xcnt 0x0
	s_add_nc_u64 s[26:27], s[26:27], -8
	s_delay_alu instid0(VALU_DEP_1) | instskip(SKIP_1) | instid1(VALU_DEP_1)
	v_sub_nc_u64_e32 v[22:23], v[22:23], v[26:27]
	s_wait_kmcnt 0x0
	v_mad_nc_u64_u32 v[20:21], v22, s28, v[20:21]
	s_delay_alu instid0(VALU_DEP_1) | instskip(NEXT) | instid1(VALU_DEP_1)
	v_mad_u32 v5, v23, s28, v21
	v_mad_u32 v21, v22, s29, v5
	v_mov_b64_e32 v[22:23], v[24:25]
	s_cbranch_scc0 .LBB49_168
.LBB49_138:                             ; =>This Inner Loop Header: Depth=1
	s_load_b64 s[28:29], s[24:25], 0x0
                                        ; implicit-def: $vgpr24_vgpr25
	s_mov_b32 s1, exec_lo
	s_wait_kmcnt 0x0
	s_delay_alu instid0(VALU_DEP_1) | instskip(NEXT) | instid1(VALU_DEP_1)
	v_or_b32_e32 v19, s29, v23
	v_cmpx_ne_u64_e32 0, v[18:19]
	s_xor_b32 s50, exec_lo, s1
	s_cbranch_execz .LBB49_140
; %bb.139:                              ;   in Loop: Header=BB49_138 Depth=1
	s_ashr_i32 s30, s29, 31
	v_dual_mov_b32 v29, v18 :: v_dual_ashrrev_i32 v24, 31, v23
	s_mov_b32 s31, s30
	s_delay_alu instid0(SALU_CYCLE_1) | instskip(NEXT) | instid1(VALU_DEP_1)
	s_add_nc_u64 s[34:35], s[28:29], s[30:31]
	v_mov_b32_e32 v25, v24
	s_xor_b64 s[34:35], s[34:35], s[30:31]
	s_delay_alu instid0(SALU_CYCLE_1)
	s_cvt_f32_u32 s1, s34
	s_cvt_f32_u32 s20, s35
	s_sub_nc_u64 s[56:57], 0, s[34:35]
	v_add_nc_u64_e32 v[26:27], v[22:23], v[24:25]
	v_mov_b32_e32 v33, v18
	s_fmamk_f32 s1, s20, 0x4f800000, s1
	s_delay_alu instid0(SALU_CYCLE_3) | instskip(NEXT) | instid1(VALU_DEP_2)
	v_s_rcp_f32 s1, s1
	v_xor_b32_e32 v28, v26, v24
	s_delay_alu instid0(VALU_DEP_3) | instskip(NEXT) | instid1(TRANS32_DEP_1)
	v_dual_mov_b32 v37, v18 :: v_dual_bitop2_b32 v32, v27, v24 bitop3:0x14
	s_mul_f32 s1, s1, 0x5f7ffffc
	s_delay_alu instid0(SALU_CYCLE_3) | instskip(NEXT) | instid1(SALU_CYCLE_3)
	s_mul_f32 s20, s1, 0x2f800000
	s_trunc_f32 s20, s20
	s_delay_alu instid0(SALU_CYCLE_3) | instskip(SKIP_1) | instid1(SALU_CYCLE_2)
	s_fmamk_f32 s1, s20, 0xcf800000, s1
	s_cvt_u32_f32 s55, s20
	s_cvt_u32_f32 s54, s1
	s_delay_alu instid0(SALU_CYCLE_3) | instskip(NEXT) | instid1(SALU_CYCLE_1)
	s_mul_u64 s[58:59], s[56:57], s[54:55]
	s_mul_hi_u32 s61, s54, s59
	s_mul_i32 s60, s54, s59
	s_mul_hi_u32 s20, s54, s58
	s_mul_i32 s31, s55, s58
	s_add_nc_u64 s[60:61], s[20:21], s[60:61]
	s_mul_hi_u32 s1, s55, s58
	s_mul_hi_u32 s51, s55, s59
	s_add_co_u32 s20, s60, s31
	s_add_co_ci_u32 s20, s61, s1
	s_mul_i32 s58, s55, s59
	s_add_co_ci_u32 s59, s51, 0
	s_delay_alu instid0(SALU_CYCLE_1) | instskip(NEXT) | instid1(SALU_CYCLE_1)
	s_add_nc_u64 s[58:59], s[20:21], s[58:59]
	s_add_co_u32 s54, s54, s58
	s_cselect_b32 s1, -1, 0
	s_delay_alu instid0(SALU_CYCLE_1) | instskip(SKIP_1) | instid1(SALU_CYCLE_1)
	s_cmp_lg_u32 s1, 0
	s_add_co_ci_u32 s55, s55, s59
	s_mul_u64 s[56:57], s[56:57], s[54:55]
	s_delay_alu instid0(SALU_CYCLE_1)
	s_mul_hi_u32 s59, s54, s57
	s_mul_i32 s58, s54, s57
	s_mul_hi_u32 s20, s54, s56
	s_mul_i32 s31, s55, s56
	s_add_nc_u64 s[58:59], s[20:21], s[58:59]
	s_mul_hi_u32 s1, s55, s56
	s_mul_hi_u32 s51, s55, s57
	s_add_co_u32 s20, s58, s31
	s_add_co_ci_u32 s20, s59, s1
	s_mul_i32 s56, s55, s57
	s_add_co_ci_u32 s57, s51, 0
	s_delay_alu instid0(SALU_CYCLE_1) | instskip(NEXT) | instid1(SALU_CYCLE_1)
	s_add_nc_u64 s[56:57], s[20:21], s[56:57]
	s_add_co_u32 s54, s54, s56
	s_cselect_b32 s1, -1, 0
	v_mul_hi_u32 v36, v28, s54
	s_cmp_lg_u32 s1, 0
	s_add_co_ci_u32 s20, s55, s57
	s_and_b64 s[56:57], s[54:55], s[22:23]
	v_mul_u64_e32 v[30:31], s[20:21], v[28:29]
	v_mul_u64_e32 v[26:27], s[56:57], v[32:33]
	;; [unrolled: 1-line block ×3, first 2 shown]
	s_delay_alu instid0(VALU_DEP_3) | instskip(NEXT) | instid1(VALU_DEP_1)
	v_add_nc_u64_e32 v[30:31], v[36:37], v[30:31]
	v_add_co_u32 v5, vcc_lo, v30, v26
	s_delay_alu instid0(VALU_DEP_2) | instskip(NEXT) | instid1(VALU_DEP_4)
	v_add_co_ci_u32_e32 v36, vcc_lo, v31, v27, vcc_lo
	v_add_co_ci_u32_e32 v35, vcc_lo, 0, v35, vcc_lo
	s_delay_alu instid0(VALU_DEP_1) | instskip(NEXT) | instid1(VALU_DEP_1)
	v_add_nc_u64_e32 v[26:27], v[36:37], v[34:35]
	v_mul_u64_e32 v[30:31], s[34:35], v[26:27]
	s_delay_alu instid0(VALU_DEP_1) | instskip(NEXT) | instid1(VALU_DEP_2)
	v_sub_nc_u32_e32 v5, v32, v31
	v_sub_co_u32 v12, vcc_lo, v28, v30
	s_delay_alu instid0(VALU_DEP_1) | instskip(NEXT) | instid1(VALU_DEP_3)
	v_sub_co_ci_u32_e64 v17, null, v32, v31, vcc_lo
	v_subrev_co_ci_u32_e64 v5, null, s35, v5, vcc_lo
	s_delay_alu instid0(VALU_DEP_3) | instskip(SKIP_1) | instid1(VALU_DEP_3)
	v_sub_co_u32 v15, s1, v12, s34
	v_add_nc_u64_e32 v[28:29], 2, v[26:27]
	v_subrev_co_ci_u32_e64 v5, null, 0, v5, s1
	s_delay_alu instid0(VALU_DEP_3) | instskip(SKIP_2) | instid1(VALU_DEP_4)
	v_cmp_le_u32_e32 vcc_lo, s34, v15
	v_add_nc_u64_e32 v[30:31], 1, v[26:27]
	v_cndmask_b32_e64 v15, 0, -1, vcc_lo
	v_cmp_le_u32_e32 vcc_lo, s35, v5
	v_cndmask_b32_e64 v19, 0, -1, vcc_lo
	v_cmp_le_u32_e32 vcc_lo, s34, v12
	;; [unrolled: 2-line block ×3, first 2 shown]
	v_cndmask_b32_e64 v25, 0, -1, vcc_lo
	v_cmp_eq_u32_e32 vcc_lo, s35, v5
	v_cndmask_b32_e32 v5, v19, v15, vcc_lo
	v_cmp_eq_u32_e32 vcc_lo, s35, v17
	s_delay_alu instid0(VALU_DEP_4) | instskip(NEXT) | instid1(VALU_DEP_3)
	v_cndmask_b32_e32 v12, v25, v12, vcc_lo
	v_cmp_ne_u32_e32 vcc_lo, 0, v5
	s_delay_alu instid0(VALU_DEP_2) | instskip(SKIP_1) | instid1(VALU_DEP_1)
	v_cmp_ne_u32_e64 s1, 0, v12
	v_dual_cndmask_b32 v5, v31, v29 :: v_dual_cndmask_b32 v12, v30, v28
	v_dual_cndmask_b32 v5, v27, v5, s1 :: v_dual_bitop2_b32 v24, s30, v24 bitop3:0x14
	s_delay_alu instid0(VALU_DEP_1) | instskip(NEXT) | instid1(VALU_DEP_2)
	v_dual_cndmask_b32 v12, v26, v12, s1 :: v_dual_mov_b32 v25, v24
	v_xor_b32_e32 v27, v5, v24
	s_delay_alu instid0(VALU_DEP_2) | instskip(NEXT) | instid1(VALU_DEP_1)
	v_xor_b32_e32 v26, v12, v24
	v_sub_nc_u64_e32 v[24:25], v[26:27], v[24:25]
.LBB49_140:                             ;   in Loop: Header=BB49_138 Depth=1
	s_and_not1_saveexec_b32 s1, s50
	s_cbranch_execz .LBB49_137
; %bb.141:                              ;   in Loop: Header=BB49_138 Depth=1
	v_cvt_f32_u32_e32 v5, s28
	s_sub_co_i32 s20, 0, s28
	v_mov_b32_e32 v25, v18
	s_delay_alu instid0(VALU_DEP_2) | instskip(SKIP_1) | instid1(TRANS32_DEP_1)
	v_rcp_iflag_f32_e32 v5, v5
	v_nop
	v_mul_f32_e32 v5, 0x4f7ffffe, v5
	s_delay_alu instid0(VALU_DEP_1) | instskip(NEXT) | instid1(VALU_DEP_1)
	v_cvt_u32_f32_e32 v5, v5
	v_mul_lo_u32 v12, s20, v5
	s_delay_alu instid0(VALU_DEP_1) | instskip(NEXT) | instid1(VALU_DEP_1)
	v_mul_hi_u32 v12, v5, v12
	v_add_nc_u32_e32 v5, v5, v12
	s_delay_alu instid0(VALU_DEP_1) | instskip(NEXT) | instid1(VALU_DEP_1)
	v_mul_hi_u32 v5, v22, v5
	v_mul_lo_u32 v12, v5, s28
	s_delay_alu instid0(VALU_DEP_1) | instskip(NEXT) | instid1(VALU_DEP_1)
	v_dual_add_nc_u32 v15, 1, v5 :: v_dual_sub_nc_u32 v12, v22, v12
	v_subrev_nc_u32_e32 v17, s28, v12
	v_cmp_le_u32_e32 vcc_lo, s28, v12
	s_delay_alu instid0(VALU_DEP_2) | instskip(NEXT) | instid1(VALU_DEP_1)
	v_dual_cndmask_b32 v12, v12, v17 :: v_dual_cndmask_b32 v5, v5, v15
	v_cmp_le_u32_e32 vcc_lo, s28, v12
	s_delay_alu instid0(VALU_DEP_2) | instskip(NEXT) | instid1(VALU_DEP_1)
	v_add_nc_u32_e32 v15, 1, v5
	v_cndmask_b32_e32 v24, v5, v15, vcc_lo
	s_branch .LBB49_137
.LBB49_142:
	s_or_b32 exec_lo, exec_lo, s47
	s_and_saveexec_b32 s1, s46
	s_cbranch_execnz .LBB49_209
.LBB49_143:
	s_or_b32 exec_lo, exec_lo, s1
	s_mov_b32 s1, 0
	s_and_saveexec_b32 s5, s48
	s_delay_alu instid0(SALU_CYCLE_1)
	s_xor_b32 s5, exec_lo, s5
; %bb.144:
	v_cmp_ne_u32_e32 vcc_lo, s6, v1
	s_xor_b32 s19, s39, -1
	s_and_not1_b32 s20, s44, exec_lo
	s_mov_b32 s1, exec_lo
	s_or_b32 s19, s19, vcc_lo
	s_delay_alu instid0(SALU_CYCLE_1) | instskip(NEXT) | instid1(SALU_CYCLE_1)
	s_and_b32 s19, s19, exec_lo
	s_or_b32 s44, s20, s19
; %bb.145:
	s_or_b32 exec_lo, exec_lo, s5
	s_and_saveexec_b32 s5, s44
	s_cbranch_execnz .LBB49_211
.LBB49_146:
	s_or_b32 exec_lo, exec_lo, s5
	s_mov_b32 s5, 0
	s_and_saveexec_b32 s19, s1
	s_delay_alu instid0(SALU_CYCLE_1)
	s_xor_b32 s19, exec_lo, s19
	s_cbranch_execz .LBB49_151
; %bb.147:
	v_sub_nc_u32_e32 v1, v4, v2
	s_mov_b32 s5, exec_lo
	s_delay_alu instid0(VALU_DEP_1) | instskip(SKIP_3) | instid1(SALU_CYCLE_1)
	v_cmp_le_i32_e32 vcc_lo, s33, v1
	v_cmp_ge_i32_e64 s1, s4, v1
	s_and_not1_b32 s4, s43, exec_lo
	s_and_b32 s1, vcc_lo, s1
	s_and_b32 s1, s38, s1
	s_delay_alu instid0(SALU_CYCLE_1) | instskip(NEXT) | instid1(SALU_CYCLE_1)
	s_xor_b32 s1, s1, -1
	s_and_b32 s1, s1, exec_lo
	s_delay_alu instid0(SALU_CYCLE_1)
	s_or_b32 s43, s4, s1
	s_or_b32 exec_lo, exec_lo, s19
	s_and_saveexec_b32 s1, s43
	s_cbranch_execz .LBB49_152
.LBB49_148:
	s_or_b32 s3, s3, exec_lo
	s_and_not1_b32 s5, s5, exec_lo
	s_trap 2
	s_or_b32 exec_lo, exec_lo, s1
	s_and_saveexec_b32 s25, s5
	s_cbranch_execnz .LBB49_153
.LBB49_149:
	s_or_b32 exec_lo, exec_lo, s25
	s_and_saveexec_b32 s1, s41
	s_cbranch_execnz .LBB49_167
.LBB49_150:
	s_or_b32 exec_lo, exec_lo, s1
	s_and_saveexec_b32 s1, s3
	s_cbranch_execnz .LBB49_98
	s_branch .LBB49_99
.LBB49_151:
	s_or_b32 exec_lo, exec_lo, s19
	s_and_saveexec_b32 s1, s43
	s_cbranch_execnz .LBB49_148
.LBB49_152:
	s_or_b32 exec_lo, exec_lo, s1
	s_and_saveexec_b32 s25, s5
	s_cbranch_execz .LBB49_149
.LBB49_153:
	v_mov_b64_e32 v[8:9], 0
	s_and_not1_b32 vcc_lo, exec_lo, s37
	s_cbranch_vccnz .LBB49_160
; %bb.154:
	v_mul_u64_e32 v[10:11], s[6:7], v[6:7]
	v_mov_b64_e32 v[8:9], 0
	s_mov_b32 s19, 0
	v_mov_b32_e32 v6, 0
	s_lshl_b64 s[20:21], s[18:19], 3
	s_mov_b64 s[4:5], 0xffffffff
	s_add_nc_u64 s[6:7], s[10:11], s[20:21]
	s_add_nc_u64 s[10:11], s[12:13], s[20:21]
	s_branch .LBB49_156
.LBB49_155:                             ;   in Loop: Header=BB49_156 Depth=1
	s_or_b32 exec_lo, exec_lo, s1
	s_wait_loadcnt 0x1
	s_delay_alu instid0(VALU_DEP_1)
	v_mul_u64_e32 v[14:15], s[12:13], v[12:13]
	s_load_b64 s[12:13], s[10:11], 0x0
	s_add_co_i32 s8, s8, -1
	s_add_nc_u64 s[6:7], s[6:7], -8
	s_cmp_lg_u32 s8, 0
	s_wait_xcnt 0x0
	s_add_nc_u64 s[10:11], s[10:11], -8
	s_delay_alu instid0(VALU_DEP_1) | instskip(SKIP_1) | instid1(VALU_DEP_1)
	v_sub_nc_u64_e32 v[10:11], v[10:11], v[14:15]
	s_wait_kmcnt 0x0
	v_mad_nc_u64_u32 v[8:9], v10, s12, v[8:9]
	s_delay_alu instid0(VALU_DEP_1) | instskip(NEXT) | instid1(VALU_DEP_1)
	v_mad_u32 v1, v11, s12, v9
	v_mad_u32 v9, v10, s13, v1
	v_mov_b64_e32 v[10:11], v[12:13]
	s_cbranch_scc0 .LBB49_160
.LBB49_156:                             ; =>This Inner Loop Header: Depth=1
	s_load_b64 s[12:13], s[6:7], 0x0
                                        ; implicit-def: $vgpr12_vgpr13
	s_mov_b32 s1, exec_lo
	s_wait_kmcnt 0x0
	s_delay_alu instid0(VALU_DEP_1) | instskip(NEXT) | instid1(VALU_DEP_1)
	v_or_b32_e32 v7, s13, v11
	v_cmpx_ne_u64_e32 0, v[6:7]
	s_xor_b32 s26, exec_lo, s1
	s_cbranch_execz .LBB49_158
; %bb.157:                              ;   in Loop: Header=BB49_156 Depth=1
	s_ashr_i32 s20, s13, 31
	s_wait_loadcnt 0x3
	v_dual_mov_b32 v17, v6 :: v_dual_ashrrev_i32 v12, 31, v11
	s_mov_b32 s21, s20
	s_delay_alu instid0(SALU_CYCLE_1) | instskip(NEXT) | instid1(VALU_DEP_1)
	s_add_nc_u64 s[22:23], s[12:13], s[20:21]
	v_mov_b32_e32 v13, v12
	s_xor_b64 s[22:23], s[22:23], s[20:21]
	s_delay_alu instid0(SALU_CYCLE_1)
	s_cvt_f32_u32 s1, s22
	s_cvt_f32_u32 s18, s23
	s_sub_nc_u64 s[30:31], 0, s[22:23]
	s_wait_loadcnt 0x1
	v_add_nc_u64_e32 v[14:15], v[10:11], v[12:13]
	v_mov_b32_e32 v21, v6
	s_fmamk_f32 s1, s18, 0x4f800000, s1
	s_delay_alu instid0(SALU_CYCLE_3) | instskip(NEXT) | instid1(VALU_DEP_2)
	v_s_rcp_f32 s1, s1
	v_xor_b32_e32 v16, v14, v12
	s_delay_alu instid0(VALU_DEP_3) | instskip(NEXT) | instid1(TRANS32_DEP_1)
	v_dual_mov_b32 v25, v6 :: v_dual_bitop2_b32 v20, v15, v12 bitop3:0x14
	s_mul_f32 s1, s1, 0x5f7ffffc
	s_delay_alu instid0(SALU_CYCLE_3) | instskip(NEXT) | instid1(SALU_CYCLE_3)
	s_mul_f32 s18, s1, 0x2f800000
	s_trunc_f32 s18, s18
	s_delay_alu instid0(SALU_CYCLE_3) | instskip(SKIP_1) | instid1(SALU_CYCLE_2)
	s_fmamk_f32 s1, s18, 0xcf800000, s1
	s_cvt_u32_f32 s29, s18
	s_cvt_u32_f32 s28, s1
	s_delay_alu instid0(SALU_CYCLE_3) | instskip(NEXT) | instid1(SALU_CYCLE_1)
	s_mul_u64 s[34:35], s[30:31], s[28:29]
	s_mul_hi_u32 s39, s28, s35
	s_mul_i32 s38, s28, s35
	s_mul_hi_u32 s18, s28, s34
	s_mul_i32 s21, s29, s34
	s_add_nc_u64 s[38:39], s[18:19], s[38:39]
	s_mul_hi_u32 s1, s29, s34
	s_mul_hi_u32 s27, s29, s35
	s_add_co_u32 s18, s38, s21
	s_add_co_ci_u32 s18, s39, s1
	s_mul_i32 s34, s29, s35
	s_add_co_ci_u32 s35, s27, 0
	s_delay_alu instid0(SALU_CYCLE_1) | instskip(NEXT) | instid1(SALU_CYCLE_1)
	s_add_nc_u64 s[34:35], s[18:19], s[34:35]
	s_add_co_u32 s28, s28, s34
	s_cselect_b32 s1, -1, 0
	s_delay_alu instid0(SALU_CYCLE_1) | instskip(SKIP_1) | instid1(SALU_CYCLE_1)
	s_cmp_lg_u32 s1, 0
	s_add_co_ci_u32 s29, s29, s35
	s_mul_u64 s[30:31], s[30:31], s[28:29]
	s_delay_alu instid0(SALU_CYCLE_1)
	s_mul_hi_u32 s35, s28, s31
	s_mul_i32 s34, s28, s31
	s_mul_hi_u32 s18, s28, s30
	s_mul_i32 s21, s29, s30
	s_add_nc_u64 s[34:35], s[18:19], s[34:35]
	s_mul_hi_u32 s1, s29, s30
	s_mul_hi_u32 s27, s29, s31
	s_add_co_u32 s18, s34, s21
	s_add_co_ci_u32 s18, s35, s1
	s_mul_i32 s30, s29, s31
	s_add_co_ci_u32 s31, s27, 0
	s_delay_alu instid0(SALU_CYCLE_1) | instskip(NEXT) | instid1(SALU_CYCLE_1)
	s_add_nc_u64 s[30:31], s[18:19], s[30:31]
	s_add_co_u32 s28, s28, s30
	s_cselect_b32 s1, -1, 0
	s_wait_loadcnt 0x0
	v_mul_hi_u32 v24, v16, s28
	s_cmp_lg_u32 s1, 0
	s_add_co_ci_u32 s18, s29, s31
	s_and_b64 s[30:31], s[28:29], s[4:5]
	v_mul_u64_e32 v[18:19], s[18:19], v[16:17]
	v_mul_u64_e32 v[14:15], s[30:31], v[20:21]
	;; [unrolled: 1-line block ×3, first 2 shown]
	s_delay_alu instid0(VALU_DEP_3) | instskip(NEXT) | instid1(VALU_DEP_1)
	v_add_nc_u64_e32 v[18:19], v[24:25], v[18:19]
	v_add_co_u32 v1, vcc_lo, v18, v14
	s_delay_alu instid0(VALU_DEP_2) | instskip(NEXT) | instid1(VALU_DEP_4)
	v_add_co_ci_u32_e32 v24, vcc_lo, v19, v15, vcc_lo
	v_add_co_ci_u32_e32 v23, vcc_lo, 0, v23, vcc_lo
	s_delay_alu instid0(VALU_DEP_1) | instskip(NEXT) | instid1(VALU_DEP_1)
	v_add_nc_u64_e32 v[14:15], v[24:25], v[22:23]
	v_mul_u64_e32 v[18:19], s[22:23], v[14:15]
	s_delay_alu instid0(VALU_DEP_1) | instskip(NEXT) | instid1(VALU_DEP_2)
	v_sub_nc_u32_e32 v1, v20, v19
	v_sub_co_u32 v3, vcc_lo, v16, v18
	s_delay_alu instid0(VALU_DEP_1) | instskip(NEXT) | instid1(VALU_DEP_3)
	v_sub_co_ci_u32_e64 v7, null, v20, v19, vcc_lo
	v_subrev_co_ci_u32_e64 v1, null, s23, v1, vcc_lo
	s_delay_alu instid0(VALU_DEP_3) | instskip(SKIP_1) | instid1(VALU_DEP_3)
	v_sub_co_u32 v5, s1, v3, s22
	v_add_nc_u64_e32 v[16:17], 2, v[14:15]
	v_subrev_co_ci_u32_e64 v1, null, 0, v1, s1
	s_delay_alu instid0(VALU_DEP_3) | instskip(SKIP_2) | instid1(VALU_DEP_4)
	v_cmp_le_u32_e32 vcc_lo, s22, v5
	v_add_nc_u64_e32 v[18:19], 1, v[14:15]
	v_cndmask_b32_e64 v5, 0, -1, vcc_lo
	v_cmp_le_u32_e32 vcc_lo, s23, v1
	v_cndmask_b32_e64 v13, 0, -1, vcc_lo
	v_cmp_le_u32_e32 vcc_lo, s22, v3
	;; [unrolled: 2-line block ×3, first 2 shown]
	v_cndmask_b32_e64 v20, 0, -1, vcc_lo
	v_cmp_eq_u32_e32 vcc_lo, s23, v1
	v_cndmask_b32_e32 v1, v13, v5, vcc_lo
	v_cmp_eq_u32_e32 vcc_lo, s23, v7
	s_delay_alu instid0(VALU_DEP_4) | instskip(NEXT) | instid1(VALU_DEP_3)
	v_cndmask_b32_e32 v3, v20, v3, vcc_lo
	v_cmp_ne_u32_e32 vcc_lo, 0, v1
	s_delay_alu instid0(VALU_DEP_2) | instskip(SKIP_1) | instid1(VALU_DEP_1)
	v_cmp_ne_u32_e64 s1, 0, v3
	v_dual_cndmask_b32 v1, v19, v17, vcc_lo :: v_dual_cndmask_b32 v3, v18, v16, vcc_lo
	v_dual_cndmask_b32 v1, v15, v1, s1 :: v_dual_bitop2_b32 v12, s20, v12 bitop3:0x14
	s_delay_alu instid0(VALU_DEP_1) | instskip(NEXT) | instid1(VALU_DEP_2)
	v_dual_cndmask_b32 v3, v14, v3, s1 :: v_dual_mov_b32 v13, v12
	v_xor_b32_e32 v15, v1, v12
	s_delay_alu instid0(VALU_DEP_2) | instskip(NEXT) | instid1(VALU_DEP_1)
	v_xor_b32_e32 v14, v3, v12
	v_sub_nc_u64_e32 v[12:13], v[14:15], v[12:13]
.LBB49_158:                             ;   in Loop: Header=BB49_156 Depth=1
	s_and_not1_saveexec_b32 s1, s26
	s_cbranch_execz .LBB49_155
; %bb.159:                              ;   in Loop: Header=BB49_156 Depth=1
	v_cvt_f32_u32_e32 v1, s12
	s_sub_co_i32 s18, 0, s12
	v_mov_b32_e32 v13, v6
	s_delay_alu instid0(VALU_DEP_2) | instskip(SKIP_1) | instid1(TRANS32_DEP_1)
	v_rcp_iflag_f32_e32 v1, v1
	v_nop
	v_mul_f32_e32 v1, 0x4f7ffffe, v1
	s_delay_alu instid0(VALU_DEP_1) | instskip(NEXT) | instid1(VALU_DEP_1)
	v_cvt_u32_f32_e32 v1, v1
	v_mul_lo_u32 v3, s18, v1
	s_delay_alu instid0(VALU_DEP_1) | instskip(NEXT) | instid1(VALU_DEP_1)
	v_mul_hi_u32 v3, v1, v3
	v_add_nc_u32_e32 v1, v1, v3
	s_delay_alu instid0(VALU_DEP_1) | instskip(NEXT) | instid1(VALU_DEP_1)
	v_mul_hi_u32 v1, v10, v1
	v_mul_lo_u32 v3, v1, s12
	s_delay_alu instid0(VALU_DEP_1) | instskip(NEXT) | instid1(VALU_DEP_1)
	v_sub_nc_u32_e32 v3, v10, v3
	v_subrev_nc_u32_e32 v7, s12, v3
	v_cmp_le_u32_e32 vcc_lo, s12, v3
	s_delay_alu instid0(VALU_DEP_2) | instskip(NEXT) | instid1(VALU_DEP_1)
	v_dual_add_nc_u32 v5, 1, v1 :: v_dual_cndmask_b32 v3, v3, v7, vcc_lo
	v_cndmask_b32_e32 v1, v1, v5, vcc_lo
	s_delay_alu instid0(VALU_DEP_2) | instskip(NEXT) | instid1(VALU_DEP_2)
	v_cmp_le_u32_e32 vcc_lo, s12, v3
	v_add_nc_u32_e32 v5, 1, v1
	s_delay_alu instid0(VALU_DEP_1)
	v_cndmask_b32_e32 v12, v1, v5, vcc_lo
	s_branch .LBB49_155
.LBB49_160:
	s_mov_b32 s4, s41
	s_mov_b32 s1, exec_lo
	v_cmpx_gt_i32_e64 v4, v2
	s_cbranch_execz .LBB49_166
; %bb.161:
	s_delay_alu instid0(VALU_DEP_2) | instskip(SKIP_3) | instid1(VALU_DEP_1)
	v_lshlrev_b64_e32 v[6:7], 2, v[8:9]
	v_dual_ashrrev_i32 v3, 31, v2 :: v_dual_ashrrev_i32 v5, 31, v4
	s_mov_b32 s4, 0
	s_xor_b32 s6, s36, -1
                                        ; implicit-def: $sgpr5
                                        ; implicit-def: $sgpr8
                                        ; implicit-def: $sgpr7
	v_lshl_add_u64 v[2:3], v[2:3], 2, v[6:7]
	v_add_nc_u64_e32 v[6:7], s[14:15], v[6:7]
	s_delay_alu instid0(VALU_DEP_2) | instskip(NEXT) | instid1(VALU_DEP_2)
	v_add_nc_u64_e32 v[2:3], s[14:15], v[2:3]
	v_lshl_add_u64 v[4:5], v[4:5], 2, v[6:7]
	s_delay_alu instid0(VALU_DEP_2)
	v_add_nc_u64_e32 v[2:3], 4, v[2:3]
	s_branch .LBB49_163
.LBB49_162:                             ;   in Loop: Header=BB49_163 Depth=1
	s_or_b32 exec_lo, exec_lo, s10
	s_xor_b32 s10, s7, -1
	s_and_b32 s11, exec_lo, s8
	s_delay_alu instid0(SALU_CYCLE_1) | instskip(SKIP_2) | instid1(SALU_CYCLE_1)
	s_or_b32 s4, s11, s4
	s_and_not1_b32 s5, s5, exec_lo
	s_and_b32 s10, s10, exec_lo
	s_or_b32 s5, s5, s10
	s_and_not1_b32 exec_lo, exec_lo, s4
	s_cbranch_execz .LBB49_165
.LBB49_163:                             ; =>This Inner Loop Header: Depth=1
	s_or_b32 s7, s7, exec_lo
	s_or_b32 s8, s8, exec_lo
	s_mov_b32 s10, exec_lo
	s_delay_alu instid0(VALU_DEP_1)
	v_cmpx_lt_u64_e64 v[2:3], v[4:5]
	s_cbranch_execz .LBB49_162
; %bb.164:                              ;   in Loop: Header=BB49_163 Depth=1
	global_load_b64 v[6:7], v[2:3], off offset:-4
	s_wait_xcnt 0x0
	v_add_nc_u64_e32 v[2:3], 4, v[2:3]
	s_and_not1_b32 s8, s8, exec_lo
	s_and_not1_b32 s7, s7, exec_lo
	s_wait_loadcnt 0x0
	v_cmp_ge_i32_e32 vcc_lo, v6, v7
	s_or_b32 s11, s6, vcc_lo
	s_delay_alu instid0(SALU_CYCLE_1) | instskip(NEXT) | instid1(SALU_CYCLE_1)
	s_and_b32 s11, s11, exec_lo
	s_or_b32 s8, s8, s11
	s_branch .LBB49_162
.LBB49_165:
	s_or_b32 exec_lo, exec_lo, s4
	s_delay_alu instid0(SALU_CYCLE_1) | instskip(SKIP_1) | instid1(SALU_CYCLE_1)
	s_and_not1_b32 s4, s41, exec_lo
	s_and_b32 s5, s5, exec_lo
	s_or_b32 s4, s4, s5
.LBB49_166:
	s_or_b32 exec_lo, exec_lo, s1
	s_delay_alu instid0(SALU_CYCLE_1)
	s_and_not1_b32 s1, s41, exec_lo
	s_and_b32 s4, s4, exec_lo
	s_or_b32 s9, s9, exec_lo
	s_or_b32 s41, s1, s4
	s_or_b32 exec_lo, exec_lo, s25
	s_and_saveexec_b32 s1, s41
	s_cbranch_execz .LBB49_150
.LBB49_167:
	s_and_not1_b32 s9, s9, exec_lo
	s_or_b32 s3, s3, exec_lo
	s_trap 2
	s_or_b32 exec_lo, exec_lo, s1
	s_and_saveexec_b32 s1, s3
	s_cbranch_execnz .LBB49_98
	s_branch .LBB49_99
.LBB49_168:
	s_mov_b32 s21, -1
	s_mov_b32 s19, 0
	s_mov_b32 s1, exec_lo
	v_cmpx_gt_i32_e64 v14, v16
	s_cbranch_execz .LBB49_177
; %bb.169:
	s_wait_loadcnt 0x0
	s_delay_alu instid0(VALU_DEP_2) | instskip(SKIP_2) | instid1(VALU_DEP_1)
	v_lshlrev_b64_e32 v[18:19], 2, v[20:21]
	v_dual_ashrrev_i32 v17, 31, v16 :: v_dual_ashrrev_i32 v15, 31, v14
	s_xor_b32 s21, s36, -1
                                        ; implicit-def: $sgpr20
                                        ; implicit-def: $sgpr23
                                        ; implicit-def: $sgpr22
	v_lshl_add_u64 v[16:17], v[16:17], 2, v[18:19]
	v_add_nc_u64_e32 v[18:19], s[14:15], v[18:19]
	s_delay_alu instid0(VALU_DEP_2) | instskip(NEXT) | instid1(VALU_DEP_2)
	v_add_nc_u64_e32 v[16:17], s[14:15], v[16:17]
	v_lshl_add_u64 v[14:15], v[14:15], 2, v[18:19]
	s_delay_alu instid0(VALU_DEP_2)
	v_add_nc_u64_e32 v[16:17], 4, v[16:17]
	s_branch .LBB49_171
.LBB49_170:                             ;   in Loop: Header=BB49_171 Depth=1
	s_or_b32 exec_lo, exec_lo, s24
	s_delay_alu instid0(SALU_CYCLE_1) | instskip(NEXT) | instid1(SALU_CYCLE_1)
	s_and_b32 s24, exec_lo, s23
	s_or_b32 s19, s24, s19
	s_and_not1_b32 s20, s20, exec_lo
	s_and_b32 s24, s22, exec_lo
	s_delay_alu instid0(SALU_CYCLE_1)
	s_or_b32 s20, s20, s24
	s_and_not1_b32 exec_lo, exec_lo, s19
	s_cbranch_execz .LBB49_176
.LBB49_171:                             ; =>This Inner Loop Header: Depth=1
	s_or_b32 s22, s22, exec_lo
	s_or_b32 s23, s23, exec_lo
	s_mov_b32 s24, exec_lo
	s_delay_alu instid0(VALU_DEP_1)
	v_cmpx_lt_u64_e64 v[16:17], v[14:15]
	s_cbranch_execz .LBB49_170
; %bb.172:                              ;   in Loop: Header=BB49_171 Depth=1
	global_load_b64 v[18:19], v[16:17], off offset:-4
	s_wait_xcnt 0x0
	v_add_nc_u64_e32 v[16:17], 4, v[16:17]
	s_and_not1_b32 s23, s23, exec_lo
	s_and_not1_b32 s22, s22, exec_lo
	s_wait_loadcnt 0x0
	v_cmp_ge_i32_e32 vcc_lo, v18, v19
	s_or_b32 s25, s21, vcc_lo
	s_delay_alu instid0(SALU_CYCLE_1) | instskip(NEXT) | instid1(SALU_CYCLE_1)
	s_and_b32 s25, s25, exec_lo
	s_or_b32 s23, s23, s25
	s_branch .LBB49_170
.LBB49_173:
	s_or_b32 exec_lo, exec_lo, s34
	s_delay_alu instid0(SALU_CYCLE_1) | instskip(SKIP_1) | instid1(SALU_CYCLE_1)
	s_and_not1_b32 s34, s52, exec_lo
	s_and_b32 s35, s35, exec_lo
	s_or_b32 s34, s34, s35
.LBB49_174:
	s_or_b32 exec_lo, exec_lo, s0
	s_delay_alu instid0(SALU_CYCLE_1)
	s_and_not1_b32 s35, s52, exec_lo
	s_and_b32 s34, s34, exec_lo
	s_mov_b32 s0, exec_lo
	s_or_b32 s52, s35, s34
	s_or_b32 exec_lo, exec_lo, s51
	s_and_saveexec_b32 s34, s52
	s_cbranch_execz .LBB49_71
.LBB49_175:
	s_or_b32 s3, s3, exec_lo
	s_and_not1_b32 s0, s0, exec_lo
	s_trap 2
	s_or_b32 exec_lo, exec_lo, s34
	s_and_saveexec_b32 s34, s0
	s_delay_alu instid0(SALU_CYCLE_1)
	s_xor_b32 s0, exec_lo, s34
	s_cbranch_execnz .LBB49_72
	s_branch .LBB49_73
.LBB49_176:
	s_or_b32 exec_lo, exec_lo, s19
	s_delay_alu instid0(SALU_CYCLE_1)
	s_mov_b32 s19, exec_lo
	s_or_not1_b32 s21, s20, exec_lo
.LBB49_177:
	s_or_b32 exec_lo, exec_lo, s1
	s_delay_alu instid0(SALU_CYCLE_1)
	s_and_b32 s20, s19, exec_lo
	s_xor_b32 s19, exec_lo, -1
	s_and_b32 s1, s21, exec_lo
.LBB49_178:
	s_or_b32 exec_lo, exec_lo, s49
	s_delay_alu instid0(SALU_CYCLE_1)
	s_and_not1_b32 s21, s43, exec_lo
	s_and_b32 s19, s19, exec_lo
	s_and_b32 s20, s20, exec_lo
	s_or_b32 s21, s21, s19
	s_xor_b32 s19, exec_lo, -1
	s_and_b32 s1, s1, exec_lo
.LBB49_179:
	s_or_b32 exec_lo, exec_lo, s48
	s_delay_alu instid0(SALU_CYCLE_1)
	s_and_not1_b32 s22, s43, exec_lo
	s_and_b32 s21, s21, exec_lo
	s_and_not1_b32 s23, s44, exec_lo
	s_and_b32 s19, s19, exec_lo
	s_and_b32 s20, s20, exec_lo
	s_or_b32 s22, s22, s21
	s_or_b32 s21, s23, s19
	s_xor_b32 s19, exec_lo, -1
	s_and_b32 s1, s1, exec_lo
.LBB49_180:
	s_or_b32 exec_lo, exec_lo, s9
	s_delay_alu instid0(SALU_CYCLE_1)
	s_and_not1_b32 s23, s43, exec_lo
	s_and_b32 s22, s22, exec_lo
	s_and_b32 s9, s20, exec_lo
	s_or_b32 s49, s23, s22
	s_and_not1_b32 s20, s44, exec_lo
	s_and_b32 s21, s21, exec_lo
	s_and_not1_b32 s22, s46, exec_lo
	s_and_b32 s19, s19, exec_lo
	s_or_b32 s50, s20, s21
	s_or_b32 s48, s22, s19
	s_or_not1_b32 s1, s1, exec_lo
.LBB49_181:
	s_or_b32 exec_lo, exec_lo, s45
	s_mov_b32 s21, 0
                                        ; implicit-def: $sgpr45
                                        ; implicit-def: $sgpr24
	s_and_saveexec_b32 s51, s1
	s_cbranch_execz .LBB49_208
; %bb.182:
	v_or_b32_e32 v5, 0x200, v0
	s_mov_b32 s25, -1
	s_mov_b32 s52, 0
	s_mov_b32 s1, s48
	s_mov_b32 s20, s50
	v_cmp_gt_i32_e64 s45, s5, v5
	s_mov_b32 s19, s49
	s_and_saveexec_b32 s53, s45
	s_cbranch_execz .LBB49_203
; %bb.183:
	v_cmp_eq_u32_e32 vcc_lo, s33, v11
	s_mov_b32 s1, -1
	s_mov_b32 s22, 0
	s_mov_b32 s23, s50
	;; [unrolled: 1-line block ×3, first 2 shown]
	s_and_b32 s20, s42, vcc_lo
	s_mov_b32 s19, 0
	s_and_saveexec_b32 s54, s20
	s_cbranch_execz .LBB49_202
; %bb.184:
	v_cmp_eq_u32_e32 vcc_lo, s6, v9
	s_mov_b32 s20, 0
	s_mov_b32 s21, s49
	s_and_b32 s19, s39, vcc_lo
	s_delay_alu instid0(SALU_CYCLE_1)
	s_and_saveexec_b32 s55, s19
	s_cbranch_execz .LBB49_201
; %bb.185:
	v_sub_nc_u32_e32 v5, v8, v10
	s_mov_b32 s20, -1
	s_mov_b32 s19, 0
	s_delay_alu instid0(VALU_DEP_1) | instskip(SKIP_2) | instid1(SALU_CYCLE_1)
	v_cmp_le_i32_e32 vcc_lo, s33, v5
	v_cmp_ge_i32_e64 s1, s4, v5
	s_and_b32 s1, vcc_lo, s1
	s_and_b32 s21, s38, s1
	s_mov_b32 s1, 0
	s_and_saveexec_b32 s56, s21
	s_cbranch_execz .LBB49_200
; %bb.186:
	s_wait_loadcnt 0x1
	v_mov_b64_e32 v[14:15], 0
	s_and_not1_b32 vcc_lo, exec_lo, s37
	s_cbranch_vccnz .LBB49_193
; %bb.187:
	v_dual_mov_b32 v14, v13 :: v_dual_ashrrev_i32 v15, 31, v13
	s_mov_b32 s21, 0
	v_mov_b32_e32 v12, 0
	s_mov_b32 s19, s21
	s_mov_b64 s[22:23], 0xffffffff
	v_mul_u64_e32 v[16:17], s[6:7], v[14:15]
	v_mov_b64_e32 v[14:15], 0
	s_lshl_b64 s[26:27], s[18:19], 3
	s_mov_b32 s19, s8
	s_add_nc_u64 s[24:25], s[10:11], s[26:27]
	s_add_nc_u64 s[26:27], s[12:13], s[26:27]
	s_branch .LBB49_189
.LBB49_188:                             ;   in Loop: Header=BB49_189 Depth=1
	s_or_b32 exec_lo, exec_lo, s1
	s_wait_loadcnt 0x0
	s_delay_alu instid0(VALU_DEP_1)
	v_mul_u64_e32 v[20:21], s[28:29], v[18:19]
	s_load_b64 s[28:29], s[26:27], 0x0
	s_add_co_i32 s19, s19, -1
	s_add_nc_u64 s[24:25], s[24:25], -8
	s_cmp_lg_u32 s19, 0
	s_wait_xcnt 0x0
	s_add_nc_u64 s[26:27], s[26:27], -8
	s_delay_alu instid0(VALU_DEP_1) | instskip(SKIP_1) | instid1(VALU_DEP_1)
	v_sub_nc_u64_e32 v[16:17], v[16:17], v[20:21]
	s_wait_kmcnt 0x0
	v_mad_nc_u64_u32 v[14:15], v16, s28, v[14:15]
	s_delay_alu instid0(VALU_DEP_1) | instskip(NEXT) | instid1(VALU_DEP_1)
	v_mad_u32 v5, v17, s28, v15
	v_mad_u32 v15, v16, s29, v5
	v_mov_b64_e32 v[16:17], v[18:19]
	s_cbranch_scc0 .LBB49_193
.LBB49_189:                             ; =>This Inner Loop Header: Depth=1
	s_load_b64 s[28:29], s[24:25], 0x0
                                        ; implicit-def: $vgpr18_vgpr19
	s_mov_b32 s1, exec_lo
	s_wait_kmcnt 0x0
	s_delay_alu instid0(VALU_DEP_1) | instskip(NEXT) | instid1(VALU_DEP_1)
	v_or_b32_e32 v13, s29, v17
	v_cmpx_ne_u64_e32 0, v[12:13]
	s_xor_b32 s57, exec_lo, s1
	s_cbranch_execz .LBB49_191
; %bb.190:                              ;   in Loop: Header=BB49_189 Depth=1
	s_ashr_i32 s30, s29, 31
	s_wait_loadcnt 0x0
	v_dual_mov_b32 v23, v12 :: v_dual_ashrrev_i32 v18, 31, v17
	s_mov_b32 s31, s30
	s_delay_alu instid0(SALU_CYCLE_1) | instskip(NEXT) | instid1(VALU_DEP_1)
	s_add_nc_u64 s[34:35], s[28:29], s[30:31]
	v_mov_b32_e32 v19, v18
	s_xor_b64 s[34:35], s[34:35], s[30:31]
	s_delay_alu instid0(SALU_CYCLE_1)
	s_cvt_f32_u32 s1, s34
	s_cvt_f32_u32 s20, s35
	s_sub_nc_u64 s[60:61], 0, s[34:35]
	v_add_nc_u64_e32 v[20:21], v[16:17], v[18:19]
	v_mov_b32_e32 v27, v12
	s_fmamk_f32 s1, s20, 0x4f800000, s1
	s_delay_alu instid0(SALU_CYCLE_3) | instskip(NEXT) | instid1(VALU_DEP_2)
	v_s_rcp_f32 s1, s1
	v_xor_b32_e32 v22, v20, v18
	s_delay_alu instid0(VALU_DEP_3) | instskip(NEXT) | instid1(TRANS32_DEP_1)
	v_dual_mov_b32 v31, v12 :: v_dual_bitop2_b32 v26, v21, v18 bitop3:0x14
	s_mul_f32 s1, s1, 0x5f7ffffc
	s_delay_alu instid0(SALU_CYCLE_3) | instskip(NEXT) | instid1(SALU_CYCLE_3)
	s_mul_f32 s20, s1, 0x2f800000
	s_trunc_f32 s20, s20
	s_delay_alu instid0(SALU_CYCLE_3) | instskip(SKIP_1) | instid1(SALU_CYCLE_2)
	s_fmamk_f32 s1, s20, 0xcf800000, s1
	s_cvt_u32_f32 s59, s20
	s_cvt_u32_f32 s58, s1
	s_delay_alu instid0(SALU_CYCLE_3) | instskip(NEXT) | instid1(SALU_CYCLE_1)
	s_mul_u64 s[62:63], s[60:61], s[58:59]
	s_mul_hi_u32 s65, s58, s63
	s_mul_i32 s64, s58, s63
	s_mul_hi_u32 s20, s58, s62
	s_mul_i32 s31, s59, s62
	s_add_nc_u64 s[64:65], s[20:21], s[64:65]
	s_mul_hi_u32 s1, s59, s62
	s_mul_hi_u32 s66, s59, s63
	s_add_co_u32 s20, s64, s31
	s_add_co_ci_u32 s20, s65, s1
	s_mul_i32 s62, s59, s63
	s_add_co_ci_u32 s63, s66, 0
	s_delay_alu instid0(SALU_CYCLE_1) | instskip(NEXT) | instid1(SALU_CYCLE_1)
	s_add_nc_u64 s[62:63], s[20:21], s[62:63]
	s_add_co_u32 s58, s58, s62
	s_cselect_b32 s1, -1, 0
	s_delay_alu instid0(SALU_CYCLE_1) | instskip(SKIP_1) | instid1(SALU_CYCLE_1)
	s_cmp_lg_u32 s1, 0
	s_add_co_ci_u32 s59, s59, s63
	s_mul_u64 s[60:61], s[60:61], s[58:59]
	s_delay_alu instid0(SALU_CYCLE_1)
	s_mul_hi_u32 s63, s58, s61
	s_mul_i32 s62, s58, s61
	s_mul_hi_u32 s20, s58, s60
	s_mul_i32 s31, s59, s60
	s_add_nc_u64 s[62:63], s[20:21], s[62:63]
	s_mul_hi_u32 s1, s59, s60
	s_mul_hi_u32 s64, s59, s61
	s_add_co_u32 s20, s62, s31
	s_add_co_ci_u32 s20, s63, s1
	s_mul_i32 s60, s59, s61
	s_add_co_ci_u32 s61, s64, 0
	s_delay_alu instid0(SALU_CYCLE_1) | instskip(NEXT) | instid1(SALU_CYCLE_1)
	s_add_nc_u64 s[60:61], s[20:21], s[60:61]
	s_add_co_u32 s58, s58, s60
	s_cselect_b32 s1, -1, 0
	v_mul_hi_u32 v30, v22, s58
	s_cmp_lg_u32 s1, 0
	s_add_co_ci_u32 s20, s59, s61
	s_and_b64 s[60:61], s[58:59], s[22:23]
	v_mul_u64_e32 v[24:25], s[20:21], v[22:23]
	v_mul_u64_e32 v[20:21], s[60:61], v[26:27]
	;; [unrolled: 1-line block ×3, first 2 shown]
	s_delay_alu instid0(VALU_DEP_3) | instskip(NEXT) | instid1(VALU_DEP_1)
	v_add_nc_u64_e32 v[24:25], v[30:31], v[24:25]
	v_add_co_u32 v5, vcc_lo, v24, v20
	s_delay_alu instid0(VALU_DEP_2) | instskip(NEXT) | instid1(VALU_DEP_4)
	v_add_co_ci_u32_e32 v30, vcc_lo, v25, v21, vcc_lo
	v_add_co_ci_u32_e32 v29, vcc_lo, 0, v29, vcc_lo
	s_delay_alu instid0(VALU_DEP_1) | instskip(NEXT) | instid1(VALU_DEP_1)
	v_add_nc_u64_e32 v[20:21], v[30:31], v[28:29]
	v_mul_u64_e32 v[24:25], s[34:35], v[20:21]
	s_delay_alu instid0(VALU_DEP_1) | instskip(NEXT) | instid1(VALU_DEP_2)
	v_sub_nc_u32_e32 v5, v26, v25
	v_sub_co_u32 v9, vcc_lo, v22, v24
	s_delay_alu instid0(VALU_DEP_1) | instskip(NEXT) | instid1(VALU_DEP_3)
	v_sub_co_ci_u32_e64 v13, null, v26, v25, vcc_lo
	v_subrev_co_ci_u32_e64 v5, null, s35, v5, vcc_lo
	s_delay_alu instid0(VALU_DEP_3) | instskip(SKIP_1) | instid1(VALU_DEP_3)
	v_sub_co_u32 v11, s1, v9, s34
	v_add_nc_u64_e32 v[22:23], 2, v[20:21]
	v_subrev_co_ci_u32_e64 v5, null, 0, v5, s1
	s_delay_alu instid0(VALU_DEP_3) | instskip(SKIP_2) | instid1(VALU_DEP_4)
	v_cmp_le_u32_e32 vcc_lo, s34, v11
	v_add_nc_u64_e32 v[24:25], 1, v[20:21]
	v_cndmask_b32_e64 v11, 0, -1, vcc_lo
	v_cmp_le_u32_e32 vcc_lo, s35, v5
	v_cndmask_b32_e64 v19, 0, -1, vcc_lo
	v_cmp_le_u32_e32 vcc_lo, s34, v9
	;; [unrolled: 2-line block ×3, first 2 shown]
	v_cndmask_b32_e64 v26, 0, -1, vcc_lo
	v_cmp_eq_u32_e32 vcc_lo, s35, v5
	v_cndmask_b32_e32 v5, v19, v11, vcc_lo
	v_cmp_eq_u32_e32 vcc_lo, s35, v13
	s_delay_alu instid0(VALU_DEP_4) | instskip(NEXT) | instid1(VALU_DEP_3)
	v_cndmask_b32_e32 v9, v26, v9, vcc_lo
	v_cmp_ne_u32_e32 vcc_lo, 0, v5
	s_delay_alu instid0(VALU_DEP_2) | instskip(SKIP_1) | instid1(VALU_DEP_1)
	v_cmp_ne_u32_e64 s1, 0, v9
	v_dual_cndmask_b32 v5, v25, v23, vcc_lo :: v_dual_cndmask_b32 v9, v24, v22, vcc_lo
	v_dual_cndmask_b32 v5, v21, v5, s1 :: v_dual_bitop2_b32 v18, s30, v18 bitop3:0x14
	s_delay_alu instid0(VALU_DEP_1) | instskip(NEXT) | instid1(VALU_DEP_2)
	v_dual_cndmask_b32 v9, v20, v9, s1 :: v_dual_mov_b32 v19, v18
	v_xor_b32_e32 v21, v5, v18
	s_delay_alu instid0(VALU_DEP_2) | instskip(NEXT) | instid1(VALU_DEP_1)
	v_xor_b32_e32 v20, v9, v18
	v_sub_nc_u64_e32 v[18:19], v[20:21], v[18:19]
.LBB49_191:                             ;   in Loop: Header=BB49_189 Depth=1
	s_and_not1_saveexec_b32 s1, s57
	s_cbranch_execz .LBB49_188
; %bb.192:                              ;   in Loop: Header=BB49_189 Depth=1
	v_cvt_f32_u32_e32 v5, s28
	s_sub_co_i32 s20, 0, s28
	v_mov_b32_e32 v19, v12
	s_delay_alu instid0(VALU_DEP_2) | instskip(SKIP_1) | instid1(TRANS32_DEP_1)
	v_rcp_iflag_f32_e32 v5, v5
	v_nop
	v_mul_f32_e32 v5, 0x4f7ffffe, v5
	s_delay_alu instid0(VALU_DEP_1) | instskip(NEXT) | instid1(VALU_DEP_1)
	v_cvt_u32_f32_e32 v5, v5
	v_mul_lo_u32 v9, s20, v5
	s_delay_alu instid0(VALU_DEP_1) | instskip(NEXT) | instid1(VALU_DEP_1)
	v_mul_hi_u32 v9, v5, v9
	v_add_nc_u32_e32 v5, v5, v9
	s_delay_alu instid0(VALU_DEP_1) | instskip(NEXT) | instid1(VALU_DEP_1)
	v_mul_hi_u32 v5, v16, v5
	v_mul_lo_u32 v9, v5, s28
	v_add_nc_u32_e32 v11, 1, v5
	s_delay_alu instid0(VALU_DEP_2) | instskip(NEXT) | instid1(VALU_DEP_1)
	v_sub_nc_u32_e32 v9, v16, v9
	v_subrev_nc_u32_e32 v13, s28, v9
	v_cmp_le_u32_e32 vcc_lo, s28, v9
	s_delay_alu instid0(VALU_DEP_2) | instskip(SKIP_1) | instid1(VALU_DEP_2)
	v_cndmask_b32_e32 v9, v9, v13, vcc_lo
	v_cndmask_b32_e32 v5, v5, v11, vcc_lo
	v_cmp_le_u32_e32 vcc_lo, s28, v9
	s_delay_alu instid0(VALU_DEP_2) | instskip(SKIP_1) | instid1(VALU_DEP_1)
	v_add_nc_u32_e32 v11, 1, v5
	s_wait_loadcnt 0x0
	v_cndmask_b32_e32 v18, v5, v11, vcc_lo
	s_branch .LBB49_188
.LBB49_193:
	s_mov_b32 s19, -1
	s_mov_b32 s21, 0
	s_mov_b32 s1, exec_lo
	v_cmpx_gt_i32_e64 v8, v10
	s_cbranch_execz .LBB49_199
; %bb.194:
	s_delay_alu instid0(VALU_DEP_2) | instskip(SKIP_3) | instid1(VALU_DEP_1)
	v_lshlrev_b64_e32 v[12:13], 2, v[14:15]
	v_dual_ashrrev_i32 v11, 31, v10 :: v_dual_ashrrev_i32 v9, 31, v8
	s_mov_b32 s19, 0
	s_xor_b32 s21, s36, -1
                                        ; implicit-def: $sgpr20
                                        ; implicit-def: $sgpr23
                                        ; implicit-def: $sgpr22
	v_lshl_add_u64 v[10:11], v[10:11], 2, v[12:13]
	v_add_nc_u64_e32 v[12:13], s[14:15], v[12:13]
	s_delay_alu instid0(VALU_DEP_2) | instskip(NEXT) | instid1(VALU_DEP_2)
	v_add_nc_u64_e32 v[10:11], s[14:15], v[10:11]
	v_lshl_add_u64 v[8:9], v[8:9], 2, v[12:13]
	s_delay_alu instid0(VALU_DEP_2)
	v_add_nc_u64_e32 v[10:11], 4, v[10:11]
	s_branch .LBB49_196
.LBB49_195:                             ;   in Loop: Header=BB49_196 Depth=1
	s_or_b32 exec_lo, exec_lo, s24
	s_delay_alu instid0(SALU_CYCLE_1) | instskip(NEXT) | instid1(SALU_CYCLE_1)
	s_and_b32 s24, exec_lo, s23
	s_or_b32 s19, s24, s19
	s_and_not1_b32 s20, s20, exec_lo
	s_and_b32 s24, s22, exec_lo
	s_delay_alu instid0(SALU_CYCLE_1)
	s_or_b32 s20, s20, s24
	s_and_not1_b32 exec_lo, exec_lo, s19
	s_cbranch_execz .LBB49_198
.LBB49_196:                             ; =>This Inner Loop Header: Depth=1
	s_or_b32 s22, s22, exec_lo
	s_or_b32 s23, s23, exec_lo
	s_mov_b32 s24, exec_lo
	s_delay_alu instid0(VALU_DEP_1)
	v_cmpx_lt_u64_e64 v[10:11], v[8:9]
	s_cbranch_execz .LBB49_195
; %bb.197:                              ;   in Loop: Header=BB49_196 Depth=1
	global_load_b64 v[12:13], v[10:11], off offset:-4
	s_wait_xcnt 0x0
	v_add_nc_u64_e32 v[10:11], 4, v[10:11]
	s_and_not1_b32 s23, s23, exec_lo
	s_and_not1_b32 s22, s22, exec_lo
	s_wait_loadcnt 0x0
	v_cmp_ge_i32_e32 vcc_lo, v12, v13
	s_or_b32 s25, s21, vcc_lo
	s_delay_alu instid0(SALU_CYCLE_1) | instskip(NEXT) | instid1(SALU_CYCLE_1)
	s_and_b32 s25, s25, exec_lo
	s_or_b32 s23, s23, s25
	s_branch .LBB49_195
.LBB49_198:
	s_or_b32 exec_lo, exec_lo, s19
	s_delay_alu instid0(SALU_CYCLE_1)
	s_mov_b32 s21, exec_lo
	s_or_not1_b32 s19, s20, exec_lo
.LBB49_199:
	s_or_b32 exec_lo, exec_lo, s1
	s_delay_alu instid0(SALU_CYCLE_1)
	s_and_b32 s1, s21, exec_lo
	s_xor_b32 s20, exec_lo, -1
	s_and_b32 s19, s19, exec_lo
.LBB49_200:
	s_or_b32 exec_lo, exec_lo, s56
	s_delay_alu instid0(SALU_CYCLE_1)
	s_and_not1_b32 s21, s49, exec_lo
	s_and_b32 s20, s20, exec_lo
	s_and_b32 s22, s1, exec_lo
	s_or_b32 s21, s21, s20
	s_xor_b32 s1, exec_lo, -1
	s_and_b32 s20, s19, exec_lo
.LBB49_201:
	s_or_b32 exec_lo, exec_lo, s55
	s_delay_alu instid0(SALU_CYCLE_1)
	s_and_b32 s19, s22, exec_lo
	s_and_not1_b32 s22, s49, exec_lo
	s_and_b32 s21, s21, exec_lo
	s_and_not1_b32 s23, s50, exec_lo
	s_and_b32 s1, s1, exec_lo
	s_or_b32 s21, s22, s21
	s_or_b32 s23, s23, s1
	s_xor_b32 s1, exec_lo, -1
	s_and_b32 s22, s20, exec_lo
.LBB49_202:
	s_or_b32 exec_lo, exec_lo, s54
	s_delay_alu instid0(SALU_CYCLE_1)
	s_and_not1_b32 s20, s49, exec_lo
	s_and_b32 s24, s21, exec_lo
	s_and_b32 s21, s19, exec_lo
	s_or_b32 s19, s20, s24
	s_and_not1_b32 s20, s50, exec_lo
	s_and_b32 s23, s23, exec_lo
	s_and_not1_b32 s24, s48, exec_lo
	s_and_b32 s1, s1, exec_lo
	s_or_b32 s20, s20, s23
	s_or_b32 s1, s24, s1
	s_or_not1_b32 s25, s22, exec_lo
.LBB49_203:
	s_or_b32 exec_lo, exec_lo, s53
	s_mov_b32 s23, 0
                                        ; implicit-def: $sgpr24
	s_and_saveexec_b32 s22, s25
	s_cbranch_execz .LBB49_207
; %bb.204:
	v_or_b32_e32 v5, 0x300, v0
	s_mov_b32 s23, -1
	s_mov_b32 s25, s1
	s_delay_alu instid0(VALU_DEP_1) | instskip(SKIP_2) | instid1(SALU_CYCLE_1)
	v_cmp_gt_i32_e64 s24, s5, v5
	s_mov_b32 s5, 0
	s_and_saveexec_b32 s26, s24
	s_xor_b32 s26, exec_lo, s26
; %bb.205:
	v_cmp_ne_u32_e32 vcc_lo, s33, v3
	s_xor_b32 s23, s42, -1
	s_and_not1_b32 s25, s1, exec_lo
	s_mov_b32 s5, exec_lo
	s_or_b32 s23, s23, vcc_lo
	s_delay_alu instid0(SALU_CYCLE_1)
	s_and_b32 s27, s23, exec_lo
	s_xor_b32 s23, exec_lo, -1
	s_or_b32 s25, s25, s27
; %bb.206:
	s_or_b32 exec_lo, exec_lo, s26
	s_delay_alu instid0(SALU_CYCLE_1)
	s_and_not1_b32 s1, s1, exec_lo
	s_and_b32 s25, s25, exec_lo
	s_and_b32 s23, s23, exec_lo
	s_and_not1_b32 s21, s21, exec_lo
	s_and_b32 s52, s5, exec_lo
	s_or_b32 s1, s1, s25
.LBB49_207:
	s_or_b32 exec_lo, exec_lo, s22
	s_delay_alu instid0(SALU_CYCLE_1)
	s_and_not1_b32 s5, s9, exec_lo
	s_and_b32 s9, s21, exec_lo
	s_and_b32 s19, s19, exec_lo
	s_or_b32 s9, s5, s9
	s_and_not1_b32 s5, s49, exec_lo
	s_and_not1_b32 s22, s50, exec_lo
	s_and_b32 s20, s20, exec_lo
	s_or_b32 s49, s5, s19
	s_and_not1_b32 s5, s48, exec_lo
	s_and_b32 s1, s1, exec_lo
	s_and_b32 s21, s23, exec_lo
	s_or_b32 s50, s22, s20
	s_and_b32 s52, s52, exec_lo
	s_or_b32 s48, s5, s1
.LBB49_208:
	s_or_b32 exec_lo, exec_lo, s51
	s_delay_alu instid0(SALU_CYCLE_1)
	s_and_not1_b32 s1, s41, exec_lo
	s_and_b32 s5, s9, exec_lo
	s_and_not1_b32 s19, s44, exec_lo
	s_or_b32 s41, s1, s5
	s_and_not1_b32 s1, s43, exec_lo
	s_and_b32 s5, s49, exec_lo
	s_and_b32 s20, s50, exec_lo
	s_or_b32 s43, s1, s5
	s_and_not1_b32 s1, s46, exec_lo
	s_and_b32 s5, s48, exec_lo
	s_and_b32 s9, s21, exec_lo
	s_or_b32 s44, s19, s20
	s_and_b32 s48, s52, exec_lo
	s_or_b32 s46, s1, s5
	s_or_b32 exec_lo, exec_lo, s47
	s_and_saveexec_b32 s1, s46
	s_cbranch_execz .LBB49_143
.LBB49_209:
	s_or_b32 s3, s3, exec_lo
	s_and_not1_b32 s48, s48, exec_lo
	s_trap 2
	s_branch .LBB49_143
.LBB49_210:
	s_or_b32 s3, s3, exec_lo
	s_trap 2
	s_branch .LBB49_76
.LBB49_211:
	s_or_b32 s3, s3, exec_lo
	s_and_not1_b32 s1, s1, exec_lo
	s_trap 2
	s_branch .LBB49_146
.LBB49_212:
	s_mov_b32 s3, exec_lo
	s_and_not1_b32 s0, s0, exec_lo
	s_trap 2
	s_branch .LBB49_67
	.section	.rodata,"a",@progbits
	.p2align	6, 0x0
	.amdhsa_kernel _ZN2at6native29vectorized_elementwise_kernelILi8EZZZNS0_12_GLOBAL__N_142_validate_compressed_sparse_indices_kernelILNS2_8CDimNameE0ENS2_18CUDAKernelLauncherENS2_14EmptyVecKernelENS2_8DummyVecELm0EEEvRKNS_6TensorESA_lllENKUlvE1_clEvENKUlvE_clEvEUliiiiiE_St5arrayIPcLm6EEEEviT0_T1_
		.amdhsa_group_segment_fixed_size 0
		.amdhsa_private_segment_fixed_size 0
		.amdhsa_kernarg_size 112
		.amdhsa_user_sgpr_count 2
		.amdhsa_user_sgpr_dispatch_ptr 0
		.amdhsa_user_sgpr_queue_ptr 0
		.amdhsa_user_sgpr_kernarg_segment_ptr 1
		.amdhsa_user_sgpr_dispatch_id 0
		.amdhsa_user_sgpr_kernarg_preload_length 0
		.amdhsa_user_sgpr_kernarg_preload_offset 0
		.amdhsa_user_sgpr_private_segment_size 0
		.amdhsa_wavefront_size32 1
		.amdhsa_uses_dynamic_stack 0
		.amdhsa_enable_private_segment 0
		.amdhsa_system_sgpr_workgroup_id_x 1
		.amdhsa_system_sgpr_workgroup_id_y 0
		.amdhsa_system_sgpr_workgroup_id_z 0
		.amdhsa_system_sgpr_workgroup_info 0
		.amdhsa_system_vgpr_workitem_id 0
		.amdhsa_next_free_vgpr 44
		.amdhsa_next_free_sgpr 74
		.amdhsa_named_barrier_count 0
		.amdhsa_reserve_vcc 1
		.amdhsa_float_round_mode_32 0
		.amdhsa_float_round_mode_16_64 0
		.amdhsa_float_denorm_mode_32 3
		.amdhsa_float_denorm_mode_16_64 3
		.amdhsa_fp16_overflow 0
		.amdhsa_memory_ordered 1
		.amdhsa_forward_progress 1
		.amdhsa_inst_pref_size 103
		.amdhsa_round_robin_scheduling 0
		.amdhsa_exception_fp_ieee_invalid_op 0
		.amdhsa_exception_fp_denorm_src 0
		.amdhsa_exception_fp_ieee_div_zero 0
		.amdhsa_exception_fp_ieee_overflow 0
		.amdhsa_exception_fp_ieee_underflow 0
		.amdhsa_exception_fp_ieee_inexact 0
		.amdhsa_exception_int_div_zero 0
	.end_amdhsa_kernel
	.section	.text._ZN2at6native29vectorized_elementwise_kernelILi8EZZZNS0_12_GLOBAL__N_142_validate_compressed_sparse_indices_kernelILNS2_8CDimNameE0ENS2_18CUDAKernelLauncherENS2_14EmptyVecKernelENS2_8DummyVecELm0EEEvRKNS_6TensorESA_lllENKUlvE1_clEvENKUlvE_clEvEUliiiiiE_St5arrayIPcLm6EEEEviT0_T1_,"axG",@progbits,_ZN2at6native29vectorized_elementwise_kernelILi8EZZZNS0_12_GLOBAL__N_142_validate_compressed_sparse_indices_kernelILNS2_8CDimNameE0ENS2_18CUDAKernelLauncherENS2_14EmptyVecKernelENS2_8DummyVecELm0EEEvRKNS_6TensorESA_lllENKUlvE1_clEvENKUlvE_clEvEUliiiiiE_St5arrayIPcLm6EEEEviT0_T1_,comdat
.Lfunc_end49:
	.size	_ZN2at6native29vectorized_elementwise_kernelILi8EZZZNS0_12_GLOBAL__N_142_validate_compressed_sparse_indices_kernelILNS2_8CDimNameE0ENS2_18CUDAKernelLauncherENS2_14EmptyVecKernelENS2_8DummyVecELm0EEEvRKNS_6TensorESA_lllENKUlvE1_clEvENKUlvE_clEvEUliiiiiE_St5arrayIPcLm6EEEEviT0_T1_, .Lfunc_end49-_ZN2at6native29vectorized_elementwise_kernelILi8EZZZNS0_12_GLOBAL__N_142_validate_compressed_sparse_indices_kernelILNS2_8CDimNameE0ENS2_18CUDAKernelLauncherENS2_14EmptyVecKernelENS2_8DummyVecELm0EEEvRKNS_6TensorESA_lllENKUlvE1_clEvENKUlvE_clEvEUliiiiiE_St5arrayIPcLm6EEEEviT0_T1_
                                        ; -- End function
	.set _ZN2at6native29vectorized_elementwise_kernelILi8EZZZNS0_12_GLOBAL__N_142_validate_compressed_sparse_indices_kernelILNS2_8CDimNameE0ENS2_18CUDAKernelLauncherENS2_14EmptyVecKernelENS2_8DummyVecELm0EEEvRKNS_6TensorESA_lllENKUlvE1_clEvENKUlvE_clEvEUliiiiiE_St5arrayIPcLm6EEEEviT0_T1_.num_vgpr, 44
	.set _ZN2at6native29vectorized_elementwise_kernelILi8EZZZNS0_12_GLOBAL__N_142_validate_compressed_sparse_indices_kernelILNS2_8CDimNameE0ENS2_18CUDAKernelLauncherENS2_14EmptyVecKernelENS2_8DummyVecELm0EEEvRKNS_6TensorESA_lllENKUlvE1_clEvENKUlvE_clEvEUliiiiiE_St5arrayIPcLm6EEEEviT0_T1_.num_agpr, 0
	.set _ZN2at6native29vectorized_elementwise_kernelILi8EZZZNS0_12_GLOBAL__N_142_validate_compressed_sparse_indices_kernelILNS2_8CDimNameE0ENS2_18CUDAKernelLauncherENS2_14EmptyVecKernelENS2_8DummyVecELm0EEEvRKNS_6TensorESA_lllENKUlvE1_clEvENKUlvE_clEvEUliiiiiE_St5arrayIPcLm6EEEEviT0_T1_.numbered_sgpr, 74
	.set _ZN2at6native29vectorized_elementwise_kernelILi8EZZZNS0_12_GLOBAL__N_142_validate_compressed_sparse_indices_kernelILNS2_8CDimNameE0ENS2_18CUDAKernelLauncherENS2_14EmptyVecKernelENS2_8DummyVecELm0EEEvRKNS_6TensorESA_lllENKUlvE1_clEvENKUlvE_clEvEUliiiiiE_St5arrayIPcLm6EEEEviT0_T1_.num_named_barrier, 0
	.set _ZN2at6native29vectorized_elementwise_kernelILi8EZZZNS0_12_GLOBAL__N_142_validate_compressed_sparse_indices_kernelILNS2_8CDimNameE0ENS2_18CUDAKernelLauncherENS2_14EmptyVecKernelENS2_8DummyVecELm0EEEvRKNS_6TensorESA_lllENKUlvE1_clEvENKUlvE_clEvEUliiiiiE_St5arrayIPcLm6EEEEviT0_T1_.private_seg_size, 0
	.set _ZN2at6native29vectorized_elementwise_kernelILi8EZZZNS0_12_GLOBAL__N_142_validate_compressed_sparse_indices_kernelILNS2_8CDimNameE0ENS2_18CUDAKernelLauncherENS2_14EmptyVecKernelENS2_8DummyVecELm0EEEvRKNS_6TensorESA_lllENKUlvE1_clEvENKUlvE_clEvEUliiiiiE_St5arrayIPcLm6EEEEviT0_T1_.uses_vcc, 1
	.set _ZN2at6native29vectorized_elementwise_kernelILi8EZZZNS0_12_GLOBAL__N_142_validate_compressed_sparse_indices_kernelILNS2_8CDimNameE0ENS2_18CUDAKernelLauncherENS2_14EmptyVecKernelENS2_8DummyVecELm0EEEvRKNS_6TensorESA_lllENKUlvE1_clEvENKUlvE_clEvEUliiiiiE_St5arrayIPcLm6EEEEviT0_T1_.uses_flat_scratch, 0
	.set _ZN2at6native29vectorized_elementwise_kernelILi8EZZZNS0_12_GLOBAL__N_142_validate_compressed_sparse_indices_kernelILNS2_8CDimNameE0ENS2_18CUDAKernelLauncherENS2_14EmptyVecKernelENS2_8DummyVecELm0EEEvRKNS_6TensorESA_lllENKUlvE1_clEvENKUlvE_clEvEUliiiiiE_St5arrayIPcLm6EEEEviT0_T1_.has_dyn_sized_stack, 0
	.set _ZN2at6native29vectorized_elementwise_kernelILi8EZZZNS0_12_GLOBAL__N_142_validate_compressed_sparse_indices_kernelILNS2_8CDimNameE0ENS2_18CUDAKernelLauncherENS2_14EmptyVecKernelENS2_8DummyVecELm0EEEvRKNS_6TensorESA_lllENKUlvE1_clEvENKUlvE_clEvEUliiiiiE_St5arrayIPcLm6EEEEviT0_T1_.has_recursion, 0
	.set _ZN2at6native29vectorized_elementwise_kernelILi8EZZZNS0_12_GLOBAL__N_142_validate_compressed_sparse_indices_kernelILNS2_8CDimNameE0ENS2_18CUDAKernelLauncherENS2_14EmptyVecKernelENS2_8DummyVecELm0EEEvRKNS_6TensorESA_lllENKUlvE1_clEvENKUlvE_clEvEUliiiiiE_St5arrayIPcLm6EEEEviT0_T1_.has_indirect_call, 0
	.section	.AMDGPU.csdata,"",@progbits
; Kernel info:
; codeLenInByte = 13060
; TotalNumSgprs: 76
; NumVgprs: 44
; ScratchSize: 0
; MemoryBound: 0
; FloatMode: 240
; IeeeMode: 1
; LDSByteSize: 0 bytes/workgroup (compile time only)
; SGPRBlocks: 0
; VGPRBlocks: 2
; NumSGPRsForWavesPerEU: 76
; NumVGPRsForWavesPerEU: 44
; NamedBarCnt: 0
; Occupancy: 16
; WaveLimiterHint : 0
; COMPUTE_PGM_RSRC2:SCRATCH_EN: 0
; COMPUTE_PGM_RSRC2:USER_SGPR: 2
; COMPUTE_PGM_RSRC2:TRAP_HANDLER: 0
; COMPUTE_PGM_RSRC2:TGID_X_EN: 1
; COMPUTE_PGM_RSRC2:TGID_Y_EN: 0
; COMPUTE_PGM_RSRC2:TGID_Z_EN: 0
; COMPUTE_PGM_RSRC2:TIDIG_COMP_CNT: 0
	.section	.text._ZN2at6native29vectorized_elementwise_kernelILi4EZZZNS0_12_GLOBAL__N_142_validate_compressed_sparse_indices_kernelILNS2_8CDimNameE0ENS2_18CUDAKernelLauncherENS2_14EmptyVecKernelENS2_8DummyVecELm0EEEvRKNS_6TensorESA_lllENKUlvE1_clEvENKUlvE_clEvEUliiiiiE_St5arrayIPcLm6EEEEviT0_T1_,"axG",@progbits,_ZN2at6native29vectorized_elementwise_kernelILi4EZZZNS0_12_GLOBAL__N_142_validate_compressed_sparse_indices_kernelILNS2_8CDimNameE0ENS2_18CUDAKernelLauncherENS2_14EmptyVecKernelENS2_8DummyVecELm0EEEvRKNS_6TensorESA_lllENKUlvE1_clEvENKUlvE_clEvEUliiiiiE_St5arrayIPcLm6EEEEviT0_T1_,comdat
	.globl	_ZN2at6native29vectorized_elementwise_kernelILi4EZZZNS0_12_GLOBAL__N_142_validate_compressed_sparse_indices_kernelILNS2_8CDimNameE0ENS2_18CUDAKernelLauncherENS2_14EmptyVecKernelENS2_8DummyVecELm0EEEvRKNS_6TensorESA_lllENKUlvE1_clEvENKUlvE_clEvEUliiiiiE_St5arrayIPcLm6EEEEviT0_T1_ ; -- Begin function _ZN2at6native29vectorized_elementwise_kernelILi4EZZZNS0_12_GLOBAL__N_142_validate_compressed_sparse_indices_kernelILNS2_8CDimNameE0ENS2_18CUDAKernelLauncherENS2_14EmptyVecKernelENS2_8DummyVecELm0EEEvRKNS_6TensorESA_lllENKUlvE1_clEvENKUlvE_clEvEUliiiiiE_St5arrayIPcLm6EEEEviT0_T1_
	.p2align	8
	.type	_ZN2at6native29vectorized_elementwise_kernelILi4EZZZNS0_12_GLOBAL__N_142_validate_compressed_sparse_indices_kernelILNS2_8CDimNameE0ENS2_18CUDAKernelLauncherENS2_14EmptyVecKernelENS2_8DummyVecELm0EEEvRKNS_6TensorESA_lllENKUlvE1_clEvENKUlvE_clEvEUliiiiiE_St5arrayIPcLm6EEEEviT0_T1_,@function
_ZN2at6native29vectorized_elementwise_kernelILi4EZZZNS0_12_GLOBAL__N_142_validate_compressed_sparse_indices_kernelILNS2_8CDimNameE0ENS2_18CUDAKernelLauncherENS2_14EmptyVecKernelENS2_8DummyVecELm0EEEvRKNS_6TensorESA_lllENKUlvE1_clEvENKUlvE_clEvEUliiiiiE_St5arrayIPcLm6EEEEviT0_T1_: ; @_ZN2at6native29vectorized_elementwise_kernelILi4EZZZNS0_12_GLOBAL__N_142_validate_compressed_sparse_indices_kernelILNS2_8CDimNameE0ENS2_18CUDAKernelLauncherENS2_14EmptyVecKernelENS2_8DummyVecELm0EEEvRKNS_6TensorESA_lllENKUlvE1_clEvENKUlvE_clEvEUliiiiiE_St5arrayIPcLm6EEEEviT0_T1_
; %bb.0:
	s_clause 0x3
	s_load_b32 s3, s[0:1], 0x0
	s_load_b32 s33, s[0:1], 0x8
	s_load_b512 s[4:19], s[0:1], 0x10
	s_load_b256 s[20:27], s[0:1], 0x50
	s_wait_xcnt 0x0
	s_bfe_u32 s0, ttmp6, 0x4000c
	s_and_b32 s1, ttmp6, 15
	s_add_co_i32 s0, s0, 1
	s_getreg_b32 s2, hwreg(HW_REG_IB_STS2, 6, 4)
	s_mul_i32 s0, ttmp9, s0
	s_wait_kmcnt 0x0
	s_mov_b32 s9, 0
	s_add_co_i32 s1, s1, s0
	s_cmp_eq_u32 s2, 0
	s_get_pc_i64 s[28:29]
	s_add_nc_u64 s[28:29], s[28:29], .str.1@rel64+4
	s_cselect_b32 s0, ttmp9, s1
	s_delay_alu instid0(SALU_CYCLE_1)
	s_lshl_b32 s2, s0, 10
	s_mov_b32 s0, -1
	s_sub_co_i32 s5, s3, s2
	s_mov_b32 s3, 0
	s_cmp_gt_i32 s5, 0x3ff
	s_cbranch_scc0 .LBB50_77
; %bb.1:
	s_cmp_eq_u64 s[28:29], 0
	s_cselect_b32 s0, -1, 0
	s_cmp_lg_u64 s[28:29], 0
	s_cbranch_scc0 .LBB50_75
; %bb.2:
	s_ashr_i32 s3, s2, 31
	v_lshlrev_b32_e32 v18, 4, v0
	s_lshl_b64 s[30:31], s[2:3], 2
	s_mov_b32 s0, -1
	s_add_nc_u64 s[36:37], s[18:19], s[30:31]
	s_mov_b32 s3, 0
	global_load_b32 v1, v18, s[36:37]
	s_mov_b32 s48, exec_lo
	s_wait_loadcnt 0x0
	v_cmpx_eq_u32_e64 s33, v1
	s_cbranch_execz .LBB50_74
; %bb.3:
	s_add_nc_u64 s[0:1], s[20:21], s[30:31]
	s_get_pc_i64 s[34:35]
	s_add_nc_u64 s[34:35], s[34:35], .str.2@rel64+4
	global_load_b128 v[14:17], v0, s[0:1] scale_offset
	s_cmp_lg_u64 s[34:35], 0
	v_mov_b32_e32 v19, 0
	s_wait_xcnt 0x0
	s_cselect_b32 s1, -1, 0
	s_mov_b32 s38, -1
	s_mov_b32 s0, 0
	s_mov_b32 s35, 0
	;; [unrolled: 1-line block ×3, first 2 shown]
                                        ; implicit-def: $sgpr49
                                        ; implicit-def: $sgpr50
                                        ; implicit-def: $sgpr34
                                        ; implicit-def: $sgpr53
                                        ; implicit-def: $vgpr10_vgpr11_vgpr12_vgpr13
                                        ; implicit-def: $vgpr2_vgpr3_vgpr4_vgpr5
                                        ; implicit-def: $vgpr6_vgpr7_vgpr8_vgpr9
	s_wait_loadcnt 0x0
	v_cmp_eq_u32_e32 vcc_lo, s6, v14
	s_and_b32 s39, s1, vcc_lo
	s_mov_b32 s1, 0
	s_and_saveexec_b32 s51, s39
	s_cbranch_execz .LBB50_66
; %bb.4:
	s_add_nc_u64 s[0:1], s[22:23], s[30:31]
	s_add_nc_u64 s[34:35], s[24:25], s[30:31]
	s_clause 0x1
	global_load_b128 v[6:9], v0, s[0:1] scale_offset
	global_load_b128 v[2:5], v0, s[34:35] scale_offset
	s_get_pc_i64 s[40:41]
	s_add_nc_u64 s[40:41], s[40:41], .str.3@rel64+4
	s_wait_xcnt 0x0
	s_mov_b32 s35, -1
	s_cmp_lg_u64 s[40:41], 0
	s_mov_b32 s38, 0
	s_cselect_b32 s1, -1, 0
	s_mov_b32 s39, 0
	s_mov_b32 s40, 0
                                        ; implicit-def: $sgpr49
                                        ; implicit-def: $sgpr50
                                        ; implicit-def: $sgpr34
                                        ; implicit-def: $vgpr10_vgpr11_vgpr12_vgpr13
	s_wait_loadcnt 0x0
	v_sub_nc_u32_e32 v1, v2, v6
	s_delay_alu instid0(VALU_DEP_1) | instskip(SKIP_2) | instid1(SALU_CYCLE_1)
	v_cmp_le_i32_e32 vcc_lo, s33, v1
	v_cmp_ge_i32_e64 s0, s4, v1
	s_and_b32 s0, vcc_lo, s0
	s_and_b32 s0, s1, s0
	s_mov_b32 s1, 0
	s_and_saveexec_b32 s52, s0
	s_cbranch_execz .LBB50_65
; %bb.5:
	v_add_nc_u64_e32 v[22:23], s[36:37], v[18:19]
	s_add_nc_u64 s[0:1], s[26:27], s[30:31]
	s_add_co_i32 s34, s8, -1
	global_load_b96 v[18:20], v[22:23], off offset:4
	global_load_b128 v[10:13], v0, s[0:1] scale_offset
	s_wait_xcnt 0x0
	v_cmp_gt_i64_e64 s0, s[6:7], 0
	s_cmp_gt_i32 s34, -1
	v_mov_b64_e32 v[22:23], 0
	s_cselect_b32 s1, -1, 0
	s_delay_alu instid0(SALU_CYCLE_1) | instskip(NEXT) | instid1(SALU_CYCLE_1)
	s_and_b32 s50, s0, s1
	s_and_not1_b32 vcc_lo, exec_lo, s50
	s_cbranch_vccnz .LBB50_12
; %bb.6:
	s_wait_loadcnt 0x0
	v_dual_mov_b32 v22, v10 :: v_dual_ashrrev_i32 v23, 31, v10
	s_mov_b32 s1, 0
	v_mov_b32_e32 v24, 0
	s_mov_b32 s35, s1
	s_mov_b64 s[36:37], 0xffffffff
	v_mul_u64_e32 v[26:27], s[6:7], v[22:23]
	v_mov_b64_e32 v[22:23], 0
	s_lshl_b64 s[40:41], s[34:35], 3
	s_mov_b32 s35, s8
	s_add_nc_u64 s[38:39], s[10:11], s[40:41]
	s_add_nc_u64 s[40:41], s[12:13], s[40:41]
	s_branch .LBB50_8
.LBB50_7:                               ;   in Loop: Header=BB50_8 Depth=1
	s_or_b32 exec_lo, exec_lo, s0
	s_delay_alu instid0(VALU_DEP_1)
	v_mul_u64_e32 v[30:31], s[42:43], v[28:29]
	s_load_b64 s[42:43], s[40:41], 0x0
	s_add_co_i32 s35, s35, -1
	s_add_nc_u64 s[38:39], s[38:39], -8
	s_cmp_eq_u32 s35, 0
	s_wait_xcnt 0x0
	s_add_nc_u64 s[40:41], s[40:41], -8
	s_delay_alu instid0(VALU_DEP_1) | instskip(SKIP_1) | instid1(VALU_DEP_1)
	v_sub_nc_u64_e32 v[26:27], v[26:27], v[30:31]
	s_wait_kmcnt 0x0
	v_mad_nc_u64_u32 v[22:23], v26, s42, v[22:23]
	s_delay_alu instid0(VALU_DEP_1) | instskip(NEXT) | instid1(VALU_DEP_1)
	v_mad_u32 v1, v27, s42, v23
	v_mad_u32 v23, v26, s43, v1
	v_mov_b64_e32 v[26:27], v[28:29]
	s_cbranch_scc1 .LBB50_12
.LBB50_8:                               ; =>This Inner Loop Header: Depth=1
	s_load_b64 s[42:43], s[38:39], 0x0
                                        ; implicit-def: $vgpr28_vgpr29
	s_mov_b32 s0, exec_lo
	s_wait_kmcnt 0x0
	s_delay_alu instid0(VALU_DEP_1) | instskip(NEXT) | instid1(VALU_DEP_1)
	v_or_b32_e32 v25, s43, v27
	v_cmpx_ne_u64_e32 0, v[24:25]
	s_xor_b32 s49, exec_lo, s0
	s_cbranch_execz .LBB50_10
; %bb.9:                                ;   in Loop: Header=BB50_8 Depth=1
	s_ashr_i32 s44, s43, 31
	v_dual_mov_b32 v33, v24 :: v_dual_ashrrev_i32 v28, 31, v27
	s_mov_b32 s45, s44
	v_mov_b32_e32 v41, v24
	s_add_nc_u64 s[46:47], s[42:43], s[44:45]
	s_delay_alu instid0(VALU_DEP_2) | instskip(SKIP_1) | instid1(SALU_CYCLE_1)
	v_mov_b32_e32 v29, v28
	s_xor_b64 s[46:47], s[46:47], s[44:45]
	s_cvt_f32_u32 s0, s46
	s_cvt_f32_u32 s45, s47
	s_sub_nc_u64 s[56:57], 0, s[46:47]
	v_add_nc_u64_e32 v[30:31], v[26:27], v[28:29]
	v_mov_b32_e32 v37, v24
	s_fmamk_f32 s0, s45, 0x4f800000, s0
	s_delay_alu instid0(SALU_CYCLE_3) | instskip(NEXT) | instid1(VALU_DEP_2)
	v_s_rcp_f32 s0, s0
	v_xor_b32_e32 v32, v30, v28
	s_delay_alu instid0(VALU_DEP_3) | instskip(NEXT) | instid1(TRANS32_DEP_1)
	v_xor_b32_e32 v36, v31, v28
	s_mul_f32 s0, s0, 0x5f7ffffc
	s_delay_alu instid0(SALU_CYCLE_3) | instskip(NEXT) | instid1(SALU_CYCLE_3)
	s_mul_f32 s45, s0, 0x2f800000
	s_trunc_f32 s45, s45
	s_delay_alu instid0(SALU_CYCLE_3) | instskip(SKIP_1) | instid1(SALU_CYCLE_2)
	s_fmamk_f32 s0, s45, 0xcf800000, s0
	s_cvt_u32_f32 s55, s45
	s_cvt_u32_f32 s54, s0
	s_delay_alu instid0(SALU_CYCLE_3) | instskip(NEXT) | instid1(SALU_CYCLE_1)
	s_mul_u64 s[58:59], s[56:57], s[54:55]
	s_mul_hi_u32 s61, s54, s59
	s_mul_i32 s60, s54, s59
	s_mul_hi_u32 s0, s54, s58
	s_mul_i32 s53, s55, s58
	s_add_nc_u64 s[60:61], s[0:1], s[60:61]
	s_mul_hi_u32 s45, s55, s58
	s_mul_hi_u32 s62, s55, s59
	s_add_co_u32 s0, s60, s53
	s_add_co_ci_u32 s0, s61, s45
	s_mul_i32 s58, s55, s59
	s_add_co_ci_u32 s59, s62, 0
	s_delay_alu instid0(SALU_CYCLE_1) | instskip(NEXT) | instid1(SALU_CYCLE_1)
	s_add_nc_u64 s[58:59], s[0:1], s[58:59]
	s_add_co_u32 s54, s54, s58
	s_cselect_b32 s0, -1, 0
	s_delay_alu instid0(SALU_CYCLE_1) | instskip(SKIP_1) | instid1(SALU_CYCLE_1)
	s_cmp_lg_u32 s0, 0
	s_add_co_ci_u32 s55, s55, s59
	s_mul_u64 s[56:57], s[56:57], s[54:55]
	s_delay_alu instid0(SALU_CYCLE_1)
	s_mul_hi_u32 s59, s54, s57
	s_mul_i32 s58, s54, s57
	s_mul_hi_u32 s0, s54, s56
	s_mul_i32 s53, s55, s56
	s_add_nc_u64 s[58:59], s[0:1], s[58:59]
	s_mul_hi_u32 s45, s55, s56
	s_mul_hi_u32 s60, s55, s57
	s_add_co_u32 s0, s58, s53
	s_add_co_ci_u32 s0, s59, s45
	s_mul_i32 s56, s55, s57
	s_add_co_ci_u32 s57, s60, 0
	s_delay_alu instid0(SALU_CYCLE_1) | instskip(NEXT) | instid1(SALU_CYCLE_1)
	s_add_nc_u64 s[56:57], s[0:1], s[56:57]
	s_add_co_u32 s54, s54, s56
	s_cselect_b32 s0, -1, 0
	v_mul_hi_u32 v40, v32, s54
	s_cmp_lg_u32 s0, 0
	s_add_co_ci_u32 s0, s55, s57
	s_and_b64 s[56:57], s[54:55], s[36:37]
	v_mul_u64_e32 v[34:35], s[0:1], v[32:33]
	v_mul_u64_e32 v[30:31], s[56:57], v[36:37]
	;; [unrolled: 1-line block ×3, first 2 shown]
	s_delay_alu instid0(VALU_DEP_3) | instskip(NEXT) | instid1(VALU_DEP_1)
	v_add_nc_u64_e32 v[34:35], v[40:41], v[34:35]
	v_add_co_u32 v1, vcc_lo, v34, v30
	s_delay_alu instid0(VALU_DEP_2) | instskip(NEXT) | instid1(VALU_DEP_4)
	v_add_co_ci_u32_e32 v40, vcc_lo, v35, v31, vcc_lo
	v_add_co_ci_u32_e32 v39, vcc_lo, 0, v39, vcc_lo
	s_delay_alu instid0(VALU_DEP_1) | instskip(NEXT) | instid1(VALU_DEP_1)
	v_add_nc_u64_e32 v[30:31], v[40:41], v[38:39]
	v_mul_u64_e32 v[34:35], s[46:47], v[30:31]
	s_delay_alu instid0(VALU_DEP_1) | instskip(NEXT) | instid1(VALU_DEP_2)
	v_sub_nc_u32_e32 v1, v36, v35
	v_sub_co_u32 v10, vcc_lo, v32, v34
	s_delay_alu instid0(VALU_DEP_1) | instskip(NEXT) | instid1(VALU_DEP_3)
	v_sub_co_ci_u32_e64 v25, null, v36, v35, vcc_lo
	v_subrev_co_ci_u32_e64 v1, null, s47, v1, vcc_lo
	s_delay_alu instid0(VALU_DEP_3) | instskip(SKIP_1) | instid1(VALU_DEP_3)
	v_sub_co_u32 v21, s0, v10, s46
	v_add_nc_u64_e32 v[32:33], 2, v[30:31]
	v_subrev_co_ci_u32_e64 v1, null, 0, v1, s0
	s_delay_alu instid0(VALU_DEP_3) | instskip(SKIP_2) | instid1(VALU_DEP_4)
	v_cmp_le_u32_e32 vcc_lo, s46, v21
	v_add_nc_u64_e32 v[34:35], 1, v[30:31]
	v_cndmask_b32_e64 v21, 0, -1, vcc_lo
	v_cmp_le_u32_e32 vcc_lo, s47, v1
	v_cndmask_b32_e64 v29, 0, -1, vcc_lo
	v_cmp_le_u32_e32 vcc_lo, s46, v10
	;; [unrolled: 2-line block ×3, first 2 shown]
	v_cndmask_b32_e64 v36, 0, -1, vcc_lo
	v_cmp_eq_u32_e32 vcc_lo, s47, v1
	v_cndmask_b32_e32 v1, v29, v21, vcc_lo
	v_cmp_eq_u32_e32 vcc_lo, s47, v25
	s_delay_alu instid0(VALU_DEP_4) | instskip(NEXT) | instid1(VALU_DEP_3)
	v_cndmask_b32_e32 v10, v36, v10, vcc_lo
	v_cmp_ne_u32_e32 vcc_lo, 0, v1
	s_delay_alu instid0(VALU_DEP_2) | instskip(SKIP_1) | instid1(VALU_DEP_1)
	v_cmp_ne_u32_e64 s0, 0, v10
	v_dual_cndmask_b32 v1, v35, v33 :: v_dual_cndmask_b32 v10, v34, v32
	v_dual_cndmask_b32 v1, v31, v1, s0 :: v_dual_bitop2_b32 v28, s44, v28 bitop3:0x14
	s_delay_alu instid0(VALU_DEP_1) | instskip(NEXT) | instid1(VALU_DEP_2)
	v_dual_cndmask_b32 v10, v30, v10, s0 :: v_dual_mov_b32 v29, v28
	v_xor_b32_e32 v31, v1, v28
	s_delay_alu instid0(VALU_DEP_2) | instskip(NEXT) | instid1(VALU_DEP_1)
	v_xor_b32_e32 v30, v10, v28
	v_sub_nc_u64_e32 v[28:29], v[30:31], v[28:29]
.LBB50_10:                              ;   in Loop: Header=BB50_8 Depth=1
	s_and_not1_saveexec_b32 s0, s49
	s_cbranch_execz .LBB50_7
; %bb.11:                               ;   in Loop: Header=BB50_8 Depth=1
	v_cvt_f32_u32_e32 v1, s42
	s_sub_co_i32 s44, 0, s42
	v_mov_b32_e32 v29, v24
	s_delay_alu instid0(VALU_DEP_2) | instskip(SKIP_1) | instid1(TRANS32_DEP_1)
	v_rcp_iflag_f32_e32 v1, v1
	v_nop
	v_mul_f32_e32 v1, 0x4f7ffffe, v1
	s_delay_alu instid0(VALU_DEP_1) | instskip(NEXT) | instid1(VALU_DEP_1)
	v_cvt_u32_f32_e32 v1, v1
	v_mul_lo_u32 v10, s44, v1
	s_delay_alu instid0(VALU_DEP_1) | instskip(NEXT) | instid1(VALU_DEP_1)
	v_mul_hi_u32 v10, v1, v10
	v_add_nc_u32_e32 v1, v1, v10
	s_delay_alu instid0(VALU_DEP_1) | instskip(NEXT) | instid1(VALU_DEP_1)
	v_mul_hi_u32 v1, v26, v1
	v_mul_lo_u32 v10, v1, s42
	s_delay_alu instid0(VALU_DEP_1) | instskip(NEXT) | instid1(VALU_DEP_1)
	v_dual_add_nc_u32 v21, 1, v1 :: v_dual_sub_nc_u32 v10, v26, v10
	v_subrev_nc_u32_e32 v25, s42, v10
	v_cmp_le_u32_e32 vcc_lo, s42, v10
	s_delay_alu instid0(VALU_DEP_2) | instskip(NEXT) | instid1(VALU_DEP_4)
	v_cndmask_b32_e32 v10, v10, v25, vcc_lo
	v_cndmask_b32_e32 v1, v1, v21, vcc_lo
	s_delay_alu instid0(VALU_DEP_2) | instskip(NEXT) | instid1(VALU_DEP_2)
	v_cmp_le_u32_e32 vcc_lo, s42, v10
	v_add_nc_u32_e32 v21, 1, v1
	s_delay_alu instid0(VALU_DEP_1)
	v_cndmask_b32_e32 v28, v1, v21, vcc_lo
	s_branch .LBB50_7
.LBB50_12:
	s_get_pc_i64 s[0:1]
	s_add_nc_u64 s[0:1], s[0:1], .str.4@rel64+4
	s_mov_b32 s35, -1
	s_cmp_lg_u64 s[0:1], 0
	s_mov_b32 s0, 0
	s_cselect_b32 s49, -1, 0
	s_mov_b32 s53, 0
	s_mov_b32 s1, exec_lo
	v_cmpx_gt_i32_e64 v2, v6
	s_cbranch_execz .LBB50_18
; %bb.13:
	v_lshlrev_b64_e32 v[22:23], 2, v[22:23]
	v_dual_mov_b32 v24, v6 :: v_dual_ashrrev_i32 v25, 31, v6
	v_dual_mov_b32 v28, v2 :: v_dual_ashrrev_i32 v29, 31, v2
	s_mov_b32 s35, 0
	s_xor_b32 s37, s49, -1
	s_delay_alu instid0(VALU_DEP_2) | instskip(SKIP_1) | instid1(VALU_DEP_2)
	v_lshl_add_u64 v[24:25], v[24:25], 2, v[22:23]
	v_add_nc_u64_e32 v[26:27], s[14:15], v[22:23]
                                        ; implicit-def: $sgpr36
                                        ; implicit-def: $sgpr39
                                        ; implicit-def: $sgpr38
	v_add_nc_u64_e32 v[24:25], s[14:15], v[24:25]
	s_delay_alu instid0(VALU_DEP_1) | instskip(NEXT) | instid1(VALU_DEP_3)
	v_add_nc_u64_e32 v[22:23], 4, v[24:25]
	v_lshl_add_u64 v[24:25], v[28:29], 2, v[26:27]
	s_branch .LBB50_15
.LBB50_14:                              ;   in Loop: Header=BB50_15 Depth=1
	s_or_b32 exec_lo, exec_lo, s40
	s_delay_alu instid0(SALU_CYCLE_1) | instskip(NEXT) | instid1(SALU_CYCLE_1)
	s_and_b32 s40, exec_lo, s39
	s_or_b32 s35, s40, s35
	s_and_not1_b32 s36, s36, exec_lo
	s_and_b32 s40, s38, exec_lo
	s_delay_alu instid0(SALU_CYCLE_1)
	s_or_b32 s36, s36, s40
	s_and_not1_b32 exec_lo, exec_lo, s35
	s_cbranch_execz .LBB50_17
.LBB50_15:                              ; =>This Inner Loop Header: Depth=1
	s_or_b32 s38, s38, exec_lo
	s_or_b32 s39, s39, exec_lo
	s_mov_b32 s40, exec_lo
	s_delay_alu instid0(VALU_DEP_2)
	v_cmpx_lt_u64_e64 v[22:23], v[24:25]
	s_cbranch_execz .LBB50_14
; %bb.16:                               ;   in Loop: Header=BB50_15 Depth=1
	global_load_b64 v[26:27], v[22:23], off offset:-4
	s_wait_xcnt 0x0
	v_add_nc_u64_e32 v[22:23], 4, v[22:23]
	s_and_not1_b32 s39, s39, exec_lo
	s_and_not1_b32 s38, s38, exec_lo
	s_wait_loadcnt 0x0
	v_cmp_ge_i32_e32 vcc_lo, v26, v27
	s_or_b32 s41, s37, vcc_lo
	s_delay_alu instid0(SALU_CYCLE_1) | instskip(NEXT) | instid1(SALU_CYCLE_1)
	s_and_b32 s41, s41, exec_lo
	s_or_b32 s39, s39, s41
	s_branch .LBB50_14
.LBB50_17:
	s_or_b32 exec_lo, exec_lo, s35
	s_delay_alu instid0(SALU_CYCLE_1)
	s_mov_b32 s53, exec_lo
	s_or_not1_b32 s35, s36, exec_lo
.LBB50_18:
	s_or_b32 exec_lo, exec_lo, s1
	s_mov_b32 s36, 0
	s_mov_b32 s37, 0
	;; [unrolled: 1-line block ×3, first 2 shown]
	s_and_saveexec_b32 s54, s35
	s_cbranch_execz .LBB50_64
; %bb.19:
	s_mov_b32 s0, 0
	s_mov_b32 s1, -1
	s_mov_b32 s35, 0
	s_mov_b32 s55, exec_lo
	s_wait_loadcnt 0x1
	v_cmpx_eq_u32_e64 s33, v18
	s_cbranch_execz .LBB50_63
; %bb.20:
	s_mov_b32 s0, -1
	s_mov_b32 s38, 0
	s_mov_b32 s39, 0
	s_mov_b32 s56, exec_lo
	v_cmpx_eq_u32_e64 v15, v14
	s_cbranch_execz .LBB50_62
; %bb.21:
	v_sub_nc_u32_e32 v1, v3, v7
	s_mov_b32 s35, -1
	s_mov_b32 s1, 0
	s_delay_alu instid0(VALU_DEP_1) | instskip(SKIP_2) | instid1(SALU_CYCLE_1)
	v_cmp_le_i32_e32 vcc_lo, s33, v1
	v_cmp_ge_i32_e64 s0, s4, v1
	s_and_b32 s0, vcc_lo, s0
	s_and_saveexec_b32 s57, s0
	s_cbranch_execz .LBB50_61
; %bb.22:
	v_mov_b64_e32 v[22:23], 0
	s_and_not1_b32 vcc_lo, exec_lo, s50
	s_cbranch_vccnz .LBB50_29
; %bb.23:
	s_wait_loadcnt 0x0
	v_dual_mov_b32 v22, v11 :: v_dual_ashrrev_i32 v23, 31, v11
	s_mov_b32 s35, s1
	v_mov_b32_e32 v10, 0
	s_lshl_b64 s[40:41], s[34:35], 3
	s_mov_b64 s[36:37], 0xffffffff
	v_mul_u64_e32 v[24:25], s[6:7], v[22:23]
	v_mov_b64_e32 v[22:23], 0
	s_add_nc_u64 s[38:39], s[10:11], s[40:41]
	s_add_nc_u64 s[40:41], s[12:13], s[40:41]
	s_mov_b32 s35, s8
	s_branch .LBB50_25
.LBB50_24:                              ;   in Loop: Header=BB50_25 Depth=1
	s_or_b32 exec_lo, exec_lo, s0
	s_delay_alu instid0(VALU_DEP_1)
	v_mul_u64_e32 v[28:29], s[42:43], v[26:27]
	s_load_b64 s[42:43], s[40:41], 0x0
	s_add_co_i32 s35, s35, -1
	s_add_nc_u64 s[38:39], s[38:39], -8
	s_cmp_lg_u32 s35, 0
	s_wait_xcnt 0x0
	s_add_nc_u64 s[40:41], s[40:41], -8
	s_delay_alu instid0(VALU_DEP_1) | instskip(SKIP_1) | instid1(VALU_DEP_1)
	v_sub_nc_u64_e32 v[24:25], v[24:25], v[28:29]
	s_wait_kmcnt 0x0
	v_mad_nc_u64_u32 v[22:23], v24, s42, v[22:23]
	s_delay_alu instid0(VALU_DEP_1) | instskip(NEXT) | instid1(VALU_DEP_1)
	v_mad_u32 v1, v25, s42, v23
	v_mad_u32 v23, v24, s43, v1
	v_mov_b64_e32 v[24:25], v[26:27]
	s_cbranch_scc0 .LBB50_29
.LBB50_25:                              ; =>This Inner Loop Header: Depth=1
	s_load_b64 s[42:43], s[38:39], 0x0
                                        ; implicit-def: $vgpr26_vgpr27
	s_mov_b32 s0, exec_lo
	s_wait_kmcnt 0x0
	s_delay_alu instid0(VALU_DEP_1) | instskip(NEXT) | instid1(VALU_DEP_1)
	v_or_b32_e32 v11, s43, v25
	v_cmpx_ne_u64_e32 0, v[10:11]
	s_xor_b32 s58, exec_lo, s0
	s_cbranch_execz .LBB50_27
; %bb.26:                               ;   in Loop: Header=BB50_25 Depth=1
	s_ashr_i32 s44, s43, 31
	v_dual_mov_b32 v31, v10 :: v_dual_ashrrev_i32 v26, 31, v25
	s_mov_b32 s45, s44
	v_mov_b32_e32 v39, v10
	s_add_nc_u64 s[46:47], s[42:43], s[44:45]
	s_delay_alu instid0(VALU_DEP_2) | instskip(SKIP_1) | instid1(SALU_CYCLE_1)
	v_mov_b32_e32 v27, v26
	s_xor_b64 s[46:47], s[46:47], s[44:45]
	s_cvt_f32_u32 s0, s46
	s_cvt_f32_u32 s45, s47
	s_sub_nc_u64 s[62:63], 0, s[46:47]
	v_add_nc_u64_e32 v[28:29], v[24:25], v[26:27]
	v_mov_b32_e32 v35, v10
	s_fmamk_f32 s0, s45, 0x4f800000, s0
	s_delay_alu instid0(SALU_CYCLE_3) | instskip(NEXT) | instid1(VALU_DEP_2)
	v_s_rcp_f32 s0, s0
	v_xor_b32_e32 v30, v28, v26
	s_delay_alu instid0(VALU_DEP_3) | instskip(NEXT) | instid1(TRANS32_DEP_1)
	v_xor_b32_e32 v34, v29, v26
	s_mul_f32 s0, s0, 0x5f7ffffc
	s_delay_alu instid0(SALU_CYCLE_3) | instskip(NEXT) | instid1(SALU_CYCLE_3)
	s_mul_f32 s45, s0, 0x2f800000
	s_trunc_f32 s45, s45
	s_delay_alu instid0(SALU_CYCLE_3) | instskip(SKIP_1) | instid1(SALU_CYCLE_2)
	s_fmamk_f32 s0, s45, 0xcf800000, s0
	s_cvt_u32_f32 s61, s45
	s_cvt_u32_f32 s60, s0
	s_delay_alu instid0(SALU_CYCLE_3) | instskip(NEXT) | instid1(SALU_CYCLE_1)
	s_mul_u64 s[64:65], s[62:63], s[60:61]
	s_mul_hi_u32 s67, s60, s65
	s_mul_i32 s66, s60, s65
	s_mul_hi_u32 s0, s60, s64
	s_mul_i32 s59, s61, s64
	s_add_nc_u64 s[66:67], s[0:1], s[66:67]
	s_mul_hi_u32 s45, s61, s64
	s_mul_hi_u32 s68, s61, s65
	s_add_co_u32 s0, s66, s59
	s_add_co_ci_u32 s0, s67, s45
	s_mul_i32 s64, s61, s65
	s_add_co_ci_u32 s65, s68, 0
	s_delay_alu instid0(SALU_CYCLE_1) | instskip(NEXT) | instid1(SALU_CYCLE_1)
	s_add_nc_u64 s[64:65], s[0:1], s[64:65]
	s_add_co_u32 s60, s60, s64
	s_cselect_b32 s0, -1, 0
	s_delay_alu instid0(SALU_CYCLE_1) | instskip(SKIP_1) | instid1(SALU_CYCLE_1)
	s_cmp_lg_u32 s0, 0
	s_add_co_ci_u32 s61, s61, s65
	s_mul_u64 s[62:63], s[62:63], s[60:61]
	s_delay_alu instid0(SALU_CYCLE_1)
	s_mul_hi_u32 s65, s60, s63
	s_mul_i32 s64, s60, s63
	s_mul_hi_u32 s0, s60, s62
	s_mul_i32 s59, s61, s62
	s_add_nc_u64 s[64:65], s[0:1], s[64:65]
	s_mul_hi_u32 s45, s61, s62
	s_mul_hi_u32 s66, s61, s63
	s_add_co_u32 s0, s64, s59
	s_add_co_ci_u32 s0, s65, s45
	s_mul_i32 s62, s61, s63
	s_add_co_ci_u32 s63, s66, 0
	s_delay_alu instid0(SALU_CYCLE_1) | instskip(NEXT) | instid1(SALU_CYCLE_1)
	s_add_nc_u64 s[62:63], s[0:1], s[62:63]
	s_add_co_u32 s60, s60, s62
	s_cselect_b32 s0, -1, 0
	v_mul_hi_u32 v38, v30, s60
	s_cmp_lg_u32 s0, 0
	s_add_co_ci_u32 s0, s61, s63
	s_and_b64 s[62:63], s[60:61], s[36:37]
	v_mul_u64_e32 v[32:33], s[0:1], v[30:31]
	v_mul_u64_e32 v[28:29], s[62:63], v[34:35]
	v_mul_u64_e32 v[36:37], s[0:1], v[34:35]
	s_delay_alu instid0(VALU_DEP_3) | instskip(NEXT) | instid1(VALU_DEP_1)
	v_add_nc_u64_e32 v[32:33], v[38:39], v[32:33]
	v_add_co_u32 v1, vcc_lo, v32, v28
	s_delay_alu instid0(VALU_DEP_2) | instskip(NEXT) | instid1(VALU_DEP_4)
	v_add_co_ci_u32_e32 v38, vcc_lo, v33, v29, vcc_lo
	v_add_co_ci_u32_e32 v37, vcc_lo, 0, v37, vcc_lo
	s_delay_alu instid0(VALU_DEP_1) | instskip(NEXT) | instid1(VALU_DEP_1)
	v_add_nc_u64_e32 v[28:29], v[38:39], v[36:37]
	v_mul_u64_e32 v[32:33], s[46:47], v[28:29]
	s_delay_alu instid0(VALU_DEP_1) | instskip(SKIP_1) | instid1(VALU_DEP_3)
	v_sub_co_u32 v2, vcc_lo, v30, v32
	v_add_nc_u64_e32 v[30:31], 2, v[28:29]
	v_sub_nc_u32_e32 v1, v34, v33
	v_sub_co_ci_u32_e64 v11, null, v34, v33, vcc_lo
	s_delay_alu instid0(VALU_DEP_4) | instskip(NEXT) | instid1(VALU_DEP_3)
	v_sub_co_u32 v6, s0, v2, s46
	v_subrev_co_ci_u32_e64 v1, null, s47, v1, vcc_lo
	v_add_nc_u64_e32 v[32:33], 1, v[28:29]
	s_delay_alu instid0(VALU_DEP_3) | instskip(NEXT) | instid1(VALU_DEP_3)
	v_cmp_le_u32_e32 vcc_lo, s46, v6
	v_subrev_co_ci_u32_e64 v1, null, 0, v1, s0
	v_cndmask_b32_e64 v6, 0, -1, vcc_lo
	s_delay_alu instid0(VALU_DEP_2)
	v_cmp_le_u32_e32 vcc_lo, s47, v1
	v_cndmask_b32_e64 v15, 0, -1, vcc_lo
	v_cmp_le_u32_e32 vcc_lo, s46, v2
	v_cndmask_b32_e64 v2, 0, -1, vcc_lo
	;; [unrolled: 2-line block ×3, first 2 shown]
	v_cmp_eq_u32_e32 vcc_lo, s47, v1
	v_cndmask_b32_e32 v1, v15, v6, vcc_lo
	v_cmp_eq_u32_e32 vcc_lo, s47, v11
	s_delay_alu instid0(VALU_DEP_4) | instskip(NEXT) | instid1(VALU_DEP_3)
	v_cndmask_b32_e32 v2, v18, v2, vcc_lo
	v_cmp_ne_u32_e32 vcc_lo, 0, v1
	v_cndmask_b32_e32 v1, v33, v31, vcc_lo
	s_delay_alu instid0(VALU_DEP_3) | instskip(SKIP_1) | instid1(VALU_DEP_2)
	v_cmp_ne_u32_e64 s0, 0, v2
	v_cndmask_b32_e32 v2, v32, v30, vcc_lo
	v_dual_cndmask_b32 v1, v29, v1, s0 :: v_dual_bitop2_b32 v26, s44, v26 bitop3:0x14
	s_delay_alu instid0(VALU_DEP_1) | instskip(NEXT) | instid1(VALU_DEP_2)
	v_dual_cndmask_b32 v2, v28, v2, s0 :: v_dual_mov_b32 v27, v26
	v_xor_b32_e32 v29, v1, v26
	s_delay_alu instid0(VALU_DEP_2) | instskip(NEXT) | instid1(VALU_DEP_1)
	v_xor_b32_e32 v28, v2, v26
	v_sub_nc_u64_e32 v[26:27], v[28:29], v[26:27]
.LBB50_27:                              ;   in Loop: Header=BB50_25 Depth=1
	s_and_not1_saveexec_b32 s0, s58
	s_cbranch_execz .LBB50_24
; %bb.28:                               ;   in Loop: Header=BB50_25 Depth=1
	v_cvt_f32_u32_e32 v1, s42
	s_sub_co_i32 s44, 0, s42
	v_mov_b32_e32 v27, v10
	s_delay_alu instid0(VALU_DEP_2) | instskip(SKIP_1) | instid1(TRANS32_DEP_1)
	v_rcp_iflag_f32_e32 v1, v1
	v_nop
	v_mul_f32_e32 v1, 0x4f7ffffe, v1
	s_delay_alu instid0(VALU_DEP_1) | instskip(NEXT) | instid1(VALU_DEP_1)
	v_cvt_u32_f32_e32 v1, v1
	v_mul_lo_u32 v2, s44, v1
	s_delay_alu instid0(VALU_DEP_1) | instskip(NEXT) | instid1(VALU_DEP_1)
	v_mul_hi_u32 v2, v1, v2
	v_add_nc_u32_e32 v1, v1, v2
	s_delay_alu instid0(VALU_DEP_1) | instskip(NEXT) | instid1(VALU_DEP_1)
	v_mul_hi_u32 v1, v24, v1
	v_mul_lo_u32 v2, v1, s42
	s_delay_alu instid0(VALU_DEP_1) | instskip(NEXT) | instid1(VALU_DEP_1)
	v_dual_add_nc_u32 v6, 1, v1 :: v_dual_sub_nc_u32 v2, v24, v2
	v_subrev_nc_u32_e32 v11, s42, v2
	v_cmp_le_u32_e32 vcc_lo, s42, v2
	s_delay_alu instid0(VALU_DEP_2) | instskip(NEXT) | instid1(VALU_DEP_1)
	v_dual_cndmask_b32 v2, v2, v11 :: v_dual_cndmask_b32 v1, v1, v6
	v_cmp_le_u32_e32 vcc_lo, s42, v2
	s_delay_alu instid0(VALU_DEP_2) | instskip(NEXT) | instid1(VALU_DEP_1)
	v_add_nc_u32_e32 v6, 1, v1
	v_cndmask_b32_e32 v26, v1, v6, vcc_lo
	s_branch .LBB50_24
.LBB50_29:
	s_mov_b32 s35, -1
	s_mov_b32 s0, 0
	s_mov_b32 s58, 0
	s_mov_b32 s1, exec_lo
	v_cmpx_gt_i32_e64 v3, v7
	s_cbranch_execz .LBB50_35
; %bb.30:
	s_wait_loadcnt 0x0
	s_delay_alu instid0(VALU_DEP_2) | instskip(SKIP_3) | instid1(VALU_DEP_1)
	v_lshlrev_b64_e32 v[10:11], 2, v[22:23]
	v_dual_mov_b32 v22, v7 :: v_dual_ashrrev_i32 v23, 31, v7
	s_mov_b32 s35, 0
	s_xor_b32 s37, s49, -1
                                        ; implicit-def: $sgpr36
                                        ; implicit-def: $sgpr39
                                        ; implicit-def: $sgpr38
	v_lshl_add_u64 v[6:7], v[22:23], 2, v[10:11]
	v_add_nc_u64_e32 v[10:11], s[14:15], v[10:11]
	v_dual_mov_b32 v22, v3 :: v_dual_ashrrev_i32 v23, 31, v3
	s_delay_alu instid0(VALU_DEP_3) | instskip(NEXT) | instid1(VALU_DEP_1)
	v_add_nc_u64_e32 v[6:7], s[14:15], v[6:7]
	v_add_nc_u64_e32 v[2:3], 4, v[6:7]
	s_delay_alu instid0(VALU_DEP_3)
	v_lshl_add_u64 v[6:7], v[22:23], 2, v[10:11]
	s_branch .LBB50_32
.LBB50_31:                              ;   in Loop: Header=BB50_32 Depth=1
	s_or_b32 exec_lo, exec_lo, s40
	s_delay_alu instid0(SALU_CYCLE_1) | instskip(NEXT) | instid1(SALU_CYCLE_1)
	s_and_b32 s40, exec_lo, s39
	s_or_b32 s35, s40, s35
	s_and_not1_b32 s36, s36, exec_lo
	s_and_b32 s40, s38, exec_lo
	s_delay_alu instid0(SALU_CYCLE_1)
	s_or_b32 s36, s36, s40
	s_and_not1_b32 exec_lo, exec_lo, s35
	s_cbranch_execz .LBB50_34
.LBB50_32:                              ; =>This Inner Loop Header: Depth=1
	s_or_b32 s38, s38, exec_lo
	s_or_b32 s39, s39, exec_lo
	s_mov_b32 s40, exec_lo
	s_delay_alu instid0(VALU_DEP_2)
	v_cmpx_lt_u64_e64 v[2:3], v[6:7]
	s_cbranch_execz .LBB50_31
; %bb.33:                               ;   in Loop: Header=BB50_32 Depth=1
	global_load_b64 v[10:11], v[2:3], off offset:-4
	s_and_not1_b32 s39, s39, exec_lo
	s_wait_xcnt 0x0
	v_add_nc_u64_e32 v[2:3], 4, v[2:3]
	s_and_not1_b32 s38, s38, exec_lo
	s_wait_loadcnt 0x0
	v_cmp_ge_i32_e32 vcc_lo, v10, v11
	s_or_b32 s41, s37, vcc_lo
	s_delay_alu instid0(SALU_CYCLE_1) | instskip(NEXT) | instid1(SALU_CYCLE_1)
	s_and_b32 s41, s41, exec_lo
	s_or_b32 s39, s39, s41
	s_branch .LBB50_31
.LBB50_34:
	s_or_b32 exec_lo, exec_lo, s35
	s_delay_alu instid0(SALU_CYCLE_1)
	s_mov_b32 s58, exec_lo
	s_or_not1_b32 s35, s36, exec_lo
.LBB50_35:
	s_or_b32 exec_lo, exec_lo, s1
	s_mov_b32 s1, 0
	s_mov_b32 s36, 0
	;; [unrolled: 1-line block ×3, first 2 shown]
	s_and_saveexec_b32 s59, s35
	s_cbranch_execz .LBB50_60
; %bb.36:
	s_mov_b32 s0, 0
	s_mov_b32 s1, -1
	s_mov_b32 s35, 0
	s_mov_b32 s60, exec_lo
	v_cmpx_eq_u32_e64 s33, v19
	s_cbranch_execz .LBB50_59
; %bb.37:
	s_mov_b32 s0, -1
	s_mov_b32 s38, 0
	s_mov_b32 s39, 0
	s_mov_b32 s61, exec_lo
	v_cmpx_eq_u32_e64 v16, v14
	s_cbranch_execz .LBB50_58
; %bb.38:
	v_sub_nc_u32_e32 v1, v4, v8
	s_mov_b32 s35, -1
	s_mov_b32 s1, 0
	s_delay_alu instid0(VALU_DEP_1) | instskip(SKIP_2) | instid1(SALU_CYCLE_1)
	v_cmp_le_i32_e32 vcc_lo, s33, v1
	v_cmp_ge_i32_e64 s0, s4, v1
	s_and_b32 s0, vcc_lo, s0
	s_and_saveexec_b32 s62, s0
	s_cbranch_execz .LBB50_57
; %bb.39:
	v_mov_b64_e32 v[2:3], 0
	s_and_not1_b32 vcc_lo, exec_lo, s50
	s_cbranch_vccnz .LBB50_46
; %bb.40:
	s_wait_loadcnt 0x0
	v_dual_mov_b32 v2, v12 :: v_dual_ashrrev_i32 v3, 31, v12
	s_mov_b32 s35, s1
	v_mov_b32_e32 v6, 0
	s_lshl_b64 s[40:41], s[34:35], 3
	s_mov_b64 s[36:37], 0xffffffff
	v_mul_u64_e32 v[10:11], s[6:7], v[2:3]
	v_mov_b64_e32 v[2:3], 0
	s_add_nc_u64 s[38:39], s[10:11], s[40:41]
	s_add_nc_u64 s[40:41], s[12:13], s[40:41]
	s_mov_b32 s35, s8
	s_branch .LBB50_42
.LBB50_41:                              ;   in Loop: Header=BB50_42 Depth=1
	s_or_b32 exec_lo, exec_lo, s0
	s_delay_alu instid0(VALU_DEP_1)
	v_mul_u64_e32 v[22:23], s[42:43], v[18:19]
	s_load_b64 s[42:43], s[40:41], 0x0
	s_add_co_i32 s35, s35, -1
	s_add_nc_u64 s[38:39], s[38:39], -8
	s_cmp_lg_u32 s35, 0
	s_wait_xcnt 0x0
	s_add_nc_u64 s[40:41], s[40:41], -8
	s_delay_alu instid0(VALU_DEP_1) | instskip(SKIP_1) | instid1(VALU_DEP_1)
	v_sub_nc_u64_e32 v[10:11], v[10:11], v[22:23]
	s_wait_kmcnt 0x0
	v_mad_nc_u64_u32 v[2:3], v10, s42, v[2:3]
	s_delay_alu instid0(VALU_DEP_1) | instskip(NEXT) | instid1(VALU_DEP_1)
	v_mad_u32 v1, v11, s42, v3
	v_mad_u32 v3, v10, s43, v1
	v_mov_b64_e32 v[10:11], v[18:19]
	s_cbranch_scc0 .LBB50_46
.LBB50_42:                              ; =>This Inner Loop Header: Depth=1
	s_load_b64 s[42:43], s[38:39], 0x0
                                        ; implicit-def: $vgpr18_vgpr19
	s_mov_b32 s0, exec_lo
	s_wait_kmcnt 0x0
	s_delay_alu instid0(VALU_DEP_1) | instskip(NEXT) | instid1(VALU_DEP_1)
	v_or_b32_e32 v7, s43, v11
	v_cmpx_ne_u64_e32 0, v[6:7]
	s_xor_b32 s63, exec_lo, s0
	s_cbranch_execz .LBB50_44
; %bb.43:                               ;   in Loop: Header=BB50_42 Depth=1
	s_ashr_i32 s44, s43, 31
	v_dual_mov_b32 v25, v6 :: v_dual_ashrrev_i32 v18, 31, v11
	s_mov_b32 s45, s44
	v_mov_b32_e32 v29, v6
	s_add_nc_u64 s[46:47], s[42:43], s[44:45]
	s_delay_alu instid0(VALU_DEP_2)
	v_mov_b32_e32 v19, v18
	s_xor_b64 s[46:47], s[46:47], s[44:45]
	v_mov_b32_e32 v33, v6
	s_cvt_f32_u32 s0, s46
	s_cvt_f32_u32 s45, s47
	s_sub_nc_u64 s[66:67], 0, s[46:47]
	v_add_nc_u64_e32 v[22:23], v[10:11], v[18:19]
	s_delay_alu instid0(SALU_CYCLE_1) | instskip(NEXT) | instid1(SALU_CYCLE_3)
	s_fmamk_f32 s0, s45, 0x4f800000, s0
	v_s_rcp_f32 s0, s0
	s_delay_alu instid0(VALU_DEP_1) | instskip(NEXT) | instid1(VALU_DEP_2)
	v_xor_b32_e32 v28, v23, v18
	v_xor_b32_e32 v24, v22, v18
	s_delay_alu instid0(TRANS32_DEP_1) | instskip(NEXT) | instid1(SALU_CYCLE_3)
	s_mul_f32 s0, s0, 0x5f7ffffc
	s_mul_f32 s45, s0, 0x2f800000
	s_delay_alu instid0(SALU_CYCLE_3) | instskip(NEXT) | instid1(SALU_CYCLE_3)
	s_trunc_f32 s45, s45
	s_fmamk_f32 s0, s45, 0xcf800000, s0
	s_cvt_u32_f32 s65, s45
	s_delay_alu instid0(SALU_CYCLE_2) | instskip(NEXT) | instid1(SALU_CYCLE_3)
	s_cvt_u32_f32 s64, s0
	s_mul_u64 s[68:69], s[66:67], s[64:65]
	s_delay_alu instid0(SALU_CYCLE_1)
	s_mul_hi_u32 s71, s64, s69
	s_mul_i32 s70, s64, s69
	s_mul_hi_u32 s0, s64, s68
	s_mul_i32 s72, s65, s68
	s_add_nc_u64 s[70:71], s[0:1], s[70:71]
	s_mul_hi_u32 s45, s65, s68
	s_mul_hi_u32 s73, s65, s69
	s_add_co_u32 s0, s70, s72
	s_add_co_ci_u32 s0, s71, s45
	s_mul_i32 s68, s65, s69
	s_add_co_ci_u32 s69, s73, 0
	s_delay_alu instid0(SALU_CYCLE_1) | instskip(NEXT) | instid1(SALU_CYCLE_1)
	s_add_nc_u64 s[68:69], s[0:1], s[68:69]
	s_add_co_u32 s64, s64, s68
	s_cselect_b32 s0, -1, 0
	s_delay_alu instid0(SALU_CYCLE_1) | instskip(SKIP_1) | instid1(SALU_CYCLE_1)
	s_cmp_lg_u32 s0, 0
	s_add_co_ci_u32 s65, s65, s69
	s_mul_u64 s[66:67], s[66:67], s[64:65]
	s_delay_alu instid0(SALU_CYCLE_1)
	s_mul_hi_u32 s69, s64, s67
	s_mul_i32 s68, s64, s67
	s_mul_hi_u32 s0, s64, s66
	s_mul_i32 s70, s65, s66
	s_add_nc_u64 s[68:69], s[0:1], s[68:69]
	s_mul_hi_u32 s45, s65, s66
	s_mul_hi_u32 s71, s65, s67
	s_add_co_u32 s0, s68, s70
	s_add_co_ci_u32 s0, s69, s45
	s_mul_i32 s66, s65, s67
	s_add_co_ci_u32 s67, s71, 0
	s_delay_alu instid0(SALU_CYCLE_1) | instskip(NEXT) | instid1(SALU_CYCLE_1)
	s_add_nc_u64 s[66:67], s[0:1], s[66:67]
	s_add_co_u32 s64, s64, s66
	s_cselect_b32 s0, -1, 0
	v_mul_hi_u32 v32, v24, s64
	s_cmp_lg_u32 s0, 0
	s_add_co_ci_u32 s0, s65, s67
	s_and_b64 s[66:67], s[64:65], s[36:37]
	v_mul_u64_e32 v[26:27], s[0:1], v[24:25]
	v_mul_u64_e32 v[22:23], s[66:67], v[28:29]
	;; [unrolled: 1-line block ×3, first 2 shown]
	s_delay_alu instid0(VALU_DEP_3) | instskip(NEXT) | instid1(VALU_DEP_1)
	v_add_nc_u64_e32 v[26:27], v[32:33], v[26:27]
	v_add_co_u32 v1, vcc_lo, v26, v22
	s_delay_alu instid0(VALU_DEP_2) | instskip(NEXT) | instid1(VALU_DEP_4)
	v_add_co_ci_u32_e32 v32, vcc_lo, v27, v23, vcc_lo
	v_add_co_ci_u32_e32 v31, vcc_lo, 0, v31, vcc_lo
	s_delay_alu instid0(VALU_DEP_1) | instskip(NEXT) | instid1(VALU_DEP_1)
	v_add_nc_u64_e32 v[22:23], v[32:33], v[30:31]
	v_mul_u64_e32 v[26:27], s[46:47], v[22:23]
	s_delay_alu instid0(VALU_DEP_1) | instskip(NEXT) | instid1(VALU_DEP_2)
	v_sub_nc_u32_e32 v1, v28, v27
	v_sub_co_u32 v7, vcc_lo, v24, v26
	s_delay_alu instid0(VALU_DEP_1) | instskip(NEXT) | instid1(VALU_DEP_3)
	v_sub_co_ci_u32_e64 v15, null, v28, v27, vcc_lo
	v_subrev_co_ci_u32_e64 v1, null, s47, v1, vcc_lo
	s_delay_alu instid0(VALU_DEP_3) | instskip(SKIP_1) | instid1(VALU_DEP_3)
	v_sub_co_u32 v12, s0, v7, s46
	v_add_nc_u64_e32 v[24:25], 2, v[22:23]
	v_subrev_co_ci_u32_e64 v1, null, 0, v1, s0
	s_delay_alu instid0(VALU_DEP_3) | instskip(SKIP_2) | instid1(VALU_DEP_4)
	v_cmp_le_u32_e32 vcc_lo, s46, v12
	v_add_nc_u64_e32 v[26:27], 1, v[22:23]
	v_cndmask_b32_e64 v12, 0, -1, vcc_lo
	v_cmp_le_u32_e32 vcc_lo, s47, v1
	v_cndmask_b32_e64 v16, 0, -1, vcc_lo
	v_cmp_le_u32_e32 vcc_lo, s46, v7
	;; [unrolled: 2-line block ×3, first 2 shown]
	v_cndmask_b32_e64 v19, 0, -1, vcc_lo
	v_cmp_eq_u32_e32 vcc_lo, s47, v1
	v_cndmask_b32_e32 v1, v16, v12, vcc_lo
	v_cmp_eq_u32_e32 vcc_lo, s47, v15
	s_delay_alu instid0(VALU_DEP_4) | instskip(NEXT) | instid1(VALU_DEP_3)
	v_cndmask_b32_e32 v7, v19, v7, vcc_lo
	v_cmp_ne_u32_e32 vcc_lo, 0, v1
	s_delay_alu instid0(VALU_DEP_2) | instskip(SKIP_1) | instid1(VALU_DEP_1)
	v_cmp_ne_u32_e64 s0, 0, v7
	v_dual_cndmask_b32 v1, v27, v25, vcc_lo :: v_dual_cndmask_b32 v7, v26, v24, vcc_lo
	v_dual_cndmask_b32 v1, v23, v1, s0 :: v_dual_bitop2_b32 v18, s44, v18 bitop3:0x14
	s_delay_alu instid0(VALU_DEP_1) | instskip(NEXT) | instid1(VALU_DEP_1)
	v_dual_cndmask_b32 v7, v22, v7, s0 :: v_dual_bitop2_b32 v23, v1, v18 bitop3:0x14
	v_dual_mov_b32 v19, v18 :: v_dual_bitop2_b32 v22, v7, v18 bitop3:0x14
	s_delay_alu instid0(VALU_DEP_1)
	v_sub_nc_u64_e32 v[18:19], v[22:23], v[18:19]
.LBB50_44:                              ;   in Loop: Header=BB50_42 Depth=1
	s_and_not1_saveexec_b32 s0, s63
	s_cbranch_execz .LBB50_41
; %bb.45:                               ;   in Loop: Header=BB50_42 Depth=1
	v_cvt_f32_u32_e32 v1, s42
	s_sub_co_i32 s44, 0, s42
	v_mov_b32_e32 v19, v6
	s_delay_alu instid0(VALU_DEP_2) | instskip(SKIP_1) | instid1(TRANS32_DEP_1)
	v_rcp_iflag_f32_e32 v1, v1
	v_nop
	v_mul_f32_e32 v1, 0x4f7ffffe, v1
	s_delay_alu instid0(VALU_DEP_1) | instskip(NEXT) | instid1(VALU_DEP_1)
	v_cvt_u32_f32_e32 v1, v1
	v_mul_lo_u32 v7, s44, v1
	s_delay_alu instid0(VALU_DEP_1) | instskip(NEXT) | instid1(VALU_DEP_1)
	v_mul_hi_u32 v7, v1, v7
	v_add_nc_u32_e32 v1, v1, v7
	s_delay_alu instid0(VALU_DEP_1) | instskip(NEXT) | instid1(VALU_DEP_1)
	v_mul_hi_u32 v1, v10, v1
	v_mul_lo_u32 v7, v1, s42
	s_delay_alu instid0(VALU_DEP_1) | instskip(NEXT) | instid1(VALU_DEP_1)
	v_sub_nc_u32_e32 v7, v10, v7
	v_subrev_nc_u32_e32 v15, s42, v7
	v_cmp_le_u32_e32 vcc_lo, s42, v7
	s_delay_alu instid0(VALU_DEP_2) | instskip(NEXT) | instid1(VALU_DEP_1)
	v_dual_cndmask_b32 v7, v7, v15 :: v_dual_add_nc_u32 v12, 1, v1
	v_cndmask_b32_e32 v1, v1, v12, vcc_lo
	s_delay_alu instid0(VALU_DEP_2) | instskip(NEXT) | instid1(VALU_DEP_2)
	v_cmp_le_u32_e32 vcc_lo, s42, v7
	v_add_nc_u32_e32 v12, 1, v1
	s_delay_alu instid0(VALU_DEP_1)
	v_cndmask_b32_e32 v18, v1, v12, vcc_lo
	s_branch .LBB50_41
.LBB50_46:
	s_mov_b32 s38, -1
	s_mov_b32 s0, 0
	s_mov_b32 s35, 0
	s_mov_b32 s1, exec_lo
	v_cmpx_gt_i32_e64 v4, v8
	s_cbranch_execz .LBB50_52
; %bb.47:
	s_delay_alu instid0(VALU_DEP_2) | instskip(SKIP_3) | instid1(VALU_DEP_2)
	v_lshlrev_b64_e32 v[2:3], 2, v[2:3]
	v_dual_mov_b32 v6, v8 :: v_dual_ashrrev_i32 v7, 31, v8
	v_dual_mov_b32 v18, v4 :: v_dual_ashrrev_i32 v19, 31, v4
	s_xor_b32 s37, s49, -1
                                        ; implicit-def: $sgpr36
                                        ; implicit-def: $sgpr39
                                        ; implicit-def: $sgpr38
	v_lshl_add_u64 v[6:7], v[6:7], 2, v[2:3]
	s_wait_loadcnt 0x0
	v_add_nc_u64_e32 v[10:11], s[14:15], v[2:3]
	s_delay_alu instid0(VALU_DEP_2) | instskip(NEXT) | instid1(VALU_DEP_1)
	v_add_nc_u64_e32 v[6:7], s[14:15], v[6:7]
	v_add_nc_u64_e32 v[2:3], 4, v[6:7]
	s_delay_alu instid0(VALU_DEP_3)
	v_lshl_add_u64 v[6:7], v[18:19], 2, v[10:11]
	s_branch .LBB50_49
.LBB50_48:                              ;   in Loop: Header=BB50_49 Depth=1
	s_or_b32 exec_lo, exec_lo, s40
	s_delay_alu instid0(SALU_CYCLE_1) | instskip(NEXT) | instid1(SALU_CYCLE_1)
	s_and_b32 s40, exec_lo, s39
	s_or_b32 s35, s40, s35
	s_and_not1_b32 s36, s36, exec_lo
	s_and_b32 s40, s38, exec_lo
	s_delay_alu instid0(SALU_CYCLE_1)
	s_or_b32 s36, s36, s40
	s_and_not1_b32 exec_lo, exec_lo, s35
	s_cbranch_execz .LBB50_51
.LBB50_49:                              ; =>This Inner Loop Header: Depth=1
	s_or_b32 s38, s38, exec_lo
	s_or_b32 s39, s39, exec_lo
	s_mov_b32 s40, exec_lo
	s_delay_alu instid0(VALU_DEP_2)
	v_cmpx_lt_u64_e64 v[2:3], v[6:7]
	s_cbranch_execz .LBB50_48
; %bb.50:                               ;   in Loop: Header=BB50_49 Depth=1
	global_load_b64 v[10:11], v[2:3], off offset:-4
	s_and_not1_b32 s39, s39, exec_lo
	s_wait_xcnt 0x0
	v_add_nc_u64_e32 v[2:3], 4, v[2:3]
	s_and_not1_b32 s38, s38, exec_lo
	s_wait_loadcnt 0x0
	v_cmp_ge_i32_e32 vcc_lo, v10, v11
	s_or_b32 s41, s37, vcc_lo
	s_delay_alu instid0(SALU_CYCLE_1) | instskip(NEXT) | instid1(SALU_CYCLE_1)
	s_and_b32 s41, s41, exec_lo
	s_or_b32 s39, s39, s41
	s_branch .LBB50_48
.LBB50_51:
	s_or_b32 exec_lo, exec_lo, s35
	s_delay_alu instid0(SALU_CYCLE_1)
	s_mov_b32 s35, exec_lo
	s_or_not1_b32 s38, s36, exec_lo
.LBB50_52:
	s_or_b32 exec_lo, exec_lo, s1
	s_mov_b32 s36, 0
	s_mov_b32 s37, 0
	s_and_saveexec_b32 s1, s38
	s_cbranch_execz .LBB50_56
; %bb.53:
	s_mov_b32 s0, 0
	s_mov_b32 s37, -1
	s_mov_b32 s38, exec_lo
	v_cmpx_eq_u32_e64 s33, v20
	s_xor_b32 s38, exec_lo, s38
; %bb.54:
	v_cmp_ne_u32_e32 vcc_lo, v17, v14
	s_mov_b32 s36, exec_lo
	s_xor_b32 s37, exec_lo, -1
	s_and_b32 s0, vcc_lo, exec_lo
; %bb.55:
	s_or_b32 exec_lo, exec_lo, s38
	s_delay_alu instid0(SALU_CYCLE_1)
	s_and_b32 s37, s37, exec_lo
	s_and_not1_b32 s35, s35, exec_lo
	s_and_b32 s36, s36, exec_lo
	s_and_b32 s0, s0, exec_lo
.LBB50_56:
	s_or_b32 exec_lo, exec_lo, s1
	s_delay_alu instid0(SALU_CYCLE_1)
	s_and_b32 s38, s37, exec_lo
	s_and_b32 s37, s35, exec_lo
	s_xor_b32 s35, exec_lo, -1
	s_and_b32 s36, s36, exec_lo
	s_and_b32 s1, s0, exec_lo
.LBB50_57:
	s_or_b32 exec_lo, exec_lo, s62
	s_delay_alu instid0(SALU_CYCLE_1)
	s_and_b32 s39, s38, exec_lo
	s_and_b32 s37, s37, exec_lo
	;; [unrolled: 1-line block ×4, first 2 shown]
	s_or_not1_b32 s0, s1, exec_lo
.LBB50_58:
	s_or_b32 exec_lo, exec_lo, s61
	s_delay_alu instid0(SALU_CYCLE_1)
	s_or_not1_b32 s1, s39, exec_lo
	s_and_b32 s37, s37, exec_lo
	s_and_b32 s36, s38, exec_lo
	s_and_b32 s35, s35, exec_lo
	s_and_b32 s0, s0, exec_lo
.LBB50_59:
	s_or_b32 exec_lo, exec_lo, s60
	s_delay_alu instid0(SALU_CYCLE_1)
	s_and_not1_b32 s38, s58, exec_lo
	s_and_b32 s39, s37, exec_lo
	s_and_b32 s37, s1, exec_lo
	s_or_b32 s58, s38, s39
	s_and_b32 s36, s36, exec_lo
	s_and_b32 s1, s35, exec_lo
	;; [unrolled: 1-line block ×3, first 2 shown]
.LBB50_60:
	s_or_b32 exec_lo, exec_lo, s59
	s_delay_alu instid0(SALU_CYCLE_1)
	s_and_b32 s38, s37, exec_lo
	s_and_b32 s37, s58, exec_lo
	s_or_not1_b32 s35, s36, exec_lo
	s_and_b32 s36, s1, exec_lo
	s_and_b32 s1, s0, exec_lo
.LBB50_61:
	s_or_b32 exec_lo, exec_lo, s57
	s_delay_alu instid0(SALU_CYCLE_1)
	s_and_b32 s39, s38, exec_lo
	s_and_b32 s37, s37, exec_lo
	;; [unrolled: 1-line block ×4, first 2 shown]
	s_or_not1_b32 s0, s1, exec_lo
.LBB50_62:
	s_or_b32 exec_lo, exec_lo, s56
	s_delay_alu instid0(SALU_CYCLE_1)
	s_or_not1_b32 s1, s39, exec_lo
	s_and_b32 s37, s37, exec_lo
	s_and_b32 s36, s38, exec_lo
	s_and_b32 s35, s35, exec_lo
	s_and_b32 s0, s0, exec_lo
.LBB50_63:
	s_or_b32 exec_lo, exec_lo, s55
	s_delay_alu instid0(SALU_CYCLE_1)
	s_and_not1_b32 s38, s53, exec_lo
	s_and_b32 s37, s37, exec_lo
	s_and_b32 s1, s1, exec_lo
	s_or_b32 s53, s38, s37
	s_and_b32 s37, s36, exec_lo
	s_and_b32 s36, s35, exec_lo
	;; [unrolled: 1-line block ×3, first 2 shown]
.LBB50_64:
	s_or_b32 exec_lo, exec_lo, s54
	s_delay_alu instid0(SALU_CYCLE_1)
	s_and_b32 s1, s1, exec_lo
	s_and_b32 s40, s53, exec_lo
	s_or_not1_b32 s35, s37, exec_lo
	s_and_b32 s39, s36, exec_lo
	s_and_b32 s38, s0, exec_lo
.LBB50_65:
	s_or_b32 exec_lo, exec_lo, s52
	s_delay_alu instid0(SALU_CYCLE_1)
	s_and_b32 s1, s1, exec_lo
	s_and_b32 s52, s40, exec_lo
	;; [unrolled: 1-line block ×4, first 2 shown]
	s_or_not1_b32 s38, s38, exec_lo
	s_mov_b32 s53, s8
.LBB50_66:
	s_or_b32 exec_lo, exec_lo, s51
	s_and_saveexec_b32 s36, s38
	s_cbranch_execnz .LBB50_212
.LBB50_67:
	s_or_b32 exec_lo, exec_lo, s36
	s_mov_b32 s36, 0
	s_and_saveexec_b32 s37, s0
	s_delay_alu instid0(SALU_CYCLE_1)
	s_xor_b32 s37, exec_lo, s37
	s_cbranch_execz .LBB50_106
; %bb.68:
	v_sub_nc_u32_e32 v1, v5, v9
	s_and_not1_b32 s35, s35, exec_lo
	s_mov_b32 s36, exec_lo
	s_delay_alu instid0(VALU_DEP_1) | instskip(SKIP_2) | instid1(SALU_CYCLE_1)
	v_cmp_gt_i32_e32 vcc_lo, s33, v1
	v_cmp_lt_i32_e64 s0, s4, v1
	s_or_b32 s0, vcc_lo, s0
	s_and_b32 s0, s0, exec_lo
	s_delay_alu instid0(SALU_CYCLE_1)
	s_or_b32 s35, s35, s0
	s_or_b32 exec_lo, exec_lo, s37
	s_and_saveexec_b32 s0, s35
	s_cbranch_execz .LBB50_107
.LBB50_69:
	s_or_b32 s3, s3, exec_lo
	s_and_not1_b32 s36, s36, exec_lo
	s_trap 2
	s_or_b32 exec_lo, exec_lo, s0
	s_mov_b32 s0, 0
	s_and_saveexec_b32 s51, s36
	s_cbranch_execnz .LBB50_108
.LBB50_70:
	s_or_b32 exec_lo, exec_lo, s51
	s_and_saveexec_b32 s34, s52
	s_cbranch_execnz .LBB50_175
.LBB50_71:
	s_or_b32 exec_lo, exec_lo, s34
	s_and_saveexec_b32 s34, s0
	s_delay_alu instid0(SALU_CYCLE_1)
	s_xor_b32 s0, exec_lo, s34
	s_cbranch_execz .LBB50_73
.LBB50_72:
	v_mov_b32_e32 v2, 0
	s_add_nc_u64 s[30:31], s[16:17], s[30:31]
	s_delay_alu instid0(VALU_DEP_1)
	v_dual_mov_b32 v3, v2 :: v_dual_mov_b32 v4, v2
	v_mov_b32_e32 v5, v2
	global_store_b128 v0, v[2:5], s[30:31] scale_offset
.LBB50_73:
	s_wait_xcnt 0x0
	s_or_b32 exec_lo, exec_lo, s0
	s_delay_alu instid0(SALU_CYCLE_1)
	s_and_b32 s3, s3, exec_lo
	s_or_not1_b32 s0, s1, exec_lo
.LBB50_74:
	s_or_b32 exec_lo, exec_lo, s48
.LBB50_75:
	s_and_saveexec_b32 s1, s0
	s_delay_alu instid0(SALU_CYCLE_1)
	s_xor_b32 s0, exec_lo, s1
	s_cbranch_execnz .LBB50_210
.LBB50_76:
	s_or_b32 exec_lo, exec_lo, s0
	s_mov_b32 s0, 0
.LBB50_77:
	s_delay_alu instid0(SALU_CYCLE_1)
	s_and_b32 vcc_lo, exec_lo, s0
	s_cbranch_vccz .LBB50_97
; %bb.78:
	v_mov_b64_e32 v[6:7], 0
	v_cmp_gt_i32_e64 s0, s5, v0
	v_dual_mov_b32 v3, 0 :: v_dual_mov_b32 v1, 0
	v_or_b32_e32 v15, 0x100, v0
	v_dual_mov_b32 v2, 0 :: v_dual_mov_b32 v4, 0
	s_wait_loadcnt 0x0
	v_dual_mov_b32 v11, 0 :: v_dual_mov_b32 v9, 0
	v_dual_mov_b32 v10, 0 :: v_dual_mov_b32 v8, 0
	;; [unrolled: 1-line block ×7, first 2 shown]
	v_mov_b32_e32 v24, 0
	s_and_saveexec_b32 s1, s0
	s_cbranch_execz .LBB50_86
; %bb.79:
	v_dual_mov_b32 v18, 0 :: v_dual_bitop2_b32 v1, s2, v0 bitop3:0x54
	v_mov_b64_e32 v[6:7], 0
	v_dual_mov_b32 v14, 0 :: v_dual_mov_b32 v16, 0
	s_clause 0x4
	global_load_b32 v23, v1, s[18:19] scale_offset
	global_load_b32 v21, v1, s[20:21] scale_offset
	global_load_b32 v22, v1, s[22:23] scale_offset
	global_load_b32 v20, v1, s[24:25] scale_offset
	global_load_b32 v24, v1, s[26:27] scale_offset
	v_dual_mov_b32 v17, 0 :: v_dual_mov_b32 v19, 0
	v_dual_mov_b32 v13, 0 :: v_dual_mov_b32 v8, 0
	;; [unrolled: 1-line block ×4, first 2 shown]
	s_wait_xcnt 0x0
	v_dual_mov_b32 v2, 0 :: v_dual_mov_b32 v1, 0
	v_mov_b32_e32 v3, 0
	s_mov_b32 s9, exec_lo
	v_cmpx_gt_u32_e64 s5, v15
	s_cbranch_execz .LBB50_85
; %bb.80:
	v_dual_mov_b32 v13, 0 :: v_dual_add_nc_u32 v12, s2, v0
	v_or_b32_e32 v1, 0x200, v0
	v_mov_b64_e32 v[6:7], 0
	v_dual_mov_b32 v8, 0 :: v_dual_mov_b32 v10, 0
	s_clause 0x4
	global_load_b32 v19, v12, s[18:19] offset:1024 scale_offset
	global_load_b32 v17, v12, s[20:21] offset:1024 scale_offset
	;; [unrolled: 1-line block ×5, first 2 shown]
	v_cmp_gt_u32_e32 vcc_lo, s5, v1
	v_dual_mov_b32 v9, 0 :: v_dual_mov_b32 v11, 0
	v_dual_mov_b32 v4, 0 :: v_dual_mov_b32 v2, 0
	;; [unrolled: 1-line block ×3, first 2 shown]
	s_wait_xcnt 0x0
	s_and_saveexec_b32 s30, vcc_lo
	s_cbranch_execz .LBB50_84
; %bb.81:
	v_lshlrev_b64_e32 v[2:3], 2, v[12:13]
	v_or_b32_e32 v1, 0x300, v0
	v_mov_b64_e32 v[6:7], 0
	s_delay_alu instid0(VALU_DEP_2) | instskip(NEXT) | instid1(VALU_DEP_4)
	v_cmp_gt_u32_e32 vcc_lo, s5, v1
	v_add_nc_u64_e32 v[4:5], s[18:19], v[2:3]
	v_add_nc_u64_e32 v[26:27], s[20:21], v[2:3]
	;; [unrolled: 1-line block ×5, first 2 shown]
	v_dual_mov_b32 v2, 0 :: v_dual_mov_b32 v1, 0
	global_load_b32 v11, v[4:5], off offset:2048
	global_load_b32 v9, v[26:27], off offset:2048
	;; [unrolled: 1-line block ×5, first 2 shown]
	v_mov_b32_e32 v3, 0
	s_wait_xcnt 0x0
	s_and_saveexec_b32 s18, vcc_lo
	s_cbranch_execz .LBB50_83
; %bb.82:
	global_load_b32 v6, v[28:29], off offset:3072
	global_load_b32 v3, v[4:5], off offset:3072
	;; [unrolled: 1-line block ×5, first 2 shown]
	s_wait_loadcnt 0x4
	v_ashrrev_i32_e32 v7, 31, v6
.LBB50_83:
	s_wait_xcnt 0x0
	s_or_b32 exec_lo, exec_lo, s18
	s_wait_loadcnt 0x0
	v_dual_mov_b32 v4, v13 :: v_dual_mov_b32 v13, v12
.LBB50_84:
	s_or_b32 exec_lo, exec_lo, s30
.LBB50_85:
	s_delay_alu instid0(SALU_CYCLE_1)
	s_or_b32 exec_lo, exec_lo, s9
.LBB50_86:
	s_delay_alu instid0(SALU_CYCLE_1)
	s_or_b32 exec_lo, exec_lo, s1
	s_get_pc_i64 s[18:19]
	s_add_nc_u64 s[18:19], s[18:19], .str.2@rel64+4
	s_cmp_lg_u64 s[28:29], 0
	s_get_pc_i64 s[20:21]
	s_add_nc_u64 s[20:21], s[20:21], .str.3@rel64+4
	s_cselect_b32 s42, -1, 0
	s_cmp_lg_u64 s[18:19], 0
	v_cmp_gt_i64_e64 s9, s[6:7], 0
	s_cselect_b32 s39, -1, 0
	s_cmp_lg_u64 s[20:21], 0
	s_get_pc_i64 s[20:21]
	s_add_nc_u64 s[20:21], s[20:21], .str.4@rel64+4
	s_cselect_b32 s38, -1, 0
	s_add_co_i32 s18, s8, -1
	s_mov_b32 s1, -1
	s_cmp_gt_i32 s18, -1
	s_mov_b32 s48, 0
	s_cselect_b32 s19, -1, 0
	s_mov_b32 s46, 0
	s_and_b32 s37, s9, s19
	s_cmp_lg_u64 s[20:21], 0
	s_mov_b32 s44, 0
	s_cselect_b32 s36, -1, 0
	s_mov_b32 s43, 0
	s_mov_b32 s41, 0
	s_and_saveexec_b32 s9, s0
	s_cbranch_execz .LBB50_130
; %bb.87:
	s_wait_loadcnt 0x4
	v_cmp_eq_u32_e32 vcc_lo, s33, v23
	s_mov_b32 s19, -1
	s_mov_b32 s1, 0
	s_mov_b32 s20, 0
	s_mov_b32 s21, 0
	s_and_b32 s23, s42, vcc_lo
	s_mov_b32 s22, 0
	s_and_saveexec_b32 s40, s23
	s_cbranch_execz .LBB50_129
; %bb.88:
	s_wait_loadcnt 0x3
	v_cmp_eq_u32_e32 vcc_lo, s6, v21
	s_and_b32 s22, s39, vcc_lo
	s_delay_alu instid0(SALU_CYCLE_1)
	s_and_saveexec_b32 s41, s22
	s_cbranch_execz .LBB50_128
; %bb.89:
	s_wait_loadcnt 0x1
	v_sub_nc_u32_e32 v5, v20, v22
	s_delay_alu instid0(VALU_DEP_1)
	v_cmp_le_i32_e32 vcc_lo, s33, v5
	v_cmp_ge_i32_e64 s1, s4, v5
	s_and_b32 s20, vcc_lo, s1
	s_mov_b32 s1, 0
	s_and_b32 s21, s38, s20
	s_mov_b32 s20, 0
	s_and_saveexec_b32 s43, s21
	s_cbranch_execz .LBB50_127
; %bb.90:
	v_mov_b64_e32 v[26:27], 0
	s_and_not1_b32 vcc_lo, exec_lo, s37
	s_cbranch_vccnz .LBB50_115
; %bb.91:
	s_wait_loadcnt 0x0
	v_ashrrev_i32_e32 v25, 31, v24
	s_mov_b32 s21, 0
	v_mov_b64_e32 v[26:27], 0
	s_mov_b32 s19, s21
	s_mov_b64 s[22:23], 0xffffffff
	v_mul_u64_e32 v[28:29], s[6:7], v[24:25]
	v_mov_b32_e32 v24, 0
	s_lshl_b64 s[26:27], s[18:19], 3
	s_mov_b32 s19, s8
	s_add_nc_u64 s[24:25], s[10:11], s[26:27]
	s_add_nc_u64 s[26:27], s[12:13], s[26:27]
	s_branch .LBB50_93
.LBB50_92:                              ;   in Loop: Header=BB50_93 Depth=1
	s_or_b32 exec_lo, exec_lo, s1
	s_delay_alu instid0(VALU_DEP_1)
	v_mul_u64_e32 v[32:33], s[28:29], v[30:31]
	s_load_b64 s[28:29], s[26:27], 0x0
	s_add_co_i32 s19, s19, -1
	s_add_nc_u64 s[24:25], s[24:25], -8
	s_cmp_eq_u32 s19, 0
	s_wait_xcnt 0x0
	s_add_nc_u64 s[26:27], s[26:27], -8
	s_delay_alu instid0(VALU_DEP_1) | instskip(SKIP_1) | instid1(VALU_DEP_1)
	v_sub_nc_u64_e32 v[28:29], v[28:29], v[32:33]
	s_wait_kmcnt 0x0
	v_mad_nc_u64_u32 v[26:27], v28, s28, v[26:27]
	s_delay_alu instid0(VALU_DEP_1) | instskip(NEXT) | instid1(VALU_DEP_1)
	v_mad_u32 v5, v29, s28, v27
	v_mad_u32 v27, v28, s29, v5
	v_mov_b64_e32 v[28:29], v[30:31]
	s_cbranch_scc1 .LBB50_115
.LBB50_93:                              ; =>This Inner Loop Header: Depth=1
	s_load_b64 s[28:29], s[24:25], 0x0
                                        ; implicit-def: $vgpr30_vgpr31
	s_mov_b32 s1, exec_lo
	s_wait_kmcnt 0x0
	s_delay_alu instid0(VALU_DEP_1) | instskip(NEXT) | instid1(VALU_DEP_1)
	v_or_b32_e32 v25, s29, v29
	v_cmpx_ne_u64_e32 0, v[24:25]
	s_xor_b32 s44, exec_lo, s1
	s_cbranch_execz .LBB50_95
; %bb.94:                               ;   in Loop: Header=BB50_93 Depth=1
	s_ashr_i32 s30, s29, 31
	v_dual_mov_b32 v35, v24 :: v_dual_ashrrev_i32 v30, 31, v29
	s_mov_b32 s31, s30
	s_delay_alu instid0(SALU_CYCLE_1) | instskip(NEXT) | instid1(VALU_DEP_1)
	s_add_nc_u64 s[34:35], s[28:29], s[30:31]
	v_mov_b32_e32 v31, v30
	s_xor_b64 s[34:35], s[34:35], s[30:31]
	s_delay_alu instid0(SALU_CYCLE_1)
	s_cvt_f32_u32 s1, s34
	s_cvt_f32_u32 s20, s35
	s_sub_nc_u64 s[50:51], 0, s[34:35]
	v_add_nc_u64_e32 v[32:33], v[28:29], v[30:31]
	v_mov_b32_e32 v39, v24
	s_fmamk_f32 s1, s20, 0x4f800000, s1
	s_delay_alu instid0(SALU_CYCLE_3) | instskip(NEXT) | instid1(VALU_DEP_2)
	v_s_rcp_f32 s1, s1
	v_xor_b32_e32 v34, v32, v30
	s_delay_alu instid0(VALU_DEP_3) | instskip(NEXT) | instid1(TRANS32_DEP_1)
	v_dual_mov_b32 v43, v24 :: v_dual_bitop2_b32 v38, v33, v30 bitop3:0x14
	s_mul_f32 s1, s1, 0x5f7ffffc
	s_delay_alu instid0(SALU_CYCLE_3) | instskip(NEXT) | instid1(SALU_CYCLE_3)
	s_mul_f32 s20, s1, 0x2f800000
	s_trunc_f32 s20, s20
	s_delay_alu instid0(SALU_CYCLE_3) | instskip(SKIP_1) | instid1(SALU_CYCLE_2)
	s_fmamk_f32 s1, s20, 0xcf800000, s1
	s_cvt_u32_f32 s47, s20
	s_cvt_u32_f32 s46, s1
	s_delay_alu instid0(SALU_CYCLE_3) | instskip(NEXT) | instid1(SALU_CYCLE_1)
	s_mul_u64 s[52:53], s[50:51], s[46:47]
	s_mul_hi_u32 s55, s46, s53
	s_mul_i32 s54, s46, s53
	s_mul_hi_u32 s20, s46, s52
	s_mul_i32 s31, s47, s52
	s_add_nc_u64 s[54:55], s[20:21], s[54:55]
	s_mul_hi_u32 s1, s47, s52
	s_mul_hi_u32 s45, s47, s53
	s_add_co_u32 s20, s54, s31
	s_add_co_ci_u32 s20, s55, s1
	s_mul_i32 s52, s47, s53
	s_add_co_ci_u32 s53, s45, 0
	s_delay_alu instid0(SALU_CYCLE_1) | instskip(NEXT) | instid1(SALU_CYCLE_1)
	s_add_nc_u64 s[52:53], s[20:21], s[52:53]
	s_add_co_u32 s46, s46, s52
	s_cselect_b32 s1, -1, 0
	s_delay_alu instid0(SALU_CYCLE_1) | instskip(SKIP_1) | instid1(SALU_CYCLE_1)
	s_cmp_lg_u32 s1, 0
	s_add_co_ci_u32 s47, s47, s53
	s_mul_u64 s[50:51], s[50:51], s[46:47]
	s_delay_alu instid0(SALU_CYCLE_1)
	s_mul_hi_u32 s53, s46, s51
	s_mul_i32 s52, s46, s51
	s_mul_hi_u32 s20, s46, s50
	s_mul_i32 s31, s47, s50
	s_add_nc_u64 s[52:53], s[20:21], s[52:53]
	s_mul_hi_u32 s1, s47, s50
	s_mul_hi_u32 s45, s47, s51
	s_add_co_u32 s20, s52, s31
	s_add_co_ci_u32 s20, s53, s1
	s_mul_i32 s50, s47, s51
	s_add_co_ci_u32 s51, s45, 0
	s_delay_alu instid0(SALU_CYCLE_1) | instskip(NEXT) | instid1(SALU_CYCLE_1)
	s_add_nc_u64 s[50:51], s[20:21], s[50:51]
	s_add_co_u32 s46, s46, s50
	s_cselect_b32 s1, -1, 0
	v_mul_hi_u32 v42, v34, s46
	s_cmp_lg_u32 s1, 0
	s_add_co_ci_u32 s20, s47, s51
	s_and_b64 s[50:51], s[46:47], s[22:23]
	v_mul_u64_e32 v[36:37], s[20:21], v[34:35]
	v_mul_u64_e32 v[32:33], s[50:51], v[38:39]
	v_mul_u64_e32 v[40:41], s[20:21], v[38:39]
	s_delay_alu instid0(VALU_DEP_3) | instskip(NEXT) | instid1(VALU_DEP_1)
	v_add_nc_u64_e32 v[36:37], v[42:43], v[36:37]
	v_add_co_u32 v5, vcc_lo, v36, v32
	s_delay_alu instid0(VALU_DEP_2) | instskip(NEXT) | instid1(VALU_DEP_4)
	v_add_co_ci_u32_e32 v42, vcc_lo, v37, v33, vcc_lo
	v_add_co_ci_u32_e32 v41, vcc_lo, 0, v41, vcc_lo
	s_delay_alu instid0(VALU_DEP_1) | instskip(NEXT) | instid1(VALU_DEP_1)
	v_add_nc_u64_e32 v[32:33], v[42:43], v[40:41]
	v_mul_u64_e32 v[36:37], s[34:35], v[32:33]
	s_delay_alu instid0(VALU_DEP_1) | instskip(NEXT) | instid1(VALU_DEP_2)
	v_sub_nc_u32_e32 v5, v38, v37
	v_sub_co_u32 v12, vcc_lo, v34, v36
	s_delay_alu instid0(VALU_DEP_1) | instskip(NEXT) | instid1(VALU_DEP_3)
	v_sub_co_ci_u32_e64 v23, null, v38, v37, vcc_lo
	v_subrev_co_ci_u32_e64 v5, null, s35, v5, vcc_lo
	s_delay_alu instid0(VALU_DEP_3) | instskip(SKIP_1) | instid1(VALU_DEP_3)
	v_sub_co_u32 v21, s1, v12, s34
	v_add_nc_u64_e32 v[34:35], 2, v[32:33]
	v_subrev_co_ci_u32_e64 v5, null, 0, v5, s1
	s_delay_alu instid0(VALU_DEP_3) | instskip(SKIP_2) | instid1(VALU_DEP_4)
	v_cmp_le_u32_e32 vcc_lo, s34, v21
	v_add_nc_u64_e32 v[36:37], 1, v[32:33]
	v_cndmask_b32_e64 v21, 0, -1, vcc_lo
	v_cmp_le_u32_e32 vcc_lo, s35, v5
	v_cndmask_b32_e64 v25, 0, -1, vcc_lo
	v_cmp_le_u32_e32 vcc_lo, s34, v12
	;; [unrolled: 2-line block ×3, first 2 shown]
	v_cndmask_b32_e64 v31, 0, -1, vcc_lo
	v_cmp_eq_u32_e32 vcc_lo, s35, v5
	v_cndmask_b32_e32 v5, v25, v21, vcc_lo
	v_cmp_eq_u32_e32 vcc_lo, s35, v23
	s_delay_alu instid0(VALU_DEP_4) | instskip(NEXT) | instid1(VALU_DEP_3)
	v_cndmask_b32_e32 v12, v31, v12, vcc_lo
	v_cmp_ne_u32_e32 vcc_lo, 0, v5
	s_delay_alu instid0(VALU_DEP_2) | instskip(SKIP_1) | instid1(VALU_DEP_1)
	v_cmp_ne_u32_e64 s1, 0, v12
	v_dual_cndmask_b32 v5, v37, v35 :: v_dual_cndmask_b32 v12, v36, v34
	v_dual_cndmask_b32 v5, v33, v5, s1 :: v_dual_bitop2_b32 v30, s30, v30 bitop3:0x14
	s_delay_alu instid0(VALU_DEP_1) | instskip(NEXT) | instid1(VALU_DEP_2)
	v_dual_cndmask_b32 v12, v32, v12, s1 :: v_dual_mov_b32 v31, v30
	v_xor_b32_e32 v33, v5, v30
	s_delay_alu instid0(VALU_DEP_2) | instskip(NEXT) | instid1(VALU_DEP_1)
	v_xor_b32_e32 v32, v12, v30
	v_sub_nc_u64_e32 v[30:31], v[32:33], v[30:31]
.LBB50_95:                              ;   in Loop: Header=BB50_93 Depth=1
	s_and_not1_saveexec_b32 s1, s44
	s_cbranch_execz .LBB50_92
; %bb.96:                               ;   in Loop: Header=BB50_93 Depth=1
	v_cvt_f32_u32_e32 v5, s28
	s_sub_co_i32 s20, 0, s28
	v_mov_b32_e32 v31, v24
	s_delay_alu instid0(VALU_DEP_2) | instskip(SKIP_1) | instid1(TRANS32_DEP_1)
	v_rcp_iflag_f32_e32 v5, v5
	v_nop
	v_mul_f32_e32 v5, 0x4f7ffffe, v5
	s_delay_alu instid0(VALU_DEP_1) | instskip(NEXT) | instid1(VALU_DEP_1)
	v_cvt_u32_f32_e32 v5, v5
	v_mul_lo_u32 v12, s20, v5
	s_delay_alu instid0(VALU_DEP_1) | instskip(NEXT) | instid1(VALU_DEP_1)
	v_mul_hi_u32 v12, v5, v12
	v_add_nc_u32_e32 v5, v5, v12
	s_delay_alu instid0(VALU_DEP_1) | instskip(NEXT) | instid1(VALU_DEP_1)
	v_mul_hi_u32 v5, v28, v5
	v_mul_lo_u32 v12, v5, s28
	s_delay_alu instid0(VALU_DEP_1) | instskip(NEXT) | instid1(VALU_DEP_1)
	v_dual_add_nc_u32 v21, 1, v5 :: v_dual_sub_nc_u32 v12, v28, v12
	v_subrev_nc_u32_e32 v23, s28, v12
	v_cmp_le_u32_e32 vcc_lo, s28, v12
	s_delay_alu instid0(VALU_DEP_2) | instskip(NEXT) | instid1(VALU_DEP_1)
	v_dual_cndmask_b32 v12, v12, v23 :: v_dual_cndmask_b32 v5, v5, v21
	v_cmp_le_u32_e32 vcc_lo, s28, v12
	s_delay_alu instid0(VALU_DEP_2) | instskip(NEXT) | instid1(VALU_DEP_1)
	v_add_nc_u32_e32 v21, 1, v5
	v_cndmask_b32_e32 v30, v5, v21, vcc_lo
	s_branch .LBB50_92
.LBB50_97:
                                        ; implicit-def: $sgpr0
                                        ; implicit-def: $sgpr40
                                        ; implicit-def: $sgpr45
                                        ; implicit-def: $sgpr24
                                        ; implicit-def: $vgpr0
	s_and_saveexec_b32 s1, s3
.LBB50_98:
	; divergent unreachable
.LBB50_99:
	s_delay_alu instid0(SALU_CYCLE_1)
	s_or_b32 exec_lo, exec_lo, s1
	s_and_saveexec_b32 s1, s9
	s_cbranch_execz .LBB50_105
; %bb.100:
	s_and_b32 exec_lo, exec_lo, s0
	s_cbranch_execz .LBB50_105
; %bb.101:
	v_dual_mov_b32 v1, 0 :: v_dual_bitop2_b32 v2, s2, v0 bitop3:0x54
	global_store_b32 v2, v1, s[16:17] scale_offset
	s_wait_xcnt 0x0
	s_and_b32 exec_lo, exec_lo, s40
	s_cbranch_execz .LBB50_105
; %bb.102:
	v_add_nc_u32_e32 v0, s2, v0
	global_store_b32 v0, v1, s[16:17] offset:1024 scale_offset
	s_wait_xcnt 0x0
	s_and_b32 exec_lo, exec_lo, s45
	s_cbranch_execz .LBB50_105
; %bb.103:
	v_lshl_add_u64 v[0:1], v[0:1], 2, s[16:17]
	v_mov_b32_e32 v2, 0
	global_store_b32 v[0:1], v2, off offset:2048
	s_wait_xcnt 0x0
	s_and_b32 exec_lo, exec_lo, s24
	s_cbranch_execz .LBB50_105
; %bb.104:
	global_store_b32 v[0:1], v2, off offset:3072
.LBB50_105:
	s_endpgm
.LBB50_106:
	s_or_b32 exec_lo, exec_lo, s37
	s_and_saveexec_b32 s0, s35
	s_cbranch_execnz .LBB50_69
.LBB50_107:
	s_or_b32 exec_lo, exec_lo, s0
	s_mov_b32 s0, 0
	s_and_saveexec_b32 s51, s36
	s_cbranch_execz .LBB50_70
.LBB50_108:
	v_mov_b64_e32 v[2:3], 0
	s_and_not1_b32 vcc_lo, exec_lo, s50
	s_cbranch_vccnz .LBB50_120
; %bb.109:
	s_wait_loadcnt 0x0
	v_dual_mov_b32 v2, v13 :: v_dual_ashrrev_i32 v3, 31, v13
	s_mov_b32 s35, 0
	v_mov_b32_e32 v6, 0
	s_lshl_b64 s[40:41], s[34:35], 3
	s_mov_b64 s[36:37], 0xffffffff
	v_mul_u64_e32 v[10:11], s[6:7], v[2:3]
	v_mov_b64_e32 v[2:3], 0
	s_add_nc_u64 s[38:39], s[10:11], s[40:41]
	s_add_nc_u64 s[40:41], s[12:13], s[40:41]
	s_branch .LBB50_111
.LBB50_110:                             ;   in Loop: Header=BB50_111 Depth=1
	s_or_b32 exec_lo, exec_lo, s0
	s_delay_alu instid0(VALU_DEP_1)
	v_mul_u64_e32 v[14:15], s[42:43], v[12:13]
	s_load_b64 s[42:43], s[40:41], 0x0
	s_add_co_i32 s53, s53, -1
	s_add_nc_u64 s[38:39], s[38:39], -8
	s_cmp_lg_u32 s53, 0
	s_wait_xcnt 0x0
	s_add_nc_u64 s[40:41], s[40:41], -8
	s_delay_alu instid0(VALU_DEP_1) | instskip(SKIP_1) | instid1(VALU_DEP_1)
	v_sub_nc_u64_e32 v[10:11], v[10:11], v[14:15]
	s_wait_kmcnt 0x0
	v_mad_nc_u64_u32 v[2:3], v10, s42, v[2:3]
	s_delay_alu instid0(VALU_DEP_1) | instskip(NEXT) | instid1(VALU_DEP_1)
	v_mad_u32 v1, v11, s42, v3
	v_mad_u32 v3, v10, s43, v1
	v_mov_b64_e32 v[10:11], v[12:13]
	s_cbranch_scc0 .LBB50_120
.LBB50_111:                             ; =>This Inner Loop Header: Depth=1
	s_load_b64 s[42:43], s[38:39], 0x0
                                        ; implicit-def: $vgpr12_vgpr13
	s_mov_b32 s0, exec_lo
	s_wait_kmcnt 0x0
	s_delay_alu instid0(VALU_DEP_1) | instskip(NEXT) | instid1(VALU_DEP_1)
	v_or_b32_e32 v7, s43, v11
	v_cmpx_ne_u64_e32 0, v[6:7]
	s_xor_b32 s50, exec_lo, s0
	s_cbranch_execz .LBB50_113
; %bb.112:                              ;   in Loop: Header=BB50_111 Depth=1
	s_ashr_i32 s44, s43, 31
	v_dual_mov_b32 v17, v6 :: v_dual_ashrrev_i32 v12, 31, v11
	s_mov_b32 s45, s44
	s_delay_alu instid0(SALU_CYCLE_1) | instskip(NEXT) | instid1(VALU_DEP_1)
	s_add_nc_u64 s[46:47], s[42:43], s[44:45]
	v_mov_b32_e32 v13, v12
	s_xor_b64 s[46:47], s[46:47], s[44:45]
	s_delay_alu instid0(SALU_CYCLE_1)
	s_cvt_f32_u32 s0, s46
	s_cvt_f32_u32 s34, s47
	s_sub_nc_u64 s[56:57], 0, s[46:47]
	v_add_nc_u64_e32 v[14:15], v[10:11], v[12:13]
	v_mov_b32_e32 v21, v6
	s_fmamk_f32 s0, s34, 0x4f800000, s0
	s_delay_alu instid0(SALU_CYCLE_3) | instskip(NEXT) | instid1(VALU_DEP_2)
	v_s_rcp_f32 s0, s0
	v_xor_b32_e32 v16, v14, v12
	s_delay_alu instid0(VALU_DEP_3) | instskip(NEXT) | instid1(TRANS32_DEP_1)
	v_dual_mov_b32 v25, v6 :: v_dual_bitop2_b32 v20, v15, v12 bitop3:0x14
	s_mul_f32 s0, s0, 0x5f7ffffc
	s_delay_alu instid0(SALU_CYCLE_3) | instskip(NEXT) | instid1(SALU_CYCLE_3)
	s_mul_f32 s34, s0, 0x2f800000
	s_trunc_f32 s34, s34
	s_delay_alu instid0(SALU_CYCLE_3) | instskip(SKIP_1) | instid1(SALU_CYCLE_2)
	s_fmamk_f32 s0, s34, 0xcf800000, s0
	s_cvt_u32_f32 s55, s34
	s_cvt_u32_f32 s54, s0
	s_delay_alu instid0(SALU_CYCLE_3) | instskip(NEXT) | instid1(SALU_CYCLE_1)
	s_mul_u64 s[58:59], s[56:57], s[54:55]
	s_mul_hi_u32 s61, s54, s59
	s_mul_i32 s60, s54, s59
	s_mul_hi_u32 s34, s54, s58
	s_mul_i32 s45, s55, s58
	s_add_nc_u64 s[60:61], s[34:35], s[60:61]
	s_mul_hi_u32 s0, s55, s58
	s_mul_hi_u32 s62, s55, s59
	s_add_co_u32 s34, s60, s45
	s_add_co_ci_u32 s34, s61, s0
	s_mul_i32 s58, s55, s59
	s_add_co_ci_u32 s59, s62, 0
	s_delay_alu instid0(SALU_CYCLE_1) | instskip(NEXT) | instid1(SALU_CYCLE_1)
	s_add_nc_u64 s[58:59], s[34:35], s[58:59]
	s_add_co_u32 s54, s54, s58
	s_cselect_b32 s0, -1, 0
	s_delay_alu instid0(SALU_CYCLE_1) | instskip(SKIP_1) | instid1(SALU_CYCLE_1)
	s_cmp_lg_u32 s0, 0
	s_add_co_ci_u32 s55, s55, s59
	s_mul_u64 s[56:57], s[56:57], s[54:55]
	s_delay_alu instid0(SALU_CYCLE_1)
	s_mul_hi_u32 s59, s54, s57
	s_mul_i32 s58, s54, s57
	s_mul_hi_u32 s34, s54, s56
	s_mul_i32 s45, s55, s56
	s_add_nc_u64 s[58:59], s[34:35], s[58:59]
	s_mul_hi_u32 s0, s55, s56
	s_mul_hi_u32 s60, s55, s57
	s_add_co_u32 s34, s58, s45
	s_add_co_ci_u32 s34, s59, s0
	s_mul_i32 s56, s55, s57
	s_add_co_ci_u32 s57, s60, 0
	s_delay_alu instid0(SALU_CYCLE_1) | instskip(NEXT) | instid1(SALU_CYCLE_1)
	s_add_nc_u64 s[56:57], s[34:35], s[56:57]
	s_add_co_u32 s0, s54, s56
	s_cselect_b32 s34, -1, 0
	v_mul_hi_u32 v24, v16, s0
	s_cmp_lg_u32 s34, 0
	s_add_co_ci_u32 s34, s55, s57
	s_and_b64 s[54:55], s[0:1], s[36:37]
	v_mul_u64_e32 v[18:19], s[34:35], v[16:17]
	v_mul_u64_e32 v[14:15], s[54:55], v[20:21]
	;; [unrolled: 1-line block ×3, first 2 shown]
	s_delay_alu instid0(VALU_DEP_3) | instskip(NEXT) | instid1(VALU_DEP_1)
	v_add_nc_u64_e32 v[18:19], v[24:25], v[18:19]
	v_add_co_u32 v1, vcc_lo, v18, v14
	s_delay_alu instid0(VALU_DEP_2) | instskip(NEXT) | instid1(VALU_DEP_4)
	v_add_co_ci_u32_e32 v24, vcc_lo, v19, v15, vcc_lo
	v_add_co_ci_u32_e32 v23, vcc_lo, 0, v23, vcc_lo
	s_delay_alu instid0(VALU_DEP_1) | instskip(NEXT) | instid1(VALU_DEP_1)
	v_add_nc_u64_e32 v[14:15], v[24:25], v[22:23]
	v_mul_u64_e32 v[18:19], s[46:47], v[14:15]
	s_delay_alu instid0(VALU_DEP_1) | instskip(NEXT) | instid1(VALU_DEP_2)
	v_sub_nc_u32_e32 v1, v20, v19
	v_sub_co_u32 v4, vcc_lo, v16, v18
	s_delay_alu instid0(VALU_DEP_1) | instskip(NEXT) | instid1(VALU_DEP_3)
	v_sub_co_ci_u32_e64 v8, null, v20, v19, vcc_lo
	v_subrev_co_ci_u32_e64 v1, null, s47, v1, vcc_lo
	s_delay_alu instid0(VALU_DEP_3) | instskip(SKIP_1) | instid1(VALU_DEP_3)
	v_sub_co_u32 v7, s0, v4, s46
	v_add_nc_u64_e32 v[16:17], 2, v[14:15]
	v_subrev_co_ci_u32_e64 v1, null, 0, v1, s0
	s_delay_alu instid0(VALU_DEP_3) | instskip(SKIP_2) | instid1(VALU_DEP_4)
	v_cmp_le_u32_e32 vcc_lo, s46, v7
	v_add_nc_u64_e32 v[18:19], 1, v[14:15]
	v_cndmask_b32_e64 v7, 0, -1, vcc_lo
	v_cmp_le_u32_e32 vcc_lo, s47, v1
	v_cndmask_b32_e64 v13, 0, -1, vcc_lo
	v_cmp_le_u32_e32 vcc_lo, s46, v4
	v_cndmask_b32_e64 v4, 0, -1, vcc_lo
	v_cmp_le_u32_e32 vcc_lo, s47, v8
	v_cndmask_b32_e64 v20, 0, -1, vcc_lo
	v_cmp_eq_u32_e32 vcc_lo, s47, v1
	v_cndmask_b32_e32 v1, v13, v7, vcc_lo
	v_cmp_eq_u32_e32 vcc_lo, s47, v8
	s_delay_alu instid0(VALU_DEP_4) | instskip(NEXT) | instid1(VALU_DEP_3)
	v_cndmask_b32_e32 v4, v20, v4, vcc_lo
	v_cmp_ne_u32_e32 vcc_lo, 0, v1
	s_delay_alu instid0(VALU_DEP_2) | instskip(SKIP_1) | instid1(VALU_DEP_1)
	v_cmp_ne_u32_e64 s0, 0, v4
	v_dual_cndmask_b32 v1, v19, v17 :: v_dual_cndmask_b32 v4, v18, v16
	v_dual_cndmask_b32 v1, v15, v1, s0 :: v_dual_bitop2_b32 v12, s44, v12 bitop3:0x14
	s_delay_alu instid0(VALU_DEP_1) | instskip(NEXT) | instid1(VALU_DEP_2)
	v_dual_cndmask_b32 v4, v14, v4, s0 :: v_dual_mov_b32 v13, v12
	v_xor_b32_e32 v15, v1, v12
	s_delay_alu instid0(VALU_DEP_2) | instskip(NEXT) | instid1(VALU_DEP_1)
	v_xor_b32_e32 v14, v4, v12
	v_sub_nc_u64_e32 v[12:13], v[14:15], v[12:13]
.LBB50_113:                             ;   in Loop: Header=BB50_111 Depth=1
	s_and_not1_saveexec_b32 s0, s50
	s_cbranch_execz .LBB50_110
; %bb.114:                              ;   in Loop: Header=BB50_111 Depth=1
	v_cvt_f32_u32_e32 v1, s42
	s_sub_co_i32 s34, 0, s42
	v_mov_b32_e32 v13, v6
	s_delay_alu instid0(VALU_DEP_2) | instskip(SKIP_1) | instid1(TRANS32_DEP_1)
	v_rcp_iflag_f32_e32 v1, v1
	v_nop
	v_mul_f32_e32 v1, 0x4f7ffffe, v1
	s_delay_alu instid0(VALU_DEP_1) | instskip(NEXT) | instid1(VALU_DEP_1)
	v_cvt_u32_f32_e32 v1, v1
	v_mul_lo_u32 v4, s34, v1
	s_delay_alu instid0(VALU_DEP_1) | instskip(NEXT) | instid1(VALU_DEP_1)
	v_mul_hi_u32 v4, v1, v4
	v_add_nc_u32_e32 v1, v1, v4
	s_delay_alu instid0(VALU_DEP_1) | instskip(NEXT) | instid1(VALU_DEP_1)
	v_mul_hi_u32 v1, v10, v1
	v_mul_lo_u32 v4, v1, s42
	s_delay_alu instid0(VALU_DEP_1) | instskip(NEXT) | instid1(VALU_DEP_1)
	v_sub_nc_u32_e32 v4, v10, v4
	v_subrev_nc_u32_e32 v8, s42, v4
	v_cmp_le_u32_e32 vcc_lo, s42, v4
	s_delay_alu instid0(VALU_DEP_2) | instskip(NEXT) | instid1(VALU_DEP_1)
	v_dual_cndmask_b32 v4, v4, v8 :: v_dual_add_nc_u32 v7, 1, v1
	v_cndmask_b32_e32 v1, v1, v7, vcc_lo
	s_delay_alu instid0(VALU_DEP_2) | instskip(NEXT) | instid1(VALU_DEP_2)
	v_cmp_le_u32_e32 vcc_lo, s42, v4
	v_add_nc_u32_e32 v7, 1, v1
	s_delay_alu instid0(VALU_DEP_1)
	v_cndmask_b32_e32 v12, v1, v7, vcc_lo
	s_branch .LBB50_110
.LBB50_115:
	s_mov_b32 s21, -1
	s_mov_b32 s19, 0
	s_mov_b32 s1, exec_lo
	v_cmpx_gt_i32_e64 v20, v22
	s_cbranch_execz .LBB50_126
; %bb.116:
	s_wait_loadcnt 0x0
	s_delay_alu instid0(VALU_DEP_2) | instskip(SKIP_2) | instid1(VALU_DEP_1)
	v_lshlrev_b64_e32 v[24:25], 2, v[26:27]
	v_dual_ashrrev_i32 v23, 31, v22 :: v_dual_ashrrev_i32 v21, 31, v20
	s_xor_b32 s21, s36, -1
                                        ; implicit-def: $sgpr20
                                        ; implicit-def: $sgpr23
                                        ; implicit-def: $sgpr22
	v_lshl_add_u64 v[22:23], v[22:23], 2, v[24:25]
	v_add_nc_u64_e32 v[24:25], s[14:15], v[24:25]
	s_delay_alu instid0(VALU_DEP_2) | instskip(NEXT) | instid1(VALU_DEP_2)
	v_add_nc_u64_e32 v[22:23], s[14:15], v[22:23]
	v_lshl_add_u64 v[20:21], v[20:21], 2, v[24:25]
	s_delay_alu instid0(VALU_DEP_2)
	v_add_nc_u64_e32 v[22:23], 4, v[22:23]
	s_branch .LBB50_118
.LBB50_117:                             ;   in Loop: Header=BB50_118 Depth=1
	s_or_b32 exec_lo, exec_lo, s24
	s_delay_alu instid0(SALU_CYCLE_1) | instskip(NEXT) | instid1(SALU_CYCLE_1)
	s_and_b32 s24, exec_lo, s23
	s_or_b32 s19, s24, s19
	s_and_not1_b32 s20, s20, exec_lo
	s_and_b32 s24, s22, exec_lo
	s_delay_alu instid0(SALU_CYCLE_1)
	s_or_b32 s20, s20, s24
	s_and_not1_b32 exec_lo, exec_lo, s19
	s_cbranch_execz .LBB50_125
.LBB50_118:                             ; =>This Inner Loop Header: Depth=1
	s_or_b32 s22, s22, exec_lo
	s_or_b32 s23, s23, exec_lo
	s_mov_b32 s24, exec_lo
	s_delay_alu instid0(VALU_DEP_1)
	v_cmpx_lt_u64_e64 v[22:23], v[20:21]
	s_cbranch_execz .LBB50_117
; %bb.119:                              ;   in Loop: Header=BB50_118 Depth=1
	global_load_b64 v[24:25], v[22:23], off offset:-4
	s_wait_xcnt 0x0
	v_add_nc_u64_e32 v[22:23], 4, v[22:23]
	s_and_not1_b32 s23, s23, exec_lo
	s_and_not1_b32 s22, s22, exec_lo
	s_wait_loadcnt 0x0
	v_cmp_ge_i32_e32 vcc_lo, v24, v25
	s_or_b32 s25, s21, vcc_lo
	s_delay_alu instid0(SALU_CYCLE_1) | instskip(NEXT) | instid1(SALU_CYCLE_1)
	s_and_b32 s25, s25, exec_lo
	s_or_b32 s23, s23, s25
	s_branch .LBB50_117
.LBB50_120:
	s_mov_b32 s34, s52
	s_mov_b32 s0, exec_lo
	v_cmpx_gt_i32_e64 v5, v9
	s_cbranch_execz .LBB50_174
; %bb.121:
	s_delay_alu instid0(VALU_DEP_2)
	v_lshlrev_b64_e32 v[2:3], 2, v[2:3]
	v_dual_mov_b32 v6, v9 :: v_dual_ashrrev_i32 v7, 31, v9
	s_wait_loadcnt 0x0
	v_dual_mov_b32 v10, v5 :: v_dual_ashrrev_i32 v11, 31, v5
	s_mov_b32 s34, 0
	s_xor_b32 s36, s49, -1
	s_delay_alu instid0(VALU_DEP_3) | instskip(SKIP_1) | instid1(VALU_DEP_2)
	v_lshl_add_u64 v[6:7], v[6:7], 2, v[2:3]
	v_add_nc_u64_e32 v[8:9], s[14:15], v[2:3]
                                        ; implicit-def: $sgpr35
                                        ; implicit-def: $sgpr38
                                        ; implicit-def: $sgpr37
	v_add_nc_u64_e32 v[6:7], s[14:15], v[6:7]
	s_delay_alu instid0(VALU_DEP_2) | instskip(NEXT) | instid1(VALU_DEP_2)
	v_lshl_add_u64 v[4:5], v[10:11], 2, v[8:9]
	v_add_nc_u64_e32 v[2:3], 4, v[6:7]
	s_branch .LBB50_123
.LBB50_122:                             ;   in Loop: Header=BB50_123 Depth=1
	s_or_b32 exec_lo, exec_lo, s39
	s_xor_b32 s39, s37, -1
	s_and_b32 s40, exec_lo, s38
	s_delay_alu instid0(SALU_CYCLE_1) | instskip(SKIP_2) | instid1(SALU_CYCLE_1)
	s_or_b32 s34, s40, s34
	s_and_not1_b32 s35, s35, exec_lo
	s_and_b32 s39, s39, exec_lo
	s_or_b32 s35, s35, s39
	s_and_not1_b32 exec_lo, exec_lo, s34
	s_cbranch_execz .LBB50_173
.LBB50_123:                             ; =>This Inner Loop Header: Depth=1
	s_or_b32 s37, s37, exec_lo
	s_or_b32 s38, s38, exec_lo
	s_mov_b32 s39, exec_lo
	s_delay_alu instid0(VALU_DEP_1)
	v_cmpx_lt_u64_e64 v[2:3], v[4:5]
	s_cbranch_execz .LBB50_122
; %bb.124:                              ;   in Loop: Header=BB50_123 Depth=1
	global_load_b64 v[6:7], v[2:3], off offset:-4
	s_wait_xcnt 0x0
	v_add_nc_u64_e32 v[2:3], 4, v[2:3]
	s_and_not1_b32 s38, s38, exec_lo
	s_and_not1_b32 s37, s37, exec_lo
	s_wait_loadcnt 0x0
	v_cmp_ge_i32_e32 vcc_lo, v6, v7
	s_or_b32 s40, s36, vcc_lo
	s_delay_alu instid0(SALU_CYCLE_1) | instskip(NEXT) | instid1(SALU_CYCLE_1)
	s_and_b32 s40, s40, exec_lo
	s_or_b32 s38, s38, s40
	s_branch .LBB50_122
.LBB50_125:
	s_or_b32 exec_lo, exec_lo, s19
	s_delay_alu instid0(SALU_CYCLE_1)
	s_mov_b32 s19, exec_lo
	s_or_not1_b32 s21, s20, exec_lo
.LBB50_126:
	s_or_b32 exec_lo, exec_lo, s1
	s_delay_alu instid0(SALU_CYCLE_1)
	s_and_b32 s20, s19, exec_lo
	s_xor_b32 s19, exec_lo, -1
	s_and_b32 s1, s21, exec_lo
.LBB50_127:
	s_or_b32 exec_lo, exec_lo, s43
	s_delay_alu instid0(SALU_CYCLE_1)
	s_and_b32 s21, s20, exec_lo
	s_and_b32 s20, s19, exec_lo
	s_xor_b32 s19, exec_lo, -1
	s_and_b32 s1, s1, exec_lo
.LBB50_128:
	s_or_b32 exec_lo, exec_lo, s41
	s_delay_alu instid0(SALU_CYCLE_1)
	s_and_b32 s22, s21, exec_lo
	s_and_b32 s21, s20, exec_lo
	;; [unrolled: 1-line block ×3, first 2 shown]
	s_xor_b32 s19, exec_lo, -1
	s_and_b32 s1, s1, exec_lo
.LBB50_129:
	s_or_b32 exec_lo, exec_lo, s40
	s_delay_alu instid0(SALU_CYCLE_1)
	s_and_b32 s41, s22, exec_lo
	s_and_b32 s43, s21, exec_lo
	;; [unrolled: 1-line block ×4, first 2 shown]
	s_or_not1_b32 s1, s1, exec_lo
.LBB50_130:
	s_or_b32 exec_lo, exec_lo, s9
	s_mov_b32 s9, 0
                                        ; implicit-def: $sgpr40
                                        ; implicit-def: $sgpr45
                                        ; implicit-def: $sgpr24
	s_and_saveexec_b32 s47, s1
	s_cbranch_execz .LBB50_142
; %bb.131:
	v_cmp_gt_i32_e64 s40, s5, v15
	s_mov_b32 s1, -1
	s_mov_b32 s52, 0
	s_mov_b32 s48, s46
	;; [unrolled: 1-line block ×4, first 2 shown]
	s_and_saveexec_b32 s45, s40
	s_cbranch_execz .LBB50_181
; %bb.132:
	s_wait_loadcnt 0x4
	v_cmp_eq_u32_e32 vcc_lo, s33, v19
	s_mov_b32 s19, -1
	s_mov_b32 s1, 0
	s_mov_b32 s21, s44
	;; [unrolled: 1-line block ×3, first 2 shown]
	s_and_b32 s23, s42, vcc_lo
	s_mov_b32 s20, 0
	s_and_saveexec_b32 s9, s23
	s_cbranch_execz .LBB50_180
; %bb.133:
	s_wait_loadcnt 0x3
	v_cmp_eq_u32_e32 vcc_lo, s6, v17
	s_mov_b32 s21, s43
	s_and_b32 s22, s39, vcc_lo
	s_delay_alu instid0(SALU_CYCLE_1)
	s_and_saveexec_b32 s48, s22
	s_cbranch_execz .LBB50_179
; %bb.134:
	s_wait_loadcnt 0x1
	v_sub_nc_u32_e32 v5, v14, v16
	s_delay_alu instid0(VALU_DEP_1)
	v_cmp_le_i32_e32 vcc_lo, s33, v5
	v_cmp_ge_i32_e64 s1, s4, v5
	s_and_b32 s20, vcc_lo, s1
	s_mov_b32 s1, 0
	s_and_b32 s21, s38, s20
	s_mov_b32 s20, 0
	s_and_saveexec_b32 s49, s21
	s_cbranch_execz .LBB50_178
; %bb.135:
	v_mov_b64_e32 v[20:21], 0
	s_and_not1_b32 vcc_lo, exec_lo, s37
	s_cbranch_vccnz .LBB50_168
; %bb.136:
	s_wait_loadcnt 0x0
	v_ashrrev_i32_e32 v19, 31, v18
	s_mov_b32 s21, 0
	v_mov_b64_e32 v[20:21], 0
	s_mov_b32 s19, s21
	s_mov_b64 s[22:23], 0xffffffff
	v_mul_u64_e32 v[22:23], s[6:7], v[18:19]
	v_mov_b32_e32 v18, 0
	s_lshl_b64 s[26:27], s[18:19], 3
	s_mov_b32 s19, s8
	s_add_nc_u64 s[24:25], s[10:11], s[26:27]
	s_add_nc_u64 s[26:27], s[12:13], s[26:27]
	s_branch .LBB50_138
.LBB50_137:                             ;   in Loop: Header=BB50_138 Depth=1
	s_or_b32 exec_lo, exec_lo, s1
	s_delay_alu instid0(VALU_DEP_1)
	v_mul_u64_e32 v[26:27], s[28:29], v[24:25]
	s_load_b64 s[28:29], s[26:27], 0x0
	s_add_co_i32 s19, s19, -1
	s_add_nc_u64 s[24:25], s[24:25], -8
	s_cmp_lg_u32 s19, 0
	s_wait_xcnt 0x0
	s_add_nc_u64 s[26:27], s[26:27], -8
	s_delay_alu instid0(VALU_DEP_1) | instskip(SKIP_1) | instid1(VALU_DEP_1)
	v_sub_nc_u64_e32 v[22:23], v[22:23], v[26:27]
	s_wait_kmcnt 0x0
	v_mad_nc_u64_u32 v[20:21], v22, s28, v[20:21]
	s_delay_alu instid0(VALU_DEP_1) | instskip(NEXT) | instid1(VALU_DEP_1)
	v_mad_u32 v5, v23, s28, v21
	v_mad_u32 v21, v22, s29, v5
	v_mov_b64_e32 v[22:23], v[24:25]
	s_cbranch_scc0 .LBB50_168
.LBB50_138:                             ; =>This Inner Loop Header: Depth=1
	s_load_b64 s[28:29], s[24:25], 0x0
                                        ; implicit-def: $vgpr24_vgpr25
	s_mov_b32 s1, exec_lo
	s_wait_kmcnt 0x0
	s_delay_alu instid0(VALU_DEP_1) | instskip(NEXT) | instid1(VALU_DEP_1)
	v_or_b32_e32 v19, s29, v23
	v_cmpx_ne_u64_e32 0, v[18:19]
	s_xor_b32 s50, exec_lo, s1
	s_cbranch_execz .LBB50_140
; %bb.139:                              ;   in Loop: Header=BB50_138 Depth=1
	s_ashr_i32 s30, s29, 31
	v_dual_mov_b32 v29, v18 :: v_dual_ashrrev_i32 v24, 31, v23
	s_mov_b32 s31, s30
	s_delay_alu instid0(SALU_CYCLE_1) | instskip(NEXT) | instid1(VALU_DEP_1)
	s_add_nc_u64 s[34:35], s[28:29], s[30:31]
	v_mov_b32_e32 v25, v24
	s_xor_b64 s[34:35], s[34:35], s[30:31]
	s_delay_alu instid0(SALU_CYCLE_1)
	s_cvt_f32_u32 s1, s34
	s_cvt_f32_u32 s20, s35
	s_sub_nc_u64 s[56:57], 0, s[34:35]
	v_add_nc_u64_e32 v[26:27], v[22:23], v[24:25]
	v_mov_b32_e32 v33, v18
	s_fmamk_f32 s1, s20, 0x4f800000, s1
	s_delay_alu instid0(SALU_CYCLE_3) | instskip(NEXT) | instid1(VALU_DEP_2)
	v_s_rcp_f32 s1, s1
	v_xor_b32_e32 v28, v26, v24
	s_delay_alu instid0(VALU_DEP_3) | instskip(NEXT) | instid1(TRANS32_DEP_1)
	v_dual_mov_b32 v37, v18 :: v_dual_bitop2_b32 v32, v27, v24 bitop3:0x14
	s_mul_f32 s1, s1, 0x5f7ffffc
	s_delay_alu instid0(SALU_CYCLE_3) | instskip(NEXT) | instid1(SALU_CYCLE_3)
	s_mul_f32 s20, s1, 0x2f800000
	s_trunc_f32 s20, s20
	s_delay_alu instid0(SALU_CYCLE_3) | instskip(SKIP_1) | instid1(SALU_CYCLE_2)
	s_fmamk_f32 s1, s20, 0xcf800000, s1
	s_cvt_u32_f32 s55, s20
	s_cvt_u32_f32 s54, s1
	s_delay_alu instid0(SALU_CYCLE_3) | instskip(NEXT) | instid1(SALU_CYCLE_1)
	s_mul_u64 s[58:59], s[56:57], s[54:55]
	s_mul_hi_u32 s61, s54, s59
	s_mul_i32 s60, s54, s59
	s_mul_hi_u32 s20, s54, s58
	s_mul_i32 s31, s55, s58
	s_add_nc_u64 s[60:61], s[20:21], s[60:61]
	s_mul_hi_u32 s1, s55, s58
	s_mul_hi_u32 s51, s55, s59
	s_add_co_u32 s20, s60, s31
	s_add_co_ci_u32 s20, s61, s1
	s_mul_i32 s58, s55, s59
	s_add_co_ci_u32 s59, s51, 0
	s_delay_alu instid0(SALU_CYCLE_1) | instskip(NEXT) | instid1(SALU_CYCLE_1)
	s_add_nc_u64 s[58:59], s[20:21], s[58:59]
	s_add_co_u32 s54, s54, s58
	s_cselect_b32 s1, -1, 0
	s_delay_alu instid0(SALU_CYCLE_1) | instskip(SKIP_1) | instid1(SALU_CYCLE_1)
	s_cmp_lg_u32 s1, 0
	s_add_co_ci_u32 s55, s55, s59
	s_mul_u64 s[56:57], s[56:57], s[54:55]
	s_delay_alu instid0(SALU_CYCLE_1)
	s_mul_hi_u32 s59, s54, s57
	s_mul_i32 s58, s54, s57
	s_mul_hi_u32 s20, s54, s56
	s_mul_i32 s31, s55, s56
	s_add_nc_u64 s[58:59], s[20:21], s[58:59]
	s_mul_hi_u32 s1, s55, s56
	s_mul_hi_u32 s51, s55, s57
	s_add_co_u32 s20, s58, s31
	s_add_co_ci_u32 s20, s59, s1
	s_mul_i32 s56, s55, s57
	s_add_co_ci_u32 s57, s51, 0
	s_delay_alu instid0(SALU_CYCLE_1) | instskip(NEXT) | instid1(SALU_CYCLE_1)
	s_add_nc_u64 s[56:57], s[20:21], s[56:57]
	s_add_co_u32 s54, s54, s56
	s_cselect_b32 s1, -1, 0
	v_mul_hi_u32 v36, v28, s54
	s_cmp_lg_u32 s1, 0
	s_add_co_ci_u32 s20, s55, s57
	s_and_b64 s[56:57], s[54:55], s[22:23]
	v_mul_u64_e32 v[30:31], s[20:21], v[28:29]
	v_mul_u64_e32 v[26:27], s[56:57], v[32:33]
	;; [unrolled: 1-line block ×3, first 2 shown]
	s_delay_alu instid0(VALU_DEP_3) | instskip(NEXT) | instid1(VALU_DEP_1)
	v_add_nc_u64_e32 v[30:31], v[36:37], v[30:31]
	v_add_co_u32 v5, vcc_lo, v30, v26
	s_delay_alu instid0(VALU_DEP_2) | instskip(NEXT) | instid1(VALU_DEP_4)
	v_add_co_ci_u32_e32 v36, vcc_lo, v31, v27, vcc_lo
	v_add_co_ci_u32_e32 v35, vcc_lo, 0, v35, vcc_lo
	s_delay_alu instid0(VALU_DEP_1) | instskip(NEXT) | instid1(VALU_DEP_1)
	v_add_nc_u64_e32 v[26:27], v[36:37], v[34:35]
	v_mul_u64_e32 v[30:31], s[34:35], v[26:27]
	s_delay_alu instid0(VALU_DEP_1) | instskip(NEXT) | instid1(VALU_DEP_2)
	v_sub_nc_u32_e32 v5, v32, v31
	v_sub_co_u32 v12, vcc_lo, v28, v30
	s_delay_alu instid0(VALU_DEP_1) | instskip(NEXT) | instid1(VALU_DEP_3)
	v_sub_co_ci_u32_e64 v17, null, v32, v31, vcc_lo
	v_subrev_co_ci_u32_e64 v5, null, s35, v5, vcc_lo
	s_delay_alu instid0(VALU_DEP_3) | instskip(SKIP_1) | instid1(VALU_DEP_3)
	v_sub_co_u32 v15, s1, v12, s34
	v_add_nc_u64_e32 v[28:29], 2, v[26:27]
	v_subrev_co_ci_u32_e64 v5, null, 0, v5, s1
	s_delay_alu instid0(VALU_DEP_3) | instskip(SKIP_2) | instid1(VALU_DEP_4)
	v_cmp_le_u32_e32 vcc_lo, s34, v15
	v_add_nc_u64_e32 v[30:31], 1, v[26:27]
	v_cndmask_b32_e64 v15, 0, -1, vcc_lo
	v_cmp_le_u32_e32 vcc_lo, s35, v5
	v_cndmask_b32_e64 v19, 0, -1, vcc_lo
	v_cmp_le_u32_e32 vcc_lo, s34, v12
	;; [unrolled: 2-line block ×3, first 2 shown]
	v_cndmask_b32_e64 v25, 0, -1, vcc_lo
	v_cmp_eq_u32_e32 vcc_lo, s35, v5
	v_cndmask_b32_e32 v5, v19, v15, vcc_lo
	v_cmp_eq_u32_e32 vcc_lo, s35, v17
	s_delay_alu instid0(VALU_DEP_4) | instskip(NEXT) | instid1(VALU_DEP_3)
	v_cndmask_b32_e32 v12, v25, v12, vcc_lo
	v_cmp_ne_u32_e32 vcc_lo, 0, v5
	s_delay_alu instid0(VALU_DEP_2) | instskip(SKIP_1) | instid1(VALU_DEP_1)
	v_cmp_ne_u32_e64 s1, 0, v12
	v_dual_cndmask_b32 v5, v31, v29 :: v_dual_cndmask_b32 v12, v30, v28
	v_dual_cndmask_b32 v5, v27, v5, s1 :: v_dual_bitop2_b32 v24, s30, v24 bitop3:0x14
	s_delay_alu instid0(VALU_DEP_1) | instskip(NEXT) | instid1(VALU_DEP_2)
	v_dual_cndmask_b32 v12, v26, v12, s1 :: v_dual_mov_b32 v25, v24
	v_xor_b32_e32 v27, v5, v24
	s_delay_alu instid0(VALU_DEP_2) | instskip(NEXT) | instid1(VALU_DEP_1)
	v_xor_b32_e32 v26, v12, v24
	v_sub_nc_u64_e32 v[24:25], v[26:27], v[24:25]
.LBB50_140:                             ;   in Loop: Header=BB50_138 Depth=1
	s_and_not1_saveexec_b32 s1, s50
	s_cbranch_execz .LBB50_137
; %bb.141:                              ;   in Loop: Header=BB50_138 Depth=1
	v_cvt_f32_u32_e32 v5, s28
	s_sub_co_i32 s20, 0, s28
	v_mov_b32_e32 v25, v18
	s_delay_alu instid0(VALU_DEP_2) | instskip(SKIP_1) | instid1(TRANS32_DEP_1)
	v_rcp_iflag_f32_e32 v5, v5
	v_nop
	v_mul_f32_e32 v5, 0x4f7ffffe, v5
	s_delay_alu instid0(VALU_DEP_1) | instskip(NEXT) | instid1(VALU_DEP_1)
	v_cvt_u32_f32_e32 v5, v5
	v_mul_lo_u32 v12, s20, v5
	s_delay_alu instid0(VALU_DEP_1) | instskip(NEXT) | instid1(VALU_DEP_1)
	v_mul_hi_u32 v12, v5, v12
	v_add_nc_u32_e32 v5, v5, v12
	s_delay_alu instid0(VALU_DEP_1) | instskip(NEXT) | instid1(VALU_DEP_1)
	v_mul_hi_u32 v5, v22, v5
	v_mul_lo_u32 v12, v5, s28
	s_delay_alu instid0(VALU_DEP_1) | instskip(NEXT) | instid1(VALU_DEP_1)
	v_dual_add_nc_u32 v15, 1, v5 :: v_dual_sub_nc_u32 v12, v22, v12
	v_subrev_nc_u32_e32 v17, s28, v12
	v_cmp_le_u32_e32 vcc_lo, s28, v12
	s_delay_alu instid0(VALU_DEP_2) | instskip(NEXT) | instid1(VALU_DEP_1)
	v_dual_cndmask_b32 v12, v12, v17 :: v_dual_cndmask_b32 v5, v5, v15
	v_cmp_le_u32_e32 vcc_lo, s28, v12
	s_delay_alu instid0(VALU_DEP_2) | instskip(NEXT) | instid1(VALU_DEP_1)
	v_add_nc_u32_e32 v15, 1, v5
	v_cndmask_b32_e32 v24, v5, v15, vcc_lo
	s_branch .LBB50_137
.LBB50_142:
	s_or_b32 exec_lo, exec_lo, s47
	s_and_saveexec_b32 s1, s46
	s_cbranch_execnz .LBB50_209
.LBB50_143:
	s_or_b32 exec_lo, exec_lo, s1
	s_mov_b32 s1, 0
	s_and_saveexec_b32 s5, s48
	s_delay_alu instid0(SALU_CYCLE_1)
	s_xor_b32 s5, exec_lo, s5
; %bb.144:
	v_cmp_ne_u32_e32 vcc_lo, s6, v1
	s_xor_b32 s19, s39, -1
	s_and_not1_b32 s20, s44, exec_lo
	s_mov_b32 s1, exec_lo
	s_or_b32 s19, s19, vcc_lo
	s_delay_alu instid0(SALU_CYCLE_1) | instskip(NEXT) | instid1(SALU_CYCLE_1)
	s_and_b32 s19, s19, exec_lo
	s_or_b32 s44, s20, s19
; %bb.145:
	s_or_b32 exec_lo, exec_lo, s5
	s_and_saveexec_b32 s5, s44
	s_cbranch_execnz .LBB50_211
.LBB50_146:
	s_or_b32 exec_lo, exec_lo, s5
	s_mov_b32 s5, 0
	s_and_saveexec_b32 s19, s1
	s_delay_alu instid0(SALU_CYCLE_1)
	s_xor_b32 s19, exec_lo, s19
	s_cbranch_execz .LBB50_151
; %bb.147:
	v_sub_nc_u32_e32 v1, v4, v2
	s_mov_b32 s5, exec_lo
	s_delay_alu instid0(VALU_DEP_1) | instskip(SKIP_3) | instid1(SALU_CYCLE_1)
	v_cmp_le_i32_e32 vcc_lo, s33, v1
	v_cmp_ge_i32_e64 s1, s4, v1
	s_and_not1_b32 s4, s43, exec_lo
	s_and_b32 s1, vcc_lo, s1
	s_and_b32 s1, s38, s1
	s_delay_alu instid0(SALU_CYCLE_1) | instskip(NEXT) | instid1(SALU_CYCLE_1)
	s_xor_b32 s1, s1, -1
	s_and_b32 s1, s1, exec_lo
	s_delay_alu instid0(SALU_CYCLE_1)
	s_or_b32 s43, s4, s1
	s_or_b32 exec_lo, exec_lo, s19
	s_and_saveexec_b32 s1, s43
	s_cbranch_execz .LBB50_152
.LBB50_148:
	s_or_b32 s3, s3, exec_lo
	s_and_not1_b32 s5, s5, exec_lo
	s_trap 2
	s_or_b32 exec_lo, exec_lo, s1
	s_and_saveexec_b32 s25, s5
	s_cbranch_execnz .LBB50_153
.LBB50_149:
	s_or_b32 exec_lo, exec_lo, s25
	s_and_saveexec_b32 s1, s41
	s_cbranch_execnz .LBB50_167
.LBB50_150:
	s_or_b32 exec_lo, exec_lo, s1
	s_and_saveexec_b32 s1, s3
	s_cbranch_execnz .LBB50_98
	s_branch .LBB50_99
.LBB50_151:
	s_or_b32 exec_lo, exec_lo, s19
	s_and_saveexec_b32 s1, s43
	s_cbranch_execnz .LBB50_148
.LBB50_152:
	s_or_b32 exec_lo, exec_lo, s1
	s_and_saveexec_b32 s25, s5
	s_cbranch_execz .LBB50_149
.LBB50_153:
	v_mov_b64_e32 v[8:9], 0
	s_and_not1_b32 vcc_lo, exec_lo, s37
	s_cbranch_vccnz .LBB50_160
; %bb.154:
	v_mul_u64_e32 v[10:11], s[6:7], v[6:7]
	v_mov_b64_e32 v[8:9], 0
	s_mov_b32 s19, 0
	v_mov_b32_e32 v6, 0
	s_lshl_b64 s[20:21], s[18:19], 3
	s_mov_b64 s[4:5], 0xffffffff
	s_add_nc_u64 s[6:7], s[10:11], s[20:21]
	s_add_nc_u64 s[10:11], s[12:13], s[20:21]
	s_branch .LBB50_156
.LBB50_155:                             ;   in Loop: Header=BB50_156 Depth=1
	s_or_b32 exec_lo, exec_lo, s1
	s_wait_loadcnt 0x1
	s_delay_alu instid0(VALU_DEP_1)
	v_mul_u64_e32 v[14:15], s[12:13], v[12:13]
	s_load_b64 s[12:13], s[10:11], 0x0
	s_add_co_i32 s8, s8, -1
	s_add_nc_u64 s[6:7], s[6:7], -8
	s_cmp_lg_u32 s8, 0
	s_wait_xcnt 0x0
	s_add_nc_u64 s[10:11], s[10:11], -8
	s_delay_alu instid0(VALU_DEP_1) | instskip(SKIP_1) | instid1(VALU_DEP_1)
	v_sub_nc_u64_e32 v[10:11], v[10:11], v[14:15]
	s_wait_kmcnt 0x0
	v_mad_nc_u64_u32 v[8:9], v10, s12, v[8:9]
	s_delay_alu instid0(VALU_DEP_1) | instskip(NEXT) | instid1(VALU_DEP_1)
	v_mad_u32 v1, v11, s12, v9
	v_mad_u32 v9, v10, s13, v1
	v_mov_b64_e32 v[10:11], v[12:13]
	s_cbranch_scc0 .LBB50_160
.LBB50_156:                             ; =>This Inner Loop Header: Depth=1
	s_load_b64 s[12:13], s[6:7], 0x0
                                        ; implicit-def: $vgpr12_vgpr13
	s_mov_b32 s1, exec_lo
	s_wait_kmcnt 0x0
	s_delay_alu instid0(VALU_DEP_1) | instskip(NEXT) | instid1(VALU_DEP_1)
	v_or_b32_e32 v7, s13, v11
	v_cmpx_ne_u64_e32 0, v[6:7]
	s_xor_b32 s26, exec_lo, s1
	s_cbranch_execz .LBB50_158
; %bb.157:                              ;   in Loop: Header=BB50_156 Depth=1
	s_ashr_i32 s20, s13, 31
	s_wait_loadcnt 0x3
	v_dual_mov_b32 v17, v6 :: v_dual_ashrrev_i32 v12, 31, v11
	s_mov_b32 s21, s20
	s_delay_alu instid0(SALU_CYCLE_1) | instskip(NEXT) | instid1(VALU_DEP_1)
	s_add_nc_u64 s[22:23], s[12:13], s[20:21]
	v_mov_b32_e32 v13, v12
	s_xor_b64 s[22:23], s[22:23], s[20:21]
	s_delay_alu instid0(SALU_CYCLE_1)
	s_cvt_f32_u32 s1, s22
	s_cvt_f32_u32 s18, s23
	s_sub_nc_u64 s[30:31], 0, s[22:23]
	s_wait_loadcnt 0x1
	v_add_nc_u64_e32 v[14:15], v[10:11], v[12:13]
	v_mov_b32_e32 v21, v6
	s_fmamk_f32 s1, s18, 0x4f800000, s1
	s_delay_alu instid0(SALU_CYCLE_3) | instskip(NEXT) | instid1(VALU_DEP_2)
	v_s_rcp_f32 s1, s1
	v_xor_b32_e32 v16, v14, v12
	s_delay_alu instid0(VALU_DEP_3) | instskip(NEXT) | instid1(TRANS32_DEP_1)
	v_dual_mov_b32 v25, v6 :: v_dual_bitop2_b32 v20, v15, v12 bitop3:0x14
	s_mul_f32 s1, s1, 0x5f7ffffc
	s_delay_alu instid0(SALU_CYCLE_3) | instskip(NEXT) | instid1(SALU_CYCLE_3)
	s_mul_f32 s18, s1, 0x2f800000
	s_trunc_f32 s18, s18
	s_delay_alu instid0(SALU_CYCLE_3) | instskip(SKIP_1) | instid1(SALU_CYCLE_2)
	s_fmamk_f32 s1, s18, 0xcf800000, s1
	s_cvt_u32_f32 s29, s18
	s_cvt_u32_f32 s28, s1
	s_delay_alu instid0(SALU_CYCLE_3) | instskip(NEXT) | instid1(SALU_CYCLE_1)
	s_mul_u64 s[34:35], s[30:31], s[28:29]
	s_mul_hi_u32 s39, s28, s35
	s_mul_i32 s38, s28, s35
	s_mul_hi_u32 s18, s28, s34
	s_mul_i32 s21, s29, s34
	s_add_nc_u64 s[38:39], s[18:19], s[38:39]
	s_mul_hi_u32 s1, s29, s34
	s_mul_hi_u32 s27, s29, s35
	s_add_co_u32 s18, s38, s21
	s_add_co_ci_u32 s18, s39, s1
	s_mul_i32 s34, s29, s35
	s_add_co_ci_u32 s35, s27, 0
	s_delay_alu instid0(SALU_CYCLE_1) | instskip(NEXT) | instid1(SALU_CYCLE_1)
	s_add_nc_u64 s[34:35], s[18:19], s[34:35]
	s_add_co_u32 s28, s28, s34
	s_cselect_b32 s1, -1, 0
	s_delay_alu instid0(SALU_CYCLE_1) | instskip(SKIP_1) | instid1(SALU_CYCLE_1)
	s_cmp_lg_u32 s1, 0
	s_add_co_ci_u32 s29, s29, s35
	s_mul_u64 s[30:31], s[30:31], s[28:29]
	s_delay_alu instid0(SALU_CYCLE_1)
	s_mul_hi_u32 s35, s28, s31
	s_mul_i32 s34, s28, s31
	s_mul_hi_u32 s18, s28, s30
	s_mul_i32 s21, s29, s30
	s_add_nc_u64 s[34:35], s[18:19], s[34:35]
	s_mul_hi_u32 s1, s29, s30
	s_mul_hi_u32 s27, s29, s31
	s_add_co_u32 s18, s34, s21
	s_add_co_ci_u32 s18, s35, s1
	s_mul_i32 s30, s29, s31
	s_add_co_ci_u32 s31, s27, 0
	s_delay_alu instid0(SALU_CYCLE_1) | instskip(NEXT) | instid1(SALU_CYCLE_1)
	s_add_nc_u64 s[30:31], s[18:19], s[30:31]
	s_add_co_u32 s28, s28, s30
	s_cselect_b32 s1, -1, 0
	s_wait_loadcnt 0x0
	v_mul_hi_u32 v24, v16, s28
	s_cmp_lg_u32 s1, 0
	s_add_co_ci_u32 s18, s29, s31
	s_and_b64 s[30:31], s[28:29], s[4:5]
	v_mul_u64_e32 v[18:19], s[18:19], v[16:17]
	v_mul_u64_e32 v[14:15], s[30:31], v[20:21]
	;; [unrolled: 1-line block ×3, first 2 shown]
	s_delay_alu instid0(VALU_DEP_3) | instskip(NEXT) | instid1(VALU_DEP_1)
	v_add_nc_u64_e32 v[18:19], v[24:25], v[18:19]
	v_add_co_u32 v1, vcc_lo, v18, v14
	s_delay_alu instid0(VALU_DEP_2) | instskip(NEXT) | instid1(VALU_DEP_4)
	v_add_co_ci_u32_e32 v24, vcc_lo, v19, v15, vcc_lo
	v_add_co_ci_u32_e32 v23, vcc_lo, 0, v23, vcc_lo
	s_delay_alu instid0(VALU_DEP_1) | instskip(NEXT) | instid1(VALU_DEP_1)
	v_add_nc_u64_e32 v[14:15], v[24:25], v[22:23]
	v_mul_u64_e32 v[18:19], s[22:23], v[14:15]
	s_delay_alu instid0(VALU_DEP_1) | instskip(NEXT) | instid1(VALU_DEP_2)
	v_sub_nc_u32_e32 v1, v20, v19
	v_sub_co_u32 v3, vcc_lo, v16, v18
	s_delay_alu instid0(VALU_DEP_1) | instskip(NEXT) | instid1(VALU_DEP_3)
	v_sub_co_ci_u32_e64 v7, null, v20, v19, vcc_lo
	v_subrev_co_ci_u32_e64 v1, null, s23, v1, vcc_lo
	s_delay_alu instid0(VALU_DEP_3) | instskip(SKIP_1) | instid1(VALU_DEP_3)
	v_sub_co_u32 v5, s1, v3, s22
	v_add_nc_u64_e32 v[16:17], 2, v[14:15]
	v_subrev_co_ci_u32_e64 v1, null, 0, v1, s1
	s_delay_alu instid0(VALU_DEP_3) | instskip(SKIP_2) | instid1(VALU_DEP_4)
	v_cmp_le_u32_e32 vcc_lo, s22, v5
	v_add_nc_u64_e32 v[18:19], 1, v[14:15]
	v_cndmask_b32_e64 v5, 0, -1, vcc_lo
	v_cmp_le_u32_e32 vcc_lo, s23, v1
	v_cndmask_b32_e64 v13, 0, -1, vcc_lo
	v_cmp_le_u32_e32 vcc_lo, s22, v3
	;; [unrolled: 2-line block ×3, first 2 shown]
	v_cndmask_b32_e64 v20, 0, -1, vcc_lo
	v_cmp_eq_u32_e32 vcc_lo, s23, v1
	v_cndmask_b32_e32 v1, v13, v5, vcc_lo
	v_cmp_eq_u32_e32 vcc_lo, s23, v7
	s_delay_alu instid0(VALU_DEP_4) | instskip(NEXT) | instid1(VALU_DEP_3)
	v_cndmask_b32_e32 v3, v20, v3, vcc_lo
	v_cmp_ne_u32_e32 vcc_lo, 0, v1
	s_delay_alu instid0(VALU_DEP_2) | instskip(SKIP_1) | instid1(VALU_DEP_1)
	v_cmp_ne_u32_e64 s1, 0, v3
	v_dual_cndmask_b32 v1, v19, v17, vcc_lo :: v_dual_cndmask_b32 v3, v18, v16, vcc_lo
	v_dual_cndmask_b32 v1, v15, v1, s1 :: v_dual_bitop2_b32 v12, s20, v12 bitop3:0x14
	s_delay_alu instid0(VALU_DEP_1) | instskip(NEXT) | instid1(VALU_DEP_2)
	v_dual_cndmask_b32 v3, v14, v3, s1 :: v_dual_mov_b32 v13, v12
	v_xor_b32_e32 v15, v1, v12
	s_delay_alu instid0(VALU_DEP_2) | instskip(NEXT) | instid1(VALU_DEP_1)
	v_xor_b32_e32 v14, v3, v12
	v_sub_nc_u64_e32 v[12:13], v[14:15], v[12:13]
.LBB50_158:                             ;   in Loop: Header=BB50_156 Depth=1
	s_and_not1_saveexec_b32 s1, s26
	s_cbranch_execz .LBB50_155
; %bb.159:                              ;   in Loop: Header=BB50_156 Depth=1
	v_cvt_f32_u32_e32 v1, s12
	s_sub_co_i32 s18, 0, s12
	v_mov_b32_e32 v13, v6
	s_delay_alu instid0(VALU_DEP_2) | instskip(SKIP_1) | instid1(TRANS32_DEP_1)
	v_rcp_iflag_f32_e32 v1, v1
	v_nop
	v_mul_f32_e32 v1, 0x4f7ffffe, v1
	s_delay_alu instid0(VALU_DEP_1) | instskip(NEXT) | instid1(VALU_DEP_1)
	v_cvt_u32_f32_e32 v1, v1
	v_mul_lo_u32 v3, s18, v1
	s_delay_alu instid0(VALU_DEP_1) | instskip(NEXT) | instid1(VALU_DEP_1)
	v_mul_hi_u32 v3, v1, v3
	v_add_nc_u32_e32 v1, v1, v3
	s_delay_alu instid0(VALU_DEP_1) | instskip(NEXT) | instid1(VALU_DEP_1)
	v_mul_hi_u32 v1, v10, v1
	v_mul_lo_u32 v3, v1, s12
	s_delay_alu instid0(VALU_DEP_1) | instskip(NEXT) | instid1(VALU_DEP_1)
	v_sub_nc_u32_e32 v3, v10, v3
	v_subrev_nc_u32_e32 v7, s12, v3
	v_cmp_le_u32_e32 vcc_lo, s12, v3
	s_delay_alu instid0(VALU_DEP_2) | instskip(NEXT) | instid1(VALU_DEP_1)
	v_dual_add_nc_u32 v5, 1, v1 :: v_dual_cndmask_b32 v3, v3, v7, vcc_lo
	v_cndmask_b32_e32 v1, v1, v5, vcc_lo
	s_delay_alu instid0(VALU_DEP_2) | instskip(NEXT) | instid1(VALU_DEP_2)
	v_cmp_le_u32_e32 vcc_lo, s12, v3
	v_add_nc_u32_e32 v5, 1, v1
	s_delay_alu instid0(VALU_DEP_1)
	v_cndmask_b32_e32 v12, v1, v5, vcc_lo
	s_branch .LBB50_155
.LBB50_160:
	s_mov_b32 s4, s41
	s_mov_b32 s1, exec_lo
	v_cmpx_gt_i32_e64 v4, v2
	s_cbranch_execz .LBB50_166
; %bb.161:
	s_delay_alu instid0(VALU_DEP_2) | instskip(SKIP_3) | instid1(VALU_DEP_1)
	v_lshlrev_b64_e32 v[6:7], 2, v[8:9]
	v_dual_ashrrev_i32 v3, 31, v2 :: v_dual_ashrrev_i32 v5, 31, v4
	s_mov_b32 s4, 0
	s_xor_b32 s6, s36, -1
                                        ; implicit-def: $sgpr5
                                        ; implicit-def: $sgpr8
                                        ; implicit-def: $sgpr7
	v_lshl_add_u64 v[2:3], v[2:3], 2, v[6:7]
	v_add_nc_u64_e32 v[6:7], s[14:15], v[6:7]
	s_delay_alu instid0(VALU_DEP_2) | instskip(NEXT) | instid1(VALU_DEP_2)
	v_add_nc_u64_e32 v[2:3], s[14:15], v[2:3]
	v_lshl_add_u64 v[4:5], v[4:5], 2, v[6:7]
	s_delay_alu instid0(VALU_DEP_2)
	v_add_nc_u64_e32 v[2:3], 4, v[2:3]
	s_branch .LBB50_163
.LBB50_162:                             ;   in Loop: Header=BB50_163 Depth=1
	s_or_b32 exec_lo, exec_lo, s10
	s_xor_b32 s10, s7, -1
	s_and_b32 s11, exec_lo, s8
	s_delay_alu instid0(SALU_CYCLE_1) | instskip(SKIP_2) | instid1(SALU_CYCLE_1)
	s_or_b32 s4, s11, s4
	s_and_not1_b32 s5, s5, exec_lo
	s_and_b32 s10, s10, exec_lo
	s_or_b32 s5, s5, s10
	s_and_not1_b32 exec_lo, exec_lo, s4
	s_cbranch_execz .LBB50_165
.LBB50_163:                             ; =>This Inner Loop Header: Depth=1
	s_or_b32 s7, s7, exec_lo
	s_or_b32 s8, s8, exec_lo
	s_mov_b32 s10, exec_lo
	s_delay_alu instid0(VALU_DEP_1)
	v_cmpx_lt_u64_e64 v[2:3], v[4:5]
	s_cbranch_execz .LBB50_162
; %bb.164:                              ;   in Loop: Header=BB50_163 Depth=1
	global_load_b64 v[6:7], v[2:3], off offset:-4
	s_wait_xcnt 0x0
	v_add_nc_u64_e32 v[2:3], 4, v[2:3]
	s_and_not1_b32 s8, s8, exec_lo
	s_and_not1_b32 s7, s7, exec_lo
	s_wait_loadcnt 0x0
	v_cmp_ge_i32_e32 vcc_lo, v6, v7
	s_or_b32 s11, s6, vcc_lo
	s_delay_alu instid0(SALU_CYCLE_1) | instskip(NEXT) | instid1(SALU_CYCLE_1)
	s_and_b32 s11, s11, exec_lo
	s_or_b32 s8, s8, s11
	s_branch .LBB50_162
.LBB50_165:
	s_or_b32 exec_lo, exec_lo, s4
	s_delay_alu instid0(SALU_CYCLE_1) | instskip(SKIP_1) | instid1(SALU_CYCLE_1)
	s_and_not1_b32 s4, s41, exec_lo
	s_and_b32 s5, s5, exec_lo
	s_or_b32 s4, s4, s5
.LBB50_166:
	s_or_b32 exec_lo, exec_lo, s1
	s_delay_alu instid0(SALU_CYCLE_1)
	s_and_not1_b32 s1, s41, exec_lo
	s_and_b32 s4, s4, exec_lo
	s_or_b32 s9, s9, exec_lo
	s_or_b32 s41, s1, s4
	s_or_b32 exec_lo, exec_lo, s25
	s_and_saveexec_b32 s1, s41
	s_cbranch_execz .LBB50_150
.LBB50_167:
	s_and_not1_b32 s9, s9, exec_lo
	s_or_b32 s3, s3, exec_lo
	s_trap 2
	s_or_b32 exec_lo, exec_lo, s1
	s_and_saveexec_b32 s1, s3
	s_cbranch_execnz .LBB50_98
	s_branch .LBB50_99
.LBB50_168:
	s_mov_b32 s21, -1
	s_mov_b32 s19, 0
	s_mov_b32 s1, exec_lo
	v_cmpx_gt_i32_e64 v14, v16
	s_cbranch_execz .LBB50_177
; %bb.169:
	s_wait_loadcnt 0x0
	s_delay_alu instid0(VALU_DEP_2) | instskip(SKIP_2) | instid1(VALU_DEP_1)
	v_lshlrev_b64_e32 v[18:19], 2, v[20:21]
	v_dual_ashrrev_i32 v17, 31, v16 :: v_dual_ashrrev_i32 v15, 31, v14
	s_xor_b32 s21, s36, -1
                                        ; implicit-def: $sgpr20
                                        ; implicit-def: $sgpr23
                                        ; implicit-def: $sgpr22
	v_lshl_add_u64 v[16:17], v[16:17], 2, v[18:19]
	v_add_nc_u64_e32 v[18:19], s[14:15], v[18:19]
	s_delay_alu instid0(VALU_DEP_2) | instskip(NEXT) | instid1(VALU_DEP_2)
	v_add_nc_u64_e32 v[16:17], s[14:15], v[16:17]
	v_lshl_add_u64 v[14:15], v[14:15], 2, v[18:19]
	s_delay_alu instid0(VALU_DEP_2)
	v_add_nc_u64_e32 v[16:17], 4, v[16:17]
	s_branch .LBB50_171
.LBB50_170:                             ;   in Loop: Header=BB50_171 Depth=1
	s_or_b32 exec_lo, exec_lo, s24
	s_delay_alu instid0(SALU_CYCLE_1) | instskip(NEXT) | instid1(SALU_CYCLE_1)
	s_and_b32 s24, exec_lo, s23
	s_or_b32 s19, s24, s19
	s_and_not1_b32 s20, s20, exec_lo
	s_and_b32 s24, s22, exec_lo
	s_delay_alu instid0(SALU_CYCLE_1)
	s_or_b32 s20, s20, s24
	s_and_not1_b32 exec_lo, exec_lo, s19
	s_cbranch_execz .LBB50_176
.LBB50_171:                             ; =>This Inner Loop Header: Depth=1
	s_or_b32 s22, s22, exec_lo
	s_or_b32 s23, s23, exec_lo
	s_mov_b32 s24, exec_lo
	s_delay_alu instid0(VALU_DEP_1)
	v_cmpx_lt_u64_e64 v[16:17], v[14:15]
	s_cbranch_execz .LBB50_170
; %bb.172:                              ;   in Loop: Header=BB50_171 Depth=1
	global_load_b64 v[18:19], v[16:17], off offset:-4
	s_wait_xcnt 0x0
	v_add_nc_u64_e32 v[16:17], 4, v[16:17]
	s_and_not1_b32 s23, s23, exec_lo
	s_and_not1_b32 s22, s22, exec_lo
	s_wait_loadcnt 0x0
	v_cmp_ge_i32_e32 vcc_lo, v18, v19
	s_or_b32 s25, s21, vcc_lo
	s_delay_alu instid0(SALU_CYCLE_1) | instskip(NEXT) | instid1(SALU_CYCLE_1)
	s_and_b32 s25, s25, exec_lo
	s_or_b32 s23, s23, s25
	s_branch .LBB50_170
.LBB50_173:
	s_or_b32 exec_lo, exec_lo, s34
	s_delay_alu instid0(SALU_CYCLE_1) | instskip(SKIP_1) | instid1(SALU_CYCLE_1)
	s_and_not1_b32 s34, s52, exec_lo
	s_and_b32 s35, s35, exec_lo
	s_or_b32 s34, s34, s35
.LBB50_174:
	s_or_b32 exec_lo, exec_lo, s0
	s_delay_alu instid0(SALU_CYCLE_1)
	s_and_not1_b32 s35, s52, exec_lo
	s_and_b32 s34, s34, exec_lo
	s_mov_b32 s0, exec_lo
	s_or_b32 s52, s35, s34
	s_or_b32 exec_lo, exec_lo, s51
	s_and_saveexec_b32 s34, s52
	s_cbranch_execz .LBB50_71
.LBB50_175:
	s_or_b32 s3, s3, exec_lo
	s_and_not1_b32 s0, s0, exec_lo
	s_trap 2
	s_or_b32 exec_lo, exec_lo, s34
	s_and_saveexec_b32 s34, s0
	s_delay_alu instid0(SALU_CYCLE_1)
	s_xor_b32 s0, exec_lo, s34
	s_cbranch_execnz .LBB50_72
	s_branch .LBB50_73
.LBB50_176:
	s_or_b32 exec_lo, exec_lo, s19
	s_delay_alu instid0(SALU_CYCLE_1)
	s_mov_b32 s19, exec_lo
	s_or_not1_b32 s21, s20, exec_lo
.LBB50_177:
	s_or_b32 exec_lo, exec_lo, s1
	s_delay_alu instid0(SALU_CYCLE_1)
	s_and_b32 s20, s19, exec_lo
	s_xor_b32 s19, exec_lo, -1
	s_and_b32 s1, s21, exec_lo
.LBB50_178:
	s_or_b32 exec_lo, exec_lo, s49
	s_delay_alu instid0(SALU_CYCLE_1)
	s_and_not1_b32 s21, s43, exec_lo
	s_and_b32 s19, s19, exec_lo
	s_and_b32 s20, s20, exec_lo
	s_or_b32 s21, s21, s19
	s_xor_b32 s19, exec_lo, -1
	s_and_b32 s1, s1, exec_lo
.LBB50_179:
	s_or_b32 exec_lo, exec_lo, s48
	s_delay_alu instid0(SALU_CYCLE_1)
	s_and_not1_b32 s22, s43, exec_lo
	s_and_b32 s21, s21, exec_lo
	s_and_not1_b32 s23, s44, exec_lo
	s_and_b32 s19, s19, exec_lo
	s_and_b32 s20, s20, exec_lo
	s_or_b32 s22, s22, s21
	s_or_b32 s21, s23, s19
	s_xor_b32 s19, exec_lo, -1
	s_and_b32 s1, s1, exec_lo
.LBB50_180:
	s_or_b32 exec_lo, exec_lo, s9
	s_delay_alu instid0(SALU_CYCLE_1)
	s_and_not1_b32 s23, s43, exec_lo
	s_and_b32 s22, s22, exec_lo
	s_and_b32 s9, s20, exec_lo
	s_or_b32 s49, s23, s22
	s_and_not1_b32 s20, s44, exec_lo
	s_and_b32 s21, s21, exec_lo
	s_and_not1_b32 s22, s46, exec_lo
	s_and_b32 s19, s19, exec_lo
	s_or_b32 s50, s20, s21
	s_or_b32 s48, s22, s19
	s_or_not1_b32 s1, s1, exec_lo
.LBB50_181:
	s_or_b32 exec_lo, exec_lo, s45
	s_mov_b32 s21, 0
                                        ; implicit-def: $sgpr45
                                        ; implicit-def: $sgpr24
	s_and_saveexec_b32 s51, s1
	s_cbranch_execz .LBB50_208
; %bb.182:
	v_or_b32_e32 v5, 0x200, v0
	s_mov_b32 s25, -1
	s_mov_b32 s52, 0
	s_mov_b32 s1, s48
	;; [unrolled: 1-line block ×3, first 2 shown]
	v_cmp_gt_i32_e64 s45, s5, v5
	s_mov_b32 s19, s49
	s_and_saveexec_b32 s53, s45
	s_cbranch_execz .LBB50_203
; %bb.183:
	v_cmp_eq_u32_e32 vcc_lo, s33, v11
	s_mov_b32 s1, -1
	s_mov_b32 s22, 0
	s_mov_b32 s23, s50
	;; [unrolled: 1-line block ×3, first 2 shown]
	s_and_b32 s20, s42, vcc_lo
	s_mov_b32 s19, 0
	s_and_saveexec_b32 s54, s20
	s_cbranch_execz .LBB50_202
; %bb.184:
	v_cmp_eq_u32_e32 vcc_lo, s6, v9
	s_mov_b32 s20, 0
	s_mov_b32 s21, s49
	s_and_b32 s19, s39, vcc_lo
	s_delay_alu instid0(SALU_CYCLE_1)
	s_and_saveexec_b32 s55, s19
	s_cbranch_execz .LBB50_201
; %bb.185:
	v_sub_nc_u32_e32 v5, v8, v10
	s_mov_b32 s20, -1
	s_mov_b32 s19, 0
	s_delay_alu instid0(VALU_DEP_1) | instskip(SKIP_2) | instid1(SALU_CYCLE_1)
	v_cmp_le_i32_e32 vcc_lo, s33, v5
	v_cmp_ge_i32_e64 s1, s4, v5
	s_and_b32 s1, vcc_lo, s1
	s_and_b32 s21, s38, s1
	s_mov_b32 s1, 0
	s_and_saveexec_b32 s56, s21
	s_cbranch_execz .LBB50_200
; %bb.186:
	s_wait_loadcnt 0x1
	v_mov_b64_e32 v[14:15], 0
	s_and_not1_b32 vcc_lo, exec_lo, s37
	s_cbranch_vccnz .LBB50_193
; %bb.187:
	v_dual_mov_b32 v14, v13 :: v_dual_ashrrev_i32 v15, 31, v13
	s_mov_b32 s21, 0
	v_mov_b32_e32 v12, 0
	s_mov_b32 s19, s21
	s_mov_b64 s[22:23], 0xffffffff
	v_mul_u64_e32 v[16:17], s[6:7], v[14:15]
	v_mov_b64_e32 v[14:15], 0
	s_lshl_b64 s[26:27], s[18:19], 3
	s_mov_b32 s19, s8
	s_add_nc_u64 s[24:25], s[10:11], s[26:27]
	s_add_nc_u64 s[26:27], s[12:13], s[26:27]
	s_branch .LBB50_189
.LBB50_188:                             ;   in Loop: Header=BB50_189 Depth=1
	s_or_b32 exec_lo, exec_lo, s1
	s_wait_loadcnt 0x0
	s_delay_alu instid0(VALU_DEP_1)
	v_mul_u64_e32 v[20:21], s[28:29], v[18:19]
	s_load_b64 s[28:29], s[26:27], 0x0
	s_add_co_i32 s19, s19, -1
	s_add_nc_u64 s[24:25], s[24:25], -8
	s_cmp_lg_u32 s19, 0
	s_wait_xcnt 0x0
	s_add_nc_u64 s[26:27], s[26:27], -8
	s_delay_alu instid0(VALU_DEP_1) | instskip(SKIP_1) | instid1(VALU_DEP_1)
	v_sub_nc_u64_e32 v[16:17], v[16:17], v[20:21]
	s_wait_kmcnt 0x0
	v_mad_nc_u64_u32 v[14:15], v16, s28, v[14:15]
	s_delay_alu instid0(VALU_DEP_1) | instskip(NEXT) | instid1(VALU_DEP_1)
	v_mad_u32 v5, v17, s28, v15
	v_mad_u32 v15, v16, s29, v5
	v_mov_b64_e32 v[16:17], v[18:19]
	s_cbranch_scc0 .LBB50_193
.LBB50_189:                             ; =>This Inner Loop Header: Depth=1
	s_load_b64 s[28:29], s[24:25], 0x0
                                        ; implicit-def: $vgpr18_vgpr19
	s_mov_b32 s1, exec_lo
	s_wait_kmcnt 0x0
	s_delay_alu instid0(VALU_DEP_1) | instskip(NEXT) | instid1(VALU_DEP_1)
	v_or_b32_e32 v13, s29, v17
	v_cmpx_ne_u64_e32 0, v[12:13]
	s_xor_b32 s57, exec_lo, s1
	s_cbranch_execz .LBB50_191
; %bb.190:                              ;   in Loop: Header=BB50_189 Depth=1
	s_ashr_i32 s30, s29, 31
	s_wait_loadcnt 0x0
	v_dual_mov_b32 v23, v12 :: v_dual_ashrrev_i32 v18, 31, v17
	s_mov_b32 s31, s30
	s_delay_alu instid0(SALU_CYCLE_1) | instskip(NEXT) | instid1(VALU_DEP_1)
	s_add_nc_u64 s[34:35], s[28:29], s[30:31]
	v_mov_b32_e32 v19, v18
	s_xor_b64 s[34:35], s[34:35], s[30:31]
	s_delay_alu instid0(SALU_CYCLE_1)
	s_cvt_f32_u32 s1, s34
	s_cvt_f32_u32 s20, s35
	s_sub_nc_u64 s[60:61], 0, s[34:35]
	v_add_nc_u64_e32 v[20:21], v[16:17], v[18:19]
	v_mov_b32_e32 v27, v12
	s_fmamk_f32 s1, s20, 0x4f800000, s1
	s_delay_alu instid0(SALU_CYCLE_3) | instskip(NEXT) | instid1(VALU_DEP_2)
	v_s_rcp_f32 s1, s1
	v_xor_b32_e32 v22, v20, v18
	s_delay_alu instid0(VALU_DEP_3) | instskip(NEXT) | instid1(TRANS32_DEP_1)
	v_dual_mov_b32 v31, v12 :: v_dual_bitop2_b32 v26, v21, v18 bitop3:0x14
	s_mul_f32 s1, s1, 0x5f7ffffc
	s_delay_alu instid0(SALU_CYCLE_3) | instskip(NEXT) | instid1(SALU_CYCLE_3)
	s_mul_f32 s20, s1, 0x2f800000
	s_trunc_f32 s20, s20
	s_delay_alu instid0(SALU_CYCLE_3) | instskip(SKIP_1) | instid1(SALU_CYCLE_2)
	s_fmamk_f32 s1, s20, 0xcf800000, s1
	s_cvt_u32_f32 s59, s20
	s_cvt_u32_f32 s58, s1
	s_delay_alu instid0(SALU_CYCLE_3) | instskip(NEXT) | instid1(SALU_CYCLE_1)
	s_mul_u64 s[62:63], s[60:61], s[58:59]
	s_mul_hi_u32 s65, s58, s63
	s_mul_i32 s64, s58, s63
	s_mul_hi_u32 s20, s58, s62
	s_mul_i32 s31, s59, s62
	s_add_nc_u64 s[64:65], s[20:21], s[64:65]
	s_mul_hi_u32 s1, s59, s62
	s_mul_hi_u32 s66, s59, s63
	s_add_co_u32 s20, s64, s31
	s_add_co_ci_u32 s20, s65, s1
	s_mul_i32 s62, s59, s63
	s_add_co_ci_u32 s63, s66, 0
	s_delay_alu instid0(SALU_CYCLE_1) | instskip(NEXT) | instid1(SALU_CYCLE_1)
	s_add_nc_u64 s[62:63], s[20:21], s[62:63]
	s_add_co_u32 s58, s58, s62
	s_cselect_b32 s1, -1, 0
	s_delay_alu instid0(SALU_CYCLE_1) | instskip(SKIP_1) | instid1(SALU_CYCLE_1)
	s_cmp_lg_u32 s1, 0
	s_add_co_ci_u32 s59, s59, s63
	s_mul_u64 s[60:61], s[60:61], s[58:59]
	s_delay_alu instid0(SALU_CYCLE_1)
	s_mul_hi_u32 s63, s58, s61
	s_mul_i32 s62, s58, s61
	s_mul_hi_u32 s20, s58, s60
	s_mul_i32 s31, s59, s60
	s_add_nc_u64 s[62:63], s[20:21], s[62:63]
	s_mul_hi_u32 s1, s59, s60
	s_mul_hi_u32 s64, s59, s61
	s_add_co_u32 s20, s62, s31
	s_add_co_ci_u32 s20, s63, s1
	s_mul_i32 s60, s59, s61
	s_add_co_ci_u32 s61, s64, 0
	s_delay_alu instid0(SALU_CYCLE_1) | instskip(NEXT) | instid1(SALU_CYCLE_1)
	s_add_nc_u64 s[60:61], s[20:21], s[60:61]
	s_add_co_u32 s58, s58, s60
	s_cselect_b32 s1, -1, 0
	v_mul_hi_u32 v30, v22, s58
	s_cmp_lg_u32 s1, 0
	s_add_co_ci_u32 s20, s59, s61
	s_and_b64 s[60:61], s[58:59], s[22:23]
	v_mul_u64_e32 v[24:25], s[20:21], v[22:23]
	v_mul_u64_e32 v[20:21], s[60:61], v[26:27]
	v_mul_u64_e32 v[28:29], s[20:21], v[26:27]
	s_delay_alu instid0(VALU_DEP_3) | instskip(NEXT) | instid1(VALU_DEP_1)
	v_add_nc_u64_e32 v[24:25], v[30:31], v[24:25]
	v_add_co_u32 v5, vcc_lo, v24, v20
	s_delay_alu instid0(VALU_DEP_2) | instskip(NEXT) | instid1(VALU_DEP_4)
	v_add_co_ci_u32_e32 v30, vcc_lo, v25, v21, vcc_lo
	v_add_co_ci_u32_e32 v29, vcc_lo, 0, v29, vcc_lo
	s_delay_alu instid0(VALU_DEP_1) | instskip(NEXT) | instid1(VALU_DEP_1)
	v_add_nc_u64_e32 v[20:21], v[30:31], v[28:29]
	v_mul_u64_e32 v[24:25], s[34:35], v[20:21]
	s_delay_alu instid0(VALU_DEP_1) | instskip(NEXT) | instid1(VALU_DEP_2)
	v_sub_nc_u32_e32 v5, v26, v25
	v_sub_co_u32 v9, vcc_lo, v22, v24
	s_delay_alu instid0(VALU_DEP_1) | instskip(NEXT) | instid1(VALU_DEP_3)
	v_sub_co_ci_u32_e64 v13, null, v26, v25, vcc_lo
	v_subrev_co_ci_u32_e64 v5, null, s35, v5, vcc_lo
	s_delay_alu instid0(VALU_DEP_3) | instskip(SKIP_1) | instid1(VALU_DEP_3)
	v_sub_co_u32 v11, s1, v9, s34
	v_add_nc_u64_e32 v[22:23], 2, v[20:21]
	v_subrev_co_ci_u32_e64 v5, null, 0, v5, s1
	s_delay_alu instid0(VALU_DEP_3) | instskip(SKIP_2) | instid1(VALU_DEP_4)
	v_cmp_le_u32_e32 vcc_lo, s34, v11
	v_add_nc_u64_e32 v[24:25], 1, v[20:21]
	v_cndmask_b32_e64 v11, 0, -1, vcc_lo
	v_cmp_le_u32_e32 vcc_lo, s35, v5
	v_cndmask_b32_e64 v19, 0, -1, vcc_lo
	v_cmp_le_u32_e32 vcc_lo, s34, v9
	;; [unrolled: 2-line block ×3, first 2 shown]
	v_cndmask_b32_e64 v26, 0, -1, vcc_lo
	v_cmp_eq_u32_e32 vcc_lo, s35, v5
	v_cndmask_b32_e32 v5, v19, v11, vcc_lo
	v_cmp_eq_u32_e32 vcc_lo, s35, v13
	s_delay_alu instid0(VALU_DEP_4) | instskip(NEXT) | instid1(VALU_DEP_3)
	v_cndmask_b32_e32 v9, v26, v9, vcc_lo
	v_cmp_ne_u32_e32 vcc_lo, 0, v5
	s_delay_alu instid0(VALU_DEP_2) | instskip(SKIP_1) | instid1(VALU_DEP_1)
	v_cmp_ne_u32_e64 s1, 0, v9
	v_dual_cndmask_b32 v5, v25, v23, vcc_lo :: v_dual_cndmask_b32 v9, v24, v22, vcc_lo
	v_dual_cndmask_b32 v5, v21, v5, s1 :: v_dual_bitop2_b32 v18, s30, v18 bitop3:0x14
	s_delay_alu instid0(VALU_DEP_1) | instskip(NEXT) | instid1(VALU_DEP_2)
	v_dual_cndmask_b32 v9, v20, v9, s1 :: v_dual_mov_b32 v19, v18
	v_xor_b32_e32 v21, v5, v18
	s_delay_alu instid0(VALU_DEP_2) | instskip(NEXT) | instid1(VALU_DEP_1)
	v_xor_b32_e32 v20, v9, v18
	v_sub_nc_u64_e32 v[18:19], v[20:21], v[18:19]
.LBB50_191:                             ;   in Loop: Header=BB50_189 Depth=1
	s_and_not1_saveexec_b32 s1, s57
	s_cbranch_execz .LBB50_188
; %bb.192:                              ;   in Loop: Header=BB50_189 Depth=1
	v_cvt_f32_u32_e32 v5, s28
	s_sub_co_i32 s20, 0, s28
	v_mov_b32_e32 v19, v12
	s_delay_alu instid0(VALU_DEP_2) | instskip(SKIP_1) | instid1(TRANS32_DEP_1)
	v_rcp_iflag_f32_e32 v5, v5
	v_nop
	v_mul_f32_e32 v5, 0x4f7ffffe, v5
	s_delay_alu instid0(VALU_DEP_1) | instskip(NEXT) | instid1(VALU_DEP_1)
	v_cvt_u32_f32_e32 v5, v5
	v_mul_lo_u32 v9, s20, v5
	s_delay_alu instid0(VALU_DEP_1) | instskip(NEXT) | instid1(VALU_DEP_1)
	v_mul_hi_u32 v9, v5, v9
	v_add_nc_u32_e32 v5, v5, v9
	s_delay_alu instid0(VALU_DEP_1) | instskip(NEXT) | instid1(VALU_DEP_1)
	v_mul_hi_u32 v5, v16, v5
	v_mul_lo_u32 v9, v5, s28
	v_add_nc_u32_e32 v11, 1, v5
	s_delay_alu instid0(VALU_DEP_2) | instskip(NEXT) | instid1(VALU_DEP_1)
	v_sub_nc_u32_e32 v9, v16, v9
	v_subrev_nc_u32_e32 v13, s28, v9
	v_cmp_le_u32_e32 vcc_lo, s28, v9
	s_delay_alu instid0(VALU_DEP_2) | instskip(SKIP_1) | instid1(VALU_DEP_2)
	v_cndmask_b32_e32 v9, v9, v13, vcc_lo
	v_cndmask_b32_e32 v5, v5, v11, vcc_lo
	v_cmp_le_u32_e32 vcc_lo, s28, v9
	s_delay_alu instid0(VALU_DEP_2) | instskip(SKIP_1) | instid1(VALU_DEP_1)
	v_add_nc_u32_e32 v11, 1, v5
	s_wait_loadcnt 0x0
	v_cndmask_b32_e32 v18, v5, v11, vcc_lo
	s_branch .LBB50_188
.LBB50_193:
	s_mov_b32 s19, -1
	s_mov_b32 s21, 0
	s_mov_b32 s1, exec_lo
	v_cmpx_gt_i32_e64 v8, v10
	s_cbranch_execz .LBB50_199
; %bb.194:
	s_delay_alu instid0(VALU_DEP_2) | instskip(SKIP_3) | instid1(VALU_DEP_1)
	v_lshlrev_b64_e32 v[12:13], 2, v[14:15]
	v_dual_ashrrev_i32 v11, 31, v10 :: v_dual_ashrrev_i32 v9, 31, v8
	s_mov_b32 s19, 0
	s_xor_b32 s21, s36, -1
                                        ; implicit-def: $sgpr20
                                        ; implicit-def: $sgpr23
                                        ; implicit-def: $sgpr22
	v_lshl_add_u64 v[10:11], v[10:11], 2, v[12:13]
	v_add_nc_u64_e32 v[12:13], s[14:15], v[12:13]
	s_delay_alu instid0(VALU_DEP_2) | instskip(NEXT) | instid1(VALU_DEP_2)
	v_add_nc_u64_e32 v[10:11], s[14:15], v[10:11]
	v_lshl_add_u64 v[8:9], v[8:9], 2, v[12:13]
	s_delay_alu instid0(VALU_DEP_2)
	v_add_nc_u64_e32 v[10:11], 4, v[10:11]
	s_branch .LBB50_196
.LBB50_195:                             ;   in Loop: Header=BB50_196 Depth=1
	s_or_b32 exec_lo, exec_lo, s24
	s_delay_alu instid0(SALU_CYCLE_1) | instskip(NEXT) | instid1(SALU_CYCLE_1)
	s_and_b32 s24, exec_lo, s23
	s_or_b32 s19, s24, s19
	s_and_not1_b32 s20, s20, exec_lo
	s_and_b32 s24, s22, exec_lo
	s_delay_alu instid0(SALU_CYCLE_1)
	s_or_b32 s20, s20, s24
	s_and_not1_b32 exec_lo, exec_lo, s19
	s_cbranch_execz .LBB50_198
.LBB50_196:                             ; =>This Inner Loop Header: Depth=1
	s_or_b32 s22, s22, exec_lo
	s_or_b32 s23, s23, exec_lo
	s_mov_b32 s24, exec_lo
	s_delay_alu instid0(VALU_DEP_1)
	v_cmpx_lt_u64_e64 v[10:11], v[8:9]
	s_cbranch_execz .LBB50_195
; %bb.197:                              ;   in Loop: Header=BB50_196 Depth=1
	global_load_b64 v[12:13], v[10:11], off offset:-4
	s_wait_xcnt 0x0
	v_add_nc_u64_e32 v[10:11], 4, v[10:11]
	s_and_not1_b32 s23, s23, exec_lo
	s_and_not1_b32 s22, s22, exec_lo
	s_wait_loadcnt 0x0
	v_cmp_ge_i32_e32 vcc_lo, v12, v13
	s_or_b32 s25, s21, vcc_lo
	s_delay_alu instid0(SALU_CYCLE_1) | instskip(NEXT) | instid1(SALU_CYCLE_1)
	s_and_b32 s25, s25, exec_lo
	s_or_b32 s23, s23, s25
	s_branch .LBB50_195
.LBB50_198:
	s_or_b32 exec_lo, exec_lo, s19
	s_delay_alu instid0(SALU_CYCLE_1)
	s_mov_b32 s21, exec_lo
	s_or_not1_b32 s19, s20, exec_lo
.LBB50_199:
	s_or_b32 exec_lo, exec_lo, s1
	s_delay_alu instid0(SALU_CYCLE_1)
	s_and_b32 s1, s21, exec_lo
	s_xor_b32 s20, exec_lo, -1
	s_and_b32 s19, s19, exec_lo
.LBB50_200:
	s_or_b32 exec_lo, exec_lo, s56
	s_delay_alu instid0(SALU_CYCLE_1)
	s_and_not1_b32 s21, s49, exec_lo
	s_and_b32 s20, s20, exec_lo
	s_and_b32 s22, s1, exec_lo
	s_or_b32 s21, s21, s20
	s_xor_b32 s1, exec_lo, -1
	s_and_b32 s20, s19, exec_lo
.LBB50_201:
	s_or_b32 exec_lo, exec_lo, s55
	s_delay_alu instid0(SALU_CYCLE_1)
	s_and_b32 s19, s22, exec_lo
	s_and_not1_b32 s22, s49, exec_lo
	s_and_b32 s21, s21, exec_lo
	s_and_not1_b32 s23, s50, exec_lo
	s_and_b32 s1, s1, exec_lo
	s_or_b32 s21, s22, s21
	s_or_b32 s23, s23, s1
	s_xor_b32 s1, exec_lo, -1
	s_and_b32 s22, s20, exec_lo
.LBB50_202:
	s_or_b32 exec_lo, exec_lo, s54
	s_delay_alu instid0(SALU_CYCLE_1)
	s_and_not1_b32 s20, s49, exec_lo
	s_and_b32 s24, s21, exec_lo
	s_and_b32 s21, s19, exec_lo
	s_or_b32 s19, s20, s24
	s_and_not1_b32 s20, s50, exec_lo
	s_and_b32 s23, s23, exec_lo
	s_and_not1_b32 s24, s48, exec_lo
	s_and_b32 s1, s1, exec_lo
	s_or_b32 s20, s20, s23
	s_or_b32 s1, s24, s1
	s_or_not1_b32 s25, s22, exec_lo
.LBB50_203:
	s_or_b32 exec_lo, exec_lo, s53
	s_mov_b32 s23, 0
                                        ; implicit-def: $sgpr24
	s_and_saveexec_b32 s22, s25
	s_cbranch_execz .LBB50_207
; %bb.204:
	v_or_b32_e32 v5, 0x300, v0
	s_mov_b32 s23, -1
	s_mov_b32 s25, s1
	s_delay_alu instid0(VALU_DEP_1) | instskip(SKIP_2) | instid1(SALU_CYCLE_1)
	v_cmp_gt_i32_e64 s24, s5, v5
	s_mov_b32 s5, 0
	s_and_saveexec_b32 s26, s24
	s_xor_b32 s26, exec_lo, s26
; %bb.205:
	v_cmp_ne_u32_e32 vcc_lo, s33, v3
	s_xor_b32 s23, s42, -1
	s_and_not1_b32 s25, s1, exec_lo
	s_mov_b32 s5, exec_lo
	s_or_b32 s23, s23, vcc_lo
	s_delay_alu instid0(SALU_CYCLE_1)
	s_and_b32 s27, s23, exec_lo
	s_xor_b32 s23, exec_lo, -1
	s_or_b32 s25, s25, s27
; %bb.206:
	s_or_b32 exec_lo, exec_lo, s26
	s_delay_alu instid0(SALU_CYCLE_1)
	s_and_not1_b32 s1, s1, exec_lo
	s_and_b32 s25, s25, exec_lo
	s_and_b32 s23, s23, exec_lo
	s_and_not1_b32 s21, s21, exec_lo
	s_and_b32 s52, s5, exec_lo
	s_or_b32 s1, s1, s25
.LBB50_207:
	s_or_b32 exec_lo, exec_lo, s22
	s_delay_alu instid0(SALU_CYCLE_1)
	s_and_not1_b32 s5, s9, exec_lo
	s_and_b32 s9, s21, exec_lo
	s_and_b32 s19, s19, exec_lo
	s_or_b32 s9, s5, s9
	s_and_not1_b32 s5, s49, exec_lo
	s_and_not1_b32 s22, s50, exec_lo
	s_and_b32 s20, s20, exec_lo
	s_or_b32 s49, s5, s19
	s_and_not1_b32 s5, s48, exec_lo
	s_and_b32 s1, s1, exec_lo
	s_and_b32 s21, s23, exec_lo
	s_or_b32 s50, s22, s20
	s_and_b32 s52, s52, exec_lo
	s_or_b32 s48, s5, s1
.LBB50_208:
	s_or_b32 exec_lo, exec_lo, s51
	s_delay_alu instid0(SALU_CYCLE_1)
	s_and_not1_b32 s1, s41, exec_lo
	s_and_b32 s5, s9, exec_lo
	s_and_not1_b32 s19, s44, exec_lo
	s_or_b32 s41, s1, s5
	s_and_not1_b32 s1, s43, exec_lo
	s_and_b32 s5, s49, exec_lo
	s_and_b32 s20, s50, exec_lo
	s_or_b32 s43, s1, s5
	s_and_not1_b32 s1, s46, exec_lo
	s_and_b32 s5, s48, exec_lo
	s_and_b32 s9, s21, exec_lo
	s_or_b32 s44, s19, s20
	s_and_b32 s48, s52, exec_lo
	s_or_b32 s46, s1, s5
	s_or_b32 exec_lo, exec_lo, s47
	s_and_saveexec_b32 s1, s46
	s_cbranch_execz .LBB50_143
.LBB50_209:
	s_or_b32 s3, s3, exec_lo
	s_and_not1_b32 s48, s48, exec_lo
	s_trap 2
	s_branch .LBB50_143
.LBB50_210:
	s_or_b32 s3, s3, exec_lo
	s_trap 2
	s_branch .LBB50_76
.LBB50_211:
	s_or_b32 s3, s3, exec_lo
	s_and_not1_b32 s1, s1, exec_lo
	s_trap 2
	s_branch .LBB50_146
.LBB50_212:
	s_mov_b32 s3, exec_lo
	s_and_not1_b32 s0, s0, exec_lo
	s_trap 2
	s_branch .LBB50_67
	.section	.rodata,"a",@progbits
	.p2align	6, 0x0
	.amdhsa_kernel _ZN2at6native29vectorized_elementwise_kernelILi4EZZZNS0_12_GLOBAL__N_142_validate_compressed_sparse_indices_kernelILNS2_8CDimNameE0ENS2_18CUDAKernelLauncherENS2_14EmptyVecKernelENS2_8DummyVecELm0EEEvRKNS_6TensorESA_lllENKUlvE1_clEvENKUlvE_clEvEUliiiiiE_St5arrayIPcLm6EEEEviT0_T1_
		.amdhsa_group_segment_fixed_size 0
		.amdhsa_private_segment_fixed_size 0
		.amdhsa_kernarg_size 112
		.amdhsa_user_sgpr_count 2
		.amdhsa_user_sgpr_dispatch_ptr 0
		.amdhsa_user_sgpr_queue_ptr 0
		.amdhsa_user_sgpr_kernarg_segment_ptr 1
		.amdhsa_user_sgpr_dispatch_id 0
		.amdhsa_user_sgpr_kernarg_preload_length 0
		.amdhsa_user_sgpr_kernarg_preload_offset 0
		.amdhsa_user_sgpr_private_segment_size 0
		.amdhsa_wavefront_size32 1
		.amdhsa_uses_dynamic_stack 0
		.amdhsa_enable_private_segment 0
		.amdhsa_system_sgpr_workgroup_id_x 1
		.amdhsa_system_sgpr_workgroup_id_y 0
		.amdhsa_system_sgpr_workgroup_id_z 0
		.amdhsa_system_sgpr_workgroup_info 0
		.amdhsa_system_vgpr_workitem_id 0
		.amdhsa_next_free_vgpr 44
		.amdhsa_next_free_sgpr 74
		.amdhsa_named_barrier_count 0
		.amdhsa_reserve_vcc 1
		.amdhsa_float_round_mode_32 0
		.amdhsa_float_round_mode_16_64 0
		.amdhsa_float_denorm_mode_32 3
		.amdhsa_float_denorm_mode_16_64 3
		.amdhsa_fp16_overflow 0
		.amdhsa_memory_ordered 1
		.amdhsa_forward_progress 1
		.amdhsa_inst_pref_size 103
		.amdhsa_round_robin_scheduling 0
		.amdhsa_exception_fp_ieee_invalid_op 0
		.amdhsa_exception_fp_denorm_src 0
		.amdhsa_exception_fp_ieee_div_zero 0
		.amdhsa_exception_fp_ieee_overflow 0
		.amdhsa_exception_fp_ieee_underflow 0
		.amdhsa_exception_fp_ieee_inexact 0
		.amdhsa_exception_int_div_zero 0
	.end_amdhsa_kernel
	.section	.text._ZN2at6native29vectorized_elementwise_kernelILi4EZZZNS0_12_GLOBAL__N_142_validate_compressed_sparse_indices_kernelILNS2_8CDimNameE0ENS2_18CUDAKernelLauncherENS2_14EmptyVecKernelENS2_8DummyVecELm0EEEvRKNS_6TensorESA_lllENKUlvE1_clEvENKUlvE_clEvEUliiiiiE_St5arrayIPcLm6EEEEviT0_T1_,"axG",@progbits,_ZN2at6native29vectorized_elementwise_kernelILi4EZZZNS0_12_GLOBAL__N_142_validate_compressed_sparse_indices_kernelILNS2_8CDimNameE0ENS2_18CUDAKernelLauncherENS2_14EmptyVecKernelENS2_8DummyVecELm0EEEvRKNS_6TensorESA_lllENKUlvE1_clEvENKUlvE_clEvEUliiiiiE_St5arrayIPcLm6EEEEviT0_T1_,comdat
.Lfunc_end50:
	.size	_ZN2at6native29vectorized_elementwise_kernelILi4EZZZNS0_12_GLOBAL__N_142_validate_compressed_sparse_indices_kernelILNS2_8CDimNameE0ENS2_18CUDAKernelLauncherENS2_14EmptyVecKernelENS2_8DummyVecELm0EEEvRKNS_6TensorESA_lllENKUlvE1_clEvENKUlvE_clEvEUliiiiiE_St5arrayIPcLm6EEEEviT0_T1_, .Lfunc_end50-_ZN2at6native29vectorized_elementwise_kernelILi4EZZZNS0_12_GLOBAL__N_142_validate_compressed_sparse_indices_kernelILNS2_8CDimNameE0ENS2_18CUDAKernelLauncherENS2_14EmptyVecKernelENS2_8DummyVecELm0EEEvRKNS_6TensorESA_lllENKUlvE1_clEvENKUlvE_clEvEUliiiiiE_St5arrayIPcLm6EEEEviT0_T1_
                                        ; -- End function
	.set _ZN2at6native29vectorized_elementwise_kernelILi4EZZZNS0_12_GLOBAL__N_142_validate_compressed_sparse_indices_kernelILNS2_8CDimNameE0ENS2_18CUDAKernelLauncherENS2_14EmptyVecKernelENS2_8DummyVecELm0EEEvRKNS_6TensorESA_lllENKUlvE1_clEvENKUlvE_clEvEUliiiiiE_St5arrayIPcLm6EEEEviT0_T1_.num_vgpr, 44
	.set _ZN2at6native29vectorized_elementwise_kernelILi4EZZZNS0_12_GLOBAL__N_142_validate_compressed_sparse_indices_kernelILNS2_8CDimNameE0ENS2_18CUDAKernelLauncherENS2_14EmptyVecKernelENS2_8DummyVecELm0EEEvRKNS_6TensorESA_lllENKUlvE1_clEvENKUlvE_clEvEUliiiiiE_St5arrayIPcLm6EEEEviT0_T1_.num_agpr, 0
	.set _ZN2at6native29vectorized_elementwise_kernelILi4EZZZNS0_12_GLOBAL__N_142_validate_compressed_sparse_indices_kernelILNS2_8CDimNameE0ENS2_18CUDAKernelLauncherENS2_14EmptyVecKernelENS2_8DummyVecELm0EEEvRKNS_6TensorESA_lllENKUlvE1_clEvENKUlvE_clEvEUliiiiiE_St5arrayIPcLm6EEEEviT0_T1_.numbered_sgpr, 74
	.set _ZN2at6native29vectorized_elementwise_kernelILi4EZZZNS0_12_GLOBAL__N_142_validate_compressed_sparse_indices_kernelILNS2_8CDimNameE0ENS2_18CUDAKernelLauncherENS2_14EmptyVecKernelENS2_8DummyVecELm0EEEvRKNS_6TensorESA_lllENKUlvE1_clEvENKUlvE_clEvEUliiiiiE_St5arrayIPcLm6EEEEviT0_T1_.num_named_barrier, 0
	.set _ZN2at6native29vectorized_elementwise_kernelILi4EZZZNS0_12_GLOBAL__N_142_validate_compressed_sparse_indices_kernelILNS2_8CDimNameE0ENS2_18CUDAKernelLauncherENS2_14EmptyVecKernelENS2_8DummyVecELm0EEEvRKNS_6TensorESA_lllENKUlvE1_clEvENKUlvE_clEvEUliiiiiE_St5arrayIPcLm6EEEEviT0_T1_.private_seg_size, 0
	.set _ZN2at6native29vectorized_elementwise_kernelILi4EZZZNS0_12_GLOBAL__N_142_validate_compressed_sparse_indices_kernelILNS2_8CDimNameE0ENS2_18CUDAKernelLauncherENS2_14EmptyVecKernelENS2_8DummyVecELm0EEEvRKNS_6TensorESA_lllENKUlvE1_clEvENKUlvE_clEvEUliiiiiE_St5arrayIPcLm6EEEEviT0_T1_.uses_vcc, 1
	.set _ZN2at6native29vectorized_elementwise_kernelILi4EZZZNS0_12_GLOBAL__N_142_validate_compressed_sparse_indices_kernelILNS2_8CDimNameE0ENS2_18CUDAKernelLauncherENS2_14EmptyVecKernelENS2_8DummyVecELm0EEEvRKNS_6TensorESA_lllENKUlvE1_clEvENKUlvE_clEvEUliiiiiE_St5arrayIPcLm6EEEEviT0_T1_.uses_flat_scratch, 0
	.set _ZN2at6native29vectorized_elementwise_kernelILi4EZZZNS0_12_GLOBAL__N_142_validate_compressed_sparse_indices_kernelILNS2_8CDimNameE0ENS2_18CUDAKernelLauncherENS2_14EmptyVecKernelENS2_8DummyVecELm0EEEvRKNS_6TensorESA_lllENKUlvE1_clEvENKUlvE_clEvEUliiiiiE_St5arrayIPcLm6EEEEviT0_T1_.has_dyn_sized_stack, 0
	.set _ZN2at6native29vectorized_elementwise_kernelILi4EZZZNS0_12_GLOBAL__N_142_validate_compressed_sparse_indices_kernelILNS2_8CDimNameE0ENS2_18CUDAKernelLauncherENS2_14EmptyVecKernelENS2_8DummyVecELm0EEEvRKNS_6TensorESA_lllENKUlvE1_clEvENKUlvE_clEvEUliiiiiE_St5arrayIPcLm6EEEEviT0_T1_.has_recursion, 0
	.set _ZN2at6native29vectorized_elementwise_kernelILi4EZZZNS0_12_GLOBAL__N_142_validate_compressed_sparse_indices_kernelILNS2_8CDimNameE0ENS2_18CUDAKernelLauncherENS2_14EmptyVecKernelENS2_8DummyVecELm0EEEvRKNS_6TensorESA_lllENKUlvE1_clEvENKUlvE_clEvEUliiiiiE_St5arrayIPcLm6EEEEviT0_T1_.has_indirect_call, 0
	.section	.AMDGPU.csdata,"",@progbits
; Kernel info:
; codeLenInByte = 13060
; TotalNumSgprs: 76
; NumVgprs: 44
; ScratchSize: 0
; MemoryBound: 0
; FloatMode: 240
; IeeeMode: 1
; LDSByteSize: 0 bytes/workgroup (compile time only)
; SGPRBlocks: 0
; VGPRBlocks: 2
; NumSGPRsForWavesPerEU: 76
; NumVGPRsForWavesPerEU: 44
; NamedBarCnt: 0
; Occupancy: 16
; WaveLimiterHint : 0
; COMPUTE_PGM_RSRC2:SCRATCH_EN: 0
; COMPUTE_PGM_RSRC2:USER_SGPR: 2
; COMPUTE_PGM_RSRC2:TRAP_HANDLER: 0
; COMPUTE_PGM_RSRC2:TGID_X_EN: 1
; COMPUTE_PGM_RSRC2:TGID_Y_EN: 0
; COMPUTE_PGM_RSRC2:TGID_Z_EN: 0
; COMPUTE_PGM_RSRC2:TIDIG_COMP_CNT: 0
	.section	.text._ZN2at6native29vectorized_elementwise_kernelILi2EZZZNS0_12_GLOBAL__N_142_validate_compressed_sparse_indices_kernelILNS2_8CDimNameE0ENS2_18CUDAKernelLauncherENS2_14EmptyVecKernelENS2_8DummyVecELm0EEEvRKNS_6TensorESA_lllENKUlvE1_clEvENKUlvE_clEvEUliiiiiE_St5arrayIPcLm6EEEEviT0_T1_,"axG",@progbits,_ZN2at6native29vectorized_elementwise_kernelILi2EZZZNS0_12_GLOBAL__N_142_validate_compressed_sparse_indices_kernelILNS2_8CDimNameE0ENS2_18CUDAKernelLauncherENS2_14EmptyVecKernelENS2_8DummyVecELm0EEEvRKNS_6TensorESA_lllENKUlvE1_clEvENKUlvE_clEvEUliiiiiE_St5arrayIPcLm6EEEEviT0_T1_,comdat
	.globl	_ZN2at6native29vectorized_elementwise_kernelILi2EZZZNS0_12_GLOBAL__N_142_validate_compressed_sparse_indices_kernelILNS2_8CDimNameE0ENS2_18CUDAKernelLauncherENS2_14EmptyVecKernelENS2_8DummyVecELm0EEEvRKNS_6TensorESA_lllENKUlvE1_clEvENKUlvE_clEvEUliiiiiE_St5arrayIPcLm6EEEEviT0_T1_ ; -- Begin function _ZN2at6native29vectorized_elementwise_kernelILi2EZZZNS0_12_GLOBAL__N_142_validate_compressed_sparse_indices_kernelILNS2_8CDimNameE0ENS2_18CUDAKernelLauncherENS2_14EmptyVecKernelENS2_8DummyVecELm0EEEvRKNS_6TensorESA_lllENKUlvE1_clEvENKUlvE_clEvEUliiiiiE_St5arrayIPcLm6EEEEviT0_T1_
	.p2align	8
	.type	_ZN2at6native29vectorized_elementwise_kernelILi2EZZZNS0_12_GLOBAL__N_142_validate_compressed_sparse_indices_kernelILNS2_8CDimNameE0ENS2_18CUDAKernelLauncherENS2_14EmptyVecKernelENS2_8DummyVecELm0EEEvRKNS_6TensorESA_lllENKUlvE1_clEvENKUlvE_clEvEUliiiiiE_St5arrayIPcLm6EEEEviT0_T1_,@function
_ZN2at6native29vectorized_elementwise_kernelILi2EZZZNS0_12_GLOBAL__N_142_validate_compressed_sparse_indices_kernelILNS2_8CDimNameE0ENS2_18CUDAKernelLauncherENS2_14EmptyVecKernelENS2_8DummyVecELm0EEEvRKNS_6TensorESA_lllENKUlvE1_clEvENKUlvE_clEvEUliiiiiE_St5arrayIPcLm6EEEEviT0_T1_: ; @_ZN2at6native29vectorized_elementwise_kernelILi2EZZZNS0_12_GLOBAL__N_142_validate_compressed_sparse_indices_kernelILNS2_8CDimNameE0ENS2_18CUDAKernelLauncherENS2_14EmptyVecKernelENS2_8DummyVecELm0EEEvRKNS_6TensorESA_lllENKUlvE1_clEvENKUlvE_clEvEUliiiiiE_St5arrayIPcLm6EEEEviT0_T1_
; %bb.0:
	s_clause 0x3
	s_load_b32 s3, s[0:1], 0x0
	s_load_b32 s33, s[0:1], 0x8
	s_load_b512 s[4:19], s[0:1], 0x10
	s_load_b256 s[20:27], s[0:1], 0x50
	s_wait_xcnt 0x0
	s_bfe_u32 s0, ttmp6, 0x4000c
	s_and_b32 s1, ttmp6, 15
	s_add_co_i32 s0, s0, 1
	s_getreg_b32 s2, hwreg(HW_REG_IB_STS2, 6, 4)
	s_mul_i32 s0, ttmp9, s0
	s_wait_kmcnt 0x0
	s_mov_b32 s9, 0
	s_add_co_i32 s1, s1, s0
	s_cmp_eq_u32 s2, 0
	s_get_pc_i64 s[28:29]
	s_add_nc_u64 s[28:29], s[28:29], .str.1@rel64+4
	s_cselect_b32 s0, ttmp9, s1
	s_delay_alu instid0(SALU_CYCLE_1)
	s_lshl_b32 s2, s0, 10
	s_mov_b32 s0, -1
	s_sub_co_i32 s5, s3, s2
	s_mov_b32 s3, 0
	s_cmp_gt_i32 s5, 0x3ff
	s_cbranch_scc0 .LBB51_77
; %bb.1:
	s_cmp_eq_u64 s[28:29], 0
	s_cselect_b32 s0, -1, 0
	s_cmp_lg_u64 s[28:29], 0
	s_cbranch_scc0 .LBB51_75
; %bb.2:
	s_ashr_i32 s3, s2, 31
	v_lshlrev_b32_e32 v10, 3, v0
	s_lshl_b64 s[30:31], s[2:3], 2
	s_mov_b32 s0, -1
	s_add_nc_u64 s[36:37], s[18:19], s[30:31]
	s_mov_b32 s3, 0
	global_load_b32 v1, v10, s[36:37]
	s_mov_b32 s48, exec_lo
	s_wait_loadcnt 0x0
	v_cmpx_eq_u32_e64 s33, v1
	s_cbranch_execz .LBB51_74
; %bb.3:
	s_add_nc_u64 s[38:39], s[20:21], s[30:31]
	s_get_pc_i64 s[34:35]
	s_add_nc_u64 s[34:35], s[34:35], .str.2@rel64+4
	global_load_b64 v[8:9], v0, s[38:39] scale_offset
	s_cmp_lg_u64 s[34:35], 0
	v_mov_b32_e32 v11, 0
	s_cselect_b32 s1, -1, 0
	s_mov_b32 s40, -1
	s_mov_b32 s0, 0
	s_mov_b32 s35, 0
	;; [unrolled: 1-line block ×3, first 2 shown]
                                        ; implicit-def: $sgpr49
                                        ; implicit-def: $sgpr50
                                        ; implicit-def: $sgpr34
                                        ; implicit-def: $sgpr53
                                        ; implicit-def: $vgpr6_vgpr7
                                        ; implicit-def: $vgpr2_vgpr3
                                        ; implicit-def: $vgpr4_vgpr5
	s_wait_loadcnt 0x0
	v_cmp_eq_u32_e32 vcc_lo, s6, v8
	s_and_b32 s41, s1, vcc_lo
	s_mov_b32 s1, 0
	s_and_saveexec_b32 s51, s41
	s_cbranch_execz .LBB51_66
; %bb.4:
	s_add_nc_u64 s[40:41], s[22:23], s[30:31]
	s_add_nc_u64 s[42:43], s[24:25], s[30:31]
	s_clause 0x1
	global_load_b64 v[16:17], v0, s[40:41] scale_offset
	global_load_b64 v[14:15], v0, s[42:43] scale_offset
	s_get_pc_i64 s[46:47]
	s_add_nc_u64 s[46:47], s[46:47], .str.3@rel64+4
	s_mov_b32 s35, -1
	s_cmp_lg_u64 s[46:47], 0
	s_mov_b32 s44, 0
	s_cselect_b32 s1, -1, 0
	s_mov_b32 s45, 0
	s_mov_b32 s46, 0
                                        ; implicit-def: $sgpr49
                                        ; implicit-def: $sgpr50
                                        ; implicit-def: $sgpr34
                                        ; implicit-def: $vgpr6_vgpr7
                                        ; implicit-def: $vgpr2_vgpr3
                                        ; implicit-def: $vgpr4_vgpr5
	s_wait_loadcnt 0x0
	v_sub_nc_u32_e32 v1, v14, v16
	s_delay_alu instid0(VALU_DEP_1) | instskip(SKIP_2) | instid1(SALU_CYCLE_1)
	v_cmp_le_i32_e32 vcc_lo, s33, v1
	v_cmp_ge_i32_e64 s0, s4, v1
	s_and_b32 s0, vcc_lo, s0
	s_and_b32 s0, s1, s0
	s_mov_b32 s1, 0
	s_and_saveexec_b32 s52, s0
	s_cbranch_execz .LBB51_65
; %bb.5:
	v_mov_b32_e32 v20, 0
	v_add_nc_u64_e32 v[22:23], s[36:37], v[10:11]
	v_add_nc_u64_e32 v[24:25], s[38:39], v[10:11]
	s_add_nc_u64 s[0:1], s[26:27], s[30:31]
	s_add_co_i32 s34, s8, -1
	v_mov_b32_e32 v11, v20
	s_cmp_gt_i32 s34, -1
	s_delay_alu instid0(VALU_DEP_1)
	v_add_nc_u64_e32 v[26:27], s[40:41], v[10:11]
	v_add_nc_u64_e32 v[28:29], s[42:43], v[10:11]
	s_clause 0x1
	global_load_b32 v1, v[22:23], off offset:4
	global_load_b64 v[12:13], v[22:23], off offset:2048
	global_load_b64 v[10:11], v[24:25], off offset:2048
	;; [unrolled: 1-line block ×4, first 2 shown]
	s_clause 0x1
	global_load_b64 v[18:19], v0, s[0:1] scale_offset
	global_load_b64 v[6:7], v0, s[0:1] offset:2048 scale_offset
	s_wait_xcnt 0x0
	v_cmp_gt_i64_e64 s0, s[6:7], 0
	v_mov_b64_e32 v[22:23], 0
	s_cselect_b32 s1, -1, 0
	s_delay_alu instid0(SALU_CYCLE_1) | instskip(NEXT) | instid1(SALU_CYCLE_1)
	s_and_b32 s50, s0, s1
	s_and_not1_b32 vcc_lo, exec_lo, s50
	s_cbranch_vccnz .LBB51_12
; %bb.6:
	s_wait_loadcnt 0x1
	v_dual_mov_b32 v22, v18 :: v_dual_ashrrev_i32 v23, 31, v18
	s_mov_b32 s1, 0
	s_mov_b64 s[36:37], 0xffffffff
	s_mov_b32 s35, s1
	s_delay_alu instid0(VALU_DEP_1)
	v_mul_u64_e32 v[24:25], s[6:7], v[22:23]
	v_mov_b64_e32 v[22:23], 0
	s_lshl_b64 s[40:41], s[34:35], 3
	s_mov_b32 s35, s8
	s_add_nc_u64 s[38:39], s[10:11], s[40:41]
	s_add_nc_u64 s[40:41], s[12:13], s[40:41]
	s_branch .LBB51_8
.LBB51_7:                               ;   in Loop: Header=BB51_8 Depth=1
	s_or_b32 exec_lo, exec_lo, s0
	s_delay_alu instid0(VALU_DEP_1)
	v_mul_u64_e32 v[28:29], s[42:43], v[26:27]
	s_load_b64 s[42:43], s[40:41], 0x0
	s_add_co_i32 s35, s35, -1
	s_add_nc_u64 s[38:39], s[38:39], -8
	s_cmp_eq_u32 s35, 0
	s_wait_xcnt 0x0
	s_add_nc_u64 s[40:41], s[40:41], -8
	s_delay_alu instid0(VALU_DEP_1) | instskip(SKIP_1) | instid1(VALU_DEP_1)
	v_sub_nc_u64_e32 v[24:25], v[24:25], v[28:29]
	s_wait_kmcnt 0x0
	v_mad_nc_u64_u32 v[22:23], v24, s42, v[22:23]
	s_delay_alu instid0(VALU_DEP_1) | instskip(NEXT) | instid1(VALU_DEP_1)
	v_mad_u32 v18, v25, s42, v23
	v_mad_u32 v23, v24, s43, v18
	v_mov_b64_e32 v[24:25], v[26:27]
	s_cbranch_scc1 .LBB51_12
.LBB51_8:                               ; =>This Inner Loop Header: Depth=1
	s_load_b64 s[42:43], s[38:39], 0x0
                                        ; implicit-def: $vgpr26_vgpr27
	s_mov_b32 s0, exec_lo
	s_wait_kmcnt 0x0
	s_delay_alu instid0(VALU_DEP_1) | instskip(NEXT) | instid1(VALU_DEP_1)
	v_or_b32_e32 v21, s43, v25
	v_cmpx_ne_u64_e32 0, v[20:21]
	s_xor_b32 s49, exec_lo, s0
	s_cbranch_execz .LBB51_10
; %bb.9:                                ;   in Loop: Header=BB51_8 Depth=1
	s_ashr_i32 s44, s43, 31
	v_dual_mov_b32 v31, v20 :: v_dual_ashrrev_i32 v26, 31, v25
	s_mov_b32 s45, s44
	s_delay_alu instid0(SALU_CYCLE_1) | instskip(NEXT) | instid1(VALU_DEP_1)
	s_add_nc_u64 s[46:47], s[42:43], s[44:45]
	v_mov_b32_e32 v27, v26
	s_xor_b64 s[46:47], s[46:47], s[44:45]
	s_delay_alu instid0(SALU_CYCLE_1)
	s_cvt_f32_u32 s0, s46
	s_cvt_f32_u32 s45, s47
	s_sub_nc_u64 s[56:57], 0, s[46:47]
	v_add_nc_u64_e32 v[28:29], v[24:25], v[26:27]
	v_mov_b32_e32 v35, v20
	s_fmamk_f32 s0, s45, 0x4f800000, s0
	s_delay_alu instid0(SALU_CYCLE_3) | instskip(NEXT) | instid1(VALU_DEP_2)
	v_s_rcp_f32 s0, s0
	v_xor_b32_e32 v30, v28, v26
	s_delay_alu instid0(VALU_DEP_3) | instskip(NEXT) | instid1(TRANS32_DEP_1)
	v_dual_mov_b32 v39, v20 :: v_dual_bitop2_b32 v34, v29, v26 bitop3:0x14
	s_mul_f32 s0, s0, 0x5f7ffffc
	s_delay_alu instid0(SALU_CYCLE_3) | instskip(NEXT) | instid1(SALU_CYCLE_3)
	s_mul_f32 s45, s0, 0x2f800000
	s_trunc_f32 s45, s45
	s_delay_alu instid0(SALU_CYCLE_3) | instskip(SKIP_1) | instid1(SALU_CYCLE_2)
	s_fmamk_f32 s0, s45, 0xcf800000, s0
	s_cvt_u32_f32 s55, s45
	s_cvt_u32_f32 s54, s0
	s_delay_alu instid0(SALU_CYCLE_3) | instskip(NEXT) | instid1(SALU_CYCLE_1)
	s_mul_u64 s[58:59], s[56:57], s[54:55]
	s_mul_hi_u32 s61, s54, s59
	s_mul_i32 s60, s54, s59
	s_mul_hi_u32 s0, s54, s58
	s_mul_i32 s53, s55, s58
	s_add_nc_u64 s[60:61], s[0:1], s[60:61]
	s_mul_hi_u32 s45, s55, s58
	s_mul_hi_u32 s62, s55, s59
	s_add_co_u32 s0, s60, s53
	s_add_co_ci_u32 s0, s61, s45
	s_mul_i32 s58, s55, s59
	s_add_co_ci_u32 s59, s62, 0
	s_delay_alu instid0(SALU_CYCLE_1) | instskip(NEXT) | instid1(SALU_CYCLE_1)
	s_add_nc_u64 s[58:59], s[0:1], s[58:59]
	s_add_co_u32 s54, s54, s58
	s_cselect_b32 s0, -1, 0
	s_delay_alu instid0(SALU_CYCLE_1) | instskip(SKIP_1) | instid1(SALU_CYCLE_1)
	s_cmp_lg_u32 s0, 0
	s_add_co_ci_u32 s55, s55, s59
	s_mul_u64 s[56:57], s[56:57], s[54:55]
	s_delay_alu instid0(SALU_CYCLE_1)
	s_mul_hi_u32 s59, s54, s57
	s_mul_i32 s58, s54, s57
	s_mul_hi_u32 s0, s54, s56
	s_mul_i32 s53, s55, s56
	s_add_nc_u64 s[58:59], s[0:1], s[58:59]
	s_mul_hi_u32 s45, s55, s56
	s_mul_hi_u32 s60, s55, s57
	s_add_co_u32 s0, s58, s53
	s_add_co_ci_u32 s0, s59, s45
	s_mul_i32 s56, s55, s57
	s_add_co_ci_u32 s57, s60, 0
	s_delay_alu instid0(SALU_CYCLE_1) | instskip(NEXT) | instid1(SALU_CYCLE_1)
	s_add_nc_u64 s[56:57], s[0:1], s[56:57]
	s_add_co_u32 s54, s54, s56
	s_cselect_b32 s0, -1, 0
	v_mul_hi_u32 v38, v30, s54
	s_cmp_lg_u32 s0, 0
	s_add_co_ci_u32 s0, s55, s57
	s_and_b64 s[56:57], s[54:55], s[36:37]
	v_mul_u64_e32 v[32:33], s[0:1], v[30:31]
	v_mul_u64_e32 v[28:29], s[56:57], v[34:35]
	;; [unrolled: 1-line block ×3, first 2 shown]
	s_delay_alu instid0(VALU_DEP_3) | instskip(NEXT) | instid1(VALU_DEP_1)
	v_add_nc_u64_e32 v[32:33], v[38:39], v[32:33]
	v_add_co_u32 v18, vcc_lo, v32, v28
	s_delay_alu instid0(VALU_DEP_2) | instskip(NEXT) | instid1(VALU_DEP_4)
	v_add_co_ci_u32_e32 v38, vcc_lo, v33, v29, vcc_lo
	v_add_co_ci_u32_e32 v37, vcc_lo, 0, v37, vcc_lo
	s_delay_alu instid0(VALU_DEP_1) | instskip(NEXT) | instid1(VALU_DEP_1)
	v_add_nc_u64_e32 v[28:29], v[38:39], v[36:37]
	v_mul_u64_e32 v[32:33], s[46:47], v[28:29]
	s_delay_alu instid0(VALU_DEP_1) | instskip(NEXT) | instid1(VALU_DEP_2)
	v_sub_nc_u32_e32 v18, v34, v33
	v_sub_co_u32 v21, vcc_lo, v30, v32
	s_delay_alu instid0(VALU_DEP_1) | instskip(NEXT) | instid1(VALU_DEP_3)
	v_sub_co_ci_u32_e64 v34, null, v34, v33, vcc_lo
	v_subrev_co_ci_u32_e64 v18, null, s47, v18, vcc_lo
	s_delay_alu instid0(VALU_DEP_3) | instskip(SKIP_1) | instid1(VALU_DEP_3)
	v_sub_co_u32 v27, s0, v21, s46
	v_add_nc_u64_e32 v[32:33], 1, v[28:29]
	v_subrev_co_ci_u32_e64 v18, null, 0, v18, s0
	s_delay_alu instid0(VALU_DEP_3) | instskip(SKIP_1) | instid1(VALU_DEP_3)
	v_cmp_le_u32_e32 vcc_lo, s46, v27
	v_cndmask_b32_e64 v27, 0, -1, vcc_lo
	v_cmp_le_u32_e32 vcc_lo, s47, v18
	v_cndmask_b32_e64 v30, 0, -1, vcc_lo
	;; [unrolled: 2-line block ×4, first 2 shown]
	v_cmp_eq_u32_e32 vcc_lo, s47, v18
	v_cndmask_b32_e32 v18, v30, v27, vcc_lo
	v_cmp_eq_u32_e32 vcc_lo, s47, v34
	v_add_nc_u64_e32 v[30:31], 2, v[28:29]
	v_cndmask_b32_e32 v21, v35, v21, vcc_lo
	s_delay_alu instid0(VALU_DEP_4) | instskip(NEXT) | instid1(VALU_DEP_2)
	v_cmp_ne_u32_e32 vcc_lo, 0, v18
	v_cmp_ne_u32_e64 s0, 0, v21
	s_delay_alu instid0(VALU_DEP_4) | instskip(NEXT) | instid1(VALU_DEP_1)
	v_dual_cndmask_b32 v18, v33, v31 :: v_dual_cndmask_b32 v21, v32, v30
	v_dual_cndmask_b32 v21, v28, v21, s0 :: v_dual_bitop2_b32 v26, s44, v26 bitop3:0x14
	s_delay_alu instid0(VALU_DEP_1) | instskip(NEXT) | instid1(VALU_DEP_2)
	v_dual_cndmask_b32 v18, v29, v18, s0 :: v_dual_mov_b32 v27, v26
	v_xor_b32_e32 v28, v21, v26
	s_delay_alu instid0(VALU_DEP_2) | instskip(NEXT) | instid1(VALU_DEP_1)
	v_xor_b32_e32 v29, v18, v26
	v_sub_nc_u64_e32 v[26:27], v[28:29], v[26:27]
.LBB51_10:                              ;   in Loop: Header=BB51_8 Depth=1
	s_and_not1_saveexec_b32 s0, s49
	s_cbranch_execz .LBB51_7
; %bb.11:                               ;   in Loop: Header=BB51_8 Depth=1
	v_cvt_f32_u32_e32 v18, s42
	s_sub_co_i32 s44, 0, s42
	s_delay_alu instid0(VALU_DEP_1) | instskip(SKIP_1) | instid1(TRANS32_DEP_1)
	v_rcp_iflag_f32_e32 v18, v18
	v_nop
	v_mul_f32_e32 v18, 0x4f7ffffe, v18
	s_delay_alu instid0(VALU_DEP_1) | instskip(NEXT) | instid1(VALU_DEP_1)
	v_cvt_u32_f32_e32 v18, v18
	v_mul_lo_u32 v21, s44, v18
	s_delay_alu instid0(VALU_DEP_1) | instskip(NEXT) | instid1(VALU_DEP_1)
	v_mul_hi_u32 v21, v18, v21
	v_add_nc_u32_e32 v18, v18, v21
	s_delay_alu instid0(VALU_DEP_1) | instskip(NEXT) | instid1(VALU_DEP_1)
	v_mul_hi_u32 v18, v24, v18
	v_mul_lo_u32 v21, v18, s42
	s_delay_alu instid0(VALU_DEP_1) | instskip(NEXT) | instid1(VALU_DEP_1)
	v_dual_add_nc_u32 v26, 1, v18 :: v_dual_sub_nc_u32 v21, v24, v21
	v_subrev_nc_u32_e32 v27, s42, v21
	v_cmp_le_u32_e32 vcc_lo, s42, v21
	s_delay_alu instid0(VALU_DEP_2) | instskip(NEXT) | instid1(VALU_DEP_4)
	v_dual_cndmask_b32 v21, v21, v27, vcc_lo :: v_dual_mov_b32 v27, v20
	v_cndmask_b32_e32 v18, v18, v26, vcc_lo
	s_delay_alu instid0(VALU_DEP_2) | instskip(NEXT) | instid1(VALU_DEP_2)
	v_cmp_le_u32_e32 vcc_lo, s42, v21
	v_add_nc_u32_e32 v26, 1, v18
	s_delay_alu instid0(VALU_DEP_1)
	v_cndmask_b32_e32 v26, v18, v26, vcc_lo
	s_branch .LBB51_7
.LBB51_12:
	s_get_pc_i64 s[0:1]
	s_add_nc_u64 s[0:1], s[0:1], .str.4@rel64+4
	s_mov_b32 s35, -1
	s_cmp_lg_u64 s[0:1], 0
	s_mov_b32 s0, 0
	s_cselect_b32 s49, -1, 0
	s_mov_b32 s53, 0
	s_mov_b32 s1, exec_lo
	v_cmpx_gt_i32_e64 v14, v16
	s_cbranch_execz .LBB51_18
; %bb.13:
	v_lshlrev_b64_e32 v[20:21], 2, v[22:23]
	v_dual_mov_b32 v22, v16 :: v_dual_ashrrev_i32 v23, 31, v16
	v_dual_mov_b32 v26, v14 :: v_dual_ashrrev_i32 v27, 31, v14
	s_mov_b32 s35, 0
	s_xor_b32 s37, s49, -1
	s_delay_alu instid0(VALU_DEP_2) | instskip(SKIP_1) | instid1(VALU_DEP_2)
	v_lshl_add_u64 v[22:23], v[22:23], 2, v[20:21]
	v_add_nc_u64_e32 v[24:25], s[14:15], v[20:21]
                                        ; implicit-def: $sgpr36
                                        ; implicit-def: $sgpr39
                                        ; implicit-def: $sgpr38
	v_add_nc_u64_e32 v[22:23], s[14:15], v[22:23]
	s_delay_alu instid0(VALU_DEP_1) | instskip(NEXT) | instid1(VALU_DEP_3)
	v_add_nc_u64_e32 v[20:21], 4, v[22:23]
	v_lshl_add_u64 v[22:23], v[26:27], 2, v[24:25]
	s_branch .LBB51_15
.LBB51_14:                              ;   in Loop: Header=BB51_15 Depth=1
	s_or_b32 exec_lo, exec_lo, s40
	s_delay_alu instid0(SALU_CYCLE_1) | instskip(NEXT) | instid1(SALU_CYCLE_1)
	s_and_b32 s40, exec_lo, s39
	s_or_b32 s35, s40, s35
	s_and_not1_b32 s36, s36, exec_lo
	s_and_b32 s40, s38, exec_lo
	s_delay_alu instid0(SALU_CYCLE_1)
	s_or_b32 s36, s36, s40
	s_and_not1_b32 exec_lo, exec_lo, s35
	s_cbranch_execz .LBB51_17
.LBB51_15:                              ; =>This Inner Loop Header: Depth=1
	s_or_b32 s38, s38, exec_lo
	s_or_b32 s39, s39, exec_lo
	s_mov_b32 s40, exec_lo
	s_delay_alu instid0(VALU_DEP_2)
	v_cmpx_lt_u64_e64 v[20:21], v[22:23]
	s_cbranch_execz .LBB51_14
; %bb.16:                               ;   in Loop: Header=BB51_15 Depth=1
	global_load_b64 v[24:25], v[20:21], off offset:-4
	s_wait_xcnt 0x0
	v_add_nc_u64_e32 v[20:21], 4, v[20:21]
	s_and_not1_b32 s39, s39, exec_lo
	s_and_not1_b32 s38, s38, exec_lo
	s_wait_loadcnt 0x0
	v_cmp_ge_i32_e32 vcc_lo, v24, v25
	s_or_b32 s41, s37, vcc_lo
	s_delay_alu instid0(SALU_CYCLE_1) | instskip(NEXT) | instid1(SALU_CYCLE_1)
	s_and_b32 s41, s41, exec_lo
	s_or_b32 s39, s39, s41
	s_branch .LBB51_14
.LBB51_17:
	s_or_b32 exec_lo, exec_lo, s35
	s_delay_alu instid0(SALU_CYCLE_1)
	s_mov_b32 s53, exec_lo
	s_or_not1_b32 s35, s36, exec_lo
.LBB51_18:
	s_or_b32 exec_lo, exec_lo, s1
	s_mov_b32 s36, 0
	s_mov_b32 s37, 0
	;; [unrolled: 1-line block ×3, first 2 shown]
	s_and_saveexec_b32 s54, s35
	s_cbranch_execz .LBB51_64
; %bb.19:
	s_mov_b32 s0, 0
	s_mov_b32 s1, -1
	s_mov_b32 s35, 0
	s_mov_b32 s55, exec_lo
	s_wait_loadcnt 0x6
	v_cmpx_eq_u32_e64 s33, v1
	s_cbranch_execz .LBB51_63
; %bb.20:
	s_mov_b32 s0, -1
	s_mov_b32 s38, 0
	s_mov_b32 s39, 0
	s_mov_b32 s56, exec_lo
	v_cmpx_eq_u32_e64 v9, v8
	s_cbranch_execz .LBB51_62
; %bb.21:
	v_sub_nc_u32_e32 v1, v15, v17
	s_mov_b32 s35, -1
	s_mov_b32 s1, 0
	s_delay_alu instid0(VALU_DEP_1) | instskip(SKIP_2) | instid1(SALU_CYCLE_1)
	v_cmp_le_i32_e32 vcc_lo, s33, v1
	v_cmp_ge_i32_e64 s0, s4, v1
	s_and_b32 s0, vcc_lo, s0
	s_and_saveexec_b32 s57, s0
	s_cbranch_execz .LBB51_61
; %bb.22:
	v_mov_b64_e32 v[20:21], 0
	s_and_not1_b32 vcc_lo, exec_lo, s50
	s_cbranch_vccnz .LBB51_29
; %bb.23:
	s_wait_loadcnt 0x1
	v_dual_mov_b32 v20, v19 :: v_dual_ashrrev_i32 v21, 31, v19
	s_mov_b32 s35, s1
	v_mov_b32_e32 v18, 0
	s_lshl_b64 s[40:41], s[34:35], 3
	s_mov_b64 s[36:37], 0xffffffff
	v_mul_u64_e32 v[22:23], s[6:7], v[20:21]
	v_mov_b64_e32 v[20:21], 0
	s_add_nc_u64 s[38:39], s[10:11], s[40:41]
	s_add_nc_u64 s[40:41], s[12:13], s[40:41]
	s_mov_b32 s35, s8
	s_branch .LBB51_25
.LBB51_24:                              ;   in Loop: Header=BB51_25 Depth=1
	s_or_b32 exec_lo, exec_lo, s0
	s_delay_alu instid0(VALU_DEP_1)
	v_mul_u64_e32 v[26:27], s[42:43], v[24:25]
	s_load_b64 s[42:43], s[40:41], 0x0
	s_add_co_i32 s35, s35, -1
	s_add_nc_u64 s[38:39], s[38:39], -8
	s_cmp_lg_u32 s35, 0
	s_wait_xcnt 0x0
	s_add_nc_u64 s[40:41], s[40:41], -8
	s_delay_alu instid0(VALU_DEP_1) | instskip(SKIP_1) | instid1(VALU_DEP_1)
	v_sub_nc_u64_e32 v[22:23], v[22:23], v[26:27]
	s_wait_kmcnt 0x0
	v_mad_nc_u64_u32 v[20:21], v22, s42, v[20:21]
	s_delay_alu instid0(VALU_DEP_1) | instskip(NEXT) | instid1(VALU_DEP_1)
	v_mad_u32 v1, v23, s42, v21
	v_mad_u32 v21, v22, s43, v1
	v_mov_b64_e32 v[22:23], v[24:25]
	s_cbranch_scc0 .LBB51_29
.LBB51_25:                              ; =>This Inner Loop Header: Depth=1
	s_load_b64 s[42:43], s[38:39], 0x0
                                        ; implicit-def: $vgpr24_vgpr25
	s_mov_b32 s0, exec_lo
	s_wait_kmcnt 0x0
	s_delay_alu instid0(VALU_DEP_1) | instskip(NEXT) | instid1(VALU_DEP_1)
	v_or_b32_e32 v19, s43, v23
	v_cmpx_ne_u64_e32 0, v[18:19]
	s_xor_b32 s58, exec_lo, s0
	s_cbranch_execz .LBB51_27
; %bb.26:                               ;   in Loop: Header=BB51_25 Depth=1
	s_ashr_i32 s44, s43, 31
	v_dual_mov_b32 v29, v18 :: v_dual_ashrrev_i32 v24, 31, v23
	s_mov_b32 s45, s44
	s_delay_alu instid0(SALU_CYCLE_1) | instskip(NEXT) | instid1(VALU_DEP_1)
	s_add_nc_u64 s[46:47], s[42:43], s[44:45]
	v_mov_b32_e32 v25, v24
	s_xor_b64 s[46:47], s[46:47], s[44:45]
	s_delay_alu instid0(SALU_CYCLE_1)
	s_cvt_f32_u32 s0, s46
	s_cvt_f32_u32 s45, s47
	s_sub_nc_u64 s[62:63], 0, s[46:47]
	v_add_nc_u64_e32 v[26:27], v[22:23], v[24:25]
	v_mov_b32_e32 v33, v18
	s_fmamk_f32 s0, s45, 0x4f800000, s0
	s_delay_alu instid0(SALU_CYCLE_3) | instskip(NEXT) | instid1(VALU_DEP_2)
	v_s_rcp_f32 s0, s0
	v_xor_b32_e32 v28, v26, v24
	s_delay_alu instid0(VALU_DEP_3) | instskip(NEXT) | instid1(TRANS32_DEP_1)
	v_dual_mov_b32 v37, v18 :: v_dual_bitop2_b32 v32, v27, v24 bitop3:0x14
	s_mul_f32 s0, s0, 0x5f7ffffc
	s_delay_alu instid0(SALU_CYCLE_3) | instskip(NEXT) | instid1(SALU_CYCLE_3)
	s_mul_f32 s45, s0, 0x2f800000
	s_trunc_f32 s45, s45
	s_delay_alu instid0(SALU_CYCLE_3) | instskip(SKIP_1) | instid1(SALU_CYCLE_2)
	s_fmamk_f32 s0, s45, 0xcf800000, s0
	s_cvt_u32_f32 s61, s45
	s_cvt_u32_f32 s60, s0
	s_delay_alu instid0(SALU_CYCLE_3) | instskip(NEXT) | instid1(SALU_CYCLE_1)
	s_mul_u64 s[64:65], s[62:63], s[60:61]
	s_mul_hi_u32 s67, s60, s65
	s_mul_i32 s66, s60, s65
	s_mul_hi_u32 s0, s60, s64
	s_mul_i32 s59, s61, s64
	s_add_nc_u64 s[66:67], s[0:1], s[66:67]
	s_mul_hi_u32 s45, s61, s64
	s_mul_hi_u32 s68, s61, s65
	s_add_co_u32 s0, s66, s59
	s_add_co_ci_u32 s0, s67, s45
	s_mul_i32 s64, s61, s65
	s_add_co_ci_u32 s65, s68, 0
	s_delay_alu instid0(SALU_CYCLE_1) | instskip(NEXT) | instid1(SALU_CYCLE_1)
	s_add_nc_u64 s[64:65], s[0:1], s[64:65]
	s_add_co_u32 s60, s60, s64
	s_cselect_b32 s0, -1, 0
	s_delay_alu instid0(SALU_CYCLE_1) | instskip(SKIP_1) | instid1(SALU_CYCLE_1)
	s_cmp_lg_u32 s0, 0
	s_add_co_ci_u32 s61, s61, s65
	s_mul_u64 s[62:63], s[62:63], s[60:61]
	s_delay_alu instid0(SALU_CYCLE_1)
	s_mul_hi_u32 s65, s60, s63
	s_mul_i32 s64, s60, s63
	s_mul_hi_u32 s0, s60, s62
	s_mul_i32 s59, s61, s62
	s_add_nc_u64 s[64:65], s[0:1], s[64:65]
	s_mul_hi_u32 s45, s61, s62
	s_mul_hi_u32 s66, s61, s63
	s_add_co_u32 s0, s64, s59
	s_add_co_ci_u32 s0, s65, s45
	s_mul_i32 s62, s61, s63
	s_add_co_ci_u32 s63, s66, 0
	s_delay_alu instid0(SALU_CYCLE_1) | instskip(NEXT) | instid1(SALU_CYCLE_1)
	s_add_nc_u64 s[62:63], s[0:1], s[62:63]
	s_add_co_u32 s60, s60, s62
	s_cselect_b32 s0, -1, 0
	v_mul_hi_u32 v36, v28, s60
	s_cmp_lg_u32 s0, 0
	s_add_co_ci_u32 s0, s61, s63
	s_and_b64 s[62:63], s[60:61], s[36:37]
	v_mul_u64_e32 v[30:31], s[0:1], v[28:29]
	v_mul_u64_e32 v[26:27], s[62:63], v[32:33]
	;; [unrolled: 1-line block ×3, first 2 shown]
	s_delay_alu instid0(VALU_DEP_3) | instskip(NEXT) | instid1(VALU_DEP_1)
	v_add_nc_u64_e32 v[30:31], v[36:37], v[30:31]
	v_add_co_u32 v1, vcc_lo, v30, v26
	s_delay_alu instid0(VALU_DEP_2) | instskip(NEXT) | instid1(VALU_DEP_4)
	v_add_co_ci_u32_e32 v36, vcc_lo, v31, v27, vcc_lo
	v_add_co_ci_u32_e32 v35, vcc_lo, 0, v35, vcc_lo
	s_delay_alu instid0(VALU_DEP_1) | instskip(NEXT) | instid1(VALU_DEP_1)
	v_add_nc_u64_e32 v[26:27], v[36:37], v[34:35]
	v_mul_u64_e32 v[30:31], s[46:47], v[26:27]
	s_delay_alu instid0(VALU_DEP_1) | instskip(NEXT) | instid1(VALU_DEP_2)
	v_sub_nc_u32_e32 v1, v32, v31
	v_sub_co_u32 v9, vcc_lo, v28, v30
	s_delay_alu instid0(VALU_DEP_1) | instskip(NEXT) | instid1(VALU_DEP_3)
	v_sub_co_ci_u32_e64 v16, null, v32, v31, vcc_lo
	v_subrev_co_ci_u32_e64 v1, null, s47, v1, vcc_lo
	s_delay_alu instid0(VALU_DEP_3) | instskip(SKIP_1) | instid1(VALU_DEP_3)
	v_sub_co_u32 v14, s0, v9, s46
	v_add_nc_u64_e32 v[28:29], 2, v[26:27]
	v_subrev_co_ci_u32_e64 v1, null, 0, v1, s0
	s_delay_alu instid0(VALU_DEP_3) | instskip(SKIP_2) | instid1(VALU_DEP_4)
	v_cmp_le_u32_e32 vcc_lo, s46, v14
	v_add_nc_u64_e32 v[30:31], 1, v[26:27]
	v_cndmask_b32_e64 v14, 0, -1, vcc_lo
	v_cmp_le_u32_e32 vcc_lo, s47, v1
	v_cndmask_b32_e64 v19, 0, -1, vcc_lo
	v_cmp_le_u32_e32 vcc_lo, s46, v9
	;; [unrolled: 2-line block ×3, first 2 shown]
	v_cndmask_b32_e64 v25, 0, -1, vcc_lo
	v_cmp_eq_u32_e32 vcc_lo, s47, v1
	v_cndmask_b32_e32 v1, v19, v14, vcc_lo
	v_cmp_eq_u32_e32 vcc_lo, s47, v16
	s_delay_alu instid0(VALU_DEP_4) | instskip(NEXT) | instid1(VALU_DEP_3)
	v_cndmask_b32_e32 v9, v25, v9, vcc_lo
	v_cmp_ne_u32_e32 vcc_lo, 0, v1
	s_delay_alu instid0(VALU_DEP_2) | instskip(SKIP_1) | instid1(VALU_DEP_1)
	v_cmp_ne_u32_e64 s0, 0, v9
	v_dual_cndmask_b32 v1, v31, v29, vcc_lo :: v_dual_cndmask_b32 v9, v30, v28, vcc_lo
	v_dual_cndmask_b32 v1, v27, v1, s0 :: v_dual_bitop2_b32 v24, s44, v24 bitop3:0x14
	s_delay_alu instid0(VALU_DEP_1) | instskip(NEXT) | instid1(VALU_DEP_2)
	v_dual_cndmask_b32 v9, v26, v9, s0 :: v_dual_mov_b32 v25, v24
	v_xor_b32_e32 v27, v1, v24
	s_delay_alu instid0(VALU_DEP_2) | instskip(NEXT) | instid1(VALU_DEP_1)
	v_xor_b32_e32 v26, v9, v24
	v_sub_nc_u64_e32 v[24:25], v[26:27], v[24:25]
.LBB51_27:                              ;   in Loop: Header=BB51_25 Depth=1
	s_and_not1_saveexec_b32 s0, s58
	s_cbranch_execz .LBB51_24
; %bb.28:                               ;   in Loop: Header=BB51_25 Depth=1
	v_cvt_f32_u32_e32 v1, s42
	s_sub_co_i32 s44, 0, s42
	v_mov_b32_e32 v25, v18
	s_delay_alu instid0(VALU_DEP_2) | instskip(SKIP_1) | instid1(TRANS32_DEP_1)
	v_rcp_iflag_f32_e32 v1, v1
	v_nop
	v_mul_f32_e32 v1, 0x4f7ffffe, v1
	s_delay_alu instid0(VALU_DEP_1) | instskip(NEXT) | instid1(VALU_DEP_1)
	v_cvt_u32_f32_e32 v1, v1
	v_mul_lo_u32 v9, s44, v1
	s_delay_alu instid0(VALU_DEP_1) | instskip(NEXT) | instid1(VALU_DEP_1)
	v_mul_hi_u32 v9, v1, v9
	v_add_nc_u32_e32 v1, v1, v9
	s_delay_alu instid0(VALU_DEP_1) | instskip(NEXT) | instid1(VALU_DEP_1)
	v_mul_hi_u32 v1, v22, v1
	v_mul_lo_u32 v9, v1, s42
	s_delay_alu instid0(VALU_DEP_1) | instskip(NEXT) | instid1(VALU_DEP_1)
	v_sub_nc_u32_e32 v9, v22, v9
	v_subrev_nc_u32_e32 v16, s42, v9
	v_cmp_le_u32_e32 vcc_lo, s42, v9
	s_delay_alu instid0(VALU_DEP_2) | instskip(NEXT) | instid1(VALU_DEP_1)
	v_dual_cndmask_b32 v9, v9, v16 :: v_dual_add_nc_u32 v14, 1, v1
	v_cndmask_b32_e32 v1, v1, v14, vcc_lo
	s_delay_alu instid0(VALU_DEP_2) | instskip(NEXT) | instid1(VALU_DEP_2)
	v_cmp_le_u32_e32 vcc_lo, s42, v9
	v_add_nc_u32_e32 v14, 1, v1
	s_delay_alu instid0(VALU_DEP_1)
	v_cndmask_b32_e32 v24, v1, v14, vcc_lo
	s_branch .LBB51_24
.LBB51_29:
	s_mov_b32 s35, -1
	s_mov_b32 s0, 0
	s_mov_b32 s58, 0
	s_mov_b32 s1, exec_lo
	v_cmpx_gt_i32_e64 v15, v17
	s_cbranch_execz .LBB51_35
; %bb.30:
	s_wait_loadcnt 0x1
	s_delay_alu instid0(VALU_DEP_2) | instskip(SKIP_3) | instid1(VALU_DEP_1)
	v_lshlrev_b64_e32 v[18:19], 2, v[20:21]
	v_dual_mov_b32 v20, v17 :: v_dual_ashrrev_i32 v21, 31, v17
	s_mov_b32 s35, 0
	s_xor_b32 s37, s49, -1
                                        ; implicit-def: $sgpr36
                                        ; implicit-def: $sgpr39
                                        ; implicit-def: $sgpr38
	v_lshl_add_u64 v[16:17], v[20:21], 2, v[18:19]
	v_add_nc_u64_e32 v[18:19], s[14:15], v[18:19]
	v_dual_mov_b32 v20, v15 :: v_dual_ashrrev_i32 v21, 31, v15
	s_delay_alu instid0(VALU_DEP_3) | instskip(NEXT) | instid1(VALU_DEP_1)
	v_add_nc_u64_e32 v[16:17], s[14:15], v[16:17]
	v_add_nc_u64_e32 v[14:15], 4, v[16:17]
	s_delay_alu instid0(VALU_DEP_3)
	v_lshl_add_u64 v[16:17], v[20:21], 2, v[18:19]
	s_branch .LBB51_32
.LBB51_31:                              ;   in Loop: Header=BB51_32 Depth=1
	s_or_b32 exec_lo, exec_lo, s40
	s_delay_alu instid0(SALU_CYCLE_1) | instskip(NEXT) | instid1(SALU_CYCLE_1)
	s_and_b32 s40, exec_lo, s39
	s_or_b32 s35, s40, s35
	s_and_not1_b32 s36, s36, exec_lo
	s_and_b32 s40, s38, exec_lo
	s_delay_alu instid0(SALU_CYCLE_1)
	s_or_b32 s36, s36, s40
	s_and_not1_b32 exec_lo, exec_lo, s35
	s_cbranch_execz .LBB51_34
.LBB51_32:                              ; =>This Inner Loop Header: Depth=1
	s_or_b32 s38, s38, exec_lo
	s_or_b32 s39, s39, exec_lo
	s_mov_b32 s40, exec_lo
	s_delay_alu instid0(VALU_DEP_2)
	v_cmpx_lt_u64_e64 v[14:15], v[16:17]
	s_cbranch_execz .LBB51_31
; %bb.33:                               ;   in Loop: Header=BB51_32 Depth=1
	global_load_b64 v[18:19], v[14:15], off offset:-4
	s_and_not1_b32 s39, s39, exec_lo
	s_wait_xcnt 0x0
	v_add_nc_u64_e32 v[14:15], 4, v[14:15]
	s_and_not1_b32 s38, s38, exec_lo
	s_wait_loadcnt 0x0
	v_cmp_ge_i32_e32 vcc_lo, v18, v19
	s_or_b32 s41, s37, vcc_lo
	s_delay_alu instid0(SALU_CYCLE_1) | instskip(NEXT) | instid1(SALU_CYCLE_1)
	s_and_b32 s41, s41, exec_lo
	s_or_b32 s39, s39, s41
	s_branch .LBB51_31
.LBB51_34:
	s_or_b32 exec_lo, exec_lo, s35
	s_delay_alu instid0(SALU_CYCLE_1)
	s_mov_b32 s58, exec_lo
	s_or_not1_b32 s35, s36, exec_lo
.LBB51_35:
	s_or_b32 exec_lo, exec_lo, s1
	s_mov_b32 s1, 0
	s_mov_b32 s36, 0
	;; [unrolled: 1-line block ×3, first 2 shown]
	s_and_saveexec_b32 s59, s35
	s_cbranch_execz .LBB51_60
; %bb.36:
	s_mov_b32 s0, 0
	s_mov_b32 s1, -1
	s_mov_b32 s35, 0
	s_mov_b32 s60, exec_lo
	s_wait_loadcnt 0x5
	v_cmpx_eq_u32_e64 s33, v12
	s_cbranch_execz .LBB51_59
; %bb.37:
	s_mov_b32 s0, -1
	s_mov_b32 s38, 0
	s_mov_b32 s39, 0
	s_mov_b32 s61, exec_lo
	s_wait_loadcnt 0x4
	v_cmpx_eq_u32_e64 v10, v8
	s_cbranch_execz .LBB51_58
; %bb.38:
	s_wait_loadcnt 0x2
	v_sub_nc_u32_e32 v1, v2, v4
	s_mov_b32 s35, -1
	s_mov_b32 s1, 0
	s_delay_alu instid0(VALU_DEP_1) | instskip(SKIP_2) | instid1(SALU_CYCLE_1)
	v_cmp_le_i32_e32 vcc_lo, s33, v1
	v_cmp_ge_i32_e64 s0, s4, v1
	s_and_b32 s0, vcc_lo, s0
	s_and_saveexec_b32 s62, s0
	s_cbranch_execz .LBB51_57
; %bb.39:
	v_mov_b64_e32 v[14:15], 0
	s_and_not1_b32 vcc_lo, exec_lo, s50
	s_cbranch_vccnz .LBB51_46
; %bb.40:
	s_wait_loadcnt 0x0
	v_dual_mov_b32 v14, v6 :: v_dual_ashrrev_i32 v15, 31, v6
	s_mov_b32 s35, s1
	v_mov_b32_e32 v16, 0
	s_lshl_b64 s[40:41], s[34:35], 3
	s_mov_b64 s[36:37], 0xffffffff
	v_mul_u64_e32 v[18:19], s[6:7], v[14:15]
	v_mov_b64_e32 v[14:15], 0
	s_add_nc_u64 s[38:39], s[10:11], s[40:41]
	s_add_nc_u64 s[40:41], s[12:13], s[40:41]
	s_mov_b32 s35, s8
	s_branch .LBB51_42
.LBB51_41:                              ;   in Loop: Header=BB51_42 Depth=1
	s_or_b32 exec_lo, exec_lo, s0
	s_delay_alu instid0(VALU_DEP_1)
	v_mul_u64_e32 v[22:23], s[42:43], v[20:21]
	s_load_b64 s[42:43], s[40:41], 0x0
	s_add_co_i32 s35, s35, -1
	s_add_nc_u64 s[38:39], s[38:39], -8
	s_cmp_lg_u32 s35, 0
	s_wait_xcnt 0x0
	s_add_nc_u64 s[40:41], s[40:41], -8
	s_delay_alu instid0(VALU_DEP_1) | instskip(SKIP_1) | instid1(VALU_DEP_1)
	v_sub_nc_u64_e32 v[18:19], v[18:19], v[22:23]
	s_wait_kmcnt 0x0
	v_mad_nc_u64_u32 v[14:15], v18, s42, v[14:15]
	s_delay_alu instid0(VALU_DEP_1) | instskip(NEXT) | instid1(VALU_DEP_1)
	v_mad_u32 v1, v19, s42, v15
	v_mad_u32 v15, v18, s43, v1
	v_mov_b64_e32 v[18:19], v[20:21]
	s_cbranch_scc0 .LBB51_46
.LBB51_42:                              ; =>This Inner Loop Header: Depth=1
	s_load_b64 s[42:43], s[38:39], 0x0
                                        ; implicit-def: $vgpr20_vgpr21
	s_mov_b32 s0, exec_lo
	s_wait_kmcnt 0x0
	s_delay_alu instid0(VALU_DEP_1) | instskip(NEXT) | instid1(VALU_DEP_1)
	v_or_b32_e32 v17, s43, v19
	v_cmpx_ne_u64_e32 0, v[16:17]
	s_xor_b32 s63, exec_lo, s0
	s_cbranch_execz .LBB51_44
; %bb.43:                               ;   in Loop: Header=BB51_42 Depth=1
	s_ashr_i32 s44, s43, 31
	v_dual_mov_b32 v25, v16 :: v_dual_ashrrev_i32 v20, 31, v19
	s_mov_b32 s45, s44
	v_mov_b32_e32 v33, v16
	s_add_nc_u64 s[46:47], s[42:43], s[44:45]
	s_delay_alu instid0(VALU_DEP_2) | instskip(SKIP_1) | instid1(SALU_CYCLE_1)
	v_mov_b32_e32 v21, v20
	s_xor_b64 s[46:47], s[46:47], s[44:45]
	s_cvt_f32_u32 s0, s46
	s_cvt_f32_u32 s45, s47
	s_sub_nc_u64 s[66:67], 0, s[46:47]
	v_add_nc_u64_e32 v[22:23], v[18:19], v[20:21]
	v_mov_b32_e32 v29, v16
	s_fmamk_f32 s0, s45, 0x4f800000, s0
	s_delay_alu instid0(SALU_CYCLE_3) | instskip(NEXT) | instid1(VALU_DEP_2)
	v_s_rcp_f32 s0, s0
	v_xor_b32_e32 v24, v22, v20
	s_delay_alu instid0(VALU_DEP_3) | instskip(SKIP_1) | instid1(TRANS32_DEP_1)
	v_xor_b32_e32 v28, v23, v20
	v_xor_b32_e32 v20, s44, v20
	s_mul_f32 s0, s0, 0x5f7ffffc
	s_delay_alu instid0(VALU_DEP_1) | instskip(NEXT) | instid1(SALU_CYCLE_2)
	v_mov_b32_e32 v21, v20
	s_mul_f32 s45, s0, 0x2f800000
	s_delay_alu instid0(SALU_CYCLE_3) | instskip(NEXT) | instid1(SALU_CYCLE_3)
	s_trunc_f32 s45, s45
	s_fmamk_f32 s0, s45, 0xcf800000, s0
	s_cvt_u32_f32 s65, s45
	s_delay_alu instid0(SALU_CYCLE_2) | instskip(NEXT) | instid1(SALU_CYCLE_3)
	s_cvt_u32_f32 s64, s0
	s_mul_u64 s[68:69], s[66:67], s[64:65]
	s_delay_alu instid0(SALU_CYCLE_1)
	s_mul_hi_u32 s71, s64, s69
	s_mul_i32 s70, s64, s69
	s_mul_hi_u32 s0, s64, s68
	s_mul_i32 s72, s65, s68
	s_add_nc_u64 s[70:71], s[0:1], s[70:71]
	s_mul_hi_u32 s45, s65, s68
	s_mul_hi_u32 s73, s65, s69
	s_add_co_u32 s0, s70, s72
	s_add_co_ci_u32 s0, s71, s45
	s_mul_i32 s68, s65, s69
	s_add_co_ci_u32 s69, s73, 0
	s_delay_alu instid0(SALU_CYCLE_1) | instskip(NEXT) | instid1(SALU_CYCLE_1)
	s_add_nc_u64 s[68:69], s[0:1], s[68:69]
	s_add_co_u32 s64, s64, s68
	s_cselect_b32 s0, -1, 0
	s_delay_alu instid0(SALU_CYCLE_1) | instskip(SKIP_1) | instid1(SALU_CYCLE_1)
	s_cmp_lg_u32 s0, 0
	s_add_co_ci_u32 s65, s65, s69
	s_mul_u64 s[66:67], s[66:67], s[64:65]
	s_delay_alu instid0(SALU_CYCLE_1)
	s_mul_hi_u32 s69, s64, s67
	s_mul_i32 s68, s64, s67
	s_mul_hi_u32 s0, s64, s66
	s_mul_i32 s70, s65, s66
	s_add_nc_u64 s[68:69], s[0:1], s[68:69]
	s_mul_hi_u32 s45, s65, s66
	s_mul_hi_u32 s71, s65, s67
	s_add_co_u32 s0, s68, s70
	s_add_co_ci_u32 s0, s69, s45
	s_mul_i32 s66, s65, s67
	s_add_co_ci_u32 s67, s71, 0
	s_delay_alu instid0(SALU_CYCLE_1) | instskip(NEXT) | instid1(SALU_CYCLE_1)
	s_add_nc_u64 s[66:67], s[0:1], s[66:67]
	s_add_co_u32 s64, s64, s66
	s_cselect_b32 s0, -1, 0
	v_mul_hi_u32 v32, v24, s64
	s_cmp_lg_u32 s0, 0
	s_add_co_ci_u32 s0, s65, s67
	s_and_b64 s[66:67], s[64:65], s[36:37]
	v_mul_u64_e32 v[26:27], s[0:1], v[24:25]
	v_mul_u64_e32 v[22:23], s[66:67], v[28:29]
	;; [unrolled: 1-line block ×3, first 2 shown]
	s_delay_alu instid0(VALU_DEP_3) | instskip(NEXT) | instid1(VALU_DEP_1)
	v_add_nc_u64_e32 v[26:27], v[32:33], v[26:27]
	v_add_co_u32 v1, vcc_lo, v26, v22
	s_delay_alu instid0(VALU_DEP_2) | instskip(NEXT) | instid1(VALU_DEP_4)
	v_add_co_ci_u32_e32 v32, vcc_lo, v27, v23, vcc_lo
	v_add_co_ci_u32_e32 v31, vcc_lo, 0, v31, vcc_lo
	s_delay_alu instid0(VALU_DEP_1) | instskip(NEXT) | instid1(VALU_DEP_1)
	v_add_nc_u64_e32 v[22:23], v[32:33], v[30:31]
	v_mul_u64_e32 v[26:27], s[46:47], v[22:23]
	s_delay_alu instid0(VALU_DEP_1) | instskip(SKIP_1) | instid1(VALU_DEP_3)
	v_sub_co_u32 v6, vcc_lo, v24, v26
	v_add_nc_u64_e32 v[24:25], 2, v[22:23]
	v_sub_nc_u32_e32 v1, v28, v27
	v_sub_co_ci_u32_e64 v10, null, v28, v27, vcc_lo
	s_delay_alu instid0(VALU_DEP_4) | instskip(NEXT) | instid1(VALU_DEP_3)
	v_sub_co_u32 v9, s0, v6, s46
	v_subrev_co_ci_u32_e64 v1, null, s47, v1, vcc_lo
	v_add_nc_u64_e32 v[26:27], 1, v[22:23]
	s_delay_alu instid0(VALU_DEP_3) | instskip(NEXT) | instid1(VALU_DEP_3)
	v_cmp_le_u32_e32 vcc_lo, s46, v9
	v_subrev_co_ci_u32_e64 v1, null, 0, v1, s0
	v_cndmask_b32_e64 v9, 0, -1, vcc_lo
	s_delay_alu instid0(VALU_DEP_2)
	v_cmp_le_u32_e32 vcc_lo, s47, v1
	v_cndmask_b32_e64 v12, 0, -1, vcc_lo
	v_cmp_le_u32_e32 vcc_lo, s46, v6
	v_cndmask_b32_e64 v6, 0, -1, vcc_lo
	;; [unrolled: 2-line block ×3, first 2 shown]
	v_cmp_eq_u32_e32 vcc_lo, s47, v1
	v_cndmask_b32_e32 v1, v12, v9, vcc_lo
	v_cmp_eq_u32_e32 vcc_lo, s47, v10
	s_delay_alu instid0(VALU_DEP_4) | instskip(NEXT) | instid1(VALU_DEP_3)
	v_cndmask_b32_e32 v6, v17, v6, vcc_lo
	v_cmp_ne_u32_e32 vcc_lo, 0, v1
	s_delay_alu instid0(VALU_DEP_2) | instskip(SKIP_1) | instid1(VALU_DEP_1)
	v_cmp_ne_u32_e64 s0, 0, v6
	v_dual_cndmask_b32 v6, v26, v24 :: v_dual_cndmask_b32 v1, v27, v25
	v_dual_cndmask_b32 v6, v22, v6, s0 :: v_dual_cndmask_b32 v1, v23, v1, s0
	s_delay_alu instid0(VALU_DEP_1) | instskip(NEXT) | instid1(VALU_DEP_2)
	v_xor_b32_e32 v22, v6, v20
	v_xor_b32_e32 v23, v1, v20
	s_delay_alu instid0(VALU_DEP_1)
	v_sub_nc_u64_e32 v[20:21], v[22:23], v[20:21]
.LBB51_44:                              ;   in Loop: Header=BB51_42 Depth=1
	s_and_not1_saveexec_b32 s0, s63
	s_cbranch_execz .LBB51_41
; %bb.45:                               ;   in Loop: Header=BB51_42 Depth=1
	v_cvt_f32_u32_e32 v1, s42
	s_sub_co_i32 s44, 0, s42
	v_mov_b32_e32 v21, v16
	s_delay_alu instid0(VALU_DEP_2) | instskip(SKIP_1) | instid1(TRANS32_DEP_1)
	v_rcp_iflag_f32_e32 v1, v1
	v_nop
	v_mul_f32_e32 v1, 0x4f7ffffe, v1
	s_delay_alu instid0(VALU_DEP_1) | instskip(NEXT) | instid1(VALU_DEP_1)
	v_cvt_u32_f32_e32 v1, v1
	v_mul_lo_u32 v6, s44, v1
	s_delay_alu instid0(VALU_DEP_1) | instskip(NEXT) | instid1(VALU_DEP_1)
	v_mul_hi_u32 v6, v1, v6
	v_add_nc_u32_e32 v1, v1, v6
	s_delay_alu instid0(VALU_DEP_1) | instskip(NEXT) | instid1(VALU_DEP_1)
	v_mul_hi_u32 v1, v18, v1
	v_mul_lo_u32 v6, v1, s42
	s_delay_alu instid0(VALU_DEP_1) | instskip(NEXT) | instid1(VALU_DEP_1)
	v_sub_nc_u32_e32 v6, v18, v6
	v_subrev_nc_u32_e32 v10, s42, v6
	v_cmp_le_u32_e32 vcc_lo, s42, v6
	s_delay_alu instid0(VALU_DEP_2) | instskip(NEXT) | instid1(VALU_DEP_1)
	v_dual_cndmask_b32 v6, v6, v10 :: v_dual_add_nc_u32 v9, 1, v1
	v_cndmask_b32_e32 v1, v1, v9, vcc_lo
	s_delay_alu instid0(VALU_DEP_2) | instskip(NEXT) | instid1(VALU_DEP_2)
	v_cmp_le_u32_e32 vcc_lo, s42, v6
	v_add_nc_u32_e32 v9, 1, v1
	s_delay_alu instid0(VALU_DEP_1)
	v_cndmask_b32_e32 v20, v1, v9, vcc_lo
	s_branch .LBB51_41
.LBB51_46:
	s_mov_b32 s38, -1
	s_mov_b32 s0, 0
	s_mov_b32 s35, 0
	s_mov_b32 s1, exec_lo
	v_cmpx_gt_i32_e64 v2, v4
	s_cbranch_execz .LBB51_52
; %bb.47:
	s_delay_alu instid0(VALU_DEP_2) | instskip(SKIP_3) | instid1(VALU_DEP_2)
	v_lshlrev_b64_e32 v[14:15], 2, v[14:15]
	v_dual_mov_b32 v16, v4 :: v_dual_ashrrev_i32 v17, 31, v4
	v_dual_mov_b32 v20, v2 :: v_dual_ashrrev_i32 v21, 31, v2
	s_xor_b32 s37, s49, -1
                                        ; implicit-def: $sgpr36
                                        ; implicit-def: $sgpr39
                                        ; implicit-def: $sgpr38
	v_lshl_add_u64 v[16:17], v[16:17], 2, v[14:15]
	s_wait_loadcnt 0x1
	v_add_nc_u64_e32 v[18:19], s[14:15], v[14:15]
	s_delay_alu instid0(VALU_DEP_2) | instskip(NEXT) | instid1(VALU_DEP_1)
	v_add_nc_u64_e32 v[16:17], s[14:15], v[16:17]
	v_add_nc_u64_e32 v[14:15], 4, v[16:17]
	s_delay_alu instid0(VALU_DEP_3)
	v_lshl_add_u64 v[16:17], v[20:21], 2, v[18:19]
	s_branch .LBB51_49
.LBB51_48:                              ;   in Loop: Header=BB51_49 Depth=1
	s_or_b32 exec_lo, exec_lo, s40
	s_delay_alu instid0(SALU_CYCLE_1) | instskip(NEXT) | instid1(SALU_CYCLE_1)
	s_and_b32 s40, exec_lo, s39
	s_or_b32 s35, s40, s35
	s_and_not1_b32 s36, s36, exec_lo
	s_and_b32 s40, s38, exec_lo
	s_delay_alu instid0(SALU_CYCLE_1)
	s_or_b32 s36, s36, s40
	s_and_not1_b32 exec_lo, exec_lo, s35
	s_cbranch_execz .LBB51_51
.LBB51_49:                              ; =>This Inner Loop Header: Depth=1
	s_or_b32 s38, s38, exec_lo
	s_or_b32 s39, s39, exec_lo
	s_mov_b32 s40, exec_lo
	s_delay_alu instid0(VALU_DEP_2)
	v_cmpx_lt_u64_e64 v[14:15], v[16:17]
	s_cbranch_execz .LBB51_48
; %bb.50:                               ;   in Loop: Header=BB51_49 Depth=1
	global_load_b64 v[18:19], v[14:15], off offset:-4
	s_and_not1_b32 s39, s39, exec_lo
	s_wait_xcnt 0x0
	v_add_nc_u64_e32 v[14:15], 4, v[14:15]
	s_and_not1_b32 s38, s38, exec_lo
	s_wait_loadcnt 0x0
	v_cmp_ge_i32_e32 vcc_lo, v18, v19
	s_or_b32 s41, s37, vcc_lo
	s_delay_alu instid0(SALU_CYCLE_1) | instskip(NEXT) | instid1(SALU_CYCLE_1)
	s_and_b32 s41, s41, exec_lo
	s_or_b32 s39, s39, s41
	s_branch .LBB51_48
.LBB51_51:
	s_or_b32 exec_lo, exec_lo, s35
	s_delay_alu instid0(SALU_CYCLE_1)
	s_mov_b32 s35, exec_lo
	s_or_not1_b32 s38, s36, exec_lo
.LBB51_52:
	s_or_b32 exec_lo, exec_lo, s1
	s_mov_b32 s36, 0
	s_mov_b32 s37, 0
	s_and_saveexec_b32 s1, s38
	s_cbranch_execz .LBB51_56
; %bb.53:
	s_mov_b32 s0, 0
	s_mov_b32 s37, -1
	s_mov_b32 s38, exec_lo
	v_cmpx_eq_u32_e64 s33, v13
	s_xor_b32 s38, exec_lo, s38
; %bb.54:
	v_cmp_ne_u32_e32 vcc_lo, v11, v8
	s_mov_b32 s36, exec_lo
	s_xor_b32 s37, exec_lo, -1
	s_and_b32 s0, vcc_lo, exec_lo
; %bb.55:
	s_or_b32 exec_lo, exec_lo, s38
	s_delay_alu instid0(SALU_CYCLE_1)
	s_and_b32 s37, s37, exec_lo
	s_and_not1_b32 s35, s35, exec_lo
	s_and_b32 s36, s36, exec_lo
	s_and_b32 s0, s0, exec_lo
.LBB51_56:
	s_or_b32 exec_lo, exec_lo, s1
	s_delay_alu instid0(SALU_CYCLE_1)
	s_and_b32 s38, s37, exec_lo
	s_and_b32 s37, s35, exec_lo
	s_xor_b32 s35, exec_lo, -1
	s_and_b32 s36, s36, exec_lo
	s_and_b32 s1, s0, exec_lo
.LBB51_57:
	s_or_b32 exec_lo, exec_lo, s62
	s_delay_alu instid0(SALU_CYCLE_1)
	s_and_b32 s39, s38, exec_lo
	s_and_b32 s37, s37, exec_lo
	;; [unrolled: 1-line block ×4, first 2 shown]
	s_or_not1_b32 s0, s1, exec_lo
.LBB51_58:
	s_or_b32 exec_lo, exec_lo, s61
	s_delay_alu instid0(SALU_CYCLE_1)
	s_or_not1_b32 s1, s39, exec_lo
	s_and_b32 s37, s37, exec_lo
	s_and_b32 s36, s38, exec_lo
	;; [unrolled: 1-line block ×4, first 2 shown]
.LBB51_59:
	s_or_b32 exec_lo, exec_lo, s60
	s_delay_alu instid0(SALU_CYCLE_1)
	s_and_not1_b32 s38, s58, exec_lo
	s_and_b32 s39, s37, exec_lo
	s_and_b32 s37, s1, exec_lo
	s_or_b32 s58, s38, s39
	s_and_b32 s36, s36, exec_lo
	s_and_b32 s1, s35, exec_lo
	;; [unrolled: 1-line block ×3, first 2 shown]
.LBB51_60:
	s_or_b32 exec_lo, exec_lo, s59
	s_delay_alu instid0(SALU_CYCLE_1)
	s_and_b32 s38, s37, exec_lo
	s_and_b32 s37, s58, exec_lo
	s_or_not1_b32 s35, s36, exec_lo
	s_and_b32 s36, s1, exec_lo
	s_and_b32 s1, s0, exec_lo
.LBB51_61:
	s_or_b32 exec_lo, exec_lo, s57
	s_delay_alu instid0(SALU_CYCLE_1)
	s_and_b32 s39, s38, exec_lo
	s_and_b32 s37, s37, exec_lo
	;; [unrolled: 1-line block ×4, first 2 shown]
	s_or_not1_b32 s0, s1, exec_lo
.LBB51_62:
	s_or_b32 exec_lo, exec_lo, s56
	s_delay_alu instid0(SALU_CYCLE_1)
	s_or_not1_b32 s1, s39, exec_lo
	s_and_b32 s37, s37, exec_lo
	s_and_b32 s36, s38, exec_lo
	s_and_b32 s35, s35, exec_lo
	s_and_b32 s0, s0, exec_lo
.LBB51_63:
	s_or_b32 exec_lo, exec_lo, s55
	s_delay_alu instid0(SALU_CYCLE_1)
	s_and_not1_b32 s38, s53, exec_lo
	s_and_b32 s37, s37, exec_lo
	s_and_b32 s1, s1, exec_lo
	s_or_b32 s53, s38, s37
	s_and_b32 s37, s36, exec_lo
	s_and_b32 s36, s35, exec_lo
	;; [unrolled: 1-line block ×3, first 2 shown]
.LBB51_64:
	s_or_b32 exec_lo, exec_lo, s54
	s_delay_alu instid0(SALU_CYCLE_1)
	s_and_b32 s1, s1, exec_lo
	s_and_b32 s46, s53, exec_lo
	s_or_not1_b32 s35, s37, exec_lo
	s_and_b32 s45, s36, exec_lo
	s_and_b32 s44, s0, exec_lo
.LBB51_65:
	s_or_b32 exec_lo, exec_lo, s52
	s_delay_alu instid0(SALU_CYCLE_1)
	s_and_b32 s1, s1, exec_lo
	s_and_b32 s52, s46, exec_lo
	;; [unrolled: 1-line block ×4, first 2 shown]
	s_or_not1_b32 s40, s44, exec_lo
	s_mov_b32 s53, s8
.LBB51_66:
	s_or_b32 exec_lo, exec_lo, s51
	s_and_saveexec_b32 s36, s40
	s_cbranch_execnz .LBB51_212
.LBB51_67:
	s_or_b32 exec_lo, exec_lo, s36
	s_mov_b32 s36, 0
	s_and_saveexec_b32 s37, s0
	s_delay_alu instid0(SALU_CYCLE_1)
	s_xor_b32 s37, exec_lo, s37
	s_cbranch_execz .LBB51_106
; %bb.68:
	s_wait_loadcnt 0x2
	v_sub_nc_u32_e32 v1, v3, v5
	s_and_not1_b32 s35, s35, exec_lo
	s_mov_b32 s36, exec_lo
	s_delay_alu instid0(VALU_DEP_1) | instskip(SKIP_2) | instid1(SALU_CYCLE_1)
	v_cmp_gt_i32_e32 vcc_lo, s33, v1
	v_cmp_lt_i32_e64 s0, s4, v1
	s_or_b32 s0, vcc_lo, s0
	s_and_b32 s0, s0, exec_lo
	s_delay_alu instid0(SALU_CYCLE_1)
	s_or_b32 s35, s35, s0
	s_or_b32 exec_lo, exec_lo, s37
	s_and_saveexec_b32 s0, s35
	s_cbranch_execz .LBB51_107
.LBB51_69:
	s_or_b32 s3, s3, exec_lo
	s_and_not1_b32 s36, s36, exec_lo
	s_trap 2
	s_or_b32 exec_lo, exec_lo, s0
	s_mov_b32 s0, 0
	s_and_saveexec_b32 s51, s36
	s_cbranch_execnz .LBB51_108
.LBB51_70:
	s_or_b32 exec_lo, exec_lo, s51
	s_and_saveexec_b32 s34, s52
	s_cbranch_execnz .LBB51_175
.LBB51_71:
	s_or_b32 exec_lo, exec_lo, s34
	s_and_saveexec_b32 s34, s0
	s_delay_alu instid0(SALU_CYCLE_1)
	s_xor_b32 s0, exec_lo, s34
	s_cbranch_execz .LBB51_73
.LBB51_72:
	s_wait_loadcnt 0x2
	v_mov_b64_e32 v[2:3], 0
	s_add_nc_u64 s[30:31], s[16:17], s[30:31]
	s_clause 0x1
	global_store_b64 v0, v[2:3], s[30:31] scale_offset
	global_store_b64 v0, v[2:3], s[30:31] offset:2048 scale_offset
.LBB51_73:
	s_wait_xcnt 0x0
	s_or_b32 exec_lo, exec_lo, s0
	s_delay_alu instid0(SALU_CYCLE_1)
	s_and_b32 s3, s3, exec_lo
	s_or_not1_b32 s0, s1, exec_lo
.LBB51_74:
	s_or_b32 exec_lo, exec_lo, s48
.LBB51_75:
	s_and_saveexec_b32 s1, s0
	s_delay_alu instid0(SALU_CYCLE_1)
	s_xor_b32 s0, exec_lo, s1
	s_cbranch_execnz .LBB51_210
.LBB51_76:
	s_or_b32 exec_lo, exec_lo, s0
	s_mov_b32 s0, 0
.LBB51_77:
	s_delay_alu instid0(SALU_CYCLE_1)
	s_and_b32 vcc_lo, exec_lo, s0
	s_cbranch_vccz .LBB51_97
; %bb.78:
	s_wait_loadcnt 0x0
	v_mov_b64_e32 v[6:7], 0
	v_cmp_gt_i32_e64 s0, s5, v0
	v_dual_mov_b32 v3, 0 :: v_dual_mov_b32 v1, 0
	v_or_b32_e32 v15, 0x100, v0
	v_dual_mov_b32 v2, 0 :: v_dual_mov_b32 v4, 0
	v_dual_mov_b32 v11, 0 :: v_dual_mov_b32 v9, 0
	;; [unrolled: 1-line block ×8, first 2 shown]
	v_mov_b32_e32 v24, 0
	s_and_saveexec_b32 s1, s0
	s_cbranch_execz .LBB51_86
; %bb.79:
	v_dual_mov_b32 v18, 0 :: v_dual_bitop2_b32 v1, s2, v0 bitop3:0x54
	v_mov_b64_e32 v[6:7], 0
	v_dual_mov_b32 v14, 0 :: v_dual_mov_b32 v16, 0
	s_clause 0x4
	global_load_b32 v23, v1, s[18:19] scale_offset
	global_load_b32 v21, v1, s[20:21] scale_offset
	;; [unrolled: 1-line block ×5, first 2 shown]
	v_dual_mov_b32 v17, 0 :: v_dual_mov_b32 v19, 0
	v_dual_mov_b32 v13, 0 :: v_dual_mov_b32 v8, 0
	v_dual_mov_b32 v10, 0 :: v_dual_mov_b32 v9, 0
	v_dual_mov_b32 v11, 0 :: v_dual_mov_b32 v4, 0
	s_wait_xcnt 0x0
	v_dual_mov_b32 v2, 0 :: v_dual_mov_b32 v1, 0
	v_mov_b32_e32 v3, 0
	s_mov_b32 s9, exec_lo
	v_cmpx_gt_u32_e64 s5, v15
	s_cbranch_execz .LBB51_85
; %bb.80:
	v_dual_mov_b32 v13, 0 :: v_dual_add_nc_u32 v12, s2, v0
	v_or_b32_e32 v1, 0x200, v0
	v_mov_b64_e32 v[6:7], 0
	v_dual_mov_b32 v8, 0 :: v_dual_mov_b32 v10, 0
	s_clause 0x4
	global_load_b32 v19, v12, s[18:19] offset:1024 scale_offset
	global_load_b32 v17, v12, s[20:21] offset:1024 scale_offset
	;; [unrolled: 1-line block ×5, first 2 shown]
	v_cmp_gt_u32_e32 vcc_lo, s5, v1
	v_dual_mov_b32 v9, 0 :: v_dual_mov_b32 v11, 0
	v_dual_mov_b32 v4, 0 :: v_dual_mov_b32 v2, 0
	v_dual_mov_b32 v1, 0 :: v_dual_mov_b32 v3, 0
	s_wait_xcnt 0x0
	s_and_saveexec_b32 s30, vcc_lo
	s_cbranch_execz .LBB51_84
; %bb.81:
	v_lshlrev_b64_e32 v[2:3], 2, v[12:13]
	v_or_b32_e32 v1, 0x300, v0
	v_mov_b64_e32 v[6:7], 0
	s_delay_alu instid0(VALU_DEP_2) | instskip(NEXT) | instid1(VALU_DEP_4)
	v_cmp_gt_u32_e32 vcc_lo, s5, v1
	v_add_nc_u64_e32 v[4:5], s[18:19], v[2:3]
	v_add_nc_u64_e32 v[26:27], s[20:21], v[2:3]
	;; [unrolled: 1-line block ×5, first 2 shown]
	v_dual_mov_b32 v2, 0 :: v_dual_mov_b32 v1, 0
	global_load_b32 v11, v[4:5], off offset:2048
	global_load_b32 v9, v[26:27], off offset:2048
	;; [unrolled: 1-line block ×5, first 2 shown]
	v_mov_b32_e32 v3, 0
	s_wait_xcnt 0x0
	s_and_saveexec_b32 s18, vcc_lo
	s_cbranch_execz .LBB51_83
; %bb.82:
	global_load_b32 v6, v[28:29], off offset:3072
	global_load_b32 v3, v[4:5], off offset:3072
	;; [unrolled: 1-line block ×5, first 2 shown]
	s_wait_loadcnt 0x4
	v_ashrrev_i32_e32 v7, 31, v6
.LBB51_83:
	s_wait_xcnt 0x0
	s_or_b32 exec_lo, exec_lo, s18
	s_wait_loadcnt 0x0
	v_dual_mov_b32 v4, v13 :: v_dual_mov_b32 v13, v12
.LBB51_84:
	s_or_b32 exec_lo, exec_lo, s30
.LBB51_85:
	s_delay_alu instid0(SALU_CYCLE_1)
	s_or_b32 exec_lo, exec_lo, s9
.LBB51_86:
	s_delay_alu instid0(SALU_CYCLE_1)
	s_or_b32 exec_lo, exec_lo, s1
	s_get_pc_i64 s[18:19]
	s_add_nc_u64 s[18:19], s[18:19], .str.2@rel64+4
	s_cmp_lg_u64 s[28:29], 0
	s_get_pc_i64 s[20:21]
	s_add_nc_u64 s[20:21], s[20:21], .str.3@rel64+4
	s_cselect_b32 s42, -1, 0
	s_cmp_lg_u64 s[18:19], 0
	v_cmp_gt_i64_e64 s9, s[6:7], 0
	s_cselect_b32 s39, -1, 0
	s_cmp_lg_u64 s[20:21], 0
	s_get_pc_i64 s[20:21]
	s_add_nc_u64 s[20:21], s[20:21], .str.4@rel64+4
	s_cselect_b32 s38, -1, 0
	s_add_co_i32 s18, s8, -1
	s_mov_b32 s1, -1
	s_cmp_gt_i32 s18, -1
	s_mov_b32 s48, 0
	s_cselect_b32 s19, -1, 0
	s_mov_b32 s46, 0
	s_and_b32 s37, s9, s19
	s_cmp_lg_u64 s[20:21], 0
	s_mov_b32 s44, 0
	s_cselect_b32 s36, -1, 0
	s_mov_b32 s43, 0
	s_mov_b32 s41, 0
	s_and_saveexec_b32 s9, s0
	s_cbranch_execz .LBB51_130
; %bb.87:
	s_wait_loadcnt 0x4
	v_cmp_eq_u32_e32 vcc_lo, s33, v23
	s_mov_b32 s19, -1
	s_mov_b32 s1, 0
	s_mov_b32 s20, 0
	;; [unrolled: 1-line block ×3, first 2 shown]
	s_and_b32 s23, s42, vcc_lo
	s_mov_b32 s22, 0
	s_and_saveexec_b32 s40, s23
	s_cbranch_execz .LBB51_129
; %bb.88:
	s_wait_loadcnt 0x3
	v_cmp_eq_u32_e32 vcc_lo, s6, v21
	s_and_b32 s22, s39, vcc_lo
	s_delay_alu instid0(SALU_CYCLE_1)
	s_and_saveexec_b32 s41, s22
	s_cbranch_execz .LBB51_128
; %bb.89:
	s_wait_loadcnt 0x1
	v_sub_nc_u32_e32 v5, v20, v22
	s_delay_alu instid0(VALU_DEP_1)
	v_cmp_le_i32_e32 vcc_lo, s33, v5
	v_cmp_ge_i32_e64 s1, s4, v5
	s_and_b32 s20, vcc_lo, s1
	s_mov_b32 s1, 0
	s_and_b32 s21, s38, s20
	s_mov_b32 s20, 0
	s_and_saveexec_b32 s43, s21
	s_cbranch_execz .LBB51_127
; %bb.90:
	v_mov_b64_e32 v[26:27], 0
	s_and_not1_b32 vcc_lo, exec_lo, s37
	s_cbranch_vccnz .LBB51_115
; %bb.91:
	s_wait_loadcnt 0x0
	v_ashrrev_i32_e32 v25, 31, v24
	s_mov_b32 s21, 0
	v_mov_b64_e32 v[26:27], 0
	s_mov_b32 s19, s21
	s_mov_b64 s[22:23], 0xffffffff
	v_mul_u64_e32 v[28:29], s[6:7], v[24:25]
	v_mov_b32_e32 v24, 0
	s_lshl_b64 s[26:27], s[18:19], 3
	s_mov_b32 s19, s8
	s_add_nc_u64 s[24:25], s[10:11], s[26:27]
	s_add_nc_u64 s[26:27], s[12:13], s[26:27]
	s_branch .LBB51_93
.LBB51_92:                              ;   in Loop: Header=BB51_93 Depth=1
	s_or_b32 exec_lo, exec_lo, s1
	s_delay_alu instid0(VALU_DEP_1)
	v_mul_u64_e32 v[32:33], s[28:29], v[30:31]
	s_load_b64 s[28:29], s[26:27], 0x0
	s_add_co_i32 s19, s19, -1
	s_add_nc_u64 s[24:25], s[24:25], -8
	s_cmp_eq_u32 s19, 0
	s_wait_xcnt 0x0
	s_add_nc_u64 s[26:27], s[26:27], -8
	s_delay_alu instid0(VALU_DEP_1) | instskip(SKIP_1) | instid1(VALU_DEP_1)
	v_sub_nc_u64_e32 v[28:29], v[28:29], v[32:33]
	s_wait_kmcnt 0x0
	v_mad_nc_u64_u32 v[26:27], v28, s28, v[26:27]
	s_delay_alu instid0(VALU_DEP_1) | instskip(NEXT) | instid1(VALU_DEP_1)
	v_mad_u32 v5, v29, s28, v27
	v_mad_u32 v27, v28, s29, v5
	v_mov_b64_e32 v[28:29], v[30:31]
	s_cbranch_scc1 .LBB51_115
.LBB51_93:                              ; =>This Inner Loop Header: Depth=1
	s_load_b64 s[28:29], s[24:25], 0x0
                                        ; implicit-def: $vgpr30_vgpr31
	s_mov_b32 s1, exec_lo
	s_wait_kmcnt 0x0
	s_delay_alu instid0(VALU_DEP_1) | instskip(NEXT) | instid1(VALU_DEP_1)
	v_or_b32_e32 v25, s29, v29
	v_cmpx_ne_u64_e32 0, v[24:25]
	s_xor_b32 s44, exec_lo, s1
	s_cbranch_execz .LBB51_95
; %bb.94:                               ;   in Loop: Header=BB51_93 Depth=1
	s_ashr_i32 s30, s29, 31
	v_dual_mov_b32 v35, v24 :: v_dual_ashrrev_i32 v30, 31, v29
	s_mov_b32 s31, s30
	s_delay_alu instid0(SALU_CYCLE_1) | instskip(NEXT) | instid1(VALU_DEP_1)
	s_add_nc_u64 s[34:35], s[28:29], s[30:31]
	v_mov_b32_e32 v31, v30
	s_xor_b64 s[34:35], s[34:35], s[30:31]
	s_delay_alu instid0(SALU_CYCLE_1)
	s_cvt_f32_u32 s1, s34
	s_cvt_f32_u32 s20, s35
	s_sub_nc_u64 s[50:51], 0, s[34:35]
	v_add_nc_u64_e32 v[32:33], v[28:29], v[30:31]
	v_mov_b32_e32 v39, v24
	s_fmamk_f32 s1, s20, 0x4f800000, s1
	s_delay_alu instid0(SALU_CYCLE_3) | instskip(NEXT) | instid1(VALU_DEP_2)
	v_s_rcp_f32 s1, s1
	v_xor_b32_e32 v34, v32, v30
	s_delay_alu instid0(VALU_DEP_3) | instskip(NEXT) | instid1(TRANS32_DEP_1)
	v_dual_mov_b32 v43, v24 :: v_dual_bitop2_b32 v38, v33, v30 bitop3:0x14
	s_mul_f32 s1, s1, 0x5f7ffffc
	s_delay_alu instid0(SALU_CYCLE_3) | instskip(NEXT) | instid1(SALU_CYCLE_3)
	s_mul_f32 s20, s1, 0x2f800000
	s_trunc_f32 s20, s20
	s_delay_alu instid0(SALU_CYCLE_3) | instskip(SKIP_1) | instid1(SALU_CYCLE_2)
	s_fmamk_f32 s1, s20, 0xcf800000, s1
	s_cvt_u32_f32 s47, s20
	s_cvt_u32_f32 s46, s1
	s_delay_alu instid0(SALU_CYCLE_3) | instskip(NEXT) | instid1(SALU_CYCLE_1)
	s_mul_u64 s[52:53], s[50:51], s[46:47]
	s_mul_hi_u32 s55, s46, s53
	s_mul_i32 s54, s46, s53
	s_mul_hi_u32 s20, s46, s52
	s_mul_i32 s31, s47, s52
	s_add_nc_u64 s[54:55], s[20:21], s[54:55]
	s_mul_hi_u32 s1, s47, s52
	s_mul_hi_u32 s45, s47, s53
	s_add_co_u32 s20, s54, s31
	s_add_co_ci_u32 s20, s55, s1
	s_mul_i32 s52, s47, s53
	s_add_co_ci_u32 s53, s45, 0
	s_delay_alu instid0(SALU_CYCLE_1) | instskip(NEXT) | instid1(SALU_CYCLE_1)
	s_add_nc_u64 s[52:53], s[20:21], s[52:53]
	s_add_co_u32 s46, s46, s52
	s_cselect_b32 s1, -1, 0
	s_delay_alu instid0(SALU_CYCLE_1) | instskip(SKIP_1) | instid1(SALU_CYCLE_1)
	s_cmp_lg_u32 s1, 0
	s_add_co_ci_u32 s47, s47, s53
	s_mul_u64 s[50:51], s[50:51], s[46:47]
	s_delay_alu instid0(SALU_CYCLE_1)
	s_mul_hi_u32 s53, s46, s51
	s_mul_i32 s52, s46, s51
	s_mul_hi_u32 s20, s46, s50
	s_mul_i32 s31, s47, s50
	s_add_nc_u64 s[52:53], s[20:21], s[52:53]
	s_mul_hi_u32 s1, s47, s50
	s_mul_hi_u32 s45, s47, s51
	s_add_co_u32 s20, s52, s31
	s_add_co_ci_u32 s20, s53, s1
	s_mul_i32 s50, s47, s51
	s_add_co_ci_u32 s51, s45, 0
	s_delay_alu instid0(SALU_CYCLE_1) | instskip(NEXT) | instid1(SALU_CYCLE_1)
	s_add_nc_u64 s[50:51], s[20:21], s[50:51]
	s_add_co_u32 s46, s46, s50
	s_cselect_b32 s1, -1, 0
	v_mul_hi_u32 v42, v34, s46
	s_cmp_lg_u32 s1, 0
	s_add_co_ci_u32 s20, s47, s51
	s_and_b64 s[50:51], s[46:47], s[22:23]
	v_mul_u64_e32 v[36:37], s[20:21], v[34:35]
	v_mul_u64_e32 v[32:33], s[50:51], v[38:39]
	;; [unrolled: 1-line block ×3, first 2 shown]
	s_delay_alu instid0(VALU_DEP_3) | instskip(NEXT) | instid1(VALU_DEP_1)
	v_add_nc_u64_e32 v[36:37], v[42:43], v[36:37]
	v_add_co_u32 v5, vcc_lo, v36, v32
	s_delay_alu instid0(VALU_DEP_2) | instskip(NEXT) | instid1(VALU_DEP_4)
	v_add_co_ci_u32_e32 v42, vcc_lo, v37, v33, vcc_lo
	v_add_co_ci_u32_e32 v41, vcc_lo, 0, v41, vcc_lo
	s_delay_alu instid0(VALU_DEP_1) | instskip(NEXT) | instid1(VALU_DEP_1)
	v_add_nc_u64_e32 v[32:33], v[42:43], v[40:41]
	v_mul_u64_e32 v[36:37], s[34:35], v[32:33]
	s_delay_alu instid0(VALU_DEP_1) | instskip(NEXT) | instid1(VALU_DEP_2)
	v_sub_nc_u32_e32 v5, v38, v37
	v_sub_co_u32 v12, vcc_lo, v34, v36
	s_delay_alu instid0(VALU_DEP_1) | instskip(NEXT) | instid1(VALU_DEP_3)
	v_sub_co_ci_u32_e64 v23, null, v38, v37, vcc_lo
	v_subrev_co_ci_u32_e64 v5, null, s35, v5, vcc_lo
	s_delay_alu instid0(VALU_DEP_3) | instskip(SKIP_1) | instid1(VALU_DEP_3)
	v_sub_co_u32 v21, s1, v12, s34
	v_add_nc_u64_e32 v[34:35], 2, v[32:33]
	v_subrev_co_ci_u32_e64 v5, null, 0, v5, s1
	s_delay_alu instid0(VALU_DEP_3) | instskip(SKIP_2) | instid1(VALU_DEP_4)
	v_cmp_le_u32_e32 vcc_lo, s34, v21
	v_add_nc_u64_e32 v[36:37], 1, v[32:33]
	v_cndmask_b32_e64 v21, 0, -1, vcc_lo
	v_cmp_le_u32_e32 vcc_lo, s35, v5
	v_cndmask_b32_e64 v25, 0, -1, vcc_lo
	v_cmp_le_u32_e32 vcc_lo, s34, v12
	;; [unrolled: 2-line block ×3, first 2 shown]
	v_cndmask_b32_e64 v31, 0, -1, vcc_lo
	v_cmp_eq_u32_e32 vcc_lo, s35, v5
	v_cndmask_b32_e32 v5, v25, v21, vcc_lo
	v_cmp_eq_u32_e32 vcc_lo, s35, v23
	s_delay_alu instid0(VALU_DEP_4) | instskip(NEXT) | instid1(VALU_DEP_3)
	v_cndmask_b32_e32 v12, v31, v12, vcc_lo
	v_cmp_ne_u32_e32 vcc_lo, 0, v5
	s_delay_alu instid0(VALU_DEP_2) | instskip(SKIP_1) | instid1(VALU_DEP_1)
	v_cmp_ne_u32_e64 s1, 0, v12
	v_dual_cndmask_b32 v5, v37, v35 :: v_dual_cndmask_b32 v12, v36, v34
	v_dual_cndmask_b32 v5, v33, v5, s1 :: v_dual_bitop2_b32 v30, s30, v30 bitop3:0x14
	s_delay_alu instid0(VALU_DEP_1) | instskip(NEXT) | instid1(VALU_DEP_2)
	v_dual_cndmask_b32 v12, v32, v12, s1 :: v_dual_mov_b32 v31, v30
	v_xor_b32_e32 v33, v5, v30
	s_delay_alu instid0(VALU_DEP_2) | instskip(NEXT) | instid1(VALU_DEP_1)
	v_xor_b32_e32 v32, v12, v30
	v_sub_nc_u64_e32 v[30:31], v[32:33], v[30:31]
.LBB51_95:                              ;   in Loop: Header=BB51_93 Depth=1
	s_and_not1_saveexec_b32 s1, s44
	s_cbranch_execz .LBB51_92
; %bb.96:                               ;   in Loop: Header=BB51_93 Depth=1
	v_cvt_f32_u32_e32 v5, s28
	s_sub_co_i32 s20, 0, s28
	v_mov_b32_e32 v31, v24
	s_delay_alu instid0(VALU_DEP_2) | instskip(SKIP_1) | instid1(TRANS32_DEP_1)
	v_rcp_iflag_f32_e32 v5, v5
	v_nop
	v_mul_f32_e32 v5, 0x4f7ffffe, v5
	s_delay_alu instid0(VALU_DEP_1) | instskip(NEXT) | instid1(VALU_DEP_1)
	v_cvt_u32_f32_e32 v5, v5
	v_mul_lo_u32 v12, s20, v5
	s_delay_alu instid0(VALU_DEP_1) | instskip(NEXT) | instid1(VALU_DEP_1)
	v_mul_hi_u32 v12, v5, v12
	v_add_nc_u32_e32 v5, v5, v12
	s_delay_alu instid0(VALU_DEP_1) | instskip(NEXT) | instid1(VALU_DEP_1)
	v_mul_hi_u32 v5, v28, v5
	v_mul_lo_u32 v12, v5, s28
	s_delay_alu instid0(VALU_DEP_1) | instskip(NEXT) | instid1(VALU_DEP_1)
	v_dual_add_nc_u32 v21, 1, v5 :: v_dual_sub_nc_u32 v12, v28, v12
	v_subrev_nc_u32_e32 v23, s28, v12
	v_cmp_le_u32_e32 vcc_lo, s28, v12
	s_delay_alu instid0(VALU_DEP_2) | instskip(NEXT) | instid1(VALU_DEP_1)
	v_dual_cndmask_b32 v12, v12, v23 :: v_dual_cndmask_b32 v5, v5, v21
	v_cmp_le_u32_e32 vcc_lo, s28, v12
	s_delay_alu instid0(VALU_DEP_2) | instskip(NEXT) | instid1(VALU_DEP_1)
	v_add_nc_u32_e32 v21, 1, v5
	v_cndmask_b32_e32 v30, v5, v21, vcc_lo
	s_branch .LBB51_92
.LBB51_97:
                                        ; implicit-def: $sgpr0
                                        ; implicit-def: $sgpr40
                                        ; implicit-def: $sgpr45
                                        ; implicit-def: $sgpr24
                                        ; implicit-def: $vgpr0
	s_and_saveexec_b32 s1, s3
.LBB51_98:
	; divergent unreachable
.LBB51_99:
	s_delay_alu instid0(SALU_CYCLE_1)
	s_or_b32 exec_lo, exec_lo, s1
	s_and_saveexec_b32 s1, s9
	s_cbranch_execz .LBB51_105
; %bb.100:
	s_and_b32 exec_lo, exec_lo, s0
	s_cbranch_execz .LBB51_105
; %bb.101:
	s_wait_loadcnt 0x2
	v_dual_mov_b32 v1, 0 :: v_dual_bitop2_b32 v2, s2, v0 bitop3:0x54
	global_store_b32 v2, v1, s[16:17] scale_offset
	s_wait_xcnt 0x0
	s_and_b32 exec_lo, exec_lo, s40
	s_cbranch_execz .LBB51_105
; %bb.102:
	v_add_nc_u32_e32 v0, s2, v0
	global_store_b32 v0, v1, s[16:17] offset:1024 scale_offset
	s_wait_xcnt 0x0
	s_and_b32 exec_lo, exec_lo, s45
	s_cbranch_execz .LBB51_105
; %bb.103:
	v_lshl_add_u64 v[0:1], v[0:1], 2, s[16:17]
	v_mov_b32_e32 v2, 0
	global_store_b32 v[0:1], v2, off offset:2048
	s_wait_xcnt 0x0
	s_and_b32 exec_lo, exec_lo, s24
	s_cbranch_execz .LBB51_105
; %bb.104:
	global_store_b32 v[0:1], v2, off offset:3072
.LBB51_105:
	s_endpgm
.LBB51_106:
	s_or_b32 exec_lo, exec_lo, s37
	s_and_saveexec_b32 s0, s35
	s_cbranch_execnz .LBB51_69
.LBB51_107:
	s_or_b32 exec_lo, exec_lo, s0
	s_mov_b32 s0, 0
	s_and_saveexec_b32 s51, s36
	s_cbranch_execz .LBB51_70
.LBB51_108:
	v_mov_b64_e32 v[8:9], 0
	s_and_not1_b32 vcc_lo, exec_lo, s50
	s_cbranch_vccnz .LBB51_120
; %bb.109:
	s_wait_loadcnt 0x0
	v_dual_mov_b32 v8, v7 :: v_dual_ashrrev_i32 v9, 31, v7
	s_mov_b32 s35, 0
	v_mov_b32_e32 v6, 0
	s_lshl_b64 s[40:41], s[34:35], 3
	s_mov_b64 s[36:37], 0xffffffff
	v_mul_u64_e32 v[10:11], s[6:7], v[8:9]
	v_mov_b64_e32 v[8:9], 0
	s_add_nc_u64 s[38:39], s[10:11], s[40:41]
	s_add_nc_u64 s[40:41], s[12:13], s[40:41]
	s_branch .LBB51_111
.LBB51_110:                             ;   in Loop: Header=BB51_111 Depth=1
	s_or_b32 exec_lo, exec_lo, s0
	s_delay_alu instid0(VALU_DEP_1)
	v_mul_u64_e32 v[14:15], s[42:43], v[12:13]
	s_load_b64 s[42:43], s[40:41], 0x0
	s_add_co_i32 s53, s53, -1
	s_add_nc_u64 s[38:39], s[38:39], -8
	s_cmp_lg_u32 s53, 0
	s_wait_xcnt 0x0
	s_add_nc_u64 s[40:41], s[40:41], -8
	s_delay_alu instid0(VALU_DEP_1) | instskip(SKIP_1) | instid1(VALU_DEP_1)
	v_sub_nc_u64_e32 v[10:11], v[10:11], v[14:15]
	s_wait_kmcnt 0x0
	v_mad_nc_u64_u32 v[8:9], v10, s42, v[8:9]
	s_delay_alu instid0(VALU_DEP_1) | instskip(NEXT) | instid1(VALU_DEP_1)
	v_mad_u32 v1, v11, s42, v9
	v_mad_u32 v9, v10, s43, v1
	v_mov_b64_e32 v[10:11], v[12:13]
	s_cbranch_scc0 .LBB51_120
.LBB51_111:                             ; =>This Inner Loop Header: Depth=1
	s_load_b64 s[42:43], s[38:39], 0x0
                                        ; implicit-def: $vgpr12_vgpr13
	s_mov_b32 s0, exec_lo
	s_wait_kmcnt 0x0
	s_delay_alu instid0(VALU_DEP_1) | instskip(NEXT) | instid1(VALU_DEP_1)
	v_or_b32_e32 v7, s43, v11
	v_cmpx_ne_u64_e32 0, v[6:7]
	s_xor_b32 s50, exec_lo, s0
	s_cbranch_execz .LBB51_113
; %bb.112:                              ;   in Loop: Header=BB51_111 Depth=1
	s_ashr_i32 s44, s43, 31
	v_dual_mov_b32 v17, v6 :: v_dual_ashrrev_i32 v12, 31, v11
	s_mov_b32 s45, s44
	s_delay_alu instid0(SALU_CYCLE_1) | instskip(NEXT) | instid1(VALU_DEP_1)
	s_add_nc_u64 s[46:47], s[42:43], s[44:45]
	v_mov_b32_e32 v13, v12
	s_xor_b64 s[46:47], s[46:47], s[44:45]
	s_delay_alu instid0(SALU_CYCLE_1)
	s_cvt_f32_u32 s0, s46
	s_cvt_f32_u32 s34, s47
	s_sub_nc_u64 s[56:57], 0, s[46:47]
	v_add_nc_u64_e32 v[14:15], v[10:11], v[12:13]
	v_mov_b32_e32 v21, v6
	s_fmamk_f32 s0, s34, 0x4f800000, s0
	s_delay_alu instid0(SALU_CYCLE_3) | instskip(NEXT) | instid1(VALU_DEP_2)
	v_s_rcp_f32 s0, s0
	v_xor_b32_e32 v16, v14, v12
	s_delay_alu instid0(VALU_DEP_3) | instskip(NEXT) | instid1(TRANS32_DEP_1)
	v_dual_mov_b32 v25, v6 :: v_dual_bitop2_b32 v20, v15, v12 bitop3:0x14
	s_mul_f32 s0, s0, 0x5f7ffffc
	s_delay_alu instid0(SALU_CYCLE_3) | instskip(NEXT) | instid1(SALU_CYCLE_3)
	s_mul_f32 s34, s0, 0x2f800000
	s_trunc_f32 s34, s34
	s_delay_alu instid0(SALU_CYCLE_3) | instskip(SKIP_1) | instid1(SALU_CYCLE_2)
	s_fmamk_f32 s0, s34, 0xcf800000, s0
	s_cvt_u32_f32 s55, s34
	s_cvt_u32_f32 s54, s0
	s_delay_alu instid0(SALU_CYCLE_3) | instskip(NEXT) | instid1(SALU_CYCLE_1)
	s_mul_u64 s[58:59], s[56:57], s[54:55]
	s_mul_hi_u32 s61, s54, s59
	s_mul_i32 s60, s54, s59
	s_mul_hi_u32 s34, s54, s58
	s_mul_i32 s45, s55, s58
	s_add_nc_u64 s[60:61], s[34:35], s[60:61]
	s_mul_hi_u32 s0, s55, s58
	s_mul_hi_u32 s62, s55, s59
	s_add_co_u32 s34, s60, s45
	s_add_co_ci_u32 s34, s61, s0
	s_mul_i32 s58, s55, s59
	s_add_co_ci_u32 s59, s62, 0
	s_delay_alu instid0(SALU_CYCLE_1) | instskip(NEXT) | instid1(SALU_CYCLE_1)
	s_add_nc_u64 s[58:59], s[34:35], s[58:59]
	s_add_co_u32 s54, s54, s58
	s_cselect_b32 s0, -1, 0
	s_delay_alu instid0(SALU_CYCLE_1) | instskip(SKIP_1) | instid1(SALU_CYCLE_1)
	s_cmp_lg_u32 s0, 0
	s_add_co_ci_u32 s55, s55, s59
	s_mul_u64 s[56:57], s[56:57], s[54:55]
	s_delay_alu instid0(SALU_CYCLE_1)
	s_mul_hi_u32 s59, s54, s57
	s_mul_i32 s58, s54, s57
	s_mul_hi_u32 s34, s54, s56
	s_mul_i32 s45, s55, s56
	s_add_nc_u64 s[58:59], s[34:35], s[58:59]
	s_mul_hi_u32 s0, s55, s56
	s_mul_hi_u32 s60, s55, s57
	s_add_co_u32 s34, s58, s45
	s_add_co_ci_u32 s34, s59, s0
	s_mul_i32 s56, s55, s57
	s_add_co_ci_u32 s57, s60, 0
	s_delay_alu instid0(SALU_CYCLE_1) | instskip(NEXT) | instid1(SALU_CYCLE_1)
	s_add_nc_u64 s[56:57], s[34:35], s[56:57]
	s_add_co_u32 s0, s54, s56
	s_cselect_b32 s34, -1, 0
	v_mul_hi_u32 v24, v16, s0
	s_cmp_lg_u32 s34, 0
	s_add_co_ci_u32 s34, s55, s57
	s_and_b64 s[54:55], s[0:1], s[36:37]
	v_mul_u64_e32 v[18:19], s[34:35], v[16:17]
	v_mul_u64_e32 v[14:15], s[54:55], v[20:21]
	;; [unrolled: 1-line block ×3, first 2 shown]
	s_delay_alu instid0(VALU_DEP_3) | instskip(NEXT) | instid1(VALU_DEP_1)
	v_add_nc_u64_e32 v[18:19], v[24:25], v[18:19]
	v_add_co_u32 v1, vcc_lo, v18, v14
	s_delay_alu instid0(VALU_DEP_2) | instskip(NEXT) | instid1(VALU_DEP_4)
	v_add_co_ci_u32_e32 v24, vcc_lo, v19, v15, vcc_lo
	v_add_co_ci_u32_e32 v23, vcc_lo, 0, v23, vcc_lo
	s_delay_alu instid0(VALU_DEP_1) | instskip(NEXT) | instid1(VALU_DEP_1)
	v_add_nc_u64_e32 v[14:15], v[24:25], v[22:23]
	v_mul_u64_e32 v[18:19], s[46:47], v[14:15]
	s_delay_alu instid0(VALU_DEP_1) | instskip(NEXT) | instid1(VALU_DEP_2)
	v_sub_nc_u32_e32 v1, v20, v19
	v_sub_co_u32 v2, vcc_lo, v16, v18
	s_delay_alu instid0(VALU_DEP_1) | instskip(NEXT) | instid1(VALU_DEP_3)
	v_sub_co_ci_u32_e64 v7, null, v20, v19, vcc_lo
	v_subrev_co_ci_u32_e64 v1, null, s47, v1, vcc_lo
	s_delay_alu instid0(VALU_DEP_3) | instskip(SKIP_1) | instid1(VALU_DEP_3)
	v_sub_co_u32 v4, s0, v2, s46
	v_add_nc_u64_e32 v[16:17], 2, v[14:15]
	v_subrev_co_ci_u32_e64 v1, null, 0, v1, s0
	s_delay_alu instid0(VALU_DEP_3) | instskip(SKIP_2) | instid1(VALU_DEP_4)
	v_cmp_le_u32_e32 vcc_lo, s46, v4
	v_add_nc_u64_e32 v[18:19], 1, v[14:15]
	v_cndmask_b32_e64 v4, 0, -1, vcc_lo
	v_cmp_le_u32_e32 vcc_lo, s47, v1
	v_cndmask_b32_e64 v13, 0, -1, vcc_lo
	v_cmp_le_u32_e32 vcc_lo, s46, v2
	;; [unrolled: 2-line block ×3, first 2 shown]
	v_cndmask_b32_e64 v20, 0, -1, vcc_lo
	v_cmp_eq_u32_e32 vcc_lo, s47, v1
	v_cndmask_b32_e32 v1, v13, v4, vcc_lo
	v_cmp_eq_u32_e32 vcc_lo, s47, v7
	s_delay_alu instid0(VALU_DEP_4) | instskip(NEXT) | instid1(VALU_DEP_3)
	v_cndmask_b32_e32 v2, v20, v2, vcc_lo
	v_cmp_ne_u32_e32 vcc_lo, 0, v1
	s_delay_alu instid0(VALU_DEP_2) | instskip(SKIP_1) | instid1(VALU_DEP_1)
	v_cmp_ne_u32_e64 s0, 0, v2
	v_dual_cndmask_b32 v1, v19, v17 :: v_dual_cndmask_b32 v2, v18, v16
	v_dual_cndmask_b32 v1, v15, v1, s0 :: v_dual_bitop2_b32 v12, s44, v12 bitop3:0x14
	s_delay_alu instid0(VALU_DEP_1) | instskip(NEXT) | instid1(VALU_DEP_2)
	v_dual_cndmask_b32 v2, v14, v2, s0 :: v_dual_mov_b32 v13, v12
	v_xor_b32_e32 v15, v1, v12
	s_delay_alu instid0(VALU_DEP_2) | instskip(NEXT) | instid1(VALU_DEP_1)
	v_xor_b32_e32 v14, v2, v12
	v_sub_nc_u64_e32 v[12:13], v[14:15], v[12:13]
.LBB51_113:                             ;   in Loop: Header=BB51_111 Depth=1
	s_and_not1_saveexec_b32 s0, s50
	s_cbranch_execz .LBB51_110
; %bb.114:                              ;   in Loop: Header=BB51_111 Depth=1
	v_cvt_f32_u32_e32 v1, s42
	s_sub_co_i32 s34, 0, s42
	v_mov_b32_e32 v13, v6
	s_delay_alu instid0(VALU_DEP_2) | instskip(SKIP_1) | instid1(TRANS32_DEP_1)
	v_rcp_iflag_f32_e32 v1, v1
	v_nop
	v_mul_f32_e32 v1, 0x4f7ffffe, v1
	s_delay_alu instid0(VALU_DEP_1) | instskip(NEXT) | instid1(VALU_DEP_1)
	v_cvt_u32_f32_e32 v1, v1
	v_mul_lo_u32 v2, s34, v1
	s_delay_alu instid0(VALU_DEP_1) | instskip(NEXT) | instid1(VALU_DEP_1)
	v_mul_hi_u32 v2, v1, v2
	v_add_nc_u32_e32 v1, v1, v2
	s_delay_alu instid0(VALU_DEP_1) | instskip(NEXT) | instid1(VALU_DEP_1)
	v_mul_hi_u32 v1, v10, v1
	v_mul_lo_u32 v2, v1, s42
	s_delay_alu instid0(VALU_DEP_1) | instskip(NEXT) | instid1(VALU_DEP_1)
	v_dual_add_nc_u32 v4, 1, v1 :: v_dual_sub_nc_u32 v2, v10, v2
	v_subrev_nc_u32_e32 v7, s42, v2
	v_cmp_le_u32_e32 vcc_lo, s42, v2
	s_delay_alu instid0(VALU_DEP_2) | instskip(NEXT) | instid1(VALU_DEP_1)
	v_dual_cndmask_b32 v2, v2, v7 :: v_dual_cndmask_b32 v1, v1, v4
	v_cmp_le_u32_e32 vcc_lo, s42, v2
	s_delay_alu instid0(VALU_DEP_2) | instskip(NEXT) | instid1(VALU_DEP_1)
	v_add_nc_u32_e32 v4, 1, v1
	v_cndmask_b32_e32 v12, v1, v4, vcc_lo
	s_branch .LBB51_110
.LBB51_115:
	s_mov_b32 s21, -1
	s_mov_b32 s19, 0
	s_mov_b32 s1, exec_lo
	v_cmpx_gt_i32_e64 v20, v22
	s_cbranch_execz .LBB51_126
; %bb.116:
	s_wait_loadcnt 0x0
	s_delay_alu instid0(VALU_DEP_2) | instskip(SKIP_2) | instid1(VALU_DEP_1)
	v_lshlrev_b64_e32 v[24:25], 2, v[26:27]
	v_dual_ashrrev_i32 v23, 31, v22 :: v_dual_ashrrev_i32 v21, 31, v20
	s_xor_b32 s21, s36, -1
                                        ; implicit-def: $sgpr20
                                        ; implicit-def: $sgpr23
                                        ; implicit-def: $sgpr22
	v_lshl_add_u64 v[22:23], v[22:23], 2, v[24:25]
	v_add_nc_u64_e32 v[24:25], s[14:15], v[24:25]
	s_delay_alu instid0(VALU_DEP_2) | instskip(NEXT) | instid1(VALU_DEP_2)
	v_add_nc_u64_e32 v[22:23], s[14:15], v[22:23]
	v_lshl_add_u64 v[20:21], v[20:21], 2, v[24:25]
	s_delay_alu instid0(VALU_DEP_2)
	v_add_nc_u64_e32 v[22:23], 4, v[22:23]
	s_branch .LBB51_118
.LBB51_117:                             ;   in Loop: Header=BB51_118 Depth=1
	s_or_b32 exec_lo, exec_lo, s24
	s_delay_alu instid0(SALU_CYCLE_1) | instskip(NEXT) | instid1(SALU_CYCLE_1)
	s_and_b32 s24, exec_lo, s23
	s_or_b32 s19, s24, s19
	s_and_not1_b32 s20, s20, exec_lo
	s_and_b32 s24, s22, exec_lo
	s_delay_alu instid0(SALU_CYCLE_1)
	s_or_b32 s20, s20, s24
	s_and_not1_b32 exec_lo, exec_lo, s19
	s_cbranch_execz .LBB51_125
.LBB51_118:                             ; =>This Inner Loop Header: Depth=1
	s_or_b32 s22, s22, exec_lo
	s_or_b32 s23, s23, exec_lo
	s_mov_b32 s24, exec_lo
	s_delay_alu instid0(VALU_DEP_1)
	v_cmpx_lt_u64_e64 v[22:23], v[20:21]
	s_cbranch_execz .LBB51_117
; %bb.119:                              ;   in Loop: Header=BB51_118 Depth=1
	global_load_b64 v[24:25], v[22:23], off offset:-4
	s_wait_xcnt 0x0
	v_add_nc_u64_e32 v[22:23], 4, v[22:23]
	s_and_not1_b32 s23, s23, exec_lo
	s_and_not1_b32 s22, s22, exec_lo
	s_wait_loadcnt 0x0
	v_cmp_ge_i32_e32 vcc_lo, v24, v25
	s_or_b32 s25, s21, vcc_lo
	s_delay_alu instid0(SALU_CYCLE_1) | instskip(NEXT) | instid1(SALU_CYCLE_1)
	s_and_b32 s25, s25, exec_lo
	s_or_b32 s23, s23, s25
	s_branch .LBB51_117
.LBB51_120:
	s_mov_b32 s34, s52
	s_mov_b32 s0, exec_lo
	s_wait_loadcnt 0x2
	v_cmpx_gt_i32_e64 v3, v5
	s_cbranch_execz .LBB51_174
; %bb.121:
	s_wait_loadcnt 0x0
	s_delay_alu instid0(VALU_DEP_2) | instskip(SKIP_3) | instid1(VALU_DEP_1)
	v_lshlrev_b64_e32 v[6:7], 2, v[8:9]
	v_dual_mov_b32 v8, v5 :: v_dual_ashrrev_i32 v9, 31, v5
	s_mov_b32 s34, 0
	s_xor_b32 s36, s49, -1
                                        ; implicit-def: $sgpr35
                                        ; implicit-def: $sgpr38
                                        ; implicit-def: $sgpr37
	v_lshl_add_u64 v[4:5], v[8:9], 2, v[6:7]
	v_add_nc_u64_e32 v[6:7], s[14:15], v[6:7]
	v_dual_mov_b32 v8, v3 :: v_dual_ashrrev_i32 v9, 31, v3
	s_delay_alu instid0(VALU_DEP_3) | instskip(NEXT) | instid1(VALU_DEP_1)
	v_add_nc_u64_e32 v[4:5], s[14:15], v[4:5]
	v_add_nc_u64_e32 v[2:3], 4, v[4:5]
	s_delay_alu instid0(VALU_DEP_3)
	v_lshl_add_u64 v[4:5], v[8:9], 2, v[6:7]
	s_branch .LBB51_123
.LBB51_122:                             ;   in Loop: Header=BB51_123 Depth=1
	s_or_b32 exec_lo, exec_lo, s39
	s_xor_b32 s39, s37, -1
	s_and_b32 s40, exec_lo, s38
	s_delay_alu instid0(SALU_CYCLE_1) | instskip(SKIP_2) | instid1(SALU_CYCLE_1)
	s_or_b32 s34, s40, s34
	s_and_not1_b32 s35, s35, exec_lo
	s_and_b32 s39, s39, exec_lo
	s_or_b32 s35, s35, s39
	s_and_not1_b32 exec_lo, exec_lo, s34
	s_cbranch_execz .LBB51_173
.LBB51_123:                             ; =>This Inner Loop Header: Depth=1
	s_or_b32 s37, s37, exec_lo
	s_or_b32 s38, s38, exec_lo
	s_mov_b32 s39, exec_lo
	s_delay_alu instid0(VALU_DEP_2)
	v_cmpx_lt_u64_e64 v[2:3], v[4:5]
	s_cbranch_execz .LBB51_122
; %bb.124:                              ;   in Loop: Header=BB51_123 Depth=1
	global_load_b64 v[6:7], v[2:3], off offset:-4
	s_wait_xcnt 0x0
	v_add_nc_u64_e32 v[2:3], 4, v[2:3]
	s_and_not1_b32 s38, s38, exec_lo
	s_and_not1_b32 s37, s37, exec_lo
	s_wait_loadcnt 0x0
	v_cmp_ge_i32_e32 vcc_lo, v6, v7
	s_or_b32 s40, s36, vcc_lo
	s_delay_alu instid0(SALU_CYCLE_1) | instskip(NEXT) | instid1(SALU_CYCLE_1)
	s_and_b32 s40, s40, exec_lo
	s_or_b32 s38, s38, s40
	s_branch .LBB51_122
.LBB51_125:
	s_or_b32 exec_lo, exec_lo, s19
	s_delay_alu instid0(SALU_CYCLE_1)
	s_mov_b32 s19, exec_lo
	s_or_not1_b32 s21, s20, exec_lo
.LBB51_126:
	s_or_b32 exec_lo, exec_lo, s1
	s_delay_alu instid0(SALU_CYCLE_1)
	s_and_b32 s20, s19, exec_lo
	s_xor_b32 s19, exec_lo, -1
	s_and_b32 s1, s21, exec_lo
.LBB51_127:
	s_or_b32 exec_lo, exec_lo, s43
	s_delay_alu instid0(SALU_CYCLE_1)
	s_and_b32 s21, s20, exec_lo
	s_and_b32 s20, s19, exec_lo
	s_xor_b32 s19, exec_lo, -1
	s_and_b32 s1, s1, exec_lo
.LBB51_128:
	s_or_b32 exec_lo, exec_lo, s41
	s_delay_alu instid0(SALU_CYCLE_1)
	s_and_b32 s22, s21, exec_lo
	s_and_b32 s21, s20, exec_lo
	;; [unrolled: 1-line block ×3, first 2 shown]
	s_xor_b32 s19, exec_lo, -1
	s_and_b32 s1, s1, exec_lo
.LBB51_129:
	s_or_b32 exec_lo, exec_lo, s40
	s_delay_alu instid0(SALU_CYCLE_1)
	s_and_b32 s41, s22, exec_lo
	s_and_b32 s43, s21, exec_lo
	;; [unrolled: 1-line block ×4, first 2 shown]
	s_or_not1_b32 s1, s1, exec_lo
.LBB51_130:
	s_or_b32 exec_lo, exec_lo, s9
	s_mov_b32 s9, 0
                                        ; implicit-def: $sgpr40
                                        ; implicit-def: $sgpr45
                                        ; implicit-def: $sgpr24
	s_and_saveexec_b32 s47, s1
	s_cbranch_execz .LBB51_142
; %bb.131:
	v_cmp_gt_i32_e64 s40, s5, v15
	s_mov_b32 s1, -1
	s_mov_b32 s52, 0
	s_mov_b32 s48, s46
	;; [unrolled: 1-line block ×4, first 2 shown]
	s_and_saveexec_b32 s45, s40
	s_cbranch_execz .LBB51_181
; %bb.132:
	s_wait_loadcnt 0x4
	v_cmp_eq_u32_e32 vcc_lo, s33, v19
	s_mov_b32 s19, -1
	s_mov_b32 s1, 0
	s_mov_b32 s21, s44
	;; [unrolled: 1-line block ×3, first 2 shown]
	s_and_b32 s23, s42, vcc_lo
	s_mov_b32 s20, 0
	s_and_saveexec_b32 s9, s23
	s_cbranch_execz .LBB51_180
; %bb.133:
	s_wait_loadcnt 0x3
	v_cmp_eq_u32_e32 vcc_lo, s6, v17
	s_mov_b32 s21, s43
	s_and_b32 s22, s39, vcc_lo
	s_delay_alu instid0(SALU_CYCLE_1)
	s_and_saveexec_b32 s48, s22
	s_cbranch_execz .LBB51_179
; %bb.134:
	s_wait_loadcnt 0x1
	v_sub_nc_u32_e32 v5, v14, v16
	s_delay_alu instid0(VALU_DEP_1)
	v_cmp_le_i32_e32 vcc_lo, s33, v5
	v_cmp_ge_i32_e64 s1, s4, v5
	s_and_b32 s20, vcc_lo, s1
	s_mov_b32 s1, 0
	s_and_b32 s21, s38, s20
	s_mov_b32 s20, 0
	s_and_saveexec_b32 s49, s21
	s_cbranch_execz .LBB51_178
; %bb.135:
	v_mov_b64_e32 v[20:21], 0
	s_and_not1_b32 vcc_lo, exec_lo, s37
	s_cbranch_vccnz .LBB51_168
; %bb.136:
	s_wait_loadcnt 0x0
	v_ashrrev_i32_e32 v19, 31, v18
	s_mov_b32 s21, 0
	v_mov_b64_e32 v[20:21], 0
	s_mov_b32 s19, s21
	s_mov_b64 s[22:23], 0xffffffff
	v_mul_u64_e32 v[22:23], s[6:7], v[18:19]
	v_mov_b32_e32 v18, 0
	s_lshl_b64 s[26:27], s[18:19], 3
	s_mov_b32 s19, s8
	s_add_nc_u64 s[24:25], s[10:11], s[26:27]
	s_add_nc_u64 s[26:27], s[12:13], s[26:27]
	s_branch .LBB51_138
.LBB51_137:                             ;   in Loop: Header=BB51_138 Depth=1
	s_or_b32 exec_lo, exec_lo, s1
	s_delay_alu instid0(VALU_DEP_1)
	v_mul_u64_e32 v[26:27], s[28:29], v[24:25]
	s_load_b64 s[28:29], s[26:27], 0x0
	s_add_co_i32 s19, s19, -1
	s_add_nc_u64 s[24:25], s[24:25], -8
	s_cmp_lg_u32 s19, 0
	s_wait_xcnt 0x0
	s_add_nc_u64 s[26:27], s[26:27], -8
	s_delay_alu instid0(VALU_DEP_1) | instskip(SKIP_1) | instid1(VALU_DEP_1)
	v_sub_nc_u64_e32 v[22:23], v[22:23], v[26:27]
	s_wait_kmcnt 0x0
	v_mad_nc_u64_u32 v[20:21], v22, s28, v[20:21]
	s_delay_alu instid0(VALU_DEP_1) | instskip(NEXT) | instid1(VALU_DEP_1)
	v_mad_u32 v5, v23, s28, v21
	v_mad_u32 v21, v22, s29, v5
	v_mov_b64_e32 v[22:23], v[24:25]
	s_cbranch_scc0 .LBB51_168
.LBB51_138:                             ; =>This Inner Loop Header: Depth=1
	s_load_b64 s[28:29], s[24:25], 0x0
                                        ; implicit-def: $vgpr24_vgpr25
	s_mov_b32 s1, exec_lo
	s_wait_kmcnt 0x0
	s_delay_alu instid0(VALU_DEP_1) | instskip(NEXT) | instid1(VALU_DEP_1)
	v_or_b32_e32 v19, s29, v23
	v_cmpx_ne_u64_e32 0, v[18:19]
	s_xor_b32 s50, exec_lo, s1
	s_cbranch_execz .LBB51_140
; %bb.139:                              ;   in Loop: Header=BB51_138 Depth=1
	s_ashr_i32 s30, s29, 31
	v_dual_mov_b32 v29, v18 :: v_dual_ashrrev_i32 v24, 31, v23
	s_mov_b32 s31, s30
	s_delay_alu instid0(SALU_CYCLE_1) | instskip(NEXT) | instid1(VALU_DEP_1)
	s_add_nc_u64 s[34:35], s[28:29], s[30:31]
	v_mov_b32_e32 v25, v24
	s_xor_b64 s[34:35], s[34:35], s[30:31]
	s_delay_alu instid0(SALU_CYCLE_1)
	s_cvt_f32_u32 s1, s34
	s_cvt_f32_u32 s20, s35
	s_sub_nc_u64 s[56:57], 0, s[34:35]
	v_add_nc_u64_e32 v[26:27], v[22:23], v[24:25]
	v_mov_b32_e32 v33, v18
	s_fmamk_f32 s1, s20, 0x4f800000, s1
	s_delay_alu instid0(SALU_CYCLE_3) | instskip(NEXT) | instid1(VALU_DEP_2)
	v_s_rcp_f32 s1, s1
	v_xor_b32_e32 v28, v26, v24
	s_delay_alu instid0(VALU_DEP_3) | instskip(NEXT) | instid1(TRANS32_DEP_1)
	v_dual_mov_b32 v37, v18 :: v_dual_bitop2_b32 v32, v27, v24 bitop3:0x14
	s_mul_f32 s1, s1, 0x5f7ffffc
	s_delay_alu instid0(SALU_CYCLE_3) | instskip(NEXT) | instid1(SALU_CYCLE_3)
	s_mul_f32 s20, s1, 0x2f800000
	s_trunc_f32 s20, s20
	s_delay_alu instid0(SALU_CYCLE_3) | instskip(SKIP_1) | instid1(SALU_CYCLE_2)
	s_fmamk_f32 s1, s20, 0xcf800000, s1
	s_cvt_u32_f32 s55, s20
	s_cvt_u32_f32 s54, s1
	s_delay_alu instid0(SALU_CYCLE_3) | instskip(NEXT) | instid1(SALU_CYCLE_1)
	s_mul_u64 s[58:59], s[56:57], s[54:55]
	s_mul_hi_u32 s61, s54, s59
	s_mul_i32 s60, s54, s59
	s_mul_hi_u32 s20, s54, s58
	s_mul_i32 s31, s55, s58
	s_add_nc_u64 s[60:61], s[20:21], s[60:61]
	s_mul_hi_u32 s1, s55, s58
	s_mul_hi_u32 s51, s55, s59
	s_add_co_u32 s20, s60, s31
	s_add_co_ci_u32 s20, s61, s1
	s_mul_i32 s58, s55, s59
	s_add_co_ci_u32 s59, s51, 0
	s_delay_alu instid0(SALU_CYCLE_1) | instskip(NEXT) | instid1(SALU_CYCLE_1)
	s_add_nc_u64 s[58:59], s[20:21], s[58:59]
	s_add_co_u32 s54, s54, s58
	s_cselect_b32 s1, -1, 0
	s_delay_alu instid0(SALU_CYCLE_1) | instskip(SKIP_1) | instid1(SALU_CYCLE_1)
	s_cmp_lg_u32 s1, 0
	s_add_co_ci_u32 s55, s55, s59
	s_mul_u64 s[56:57], s[56:57], s[54:55]
	s_delay_alu instid0(SALU_CYCLE_1)
	s_mul_hi_u32 s59, s54, s57
	s_mul_i32 s58, s54, s57
	s_mul_hi_u32 s20, s54, s56
	s_mul_i32 s31, s55, s56
	s_add_nc_u64 s[58:59], s[20:21], s[58:59]
	s_mul_hi_u32 s1, s55, s56
	s_mul_hi_u32 s51, s55, s57
	s_add_co_u32 s20, s58, s31
	s_add_co_ci_u32 s20, s59, s1
	s_mul_i32 s56, s55, s57
	s_add_co_ci_u32 s57, s51, 0
	s_delay_alu instid0(SALU_CYCLE_1) | instskip(NEXT) | instid1(SALU_CYCLE_1)
	s_add_nc_u64 s[56:57], s[20:21], s[56:57]
	s_add_co_u32 s54, s54, s56
	s_cselect_b32 s1, -1, 0
	v_mul_hi_u32 v36, v28, s54
	s_cmp_lg_u32 s1, 0
	s_add_co_ci_u32 s20, s55, s57
	s_and_b64 s[56:57], s[54:55], s[22:23]
	v_mul_u64_e32 v[30:31], s[20:21], v[28:29]
	v_mul_u64_e32 v[26:27], s[56:57], v[32:33]
	v_mul_u64_e32 v[34:35], s[20:21], v[32:33]
	s_delay_alu instid0(VALU_DEP_3) | instskip(NEXT) | instid1(VALU_DEP_1)
	v_add_nc_u64_e32 v[30:31], v[36:37], v[30:31]
	v_add_co_u32 v5, vcc_lo, v30, v26
	s_delay_alu instid0(VALU_DEP_2) | instskip(NEXT) | instid1(VALU_DEP_4)
	v_add_co_ci_u32_e32 v36, vcc_lo, v31, v27, vcc_lo
	v_add_co_ci_u32_e32 v35, vcc_lo, 0, v35, vcc_lo
	s_delay_alu instid0(VALU_DEP_1) | instskip(NEXT) | instid1(VALU_DEP_1)
	v_add_nc_u64_e32 v[26:27], v[36:37], v[34:35]
	v_mul_u64_e32 v[30:31], s[34:35], v[26:27]
	s_delay_alu instid0(VALU_DEP_1) | instskip(NEXT) | instid1(VALU_DEP_2)
	v_sub_nc_u32_e32 v5, v32, v31
	v_sub_co_u32 v12, vcc_lo, v28, v30
	s_delay_alu instid0(VALU_DEP_1) | instskip(NEXT) | instid1(VALU_DEP_3)
	v_sub_co_ci_u32_e64 v17, null, v32, v31, vcc_lo
	v_subrev_co_ci_u32_e64 v5, null, s35, v5, vcc_lo
	s_delay_alu instid0(VALU_DEP_3) | instskip(SKIP_1) | instid1(VALU_DEP_3)
	v_sub_co_u32 v15, s1, v12, s34
	v_add_nc_u64_e32 v[28:29], 2, v[26:27]
	v_subrev_co_ci_u32_e64 v5, null, 0, v5, s1
	s_delay_alu instid0(VALU_DEP_3) | instskip(SKIP_2) | instid1(VALU_DEP_4)
	v_cmp_le_u32_e32 vcc_lo, s34, v15
	v_add_nc_u64_e32 v[30:31], 1, v[26:27]
	v_cndmask_b32_e64 v15, 0, -1, vcc_lo
	v_cmp_le_u32_e32 vcc_lo, s35, v5
	v_cndmask_b32_e64 v19, 0, -1, vcc_lo
	v_cmp_le_u32_e32 vcc_lo, s34, v12
	;; [unrolled: 2-line block ×3, first 2 shown]
	v_cndmask_b32_e64 v25, 0, -1, vcc_lo
	v_cmp_eq_u32_e32 vcc_lo, s35, v5
	v_cndmask_b32_e32 v5, v19, v15, vcc_lo
	v_cmp_eq_u32_e32 vcc_lo, s35, v17
	s_delay_alu instid0(VALU_DEP_4) | instskip(NEXT) | instid1(VALU_DEP_3)
	v_cndmask_b32_e32 v12, v25, v12, vcc_lo
	v_cmp_ne_u32_e32 vcc_lo, 0, v5
	s_delay_alu instid0(VALU_DEP_2) | instskip(SKIP_1) | instid1(VALU_DEP_1)
	v_cmp_ne_u32_e64 s1, 0, v12
	v_dual_cndmask_b32 v5, v31, v29 :: v_dual_cndmask_b32 v12, v30, v28
	v_dual_cndmask_b32 v5, v27, v5, s1 :: v_dual_bitop2_b32 v24, s30, v24 bitop3:0x14
	s_delay_alu instid0(VALU_DEP_1) | instskip(NEXT) | instid1(VALU_DEP_2)
	v_dual_cndmask_b32 v12, v26, v12, s1 :: v_dual_mov_b32 v25, v24
	v_xor_b32_e32 v27, v5, v24
	s_delay_alu instid0(VALU_DEP_2) | instskip(NEXT) | instid1(VALU_DEP_1)
	v_xor_b32_e32 v26, v12, v24
	v_sub_nc_u64_e32 v[24:25], v[26:27], v[24:25]
.LBB51_140:                             ;   in Loop: Header=BB51_138 Depth=1
	s_and_not1_saveexec_b32 s1, s50
	s_cbranch_execz .LBB51_137
; %bb.141:                              ;   in Loop: Header=BB51_138 Depth=1
	v_cvt_f32_u32_e32 v5, s28
	s_sub_co_i32 s20, 0, s28
	v_mov_b32_e32 v25, v18
	s_delay_alu instid0(VALU_DEP_2) | instskip(SKIP_1) | instid1(TRANS32_DEP_1)
	v_rcp_iflag_f32_e32 v5, v5
	v_nop
	v_mul_f32_e32 v5, 0x4f7ffffe, v5
	s_delay_alu instid0(VALU_DEP_1) | instskip(NEXT) | instid1(VALU_DEP_1)
	v_cvt_u32_f32_e32 v5, v5
	v_mul_lo_u32 v12, s20, v5
	s_delay_alu instid0(VALU_DEP_1) | instskip(NEXT) | instid1(VALU_DEP_1)
	v_mul_hi_u32 v12, v5, v12
	v_add_nc_u32_e32 v5, v5, v12
	s_delay_alu instid0(VALU_DEP_1) | instskip(NEXT) | instid1(VALU_DEP_1)
	v_mul_hi_u32 v5, v22, v5
	v_mul_lo_u32 v12, v5, s28
	s_delay_alu instid0(VALU_DEP_1) | instskip(NEXT) | instid1(VALU_DEP_1)
	v_dual_add_nc_u32 v15, 1, v5 :: v_dual_sub_nc_u32 v12, v22, v12
	v_subrev_nc_u32_e32 v17, s28, v12
	v_cmp_le_u32_e32 vcc_lo, s28, v12
	s_delay_alu instid0(VALU_DEP_2) | instskip(NEXT) | instid1(VALU_DEP_1)
	v_dual_cndmask_b32 v12, v12, v17 :: v_dual_cndmask_b32 v5, v5, v15
	v_cmp_le_u32_e32 vcc_lo, s28, v12
	s_delay_alu instid0(VALU_DEP_2) | instskip(NEXT) | instid1(VALU_DEP_1)
	v_add_nc_u32_e32 v15, 1, v5
	v_cndmask_b32_e32 v24, v5, v15, vcc_lo
	s_branch .LBB51_137
.LBB51_142:
	s_or_b32 exec_lo, exec_lo, s47
	s_and_saveexec_b32 s1, s46
	s_cbranch_execnz .LBB51_209
.LBB51_143:
	s_or_b32 exec_lo, exec_lo, s1
	s_mov_b32 s1, 0
	s_and_saveexec_b32 s5, s48
	s_delay_alu instid0(SALU_CYCLE_1)
	s_xor_b32 s5, exec_lo, s5
; %bb.144:
	v_cmp_ne_u32_e32 vcc_lo, s6, v1
	s_xor_b32 s19, s39, -1
	s_and_not1_b32 s20, s44, exec_lo
	s_mov_b32 s1, exec_lo
	s_or_b32 s19, s19, vcc_lo
	s_delay_alu instid0(SALU_CYCLE_1) | instskip(NEXT) | instid1(SALU_CYCLE_1)
	s_and_b32 s19, s19, exec_lo
	s_or_b32 s44, s20, s19
; %bb.145:
	s_or_b32 exec_lo, exec_lo, s5
	s_and_saveexec_b32 s5, s44
	s_cbranch_execnz .LBB51_211
.LBB51_146:
	s_or_b32 exec_lo, exec_lo, s5
	s_mov_b32 s5, 0
	s_and_saveexec_b32 s19, s1
	s_delay_alu instid0(SALU_CYCLE_1)
	s_xor_b32 s19, exec_lo, s19
	s_cbranch_execz .LBB51_151
; %bb.147:
	v_sub_nc_u32_e32 v1, v4, v2
	s_mov_b32 s5, exec_lo
	s_delay_alu instid0(VALU_DEP_1) | instskip(SKIP_3) | instid1(SALU_CYCLE_1)
	v_cmp_le_i32_e32 vcc_lo, s33, v1
	v_cmp_ge_i32_e64 s1, s4, v1
	s_and_not1_b32 s4, s43, exec_lo
	s_and_b32 s1, vcc_lo, s1
	s_and_b32 s1, s38, s1
	s_delay_alu instid0(SALU_CYCLE_1) | instskip(NEXT) | instid1(SALU_CYCLE_1)
	s_xor_b32 s1, s1, -1
	s_and_b32 s1, s1, exec_lo
	s_delay_alu instid0(SALU_CYCLE_1)
	s_or_b32 s43, s4, s1
	s_or_b32 exec_lo, exec_lo, s19
	s_and_saveexec_b32 s1, s43
	s_cbranch_execz .LBB51_152
.LBB51_148:
	s_or_b32 s3, s3, exec_lo
	s_and_not1_b32 s5, s5, exec_lo
	s_trap 2
	s_or_b32 exec_lo, exec_lo, s1
	s_and_saveexec_b32 s25, s5
	s_cbranch_execnz .LBB51_153
.LBB51_149:
	s_or_b32 exec_lo, exec_lo, s25
	s_and_saveexec_b32 s1, s41
	s_cbranch_execnz .LBB51_167
.LBB51_150:
	s_or_b32 exec_lo, exec_lo, s1
	s_and_saveexec_b32 s1, s3
	s_cbranch_execnz .LBB51_98
	s_branch .LBB51_99
.LBB51_151:
	s_or_b32 exec_lo, exec_lo, s19
	s_and_saveexec_b32 s1, s43
	s_cbranch_execnz .LBB51_148
.LBB51_152:
	s_or_b32 exec_lo, exec_lo, s1
	s_and_saveexec_b32 s25, s5
	s_cbranch_execz .LBB51_149
.LBB51_153:
	v_mov_b64_e32 v[8:9], 0
	s_and_not1_b32 vcc_lo, exec_lo, s37
	s_cbranch_vccnz .LBB51_160
; %bb.154:
	v_mul_u64_e32 v[10:11], s[6:7], v[6:7]
	v_mov_b64_e32 v[8:9], 0
	s_mov_b32 s19, 0
	v_mov_b32_e32 v6, 0
	s_lshl_b64 s[20:21], s[18:19], 3
	s_mov_b64 s[4:5], 0xffffffff
	s_add_nc_u64 s[6:7], s[10:11], s[20:21]
	s_add_nc_u64 s[10:11], s[12:13], s[20:21]
	s_branch .LBB51_156
.LBB51_155:                             ;   in Loop: Header=BB51_156 Depth=1
	s_or_b32 exec_lo, exec_lo, s1
	s_wait_loadcnt 0x1
	s_delay_alu instid0(VALU_DEP_1)
	v_mul_u64_e32 v[14:15], s[12:13], v[12:13]
	s_load_b64 s[12:13], s[10:11], 0x0
	s_add_co_i32 s8, s8, -1
	s_add_nc_u64 s[6:7], s[6:7], -8
	s_cmp_lg_u32 s8, 0
	s_wait_xcnt 0x0
	s_add_nc_u64 s[10:11], s[10:11], -8
	s_delay_alu instid0(VALU_DEP_1) | instskip(SKIP_1) | instid1(VALU_DEP_1)
	v_sub_nc_u64_e32 v[10:11], v[10:11], v[14:15]
	s_wait_kmcnt 0x0
	v_mad_nc_u64_u32 v[8:9], v10, s12, v[8:9]
	s_delay_alu instid0(VALU_DEP_1) | instskip(NEXT) | instid1(VALU_DEP_1)
	v_mad_u32 v1, v11, s12, v9
	v_mad_u32 v9, v10, s13, v1
	v_mov_b64_e32 v[10:11], v[12:13]
	s_cbranch_scc0 .LBB51_160
.LBB51_156:                             ; =>This Inner Loop Header: Depth=1
	s_load_b64 s[12:13], s[6:7], 0x0
                                        ; implicit-def: $vgpr12_vgpr13
	s_mov_b32 s1, exec_lo
	s_wait_kmcnt 0x0
	s_delay_alu instid0(VALU_DEP_1) | instskip(NEXT) | instid1(VALU_DEP_1)
	v_or_b32_e32 v7, s13, v11
	v_cmpx_ne_u64_e32 0, v[6:7]
	s_xor_b32 s26, exec_lo, s1
	s_cbranch_execz .LBB51_158
; %bb.157:                              ;   in Loop: Header=BB51_156 Depth=1
	s_ashr_i32 s20, s13, 31
	s_wait_loadcnt 0x3
	v_dual_mov_b32 v17, v6 :: v_dual_ashrrev_i32 v12, 31, v11
	s_mov_b32 s21, s20
	s_delay_alu instid0(SALU_CYCLE_1) | instskip(NEXT) | instid1(VALU_DEP_1)
	s_add_nc_u64 s[22:23], s[12:13], s[20:21]
	v_mov_b32_e32 v13, v12
	s_xor_b64 s[22:23], s[22:23], s[20:21]
	s_delay_alu instid0(SALU_CYCLE_1)
	s_cvt_f32_u32 s1, s22
	s_cvt_f32_u32 s18, s23
	s_sub_nc_u64 s[30:31], 0, s[22:23]
	s_wait_loadcnt 0x1
	v_add_nc_u64_e32 v[14:15], v[10:11], v[12:13]
	v_mov_b32_e32 v21, v6
	s_fmamk_f32 s1, s18, 0x4f800000, s1
	s_delay_alu instid0(SALU_CYCLE_3) | instskip(NEXT) | instid1(VALU_DEP_2)
	v_s_rcp_f32 s1, s1
	v_xor_b32_e32 v16, v14, v12
	s_delay_alu instid0(VALU_DEP_3) | instskip(NEXT) | instid1(TRANS32_DEP_1)
	v_dual_mov_b32 v25, v6 :: v_dual_bitop2_b32 v20, v15, v12 bitop3:0x14
	s_mul_f32 s1, s1, 0x5f7ffffc
	s_delay_alu instid0(SALU_CYCLE_3) | instskip(NEXT) | instid1(SALU_CYCLE_3)
	s_mul_f32 s18, s1, 0x2f800000
	s_trunc_f32 s18, s18
	s_delay_alu instid0(SALU_CYCLE_3) | instskip(SKIP_1) | instid1(SALU_CYCLE_2)
	s_fmamk_f32 s1, s18, 0xcf800000, s1
	s_cvt_u32_f32 s29, s18
	s_cvt_u32_f32 s28, s1
	s_delay_alu instid0(SALU_CYCLE_3) | instskip(NEXT) | instid1(SALU_CYCLE_1)
	s_mul_u64 s[34:35], s[30:31], s[28:29]
	s_mul_hi_u32 s39, s28, s35
	s_mul_i32 s38, s28, s35
	s_mul_hi_u32 s18, s28, s34
	s_mul_i32 s21, s29, s34
	s_add_nc_u64 s[38:39], s[18:19], s[38:39]
	s_mul_hi_u32 s1, s29, s34
	s_mul_hi_u32 s27, s29, s35
	s_add_co_u32 s18, s38, s21
	s_add_co_ci_u32 s18, s39, s1
	s_mul_i32 s34, s29, s35
	s_add_co_ci_u32 s35, s27, 0
	s_delay_alu instid0(SALU_CYCLE_1) | instskip(NEXT) | instid1(SALU_CYCLE_1)
	s_add_nc_u64 s[34:35], s[18:19], s[34:35]
	s_add_co_u32 s28, s28, s34
	s_cselect_b32 s1, -1, 0
	s_delay_alu instid0(SALU_CYCLE_1) | instskip(SKIP_1) | instid1(SALU_CYCLE_1)
	s_cmp_lg_u32 s1, 0
	s_add_co_ci_u32 s29, s29, s35
	s_mul_u64 s[30:31], s[30:31], s[28:29]
	s_delay_alu instid0(SALU_CYCLE_1)
	s_mul_hi_u32 s35, s28, s31
	s_mul_i32 s34, s28, s31
	s_mul_hi_u32 s18, s28, s30
	s_mul_i32 s21, s29, s30
	s_add_nc_u64 s[34:35], s[18:19], s[34:35]
	s_mul_hi_u32 s1, s29, s30
	s_mul_hi_u32 s27, s29, s31
	s_add_co_u32 s18, s34, s21
	s_add_co_ci_u32 s18, s35, s1
	s_mul_i32 s30, s29, s31
	s_add_co_ci_u32 s31, s27, 0
	s_delay_alu instid0(SALU_CYCLE_1) | instskip(NEXT) | instid1(SALU_CYCLE_1)
	s_add_nc_u64 s[30:31], s[18:19], s[30:31]
	s_add_co_u32 s28, s28, s30
	s_cselect_b32 s1, -1, 0
	s_wait_loadcnt 0x0
	v_mul_hi_u32 v24, v16, s28
	s_cmp_lg_u32 s1, 0
	s_add_co_ci_u32 s18, s29, s31
	s_and_b64 s[30:31], s[28:29], s[4:5]
	v_mul_u64_e32 v[18:19], s[18:19], v[16:17]
	v_mul_u64_e32 v[14:15], s[30:31], v[20:21]
	;; [unrolled: 1-line block ×3, first 2 shown]
	s_delay_alu instid0(VALU_DEP_3) | instskip(NEXT) | instid1(VALU_DEP_1)
	v_add_nc_u64_e32 v[18:19], v[24:25], v[18:19]
	v_add_co_u32 v1, vcc_lo, v18, v14
	s_delay_alu instid0(VALU_DEP_2) | instskip(NEXT) | instid1(VALU_DEP_4)
	v_add_co_ci_u32_e32 v24, vcc_lo, v19, v15, vcc_lo
	v_add_co_ci_u32_e32 v23, vcc_lo, 0, v23, vcc_lo
	s_delay_alu instid0(VALU_DEP_1) | instskip(NEXT) | instid1(VALU_DEP_1)
	v_add_nc_u64_e32 v[14:15], v[24:25], v[22:23]
	v_mul_u64_e32 v[18:19], s[22:23], v[14:15]
	s_delay_alu instid0(VALU_DEP_1) | instskip(NEXT) | instid1(VALU_DEP_2)
	v_sub_nc_u32_e32 v1, v20, v19
	v_sub_co_u32 v3, vcc_lo, v16, v18
	s_delay_alu instid0(VALU_DEP_1) | instskip(NEXT) | instid1(VALU_DEP_3)
	v_sub_co_ci_u32_e64 v7, null, v20, v19, vcc_lo
	v_subrev_co_ci_u32_e64 v1, null, s23, v1, vcc_lo
	s_delay_alu instid0(VALU_DEP_3) | instskip(SKIP_1) | instid1(VALU_DEP_3)
	v_sub_co_u32 v5, s1, v3, s22
	v_add_nc_u64_e32 v[16:17], 2, v[14:15]
	v_subrev_co_ci_u32_e64 v1, null, 0, v1, s1
	s_delay_alu instid0(VALU_DEP_3) | instskip(SKIP_2) | instid1(VALU_DEP_4)
	v_cmp_le_u32_e32 vcc_lo, s22, v5
	v_add_nc_u64_e32 v[18:19], 1, v[14:15]
	v_cndmask_b32_e64 v5, 0, -1, vcc_lo
	v_cmp_le_u32_e32 vcc_lo, s23, v1
	v_cndmask_b32_e64 v13, 0, -1, vcc_lo
	v_cmp_le_u32_e32 vcc_lo, s22, v3
	;; [unrolled: 2-line block ×3, first 2 shown]
	v_cndmask_b32_e64 v20, 0, -1, vcc_lo
	v_cmp_eq_u32_e32 vcc_lo, s23, v1
	v_cndmask_b32_e32 v1, v13, v5, vcc_lo
	v_cmp_eq_u32_e32 vcc_lo, s23, v7
	s_delay_alu instid0(VALU_DEP_4) | instskip(NEXT) | instid1(VALU_DEP_3)
	v_cndmask_b32_e32 v3, v20, v3, vcc_lo
	v_cmp_ne_u32_e32 vcc_lo, 0, v1
	s_delay_alu instid0(VALU_DEP_2) | instskip(SKIP_1) | instid1(VALU_DEP_1)
	v_cmp_ne_u32_e64 s1, 0, v3
	v_dual_cndmask_b32 v1, v19, v17, vcc_lo :: v_dual_cndmask_b32 v3, v18, v16, vcc_lo
	v_dual_cndmask_b32 v1, v15, v1, s1 :: v_dual_bitop2_b32 v12, s20, v12 bitop3:0x14
	s_delay_alu instid0(VALU_DEP_1) | instskip(NEXT) | instid1(VALU_DEP_2)
	v_dual_cndmask_b32 v3, v14, v3, s1 :: v_dual_mov_b32 v13, v12
	v_xor_b32_e32 v15, v1, v12
	s_delay_alu instid0(VALU_DEP_2) | instskip(NEXT) | instid1(VALU_DEP_1)
	v_xor_b32_e32 v14, v3, v12
	v_sub_nc_u64_e32 v[12:13], v[14:15], v[12:13]
.LBB51_158:                             ;   in Loop: Header=BB51_156 Depth=1
	s_and_not1_saveexec_b32 s1, s26
	s_cbranch_execz .LBB51_155
; %bb.159:                              ;   in Loop: Header=BB51_156 Depth=1
	v_cvt_f32_u32_e32 v1, s12
	s_sub_co_i32 s18, 0, s12
	v_mov_b32_e32 v13, v6
	s_delay_alu instid0(VALU_DEP_2) | instskip(SKIP_1) | instid1(TRANS32_DEP_1)
	v_rcp_iflag_f32_e32 v1, v1
	v_nop
	v_mul_f32_e32 v1, 0x4f7ffffe, v1
	s_delay_alu instid0(VALU_DEP_1) | instskip(NEXT) | instid1(VALU_DEP_1)
	v_cvt_u32_f32_e32 v1, v1
	v_mul_lo_u32 v3, s18, v1
	s_delay_alu instid0(VALU_DEP_1) | instskip(NEXT) | instid1(VALU_DEP_1)
	v_mul_hi_u32 v3, v1, v3
	v_add_nc_u32_e32 v1, v1, v3
	s_delay_alu instid0(VALU_DEP_1) | instskip(NEXT) | instid1(VALU_DEP_1)
	v_mul_hi_u32 v1, v10, v1
	v_mul_lo_u32 v3, v1, s12
	s_delay_alu instid0(VALU_DEP_1) | instskip(NEXT) | instid1(VALU_DEP_1)
	v_sub_nc_u32_e32 v3, v10, v3
	v_subrev_nc_u32_e32 v7, s12, v3
	v_cmp_le_u32_e32 vcc_lo, s12, v3
	s_delay_alu instid0(VALU_DEP_2) | instskip(NEXT) | instid1(VALU_DEP_1)
	v_dual_add_nc_u32 v5, 1, v1 :: v_dual_cndmask_b32 v3, v3, v7, vcc_lo
	v_cndmask_b32_e32 v1, v1, v5, vcc_lo
	s_delay_alu instid0(VALU_DEP_2) | instskip(NEXT) | instid1(VALU_DEP_2)
	v_cmp_le_u32_e32 vcc_lo, s12, v3
	v_add_nc_u32_e32 v5, 1, v1
	s_delay_alu instid0(VALU_DEP_1)
	v_cndmask_b32_e32 v12, v1, v5, vcc_lo
	s_branch .LBB51_155
.LBB51_160:
	s_mov_b32 s4, s41
	s_mov_b32 s1, exec_lo
	v_cmpx_gt_i32_e64 v4, v2
	s_cbranch_execz .LBB51_166
; %bb.161:
	s_delay_alu instid0(VALU_DEP_2) | instskip(SKIP_3) | instid1(VALU_DEP_1)
	v_lshlrev_b64_e32 v[6:7], 2, v[8:9]
	v_dual_ashrrev_i32 v3, 31, v2 :: v_dual_ashrrev_i32 v5, 31, v4
	s_mov_b32 s4, 0
	s_xor_b32 s6, s36, -1
                                        ; implicit-def: $sgpr5
                                        ; implicit-def: $sgpr8
                                        ; implicit-def: $sgpr7
	v_lshl_add_u64 v[2:3], v[2:3], 2, v[6:7]
	v_add_nc_u64_e32 v[6:7], s[14:15], v[6:7]
	s_delay_alu instid0(VALU_DEP_2) | instskip(NEXT) | instid1(VALU_DEP_2)
	v_add_nc_u64_e32 v[2:3], s[14:15], v[2:3]
	v_lshl_add_u64 v[4:5], v[4:5], 2, v[6:7]
	s_delay_alu instid0(VALU_DEP_2)
	v_add_nc_u64_e32 v[2:3], 4, v[2:3]
	s_branch .LBB51_163
.LBB51_162:                             ;   in Loop: Header=BB51_163 Depth=1
	s_or_b32 exec_lo, exec_lo, s10
	s_xor_b32 s10, s7, -1
	s_and_b32 s11, exec_lo, s8
	s_delay_alu instid0(SALU_CYCLE_1) | instskip(SKIP_2) | instid1(SALU_CYCLE_1)
	s_or_b32 s4, s11, s4
	s_and_not1_b32 s5, s5, exec_lo
	s_and_b32 s10, s10, exec_lo
	s_or_b32 s5, s5, s10
	s_and_not1_b32 exec_lo, exec_lo, s4
	s_cbranch_execz .LBB51_165
.LBB51_163:                             ; =>This Inner Loop Header: Depth=1
	s_or_b32 s7, s7, exec_lo
	s_or_b32 s8, s8, exec_lo
	s_mov_b32 s10, exec_lo
	s_delay_alu instid0(VALU_DEP_1)
	v_cmpx_lt_u64_e64 v[2:3], v[4:5]
	s_cbranch_execz .LBB51_162
; %bb.164:                              ;   in Loop: Header=BB51_163 Depth=1
	global_load_b64 v[6:7], v[2:3], off offset:-4
	s_wait_xcnt 0x0
	v_add_nc_u64_e32 v[2:3], 4, v[2:3]
	s_and_not1_b32 s8, s8, exec_lo
	s_and_not1_b32 s7, s7, exec_lo
	s_wait_loadcnt 0x0
	v_cmp_ge_i32_e32 vcc_lo, v6, v7
	s_or_b32 s11, s6, vcc_lo
	s_delay_alu instid0(SALU_CYCLE_1) | instskip(NEXT) | instid1(SALU_CYCLE_1)
	s_and_b32 s11, s11, exec_lo
	s_or_b32 s8, s8, s11
	s_branch .LBB51_162
.LBB51_165:
	s_or_b32 exec_lo, exec_lo, s4
	s_delay_alu instid0(SALU_CYCLE_1) | instskip(SKIP_1) | instid1(SALU_CYCLE_1)
	s_and_not1_b32 s4, s41, exec_lo
	s_and_b32 s5, s5, exec_lo
	s_or_b32 s4, s4, s5
.LBB51_166:
	s_or_b32 exec_lo, exec_lo, s1
	s_delay_alu instid0(SALU_CYCLE_1)
	s_and_not1_b32 s1, s41, exec_lo
	s_and_b32 s4, s4, exec_lo
	s_or_b32 s9, s9, exec_lo
	s_or_b32 s41, s1, s4
	s_or_b32 exec_lo, exec_lo, s25
	s_and_saveexec_b32 s1, s41
	s_cbranch_execz .LBB51_150
.LBB51_167:
	s_and_not1_b32 s9, s9, exec_lo
	s_or_b32 s3, s3, exec_lo
	s_trap 2
	s_or_b32 exec_lo, exec_lo, s1
	s_and_saveexec_b32 s1, s3
	s_cbranch_execnz .LBB51_98
	s_branch .LBB51_99
.LBB51_168:
	s_mov_b32 s21, -1
	s_mov_b32 s19, 0
	s_mov_b32 s1, exec_lo
	v_cmpx_gt_i32_e64 v14, v16
	s_cbranch_execz .LBB51_177
; %bb.169:
	s_wait_loadcnt 0x0
	s_delay_alu instid0(VALU_DEP_2) | instskip(SKIP_2) | instid1(VALU_DEP_1)
	v_lshlrev_b64_e32 v[18:19], 2, v[20:21]
	v_dual_ashrrev_i32 v17, 31, v16 :: v_dual_ashrrev_i32 v15, 31, v14
	s_xor_b32 s21, s36, -1
                                        ; implicit-def: $sgpr20
                                        ; implicit-def: $sgpr23
                                        ; implicit-def: $sgpr22
	v_lshl_add_u64 v[16:17], v[16:17], 2, v[18:19]
	v_add_nc_u64_e32 v[18:19], s[14:15], v[18:19]
	s_delay_alu instid0(VALU_DEP_2) | instskip(NEXT) | instid1(VALU_DEP_2)
	v_add_nc_u64_e32 v[16:17], s[14:15], v[16:17]
	v_lshl_add_u64 v[14:15], v[14:15], 2, v[18:19]
	s_delay_alu instid0(VALU_DEP_2)
	v_add_nc_u64_e32 v[16:17], 4, v[16:17]
	s_branch .LBB51_171
.LBB51_170:                             ;   in Loop: Header=BB51_171 Depth=1
	s_or_b32 exec_lo, exec_lo, s24
	s_delay_alu instid0(SALU_CYCLE_1) | instskip(NEXT) | instid1(SALU_CYCLE_1)
	s_and_b32 s24, exec_lo, s23
	s_or_b32 s19, s24, s19
	s_and_not1_b32 s20, s20, exec_lo
	s_and_b32 s24, s22, exec_lo
	s_delay_alu instid0(SALU_CYCLE_1)
	s_or_b32 s20, s20, s24
	s_and_not1_b32 exec_lo, exec_lo, s19
	s_cbranch_execz .LBB51_176
.LBB51_171:                             ; =>This Inner Loop Header: Depth=1
	s_or_b32 s22, s22, exec_lo
	s_or_b32 s23, s23, exec_lo
	s_mov_b32 s24, exec_lo
	s_delay_alu instid0(VALU_DEP_1)
	v_cmpx_lt_u64_e64 v[16:17], v[14:15]
	s_cbranch_execz .LBB51_170
; %bb.172:                              ;   in Loop: Header=BB51_171 Depth=1
	global_load_b64 v[18:19], v[16:17], off offset:-4
	s_wait_xcnt 0x0
	v_add_nc_u64_e32 v[16:17], 4, v[16:17]
	s_and_not1_b32 s23, s23, exec_lo
	s_and_not1_b32 s22, s22, exec_lo
	s_wait_loadcnt 0x0
	v_cmp_ge_i32_e32 vcc_lo, v18, v19
	s_or_b32 s25, s21, vcc_lo
	s_delay_alu instid0(SALU_CYCLE_1) | instskip(NEXT) | instid1(SALU_CYCLE_1)
	s_and_b32 s25, s25, exec_lo
	s_or_b32 s23, s23, s25
	s_branch .LBB51_170
.LBB51_173:
	s_or_b32 exec_lo, exec_lo, s34
	s_delay_alu instid0(SALU_CYCLE_1) | instskip(SKIP_1) | instid1(SALU_CYCLE_1)
	s_and_not1_b32 s34, s52, exec_lo
	s_and_b32 s35, s35, exec_lo
	s_or_b32 s34, s34, s35
.LBB51_174:
	s_or_b32 exec_lo, exec_lo, s0
	s_delay_alu instid0(SALU_CYCLE_1)
	s_and_not1_b32 s35, s52, exec_lo
	s_and_b32 s34, s34, exec_lo
	s_mov_b32 s0, exec_lo
	s_or_b32 s52, s35, s34
	s_or_b32 exec_lo, exec_lo, s51
	s_and_saveexec_b32 s34, s52
	s_cbranch_execz .LBB51_71
.LBB51_175:
	s_or_b32 s3, s3, exec_lo
	s_and_not1_b32 s0, s0, exec_lo
	s_trap 2
	s_or_b32 exec_lo, exec_lo, s34
	s_and_saveexec_b32 s34, s0
	s_delay_alu instid0(SALU_CYCLE_1)
	s_xor_b32 s0, exec_lo, s34
	s_cbranch_execnz .LBB51_72
	s_branch .LBB51_73
.LBB51_176:
	s_or_b32 exec_lo, exec_lo, s19
	s_delay_alu instid0(SALU_CYCLE_1)
	s_mov_b32 s19, exec_lo
	s_or_not1_b32 s21, s20, exec_lo
.LBB51_177:
	s_or_b32 exec_lo, exec_lo, s1
	s_delay_alu instid0(SALU_CYCLE_1)
	s_and_b32 s20, s19, exec_lo
	s_xor_b32 s19, exec_lo, -1
	s_and_b32 s1, s21, exec_lo
.LBB51_178:
	s_or_b32 exec_lo, exec_lo, s49
	s_delay_alu instid0(SALU_CYCLE_1)
	s_and_not1_b32 s21, s43, exec_lo
	s_and_b32 s19, s19, exec_lo
	s_and_b32 s20, s20, exec_lo
	s_or_b32 s21, s21, s19
	s_xor_b32 s19, exec_lo, -1
	s_and_b32 s1, s1, exec_lo
.LBB51_179:
	s_or_b32 exec_lo, exec_lo, s48
	s_delay_alu instid0(SALU_CYCLE_1)
	s_and_not1_b32 s22, s43, exec_lo
	s_and_b32 s21, s21, exec_lo
	s_and_not1_b32 s23, s44, exec_lo
	s_and_b32 s19, s19, exec_lo
	s_and_b32 s20, s20, exec_lo
	s_or_b32 s22, s22, s21
	s_or_b32 s21, s23, s19
	s_xor_b32 s19, exec_lo, -1
	s_and_b32 s1, s1, exec_lo
.LBB51_180:
	s_or_b32 exec_lo, exec_lo, s9
	s_delay_alu instid0(SALU_CYCLE_1)
	s_and_not1_b32 s23, s43, exec_lo
	s_and_b32 s22, s22, exec_lo
	s_and_b32 s9, s20, exec_lo
	s_or_b32 s49, s23, s22
	s_and_not1_b32 s20, s44, exec_lo
	s_and_b32 s21, s21, exec_lo
	s_and_not1_b32 s22, s46, exec_lo
	s_and_b32 s19, s19, exec_lo
	s_or_b32 s50, s20, s21
	s_or_b32 s48, s22, s19
	s_or_not1_b32 s1, s1, exec_lo
.LBB51_181:
	s_or_b32 exec_lo, exec_lo, s45
	s_mov_b32 s21, 0
                                        ; implicit-def: $sgpr45
                                        ; implicit-def: $sgpr24
	s_and_saveexec_b32 s51, s1
	s_cbranch_execz .LBB51_208
; %bb.182:
	v_or_b32_e32 v5, 0x200, v0
	s_mov_b32 s25, -1
	s_mov_b32 s52, 0
	s_mov_b32 s1, s48
	;; [unrolled: 1-line block ×3, first 2 shown]
	v_cmp_gt_i32_e64 s45, s5, v5
	s_mov_b32 s19, s49
	s_and_saveexec_b32 s53, s45
	s_cbranch_execz .LBB51_203
; %bb.183:
	v_cmp_eq_u32_e32 vcc_lo, s33, v11
	s_mov_b32 s1, -1
	s_mov_b32 s22, 0
	s_mov_b32 s23, s50
	s_mov_b32 s21, s49
	s_and_b32 s20, s42, vcc_lo
	s_mov_b32 s19, 0
	s_and_saveexec_b32 s54, s20
	s_cbranch_execz .LBB51_202
; %bb.184:
	v_cmp_eq_u32_e32 vcc_lo, s6, v9
	s_mov_b32 s20, 0
	s_mov_b32 s21, s49
	s_and_b32 s19, s39, vcc_lo
	s_delay_alu instid0(SALU_CYCLE_1)
	s_and_saveexec_b32 s55, s19
	s_cbranch_execz .LBB51_201
; %bb.185:
	v_sub_nc_u32_e32 v5, v8, v10
	s_mov_b32 s20, -1
	s_mov_b32 s19, 0
	s_delay_alu instid0(VALU_DEP_1) | instskip(SKIP_2) | instid1(SALU_CYCLE_1)
	v_cmp_le_i32_e32 vcc_lo, s33, v5
	v_cmp_ge_i32_e64 s1, s4, v5
	s_and_b32 s1, vcc_lo, s1
	s_and_b32 s21, s38, s1
	s_mov_b32 s1, 0
	s_and_saveexec_b32 s56, s21
	s_cbranch_execz .LBB51_200
; %bb.186:
	s_wait_loadcnt 0x1
	v_mov_b64_e32 v[14:15], 0
	s_and_not1_b32 vcc_lo, exec_lo, s37
	s_cbranch_vccnz .LBB51_193
; %bb.187:
	v_dual_mov_b32 v14, v13 :: v_dual_ashrrev_i32 v15, 31, v13
	s_mov_b32 s21, 0
	v_mov_b32_e32 v12, 0
	s_mov_b32 s19, s21
	s_mov_b64 s[22:23], 0xffffffff
	v_mul_u64_e32 v[16:17], s[6:7], v[14:15]
	v_mov_b64_e32 v[14:15], 0
	s_lshl_b64 s[26:27], s[18:19], 3
	s_mov_b32 s19, s8
	s_add_nc_u64 s[24:25], s[10:11], s[26:27]
	s_add_nc_u64 s[26:27], s[12:13], s[26:27]
	s_branch .LBB51_189
.LBB51_188:                             ;   in Loop: Header=BB51_189 Depth=1
	s_or_b32 exec_lo, exec_lo, s1
	s_wait_loadcnt 0x0
	s_delay_alu instid0(VALU_DEP_1)
	v_mul_u64_e32 v[20:21], s[28:29], v[18:19]
	s_load_b64 s[28:29], s[26:27], 0x0
	s_add_co_i32 s19, s19, -1
	s_add_nc_u64 s[24:25], s[24:25], -8
	s_cmp_lg_u32 s19, 0
	s_wait_xcnt 0x0
	s_add_nc_u64 s[26:27], s[26:27], -8
	s_delay_alu instid0(VALU_DEP_1) | instskip(SKIP_1) | instid1(VALU_DEP_1)
	v_sub_nc_u64_e32 v[16:17], v[16:17], v[20:21]
	s_wait_kmcnt 0x0
	v_mad_nc_u64_u32 v[14:15], v16, s28, v[14:15]
	s_delay_alu instid0(VALU_DEP_1) | instskip(NEXT) | instid1(VALU_DEP_1)
	v_mad_u32 v5, v17, s28, v15
	v_mad_u32 v15, v16, s29, v5
	v_mov_b64_e32 v[16:17], v[18:19]
	s_cbranch_scc0 .LBB51_193
.LBB51_189:                             ; =>This Inner Loop Header: Depth=1
	s_load_b64 s[28:29], s[24:25], 0x0
                                        ; implicit-def: $vgpr18_vgpr19
	s_mov_b32 s1, exec_lo
	s_wait_kmcnt 0x0
	s_delay_alu instid0(VALU_DEP_1) | instskip(NEXT) | instid1(VALU_DEP_1)
	v_or_b32_e32 v13, s29, v17
	v_cmpx_ne_u64_e32 0, v[12:13]
	s_xor_b32 s57, exec_lo, s1
	s_cbranch_execz .LBB51_191
; %bb.190:                              ;   in Loop: Header=BB51_189 Depth=1
	s_ashr_i32 s30, s29, 31
	s_wait_loadcnt 0x0
	v_dual_mov_b32 v23, v12 :: v_dual_ashrrev_i32 v18, 31, v17
	s_mov_b32 s31, s30
	s_delay_alu instid0(SALU_CYCLE_1) | instskip(NEXT) | instid1(VALU_DEP_1)
	s_add_nc_u64 s[34:35], s[28:29], s[30:31]
	v_mov_b32_e32 v19, v18
	s_xor_b64 s[34:35], s[34:35], s[30:31]
	s_delay_alu instid0(SALU_CYCLE_1)
	s_cvt_f32_u32 s1, s34
	s_cvt_f32_u32 s20, s35
	s_sub_nc_u64 s[60:61], 0, s[34:35]
	v_add_nc_u64_e32 v[20:21], v[16:17], v[18:19]
	v_mov_b32_e32 v27, v12
	s_fmamk_f32 s1, s20, 0x4f800000, s1
	s_delay_alu instid0(SALU_CYCLE_3) | instskip(NEXT) | instid1(VALU_DEP_2)
	v_s_rcp_f32 s1, s1
	v_xor_b32_e32 v22, v20, v18
	s_delay_alu instid0(VALU_DEP_3) | instskip(NEXT) | instid1(TRANS32_DEP_1)
	v_dual_mov_b32 v31, v12 :: v_dual_bitop2_b32 v26, v21, v18 bitop3:0x14
	s_mul_f32 s1, s1, 0x5f7ffffc
	s_delay_alu instid0(SALU_CYCLE_3) | instskip(NEXT) | instid1(SALU_CYCLE_3)
	s_mul_f32 s20, s1, 0x2f800000
	s_trunc_f32 s20, s20
	s_delay_alu instid0(SALU_CYCLE_3) | instskip(SKIP_1) | instid1(SALU_CYCLE_2)
	s_fmamk_f32 s1, s20, 0xcf800000, s1
	s_cvt_u32_f32 s59, s20
	s_cvt_u32_f32 s58, s1
	s_delay_alu instid0(SALU_CYCLE_3) | instskip(NEXT) | instid1(SALU_CYCLE_1)
	s_mul_u64 s[62:63], s[60:61], s[58:59]
	s_mul_hi_u32 s65, s58, s63
	s_mul_i32 s64, s58, s63
	s_mul_hi_u32 s20, s58, s62
	s_mul_i32 s31, s59, s62
	s_add_nc_u64 s[64:65], s[20:21], s[64:65]
	s_mul_hi_u32 s1, s59, s62
	s_mul_hi_u32 s66, s59, s63
	s_add_co_u32 s20, s64, s31
	s_add_co_ci_u32 s20, s65, s1
	s_mul_i32 s62, s59, s63
	s_add_co_ci_u32 s63, s66, 0
	s_delay_alu instid0(SALU_CYCLE_1) | instskip(NEXT) | instid1(SALU_CYCLE_1)
	s_add_nc_u64 s[62:63], s[20:21], s[62:63]
	s_add_co_u32 s58, s58, s62
	s_cselect_b32 s1, -1, 0
	s_delay_alu instid0(SALU_CYCLE_1) | instskip(SKIP_1) | instid1(SALU_CYCLE_1)
	s_cmp_lg_u32 s1, 0
	s_add_co_ci_u32 s59, s59, s63
	s_mul_u64 s[60:61], s[60:61], s[58:59]
	s_delay_alu instid0(SALU_CYCLE_1)
	s_mul_hi_u32 s63, s58, s61
	s_mul_i32 s62, s58, s61
	s_mul_hi_u32 s20, s58, s60
	s_mul_i32 s31, s59, s60
	s_add_nc_u64 s[62:63], s[20:21], s[62:63]
	s_mul_hi_u32 s1, s59, s60
	s_mul_hi_u32 s64, s59, s61
	s_add_co_u32 s20, s62, s31
	s_add_co_ci_u32 s20, s63, s1
	s_mul_i32 s60, s59, s61
	s_add_co_ci_u32 s61, s64, 0
	s_delay_alu instid0(SALU_CYCLE_1) | instskip(NEXT) | instid1(SALU_CYCLE_1)
	s_add_nc_u64 s[60:61], s[20:21], s[60:61]
	s_add_co_u32 s58, s58, s60
	s_cselect_b32 s1, -1, 0
	v_mul_hi_u32 v30, v22, s58
	s_cmp_lg_u32 s1, 0
	s_add_co_ci_u32 s20, s59, s61
	s_and_b64 s[60:61], s[58:59], s[22:23]
	v_mul_u64_e32 v[24:25], s[20:21], v[22:23]
	v_mul_u64_e32 v[20:21], s[60:61], v[26:27]
	;; [unrolled: 1-line block ×3, first 2 shown]
	s_delay_alu instid0(VALU_DEP_3) | instskip(NEXT) | instid1(VALU_DEP_1)
	v_add_nc_u64_e32 v[24:25], v[30:31], v[24:25]
	v_add_co_u32 v5, vcc_lo, v24, v20
	s_delay_alu instid0(VALU_DEP_2) | instskip(NEXT) | instid1(VALU_DEP_4)
	v_add_co_ci_u32_e32 v30, vcc_lo, v25, v21, vcc_lo
	v_add_co_ci_u32_e32 v29, vcc_lo, 0, v29, vcc_lo
	s_delay_alu instid0(VALU_DEP_1) | instskip(NEXT) | instid1(VALU_DEP_1)
	v_add_nc_u64_e32 v[20:21], v[30:31], v[28:29]
	v_mul_u64_e32 v[24:25], s[34:35], v[20:21]
	s_delay_alu instid0(VALU_DEP_1) | instskip(NEXT) | instid1(VALU_DEP_2)
	v_sub_nc_u32_e32 v5, v26, v25
	v_sub_co_u32 v9, vcc_lo, v22, v24
	s_delay_alu instid0(VALU_DEP_1) | instskip(NEXT) | instid1(VALU_DEP_3)
	v_sub_co_ci_u32_e64 v13, null, v26, v25, vcc_lo
	v_subrev_co_ci_u32_e64 v5, null, s35, v5, vcc_lo
	s_delay_alu instid0(VALU_DEP_3) | instskip(SKIP_1) | instid1(VALU_DEP_3)
	v_sub_co_u32 v11, s1, v9, s34
	v_add_nc_u64_e32 v[22:23], 2, v[20:21]
	v_subrev_co_ci_u32_e64 v5, null, 0, v5, s1
	s_delay_alu instid0(VALU_DEP_3) | instskip(SKIP_2) | instid1(VALU_DEP_4)
	v_cmp_le_u32_e32 vcc_lo, s34, v11
	v_add_nc_u64_e32 v[24:25], 1, v[20:21]
	v_cndmask_b32_e64 v11, 0, -1, vcc_lo
	v_cmp_le_u32_e32 vcc_lo, s35, v5
	v_cndmask_b32_e64 v19, 0, -1, vcc_lo
	v_cmp_le_u32_e32 vcc_lo, s34, v9
	;; [unrolled: 2-line block ×3, first 2 shown]
	v_cndmask_b32_e64 v26, 0, -1, vcc_lo
	v_cmp_eq_u32_e32 vcc_lo, s35, v5
	v_cndmask_b32_e32 v5, v19, v11, vcc_lo
	v_cmp_eq_u32_e32 vcc_lo, s35, v13
	s_delay_alu instid0(VALU_DEP_4) | instskip(NEXT) | instid1(VALU_DEP_3)
	v_cndmask_b32_e32 v9, v26, v9, vcc_lo
	v_cmp_ne_u32_e32 vcc_lo, 0, v5
	s_delay_alu instid0(VALU_DEP_2) | instskip(SKIP_1) | instid1(VALU_DEP_1)
	v_cmp_ne_u32_e64 s1, 0, v9
	v_dual_cndmask_b32 v5, v25, v23, vcc_lo :: v_dual_cndmask_b32 v9, v24, v22, vcc_lo
	v_dual_cndmask_b32 v5, v21, v5, s1 :: v_dual_bitop2_b32 v18, s30, v18 bitop3:0x14
	s_delay_alu instid0(VALU_DEP_1) | instskip(NEXT) | instid1(VALU_DEP_2)
	v_dual_cndmask_b32 v9, v20, v9, s1 :: v_dual_mov_b32 v19, v18
	v_xor_b32_e32 v21, v5, v18
	s_delay_alu instid0(VALU_DEP_2) | instskip(NEXT) | instid1(VALU_DEP_1)
	v_xor_b32_e32 v20, v9, v18
	v_sub_nc_u64_e32 v[18:19], v[20:21], v[18:19]
.LBB51_191:                             ;   in Loop: Header=BB51_189 Depth=1
	s_and_not1_saveexec_b32 s1, s57
	s_cbranch_execz .LBB51_188
; %bb.192:                              ;   in Loop: Header=BB51_189 Depth=1
	v_cvt_f32_u32_e32 v5, s28
	s_sub_co_i32 s20, 0, s28
	v_mov_b32_e32 v19, v12
	s_delay_alu instid0(VALU_DEP_2) | instskip(SKIP_1) | instid1(TRANS32_DEP_1)
	v_rcp_iflag_f32_e32 v5, v5
	v_nop
	v_mul_f32_e32 v5, 0x4f7ffffe, v5
	s_delay_alu instid0(VALU_DEP_1) | instskip(NEXT) | instid1(VALU_DEP_1)
	v_cvt_u32_f32_e32 v5, v5
	v_mul_lo_u32 v9, s20, v5
	s_delay_alu instid0(VALU_DEP_1) | instskip(NEXT) | instid1(VALU_DEP_1)
	v_mul_hi_u32 v9, v5, v9
	v_add_nc_u32_e32 v5, v5, v9
	s_delay_alu instid0(VALU_DEP_1) | instskip(NEXT) | instid1(VALU_DEP_1)
	v_mul_hi_u32 v5, v16, v5
	v_mul_lo_u32 v9, v5, s28
	v_add_nc_u32_e32 v11, 1, v5
	s_delay_alu instid0(VALU_DEP_2) | instskip(NEXT) | instid1(VALU_DEP_1)
	v_sub_nc_u32_e32 v9, v16, v9
	v_subrev_nc_u32_e32 v13, s28, v9
	v_cmp_le_u32_e32 vcc_lo, s28, v9
	s_delay_alu instid0(VALU_DEP_2) | instskip(SKIP_1) | instid1(VALU_DEP_2)
	v_cndmask_b32_e32 v9, v9, v13, vcc_lo
	v_cndmask_b32_e32 v5, v5, v11, vcc_lo
	v_cmp_le_u32_e32 vcc_lo, s28, v9
	s_delay_alu instid0(VALU_DEP_2) | instskip(SKIP_1) | instid1(VALU_DEP_1)
	v_add_nc_u32_e32 v11, 1, v5
	s_wait_loadcnt 0x0
	v_cndmask_b32_e32 v18, v5, v11, vcc_lo
	s_branch .LBB51_188
.LBB51_193:
	s_mov_b32 s19, -1
	s_mov_b32 s21, 0
	s_mov_b32 s1, exec_lo
	v_cmpx_gt_i32_e64 v8, v10
	s_cbranch_execz .LBB51_199
; %bb.194:
	s_delay_alu instid0(VALU_DEP_2) | instskip(SKIP_3) | instid1(VALU_DEP_1)
	v_lshlrev_b64_e32 v[12:13], 2, v[14:15]
	v_dual_ashrrev_i32 v11, 31, v10 :: v_dual_ashrrev_i32 v9, 31, v8
	s_mov_b32 s19, 0
	s_xor_b32 s21, s36, -1
                                        ; implicit-def: $sgpr20
                                        ; implicit-def: $sgpr23
                                        ; implicit-def: $sgpr22
	v_lshl_add_u64 v[10:11], v[10:11], 2, v[12:13]
	v_add_nc_u64_e32 v[12:13], s[14:15], v[12:13]
	s_delay_alu instid0(VALU_DEP_2) | instskip(NEXT) | instid1(VALU_DEP_2)
	v_add_nc_u64_e32 v[10:11], s[14:15], v[10:11]
	v_lshl_add_u64 v[8:9], v[8:9], 2, v[12:13]
	s_delay_alu instid0(VALU_DEP_2)
	v_add_nc_u64_e32 v[10:11], 4, v[10:11]
	s_branch .LBB51_196
.LBB51_195:                             ;   in Loop: Header=BB51_196 Depth=1
	s_or_b32 exec_lo, exec_lo, s24
	s_delay_alu instid0(SALU_CYCLE_1) | instskip(NEXT) | instid1(SALU_CYCLE_1)
	s_and_b32 s24, exec_lo, s23
	s_or_b32 s19, s24, s19
	s_and_not1_b32 s20, s20, exec_lo
	s_and_b32 s24, s22, exec_lo
	s_delay_alu instid0(SALU_CYCLE_1)
	s_or_b32 s20, s20, s24
	s_and_not1_b32 exec_lo, exec_lo, s19
	s_cbranch_execz .LBB51_198
.LBB51_196:                             ; =>This Inner Loop Header: Depth=1
	s_or_b32 s22, s22, exec_lo
	s_or_b32 s23, s23, exec_lo
	s_mov_b32 s24, exec_lo
	s_delay_alu instid0(VALU_DEP_1)
	v_cmpx_lt_u64_e64 v[10:11], v[8:9]
	s_cbranch_execz .LBB51_195
; %bb.197:                              ;   in Loop: Header=BB51_196 Depth=1
	global_load_b64 v[12:13], v[10:11], off offset:-4
	s_wait_xcnt 0x0
	v_add_nc_u64_e32 v[10:11], 4, v[10:11]
	s_and_not1_b32 s23, s23, exec_lo
	s_and_not1_b32 s22, s22, exec_lo
	s_wait_loadcnt 0x0
	v_cmp_ge_i32_e32 vcc_lo, v12, v13
	s_or_b32 s25, s21, vcc_lo
	s_delay_alu instid0(SALU_CYCLE_1) | instskip(NEXT) | instid1(SALU_CYCLE_1)
	s_and_b32 s25, s25, exec_lo
	s_or_b32 s23, s23, s25
	s_branch .LBB51_195
.LBB51_198:
	s_or_b32 exec_lo, exec_lo, s19
	s_delay_alu instid0(SALU_CYCLE_1)
	s_mov_b32 s21, exec_lo
	s_or_not1_b32 s19, s20, exec_lo
.LBB51_199:
	s_or_b32 exec_lo, exec_lo, s1
	s_delay_alu instid0(SALU_CYCLE_1)
	s_and_b32 s1, s21, exec_lo
	s_xor_b32 s20, exec_lo, -1
	s_and_b32 s19, s19, exec_lo
.LBB51_200:
	s_or_b32 exec_lo, exec_lo, s56
	s_delay_alu instid0(SALU_CYCLE_1)
	s_and_not1_b32 s21, s49, exec_lo
	s_and_b32 s20, s20, exec_lo
	s_and_b32 s22, s1, exec_lo
	s_or_b32 s21, s21, s20
	s_xor_b32 s1, exec_lo, -1
	s_and_b32 s20, s19, exec_lo
.LBB51_201:
	s_or_b32 exec_lo, exec_lo, s55
	s_delay_alu instid0(SALU_CYCLE_1)
	s_and_b32 s19, s22, exec_lo
	s_and_not1_b32 s22, s49, exec_lo
	s_and_b32 s21, s21, exec_lo
	s_and_not1_b32 s23, s50, exec_lo
	s_and_b32 s1, s1, exec_lo
	s_or_b32 s21, s22, s21
	s_or_b32 s23, s23, s1
	s_xor_b32 s1, exec_lo, -1
	s_and_b32 s22, s20, exec_lo
.LBB51_202:
	s_or_b32 exec_lo, exec_lo, s54
	s_delay_alu instid0(SALU_CYCLE_1)
	s_and_not1_b32 s20, s49, exec_lo
	s_and_b32 s24, s21, exec_lo
	s_and_b32 s21, s19, exec_lo
	s_or_b32 s19, s20, s24
	s_and_not1_b32 s20, s50, exec_lo
	s_and_b32 s23, s23, exec_lo
	s_and_not1_b32 s24, s48, exec_lo
	s_and_b32 s1, s1, exec_lo
	s_or_b32 s20, s20, s23
	s_or_b32 s1, s24, s1
	s_or_not1_b32 s25, s22, exec_lo
.LBB51_203:
	s_or_b32 exec_lo, exec_lo, s53
	s_mov_b32 s23, 0
                                        ; implicit-def: $sgpr24
	s_and_saveexec_b32 s22, s25
	s_cbranch_execz .LBB51_207
; %bb.204:
	v_or_b32_e32 v5, 0x300, v0
	s_mov_b32 s23, -1
	s_mov_b32 s25, s1
	s_delay_alu instid0(VALU_DEP_1) | instskip(SKIP_2) | instid1(SALU_CYCLE_1)
	v_cmp_gt_i32_e64 s24, s5, v5
	s_mov_b32 s5, 0
	s_and_saveexec_b32 s26, s24
	s_xor_b32 s26, exec_lo, s26
; %bb.205:
	v_cmp_ne_u32_e32 vcc_lo, s33, v3
	s_xor_b32 s23, s42, -1
	s_and_not1_b32 s25, s1, exec_lo
	s_mov_b32 s5, exec_lo
	s_or_b32 s23, s23, vcc_lo
	s_delay_alu instid0(SALU_CYCLE_1)
	s_and_b32 s27, s23, exec_lo
	s_xor_b32 s23, exec_lo, -1
	s_or_b32 s25, s25, s27
; %bb.206:
	s_or_b32 exec_lo, exec_lo, s26
	s_delay_alu instid0(SALU_CYCLE_1)
	s_and_not1_b32 s1, s1, exec_lo
	s_and_b32 s25, s25, exec_lo
	s_and_b32 s23, s23, exec_lo
	s_and_not1_b32 s21, s21, exec_lo
	s_and_b32 s52, s5, exec_lo
	s_or_b32 s1, s1, s25
.LBB51_207:
	s_or_b32 exec_lo, exec_lo, s22
	s_delay_alu instid0(SALU_CYCLE_1)
	s_and_not1_b32 s5, s9, exec_lo
	s_and_b32 s9, s21, exec_lo
	s_and_b32 s19, s19, exec_lo
	s_or_b32 s9, s5, s9
	s_and_not1_b32 s5, s49, exec_lo
	s_and_not1_b32 s22, s50, exec_lo
	s_and_b32 s20, s20, exec_lo
	s_or_b32 s49, s5, s19
	s_and_not1_b32 s5, s48, exec_lo
	s_and_b32 s1, s1, exec_lo
	s_and_b32 s21, s23, exec_lo
	s_or_b32 s50, s22, s20
	s_and_b32 s52, s52, exec_lo
	s_or_b32 s48, s5, s1
.LBB51_208:
	s_or_b32 exec_lo, exec_lo, s51
	s_delay_alu instid0(SALU_CYCLE_1)
	s_and_not1_b32 s1, s41, exec_lo
	s_and_b32 s5, s9, exec_lo
	s_and_not1_b32 s19, s44, exec_lo
	s_or_b32 s41, s1, s5
	s_and_not1_b32 s1, s43, exec_lo
	s_and_b32 s5, s49, exec_lo
	s_and_b32 s20, s50, exec_lo
	s_or_b32 s43, s1, s5
	s_and_not1_b32 s1, s46, exec_lo
	s_and_b32 s5, s48, exec_lo
	s_and_b32 s9, s21, exec_lo
	s_or_b32 s44, s19, s20
	s_and_b32 s48, s52, exec_lo
	s_or_b32 s46, s1, s5
	s_or_b32 exec_lo, exec_lo, s47
	s_and_saveexec_b32 s1, s46
	s_cbranch_execz .LBB51_143
.LBB51_209:
	s_or_b32 s3, s3, exec_lo
	s_and_not1_b32 s48, s48, exec_lo
	s_trap 2
	s_branch .LBB51_143
.LBB51_210:
	s_or_b32 s3, s3, exec_lo
	s_trap 2
	s_branch .LBB51_76
.LBB51_211:
	s_or_b32 s3, s3, exec_lo
	s_and_not1_b32 s1, s1, exec_lo
	s_trap 2
	s_branch .LBB51_146
.LBB51_212:
	s_mov_b32 s3, exec_lo
	s_and_not1_b32 s0, s0, exec_lo
	s_trap 2
	s_branch .LBB51_67
	.section	.rodata,"a",@progbits
	.p2align	6, 0x0
	.amdhsa_kernel _ZN2at6native29vectorized_elementwise_kernelILi2EZZZNS0_12_GLOBAL__N_142_validate_compressed_sparse_indices_kernelILNS2_8CDimNameE0ENS2_18CUDAKernelLauncherENS2_14EmptyVecKernelENS2_8DummyVecELm0EEEvRKNS_6TensorESA_lllENKUlvE1_clEvENKUlvE_clEvEUliiiiiE_St5arrayIPcLm6EEEEviT0_T1_
		.amdhsa_group_segment_fixed_size 0
		.amdhsa_private_segment_fixed_size 0
		.amdhsa_kernarg_size 112
		.amdhsa_user_sgpr_count 2
		.amdhsa_user_sgpr_dispatch_ptr 0
		.amdhsa_user_sgpr_queue_ptr 0
		.amdhsa_user_sgpr_kernarg_segment_ptr 1
		.amdhsa_user_sgpr_dispatch_id 0
		.amdhsa_user_sgpr_kernarg_preload_length 0
		.amdhsa_user_sgpr_kernarg_preload_offset 0
		.amdhsa_user_sgpr_private_segment_size 0
		.amdhsa_wavefront_size32 1
		.amdhsa_uses_dynamic_stack 0
		.amdhsa_enable_private_segment 0
		.amdhsa_system_sgpr_workgroup_id_x 1
		.amdhsa_system_sgpr_workgroup_id_y 0
		.amdhsa_system_sgpr_workgroup_id_z 0
		.amdhsa_system_sgpr_workgroup_info 0
		.amdhsa_system_vgpr_workitem_id 0
		.amdhsa_next_free_vgpr 44
		.amdhsa_next_free_sgpr 74
		.amdhsa_named_barrier_count 0
		.amdhsa_reserve_vcc 1
		.amdhsa_float_round_mode_32 0
		.amdhsa_float_round_mode_16_64 0
		.amdhsa_float_denorm_mode_32 3
		.amdhsa_float_denorm_mode_16_64 3
		.amdhsa_fp16_overflow 0
		.amdhsa_memory_ordered 1
		.amdhsa_forward_progress 1
		.amdhsa_inst_pref_size 103
		.amdhsa_round_robin_scheduling 0
		.amdhsa_exception_fp_ieee_invalid_op 0
		.amdhsa_exception_fp_denorm_src 0
		.amdhsa_exception_fp_ieee_div_zero 0
		.amdhsa_exception_fp_ieee_overflow 0
		.amdhsa_exception_fp_ieee_underflow 0
		.amdhsa_exception_fp_ieee_inexact 0
		.amdhsa_exception_int_div_zero 0
	.end_amdhsa_kernel
	.section	.text._ZN2at6native29vectorized_elementwise_kernelILi2EZZZNS0_12_GLOBAL__N_142_validate_compressed_sparse_indices_kernelILNS2_8CDimNameE0ENS2_18CUDAKernelLauncherENS2_14EmptyVecKernelENS2_8DummyVecELm0EEEvRKNS_6TensorESA_lllENKUlvE1_clEvENKUlvE_clEvEUliiiiiE_St5arrayIPcLm6EEEEviT0_T1_,"axG",@progbits,_ZN2at6native29vectorized_elementwise_kernelILi2EZZZNS0_12_GLOBAL__N_142_validate_compressed_sparse_indices_kernelILNS2_8CDimNameE0ENS2_18CUDAKernelLauncherENS2_14EmptyVecKernelENS2_8DummyVecELm0EEEvRKNS_6TensorESA_lllENKUlvE1_clEvENKUlvE_clEvEUliiiiiE_St5arrayIPcLm6EEEEviT0_T1_,comdat
.Lfunc_end51:
	.size	_ZN2at6native29vectorized_elementwise_kernelILi2EZZZNS0_12_GLOBAL__N_142_validate_compressed_sparse_indices_kernelILNS2_8CDimNameE0ENS2_18CUDAKernelLauncherENS2_14EmptyVecKernelENS2_8DummyVecELm0EEEvRKNS_6TensorESA_lllENKUlvE1_clEvENKUlvE_clEvEUliiiiiE_St5arrayIPcLm6EEEEviT0_T1_, .Lfunc_end51-_ZN2at6native29vectorized_elementwise_kernelILi2EZZZNS0_12_GLOBAL__N_142_validate_compressed_sparse_indices_kernelILNS2_8CDimNameE0ENS2_18CUDAKernelLauncherENS2_14EmptyVecKernelENS2_8DummyVecELm0EEEvRKNS_6TensorESA_lllENKUlvE1_clEvENKUlvE_clEvEUliiiiiE_St5arrayIPcLm6EEEEviT0_T1_
                                        ; -- End function
	.set _ZN2at6native29vectorized_elementwise_kernelILi2EZZZNS0_12_GLOBAL__N_142_validate_compressed_sparse_indices_kernelILNS2_8CDimNameE0ENS2_18CUDAKernelLauncherENS2_14EmptyVecKernelENS2_8DummyVecELm0EEEvRKNS_6TensorESA_lllENKUlvE1_clEvENKUlvE_clEvEUliiiiiE_St5arrayIPcLm6EEEEviT0_T1_.num_vgpr, 44
	.set _ZN2at6native29vectorized_elementwise_kernelILi2EZZZNS0_12_GLOBAL__N_142_validate_compressed_sparse_indices_kernelILNS2_8CDimNameE0ENS2_18CUDAKernelLauncherENS2_14EmptyVecKernelENS2_8DummyVecELm0EEEvRKNS_6TensorESA_lllENKUlvE1_clEvENKUlvE_clEvEUliiiiiE_St5arrayIPcLm6EEEEviT0_T1_.num_agpr, 0
	.set _ZN2at6native29vectorized_elementwise_kernelILi2EZZZNS0_12_GLOBAL__N_142_validate_compressed_sparse_indices_kernelILNS2_8CDimNameE0ENS2_18CUDAKernelLauncherENS2_14EmptyVecKernelENS2_8DummyVecELm0EEEvRKNS_6TensorESA_lllENKUlvE1_clEvENKUlvE_clEvEUliiiiiE_St5arrayIPcLm6EEEEviT0_T1_.numbered_sgpr, 74
	.set _ZN2at6native29vectorized_elementwise_kernelILi2EZZZNS0_12_GLOBAL__N_142_validate_compressed_sparse_indices_kernelILNS2_8CDimNameE0ENS2_18CUDAKernelLauncherENS2_14EmptyVecKernelENS2_8DummyVecELm0EEEvRKNS_6TensorESA_lllENKUlvE1_clEvENKUlvE_clEvEUliiiiiE_St5arrayIPcLm6EEEEviT0_T1_.num_named_barrier, 0
	.set _ZN2at6native29vectorized_elementwise_kernelILi2EZZZNS0_12_GLOBAL__N_142_validate_compressed_sparse_indices_kernelILNS2_8CDimNameE0ENS2_18CUDAKernelLauncherENS2_14EmptyVecKernelENS2_8DummyVecELm0EEEvRKNS_6TensorESA_lllENKUlvE1_clEvENKUlvE_clEvEUliiiiiE_St5arrayIPcLm6EEEEviT0_T1_.private_seg_size, 0
	.set _ZN2at6native29vectorized_elementwise_kernelILi2EZZZNS0_12_GLOBAL__N_142_validate_compressed_sparse_indices_kernelILNS2_8CDimNameE0ENS2_18CUDAKernelLauncherENS2_14EmptyVecKernelENS2_8DummyVecELm0EEEvRKNS_6TensorESA_lllENKUlvE1_clEvENKUlvE_clEvEUliiiiiE_St5arrayIPcLm6EEEEviT0_T1_.uses_vcc, 1
	.set _ZN2at6native29vectorized_elementwise_kernelILi2EZZZNS0_12_GLOBAL__N_142_validate_compressed_sparse_indices_kernelILNS2_8CDimNameE0ENS2_18CUDAKernelLauncherENS2_14EmptyVecKernelENS2_8DummyVecELm0EEEvRKNS_6TensorESA_lllENKUlvE1_clEvENKUlvE_clEvEUliiiiiE_St5arrayIPcLm6EEEEviT0_T1_.uses_flat_scratch, 0
	.set _ZN2at6native29vectorized_elementwise_kernelILi2EZZZNS0_12_GLOBAL__N_142_validate_compressed_sparse_indices_kernelILNS2_8CDimNameE0ENS2_18CUDAKernelLauncherENS2_14EmptyVecKernelENS2_8DummyVecELm0EEEvRKNS_6TensorESA_lllENKUlvE1_clEvENKUlvE_clEvEUliiiiiE_St5arrayIPcLm6EEEEviT0_T1_.has_dyn_sized_stack, 0
	.set _ZN2at6native29vectorized_elementwise_kernelILi2EZZZNS0_12_GLOBAL__N_142_validate_compressed_sparse_indices_kernelILNS2_8CDimNameE0ENS2_18CUDAKernelLauncherENS2_14EmptyVecKernelENS2_8DummyVecELm0EEEvRKNS_6TensorESA_lllENKUlvE1_clEvENKUlvE_clEvEUliiiiiE_St5arrayIPcLm6EEEEviT0_T1_.has_recursion, 0
	.set _ZN2at6native29vectorized_elementwise_kernelILi2EZZZNS0_12_GLOBAL__N_142_validate_compressed_sparse_indices_kernelILNS2_8CDimNameE0ENS2_18CUDAKernelLauncherENS2_14EmptyVecKernelENS2_8DummyVecELm0EEEvRKNS_6TensorESA_lllENKUlvE1_clEvENKUlvE_clEvEUliiiiiE_St5arrayIPcLm6EEEEviT0_T1_.has_indirect_call, 0
	.section	.AMDGPU.csdata,"",@progbits
; Kernel info:
; codeLenInByte = 13184
; TotalNumSgprs: 76
; NumVgprs: 44
; ScratchSize: 0
; MemoryBound: 0
; FloatMode: 240
; IeeeMode: 1
; LDSByteSize: 0 bytes/workgroup (compile time only)
; SGPRBlocks: 0
; VGPRBlocks: 2
; NumSGPRsForWavesPerEU: 76
; NumVGPRsForWavesPerEU: 44
; NamedBarCnt: 0
; Occupancy: 16
; WaveLimiterHint : 1
; COMPUTE_PGM_RSRC2:SCRATCH_EN: 0
; COMPUTE_PGM_RSRC2:USER_SGPR: 2
; COMPUTE_PGM_RSRC2:TRAP_HANDLER: 0
; COMPUTE_PGM_RSRC2:TGID_X_EN: 1
; COMPUTE_PGM_RSRC2:TGID_Y_EN: 0
; COMPUTE_PGM_RSRC2:TGID_Z_EN: 0
; COMPUTE_PGM_RSRC2:TIDIG_COMP_CNT: 0
	.section	.text._ZN2at6native27unrolled_elementwise_kernelIZZZNS0_12_GLOBAL__N_142_validate_compressed_sparse_indices_kernelILNS2_8CDimNameE0ENS2_18CUDAKernelLauncherENS2_14EmptyVecKernelENS2_8DummyVecELm0EEEvRKNS_6TensorESA_lllENKUlvE1_clEvENKUlvE_clEvEUliiiiiE_St5arrayIPcLm6EELi4E23TrivialOffsetCalculatorILi5EjESH_ILi1EjENS0_6memory15LoadWithoutCastENSK_16StoreWithoutCastEEEviT_T0_T2_T3_T4_T5_,"axG",@progbits,_ZN2at6native27unrolled_elementwise_kernelIZZZNS0_12_GLOBAL__N_142_validate_compressed_sparse_indices_kernelILNS2_8CDimNameE0ENS2_18CUDAKernelLauncherENS2_14EmptyVecKernelENS2_8DummyVecELm0EEEvRKNS_6TensorESA_lllENKUlvE1_clEvENKUlvE_clEvEUliiiiiE_St5arrayIPcLm6EELi4E23TrivialOffsetCalculatorILi5EjESH_ILi1EjENS0_6memory15LoadWithoutCastENSK_16StoreWithoutCastEEEviT_T0_T2_T3_T4_T5_,comdat
	.globl	_ZN2at6native27unrolled_elementwise_kernelIZZZNS0_12_GLOBAL__N_142_validate_compressed_sparse_indices_kernelILNS2_8CDimNameE0ENS2_18CUDAKernelLauncherENS2_14EmptyVecKernelENS2_8DummyVecELm0EEEvRKNS_6TensorESA_lllENKUlvE1_clEvENKUlvE_clEvEUliiiiiE_St5arrayIPcLm6EELi4E23TrivialOffsetCalculatorILi5EjESH_ILi1EjENS0_6memory15LoadWithoutCastENSK_16StoreWithoutCastEEEviT_T0_T2_T3_T4_T5_ ; -- Begin function _ZN2at6native27unrolled_elementwise_kernelIZZZNS0_12_GLOBAL__N_142_validate_compressed_sparse_indices_kernelILNS2_8CDimNameE0ENS2_18CUDAKernelLauncherENS2_14EmptyVecKernelENS2_8DummyVecELm0EEEvRKNS_6TensorESA_lllENKUlvE1_clEvENKUlvE_clEvEUliiiiiE_St5arrayIPcLm6EELi4E23TrivialOffsetCalculatorILi5EjESH_ILi1EjENS0_6memory15LoadWithoutCastENSK_16StoreWithoutCastEEEviT_T0_T2_T3_T4_T5_
	.p2align	8
	.type	_ZN2at6native27unrolled_elementwise_kernelIZZZNS0_12_GLOBAL__N_142_validate_compressed_sparse_indices_kernelILNS2_8CDimNameE0ENS2_18CUDAKernelLauncherENS2_14EmptyVecKernelENS2_8DummyVecELm0EEEvRKNS_6TensorESA_lllENKUlvE1_clEvENKUlvE_clEvEUliiiiiE_St5arrayIPcLm6EELi4E23TrivialOffsetCalculatorILi5EjESH_ILi1EjENS0_6memory15LoadWithoutCastENSK_16StoreWithoutCastEEEviT_T0_T2_T3_T4_T5_,@function
_ZN2at6native27unrolled_elementwise_kernelIZZZNS0_12_GLOBAL__N_142_validate_compressed_sparse_indices_kernelILNS2_8CDimNameE0ENS2_18CUDAKernelLauncherENS2_14EmptyVecKernelENS2_8DummyVecELm0EEEvRKNS_6TensorESA_lllENKUlvE1_clEvENKUlvE_clEvEUliiiiiE_St5arrayIPcLm6EELi4E23TrivialOffsetCalculatorILi5EjESH_ILi1EjENS0_6memory15LoadWithoutCastENSK_16StoreWithoutCastEEEviT_T0_T2_T3_T4_T5_: ; @_ZN2at6native27unrolled_elementwise_kernelIZZZNS0_12_GLOBAL__N_142_validate_compressed_sparse_indices_kernelILNS2_8CDimNameE0ENS2_18CUDAKernelLauncherENS2_14EmptyVecKernelENS2_8DummyVecELm0EEEvRKNS_6TensorESA_lllENKUlvE1_clEvENKUlvE_clEvEUliiiiiE_St5arrayIPcLm6EELi4E23TrivialOffsetCalculatorILi5EjESH_ILi1EjENS0_6memory15LoadWithoutCastENSK_16StoreWithoutCastEEEviT_T0_T2_T3_T4_T5_
; %bb.0:
	s_load_b32 s2, s[0:1], 0x0
	s_bfe_u32 s4, ttmp6, 0x4000c
	s_and_b32 s3, ttmp6, 15
	s_add_co_i32 s4, s4, 1
	s_getreg_b32 s5, hwreg(HW_REG_IB_STS2, 6, 4)
	s_mul_i32 s4, ttmp9, s4
	v_mov_b64_e32 v[6:7], 0
	s_add_co_i32 s3, s3, s4
	s_cmp_eq_u32 s5, 0
	s_load_b512 s[4:19], s[0:1], 0x10
	s_cselect_b32 s3, ttmp9, s3
	v_dual_mov_b32 v5, 0 :: v_dual_mov_b32 v3, 0
	s_lshl_b32 s3, s3, 10
	v_dual_mov_b32 v4, 0 :: v_dual_mov_b32 v2, 0
	v_dual_mov_b32 v11, 0 :: v_dual_mov_b32 v9, 0
	;; [unrolled: 1-line block ×3, first 2 shown]
	s_wait_kmcnt 0x0
	s_sub_co_i32 s5, s2, s3
	v_or_b32_e32 v1, 0x100, v0
	v_cmp_gt_i32_e64 s2, s5, v0
	v_dual_mov_b32 v12, 0 :: v_dual_mov_b32 v15, 0
	v_dual_mov_b32 v13, 0 :: v_dual_mov_b32 v16, 0
	;; [unrolled: 1-line block ×5, first 2 shown]
	v_mov_b32_e32 v24, 0
	s_mov_b32 s41, 0
	s_and_saveexec_b32 s9, s2
	s_cbranch_execz .LBB52_8
; %bb.1:
	s_load_b256 s[20:27], s[0:1], 0x50
	v_dual_mov_b32 v18, 0 :: v_dual_bitop2_b32 v2, s3, v0 bitop3:0x54
	v_mov_b64_e32 v[6:7], 0
	v_or_b32_e32 v21, 0x100, v0
	v_dual_mov_b32 v14, 0 :: v_dual_mov_b32 v16, 0
	v_dual_mov_b32 v13, 0 :: v_dual_mov_b32 v15, 0
	;; [unrolled: 1-line block ×6, first 2 shown]
	s_mov_b32 s28, exec_lo
	global_load_b32 v19, v2, s[18:19] scale_offset
	s_wait_kmcnt 0x0
	s_clause 0x3
	global_load_b32 v17, v2, s[20:21] scale_offset
	global_load_b32 v22, v2, s[22:23] scale_offset
	;; [unrolled: 1-line block ×4, first 2 shown]
	s_wait_xcnt 0x0
	v_mov_b32_e32 v2, 0
	v_cmpx_gt_u32_e64 s5, v21
	s_cbranch_execz .LBB52_7
; %bb.2:
	v_dual_add_nc_u32 v2, s3, v21 :: v_dual_mov_b32 v12, 0
	v_mov_b64_e32 v[6:7], 0
	v_or_b32_e32 v21, 0x200, v0
	v_dual_mov_b32 v8, 0 :: v_dual_mov_b32 v10, 0
	s_clause 0x4
	global_load_b32 v15, v2, s[18:19] scale_offset
	global_load_b32 v13, v2, s[20:21] scale_offset
	;; [unrolled: 1-line block ×5, first 2 shown]
	v_dual_mov_b32 v9, 0 :: v_dual_mov_b32 v11, 0
	s_wait_xcnt 0x0
	v_dual_mov_b32 v2, 0 :: v_dual_mov_b32 v4, 0
	v_dual_mov_b32 v3, 0 :: v_dual_mov_b32 v5, 0
	s_mov_b32 s29, exec_lo
	v_cmpx_gt_u32_e64 s5, v21
	s_cbranch_execz .LBB52_6
; %bb.3:
	v_dual_add_nc_u32 v2, s3, v21 :: v_dual_mov_b32 v4, 0
	v_mov_b64_e32 v[6:7], 0
	v_or_b32_e32 v21, 0x300, v0
	v_mov_b32_e32 v5, 0
	s_clause 0x4
	global_load_b32 v11, v2, s[18:19] scale_offset
	global_load_b32 v9, v2, s[20:21] scale_offset
	;; [unrolled: 1-line block ×5, first 2 shown]
	s_wait_xcnt 0x0
	v_dual_mov_b32 v2, 0 :: v_dual_mov_b32 v3, 0
	s_mov_b32 s30, exec_lo
	v_cmpx_gt_u32_e64 s5, v21
	s_cbranch_execz .LBB52_5
; %bb.4:
	v_add_nc_u32_e32 v7, s3, v21
	s_clause 0x4
	global_load_b32 v6, v7, s[26:27] scale_offset
	global_load_b32 v5, v7, s[18:19] scale_offset
	;; [unrolled: 1-line block ×5, first 2 shown]
	s_wait_loadcnt 0x4
	s_wait_xcnt 0x0
	v_ashrrev_i32_e32 v7, 31, v6
.LBB52_5:
	s_or_b32 exec_lo, exec_lo, s30
.LBB52_6:
	s_delay_alu instid0(SALU_CYCLE_1)
	s_or_b32 exec_lo, exec_lo, s29
.LBB52_7:
	s_delay_alu instid0(SALU_CYCLE_1)
	s_or_b32 exec_lo, exec_lo, s28
.LBB52_8:
	s_delay_alu instid0(SALU_CYCLE_1)
	s_or_b32 exec_lo, exec_lo, s9
	s_load_b32 s34, s[0:1], 0x8
	s_get_pc_i64 s[18:19]
	s_add_nc_u64 s[18:19], s[18:19], .str.1@rel64+4
	s_get_pc_i64 s[20:21]
	s_add_nc_u64 s[20:21], s[20:21], .str.2@rel64+4
	s_cmp_lg_u64 s[18:19], 0
	s_wait_xcnt 0x0
	s_get_pc_i64 s[0:1]
	s_add_nc_u64 s[0:1], s[0:1], .str.3@rel64+4
	s_cselect_b32 s40, -1, 0
	s_cmp_lg_u64 s[20:21], 0
	v_cmp_gt_i64_e64 s9, s[6:7], 0
	s_cselect_b32 s36, -1, 0
	s_cmp_lg_u64 s[0:1], 0
	s_get_pc_i64 s[0:1]
	s_add_nc_u64 s[0:1], s[0:1], .str.4@rel64+4
	s_cselect_b32 s35, -1, 0
	s_add_co_i32 s18, s8, -1
	s_mov_b32 s19, -1
	s_cmp_gt_i32 s18, -1
	s_mov_b32 s43, 0
	s_cselect_b32 s20, -1, 0
	s_mov_b32 s42, 0
	s_and_b32 s33, s9, s20
	s_cmp_lg_u64 s[0:1], 0
	s_mov_b32 s38, 0
	s_cselect_b32 s9, -1, 0
	s_and_saveexec_b32 s37, s2
	s_cbranch_execz .LBB52_29
; %bb.9:
	s_wait_loadcnt 0x4
	s_wait_kmcnt 0x0
	v_cmp_eq_u32_e32 vcc_lo, s34, v19
	s_mov_b32 s1, -1
	s_mov_b32 s0, 0
	s_mov_b32 s19, 0
	;; [unrolled: 1-line block ×3, first 2 shown]
	s_and_b32 s22, s40, vcc_lo
	s_mov_b32 s21, 0
	s_and_saveexec_b32 s38, s22
	s_cbranch_execz .LBB52_28
; %bb.10:
	s_wait_loadcnt 0x3
	v_cmp_eq_u32_e32 vcc_lo, s6, v17
	s_and_b32 s21, s36, vcc_lo
	s_delay_alu instid0(SALU_CYCLE_1)
	s_and_saveexec_b32 s39, s21
	s_cbranch_execz .LBB52_27
; %bb.11:
	s_wait_loadcnt 0x1
	v_sub_nc_u32_e32 v17, v20, v22
	s_delay_alu instid0(VALU_DEP_1)
	v_cmp_le_i32_e32 vcc_lo, s34, v17
	v_cmp_ge_i32_e64 s0, s4, v17
	s_and_b32 s19, vcc_lo, s0
	s_mov_b32 s0, 0
	s_and_b32 s20, s35, s19
	s_mov_b32 s19, 0
	s_and_saveexec_b32 s41, s20
	s_cbranch_execz .LBB52_26
; %bb.12:
	v_mov_b64_e32 v[26:27], 0
	s_and_not1_b32 vcc_lo, exec_lo, s33
	s_cbranch_vccnz .LBB52_19
; %bb.13:
	s_wait_loadcnt 0x0
	v_ashrrev_i32_e32 v25, 31, v24
	s_mov_b32 s1, 0
	v_mov_b64_e32 v[26:27], 0
	s_mov_b32 s19, s1
	s_mov_b64 s[20:21], 0xffffffff
	v_mul_u64_e32 v[28:29], s[6:7], v[24:25]
	v_mov_b32_e32 v24, 0
	s_lshl_b64 s[24:25], s[18:19], 3
	s_mov_b32 s19, s8
	s_add_nc_u64 s[22:23], s[10:11], s[24:25]
	s_add_nc_u64 s[24:25], s[12:13], s[24:25]
	s_branch .LBB52_15
.LBB52_14:                              ;   in Loop: Header=BB52_15 Depth=1
	s_or_b32 exec_lo, exec_lo, s0
	s_delay_alu instid0(VALU_DEP_1)
	v_mul_u64_e32 v[32:33], s[26:27], v[30:31]
	s_load_b64 s[26:27], s[24:25], 0x0
	s_add_co_i32 s19, s19, -1
	s_add_nc_u64 s[22:23], s[22:23], -8
	s_cmp_eq_u32 s19, 0
	s_wait_xcnt 0x0
	s_add_nc_u64 s[24:25], s[24:25], -8
	s_delay_alu instid0(VALU_DEP_1) | instskip(SKIP_1) | instid1(VALU_DEP_1)
	v_sub_nc_u64_e32 v[28:29], v[28:29], v[32:33]
	s_wait_kmcnt 0x0
	v_mad_nc_u64_u32 v[26:27], v28, s26, v[26:27]
	s_delay_alu instid0(VALU_DEP_1) | instskip(NEXT) | instid1(VALU_DEP_1)
	v_mad_u32 v17, v29, s26, v27
	v_mad_u32 v27, v28, s27, v17
	v_mov_b64_e32 v[28:29], v[30:31]
	s_cbranch_scc1 .LBB52_19
.LBB52_15:                              ; =>This Inner Loop Header: Depth=1
	s_load_b64 s[26:27], s[22:23], 0x0
                                        ; implicit-def: $vgpr30_vgpr31
	s_mov_b32 s0, exec_lo
	s_wait_kmcnt 0x0
	s_delay_alu instid0(VALU_DEP_1) | instskip(NEXT) | instid1(VALU_DEP_1)
	v_or_b32_e32 v25, s27, v29
	v_cmpx_ne_u64_e32 0, v[24:25]
	s_xor_b32 s42, exec_lo, s0
	s_cbranch_execz .LBB52_17
; %bb.16:                               ;   in Loop: Header=BB52_15 Depth=1
	s_ashr_i32 s28, s27, 31
	v_dual_mov_b32 v35, v24 :: v_dual_ashrrev_i32 v30, 31, v29
	s_mov_b32 s29, s28
	s_delay_alu instid0(SALU_CYCLE_1) | instskip(NEXT) | instid1(VALU_DEP_1)
	s_add_nc_u64 s[30:31], s[26:27], s[28:29]
	v_mov_b32_e32 v31, v30
	s_xor_b64 s[30:31], s[30:31], s[28:29]
	s_delay_alu instid0(SALU_CYCLE_1)
	s_cvt_f32_u32 s0, s30
	s_cvt_f32_u32 s29, s31
	s_sub_nc_u64 s[46:47], 0, s[30:31]
	v_add_nc_u64_e32 v[32:33], v[28:29], v[30:31]
	v_mov_b32_e32 v39, v24
	s_fmamk_f32 s0, s29, 0x4f800000, s0
	s_delay_alu instid0(SALU_CYCLE_3) | instskip(NEXT) | instid1(VALU_DEP_2)
	v_s_rcp_f32 s0, s0
	v_xor_b32_e32 v34, v32, v30
	s_delay_alu instid0(VALU_DEP_3) | instskip(NEXT) | instid1(TRANS32_DEP_1)
	v_dual_mov_b32 v43, v24 :: v_dual_bitop2_b32 v38, v33, v30 bitop3:0x14
	s_mul_f32 s0, s0, 0x5f7ffffc
	s_delay_alu instid0(SALU_CYCLE_3) | instskip(NEXT) | instid1(SALU_CYCLE_3)
	s_mul_f32 s29, s0, 0x2f800000
	s_trunc_f32 s29, s29
	s_delay_alu instid0(SALU_CYCLE_3) | instskip(SKIP_1) | instid1(SALU_CYCLE_2)
	s_fmamk_f32 s0, s29, 0xcf800000, s0
	s_cvt_u32_f32 s45, s29
	s_cvt_u32_f32 s44, s0
	s_delay_alu instid0(SALU_CYCLE_3) | instskip(NEXT) | instid1(SALU_CYCLE_1)
	s_mul_u64 s[48:49], s[46:47], s[44:45]
	s_mul_hi_u32 s51, s44, s49
	s_mul_i32 s50, s44, s49
	s_mul_hi_u32 s0, s44, s48
	s_mul_i32 s43, s45, s48
	s_add_nc_u64 s[50:51], s[0:1], s[50:51]
	s_mul_hi_u32 s29, s45, s48
	s_mul_hi_u32 s52, s45, s49
	s_add_co_u32 s0, s50, s43
	s_add_co_ci_u32 s0, s51, s29
	s_mul_i32 s48, s45, s49
	s_add_co_ci_u32 s49, s52, 0
	s_delay_alu instid0(SALU_CYCLE_1) | instskip(NEXT) | instid1(SALU_CYCLE_1)
	s_add_nc_u64 s[48:49], s[0:1], s[48:49]
	s_add_co_u32 s44, s44, s48
	s_cselect_b32 s0, -1, 0
	s_delay_alu instid0(SALU_CYCLE_1) | instskip(SKIP_1) | instid1(SALU_CYCLE_1)
	s_cmp_lg_u32 s0, 0
	s_add_co_ci_u32 s45, s45, s49
	s_mul_u64 s[46:47], s[46:47], s[44:45]
	s_delay_alu instid0(SALU_CYCLE_1)
	s_mul_hi_u32 s49, s44, s47
	s_mul_i32 s48, s44, s47
	s_mul_hi_u32 s0, s44, s46
	s_mul_i32 s43, s45, s46
	s_add_nc_u64 s[48:49], s[0:1], s[48:49]
	s_mul_hi_u32 s29, s45, s46
	s_mul_hi_u32 s50, s45, s47
	s_add_co_u32 s0, s48, s43
	s_add_co_ci_u32 s0, s49, s29
	s_mul_i32 s46, s45, s47
	s_add_co_ci_u32 s47, s50, 0
	s_delay_alu instid0(SALU_CYCLE_1) | instskip(NEXT) | instid1(SALU_CYCLE_1)
	s_add_nc_u64 s[46:47], s[0:1], s[46:47]
	s_add_co_u32 s44, s44, s46
	s_cselect_b32 s0, -1, 0
	v_mul_hi_u32 v42, v34, s44
	s_cmp_lg_u32 s0, 0
	s_add_co_ci_u32 s0, s45, s47
	s_and_b64 s[46:47], s[44:45], s[20:21]
	v_mul_u64_e32 v[36:37], s[0:1], v[34:35]
	v_mul_u64_e32 v[32:33], s[46:47], v[38:39]
	;; [unrolled: 1-line block ×3, first 2 shown]
	s_delay_alu instid0(VALU_DEP_3) | instskip(NEXT) | instid1(VALU_DEP_1)
	v_add_nc_u64_e32 v[36:37], v[42:43], v[36:37]
	v_add_co_u32 v17, vcc_lo, v36, v32
	s_delay_alu instid0(VALU_DEP_2) | instskip(NEXT) | instid1(VALU_DEP_4)
	v_add_co_ci_u32_e32 v42, vcc_lo, v37, v33, vcc_lo
	v_add_co_ci_u32_e32 v41, vcc_lo, 0, v41, vcc_lo
	s_delay_alu instid0(VALU_DEP_1) | instskip(NEXT) | instid1(VALU_DEP_1)
	v_add_nc_u64_e32 v[32:33], v[42:43], v[40:41]
	v_mul_u64_e32 v[36:37], s[30:31], v[32:33]
	s_delay_alu instid0(VALU_DEP_1) | instskip(NEXT) | instid1(VALU_DEP_2)
	v_sub_nc_u32_e32 v17, v38, v37
	v_sub_co_u32 v19, vcc_lo, v34, v36
	s_delay_alu instid0(VALU_DEP_1) | instskip(NEXT) | instid1(VALU_DEP_3)
	v_sub_co_ci_u32_e64 v23, null, v38, v37, vcc_lo
	v_subrev_co_ci_u32_e64 v17, null, s31, v17, vcc_lo
	s_delay_alu instid0(VALU_DEP_3) | instskip(SKIP_1) | instid1(VALU_DEP_3)
	v_sub_co_u32 v21, s0, v19, s30
	v_add_nc_u64_e32 v[34:35], 2, v[32:33]
	v_subrev_co_ci_u32_e64 v17, null, 0, v17, s0
	s_delay_alu instid0(VALU_DEP_3) | instskip(SKIP_2) | instid1(VALU_DEP_4)
	v_cmp_le_u32_e32 vcc_lo, s30, v21
	v_add_nc_u64_e32 v[36:37], 1, v[32:33]
	v_cndmask_b32_e64 v21, 0, -1, vcc_lo
	v_cmp_le_u32_e32 vcc_lo, s31, v17
	v_cndmask_b32_e64 v25, 0, -1, vcc_lo
	v_cmp_le_u32_e32 vcc_lo, s30, v19
	;; [unrolled: 2-line block ×3, first 2 shown]
	v_cndmask_b32_e64 v31, 0, -1, vcc_lo
	v_cmp_eq_u32_e32 vcc_lo, s31, v17
	v_cndmask_b32_e32 v17, v25, v21, vcc_lo
	v_cmp_eq_u32_e32 vcc_lo, s31, v23
	s_delay_alu instid0(VALU_DEP_4) | instskip(NEXT) | instid1(VALU_DEP_3)
	v_cndmask_b32_e32 v19, v31, v19, vcc_lo
	v_cmp_ne_u32_e32 vcc_lo, 0, v17
	s_delay_alu instid0(VALU_DEP_2) | instskip(SKIP_1) | instid1(VALU_DEP_1)
	v_cmp_ne_u32_e64 s0, 0, v19
	v_dual_cndmask_b32 v17, v37, v35, vcc_lo :: v_dual_cndmask_b32 v19, v36, v34, vcc_lo
	v_dual_cndmask_b32 v17, v33, v17, s0 :: v_dual_bitop2_b32 v30, s28, v30 bitop3:0x14
	s_delay_alu instid0(VALU_DEP_1) | instskip(NEXT) | instid1(VALU_DEP_2)
	v_dual_cndmask_b32 v19, v32, v19, s0 :: v_dual_mov_b32 v31, v30
	v_xor_b32_e32 v33, v17, v30
	s_delay_alu instid0(VALU_DEP_2) | instskip(NEXT) | instid1(VALU_DEP_1)
	v_xor_b32_e32 v32, v19, v30
	v_sub_nc_u64_e32 v[30:31], v[32:33], v[30:31]
.LBB52_17:                              ;   in Loop: Header=BB52_15 Depth=1
	s_and_not1_saveexec_b32 s0, s42
	s_cbranch_execz .LBB52_14
; %bb.18:                               ;   in Loop: Header=BB52_15 Depth=1
	v_cvt_f32_u32_e32 v17, s26
	s_sub_co_i32 s28, 0, s26
	v_mov_b32_e32 v31, v24
	s_delay_alu instid0(VALU_DEP_2) | instskip(SKIP_1) | instid1(TRANS32_DEP_1)
	v_rcp_iflag_f32_e32 v17, v17
	v_nop
	v_mul_f32_e32 v17, 0x4f7ffffe, v17
	s_delay_alu instid0(VALU_DEP_1) | instskip(NEXT) | instid1(VALU_DEP_1)
	v_cvt_u32_f32_e32 v17, v17
	v_mul_lo_u32 v19, s28, v17
	s_delay_alu instid0(VALU_DEP_1) | instskip(NEXT) | instid1(VALU_DEP_1)
	v_mul_hi_u32 v19, v17, v19
	v_add_nc_u32_e32 v17, v17, v19
	s_delay_alu instid0(VALU_DEP_1) | instskip(NEXT) | instid1(VALU_DEP_1)
	v_mul_hi_u32 v17, v28, v17
	v_mul_lo_u32 v19, v17, s26
	s_delay_alu instid0(VALU_DEP_1) | instskip(NEXT) | instid1(VALU_DEP_1)
	v_sub_nc_u32_e32 v19, v28, v19
	v_subrev_nc_u32_e32 v23, s26, v19
	v_cmp_le_u32_e32 vcc_lo, s26, v19
	s_delay_alu instid0(VALU_DEP_2) | instskip(NEXT) | instid1(VALU_DEP_1)
	v_dual_add_nc_u32 v21, 1, v17 :: v_dual_cndmask_b32 v19, v19, v23, vcc_lo
	v_cndmask_b32_e32 v17, v17, v21, vcc_lo
	s_delay_alu instid0(VALU_DEP_2) | instskip(NEXT) | instid1(VALU_DEP_2)
	v_cmp_le_u32_e32 vcc_lo, s26, v19
	v_add_nc_u32_e32 v21, 1, v17
	s_delay_alu instid0(VALU_DEP_1)
	v_cndmask_b32_e32 v30, v17, v21, vcc_lo
	s_branch .LBB52_14
.LBB52_19:
	s_mov_b32 s20, -1
	s_mov_b32 s1, 0
	s_mov_b32 s0, exec_lo
	v_cmpx_gt_i32_e64 v20, v22
	s_cbranch_execz .LBB52_25
; %bb.20:
	s_wait_loadcnt 0x0
	s_delay_alu instid0(VALU_DEP_2) | instskip(SKIP_2) | instid1(VALU_DEP_1)
	v_lshlrev_b64_e32 v[24:25], 2, v[26:27]
	v_dual_ashrrev_i32 v23, 31, v22 :: v_dual_ashrrev_i32 v21, 31, v20
	s_xor_b32 s20, s9, -1
                                        ; implicit-def: $sgpr19
                                        ; implicit-def: $sgpr22
                                        ; implicit-def: $sgpr21
	v_lshl_add_u64 v[22:23], v[22:23], 2, v[24:25]
	v_add_nc_u64_e32 v[24:25], s[14:15], v[24:25]
	s_delay_alu instid0(VALU_DEP_2) | instskip(NEXT) | instid1(VALU_DEP_2)
	v_add_nc_u64_e32 v[22:23], s[14:15], v[22:23]
	v_lshl_add_u64 v[20:21], v[20:21], 2, v[24:25]
	s_delay_alu instid0(VALU_DEP_2)
	v_add_nc_u64_e32 v[22:23], 4, v[22:23]
	s_branch .LBB52_22
.LBB52_21:                              ;   in Loop: Header=BB52_22 Depth=1
	s_or_b32 exec_lo, exec_lo, s23
	s_delay_alu instid0(SALU_CYCLE_1) | instskip(NEXT) | instid1(SALU_CYCLE_1)
	s_and_b32 s23, exec_lo, s22
	s_or_b32 s1, s23, s1
	s_and_not1_b32 s19, s19, exec_lo
	s_and_b32 s23, s21, exec_lo
	s_delay_alu instid0(SALU_CYCLE_1)
	s_or_b32 s19, s19, s23
	s_and_not1_b32 exec_lo, exec_lo, s1
	s_cbranch_execz .LBB52_24
.LBB52_22:                              ; =>This Inner Loop Header: Depth=1
	s_or_b32 s21, s21, exec_lo
	s_or_b32 s22, s22, exec_lo
	s_mov_b32 s23, exec_lo
	s_delay_alu instid0(VALU_DEP_1)
	v_cmpx_lt_u64_e64 v[22:23], v[20:21]
	s_cbranch_execz .LBB52_21
; %bb.23:                               ;   in Loop: Header=BB52_22 Depth=1
	global_load_b64 v[24:25], v[22:23], off offset:-4
	s_wait_xcnt 0x0
	v_add_nc_u64_e32 v[22:23], 4, v[22:23]
	s_and_not1_b32 s22, s22, exec_lo
	s_and_not1_b32 s21, s21, exec_lo
	s_wait_loadcnt 0x0
	v_cmp_ge_i32_e32 vcc_lo, v24, v25
	s_or_b32 s24, s20, vcc_lo
	s_delay_alu instid0(SALU_CYCLE_1) | instskip(NEXT) | instid1(SALU_CYCLE_1)
	s_and_b32 s24, s24, exec_lo
	s_or_b32 s22, s22, s24
	s_branch .LBB52_21
.LBB52_24:
	s_or_b32 exec_lo, exec_lo, s1
	s_delay_alu instid0(SALU_CYCLE_1)
	s_mov_b32 s1, exec_lo
	s_or_not1_b32 s20, s19, exec_lo
.LBB52_25:
	s_or_b32 exec_lo, exec_lo, s0
	s_delay_alu instid0(SALU_CYCLE_1)
	s_and_b32 s19, s1, exec_lo
	s_xor_b32 s1, exec_lo, -1
	s_and_b32 s0, s20, exec_lo
.LBB52_26:
	s_or_b32 exec_lo, exec_lo, s41
	s_delay_alu instid0(SALU_CYCLE_1)
	s_and_b32 s20, s19, exec_lo
	s_and_b32 s19, s1, exec_lo
	s_xor_b32 s1, exec_lo, -1
	s_and_b32 s0, s0, exec_lo
.LBB52_27:
	s_or_b32 exec_lo, exec_lo, s39
	s_delay_alu instid0(SALU_CYCLE_1)
	s_and_b32 s21, s20, exec_lo
	s_and_b32 s20, s19, exec_lo
	;; [unrolled: 1-line block ×3, first 2 shown]
	s_xor_b32 s1, exec_lo, -1
	s_and_b32 s0, s0, exec_lo
.LBB52_28:
	s_or_b32 exec_lo, exec_lo, s38
	s_delay_alu instid0(SALU_CYCLE_1)
	s_and_b32 s38, s21, exec_lo
	s_and_b32 s42, s20, exec_lo
	;; [unrolled: 1-line block ×4, first 2 shown]
	s_or_not1_b32 s19, s0, exec_lo
.LBB52_29:
	s_or_b32 exec_lo, exec_lo, s37
	s_mov_b32 s39, 0
	s_mov_b32 s0, 0
	s_mov_b32 s24, 0
                                        ; implicit-def: $sgpr37
                                        ; implicit-def: $sgpr44
                                        ; implicit-def: $sgpr1
                                        ; implicit-def: $vgpr17
                                        ; implicit-def: $vgpr20
	s_and_saveexec_b32 s45, s19
	s_cbranch_execz .LBB52_79
; %bb.30:
	v_cmp_gt_i32_e64 s37, s5, v1
	s_mov_b32 s0, -1
	s_mov_b32 s51, 0
	s_mov_b32 s46, s41
	;; [unrolled: 1-line block ×5, first 2 shown]
	s_and_saveexec_b32 s44, s37
	s_cbranch_execz .LBB52_51
; %bb.31:
	s_wait_loadcnt 0x4
	s_wait_kmcnt 0x0
	v_cmp_eq_u32_e32 vcc_lo, s34, v15
	s_mov_b32 s1, -1
	s_mov_b32 s0, 0
	s_mov_b32 s20, s43
	;; [unrolled: 1-line block ×3, first 2 shown]
	s_and_b32 s22, s40, vcc_lo
	s_mov_b32 s19, 0
	s_and_saveexec_b32 s46, s22
	s_cbranch_execz .LBB52_50
; %bb.32:
	s_wait_loadcnt 0x3
	v_cmp_eq_u32_e32 vcc_lo, s6, v13
	s_mov_b32 s20, s42
	s_and_b32 s21, s36, vcc_lo
	s_delay_alu instid0(SALU_CYCLE_1)
	s_and_saveexec_b32 s47, s21
	s_cbranch_execz .LBB52_49
; %bb.33:
	s_wait_loadcnt 0x1
	v_sub_nc_u32_e32 v13, v14, v16
	s_delay_alu instid0(VALU_DEP_1)
	v_cmp_le_i32_e32 vcc_lo, s34, v13
	v_cmp_ge_i32_e64 s0, s4, v13
	s_and_b32 s19, vcc_lo, s0
	s_mov_b32 s0, 0
	s_and_b32 s20, s35, s19
	s_mov_b32 s19, 0
	s_and_saveexec_b32 s48, s20
	s_cbranch_execz .LBB52_48
; %bb.34:
	v_mov_b64_e32 v[20:21], 0
	s_and_not1_b32 vcc_lo, exec_lo, s33
	s_cbranch_vccnz .LBB52_41
; %bb.35:
	s_wait_loadcnt 0x0
	v_ashrrev_i32_e32 v19, 31, v18
	s_mov_b32 s1, 0
	v_mov_b64_e32 v[20:21], 0
	s_mov_b32 s19, s1
	s_mov_b64 s[20:21], 0xffffffff
	v_mul_u64_e32 v[22:23], s[6:7], v[18:19]
	v_mov_b32_e32 v18, 0
	s_lshl_b64 s[24:25], s[18:19], 3
	s_mov_b32 s19, s8
	s_add_nc_u64 s[22:23], s[10:11], s[24:25]
	s_add_nc_u64 s[24:25], s[12:13], s[24:25]
	s_branch .LBB52_37
.LBB52_36:                              ;   in Loop: Header=BB52_37 Depth=1
	s_or_b32 exec_lo, exec_lo, s0
	s_delay_alu instid0(VALU_DEP_1)
	v_mul_u64_e32 v[26:27], s[26:27], v[24:25]
	s_load_b64 s[26:27], s[24:25], 0x0
	s_add_co_i32 s19, s19, -1
	s_add_nc_u64 s[22:23], s[22:23], -8
	s_cmp_lg_u32 s19, 0
	s_wait_xcnt 0x0
	s_add_nc_u64 s[24:25], s[24:25], -8
	s_delay_alu instid0(VALU_DEP_1) | instskip(SKIP_1) | instid1(VALU_DEP_1)
	v_sub_nc_u64_e32 v[22:23], v[22:23], v[26:27]
	s_wait_kmcnt 0x0
	v_mad_nc_u64_u32 v[20:21], v22, s26, v[20:21]
	s_delay_alu instid0(VALU_DEP_1) | instskip(NEXT) | instid1(VALU_DEP_1)
	v_mad_u32 v13, v23, s26, v21
	v_mad_u32 v21, v22, s27, v13
	v_mov_b64_e32 v[22:23], v[24:25]
	s_cbranch_scc0 .LBB52_41
.LBB52_37:                              ; =>This Inner Loop Header: Depth=1
	s_load_b64 s[26:27], s[22:23], 0x0
                                        ; implicit-def: $vgpr24_vgpr25
	s_mov_b32 s0, exec_lo
	s_wait_kmcnt 0x0
	s_delay_alu instid0(VALU_DEP_1) | instskip(NEXT) | instid1(VALU_DEP_1)
	v_or_b32_e32 v19, s27, v23
	v_cmpx_ne_u64_e32 0, v[18:19]
	s_xor_b32 s49, exec_lo, s0
	s_cbranch_execz .LBB52_39
; %bb.38:                               ;   in Loop: Header=BB52_37 Depth=1
	s_ashr_i32 s28, s27, 31
	v_dual_mov_b32 v29, v18 :: v_dual_ashrrev_i32 v24, 31, v23
	s_mov_b32 s29, s28
	s_delay_alu instid0(SALU_CYCLE_1) | instskip(NEXT) | instid1(VALU_DEP_1)
	s_add_nc_u64 s[30:31], s[26:27], s[28:29]
	v_mov_b32_e32 v25, v24
	s_xor_b64 s[30:31], s[30:31], s[28:29]
	s_delay_alu instid0(SALU_CYCLE_1)
	s_cvt_f32_u32 s0, s30
	s_cvt_f32_u32 s29, s31
	s_sub_nc_u64 s[54:55], 0, s[30:31]
	v_add_nc_u64_e32 v[26:27], v[22:23], v[24:25]
	v_mov_b32_e32 v33, v18
	s_fmamk_f32 s0, s29, 0x4f800000, s0
	s_delay_alu instid0(SALU_CYCLE_3) | instskip(NEXT) | instid1(VALU_DEP_2)
	v_s_rcp_f32 s0, s0
	v_xor_b32_e32 v28, v26, v24
	s_delay_alu instid0(VALU_DEP_3) | instskip(NEXT) | instid1(TRANS32_DEP_1)
	v_dual_mov_b32 v37, v18 :: v_dual_bitop2_b32 v32, v27, v24 bitop3:0x14
	s_mul_f32 s0, s0, 0x5f7ffffc
	s_delay_alu instid0(SALU_CYCLE_3) | instskip(NEXT) | instid1(SALU_CYCLE_3)
	s_mul_f32 s29, s0, 0x2f800000
	s_trunc_f32 s29, s29
	s_delay_alu instid0(SALU_CYCLE_3) | instskip(SKIP_1) | instid1(SALU_CYCLE_2)
	s_fmamk_f32 s0, s29, 0xcf800000, s0
	s_cvt_u32_f32 s53, s29
	s_cvt_u32_f32 s52, s0
	s_delay_alu instid0(SALU_CYCLE_3) | instskip(NEXT) | instid1(SALU_CYCLE_1)
	s_mul_u64 s[56:57], s[54:55], s[52:53]
	s_mul_hi_u32 s59, s52, s57
	s_mul_i32 s58, s52, s57
	s_mul_hi_u32 s0, s52, s56
	s_mul_i32 s50, s53, s56
	s_add_nc_u64 s[58:59], s[0:1], s[58:59]
	s_mul_hi_u32 s29, s53, s56
	s_mul_hi_u32 s60, s53, s57
	s_add_co_u32 s0, s58, s50
	s_add_co_ci_u32 s0, s59, s29
	s_mul_i32 s56, s53, s57
	s_add_co_ci_u32 s57, s60, 0
	s_delay_alu instid0(SALU_CYCLE_1) | instskip(NEXT) | instid1(SALU_CYCLE_1)
	s_add_nc_u64 s[56:57], s[0:1], s[56:57]
	s_add_co_u32 s52, s52, s56
	s_cselect_b32 s0, -1, 0
	s_delay_alu instid0(SALU_CYCLE_1) | instskip(SKIP_1) | instid1(SALU_CYCLE_1)
	s_cmp_lg_u32 s0, 0
	s_add_co_ci_u32 s53, s53, s57
	s_mul_u64 s[54:55], s[54:55], s[52:53]
	s_delay_alu instid0(SALU_CYCLE_1)
	s_mul_hi_u32 s57, s52, s55
	s_mul_i32 s56, s52, s55
	s_mul_hi_u32 s0, s52, s54
	s_mul_i32 s50, s53, s54
	s_add_nc_u64 s[56:57], s[0:1], s[56:57]
	s_mul_hi_u32 s29, s53, s54
	s_mul_hi_u32 s58, s53, s55
	s_add_co_u32 s0, s56, s50
	s_add_co_ci_u32 s0, s57, s29
	s_mul_i32 s54, s53, s55
	s_add_co_ci_u32 s55, s58, 0
	s_delay_alu instid0(SALU_CYCLE_1) | instskip(NEXT) | instid1(SALU_CYCLE_1)
	s_add_nc_u64 s[54:55], s[0:1], s[54:55]
	s_add_co_u32 s50, s52, s54
	s_cselect_b32 s0, -1, 0
	v_mul_hi_u32 v36, v28, s50
	s_cmp_lg_u32 s0, 0
	s_add_co_ci_u32 s0, s53, s55
	s_and_b64 s[52:53], s[50:51], s[20:21]
	v_mul_u64_e32 v[30:31], s[0:1], v[28:29]
	v_mul_u64_e32 v[26:27], s[52:53], v[32:33]
	;; [unrolled: 1-line block ×3, first 2 shown]
	s_delay_alu instid0(VALU_DEP_3) | instskip(NEXT) | instid1(VALU_DEP_1)
	v_add_nc_u64_e32 v[30:31], v[36:37], v[30:31]
	v_add_co_u32 v13, vcc_lo, v30, v26
	s_delay_alu instid0(VALU_DEP_2) | instskip(NEXT) | instid1(VALU_DEP_4)
	v_add_co_ci_u32_e32 v36, vcc_lo, v31, v27, vcc_lo
	v_add_co_ci_u32_e32 v35, vcc_lo, 0, v35, vcc_lo
	s_delay_alu instid0(VALU_DEP_1) | instskip(NEXT) | instid1(VALU_DEP_1)
	v_add_nc_u64_e32 v[26:27], v[36:37], v[34:35]
	v_mul_u64_e32 v[30:31], s[30:31], v[26:27]
	s_delay_alu instid0(VALU_DEP_1) | instskip(NEXT) | instid1(VALU_DEP_2)
	v_sub_nc_u32_e32 v13, v32, v31
	v_sub_co_u32 v15, vcc_lo, v28, v30
	s_delay_alu instid0(VALU_DEP_1) | instskip(NEXT) | instid1(VALU_DEP_3)
	v_sub_co_ci_u32_e64 v19, null, v32, v31, vcc_lo
	v_subrev_co_ci_u32_e64 v13, null, s31, v13, vcc_lo
	s_delay_alu instid0(VALU_DEP_3) | instskip(SKIP_1) | instid1(VALU_DEP_3)
	v_sub_co_u32 v17, s0, v15, s30
	v_add_nc_u64_e32 v[28:29], 2, v[26:27]
	v_subrev_co_ci_u32_e64 v13, null, 0, v13, s0
	s_delay_alu instid0(VALU_DEP_3) | instskip(SKIP_2) | instid1(VALU_DEP_4)
	v_cmp_le_u32_e32 vcc_lo, s30, v17
	v_add_nc_u64_e32 v[30:31], 1, v[26:27]
	v_cndmask_b32_e64 v17, 0, -1, vcc_lo
	v_cmp_le_u32_e32 vcc_lo, s31, v13
	v_cndmask_b32_e64 v25, 0, -1, vcc_lo
	v_cmp_le_u32_e32 vcc_lo, s30, v15
	;; [unrolled: 2-line block ×3, first 2 shown]
	v_cndmask_b32_e64 v32, 0, -1, vcc_lo
	v_cmp_eq_u32_e32 vcc_lo, s31, v13
	v_cndmask_b32_e32 v13, v25, v17, vcc_lo
	v_cmp_eq_u32_e32 vcc_lo, s31, v19
	s_delay_alu instid0(VALU_DEP_4) | instskip(NEXT) | instid1(VALU_DEP_3)
	v_cndmask_b32_e32 v15, v32, v15, vcc_lo
	v_cmp_ne_u32_e32 vcc_lo, 0, v13
	s_delay_alu instid0(VALU_DEP_2) | instskip(SKIP_1) | instid1(VALU_DEP_1)
	v_cmp_ne_u32_e64 s0, 0, v15
	v_dual_cndmask_b32 v13, v31, v29, vcc_lo :: v_dual_cndmask_b32 v15, v30, v28, vcc_lo
	v_dual_cndmask_b32 v13, v27, v13, s0 :: v_dual_bitop2_b32 v24, s28, v24 bitop3:0x14
	s_delay_alu instid0(VALU_DEP_1) | instskip(NEXT) | instid1(VALU_DEP_2)
	v_dual_cndmask_b32 v15, v26, v15, s0 :: v_dual_mov_b32 v25, v24
	v_xor_b32_e32 v27, v13, v24
	s_delay_alu instid0(VALU_DEP_2) | instskip(NEXT) | instid1(VALU_DEP_1)
	v_xor_b32_e32 v26, v15, v24
	v_sub_nc_u64_e32 v[24:25], v[26:27], v[24:25]
.LBB52_39:                              ;   in Loop: Header=BB52_37 Depth=1
	s_and_not1_saveexec_b32 s0, s49
	s_cbranch_execz .LBB52_36
; %bb.40:                               ;   in Loop: Header=BB52_37 Depth=1
	v_cvt_f32_u32_e32 v13, s26
	s_sub_co_i32 s28, 0, s26
	v_mov_b32_e32 v25, v18
	s_delay_alu instid0(VALU_DEP_2) | instskip(SKIP_1) | instid1(TRANS32_DEP_1)
	v_rcp_iflag_f32_e32 v13, v13
	v_nop
	v_mul_f32_e32 v13, 0x4f7ffffe, v13
	s_delay_alu instid0(VALU_DEP_1) | instskip(NEXT) | instid1(VALU_DEP_1)
	v_cvt_u32_f32_e32 v13, v13
	v_mul_lo_u32 v15, s28, v13
	s_delay_alu instid0(VALU_DEP_1) | instskip(NEXT) | instid1(VALU_DEP_1)
	v_mul_hi_u32 v15, v13, v15
	v_add_nc_u32_e32 v13, v13, v15
	s_delay_alu instid0(VALU_DEP_1) | instskip(NEXT) | instid1(VALU_DEP_1)
	v_mul_hi_u32 v13, v22, v13
	v_mul_lo_u32 v15, v13, s26
	s_delay_alu instid0(VALU_DEP_1) | instskip(NEXT) | instid1(VALU_DEP_1)
	v_sub_nc_u32_e32 v15, v22, v15
	v_subrev_nc_u32_e32 v19, s26, v15
	v_cmp_le_u32_e32 vcc_lo, s26, v15
	s_delay_alu instid0(VALU_DEP_2) | instskip(NEXT) | instid1(VALU_DEP_1)
	v_dual_add_nc_u32 v17, 1, v13 :: v_dual_cndmask_b32 v15, v15, v19, vcc_lo
	v_cndmask_b32_e32 v13, v13, v17, vcc_lo
	s_delay_alu instid0(VALU_DEP_2) | instskip(NEXT) | instid1(VALU_DEP_2)
	v_cmp_le_u32_e32 vcc_lo, s26, v15
	v_add_nc_u32_e32 v17, 1, v13
	s_delay_alu instid0(VALU_DEP_1)
	v_cndmask_b32_e32 v24, v13, v17, vcc_lo
	s_branch .LBB52_36
.LBB52_41:
	s_mov_b32 s20, -1
	s_mov_b32 s1, 0
	s_mov_b32 s0, exec_lo
	v_cmpx_gt_i32_e64 v14, v16
	s_cbranch_execz .LBB52_47
; %bb.42:
	s_wait_loadcnt 0x0
	s_delay_alu instid0(VALU_DEP_2) | instskip(SKIP_2) | instid1(VALU_DEP_1)
	v_lshlrev_b64_e32 v[18:19], 2, v[20:21]
	v_dual_ashrrev_i32 v17, 31, v16 :: v_dual_ashrrev_i32 v15, 31, v14
	s_xor_b32 s20, s9, -1
                                        ; implicit-def: $sgpr19
                                        ; implicit-def: $sgpr22
                                        ; implicit-def: $sgpr21
	v_lshl_add_u64 v[16:17], v[16:17], 2, v[18:19]
	v_add_nc_u64_e32 v[18:19], s[14:15], v[18:19]
	s_delay_alu instid0(VALU_DEP_2) | instskip(NEXT) | instid1(VALU_DEP_2)
	v_add_nc_u64_e32 v[16:17], s[14:15], v[16:17]
	v_lshl_add_u64 v[14:15], v[14:15], 2, v[18:19]
	s_delay_alu instid0(VALU_DEP_2)
	v_add_nc_u64_e32 v[16:17], 4, v[16:17]
	s_branch .LBB52_44
.LBB52_43:                              ;   in Loop: Header=BB52_44 Depth=1
	s_or_b32 exec_lo, exec_lo, s23
	s_delay_alu instid0(SALU_CYCLE_1) | instskip(NEXT) | instid1(SALU_CYCLE_1)
	s_and_b32 s23, exec_lo, s22
	s_or_b32 s1, s23, s1
	s_and_not1_b32 s19, s19, exec_lo
	s_and_b32 s23, s21, exec_lo
	s_delay_alu instid0(SALU_CYCLE_1)
	s_or_b32 s19, s19, s23
	s_and_not1_b32 exec_lo, exec_lo, s1
	s_cbranch_execz .LBB52_46
.LBB52_44:                              ; =>This Inner Loop Header: Depth=1
	s_or_b32 s21, s21, exec_lo
	s_or_b32 s22, s22, exec_lo
	s_mov_b32 s23, exec_lo
	s_delay_alu instid0(VALU_DEP_1)
	v_cmpx_lt_u64_e64 v[16:17], v[14:15]
	s_cbranch_execz .LBB52_43
; %bb.45:                               ;   in Loop: Header=BB52_44 Depth=1
	global_load_b64 v[18:19], v[16:17], off offset:-4
	s_wait_xcnt 0x0
	v_add_nc_u64_e32 v[16:17], 4, v[16:17]
	s_and_not1_b32 s22, s22, exec_lo
	s_and_not1_b32 s21, s21, exec_lo
	s_wait_loadcnt 0x0
	v_cmp_ge_i32_e32 vcc_lo, v18, v19
	s_or_b32 s24, s20, vcc_lo
	s_delay_alu instid0(SALU_CYCLE_1) | instskip(NEXT) | instid1(SALU_CYCLE_1)
	s_and_b32 s24, s24, exec_lo
	s_or_b32 s22, s22, s24
	s_branch .LBB52_43
.LBB52_46:
	s_or_b32 exec_lo, exec_lo, s1
	s_delay_alu instid0(SALU_CYCLE_1)
	s_mov_b32 s1, exec_lo
	s_or_not1_b32 s20, s19, exec_lo
.LBB52_47:
	s_or_b32 exec_lo, exec_lo, s0
	s_delay_alu instid0(SALU_CYCLE_1)
	s_and_b32 s19, s1, exec_lo
	s_xor_b32 s1, exec_lo, -1
	s_and_b32 s0, s20, exec_lo
.LBB52_48:
	s_or_b32 exec_lo, exec_lo, s48
	s_delay_alu instid0(SALU_CYCLE_1)
	s_and_not1_b32 s20, s42, exec_lo
	s_and_b32 s1, s1, exec_lo
	s_and_b32 s19, s19, exec_lo
	s_or_b32 s20, s20, s1
	s_xor_b32 s1, exec_lo, -1
	s_and_b32 s0, s0, exec_lo
.LBB52_49:
	s_or_b32 exec_lo, exec_lo, s47
	s_delay_alu instid0(SALU_CYCLE_1)
	s_and_not1_b32 s21, s42, exec_lo
	s_and_b32 s20, s20, exec_lo
	s_and_not1_b32 s22, s43, exec_lo
	s_and_b32 s1, s1, exec_lo
	s_and_b32 s19, s19, exec_lo
	s_or_b32 s21, s21, s20
	s_or_b32 s20, s22, s1
	s_xor_b32 s1, exec_lo, -1
	s_and_b32 s0, s0, exec_lo
.LBB52_50:
	s_or_b32 exec_lo, exec_lo, s46
	s_delay_alu instid0(SALU_CYCLE_1)
	s_and_not1_b32 s22, s42, exec_lo
	s_and_b32 s21, s21, exec_lo
	s_and_b32 s49, s19, exec_lo
	s_or_b32 s47, s22, s21
	s_and_not1_b32 s19, s43, exec_lo
	s_and_b32 s20, s20, exec_lo
	s_and_not1_b32 s21, s41, exec_lo
	s_and_b32 s1, s1, exec_lo
	s_or_b32 s48, s19, s20
	s_or_b32 s46, s21, s1
	s_or_not1_b32 s0, s0, exec_lo
.LBB52_51:
	s_or_b32 exec_lo, exec_lo, s44
	s_mov_b32 s21, 0
                                        ; implicit-def: $sgpr44
                                        ; implicit-def: $sgpr1
                                        ; implicit-def: $vgpr17
                                        ; implicit-def: $vgpr20
	s_and_saveexec_b32 s50, s0
	s_cbranch_execz .LBB52_78
; %bb.52:
	s_wait_loadcnt 0x1
	v_or_b32_e32 v20, 0x200, v0
	s_mov_b32 s24, -1
	s_mov_b32 s51, 0
	s_mov_b32 s0, s46
	;; [unrolled: 1-line block ×3, first 2 shown]
	v_cmp_gt_i32_e64 s44, s5, v20
	s_mov_b32 s19, s47
	s_and_saveexec_b32 s52, s44
	s_cbranch_execz .LBB52_73
; %bb.53:
	s_wait_kmcnt 0x0
	v_cmp_eq_u32_e32 vcc_lo, s34, v11
	s_mov_b32 s0, -1
	s_mov_b32 s1, 0
	s_mov_b32 s20, s48
	;; [unrolled: 1-line block ×3, first 2 shown]
	s_and_b32 s22, s40, vcc_lo
	s_mov_b32 s19, 0
	s_and_saveexec_b32 s53, s22
	s_cbranch_execz .LBB52_72
; %bb.54:
	v_cmp_eq_u32_e32 vcc_lo, s6, v9
	s_mov_b32 s20, s47
	s_and_b32 s21, s36, vcc_lo
	s_delay_alu instid0(SALU_CYCLE_1)
	s_and_saveexec_b32 s54, s21
	s_cbranch_execz .LBB52_71
; %bb.55:
	v_sub_nc_u32_e32 v9, v8, v10
	s_mov_b32 s19, -1
	s_delay_alu instid0(VALU_DEP_1) | instskip(SKIP_2) | instid1(SALU_CYCLE_1)
	v_cmp_le_i32_e32 vcc_lo, s34, v9
	v_cmp_ge_i32_e64 s0, s4, v9
	s_and_b32 s0, vcc_lo, s0
	s_and_b32 s20, s35, s0
	s_mov_b32 s0, 0
	s_and_saveexec_b32 s55, s20
	s_cbranch_execz .LBB52_70
; %bb.56:
	v_mov_b64_e32 v[14:15], 0
	s_and_not1_b32 vcc_lo, exec_lo, s33
	s_cbranch_vccnz .LBB52_63
; %bb.57:
	s_wait_loadcnt 0x0
	v_ashrrev_i32_e32 v13, 31, v12
	v_mov_b64_e32 v[14:15], 0
	s_mov_b32 s19, s1
	s_mov_b64 s[20:21], 0xffffffff
	s_lshl_b64 s[24:25], s[18:19], 3
	v_mul_u64_e32 v[16:17], s[6:7], v[12:13]
	v_mov_b32_e32 v12, 0
	s_add_nc_u64 s[22:23], s[10:11], s[24:25]
	s_add_nc_u64 s[24:25], s[12:13], s[24:25]
	s_mov_b32 s19, s8
	s_branch .LBB52_59
.LBB52_58:                              ;   in Loop: Header=BB52_59 Depth=1
	s_or_b32 exec_lo, exec_lo, s0
	s_delay_alu instid0(VALU_DEP_1)
	v_mul_u64_e32 v[22:23], s[26:27], v[18:19]
	s_load_b64 s[26:27], s[24:25], 0x0
	s_add_co_i32 s19, s19, -1
	s_add_nc_u64 s[22:23], s[22:23], -8
	s_cmp_lg_u32 s19, 0
	s_wait_xcnt 0x0
	s_add_nc_u64 s[24:25], s[24:25], -8
	s_delay_alu instid0(VALU_DEP_1) | instskip(SKIP_1) | instid1(VALU_DEP_1)
	v_sub_nc_u64_e32 v[16:17], v[16:17], v[22:23]
	s_wait_kmcnt 0x0
	v_mad_nc_u64_u32 v[14:15], v16, s26, v[14:15]
	s_delay_alu instid0(VALU_DEP_1) | instskip(NEXT) | instid1(VALU_DEP_1)
	v_mad_u32 v9, v17, s26, v15
	v_mad_u32 v15, v16, s27, v9
	v_mov_b64_e32 v[16:17], v[18:19]
	s_cbranch_scc0 .LBB52_63
.LBB52_59:                              ; =>This Inner Loop Header: Depth=1
	s_load_b64 s[26:27], s[22:23], 0x0
                                        ; implicit-def: $vgpr18_vgpr19
	s_mov_b32 s0, exec_lo
	s_wait_kmcnt 0x0
	s_delay_alu instid0(VALU_DEP_1) | instskip(NEXT) | instid1(VALU_DEP_1)
	v_or_b32_e32 v13, s27, v17
	v_cmpx_ne_u64_e32 0, v[12:13]
	s_xor_b32 s56, exec_lo, s0
	s_cbranch_execz .LBB52_61
; %bb.60:                               ;   in Loop: Header=BB52_59 Depth=1
	s_ashr_i32 s28, s27, 31
	v_dual_mov_b32 v25, v12 :: v_dual_ashrrev_i32 v18, 31, v17
	s_mov_b32 s29, s28
	v_mov_b32_e32 v29, v12
	s_add_nc_u64 s[30:31], s[26:27], s[28:29]
	s_delay_alu instid0(VALU_DEP_2)
	v_mov_b32_e32 v19, v18
	s_xor_b64 s[30:31], s[30:31], s[28:29]
	v_mov_b32_e32 v33, v12
	s_cvt_f32_u32 s0, s30
	s_cvt_f32_u32 s29, s31
	s_sub_nc_u64 s[60:61], 0, s[30:31]
	v_add_nc_u64_e32 v[22:23], v[16:17], v[18:19]
	s_delay_alu instid0(SALU_CYCLE_1) | instskip(NEXT) | instid1(SALU_CYCLE_3)
	s_fmamk_f32 s0, s29, 0x4f800000, s0
	v_s_rcp_f32 s0, s0
	s_delay_alu instid0(VALU_DEP_1) | instskip(NEXT) | instid1(VALU_DEP_2)
	v_xor_b32_e32 v24, v22, v18
	v_xor_b32_e32 v28, v23, v18
	s_delay_alu instid0(TRANS32_DEP_1) | instskip(NEXT) | instid1(SALU_CYCLE_3)
	s_mul_f32 s0, s0, 0x5f7ffffc
	s_mul_f32 s29, s0, 0x2f800000
	s_delay_alu instid0(SALU_CYCLE_3) | instskip(NEXT) | instid1(SALU_CYCLE_3)
	s_trunc_f32 s29, s29
	s_fmamk_f32 s0, s29, 0xcf800000, s0
	s_cvt_u32_f32 s59, s29
	s_delay_alu instid0(SALU_CYCLE_2) | instskip(NEXT) | instid1(SALU_CYCLE_3)
	s_cvt_u32_f32 s58, s0
	s_mul_u64 s[62:63], s[60:61], s[58:59]
	s_delay_alu instid0(SALU_CYCLE_1)
	s_mul_hi_u32 s65, s58, s63
	s_mul_i32 s64, s58, s63
	s_mul_hi_u32 s0, s58, s62
	s_mul_i32 s57, s59, s62
	s_add_nc_u64 s[64:65], s[0:1], s[64:65]
	s_mul_hi_u32 s29, s59, s62
	s_mul_hi_u32 s66, s59, s63
	s_add_co_u32 s0, s64, s57
	s_add_co_ci_u32 s0, s65, s29
	s_mul_i32 s62, s59, s63
	s_add_co_ci_u32 s63, s66, 0
	s_delay_alu instid0(SALU_CYCLE_1) | instskip(NEXT) | instid1(SALU_CYCLE_1)
	s_add_nc_u64 s[62:63], s[0:1], s[62:63]
	s_add_co_u32 s58, s58, s62
	s_cselect_b32 s0, -1, 0
	s_delay_alu instid0(SALU_CYCLE_1) | instskip(SKIP_1) | instid1(SALU_CYCLE_1)
	s_cmp_lg_u32 s0, 0
	s_add_co_ci_u32 s59, s59, s63
	s_mul_u64 s[60:61], s[60:61], s[58:59]
	s_delay_alu instid0(SALU_CYCLE_1)
	s_mul_hi_u32 s63, s58, s61
	s_mul_i32 s62, s58, s61
	s_mul_hi_u32 s0, s58, s60
	s_mul_i32 s57, s59, s60
	s_add_nc_u64 s[62:63], s[0:1], s[62:63]
	s_mul_hi_u32 s29, s59, s60
	s_mul_hi_u32 s64, s59, s61
	s_add_co_u32 s0, s62, s57
	s_add_co_ci_u32 s0, s63, s29
	s_mul_i32 s60, s59, s61
	s_add_co_ci_u32 s61, s64, 0
	s_delay_alu instid0(SALU_CYCLE_1) | instskip(NEXT) | instid1(SALU_CYCLE_1)
	s_add_nc_u64 s[60:61], s[0:1], s[60:61]
	s_add_co_u32 s58, s58, s60
	s_cselect_b32 s0, -1, 0
	v_mul_hi_u32 v32, v24, s58
	s_cmp_lg_u32 s0, 0
	s_add_co_ci_u32 s0, s59, s61
	s_and_b64 s[60:61], s[58:59], s[20:21]
	v_mul_u64_e32 v[26:27], s[0:1], v[24:25]
	v_mul_u64_e32 v[22:23], s[60:61], v[28:29]
	;; [unrolled: 1-line block ×3, first 2 shown]
	s_delay_alu instid0(VALU_DEP_3) | instskip(NEXT) | instid1(VALU_DEP_1)
	v_add_nc_u64_e32 v[26:27], v[32:33], v[26:27]
	v_add_co_u32 v9, vcc_lo, v26, v22
	s_delay_alu instid0(VALU_DEP_2) | instskip(NEXT) | instid1(VALU_DEP_4)
	v_add_co_ci_u32_e32 v32, vcc_lo, v27, v23, vcc_lo
	v_add_co_ci_u32_e32 v31, vcc_lo, 0, v31, vcc_lo
	s_delay_alu instid0(VALU_DEP_1) | instskip(NEXT) | instid1(VALU_DEP_1)
	v_add_nc_u64_e32 v[22:23], v[32:33], v[30:31]
	v_mul_u64_e32 v[26:27], s[30:31], v[22:23]
	s_delay_alu instid0(VALU_DEP_1) | instskip(SKIP_1) | instid1(VALU_DEP_3)
	v_sub_co_u32 v11, vcc_lo, v24, v26
	v_add_nc_u64_e32 v[24:25], 2, v[22:23]
	v_sub_nc_u32_e32 v9, v28, v27
	v_sub_co_ci_u32_e64 v19, null, v28, v27, vcc_lo
	s_delay_alu instid0(VALU_DEP_4) | instskip(NEXT) | instid1(VALU_DEP_3)
	v_sub_co_u32 v13, s0, v11, s30
	v_subrev_co_ci_u32_e64 v9, null, s31, v9, vcc_lo
	v_add_nc_u64_e32 v[26:27], 1, v[22:23]
	s_delay_alu instid0(VALU_DEP_3) | instskip(NEXT) | instid1(VALU_DEP_3)
	v_cmp_le_u32_e32 vcc_lo, s30, v13
	v_subrev_co_ci_u32_e64 v9, null, 0, v9, s0
	v_cndmask_b32_e64 v13, 0, -1, vcc_lo
	s_delay_alu instid0(VALU_DEP_2)
	v_cmp_le_u32_e32 vcc_lo, s31, v9
	v_cndmask_b32_e64 v21, 0, -1, vcc_lo
	v_cmp_le_u32_e32 vcc_lo, s30, v11
	v_cndmask_b32_e64 v11, 0, -1, vcc_lo
	;; [unrolled: 2-line block ×3, first 2 shown]
	v_cmp_eq_u32_e32 vcc_lo, s31, v9
	v_cndmask_b32_e32 v9, v21, v13, vcc_lo
	v_cmp_eq_u32_e32 vcc_lo, s31, v19
	s_delay_alu instid0(VALU_DEP_4) | instskip(NEXT) | instid1(VALU_DEP_3)
	v_cndmask_b32_e32 v11, v28, v11, vcc_lo
	v_cmp_ne_u32_e32 vcc_lo, 0, v9
	v_cndmask_b32_e32 v9, v27, v25, vcc_lo
	s_delay_alu instid0(VALU_DEP_3) | instskip(SKIP_1) | instid1(VALU_DEP_1)
	v_cmp_ne_u32_e64 s0, 0, v11
	v_dual_cndmask_b32 v11, v26, v24, vcc_lo :: v_dual_bitop2_b32 v18, s28, v18 bitop3:0x14
	v_dual_cndmask_b32 v9, v23, v9, s0 :: v_dual_cndmask_b32 v11, v22, v11, s0
	s_delay_alu instid0(VALU_DEP_1) | instskip(NEXT) | instid1(VALU_DEP_2)
	v_dual_mov_b32 v19, v18 :: v_dual_bitop2_b32 v23, v9, v18 bitop3:0x14
	v_xor_b32_e32 v22, v11, v18
	s_delay_alu instid0(VALU_DEP_1)
	v_sub_nc_u64_e32 v[18:19], v[22:23], v[18:19]
.LBB52_61:                              ;   in Loop: Header=BB52_59 Depth=1
	s_and_not1_saveexec_b32 s0, s56
	s_cbranch_execz .LBB52_58
; %bb.62:                               ;   in Loop: Header=BB52_59 Depth=1
	v_cvt_f32_u32_e32 v9, s26
	s_sub_co_i32 s28, 0, s26
	v_mov_b32_e32 v19, v12
	s_delay_alu instid0(VALU_DEP_2) | instskip(SKIP_1) | instid1(TRANS32_DEP_1)
	v_rcp_iflag_f32_e32 v9, v9
	v_nop
	v_mul_f32_e32 v9, 0x4f7ffffe, v9
	s_delay_alu instid0(VALU_DEP_1) | instskip(NEXT) | instid1(VALU_DEP_1)
	v_cvt_u32_f32_e32 v9, v9
	v_mul_lo_u32 v11, s28, v9
	s_delay_alu instid0(VALU_DEP_1) | instskip(NEXT) | instid1(VALU_DEP_1)
	v_mul_hi_u32 v11, v9, v11
	v_add_nc_u32_e32 v9, v9, v11
	s_delay_alu instid0(VALU_DEP_1) | instskip(NEXT) | instid1(VALU_DEP_1)
	v_mul_hi_u32 v9, v16, v9
	v_mul_lo_u32 v11, v9, s26
	s_delay_alu instid0(VALU_DEP_1) | instskip(NEXT) | instid1(VALU_DEP_1)
	v_sub_nc_u32_e32 v11, v16, v11
	v_subrev_nc_u32_e32 v18, s26, v11
	v_cmp_le_u32_e32 vcc_lo, s26, v11
	s_delay_alu instid0(VALU_DEP_2) | instskip(NEXT) | instid1(VALU_DEP_1)
	v_dual_add_nc_u32 v13, 1, v9 :: v_dual_cndmask_b32 v11, v11, v18, vcc_lo
	v_cndmask_b32_e32 v9, v9, v13, vcc_lo
	s_delay_alu instid0(VALU_DEP_2) | instskip(NEXT) | instid1(VALU_DEP_2)
	v_cmp_le_u32_e32 vcc_lo, s26, v11
	v_add_nc_u32_e32 v13, 1, v9
	s_delay_alu instid0(VALU_DEP_1)
	v_cndmask_b32_e32 v18, v9, v13, vcc_lo
	s_branch .LBB52_58
.LBB52_63:
	s_mov_b32 s1, -1
	s_mov_b32 s20, 0
	s_mov_b32 s0, exec_lo
	v_cmpx_gt_i32_e64 v8, v10
	s_cbranch_execz .LBB52_69
; %bb.64:
	s_wait_loadcnt 0x0
	s_delay_alu instid0(VALU_DEP_2) | instskip(SKIP_3) | instid1(VALU_DEP_1)
	v_lshlrev_b64_e32 v[12:13], 2, v[14:15]
	v_dual_ashrrev_i32 v11, 31, v10 :: v_dual_ashrrev_i32 v9, 31, v8
	s_mov_b32 s1, 0
	s_xor_b32 s20, s9, -1
                                        ; implicit-def: $sgpr19
                                        ; implicit-def: $sgpr22
                                        ; implicit-def: $sgpr21
	v_lshl_add_u64 v[10:11], v[10:11], 2, v[12:13]
	v_add_nc_u64_e32 v[12:13], s[14:15], v[12:13]
	s_delay_alu instid0(VALU_DEP_2) | instskip(NEXT) | instid1(VALU_DEP_2)
	v_add_nc_u64_e32 v[10:11], s[14:15], v[10:11]
	v_lshl_add_u64 v[8:9], v[8:9], 2, v[12:13]
	s_delay_alu instid0(VALU_DEP_2)
	v_add_nc_u64_e32 v[10:11], 4, v[10:11]
	s_branch .LBB52_66
.LBB52_65:                              ;   in Loop: Header=BB52_66 Depth=1
	s_or_b32 exec_lo, exec_lo, s23
	s_delay_alu instid0(SALU_CYCLE_1) | instskip(NEXT) | instid1(SALU_CYCLE_1)
	s_and_b32 s23, exec_lo, s22
	s_or_b32 s1, s23, s1
	s_and_not1_b32 s19, s19, exec_lo
	s_and_b32 s23, s21, exec_lo
	s_delay_alu instid0(SALU_CYCLE_1)
	s_or_b32 s19, s19, s23
	s_and_not1_b32 exec_lo, exec_lo, s1
	s_cbranch_execz .LBB52_68
.LBB52_66:                              ; =>This Inner Loop Header: Depth=1
	s_or_b32 s21, s21, exec_lo
	s_or_b32 s22, s22, exec_lo
	s_mov_b32 s23, exec_lo
	s_delay_alu instid0(VALU_DEP_1)
	v_cmpx_lt_u64_e64 v[10:11], v[8:9]
	s_cbranch_execz .LBB52_65
; %bb.67:                               ;   in Loop: Header=BB52_66 Depth=1
	global_load_b64 v[12:13], v[10:11], off offset:-4
	s_wait_xcnt 0x0
	v_add_nc_u64_e32 v[10:11], 4, v[10:11]
	s_and_not1_b32 s22, s22, exec_lo
	s_and_not1_b32 s21, s21, exec_lo
	s_wait_loadcnt 0x0
	v_cmp_ge_i32_e32 vcc_lo, v12, v13
	s_or_b32 s24, s20, vcc_lo
	s_delay_alu instid0(SALU_CYCLE_1) | instskip(NEXT) | instid1(SALU_CYCLE_1)
	s_and_b32 s24, s24, exec_lo
	s_or_b32 s22, s22, s24
	s_branch .LBB52_65
.LBB52_68:
	s_or_b32 exec_lo, exec_lo, s1
	s_delay_alu instid0(SALU_CYCLE_1)
	s_mov_b32 s20, exec_lo
	s_or_not1_b32 s1, s19, exec_lo
.LBB52_69:
	s_or_b32 exec_lo, exec_lo, s0
	s_delay_alu instid0(SALU_CYCLE_1)
	s_and_b32 s0, s20, exec_lo
	s_xor_b32 s19, exec_lo, -1
	s_and_b32 s1, s1, exec_lo
.LBB52_70:
	s_or_b32 exec_lo, exec_lo, s55
	s_delay_alu instid0(SALU_CYCLE_1)
	s_and_not1_b32 s20, s47, exec_lo
	s_and_b32 s21, s19, exec_lo
	s_and_b32 s19, s0, exec_lo
	s_or_b32 s20, s20, s21
	s_xor_b32 s0, exec_lo, -1
	s_and_b32 s1, s1, exec_lo
.LBB52_71:
	s_or_b32 exec_lo, exec_lo, s54
	s_delay_alu instid0(SALU_CYCLE_1)
	s_and_not1_b32 s21, s47, exec_lo
	s_and_b32 s20, s20, exec_lo
	s_and_not1_b32 s22, s48, exec_lo
	s_and_b32 s0, s0, exec_lo
	s_and_b32 s19, s19, exec_lo
	s_or_b32 s21, s21, s20
	s_or_b32 s20, s22, s0
	s_xor_b32 s0, exec_lo, -1
	s_and_b32 s1, s1, exec_lo
.LBB52_72:
	s_or_b32 exec_lo, exec_lo, s53
	s_delay_alu instid0(SALU_CYCLE_1)
	s_and_not1_b32 s22, s47, exec_lo
	s_and_b32 s23, s21, exec_lo
	s_and_b32 s21, s19, exec_lo
	s_or_b32 s19, s22, s23
	s_and_not1_b32 s22, s48, exec_lo
	s_and_b32 s20, s20, exec_lo
	s_and_not1_b32 s23, s46, exec_lo
	s_and_b32 s0, s0, exec_lo
	s_or_b32 s20, s22, s20
	s_or_b32 s0, s23, s0
	s_or_not1_b32 s24, s1, exec_lo
.LBB52_73:
	s_or_b32 exec_lo, exec_lo, s52
	s_mov_b32 s23, 0
                                        ; implicit-def: $sgpr1
                                        ; implicit-def: $vgpr17
	s_and_saveexec_b32 s22, s24
	s_cbranch_execz .LBB52_77
; %bb.74:
	v_or_b32_e32 v17, 0x300, v0
	s_mov_b32 s23, -1
	s_mov_b32 s24, s0
	s_delay_alu instid0(VALU_DEP_1) | instskip(SKIP_2) | instid1(SALU_CYCLE_1)
	v_cmp_gt_i32_e64 s1, s5, v17
	s_mov_b32 s5, 0
	s_and_saveexec_b32 s25, s1
	s_xor_b32 s25, exec_lo, s25
	s_cbranch_execz .LBB52_76
; %bb.75:
	s_wait_kmcnt 0x0
	v_cmp_ne_u32_e32 vcc_lo, s34, v5
	s_xor_b32 s23, s40, -1
	s_and_not1_b32 s24, s0, exec_lo
	s_mov_b32 s5, exec_lo
	s_or_b32 s23, s23, vcc_lo
	s_delay_alu instid0(SALU_CYCLE_1)
	s_and_b32 s26, s23, exec_lo
	s_xor_b32 s23, exec_lo, -1
	s_or_b32 s24, s24, s26
.LBB52_76:
	s_or_b32 exec_lo, exec_lo, s25
	s_delay_alu instid0(SALU_CYCLE_1)
	s_and_not1_b32 s0, s0, exec_lo
	s_and_b32 s24, s24, exec_lo
	s_and_b32 s23, s23, exec_lo
	s_and_not1_b32 s21, s21, exec_lo
	s_and_b32 s51, s5, exec_lo
	s_or_b32 s0, s0, s24
.LBB52_77:
	s_or_b32 exec_lo, exec_lo, s22
	s_delay_alu instid0(SALU_CYCLE_1)
	s_and_not1_b32 s5, s49, exec_lo
	s_and_b32 s22, s21, exec_lo
	s_and_b32 s19, s19, exec_lo
	s_or_b32 s49, s5, s22
	s_and_not1_b32 s5, s47, exec_lo
	s_and_not1_b32 s22, s48, exec_lo
	s_and_b32 s20, s20, exec_lo
	s_or_b32 s47, s5, s19
	s_and_not1_b32 s5, s46, exec_lo
	s_and_b32 s0, s0, exec_lo
	s_and_b32 s21, s23, exec_lo
	s_or_b32 s48, s22, s20
	s_and_b32 s51, s51, exec_lo
	s_or_b32 s46, s5, s0
.LBB52_78:
	s_or_b32 exec_lo, exec_lo, s50
	s_delay_alu instid0(SALU_CYCLE_1)
	s_and_not1_b32 s0, s38, exec_lo
	s_and_b32 s5, s49, exec_lo
	s_and_not1_b32 s19, s43, exec_lo
	s_or_b32 s38, s0, s5
	s_and_not1_b32 s0, s42, exec_lo
	s_and_b32 s5, s47, exec_lo
	s_and_b32 s20, s48, exec_lo
	s_or_b32 s42, s0, s5
	s_or_b32 s43, s19, s20
	s_and_not1_b32 s5, s41, exec_lo
	s_and_b32 s19, s46, exec_lo
	s_and_b32 s24, s21, exec_lo
	;; [unrolled: 1-line block ×3, first 2 shown]
	s_or_b32 s41, s5, s19
.LBB52_79:
	s_or_b32 exec_lo, exec_lo, s45
	s_and_saveexec_b32 s5, s41
	s_cbranch_execnz .LBB52_113
.LBB52_80:
	s_or_b32 exec_lo, exec_lo, s5
	s_mov_b32 s19, 0
	s_and_saveexec_b32 s5, s0
	s_delay_alu instid0(SALU_CYCLE_1)
	s_xor_b32 s0, exec_lo, s5
	s_cbranch_execz .LBB52_82
; %bb.81:
	s_wait_loadcnt 0x2
	v_cmp_ne_u32_e32 vcc_lo, s6, v3
	s_xor_b32 s5, s36, -1
	s_and_not1_b32 s20, s43, exec_lo
	s_mov_b32 s19, exec_lo
	s_or_b32 s5, s5, vcc_lo
	s_delay_alu instid0(SALU_CYCLE_1) | instskip(NEXT) | instid1(SALU_CYCLE_1)
	s_and_b32 s5, s5, exec_lo
	s_or_b32 s43, s20, s5
.LBB52_82:
	s_or_b32 exec_lo, exec_lo, s0
	s_and_saveexec_b32 s0, s43
	s_cbranch_execnz .LBB52_114
.LBB52_83:
	s_or_b32 exec_lo, exec_lo, s0
	s_mov_b32 s5, 0
	s_and_saveexec_b32 s0, s19
	s_delay_alu instid0(SALU_CYCLE_1)
	s_xor_b32 s19, exec_lo, s0
	s_cbranch_execnz .LBB52_90
; %bb.84:
	s_or_b32 exec_lo, exec_lo, s19
	s_and_saveexec_b32 s0, s42
	s_cbranch_execnz .LBB52_91
.LBB52_85:
	s_or_b32 exec_lo, exec_lo, s0
	s_and_saveexec_b32 s25, s5
	s_cbranch_execnz .LBB52_92
.LBB52_86:
	s_or_b32 exec_lo, exec_lo, s25
	s_and_saveexec_b32 s0, s38
	s_cbranch_execnz .LBB52_106
.LBB52_87:
	s_or_b32 exec_lo, exec_lo, s0
	s_and_saveexec_b32 s0, s39
	s_delay_alu instid0(SALU_CYCLE_1)
	s_xor_b32 s0, exec_lo, s0
	s_cbranch_execnz .LBB52_107
.LBB52_88:
	s_or_b32 exec_lo, exec_lo, s0
	s_and_saveexec_b32 s0, s24
	s_cbranch_execnz .LBB52_108
.LBB52_89:
	s_endpgm
.LBB52_90:
	s_wait_loadcnt 0x0
	v_sub_nc_u32_e32 v3, v2, v4
	s_mov_b32 s5, exec_lo
	s_wait_kmcnt 0x0
	s_delay_alu instid0(VALU_DEP_1) | instskip(SKIP_3) | instid1(SALU_CYCLE_1)
	v_cmp_le_i32_e32 vcc_lo, s34, v3
	v_cmp_ge_i32_e64 s0, s4, v3
	s_and_not1_b32 s4, s42, exec_lo
	s_and_b32 s0, vcc_lo, s0
	s_and_b32 s0, s35, s0
	s_delay_alu instid0(SALU_CYCLE_1) | instskip(NEXT) | instid1(SALU_CYCLE_1)
	s_xor_b32 s0, s0, -1
	s_and_b32 s0, s0, exec_lo
	s_delay_alu instid0(SALU_CYCLE_1)
	s_or_b32 s42, s4, s0
	s_or_b32 exec_lo, exec_lo, s19
	s_and_saveexec_b32 s0, s42
	s_cbranch_execz .LBB52_85
.LBB52_91:
	s_or_b32 s39, s39, exec_lo
	s_and_not1_b32 s5, s5, exec_lo
	s_trap 2
	s_or_b32 exec_lo, exec_lo, s0
	s_and_saveexec_b32 s25, s5
	s_cbranch_execz .LBB52_86
.LBB52_92:
	s_wait_loadcnt 0x1
	v_mov_b64_e32 v[8:9], 0
	s_and_not1_b32 vcc_lo, exec_lo, s33
	s_cbranch_vccnz .LBB52_99
; %bb.93:
	v_mul_u64_e32 v[10:11], s[6:7], v[6:7]
	v_mov_b64_e32 v[8:9], 0
	s_mov_b32 s19, 0
	v_mov_b32_e32 v6, 0
	s_lshl_b64 s[20:21], s[18:19], 3
	s_mov_b64 s[4:5], 0xffffffff
	s_add_nc_u64 s[6:7], s[10:11], s[20:21]
	s_add_nc_u64 s[10:11], s[12:13], s[20:21]
	s_branch .LBB52_95
.LBB52_94:                              ;   in Loop: Header=BB52_95 Depth=1
	s_or_b32 exec_lo, exec_lo, s0
	s_wait_loadcnt 0x0
	s_delay_alu instid0(VALU_DEP_1)
	v_mul_u64_e32 v[14:15], s[12:13], v[12:13]
	s_load_b64 s[12:13], s[10:11], 0x0
	s_add_co_i32 s8, s8, -1
	s_add_nc_u64 s[6:7], s[6:7], -8
	s_cmp_lg_u32 s8, 0
	s_wait_xcnt 0x0
	s_add_nc_u64 s[10:11], s[10:11], -8
	s_delay_alu instid0(VALU_DEP_1) | instskip(SKIP_1) | instid1(VALU_DEP_1)
	v_sub_nc_u64_e32 v[10:11], v[10:11], v[14:15]
	s_wait_kmcnt 0x0
	v_mad_nc_u64_u32 v[8:9], v10, s12, v[8:9]
	s_delay_alu instid0(VALU_DEP_1) | instskip(NEXT) | instid1(VALU_DEP_1)
	v_mad_u32 v3, v11, s12, v9
	v_mad_u32 v9, v10, s13, v3
	v_mov_b64_e32 v[10:11], v[12:13]
	s_cbranch_scc0 .LBB52_99
.LBB52_95:                              ; =>This Inner Loop Header: Depth=1
	s_load_b64 s[12:13], s[6:7], 0x0
                                        ; implicit-def: $vgpr12_vgpr13
	s_mov_b32 s0, exec_lo
	s_wait_kmcnt 0x0
	s_delay_alu instid0(VALU_DEP_1) | instskip(NEXT) | instid1(VALU_DEP_1)
	v_or_b32_e32 v7, s13, v11
	v_cmpx_ne_u64_e32 0, v[6:7]
	s_xor_b32 s26, exec_lo, s0
	s_cbranch_execz .LBB52_97
; %bb.96:                               ;   in Loop: Header=BB52_95 Depth=1
	s_ashr_i32 s20, s13, 31
	s_wait_loadcnt 0x0
	v_dual_mov_b32 v19, v6 :: v_dual_ashrrev_i32 v12, 31, v11
	s_mov_b32 s21, s20
	s_delay_alu instid0(SALU_CYCLE_1) | instskip(NEXT) | instid1(VALU_DEP_1)
	s_add_nc_u64 s[22:23], s[12:13], s[20:21]
	v_mov_b32_e32 v13, v12
	s_xor_b64 s[22:23], s[22:23], s[20:21]
	s_delay_alu instid0(SALU_CYCLE_1)
	s_cvt_f32_u32 s0, s22
	s_cvt_f32_u32 s18, s23
	s_sub_nc_u64 s[30:31], 0, s[22:23]
	v_add_nc_u64_e32 v[14:15], v[10:11], v[12:13]
	v_mov_b32_e32 v25, v6
	s_fmamk_f32 s0, s18, 0x4f800000, s0
	s_delay_alu instid0(SALU_CYCLE_3) | instskip(NEXT) | instid1(VALU_DEP_2)
	v_s_rcp_f32 s0, s0
	v_xor_b32_e32 v18, v14, v12
	s_delay_alu instid0(VALU_DEP_3) | instskip(NEXT) | instid1(TRANS32_DEP_1)
	v_dual_mov_b32 v29, v6 :: v_dual_bitop2_b32 v24, v15, v12 bitop3:0x14
	s_mul_f32 s0, s0, 0x5f7ffffc
	s_delay_alu instid0(SALU_CYCLE_3) | instskip(NEXT) | instid1(SALU_CYCLE_3)
	s_mul_f32 s18, s0, 0x2f800000
	s_trunc_f32 s18, s18
	s_delay_alu instid0(SALU_CYCLE_3) | instskip(SKIP_1) | instid1(SALU_CYCLE_2)
	s_fmamk_f32 s0, s18, 0xcf800000, s0
	s_cvt_u32_f32 s29, s18
	s_cvt_u32_f32 s28, s0
	s_delay_alu instid0(SALU_CYCLE_3) | instskip(NEXT) | instid1(SALU_CYCLE_1)
	s_mul_u64 s[34:35], s[30:31], s[28:29]
	s_mul_hi_u32 s41, s28, s35
	s_mul_i32 s40, s28, s35
	s_mul_hi_u32 s18, s28, s34
	s_mul_i32 s21, s29, s34
	s_add_nc_u64 s[40:41], s[18:19], s[40:41]
	s_mul_hi_u32 s0, s29, s34
	s_mul_hi_u32 s27, s29, s35
	s_add_co_u32 s18, s40, s21
	s_add_co_ci_u32 s18, s41, s0
	s_mul_i32 s34, s29, s35
	s_add_co_ci_u32 s35, s27, 0
	s_delay_alu instid0(SALU_CYCLE_1) | instskip(NEXT) | instid1(SALU_CYCLE_1)
	s_add_nc_u64 s[34:35], s[18:19], s[34:35]
	s_add_co_u32 s28, s28, s34
	s_cselect_b32 s0, -1, 0
	s_delay_alu instid0(SALU_CYCLE_1) | instskip(SKIP_1) | instid1(SALU_CYCLE_1)
	s_cmp_lg_u32 s0, 0
	s_add_co_ci_u32 s29, s29, s35
	s_mul_u64 s[30:31], s[30:31], s[28:29]
	s_delay_alu instid0(SALU_CYCLE_1)
	s_mul_hi_u32 s35, s28, s31
	s_mul_i32 s34, s28, s31
	s_mul_hi_u32 s18, s28, s30
	s_mul_i32 s21, s29, s30
	s_add_nc_u64 s[34:35], s[18:19], s[34:35]
	s_mul_hi_u32 s0, s29, s30
	s_mul_hi_u32 s27, s29, s31
	s_add_co_u32 s18, s34, s21
	s_add_co_ci_u32 s18, s35, s0
	s_mul_i32 s30, s29, s31
	s_add_co_ci_u32 s31, s27, 0
	s_delay_alu instid0(SALU_CYCLE_1) | instskip(NEXT) | instid1(SALU_CYCLE_1)
	s_add_nc_u64 s[30:31], s[18:19], s[30:31]
	s_add_co_u32 s0, s28, s30
	s_cselect_b32 s18, -1, 0
	v_mul_hi_u32 v28, v18, s0
	s_cmp_lg_u32 s18, 0
	s_add_co_ci_u32 s18, s29, s31
	s_and_b64 s[28:29], s[0:1], s[4:5]
	v_mul_u64_e32 v[22:23], s[18:19], v[18:19]
	v_mul_u64_e32 v[14:15], s[28:29], v[24:25]
	;; [unrolled: 1-line block ×3, first 2 shown]
	s_delay_alu instid0(VALU_DEP_3) | instskip(NEXT) | instid1(VALU_DEP_1)
	v_add_nc_u64_e32 v[22:23], v[28:29], v[22:23]
	v_add_co_u32 v3, vcc_lo, v22, v14
	s_delay_alu instid0(VALU_DEP_2) | instskip(NEXT) | instid1(VALU_DEP_4)
	v_add_co_ci_u32_e32 v28, vcc_lo, v23, v15, vcc_lo
	v_add_co_ci_u32_e32 v27, vcc_lo, 0, v27, vcc_lo
	s_delay_alu instid0(VALU_DEP_1) | instskip(NEXT) | instid1(VALU_DEP_1)
	v_add_nc_u64_e32 v[14:15], v[28:29], v[26:27]
	v_mul_u64_e32 v[22:23], s[22:23], v[14:15]
	s_delay_alu instid0(VALU_DEP_1) | instskip(NEXT) | instid1(VALU_DEP_2)
	v_sub_nc_u32_e32 v3, v24, v23
	v_sub_co_u32 v5, vcc_lo, v18, v22
	s_delay_alu instid0(VALU_DEP_1) | instskip(NEXT) | instid1(VALU_DEP_3)
	v_sub_co_ci_u32_e64 v13, null, v24, v23, vcc_lo
	v_subrev_co_ci_u32_e64 v3, null, s23, v3, vcc_lo
	s_delay_alu instid0(VALU_DEP_3) | instskip(SKIP_1) | instid1(VALU_DEP_3)
	v_sub_co_u32 v7, s0, v5, s22
	v_add_nc_u64_e32 v[18:19], 2, v[14:15]
	v_subrev_co_ci_u32_e64 v3, null, 0, v3, s0
	s_delay_alu instid0(VALU_DEP_3) | instskip(SKIP_2) | instid1(VALU_DEP_4)
	v_cmp_le_u32_e32 vcc_lo, s22, v7
	v_add_nc_u64_e32 v[22:23], 1, v[14:15]
	v_cndmask_b32_e64 v7, 0, -1, vcc_lo
	v_cmp_le_u32_e32 vcc_lo, s23, v3
	v_cndmask_b32_e64 v16, 0, -1, vcc_lo
	v_cmp_le_u32_e32 vcc_lo, s22, v5
	;; [unrolled: 2-line block ×3, first 2 shown]
	v_cndmask_b32_e64 v21, 0, -1, vcc_lo
	v_cmp_eq_u32_e32 vcc_lo, s23, v3
	v_cndmask_b32_e32 v3, v16, v7, vcc_lo
	v_cmp_eq_u32_e32 vcc_lo, s23, v13
	s_delay_alu instid0(VALU_DEP_4) | instskip(NEXT) | instid1(VALU_DEP_3)
	v_cndmask_b32_e32 v5, v21, v5, vcc_lo
	v_cmp_ne_u32_e32 vcc_lo, 0, v3
	s_delay_alu instid0(VALU_DEP_2) | instskip(SKIP_1) | instid1(VALU_DEP_1)
	v_cmp_ne_u32_e64 s0, 0, v5
	v_dual_cndmask_b32 v3, v23, v19, vcc_lo :: v_dual_cndmask_b32 v5, v22, v18, vcc_lo
	v_dual_cndmask_b32 v3, v15, v3, s0 :: v_dual_bitop2_b32 v12, s20, v12 bitop3:0x14
	s_delay_alu instid0(VALU_DEP_1) | instskip(NEXT) | instid1(VALU_DEP_2)
	v_dual_cndmask_b32 v5, v14, v5, s0 :: v_dual_mov_b32 v13, v12
	v_xor_b32_e32 v15, v3, v12
	s_delay_alu instid0(VALU_DEP_2) | instskip(NEXT) | instid1(VALU_DEP_1)
	v_xor_b32_e32 v14, v5, v12
	v_sub_nc_u64_e32 v[12:13], v[14:15], v[12:13]
.LBB52_97:                              ;   in Loop: Header=BB52_95 Depth=1
	s_and_not1_saveexec_b32 s0, s26
	s_cbranch_execz .LBB52_94
; %bb.98:                               ;   in Loop: Header=BB52_95 Depth=1
	v_cvt_f32_u32_e32 v3, s12
	s_sub_co_i32 s18, 0, s12
	v_mov_b32_e32 v13, v6
	s_delay_alu instid0(VALU_DEP_2) | instskip(SKIP_1) | instid1(TRANS32_DEP_1)
	v_rcp_iflag_f32_e32 v3, v3
	v_nop
	v_mul_f32_e32 v3, 0x4f7ffffe, v3
	s_delay_alu instid0(VALU_DEP_1) | instskip(NEXT) | instid1(VALU_DEP_1)
	v_cvt_u32_f32_e32 v3, v3
	v_mul_lo_u32 v5, s18, v3
	s_delay_alu instid0(VALU_DEP_1) | instskip(NEXT) | instid1(VALU_DEP_1)
	v_mul_hi_u32 v5, v3, v5
	v_add_nc_u32_e32 v3, v3, v5
	s_delay_alu instid0(VALU_DEP_1) | instskip(NEXT) | instid1(VALU_DEP_1)
	v_mul_hi_u32 v3, v10, v3
	v_mul_lo_u32 v5, v3, s12
	s_delay_alu instid0(VALU_DEP_1) | instskip(SKIP_1) | instid1(VALU_DEP_1)
	v_sub_nc_u32_e32 v5, v10, v5
	s_wait_loadcnt 0x0
	v_subrev_nc_u32_e32 v12, s12, v5
	v_cmp_le_u32_e32 vcc_lo, s12, v5
	s_delay_alu instid0(VALU_DEP_2) | instskip(NEXT) | instid1(VALU_DEP_1)
	v_dual_add_nc_u32 v7, 1, v3 :: v_dual_cndmask_b32 v5, v5, v12, vcc_lo
	v_cndmask_b32_e32 v3, v3, v7, vcc_lo
	s_delay_alu instid0(VALU_DEP_2) | instskip(NEXT) | instid1(VALU_DEP_2)
	v_cmp_le_u32_e32 vcc_lo, s12, v5
	v_add_nc_u32_e32 v7, 1, v3
	s_delay_alu instid0(VALU_DEP_1)
	v_cndmask_b32_e32 v12, v3, v7, vcc_lo
	s_branch .LBB52_94
.LBB52_99:
	s_mov_b32 s4, s38
	s_mov_b32 s0, exec_lo
	s_wait_loadcnt 0x0
	v_cmpx_gt_i32_e64 v2, v4
	s_cbranch_execz .LBB52_105
; %bb.100:
	s_delay_alu instid0(VALU_DEP_2) | instskip(SKIP_3) | instid1(VALU_DEP_1)
	v_lshlrev_b64_e32 v[6:7], 2, v[8:9]
	v_dual_ashrrev_i32 v5, 31, v4 :: v_dual_ashrrev_i32 v3, 31, v2
	s_mov_b32 s4, 0
	s_xor_b32 s6, s9, -1
                                        ; implicit-def: $sgpr5
                                        ; implicit-def: $sgpr8
                                        ; implicit-def: $sgpr7
	v_lshl_add_u64 v[4:5], v[4:5], 2, v[6:7]
	v_add_nc_u64_e32 v[6:7], s[14:15], v[6:7]
	s_delay_alu instid0(VALU_DEP_2) | instskip(NEXT) | instid1(VALU_DEP_2)
	v_add_nc_u64_e32 v[4:5], s[14:15], v[4:5]
	v_lshl_add_u64 v[2:3], v[2:3], 2, v[6:7]
	s_delay_alu instid0(VALU_DEP_2)
	v_add_nc_u64_e32 v[4:5], 4, v[4:5]
	s_branch .LBB52_102
.LBB52_101:                             ;   in Loop: Header=BB52_102 Depth=1
	s_or_b32 exec_lo, exec_lo, s9
	s_xor_b32 s9, s7, -1
	s_and_b32 s10, exec_lo, s8
	s_delay_alu instid0(SALU_CYCLE_1) | instskip(SKIP_2) | instid1(SALU_CYCLE_1)
	s_or_b32 s4, s10, s4
	s_and_not1_b32 s5, s5, exec_lo
	s_and_b32 s9, s9, exec_lo
	s_or_b32 s5, s5, s9
	s_and_not1_b32 exec_lo, exec_lo, s4
	s_cbranch_execz .LBB52_104
.LBB52_102:                             ; =>This Inner Loop Header: Depth=1
	s_or_b32 s7, s7, exec_lo
	s_or_b32 s8, s8, exec_lo
	s_mov_b32 s9, exec_lo
	s_delay_alu instid0(VALU_DEP_1)
	v_cmpx_lt_u64_e64 v[4:5], v[2:3]
	s_cbranch_execz .LBB52_101
; %bb.103:                              ;   in Loop: Header=BB52_102 Depth=1
	global_load_b64 v[6:7], v[4:5], off offset:-4
	s_wait_xcnt 0x0
	v_add_nc_u64_e32 v[4:5], 4, v[4:5]
	s_and_not1_b32 s8, s8, exec_lo
	s_and_not1_b32 s7, s7, exec_lo
	s_wait_loadcnt 0x0
	v_cmp_ge_i32_e32 vcc_lo, v6, v7
	s_or_b32 s10, s6, vcc_lo
	s_delay_alu instid0(SALU_CYCLE_1) | instskip(NEXT) | instid1(SALU_CYCLE_1)
	s_and_b32 s10, s10, exec_lo
	s_or_b32 s8, s8, s10
	s_branch .LBB52_101
.LBB52_104:
	s_or_b32 exec_lo, exec_lo, s4
	s_delay_alu instid0(SALU_CYCLE_1) | instskip(SKIP_1) | instid1(SALU_CYCLE_1)
	s_and_not1_b32 s4, s38, exec_lo
	s_and_b32 s5, s5, exec_lo
	s_or_b32 s4, s4, s5
.LBB52_105:
	s_or_b32 exec_lo, exec_lo, s0
	s_delay_alu instid0(SALU_CYCLE_1)
	s_and_not1_b32 s0, s38, exec_lo
	s_and_b32 s4, s4, exec_lo
	s_or_b32 s24, s24, exec_lo
	s_or_b32 s38, s0, s4
	s_or_b32 exec_lo, exec_lo, s25
	s_and_saveexec_b32 s0, s38
	s_cbranch_execz .LBB52_87
.LBB52_106:
	s_and_not1_b32 s24, s24, exec_lo
	s_or_b32 s39, s39, exec_lo
	s_trap 2
	s_or_b32 exec_lo, exec_lo, s0
	s_and_saveexec_b32 s0, s39
	s_delay_alu instid0(SALU_CYCLE_1)
	s_xor_b32 s0, exec_lo, s0
	s_cbranch_execz .LBB52_88
.LBB52_107:
	; divergent unreachable
	s_or_b32 exec_lo, exec_lo, s0
	s_and_saveexec_b32 s0, s24
	s_cbranch_execz .LBB52_89
.LBB52_108:
	s_and_b32 exec_lo, exec_lo, s2
	s_cbranch_execz .LBB52_89
; %bb.109:
	s_wait_loadcnt 0x0
	v_dual_mov_b32 v0, 0 :: v_dual_bitop2_b32 v2, s3, v0 bitop3:0x54
	global_store_b32 v2, v0, s[16:17] scale_offset
	s_wait_xcnt 0x0
	s_and_b32 exec_lo, exec_lo, s37
	s_cbranch_execz .LBB52_89
; %bb.110:
	v_add_nc_u32_e32 v1, s3, v1
	global_store_b32 v1, v0, s[16:17] scale_offset
	s_wait_xcnt 0x0
	s_and_b32 exec_lo, exec_lo, s44
	s_cbranch_execz .LBB52_89
; %bb.111:
	v_dual_mov_b32 v0, 0 :: v_dual_add_nc_u32 v1, s3, v20
	global_store_b32 v1, v0, s[16:17] scale_offset
	s_wait_xcnt 0x0
	s_and_b32 exec_lo, exec_lo, s1
	s_cbranch_execz .LBB52_89
; %bb.112:
	v_add_nc_u32_e32 v1, s3, v17
	global_store_b32 v1, v0, s[16:17] scale_offset
	s_endpgm
.LBB52_113:
	s_mov_b32 s39, exec_lo
	s_and_not1_b32 s0, s0, exec_lo
	s_trap 2
	s_branch .LBB52_80
.LBB52_114:
	s_or_b32 s39, s39, exec_lo
	s_and_not1_b32 s19, s19, exec_lo
	s_trap 2
	s_branch .LBB52_83
	.section	.rodata,"a",@progbits
	.p2align	6, 0x0
	.amdhsa_kernel _ZN2at6native27unrolled_elementwise_kernelIZZZNS0_12_GLOBAL__N_142_validate_compressed_sparse_indices_kernelILNS2_8CDimNameE0ENS2_18CUDAKernelLauncherENS2_14EmptyVecKernelENS2_8DummyVecELm0EEEvRKNS_6TensorESA_lllENKUlvE1_clEvENKUlvE_clEvEUliiiiiE_St5arrayIPcLm6EELi4E23TrivialOffsetCalculatorILi5EjESH_ILi1EjENS0_6memory15LoadWithoutCastENSK_16StoreWithoutCastEEEviT_T0_T2_T3_T4_T5_
		.amdhsa_group_segment_fixed_size 0
		.amdhsa_private_segment_fixed_size 0
		.amdhsa_kernarg_size 116
		.amdhsa_user_sgpr_count 2
		.amdhsa_user_sgpr_dispatch_ptr 0
		.amdhsa_user_sgpr_queue_ptr 0
		.amdhsa_user_sgpr_kernarg_segment_ptr 1
		.amdhsa_user_sgpr_dispatch_id 0
		.amdhsa_user_sgpr_kernarg_preload_length 0
		.amdhsa_user_sgpr_kernarg_preload_offset 0
		.amdhsa_user_sgpr_private_segment_size 0
		.amdhsa_wavefront_size32 1
		.amdhsa_uses_dynamic_stack 0
		.amdhsa_enable_private_segment 0
		.amdhsa_system_sgpr_workgroup_id_x 1
		.amdhsa_system_sgpr_workgroup_id_y 0
		.amdhsa_system_sgpr_workgroup_id_z 0
		.amdhsa_system_sgpr_workgroup_info 0
		.amdhsa_system_vgpr_workitem_id 0
		.amdhsa_next_free_vgpr 44
		.amdhsa_next_free_sgpr 67
		.amdhsa_named_barrier_count 0
		.amdhsa_reserve_vcc 1
		.amdhsa_float_round_mode_32 0
		.amdhsa_float_round_mode_16_64 0
		.amdhsa_float_denorm_mode_32 3
		.amdhsa_float_denorm_mode_16_64 3
		.amdhsa_fp16_overflow 0
		.amdhsa_memory_ordered 1
		.amdhsa_forward_progress 1
		.amdhsa_inst_pref_size 56
		.amdhsa_round_robin_scheduling 0
		.amdhsa_exception_fp_ieee_invalid_op 0
		.amdhsa_exception_fp_denorm_src 0
		.amdhsa_exception_fp_ieee_div_zero 0
		.amdhsa_exception_fp_ieee_overflow 0
		.amdhsa_exception_fp_ieee_underflow 0
		.amdhsa_exception_fp_ieee_inexact 0
		.amdhsa_exception_int_div_zero 0
	.end_amdhsa_kernel
	.section	.text._ZN2at6native27unrolled_elementwise_kernelIZZZNS0_12_GLOBAL__N_142_validate_compressed_sparse_indices_kernelILNS2_8CDimNameE0ENS2_18CUDAKernelLauncherENS2_14EmptyVecKernelENS2_8DummyVecELm0EEEvRKNS_6TensorESA_lllENKUlvE1_clEvENKUlvE_clEvEUliiiiiE_St5arrayIPcLm6EELi4E23TrivialOffsetCalculatorILi5EjESH_ILi1EjENS0_6memory15LoadWithoutCastENSK_16StoreWithoutCastEEEviT_T0_T2_T3_T4_T5_,"axG",@progbits,_ZN2at6native27unrolled_elementwise_kernelIZZZNS0_12_GLOBAL__N_142_validate_compressed_sparse_indices_kernelILNS2_8CDimNameE0ENS2_18CUDAKernelLauncherENS2_14EmptyVecKernelENS2_8DummyVecELm0EEEvRKNS_6TensorESA_lllENKUlvE1_clEvENKUlvE_clEvEUliiiiiE_St5arrayIPcLm6EELi4E23TrivialOffsetCalculatorILi5EjESH_ILi1EjENS0_6memory15LoadWithoutCastENSK_16StoreWithoutCastEEEviT_T0_T2_T3_T4_T5_,comdat
.Lfunc_end52:
	.size	_ZN2at6native27unrolled_elementwise_kernelIZZZNS0_12_GLOBAL__N_142_validate_compressed_sparse_indices_kernelILNS2_8CDimNameE0ENS2_18CUDAKernelLauncherENS2_14EmptyVecKernelENS2_8DummyVecELm0EEEvRKNS_6TensorESA_lllENKUlvE1_clEvENKUlvE_clEvEUliiiiiE_St5arrayIPcLm6EELi4E23TrivialOffsetCalculatorILi5EjESH_ILi1EjENS0_6memory15LoadWithoutCastENSK_16StoreWithoutCastEEEviT_T0_T2_T3_T4_T5_, .Lfunc_end52-_ZN2at6native27unrolled_elementwise_kernelIZZZNS0_12_GLOBAL__N_142_validate_compressed_sparse_indices_kernelILNS2_8CDimNameE0ENS2_18CUDAKernelLauncherENS2_14EmptyVecKernelENS2_8DummyVecELm0EEEvRKNS_6TensorESA_lllENKUlvE1_clEvENKUlvE_clEvEUliiiiiE_St5arrayIPcLm6EELi4E23TrivialOffsetCalculatorILi5EjESH_ILi1EjENS0_6memory15LoadWithoutCastENSK_16StoreWithoutCastEEEviT_T0_T2_T3_T4_T5_
                                        ; -- End function
	.set _ZN2at6native27unrolled_elementwise_kernelIZZZNS0_12_GLOBAL__N_142_validate_compressed_sparse_indices_kernelILNS2_8CDimNameE0ENS2_18CUDAKernelLauncherENS2_14EmptyVecKernelENS2_8DummyVecELm0EEEvRKNS_6TensorESA_lllENKUlvE1_clEvENKUlvE_clEvEUliiiiiE_St5arrayIPcLm6EELi4E23TrivialOffsetCalculatorILi5EjESH_ILi1EjENS0_6memory15LoadWithoutCastENSK_16StoreWithoutCastEEEviT_T0_T2_T3_T4_T5_.num_vgpr, 44
	.set _ZN2at6native27unrolled_elementwise_kernelIZZZNS0_12_GLOBAL__N_142_validate_compressed_sparse_indices_kernelILNS2_8CDimNameE0ENS2_18CUDAKernelLauncherENS2_14EmptyVecKernelENS2_8DummyVecELm0EEEvRKNS_6TensorESA_lllENKUlvE1_clEvENKUlvE_clEvEUliiiiiE_St5arrayIPcLm6EELi4E23TrivialOffsetCalculatorILi5EjESH_ILi1EjENS0_6memory15LoadWithoutCastENSK_16StoreWithoutCastEEEviT_T0_T2_T3_T4_T5_.num_agpr, 0
	.set _ZN2at6native27unrolled_elementwise_kernelIZZZNS0_12_GLOBAL__N_142_validate_compressed_sparse_indices_kernelILNS2_8CDimNameE0ENS2_18CUDAKernelLauncherENS2_14EmptyVecKernelENS2_8DummyVecELm0EEEvRKNS_6TensorESA_lllENKUlvE1_clEvENKUlvE_clEvEUliiiiiE_St5arrayIPcLm6EELi4E23TrivialOffsetCalculatorILi5EjESH_ILi1EjENS0_6memory15LoadWithoutCastENSK_16StoreWithoutCastEEEviT_T0_T2_T3_T4_T5_.numbered_sgpr, 67
	.set _ZN2at6native27unrolled_elementwise_kernelIZZZNS0_12_GLOBAL__N_142_validate_compressed_sparse_indices_kernelILNS2_8CDimNameE0ENS2_18CUDAKernelLauncherENS2_14EmptyVecKernelENS2_8DummyVecELm0EEEvRKNS_6TensorESA_lllENKUlvE1_clEvENKUlvE_clEvEUliiiiiE_St5arrayIPcLm6EELi4E23TrivialOffsetCalculatorILi5EjESH_ILi1EjENS0_6memory15LoadWithoutCastENSK_16StoreWithoutCastEEEviT_T0_T2_T3_T4_T5_.num_named_barrier, 0
	.set _ZN2at6native27unrolled_elementwise_kernelIZZZNS0_12_GLOBAL__N_142_validate_compressed_sparse_indices_kernelILNS2_8CDimNameE0ENS2_18CUDAKernelLauncherENS2_14EmptyVecKernelENS2_8DummyVecELm0EEEvRKNS_6TensorESA_lllENKUlvE1_clEvENKUlvE_clEvEUliiiiiE_St5arrayIPcLm6EELi4E23TrivialOffsetCalculatorILi5EjESH_ILi1EjENS0_6memory15LoadWithoutCastENSK_16StoreWithoutCastEEEviT_T0_T2_T3_T4_T5_.private_seg_size, 0
	.set _ZN2at6native27unrolled_elementwise_kernelIZZZNS0_12_GLOBAL__N_142_validate_compressed_sparse_indices_kernelILNS2_8CDimNameE0ENS2_18CUDAKernelLauncherENS2_14EmptyVecKernelENS2_8DummyVecELm0EEEvRKNS_6TensorESA_lllENKUlvE1_clEvENKUlvE_clEvEUliiiiiE_St5arrayIPcLm6EELi4E23TrivialOffsetCalculatorILi5EjESH_ILi1EjENS0_6memory15LoadWithoutCastENSK_16StoreWithoutCastEEEviT_T0_T2_T3_T4_T5_.uses_vcc, 1
	.set _ZN2at6native27unrolled_elementwise_kernelIZZZNS0_12_GLOBAL__N_142_validate_compressed_sparse_indices_kernelILNS2_8CDimNameE0ENS2_18CUDAKernelLauncherENS2_14EmptyVecKernelENS2_8DummyVecELm0EEEvRKNS_6TensorESA_lllENKUlvE1_clEvENKUlvE_clEvEUliiiiiE_St5arrayIPcLm6EELi4E23TrivialOffsetCalculatorILi5EjESH_ILi1EjENS0_6memory15LoadWithoutCastENSK_16StoreWithoutCastEEEviT_T0_T2_T3_T4_T5_.uses_flat_scratch, 0
	.set _ZN2at6native27unrolled_elementwise_kernelIZZZNS0_12_GLOBAL__N_142_validate_compressed_sparse_indices_kernelILNS2_8CDimNameE0ENS2_18CUDAKernelLauncherENS2_14EmptyVecKernelENS2_8DummyVecELm0EEEvRKNS_6TensorESA_lllENKUlvE1_clEvENKUlvE_clEvEUliiiiiE_St5arrayIPcLm6EELi4E23TrivialOffsetCalculatorILi5EjESH_ILi1EjENS0_6memory15LoadWithoutCastENSK_16StoreWithoutCastEEEviT_T0_T2_T3_T4_T5_.has_dyn_sized_stack, 0
	.set _ZN2at6native27unrolled_elementwise_kernelIZZZNS0_12_GLOBAL__N_142_validate_compressed_sparse_indices_kernelILNS2_8CDimNameE0ENS2_18CUDAKernelLauncherENS2_14EmptyVecKernelENS2_8DummyVecELm0EEEvRKNS_6TensorESA_lllENKUlvE1_clEvENKUlvE_clEvEUliiiiiE_St5arrayIPcLm6EELi4E23TrivialOffsetCalculatorILi5EjESH_ILi1EjENS0_6memory15LoadWithoutCastENSK_16StoreWithoutCastEEEviT_T0_T2_T3_T4_T5_.has_recursion, 0
	.set _ZN2at6native27unrolled_elementwise_kernelIZZZNS0_12_GLOBAL__N_142_validate_compressed_sparse_indices_kernelILNS2_8CDimNameE0ENS2_18CUDAKernelLauncherENS2_14EmptyVecKernelENS2_8DummyVecELm0EEEvRKNS_6TensorESA_lllENKUlvE1_clEvENKUlvE_clEvEUliiiiiE_St5arrayIPcLm6EELi4E23TrivialOffsetCalculatorILi5EjESH_ILi1EjENS0_6memory15LoadWithoutCastENSK_16StoreWithoutCastEEEviT_T0_T2_T3_T4_T5_.has_indirect_call, 0
	.section	.AMDGPU.csdata,"",@progbits
; Kernel info:
; codeLenInByte = 7152
; TotalNumSgprs: 69
; NumVgprs: 44
; ScratchSize: 0
; MemoryBound: 0
; FloatMode: 240
; IeeeMode: 1
; LDSByteSize: 0 bytes/workgroup (compile time only)
; SGPRBlocks: 0
; VGPRBlocks: 2
; NumSGPRsForWavesPerEU: 69
; NumVGPRsForWavesPerEU: 44
; NamedBarCnt: 0
; Occupancy: 16
; WaveLimiterHint : 0
; COMPUTE_PGM_RSRC2:SCRATCH_EN: 0
; COMPUTE_PGM_RSRC2:USER_SGPR: 2
; COMPUTE_PGM_RSRC2:TRAP_HANDLER: 0
; COMPUTE_PGM_RSRC2:TGID_X_EN: 1
; COMPUTE_PGM_RSRC2:TGID_Y_EN: 0
; COMPUTE_PGM_RSRC2:TGID_Z_EN: 0
; COMPUTE_PGM_RSRC2:TIDIG_COMP_CNT: 0
	.section	.text._ZN2at6native32elementwise_kernel_manual_unrollILi128ELi4EZNS0_22gpu_kernel_impl_nocastIZZZNS0_12_GLOBAL__N_142_validate_compressed_sparse_indices_kernelILNS3_8CDimNameE0ENS3_18CUDAKernelLauncherENS3_14EmptyVecKernelENS3_8DummyVecELm0EEEvRKNS_6TensorESB_lllENKUlvE1_clEvENKUlvE_clEvEUliiiiiE_EEvRNS_18TensorIteratorBaseERKT_EUlibE_EEviT1_,"axG",@progbits,_ZN2at6native32elementwise_kernel_manual_unrollILi128ELi4EZNS0_22gpu_kernel_impl_nocastIZZZNS0_12_GLOBAL__N_142_validate_compressed_sparse_indices_kernelILNS3_8CDimNameE0ENS3_18CUDAKernelLauncherENS3_14EmptyVecKernelENS3_8DummyVecELm0EEEvRKNS_6TensorESB_lllENKUlvE1_clEvENKUlvE_clEvEUliiiiiE_EEvRNS_18TensorIteratorBaseERKT_EUlibE_EEviT1_,comdat
	.globl	_ZN2at6native32elementwise_kernel_manual_unrollILi128ELi4EZNS0_22gpu_kernel_impl_nocastIZZZNS0_12_GLOBAL__N_142_validate_compressed_sparse_indices_kernelILNS3_8CDimNameE0ENS3_18CUDAKernelLauncherENS3_14EmptyVecKernelENS3_8DummyVecELm0EEEvRKNS_6TensorESB_lllENKUlvE1_clEvENKUlvE_clEvEUliiiiiE_EEvRNS_18TensorIteratorBaseERKT_EUlibE_EEviT1_ ; -- Begin function _ZN2at6native32elementwise_kernel_manual_unrollILi128ELi4EZNS0_22gpu_kernel_impl_nocastIZZZNS0_12_GLOBAL__N_142_validate_compressed_sparse_indices_kernelILNS3_8CDimNameE0ENS3_18CUDAKernelLauncherENS3_14EmptyVecKernelENS3_8DummyVecELm0EEEvRKNS_6TensorESB_lllENKUlvE1_clEvENKUlvE_clEvEUliiiiiE_EEvRNS_18TensorIteratorBaseERKT_EUlibE_EEviT1_
	.p2align	8
	.type	_ZN2at6native32elementwise_kernel_manual_unrollILi128ELi4EZNS0_22gpu_kernel_impl_nocastIZZZNS0_12_GLOBAL__N_142_validate_compressed_sparse_indices_kernelILNS3_8CDimNameE0ENS3_18CUDAKernelLauncherENS3_14EmptyVecKernelENS3_8DummyVecELm0EEEvRKNS_6TensorESB_lllENKUlvE1_clEvENKUlvE_clEvEUliiiiiE_EEvRNS_18TensorIteratorBaseERKT_EUlibE_EEviT1_,@function
_ZN2at6native32elementwise_kernel_manual_unrollILi128ELi4EZNS0_22gpu_kernel_impl_nocastIZZZNS0_12_GLOBAL__N_142_validate_compressed_sparse_indices_kernelILNS3_8CDimNameE0ENS3_18CUDAKernelLauncherENS3_14EmptyVecKernelENS3_8DummyVecELm0EEEvRKNS_6TensorESB_lllENKUlvE1_clEvENKUlvE_clEvEUliiiiiE_EEvRNS_18TensorIteratorBaseERKT_EUlibE_EEviT1_: ; @_ZN2at6native32elementwise_kernel_manual_unrollILi128ELi4EZNS0_22gpu_kernel_impl_nocastIZZZNS0_12_GLOBAL__N_142_validate_compressed_sparse_indices_kernelILNS3_8CDimNameE0ENS3_18CUDAKernelLauncherENS3_14EmptyVecKernelENS3_8DummyVecELm0EEEvRKNS_6TensorESB_lllENKUlvE1_clEvENKUlvE_clEvEUliiiiiE_EEvRNS_18TensorIteratorBaseERKT_EUlibE_EEviT1_
; %bb.0:
	s_clause 0x1
	s_load_b32 s33, s[0:1], 0x8
	s_load_b32 s78, s[0:1], 0x0
	s_bfe_u32 s2, ttmp6, 0x4000c
	s_and_b32 s3, ttmp6, 15
	s_add_co_i32 s2, s2, 1
	s_getreg_b32 s4, hwreg(HW_REG_IB_STS2, 6, 4)
	s_mul_i32 s2, ttmp9, s2
	s_mov_b32 s69, 0
	s_add_co_i32 s3, s3, s2
	s_cmp_eq_u32 s4, 0
	s_mov_b32 s49, -1
	s_cselect_b32 s2, ttmp9, s3
	s_mov_b32 s38, 0
	v_lshl_or_b32 v0, s2, 9, v0
	s_add_nc_u64 s[2:3], s[0:1], 8
	s_get_pc_i64 s[34:35]
	s_add_nc_u64 s[34:35], s[34:35], .str.1@rel64+4
	s_wait_xcnt 0x0
	s_mov_b32 s0, exec_lo
	v_or_b32_e32 v5, 0x180, v0
	s_wait_kmcnt 0x0
	s_add_co_i32 s68, s33, -1
	s_delay_alu instid0(SALU_CYCLE_1)
	s_cmp_gt_u32 s68, 1
	s_cselect_b32 s70, -1, 0
	v_cmpx_le_i32_e64 s78, v5
	s_xor_b32 s71, exec_lo, s0
	s_cbranch_execz .LBB53_137
; %bb.1:
	s_load_b256 s[12:19], s[2:3], 0x280
	s_cmp_lg_u32 s33, 0
	s_get_pc_i64 s[28:29]
	s_add_nc_u64 s[28:29], s[28:29], .str.2@rel64+4
	s_cselect_b32 s79, -1, 0
	s_min_u32 s77, s68, 15
	s_cmp_gt_u32 s33, 1
	s_clause 0x1
	s_load_b128 s[44:47], s[2:3], 0x4
	s_load_b64 s[0:1], s[2:3], 0x14
	s_cselect_b32 s76, -1, 0
	s_cmp_lg_u64 s[34:35], 0
	s_get_pc_i64 s[30:31]
	s_add_nc_u64 s[30:31], s[30:31], .str.3@rel64+4
	s_cselect_b32 s75, -1, 0
	s_cmp_lg_u64 s[28:29], 0
	s_clause 0x4
	s_load_b128 s[40:43], s[2:3], 0xe4
	s_load_b256 s[20:27], s[2:3], 0xc4
	s_load_b256 s[4:11], s[2:3], 0x248
	s_load_b128 s[36:39], s[2:3], 0x268
	s_load_b32 s72, s[2:3], 0x278
	s_cselect_b32 s74, -1, 0
	s_cmp_lg_u64 s[30:31], 0
	s_load_b128 s[28:31], s[2:3], 0x2a0
	s_cselect_b32 s73, -1, 0
	s_get_pc_i64 s[54:55]
	s_add_nc_u64 s[54:55], s[54:55], .str.4@rel64+4
	s_wait_kmcnt 0x0
	v_cmp_gt_i64_e64 s13, s[14:15], 0
	s_add_co_i32 s48, s16, -1
	s_mov_b32 s51, 0
	s_cmp_gt_i32 s48, -1
	s_mov_b32 s53, s51
	s_cselect_b32 s17, -1, 0
	s_mov_b32 s50, s45
	s_and_b32 s13, s13, s17
	s_cmp_lg_u64 s[54:55], 0
	s_mov_b32 s52, s0
	s_cselect_b32 s17, -1, 0
	s_mov_b32 s82, s51
	s_mov_b32 s81, s51
	;; [unrolled: 1-line block ×4, first 2 shown]
	s_mov_b32 s83, exec_lo
	v_cmpx_gt_i32_e64 s78, v0
	s_cbranch_execz .LBB53_35
; %bb.2:
	s_and_not1_b32 vcc_lo, exec_lo, s70
	s_cbranch_vccnz .LBB53_8
; %bb.3:
	s_and_not1_b32 vcc_lo, exec_lo, s79
	s_cbranch_vccnz .LBB53_9
; %bb.4:
	v_dual_mov_b32 v6, 0 :: v_dual_mov_b32 v1, v0
	v_dual_mov_b32 v5, 0 :: v_dual_mov_b32 v7, 0
	;; [unrolled: 1-line block ×3, first 2 shown]
	v_mov_b32_e32 v8, 0
	s_add_co_i32 s0, s77, 1
	s_mov_b64 s[54:55], 0xffffffffffffffd0
	s_and_b32 s0, s0, 30
	s_add_nc_u64 s[54:55], s[2:3], s[54:55]
	s_mov_b64 s[56:57], s[2:3]
.LBB53_5:                               ; =>This Inner Loop Header: Depth=1
	s_clause 0x1
	s_load_b128 s[84:87], s[56:57], 0x4
	s_load_b64 s[58:59], s[56:57], 0x14
	s_clause 0x1
	s_load_b256 s[60:67], s[54:55], 0xf4
	s_load_b128 s[88:91], s[54:55], 0x114
	s_add_co_i32 s0, s0, -2
	s_wait_xcnt 0x0
	s_add_nc_u64 s[56:57], s[56:57], 24
	s_cmp_lg_u32 s0, 0
	s_add_nc_u64 s[54:55], s[54:55], 48
	s_wait_kmcnt 0x0
	v_mul_hi_u32 v2, s85, v1
	s_delay_alu instid0(VALU_DEP_1) | instskip(NEXT) | instid1(VALU_DEP_1)
	v_add_nc_u32_e32 v2, v1, v2
	v_lshrrev_b32_e32 v2, s86, v2
	s_delay_alu instid0(VALU_DEP_1) | instskip(SKIP_1) | instid1(VALU_DEP_1)
	v_mul_hi_u32 v3, s58, v2
	v_mul_lo_u32 v9, v2, s84
	v_dual_add_nc_u32 v3, v2, v3 :: v_dual_sub_nc_u32 v9, v1, v9
	s_delay_alu instid0(VALU_DEP_1) | instskip(NEXT) | instid1(VALU_DEP_2)
	v_lshrrev_b32_e32 v1, s59, v3
	v_mad_u32 v3, v9, s61, v8
	v_mad_u32 v10, v9, s60, v14
	;; [unrolled: 1-line block ×4, first 2 shown]
	v_mul_lo_u32 v8, v1, s87
	v_mad_u32 v5, s65, v9, v5
	v_mad_u32 v6, s64, v9, v6
	s_delay_alu instid0(VALU_DEP_3) | instskip(NEXT) | instid1(VALU_DEP_1)
	v_sub_nc_u32_e32 v2, v2, v8
	v_mad_u32 v8, v2, s67, v3
	v_mad_u32 v14, v2, s66, v10
	;; [unrolled: 1-line block ×6, first 2 shown]
	s_cbranch_scc1 .LBB53_5
; %bb.6:
	s_bitcmp1_b32 s77, 0
	s_cselect_b32 s0, -1, 0
	s_delay_alu instid0(SALU_CYCLE_1)
	s_and_b32 vcc_lo, exec_lo, s0
	s_cbranch_vccnz .LBB53_10
; %bb.7:
	s_load_b96 s[60:62], s[56:57], 0x4
	s_wait_kmcnt 0x0
	v_mul_hi_u32 v2, s61, v1
	s_delay_alu instid0(VALU_DEP_1) | instskip(NEXT) | instid1(VALU_DEP_1)
	v_add_nc_u32_e32 v2, v1, v2
	v_lshrrev_b32_e32 v2, s62, v2
	s_clause 0x1
	s_load_b128 s[56:59], s[54:55], 0xf4
	s_load_b64 s[62:63], s[54:55], 0x104
	s_delay_alu instid0(VALU_DEP_1) | instskip(NEXT) | instid1(VALU_DEP_1)
	v_mul_lo_u32 v2, v2, s60
	v_sub_nc_u32_e32 v1, v1, v2
	s_wait_kmcnt 0x0
	s_delay_alu instid0(VALU_DEP_1)
	v_mad_u32 v14, v1, s56, v14
	v_mad_u32 v8, v1, s57, v8
	;; [unrolled: 1-line block ×6, first 2 shown]
	s_cbranch_execz .LBB53_11
	s_branch .LBB53_13
.LBB53_8:
                                        ; implicit-def: $vgpr8
                                        ; implicit-def: $vgpr14
                                        ; implicit-def: $vgpr4
                                        ; implicit-def: $vgpr7
                                        ; implicit-def: $vgpr5
                                        ; implicit-def: $vgpr6
	s_branch .LBB53_11
.LBB53_9:
	v_dual_mov_b32 v8, 0 :: v_dual_mov_b32 v14, 0
	v_dual_mov_b32 v4, 0 :: v_dual_mov_b32 v7, 0
	;; [unrolled: 1-line block ×3, first 2 shown]
.LBB53_10:
	s_cbranch_execnz .LBB53_13
.LBB53_11:
	v_mov_b32_e32 v1, 0
	s_and_not1_b32 vcc_lo, exec_lo, s76
	s_delay_alu instid0(VALU_DEP_1) | instskip(NEXT) | instid1(VALU_DEP_1)
	v_mul_u64_e32 v[2:3], s[50:51], v[0:1]
	v_add_nc_u32_e32 v2, v0, v3
	s_delay_alu instid0(VALU_DEP_1) | instskip(NEXT) | instid1(VALU_DEP_1)
	v_lshrrev_b32_e32 v2, s46, v2
	v_mul_lo_u32 v3, v2, s44
	s_delay_alu instid0(VALU_DEP_1) | instskip(NEXT) | instid1(VALU_DEP_1)
	v_sub_nc_u32_e32 v3, v0, v3
	v_mul_lo_u32 v8, v3, s21
	v_mul_lo_u32 v14, v3, s20
	v_mul_lo_u32 v4, v3, s23
	v_mul_lo_u32 v7, v3, s22
	v_mul_lo_u32 v5, s25, v3
	v_mul_lo_u32 v6, s24, v3
	s_cbranch_vccnz .LBB53_13
; %bb.12:
	v_mov_b32_e32 v3, v1
	s_delay_alu instid0(VALU_DEP_1) | instskip(NEXT) | instid1(VALU_DEP_1)
	v_mul_u64_e32 v[10:11], s[52:53], v[2:3]
	v_add_nc_u32_e32 v1, v2, v11
	s_delay_alu instid0(VALU_DEP_1) | instskip(NEXT) | instid1(VALU_DEP_1)
	v_lshrrev_b32_e32 v1, s1, v1
	v_mul_lo_u32 v1, v1, s47
	s_delay_alu instid0(VALU_DEP_1) | instskip(NEXT) | instid1(VALU_DEP_1)
	v_sub_nc_u32_e32 v1, v2, v1
	v_mad_u32 v14, v1, s26, v14
	v_mad_u32 v8, v1, s27, v8
	;; [unrolled: 1-line block ×6, first 2 shown]
.LBB53_13:
	global_load_b32 v1, v8, s[6:7]
	s_mov_b32 s49, -1
	s_mov_b32 s0, 0
	s_mov_b32 s54, 0
	;; [unrolled: 1-line block ×4, first 2 shown]
	s_wait_loadcnt 0x0
	v_cmp_eq_u32_e32 vcc_lo, s72, v1
	s_and_b32 s57, s75, vcc_lo
	s_delay_alu instid0(SALU_CYCLE_1)
	s_and_saveexec_b32 s45, s57
	s_cbranch_execz .LBB53_34
; %bb.14:
	global_load_b32 v1, v7, s[8:9]
	s_wait_loadcnt 0x0
	v_cmp_eq_u32_e32 vcc_lo, s14, v1
	s_and_b32 s56, s74, vcc_lo
	s_delay_alu instid0(SALU_CYCLE_1)
	s_and_saveexec_b32 s80, s56
	s_cbranch_execz .LBB53_33
; %bb.15:
	global_load_b32 v4, v4, s[10:11]
	global_load_b32 v2, v6, s[36:37]
	s_wait_loadcnt 0x0
	v_sub_nc_u32_e32 v1, v2, v4
	s_delay_alu instid0(VALU_DEP_1)
	v_cmp_le_i32_e32 vcc_lo, s72, v1
	v_cmp_ge_i32_e64 s0, s12, v1
	s_and_b32 s54, vcc_lo, s0
	s_mov_b32 s0, 0
	s_and_b32 s55, s73, s54
	s_mov_b32 s54, 0
	s_and_saveexec_b32 s81, s55
	s_cbranch_execz .LBB53_32
; %bb.16:
	v_mov_b64_e32 v[6:7], 0
	s_and_not1_b32 vcc_lo, exec_lo, s13
	s_cbranch_vccnz .LBB53_23
; %bb.17:
	global_load_b32 v6, v5, s[38:39]
	s_mov_b32 s55, 0
	s_mov_b64 s[56:57], 0xffffffff
	s_mov_b32 s49, s55
	v_mov_b32_e32 v8, 0
	s_lshl_b64 s[60:61], s[48:49], 3
	s_mov_b32 s49, s16
	s_add_nc_u64 s[58:59], s[18:19], s[60:61]
	s_add_nc_u64 s[60:61], s[28:29], s[60:61]
	s_wait_loadcnt 0x0
	v_ashrrev_i32_e32 v7, 31, v6
	s_delay_alu instid0(VALU_DEP_1)
	v_mul_u64_e32 v[10:11], s[14:15], v[6:7]
	v_mov_b64_e32 v[6:7], 0
	s_branch .LBB53_19
.LBB53_18:                              ;   in Loop: Header=BB53_19 Depth=1
	s_or_b32 exec_lo, exec_lo, s0
	s_delay_alu instid0(VALU_DEP_1)
	v_mul_u64_e32 v[16:17], s[62:63], v[12:13]
	s_load_b64 s[62:63], s[60:61], 0x0
	s_add_co_i32 s49, s49, -1
	s_add_nc_u64 s[58:59], s[58:59], -8
	s_cmp_eq_u32 s49, 0
	s_wait_xcnt 0x0
	s_add_nc_u64 s[60:61], s[60:61], -8
	s_delay_alu instid0(VALU_DEP_1) | instskip(SKIP_1) | instid1(VALU_DEP_1)
	v_sub_nc_u64_e32 v[10:11], v[10:11], v[16:17]
	s_wait_kmcnt 0x0
	v_mad_nc_u64_u32 v[6:7], v10, s62, v[6:7]
	s_delay_alu instid0(VALU_DEP_1) | instskip(NEXT) | instid1(VALU_DEP_1)
	v_mad_u32 v1, v11, s62, v7
	v_mad_u32 v7, v10, s63, v1
	v_mov_b64_e32 v[10:11], v[12:13]
	s_cbranch_scc1 .LBB53_23
.LBB53_19:                              ; =>This Inner Loop Header: Depth=1
	s_load_b64 s[62:63], s[58:59], 0x0
                                        ; implicit-def: $vgpr12_vgpr13
	s_mov_b32 s0, exec_lo
	s_wait_kmcnt 0x0
	s_delay_alu instid0(VALU_DEP_1) | instskip(NEXT) | instid1(VALU_DEP_1)
	v_or_b32_e32 v9, s63, v11
	v_cmpx_ne_u64_e32 0, v[8:9]
	s_xor_b32 s82, exec_lo, s0
	s_cbranch_execz .LBB53_21
; %bb.20:                               ;   in Loop: Header=BB53_19 Depth=1
	s_ashr_i32 s64, s63, 31
	v_dual_mov_b32 v19, v8 :: v_dual_ashrrev_i32 v12, 31, v11
	s_mov_b32 s65, s64
	v_mov_b32_e32 v23, v8
	s_add_nc_u64 s[66:67], s[62:63], s[64:65]
	s_delay_alu instid0(VALU_DEP_2)
	v_mov_b32_e32 v13, v12
	s_xor_b64 s[66:67], s[66:67], s[64:65]
	v_mov_b32_e32 v27, v8
	s_cvt_f32_u32 s0, s66
	s_cvt_f32_u32 s54, s67
	s_sub_nc_u64 s[86:87], 0, s[66:67]
	v_add_nc_u64_e32 v[16:17], v[10:11], v[12:13]
	s_delay_alu instid0(SALU_CYCLE_1) | instskip(NEXT) | instid1(SALU_CYCLE_3)
	s_fmamk_f32 s0, s54, 0x4f800000, s0
	v_s_rcp_f32 s0, s0
	s_delay_alu instid0(VALU_DEP_1) | instskip(NEXT) | instid1(VALU_DEP_2)
	v_xor_b32_e32 v22, v17, v12
	v_xor_b32_e32 v18, v16, v12
	s_delay_alu instid0(TRANS32_DEP_1) | instskip(NEXT) | instid1(SALU_CYCLE_3)
	s_mul_f32 s0, s0, 0x5f7ffffc
	s_mul_f32 s54, s0, 0x2f800000
	s_delay_alu instid0(SALU_CYCLE_3) | instskip(NEXT) | instid1(SALU_CYCLE_3)
	s_trunc_f32 s54, s54
	s_fmamk_f32 s0, s54, 0xcf800000, s0
	s_cvt_u32_f32 s85, s54
	s_delay_alu instid0(SALU_CYCLE_2) | instskip(NEXT) | instid1(SALU_CYCLE_3)
	s_cvt_u32_f32 s84, s0
	s_mul_u64 s[88:89], s[86:87], s[84:85]
	s_delay_alu instid0(SALU_CYCLE_1)
	s_mul_hi_u32 s91, s84, s89
	s_mul_i32 s90, s84, s89
	s_mul_hi_u32 s54, s84, s88
	s_mul_i32 s65, s85, s88
	s_add_nc_u64 s[90:91], s[54:55], s[90:91]
	s_mul_hi_u32 s0, s85, s88
	s_mul_hi_u32 s92, s85, s89
	s_add_co_u32 s54, s90, s65
	s_add_co_ci_u32 s54, s91, s0
	s_mul_i32 s88, s85, s89
	s_add_co_ci_u32 s89, s92, 0
	s_delay_alu instid0(SALU_CYCLE_1) | instskip(NEXT) | instid1(SALU_CYCLE_1)
	s_add_nc_u64 s[88:89], s[54:55], s[88:89]
	s_add_co_u32 s84, s84, s88
	s_cselect_b32 s0, -1, 0
	s_delay_alu instid0(SALU_CYCLE_1) | instskip(SKIP_1) | instid1(SALU_CYCLE_1)
	s_cmp_lg_u32 s0, 0
	s_add_co_ci_u32 s85, s85, s89
	s_mul_u64 s[86:87], s[86:87], s[84:85]
	s_delay_alu instid0(SALU_CYCLE_1)
	s_mul_hi_u32 s89, s84, s87
	s_mul_i32 s88, s84, s87
	s_mul_hi_u32 s54, s84, s86
	s_mul_i32 s65, s85, s86
	s_add_nc_u64 s[88:89], s[54:55], s[88:89]
	s_mul_hi_u32 s0, s85, s86
	s_mul_hi_u32 s90, s85, s87
	s_add_co_u32 s54, s88, s65
	s_add_co_ci_u32 s54, s89, s0
	s_mul_i32 s86, s85, s87
	s_add_co_ci_u32 s87, s90, 0
	s_delay_alu instid0(SALU_CYCLE_1) | instskip(NEXT) | instid1(SALU_CYCLE_1)
	s_add_nc_u64 s[86:87], s[54:55], s[86:87]
	s_add_co_u32 s0, s84, s86
	s_cselect_b32 s54, -1, 0
	v_mul_hi_u32 v26, v18, s0
	s_cmp_lg_u32 s54, 0
	s_add_co_ci_u32 s54, s85, s87
	s_and_b64 s[84:85], s[0:1], s[56:57]
	v_mul_u64_e32 v[20:21], s[54:55], v[18:19]
	v_mul_u64_e32 v[16:17], s[84:85], v[22:23]
	;; [unrolled: 1-line block ×3, first 2 shown]
	s_delay_alu instid0(VALU_DEP_3) | instskip(NEXT) | instid1(VALU_DEP_1)
	v_add_nc_u64_e32 v[20:21], v[26:27], v[20:21]
	v_add_co_u32 v1, vcc_lo, v20, v16
	s_delay_alu instid0(VALU_DEP_2) | instskip(NEXT) | instid1(VALU_DEP_4)
	v_add_co_ci_u32_e32 v26, vcc_lo, v21, v17, vcc_lo
	v_add_co_ci_u32_e32 v25, vcc_lo, 0, v25, vcc_lo
	s_delay_alu instid0(VALU_DEP_1) | instskip(NEXT) | instid1(VALU_DEP_1)
	v_add_nc_u64_e32 v[16:17], v[26:27], v[24:25]
	v_mul_u64_e32 v[20:21], s[66:67], v[16:17]
	s_delay_alu instid0(VALU_DEP_1) | instskip(NEXT) | instid1(VALU_DEP_2)
	v_sub_nc_u32_e32 v1, v22, v21
	v_sub_co_u32 v3, vcc_lo, v18, v20
	s_delay_alu instid0(VALU_DEP_1) | instskip(NEXT) | instid1(VALU_DEP_3)
	v_sub_co_ci_u32_e64 v9, null, v22, v21, vcc_lo
	v_subrev_co_ci_u32_e64 v1, null, s67, v1, vcc_lo
	s_delay_alu instid0(VALU_DEP_3) | instskip(SKIP_1) | instid1(VALU_DEP_3)
	v_sub_co_u32 v5, s0, v3, s66
	v_add_nc_u64_e32 v[18:19], 2, v[16:17]
	v_subrev_co_ci_u32_e64 v1, null, 0, v1, s0
	s_delay_alu instid0(VALU_DEP_3) | instskip(SKIP_2) | instid1(VALU_DEP_4)
	v_cmp_le_u32_e32 vcc_lo, s66, v5
	v_add_nc_u64_e32 v[20:21], 1, v[16:17]
	v_cndmask_b32_e64 v5, 0, -1, vcc_lo
	v_cmp_le_u32_e32 vcc_lo, s67, v1
	v_cndmask_b32_e64 v13, 0, -1, vcc_lo
	v_cmp_le_u32_e32 vcc_lo, s66, v3
	;; [unrolled: 2-line block ×3, first 2 shown]
	v_cndmask_b32_e64 v15, 0, -1, vcc_lo
	v_cmp_eq_u32_e32 vcc_lo, s67, v1
	v_cndmask_b32_e32 v1, v13, v5, vcc_lo
	v_cmp_eq_u32_e32 vcc_lo, s67, v9
	s_delay_alu instid0(VALU_DEP_4) | instskip(NEXT) | instid1(VALU_DEP_3)
	v_cndmask_b32_e32 v3, v15, v3, vcc_lo
	v_cmp_ne_u32_e32 vcc_lo, 0, v1
	s_delay_alu instid0(VALU_DEP_2) | instskip(SKIP_1) | instid1(VALU_DEP_1)
	v_cmp_ne_u32_e64 s0, 0, v3
	v_dual_cndmask_b32 v1, v21, v19, vcc_lo :: v_dual_cndmask_b32 v3, v20, v18, vcc_lo
	v_dual_cndmask_b32 v1, v17, v1, s0 :: v_dual_bitop2_b32 v12, s64, v12 bitop3:0x14
	s_delay_alu instid0(VALU_DEP_1) | instskip(NEXT) | instid1(VALU_DEP_1)
	v_dual_cndmask_b32 v3, v16, v3, s0 :: v_dual_bitop2_b32 v17, v1, v12 bitop3:0x14
	v_dual_mov_b32 v13, v12 :: v_dual_bitop2_b32 v16, v3, v12 bitop3:0x14
	s_delay_alu instid0(VALU_DEP_1)
	v_sub_nc_u64_e32 v[12:13], v[16:17], v[12:13]
.LBB53_21:                              ;   in Loop: Header=BB53_19 Depth=1
	s_and_not1_saveexec_b32 s0, s82
	s_cbranch_execz .LBB53_18
; %bb.22:                               ;   in Loop: Header=BB53_19 Depth=1
	v_cvt_f32_u32_e32 v1, s62
	s_sub_co_i32 s54, 0, s62
	v_mov_b32_e32 v13, v8
	s_delay_alu instid0(VALU_DEP_2) | instskip(SKIP_1) | instid1(TRANS32_DEP_1)
	v_rcp_iflag_f32_e32 v1, v1
	v_nop
	v_mul_f32_e32 v1, 0x4f7ffffe, v1
	s_delay_alu instid0(VALU_DEP_1) | instskip(NEXT) | instid1(VALU_DEP_1)
	v_cvt_u32_f32_e32 v1, v1
	v_mul_lo_u32 v3, s54, v1
	s_delay_alu instid0(VALU_DEP_1) | instskip(NEXT) | instid1(VALU_DEP_1)
	v_mul_hi_u32 v3, v1, v3
	v_add_nc_u32_e32 v1, v1, v3
	s_delay_alu instid0(VALU_DEP_1) | instskip(NEXT) | instid1(VALU_DEP_1)
	v_mul_hi_u32 v1, v10, v1
	v_mul_lo_u32 v3, v1, s62
	s_delay_alu instid0(VALU_DEP_1) | instskip(NEXT) | instid1(VALU_DEP_1)
	v_dual_add_nc_u32 v5, 1, v1 :: v_dual_sub_nc_u32 v3, v10, v3
	v_subrev_nc_u32_e32 v9, s62, v3
	v_cmp_le_u32_e32 vcc_lo, s62, v3
	s_delay_alu instid0(VALU_DEP_2) | instskip(NEXT) | instid1(VALU_DEP_4)
	v_cndmask_b32_e32 v3, v3, v9, vcc_lo
	v_cndmask_b32_e32 v1, v1, v5, vcc_lo
	s_delay_alu instid0(VALU_DEP_2) | instskip(NEXT) | instid1(VALU_DEP_2)
	v_cmp_le_u32_e32 vcc_lo, s62, v3
	v_add_nc_u32_e32 v5, 1, v1
	s_delay_alu instid0(VALU_DEP_1)
	v_cndmask_b32_e32 v12, v1, v5, vcc_lo
	s_branch .LBB53_18
.LBB53_23:
	s_mov_b32 s55, -1
	s_mov_b32 s0, 0
	s_mov_b32 s54, 0
	s_mov_b32 s49, exec_lo
	v_cmpx_gt_i32_e64 v2, v4
	s_cbranch_execz .LBB53_29
; %bb.24:
	s_delay_alu instid0(VALU_DEP_2) | instskip(SKIP_2) | instid1(VALU_DEP_1)
	v_lshlrev_b64_e32 v[6:7], 2, v[6:7]
	v_dual_ashrrev_i32 v5, 31, v4 :: v_dual_ashrrev_i32 v3, 31, v2
	s_xor_b32 s56, s17, -1
                                        ; implicit-def: $sgpr55
                                        ; implicit-def: $sgpr58
                                        ; implicit-def: $sgpr57
	v_lshl_add_u64 v[4:5], v[4:5], 2, v[6:7]
	v_add_nc_u64_e32 v[6:7], s[30:31], v[6:7]
	s_delay_alu instid0(VALU_DEP_2) | instskip(NEXT) | instid1(VALU_DEP_2)
	v_add_nc_u64_e32 v[4:5], s[30:31], v[4:5]
	v_lshl_add_u64 v[2:3], v[2:3], 2, v[6:7]
	s_delay_alu instid0(VALU_DEP_2)
	v_add_nc_u64_e32 v[4:5], 4, v[4:5]
	s_branch .LBB53_26
.LBB53_25:                              ;   in Loop: Header=BB53_26 Depth=1
	s_or_b32 exec_lo, exec_lo, s59
	s_delay_alu instid0(SALU_CYCLE_1) | instskip(NEXT) | instid1(SALU_CYCLE_1)
	s_and_b32 s59, exec_lo, s58
	s_or_b32 s54, s59, s54
	s_and_not1_b32 s55, s55, exec_lo
	s_and_b32 s59, s57, exec_lo
	s_delay_alu instid0(SALU_CYCLE_1)
	s_or_b32 s55, s55, s59
	s_and_not1_b32 exec_lo, exec_lo, s54
	s_cbranch_execz .LBB53_28
.LBB53_26:                              ; =>This Inner Loop Header: Depth=1
	s_or_b32 s57, s57, exec_lo
	s_or_b32 s58, s58, exec_lo
	s_mov_b32 s59, exec_lo
	s_delay_alu instid0(VALU_DEP_1)
	v_cmpx_lt_u64_e64 v[4:5], v[2:3]
	s_cbranch_execz .LBB53_25
; %bb.27:                               ;   in Loop: Header=BB53_26 Depth=1
	global_load_b64 v[6:7], v[4:5], off offset:-4
	s_wait_xcnt 0x0
	v_add_nc_u64_e32 v[4:5], 4, v[4:5]
	s_and_not1_b32 s58, s58, exec_lo
	s_and_not1_b32 s57, s57, exec_lo
	s_wait_loadcnt 0x0
	v_cmp_ge_i32_e32 vcc_lo, v6, v7
	s_or_b32 s60, s56, vcc_lo
	s_delay_alu instid0(SALU_CYCLE_1) | instskip(NEXT) | instid1(SALU_CYCLE_1)
	s_and_b32 s60, s60, exec_lo
	s_or_b32 s58, s58, s60
	s_branch .LBB53_25
.LBB53_28:
	s_or_b32 exec_lo, exec_lo, s54
	s_delay_alu instid0(SALU_CYCLE_1)
	s_mov_b32 s54, exec_lo
	s_or_not1_b32 s55, s55, exec_lo
.LBB53_29:
	s_or_b32 exec_lo, exec_lo, s49
	s_and_saveexec_b32 s49, s55
	s_cbranch_execz .LBB53_31
; %bb.30:
	v_dual_mov_b32 v1, 0 :: v_dual_add_nc_u32 v0, 0x80, v0
	s_mov_b32 s0, exec_lo
	s_and_not1_b32 s54, s54, exec_lo
	global_store_b32 v14, v1, s[4:5]
.LBB53_31:
	s_wait_xcnt 0x0
	s_or_b32 exec_lo, exec_lo, s49
	s_delay_alu instid0(SALU_CYCLE_1)
	s_and_b32 s54, s54, exec_lo
	s_xor_b32 s49, exec_lo, -1
	s_and_b32 s0, s0, exec_lo
.LBB53_32:
	s_or_b32 exec_lo, exec_lo, s81
	s_delay_alu instid0(SALU_CYCLE_1)
	s_and_b32 s55, s54, exec_lo
	s_and_b32 s54, s49, exec_lo
	s_xor_b32 s49, exec_lo, -1
	s_and_b32 s0, s0, exec_lo
.LBB53_33:
	s_or_b32 exec_lo, exec_lo, s80
	s_delay_alu instid0(SALU_CYCLE_1)
	s_and_b32 s56, s55, exec_lo
	s_and_b32 s55, s54, exec_lo
	;; [unrolled: 1-line block ×3, first 2 shown]
	s_xor_b32 s49, exec_lo, -1
	s_and_b32 s0, s0, exec_lo
.LBB53_34:
	s_or_b32 exec_lo, exec_lo, s45
	s_delay_alu instid0(SALU_CYCLE_1)
	s_and_b32 s45, s56, exec_lo
	s_and_b32 s80, s55, exec_lo
	;; [unrolled: 1-line block ×4, first 2 shown]
	s_or_not1_b32 s49, s0, exec_lo
.LBB53_35:
	s_or_b32 exec_lo, exec_lo, s83
                                        ; implicit-def: $vgpr12
                                        ; implicit-def: $vgpr4
                                        ; implicit-def: $vgpr7
                                        ; implicit-def: $vgpr6
                                        ; implicit-def: $vgpr5
	s_and_saveexec_b32 s83, s49
	s_cbranch_execz .LBB53_124
; %bb.36:
	s_mov_b32 s49, -1
	s_mov_b32 s84, s82
	s_mov_b32 s87, s81
	;; [unrolled: 1-line block ×4, first 2 shown]
	s_mov_b32 s88, exec_lo
	v_cmpx_gt_i32_e64 s78, v0
	s_cbranch_execz .LBB53_70
; %bb.37:
	s_and_not1_b32 vcc_lo, exec_lo, s70
	s_cbranch_vccnz .LBB53_43
; %bb.38:
	s_and_not1_b32 vcc_lo, exec_lo, s79
	s_cbranch_vccnz .LBB53_44
; %bb.39:
	v_dual_mov_b32 v6, 0 :: v_dual_mov_b32 v1, v0
	v_dual_mov_b32 v5, 0 :: v_dual_mov_b32 v7, 0
	;; [unrolled: 1-line block ×3, first 2 shown]
	v_mov_b32_e32 v8, 0
	s_add_co_i32 s0, s77, 1
	s_mov_b64 s[54:55], 0xffffffffffffffd0
	s_and_b32 s0, s0, 30
	s_add_nc_u64 s[54:55], s[2:3], s[54:55]
	s_mov_b64 s[56:57], s[2:3]
.LBB53_40:                              ; =>This Inner Loop Header: Depth=1
	s_clause 0x1
	s_load_b128 s[84:87], s[56:57], 0x4
	s_load_b64 s[58:59], s[56:57], 0x14
	s_clause 0x1
	s_load_b256 s[60:67], s[54:55], 0xf4
	s_load_b128 s[92:95], s[54:55], 0x114
	s_add_co_i32 s0, s0, -2
	s_wait_xcnt 0x0
	s_add_nc_u64 s[56:57], s[56:57], 24
	s_cmp_eq_u32 s0, 0
	s_add_nc_u64 s[54:55], s[54:55], 48
	s_wait_kmcnt 0x0
	v_mul_hi_u32 v2, s85, v1
	s_delay_alu instid0(VALU_DEP_1) | instskip(NEXT) | instid1(VALU_DEP_1)
	v_add_nc_u32_e32 v2, v1, v2
	v_lshrrev_b32_e32 v2, s86, v2
	s_delay_alu instid0(VALU_DEP_1) | instskip(SKIP_1) | instid1(VALU_DEP_1)
	v_mul_hi_u32 v3, s58, v2
	v_mul_lo_u32 v9, v2, s84
	v_dual_add_nc_u32 v3, v2, v3 :: v_dual_sub_nc_u32 v9, v1, v9
	s_delay_alu instid0(VALU_DEP_1) | instskip(NEXT) | instid1(VALU_DEP_2)
	v_lshrrev_b32_e32 v1, s59, v3
	v_mad_u32 v3, v9, s61, v8
	v_mad_u32 v10, v9, s60, v14
	;; [unrolled: 1-line block ×4, first 2 shown]
	v_mul_lo_u32 v8, v1, s87
	v_mad_u32 v5, s65, v9, v5
	v_mad_u32 v6, s64, v9, v6
	s_delay_alu instid0(VALU_DEP_3) | instskip(NEXT) | instid1(VALU_DEP_1)
	v_sub_nc_u32_e32 v2, v2, v8
	v_mad_u32 v8, v2, s67, v3
	v_mad_u32 v14, v2, s66, v10
	;; [unrolled: 1-line block ×6, first 2 shown]
	s_cbranch_scc0 .LBB53_40
; %bb.41:
	s_bitcmp1_b32 s77, 0
	s_cselect_b32 s0, -1, 0
	s_delay_alu instid0(SALU_CYCLE_1)
	s_and_b32 vcc_lo, exec_lo, s0
	s_cbranch_vccnz .LBB53_45
; %bb.42:
	s_load_b96 s[60:62], s[56:57], 0x4
	s_wait_kmcnt 0x0
	v_mul_hi_u32 v2, s61, v1
	s_delay_alu instid0(VALU_DEP_1) | instskip(NEXT) | instid1(VALU_DEP_1)
	v_add_nc_u32_e32 v2, v1, v2
	v_lshrrev_b32_e32 v2, s62, v2
	s_clause 0x1
	s_load_b128 s[56:59], s[54:55], 0xf4
	s_load_b64 s[62:63], s[54:55], 0x104
	s_delay_alu instid0(VALU_DEP_1) | instskip(NEXT) | instid1(VALU_DEP_1)
	v_mul_lo_u32 v2, v2, s60
	v_sub_nc_u32_e32 v1, v1, v2
	s_wait_kmcnt 0x0
	s_delay_alu instid0(VALU_DEP_1)
	v_mad_u32 v14, v1, s56, v14
	v_mad_u32 v8, v1, s57, v8
	;; [unrolled: 1-line block ×6, first 2 shown]
	s_branch .LBB53_45
.LBB53_43:
                                        ; implicit-def: $vgpr8
                                        ; implicit-def: $vgpr14
                                        ; implicit-def: $vgpr4
                                        ; implicit-def: $vgpr7
                                        ; implicit-def: $vgpr5
                                        ; implicit-def: $vgpr6
	s_branch .LBB53_46
.LBB53_44:
	v_dual_mov_b32 v8, 0 :: v_dual_mov_b32 v14, 0
	v_dual_mov_b32 v4, 0 :: v_dual_mov_b32 v7, 0
	;; [unrolled: 1-line block ×3, first 2 shown]
.LBB53_45:
	s_cbranch_execnz .LBB53_48
.LBB53_46:
	v_mov_b32_e32 v1, 0
	s_and_not1_b32 vcc_lo, exec_lo, s76
	s_delay_alu instid0(VALU_DEP_1) | instskip(NEXT) | instid1(VALU_DEP_1)
	v_mul_u64_e32 v[2:3], s[50:51], v[0:1]
	v_add_nc_u32_e32 v2, v0, v3
	s_delay_alu instid0(VALU_DEP_1) | instskip(NEXT) | instid1(VALU_DEP_1)
	v_lshrrev_b32_e32 v2, s46, v2
	v_mul_lo_u32 v3, v2, s44
	s_delay_alu instid0(VALU_DEP_1) | instskip(NEXT) | instid1(VALU_DEP_1)
	v_sub_nc_u32_e32 v3, v0, v3
	v_mul_lo_u32 v8, v3, s21
	v_mul_lo_u32 v14, v3, s20
	;; [unrolled: 1-line block ×6, first 2 shown]
	s_cbranch_vccnz .LBB53_48
; %bb.47:
	v_mov_b32_e32 v3, v1
	s_delay_alu instid0(VALU_DEP_1) | instskip(NEXT) | instid1(VALU_DEP_1)
	v_mul_u64_e32 v[10:11], s[52:53], v[2:3]
	v_add_nc_u32_e32 v1, v2, v11
	s_delay_alu instid0(VALU_DEP_1) | instskip(NEXT) | instid1(VALU_DEP_1)
	v_lshrrev_b32_e32 v1, s1, v1
	v_mul_lo_u32 v1, v1, s47
	s_delay_alu instid0(VALU_DEP_1) | instskip(NEXT) | instid1(VALU_DEP_1)
	v_sub_nc_u32_e32 v1, v2, v1
	v_mad_u32 v14, v1, s26, v14
	v_mad_u32 v8, v1, s27, v8
	;; [unrolled: 1-line block ×6, first 2 shown]
.LBB53_48:
	global_load_b32 v1, v8, s[6:7]
	s_mov_b32 s0, 0
	s_mov_b32 s49, -1
	s_mov_b32 s54, s81
	s_mov_b32 s56, s80
	;; [unrolled: 1-line block ×3, first 2 shown]
	s_wait_loadcnt 0x0
	v_cmp_eq_u32_e32 vcc_lo, s72, v1
	s_and_b32 s57, s75, vcc_lo
	s_wait_xcnt 0x0
	s_and_saveexec_b32 s84, s57
	s_cbranch_execz .LBB53_69
; %bb.49:
	global_load_b32 v1, v7, s[8:9]
	s_mov_b32 s56, s80
	s_mov_b32 s55, s45
	s_wait_loadcnt 0x0
	v_cmp_eq_u32_e32 vcc_lo, s14, v1
	s_and_b32 s54, s74, vcc_lo
	s_wait_xcnt 0x0
	s_and_saveexec_b32 s85, s54
	s_cbranch_execz .LBB53_68
; %bb.50:
	global_load_b32 v4, v4, s[10:11]
	global_load_b32 v2, v6, s[36:37]
	s_mov_b32 s54, 0
	s_wait_loadcnt 0x0
	v_sub_nc_u32_e32 v1, v2, v4
	s_delay_alu instid0(VALU_DEP_1)
	v_cmp_le_i32_e32 vcc_lo, s72, v1
	v_cmp_ge_i32_e64 s0, s12, v1
	s_and_b32 s49, vcc_lo, s0
	s_mov_b32 s0, -1
	s_and_b32 s55, s73, s49
	s_mov_b32 s49, s45
	s_wait_xcnt 0x0
	s_and_saveexec_b32 s86, s55
	s_cbranch_execz .LBB53_67
; %bb.51:
	v_mov_b64_e32 v[6:7], 0
	s_and_not1_b32 vcc_lo, exec_lo, s13
	s_cbranch_vccnz .LBB53_58
; %bb.52:
	global_load_b32 v6, v5, s[38:39]
	s_mov_b32 s55, 0
	s_mov_b64 s[56:57], 0xffffffff
	s_mov_b32 s49, s55
	v_mov_b32_e32 v8, 0
	s_lshl_b64 s[60:61], s[48:49], 3
	s_mov_b32 s49, s16
	s_add_nc_u64 s[58:59], s[18:19], s[60:61]
	s_add_nc_u64 s[60:61], s[28:29], s[60:61]
	s_wait_loadcnt 0x0
	v_ashrrev_i32_e32 v7, 31, v6
	s_delay_alu instid0(VALU_DEP_1)
	v_mul_u64_e32 v[10:11], s[14:15], v[6:7]
	v_mov_b64_e32 v[6:7], 0
	s_branch .LBB53_54
.LBB53_53:                              ;   in Loop: Header=BB53_54 Depth=1
	s_or_b32 exec_lo, exec_lo, s0
	s_delay_alu instid0(VALU_DEP_1)
	v_mul_u64_e32 v[16:17], s[62:63], v[12:13]
	s_load_b64 s[62:63], s[60:61], 0x0
	s_add_co_i32 s49, s49, -1
	s_add_nc_u64 s[58:59], s[58:59], -8
	s_cmp_lg_u32 s49, 0
	s_wait_xcnt 0x0
	s_add_nc_u64 s[60:61], s[60:61], -8
	s_delay_alu instid0(VALU_DEP_1) | instskip(SKIP_1) | instid1(VALU_DEP_1)
	v_sub_nc_u64_e32 v[10:11], v[10:11], v[16:17]
	s_wait_kmcnt 0x0
	v_mad_nc_u64_u32 v[6:7], v10, s62, v[6:7]
	s_delay_alu instid0(VALU_DEP_1) | instskip(NEXT) | instid1(VALU_DEP_1)
	v_mad_u32 v1, v11, s62, v7
	v_mad_u32 v7, v10, s63, v1
	v_mov_b64_e32 v[10:11], v[12:13]
	s_cbranch_scc0 .LBB53_58
.LBB53_54:                              ; =>This Inner Loop Header: Depth=1
	s_load_b64 s[62:63], s[58:59], 0x0
                                        ; implicit-def: $vgpr12_vgpr13
	s_mov_b32 s0, exec_lo
	s_wait_kmcnt 0x0
	s_delay_alu instid0(VALU_DEP_1) | instskip(NEXT) | instid1(VALU_DEP_1)
	v_or_b32_e32 v9, s63, v11
	v_cmpx_ne_u64_e32 0, v[8:9]
	s_xor_b32 s87, exec_lo, s0
	s_cbranch_execz .LBB53_56
; %bb.55:                               ;   in Loop: Header=BB53_54 Depth=1
	s_ashr_i32 s64, s63, 31
	v_dual_mov_b32 v19, v8 :: v_dual_ashrrev_i32 v12, 31, v11
	s_mov_b32 s65, s64
	v_mov_b32_e32 v23, v8
	s_add_nc_u64 s[66:67], s[62:63], s[64:65]
	s_delay_alu instid0(VALU_DEP_2)
	v_mov_b32_e32 v13, v12
	s_xor_b64 s[66:67], s[66:67], s[64:65]
	v_mov_b32_e32 v27, v8
	s_cvt_f32_u32 s0, s66
	s_cvt_f32_u32 s54, s67
	s_sub_nc_u64 s[92:93], 0, s[66:67]
	v_add_nc_u64_e32 v[16:17], v[10:11], v[12:13]
	s_delay_alu instid0(SALU_CYCLE_1) | instskip(NEXT) | instid1(SALU_CYCLE_3)
	s_fmamk_f32 s0, s54, 0x4f800000, s0
	v_s_rcp_f32 s0, s0
	s_delay_alu instid0(VALU_DEP_1) | instskip(NEXT) | instid1(VALU_DEP_2)
	v_xor_b32_e32 v22, v17, v12
	v_xor_b32_e32 v18, v16, v12
	s_delay_alu instid0(TRANS32_DEP_1) | instskip(NEXT) | instid1(SALU_CYCLE_3)
	s_mul_f32 s0, s0, 0x5f7ffffc
	s_mul_f32 s54, s0, 0x2f800000
	s_delay_alu instid0(SALU_CYCLE_3) | instskip(NEXT) | instid1(SALU_CYCLE_3)
	s_trunc_f32 s54, s54
	s_fmamk_f32 s0, s54, 0xcf800000, s0
	s_cvt_u32_f32 s91, s54
	s_delay_alu instid0(SALU_CYCLE_2) | instskip(NEXT) | instid1(SALU_CYCLE_3)
	s_cvt_u32_f32 s90, s0
	s_mul_u64 s[94:95], s[92:93], s[90:91]
	s_delay_alu instid0(SALU_CYCLE_1)
	s_mul_hi_u32 s97, s90, s95
	s_mul_i32 s96, s90, s95
	s_mul_hi_u32 s54, s90, s94
	s_mul_i32 s65, s91, s94
	s_add_nc_u64 s[96:97], s[54:55], s[96:97]
	s_mul_hi_u32 s0, s91, s94
	s_mul_hi_u32 s89, s91, s95
	s_add_co_u32 s54, s96, s65
	s_add_co_ci_u32 s54, s97, s0
	s_mul_i32 s94, s91, s95
	s_add_co_ci_u32 s95, s89, 0
	s_delay_alu instid0(SALU_CYCLE_1) | instskip(NEXT) | instid1(SALU_CYCLE_1)
	s_add_nc_u64 s[94:95], s[54:55], s[94:95]
	s_add_co_u32 s90, s90, s94
	s_cselect_b32 s0, -1, 0
	s_delay_alu instid0(SALU_CYCLE_1) | instskip(SKIP_1) | instid1(SALU_CYCLE_1)
	s_cmp_lg_u32 s0, 0
	s_add_co_ci_u32 s91, s91, s95
	s_mul_u64 s[92:93], s[92:93], s[90:91]
	s_delay_alu instid0(SALU_CYCLE_1)
	s_mul_hi_u32 s95, s90, s93
	s_mul_i32 s94, s90, s93
	s_mul_hi_u32 s54, s90, s92
	s_mul_i32 s65, s91, s92
	s_add_nc_u64 s[94:95], s[54:55], s[94:95]
	s_mul_hi_u32 s0, s91, s92
	s_mul_hi_u32 s89, s91, s93
	s_add_co_u32 s54, s94, s65
	s_add_co_ci_u32 s54, s95, s0
	s_mul_i32 s92, s91, s93
	s_add_co_ci_u32 s93, s89, 0
	s_delay_alu instid0(SALU_CYCLE_1) | instskip(NEXT) | instid1(SALU_CYCLE_1)
	s_add_nc_u64 s[92:93], s[54:55], s[92:93]
	s_add_co_u32 s0, s90, s92
	s_cselect_b32 s54, -1, 0
	v_mul_hi_u32 v26, v18, s0
	s_cmp_lg_u32 s54, 0
	s_add_co_ci_u32 s54, s91, s93
	s_and_b64 s[90:91], s[0:1], s[56:57]
	v_mul_u64_e32 v[20:21], s[54:55], v[18:19]
	v_mul_u64_e32 v[16:17], s[90:91], v[22:23]
	v_mul_u64_e32 v[24:25], s[54:55], v[22:23]
	s_delay_alu instid0(VALU_DEP_3) | instskip(NEXT) | instid1(VALU_DEP_1)
	v_add_nc_u64_e32 v[20:21], v[26:27], v[20:21]
	v_add_co_u32 v1, vcc_lo, v20, v16
	s_delay_alu instid0(VALU_DEP_2) | instskip(NEXT) | instid1(VALU_DEP_4)
	v_add_co_ci_u32_e32 v26, vcc_lo, v21, v17, vcc_lo
	v_add_co_ci_u32_e32 v25, vcc_lo, 0, v25, vcc_lo
	s_delay_alu instid0(VALU_DEP_1) | instskip(NEXT) | instid1(VALU_DEP_1)
	v_add_nc_u64_e32 v[16:17], v[26:27], v[24:25]
	v_mul_u64_e32 v[20:21], s[66:67], v[16:17]
	s_delay_alu instid0(VALU_DEP_1) | instskip(NEXT) | instid1(VALU_DEP_2)
	v_sub_nc_u32_e32 v1, v22, v21
	v_sub_co_u32 v3, vcc_lo, v18, v20
	s_delay_alu instid0(VALU_DEP_1) | instskip(NEXT) | instid1(VALU_DEP_3)
	v_sub_co_ci_u32_e64 v9, null, v22, v21, vcc_lo
	v_subrev_co_ci_u32_e64 v1, null, s67, v1, vcc_lo
	s_delay_alu instid0(VALU_DEP_3) | instskip(SKIP_1) | instid1(VALU_DEP_3)
	v_sub_co_u32 v5, s0, v3, s66
	v_add_nc_u64_e32 v[18:19], 2, v[16:17]
	v_subrev_co_ci_u32_e64 v1, null, 0, v1, s0
	s_delay_alu instid0(VALU_DEP_3) | instskip(SKIP_2) | instid1(VALU_DEP_4)
	v_cmp_le_u32_e32 vcc_lo, s66, v5
	v_add_nc_u64_e32 v[20:21], 1, v[16:17]
	v_cndmask_b32_e64 v5, 0, -1, vcc_lo
	v_cmp_le_u32_e32 vcc_lo, s67, v1
	v_cndmask_b32_e64 v13, 0, -1, vcc_lo
	v_cmp_le_u32_e32 vcc_lo, s66, v3
	;; [unrolled: 2-line block ×3, first 2 shown]
	v_cndmask_b32_e64 v15, 0, -1, vcc_lo
	v_cmp_eq_u32_e32 vcc_lo, s67, v1
	v_cndmask_b32_e32 v1, v13, v5, vcc_lo
	v_cmp_eq_u32_e32 vcc_lo, s67, v9
	s_delay_alu instid0(VALU_DEP_4) | instskip(NEXT) | instid1(VALU_DEP_3)
	v_cndmask_b32_e32 v3, v15, v3, vcc_lo
	v_cmp_ne_u32_e32 vcc_lo, 0, v1
	s_delay_alu instid0(VALU_DEP_2) | instskip(SKIP_1) | instid1(VALU_DEP_1)
	v_cmp_ne_u32_e64 s0, 0, v3
	v_dual_cndmask_b32 v1, v21, v19, vcc_lo :: v_dual_cndmask_b32 v3, v20, v18, vcc_lo
	v_dual_cndmask_b32 v1, v17, v1, s0 :: v_dual_bitop2_b32 v12, s64, v12 bitop3:0x14
	s_delay_alu instid0(VALU_DEP_1) | instskip(NEXT) | instid1(VALU_DEP_1)
	v_dual_cndmask_b32 v3, v16, v3, s0 :: v_dual_bitop2_b32 v17, v1, v12 bitop3:0x14
	v_dual_mov_b32 v13, v12 :: v_dual_bitop2_b32 v16, v3, v12 bitop3:0x14
	s_delay_alu instid0(VALU_DEP_1)
	v_sub_nc_u64_e32 v[12:13], v[16:17], v[12:13]
.LBB53_56:                              ;   in Loop: Header=BB53_54 Depth=1
	s_and_not1_saveexec_b32 s0, s87
	s_cbranch_execz .LBB53_53
; %bb.57:                               ;   in Loop: Header=BB53_54 Depth=1
	v_cvt_f32_u32_e32 v1, s62
	s_sub_co_i32 s54, 0, s62
	v_mov_b32_e32 v13, v8
	s_delay_alu instid0(VALU_DEP_2) | instskip(SKIP_1) | instid1(TRANS32_DEP_1)
	v_rcp_iflag_f32_e32 v1, v1
	v_nop
	v_mul_f32_e32 v1, 0x4f7ffffe, v1
	s_delay_alu instid0(VALU_DEP_1) | instskip(NEXT) | instid1(VALU_DEP_1)
	v_cvt_u32_f32_e32 v1, v1
	v_mul_lo_u32 v3, s54, v1
	s_delay_alu instid0(VALU_DEP_1) | instskip(NEXT) | instid1(VALU_DEP_1)
	v_mul_hi_u32 v3, v1, v3
	v_add_nc_u32_e32 v1, v1, v3
	s_delay_alu instid0(VALU_DEP_1) | instskip(NEXT) | instid1(VALU_DEP_1)
	v_mul_hi_u32 v1, v10, v1
	v_mul_lo_u32 v3, v1, s62
	s_delay_alu instid0(VALU_DEP_1) | instskip(NEXT) | instid1(VALU_DEP_1)
	v_dual_add_nc_u32 v5, 1, v1 :: v_dual_sub_nc_u32 v3, v10, v3
	v_subrev_nc_u32_e32 v9, s62, v3
	v_cmp_le_u32_e32 vcc_lo, s62, v3
	s_delay_alu instid0(VALU_DEP_2) | instskip(NEXT) | instid1(VALU_DEP_4)
	v_cndmask_b32_e32 v3, v3, v9, vcc_lo
	v_cndmask_b32_e32 v1, v1, v5, vcc_lo
	s_delay_alu instid0(VALU_DEP_2) | instskip(NEXT) | instid1(VALU_DEP_2)
	v_cmp_le_u32_e32 vcc_lo, s62, v3
	v_add_nc_u32_e32 v5, 1, v1
	s_delay_alu instid0(VALU_DEP_1)
	v_cndmask_b32_e32 v12, v1, v5, vcc_lo
	s_branch .LBB53_53
.LBB53_58:
	s_mov_b32 s55, -1
	s_mov_b32 s49, s45
	s_mov_b32 s0, exec_lo
	v_cmpx_gt_i32_e64 v2, v4
	s_cbranch_execz .LBB53_64
; %bb.59:
	s_delay_alu instid0(VALU_DEP_2) | instskip(SKIP_3) | instid1(VALU_DEP_1)
	v_lshlrev_b64_e32 v[6:7], 2, v[6:7]
	v_dual_ashrrev_i32 v5, 31, v4 :: v_dual_ashrrev_i32 v3, 31, v2
	s_mov_b32 s49, 0
	s_xor_b32 s55, s17, -1
                                        ; implicit-def: $sgpr54
                                        ; implicit-def: $sgpr57
                                        ; implicit-def: $sgpr56
	v_lshl_add_u64 v[4:5], v[4:5], 2, v[6:7]
	v_add_nc_u64_e32 v[6:7], s[30:31], v[6:7]
	s_delay_alu instid0(VALU_DEP_2) | instskip(NEXT) | instid1(VALU_DEP_2)
	v_add_nc_u64_e32 v[4:5], s[30:31], v[4:5]
	v_lshl_add_u64 v[2:3], v[2:3], 2, v[6:7]
	s_delay_alu instid0(VALU_DEP_2)
	v_add_nc_u64_e32 v[4:5], 4, v[4:5]
	s_branch .LBB53_61
.LBB53_60:                              ;   in Loop: Header=BB53_61 Depth=1
	s_or_b32 exec_lo, exec_lo, s58
	s_delay_alu instid0(SALU_CYCLE_1) | instskip(NEXT) | instid1(SALU_CYCLE_1)
	s_and_b32 s58, exec_lo, s57
	s_or_b32 s49, s58, s49
	s_and_not1_b32 s54, s54, exec_lo
	s_and_b32 s58, s56, exec_lo
	s_delay_alu instid0(SALU_CYCLE_1)
	s_or_b32 s54, s54, s58
	s_and_not1_b32 exec_lo, exec_lo, s49
	s_cbranch_execz .LBB53_63
.LBB53_61:                              ; =>This Inner Loop Header: Depth=1
	s_or_b32 s56, s56, exec_lo
	s_or_b32 s57, s57, exec_lo
	s_mov_b32 s58, exec_lo
	s_delay_alu instid0(VALU_DEP_1)
	v_cmpx_lt_u64_e64 v[4:5], v[2:3]
	s_cbranch_execz .LBB53_60
; %bb.62:                               ;   in Loop: Header=BB53_61 Depth=1
	global_load_b64 v[6:7], v[4:5], off offset:-4
	s_wait_xcnt 0x0
	v_add_nc_u64_e32 v[4:5], 4, v[4:5]
	s_and_not1_b32 s57, s57, exec_lo
	s_and_not1_b32 s56, s56, exec_lo
	s_wait_loadcnt 0x0
	v_cmp_ge_i32_e32 vcc_lo, v6, v7
	s_or_b32 s59, s55, vcc_lo
	s_delay_alu instid0(SALU_CYCLE_1) | instskip(NEXT) | instid1(SALU_CYCLE_1)
	s_and_b32 s59, s59, exec_lo
	s_or_b32 s57, s57, s59
	s_branch .LBB53_60
.LBB53_63:
	s_or_b32 exec_lo, exec_lo, s49
	s_delay_alu instid0(SALU_CYCLE_1)
	s_or_b32 s49, s45, exec_lo
	s_or_not1_b32 s55, s54, exec_lo
.LBB53_64:
	s_or_b32 exec_lo, exec_lo, s0
	s_mov_b32 s54, 0
	s_and_saveexec_b32 s0, s55
	s_cbranch_execz .LBB53_66
; %bb.65:
	v_dual_mov_b32 v1, 0 :: v_dual_add_nc_u32 v0, 0x80, v0
	s_mov_b32 s54, exec_lo
	s_and_not1_b32 s49, s49, exec_lo
	global_store_b32 v14, v1, s[4:5]
.LBB53_66:
	s_wait_xcnt 0x0
	s_or_b32 exec_lo, exec_lo, s0
	s_delay_alu instid0(SALU_CYCLE_1)
	s_and_not1_b32 s0, s45, exec_lo
	s_and_b32 s49, s49, exec_lo
	s_and_b32 s54, s54, exec_lo
	s_or_b32 s49, s0, s49
	s_xor_b32 s0, exec_lo, -1
.LBB53_67:
	s_or_b32 exec_lo, exec_lo, s86
	s_delay_alu instid0(SALU_CYCLE_1)
	s_and_not1_b32 s55, s45, exec_lo
	s_and_b32 s49, s49, exec_lo
	s_and_not1_b32 s56, s80, exec_lo
	s_and_b32 s0, s0, exec_lo
	s_or_b32 s55, s55, s49
	s_or_b32 s56, s56, s0
	s_xor_b32 s49, exec_lo, -1
	s_and_b32 s0, s54, exec_lo
.LBB53_68:
	s_or_b32 exec_lo, exec_lo, s85
	s_delay_alu instid0(SALU_CYCLE_1)
	s_and_not1_b32 s54, s45, exec_lo
	s_and_b32 s55, s55, exec_lo
	s_and_b32 s56, s56, exec_lo
	s_or_b32 s55, s54, s55
	s_and_not1_b32 s54, s80, exec_lo
	s_and_not1_b32 s57, s81, exec_lo
	s_and_b32 s49, s49, exec_lo
	s_or_b32 s56, s54, s56
	s_or_b32 s54, s57, s49
	s_xor_b32 s49, exec_lo, -1
	s_and_b32 s0, s0, exec_lo
.LBB53_69:
	s_or_b32 exec_lo, exec_lo, s84
	s_delay_alu instid0(SALU_CYCLE_1)
	s_and_not1_b32 s57, s45, exec_lo
	s_and_b32 s55, s55, exec_lo
	s_and_not1_b32 s58, s80, exec_lo
	s_and_b32 s56, s56, exec_lo
	s_or_b32 s85, s57, s55
	s_or_b32 s86, s58, s56
	s_and_not1_b32 s55, s81, exec_lo
	s_and_b32 s54, s54, exec_lo
	s_and_not1_b32 s56, s82, exec_lo
	s_and_b32 s49, s49, exec_lo
	s_or_b32 s87, s55, s54
	s_or_b32 s84, s56, s49
	s_or_not1_b32 s49, s0, exec_lo
.LBB53_70:
	s_or_b32 exec_lo, exec_lo, s88
	s_mov_b32 s0, 0
                                        ; implicit-def: $vgpr12
                                        ; implicit-def: $vgpr4
                                        ; implicit-def: $vgpr7
                                        ; implicit-def: $vgpr6
                                        ; implicit-def: $vgpr5
	s_and_saveexec_b32 s88, s49
	s_cbranch_execz .LBB53_123
; %bb.71:
	s_mov_b32 s55, -1
	s_mov_b32 s0, s84
	s_mov_b32 s58, s87
	;; [unrolled: 1-line block ×4, first 2 shown]
	s_mov_b32 s89, exec_lo
	v_cmpx_gt_i32_e64 s78, v0
	s_cbranch_execz .LBB53_106
; %bb.72:
	s_and_not1_b32 vcc_lo, exec_lo, s70
	s_cbranch_vccnz .LBB53_78
; %bb.73:
	s_and_not1_b32 vcc_lo, exec_lo, s79
	s_cbranch_vccnz .LBB53_79
; %bb.74:
	v_dual_mov_b32 v6, 0 :: v_dual_mov_b32 v1, v0
	v_dual_mov_b32 v5, 0 :: v_dual_mov_b32 v7, 0
	;; [unrolled: 1-line block ×3, first 2 shown]
	v_mov_b32_e32 v8, 0
	s_add_co_i32 s0, s77, 1
	s_mov_b64 s[54:55], 0xffffffffffffffd0
	s_and_b32 s0, s0, 30
	s_add_nc_u64 s[54:55], s[2:3], s[54:55]
	s_mov_b64 s[56:57], s[2:3]
.LBB53_75:                              ; =>This Inner Loop Header: Depth=1
	s_clause 0x1
	s_load_b128 s[92:95], s[56:57], 0x4
	s_load_b64 s[58:59], s[56:57], 0x14
	s_clause 0x1
	s_load_b256 s[60:67], s[54:55], 0xf4
	s_load_b128 s[96:99], s[54:55], 0x114
	s_add_co_i32 s0, s0, -2
	s_wait_xcnt 0x0
	s_add_nc_u64 s[56:57], s[56:57], 24
	s_cmp_eq_u32 s0, 0
	s_add_nc_u64 s[54:55], s[54:55], 48
	s_wait_kmcnt 0x0
	v_mul_hi_u32 v2, s93, v1
	s_delay_alu instid0(VALU_DEP_1) | instskip(NEXT) | instid1(VALU_DEP_1)
	v_add_nc_u32_e32 v2, v1, v2
	v_lshrrev_b32_e32 v2, s94, v2
	s_delay_alu instid0(VALU_DEP_1) | instskip(SKIP_1) | instid1(VALU_DEP_1)
	v_mul_hi_u32 v3, s58, v2
	v_mul_lo_u32 v9, v2, s92
	v_dual_add_nc_u32 v3, v2, v3 :: v_dual_sub_nc_u32 v9, v1, v9
	s_delay_alu instid0(VALU_DEP_1) | instskip(NEXT) | instid1(VALU_DEP_2)
	v_lshrrev_b32_e32 v1, s59, v3
	v_mad_u32 v3, v9, s61, v8
	v_mad_u32 v10, v9, s60, v14
	;; [unrolled: 1-line block ×4, first 2 shown]
	v_mul_lo_u32 v8, v1, s95
	v_mad_u32 v5, s65, v9, v5
	v_mad_u32 v6, s64, v9, v6
	s_delay_alu instid0(VALU_DEP_3) | instskip(NEXT) | instid1(VALU_DEP_1)
	v_sub_nc_u32_e32 v2, v2, v8
	v_mad_u32 v8, v2, s67, v3
	v_mad_u32 v14, v2, s66, v10
	;; [unrolled: 1-line block ×6, first 2 shown]
	s_cbranch_scc0 .LBB53_75
; %bb.76:
	s_bitcmp1_b32 s77, 0
	s_cselect_b32 s0, -1, 0
	s_delay_alu instid0(SALU_CYCLE_1)
	s_and_b32 vcc_lo, exec_lo, s0
	s_cbranch_vccnz .LBB53_80
; %bb.77:
	s_load_b96 s[60:62], s[56:57], 0x4
	s_wait_kmcnt 0x0
	v_mul_hi_u32 v2, s61, v1
	s_delay_alu instid0(VALU_DEP_1) | instskip(NEXT) | instid1(VALU_DEP_1)
	v_add_nc_u32_e32 v2, v1, v2
	v_lshrrev_b32_e32 v2, s62, v2
	s_clause 0x1
	s_load_b128 s[56:59], s[54:55], 0xf4
	s_load_b64 s[62:63], s[54:55], 0x104
	s_delay_alu instid0(VALU_DEP_1) | instskip(NEXT) | instid1(VALU_DEP_1)
	v_mul_lo_u32 v2, v2, s60
	v_sub_nc_u32_e32 v1, v1, v2
	s_wait_kmcnt 0x0
	s_delay_alu instid0(VALU_DEP_1)
	v_mad_u32 v14, v1, s56, v14
	v_mad_u32 v8, v1, s57, v8
	;; [unrolled: 1-line block ×6, first 2 shown]
	s_branch .LBB53_80
.LBB53_78:
	s_mov_b32 s0, -1
                                        ; implicit-def: $vgpr8
                                        ; implicit-def: $vgpr14
                                        ; implicit-def: $vgpr4
                                        ; implicit-def: $vgpr7
                                        ; implicit-def: $vgpr5
                                        ; implicit-def: $vgpr6
	s_branch .LBB53_81
.LBB53_79:
	v_dual_mov_b32 v8, 0 :: v_dual_mov_b32 v14, 0
	v_dual_mov_b32 v4, 0 :: v_dual_mov_b32 v7, 0
	;; [unrolled: 1-line block ×3, first 2 shown]
.LBB53_80:
	s_mov_b32 s0, 0
.LBB53_81:
	s_delay_alu instid0(SALU_CYCLE_1)
	s_and_not1_b32 vcc_lo, exec_lo, s0
	s_cbranch_vccnz .LBB53_84
; %bb.82:
	v_mov_b32_e32 v1, 0
	s_and_not1_b32 vcc_lo, exec_lo, s76
	s_delay_alu instid0(VALU_DEP_1) | instskip(NEXT) | instid1(VALU_DEP_1)
	v_mul_u64_e32 v[2:3], s[50:51], v[0:1]
	v_add_nc_u32_e32 v2, v0, v3
	s_delay_alu instid0(VALU_DEP_1) | instskip(NEXT) | instid1(VALU_DEP_1)
	v_lshrrev_b32_e32 v2, s46, v2
	v_mul_lo_u32 v3, v2, s44
	s_delay_alu instid0(VALU_DEP_1) | instskip(NEXT) | instid1(VALU_DEP_1)
	v_sub_nc_u32_e32 v3, v0, v3
	v_mul_lo_u32 v8, v3, s21
	v_mul_lo_u32 v14, v3, s20
	;; [unrolled: 1-line block ×6, first 2 shown]
	s_cbranch_vccnz .LBB53_84
; %bb.83:
	v_mov_b32_e32 v3, v1
	s_delay_alu instid0(VALU_DEP_1) | instskip(NEXT) | instid1(VALU_DEP_1)
	v_mul_u64_e32 v[10:11], s[52:53], v[2:3]
	v_add_nc_u32_e32 v1, v2, v11
	s_delay_alu instid0(VALU_DEP_1) | instskip(NEXT) | instid1(VALU_DEP_1)
	v_lshrrev_b32_e32 v1, s1, v1
	v_mul_lo_u32 v1, v1, s47
	s_delay_alu instid0(VALU_DEP_1) | instskip(NEXT) | instid1(VALU_DEP_1)
	v_sub_nc_u32_e32 v1, v2, v1
	v_mad_u32 v14, v1, s26, v14
	v_mad_u32 v8, v1, s27, v8
	v_mad_u32 v7, v1, s40, v7
	v_mad_u32 v4, v1, s41, v4
	v_mad_u32 v6, s42, v1, v6
	v_mad_u32 v5, s43, v1, v5
.LBB53_84:
	global_load_b32 v1, v8, s[6:7]
	s_mov_b32 s54, 0
	s_mov_b32 s0, -1
	s_mov_b32 s55, s87
	s_mov_b32 s57, s86
	s_mov_b32 s56, s85
	s_wait_loadcnt 0x0
	v_cmp_eq_u32_e32 vcc_lo, s72, v1
	s_and_b32 s49, s75, vcc_lo
	s_wait_xcnt 0x0
	s_and_saveexec_b32 s90, s49
	s_cbranch_execz .LBB53_105
; %bb.85:
	global_load_b32 v1, v7, s[8:9]
	s_mov_b32 s49, 0
	s_mov_b32 s54, s86
	;; [unrolled: 1-line block ×3, first 2 shown]
	s_wait_loadcnt 0x0
	v_cmp_eq_u32_e32 vcc_lo, s14, v1
	s_and_b32 s56, s74, vcc_lo
	s_wait_xcnt 0x0
	s_and_saveexec_b32 s91, s56
	s_cbranch_execz .LBB53_104
; %bb.86:
	global_load_b32 v4, v4, s[10:11]
	global_load_b32 v2, v6, s[36:37]
	s_mov_b32 s55, s85
	s_wait_loadcnt 0x0
	v_sub_nc_u32_e32 v1, v2, v4
	s_delay_alu instid0(VALU_DEP_1)
	v_cmp_le_i32_e32 vcc_lo, s72, v1
	v_cmp_ge_i32_e64 s0, s12, v1
	s_and_b32 s54, vcc_lo, s0
	s_mov_b32 s0, -1
	s_and_b32 s54, s73, s54
	s_wait_xcnt 0x0
	s_and_saveexec_b32 s92, s54
	s_cbranch_execz .LBB53_103
; %bb.87:
	v_mov_b64_e32 v[6:7], 0
	s_and_not1_b32 vcc_lo, exec_lo, s13
	s_cbranch_vccnz .LBB53_94
; %bb.88:
	global_load_b32 v6, v5, s[38:39]
	s_mov_b32 s55, 0
	s_mov_b64 s[56:57], 0xffffffff
	s_mov_b32 s49, s55
	v_mov_b32_e32 v8, 0
	s_lshl_b64 s[60:61], s[48:49], 3
	s_mov_b32 s49, s16
	s_add_nc_u64 s[58:59], s[18:19], s[60:61]
	s_add_nc_u64 s[60:61], s[28:29], s[60:61]
	s_wait_loadcnt 0x0
	v_ashrrev_i32_e32 v7, 31, v6
	s_delay_alu instid0(VALU_DEP_1)
	v_mul_u64_e32 v[10:11], s[14:15], v[6:7]
	v_mov_b64_e32 v[6:7], 0
	s_branch .LBB53_90
.LBB53_89:                              ;   in Loop: Header=BB53_90 Depth=1
	s_or_b32 exec_lo, exec_lo, s0
	s_delay_alu instid0(VALU_DEP_1)
	v_mul_u64_e32 v[16:17], s[62:63], v[12:13]
	s_load_b64 s[62:63], s[60:61], 0x0
	s_add_co_i32 s49, s49, -1
	s_add_nc_u64 s[58:59], s[58:59], -8
	s_cmp_lg_u32 s49, 0
	s_wait_xcnt 0x0
	s_add_nc_u64 s[60:61], s[60:61], -8
	s_delay_alu instid0(VALU_DEP_1) | instskip(SKIP_1) | instid1(VALU_DEP_1)
	v_sub_nc_u64_e32 v[10:11], v[10:11], v[16:17]
	s_wait_kmcnt 0x0
	v_mad_nc_u64_u32 v[6:7], v10, s62, v[6:7]
	s_delay_alu instid0(VALU_DEP_1) | instskip(NEXT) | instid1(VALU_DEP_1)
	v_mad_u32 v1, v11, s62, v7
	v_mad_u32 v7, v10, s63, v1
	v_mov_b64_e32 v[10:11], v[12:13]
	s_cbranch_scc0 .LBB53_94
.LBB53_90:                              ; =>This Inner Loop Header: Depth=1
	s_load_b64 s[62:63], s[58:59], 0x0
                                        ; implicit-def: $vgpr12_vgpr13
	s_mov_b32 s0, exec_lo
	s_wait_kmcnt 0x0
	s_delay_alu instid0(VALU_DEP_1) | instskip(NEXT) | instid1(VALU_DEP_1)
	v_or_b32_e32 v9, s63, v11
	v_cmpx_ne_u64_e32 0, v[8:9]
	s_xor_b32 s93, exec_lo, s0
	s_cbranch_execz .LBB53_92
; %bb.91:                               ;   in Loop: Header=BB53_90 Depth=1
	s_ashr_i32 s64, s63, 31
	v_dual_mov_b32 v19, v8 :: v_dual_ashrrev_i32 v12, 31, v11
	s_mov_b32 s65, s64
	v_mov_b32_e32 v23, v8
	s_add_nc_u64 s[66:67], s[62:63], s[64:65]
	s_delay_alu instid0(VALU_DEP_2)
	v_mov_b32_e32 v13, v12
	s_xor_b64 s[66:67], s[66:67], s[64:65]
	v_mov_b32_e32 v27, v8
	s_cvt_f32_u32 s0, s66
	s_cvt_f32_u32 s54, s67
	s_sub_nc_u64 s[96:97], 0, s[66:67]
	v_add_nc_u64_e32 v[16:17], v[10:11], v[12:13]
	s_delay_alu instid0(SALU_CYCLE_1) | instskip(NEXT) | instid1(SALU_CYCLE_3)
	s_fmamk_f32 s0, s54, 0x4f800000, s0
	v_s_rcp_f32 s0, s0
	s_delay_alu instid0(VALU_DEP_1) | instskip(NEXT) | instid1(VALU_DEP_2)
	v_xor_b32_e32 v22, v17, v12
	v_xor_b32_e32 v18, v16, v12
	s_delay_alu instid0(TRANS32_DEP_1) | instskip(NEXT) | instid1(SALU_CYCLE_3)
	s_mul_f32 s0, s0, 0x5f7ffffc
	s_mul_f32 s54, s0, 0x2f800000
	s_delay_alu instid0(SALU_CYCLE_3) | instskip(NEXT) | instid1(SALU_CYCLE_3)
	s_trunc_f32 s54, s54
	s_fmamk_f32 s0, s54, 0xcf800000, s0
	s_cvt_u32_f32 s95, s54
	s_delay_alu instid0(SALU_CYCLE_2) | instskip(NEXT) | instid1(SALU_CYCLE_3)
	s_cvt_u32_f32 s94, s0
	s_mul_u64 s[98:99], s[96:97], s[94:95]
	s_delay_alu instid0(SALU_CYCLE_1)
	s_mul_hi_u32 s101, s94, s99
	s_mul_i32 s100, s94, s99
	s_mul_hi_u32 s54, s94, s98
	s_mul_i32 s65, s95, s98
	s_add_nc_u64 s[100:101], s[54:55], s[100:101]
	s_mul_hi_u32 s0, s95, s98
	s_mul_hi_u32 s102, s95, s99
	s_add_co_u32 s54, s100, s65
	s_add_co_ci_u32 s54, s101, s0
	s_mul_i32 s98, s95, s99
	s_add_co_ci_u32 s99, s102, 0
	s_delay_alu instid0(SALU_CYCLE_1) | instskip(NEXT) | instid1(SALU_CYCLE_1)
	s_add_nc_u64 s[98:99], s[54:55], s[98:99]
	s_add_co_u32 s94, s94, s98
	s_cselect_b32 s0, -1, 0
	s_delay_alu instid0(SALU_CYCLE_1) | instskip(SKIP_1) | instid1(SALU_CYCLE_1)
	s_cmp_lg_u32 s0, 0
	s_add_co_ci_u32 s95, s95, s99
	s_mul_u64 s[96:97], s[96:97], s[94:95]
	s_delay_alu instid0(SALU_CYCLE_1)
	s_mul_hi_u32 s99, s94, s97
	s_mul_i32 s98, s94, s97
	s_mul_hi_u32 s54, s94, s96
	s_mul_i32 s65, s95, s96
	s_add_nc_u64 s[98:99], s[54:55], s[98:99]
	s_mul_hi_u32 s0, s95, s96
	s_mul_hi_u32 s100, s95, s97
	s_add_co_u32 s54, s98, s65
	s_add_co_ci_u32 s54, s99, s0
	s_mul_i32 s96, s95, s97
	s_add_co_ci_u32 s97, s100, 0
	s_delay_alu instid0(SALU_CYCLE_1) | instskip(NEXT) | instid1(SALU_CYCLE_1)
	s_add_nc_u64 s[96:97], s[54:55], s[96:97]
	s_add_co_u32 s0, s94, s96
	s_cselect_b32 s54, -1, 0
	v_mul_hi_u32 v26, v18, s0
	s_cmp_lg_u32 s54, 0
	s_add_co_ci_u32 s54, s95, s97
	s_and_b64 s[94:95], s[0:1], s[56:57]
	v_mul_u64_e32 v[20:21], s[54:55], v[18:19]
	v_mul_u64_e32 v[16:17], s[94:95], v[22:23]
	;; [unrolled: 1-line block ×3, first 2 shown]
	s_delay_alu instid0(VALU_DEP_3) | instskip(NEXT) | instid1(VALU_DEP_1)
	v_add_nc_u64_e32 v[20:21], v[26:27], v[20:21]
	v_add_co_u32 v1, vcc_lo, v20, v16
	s_delay_alu instid0(VALU_DEP_2) | instskip(NEXT) | instid1(VALU_DEP_4)
	v_add_co_ci_u32_e32 v26, vcc_lo, v21, v17, vcc_lo
	v_add_co_ci_u32_e32 v25, vcc_lo, 0, v25, vcc_lo
	s_delay_alu instid0(VALU_DEP_1) | instskip(NEXT) | instid1(VALU_DEP_1)
	v_add_nc_u64_e32 v[16:17], v[26:27], v[24:25]
	v_mul_u64_e32 v[20:21], s[66:67], v[16:17]
	s_delay_alu instid0(VALU_DEP_1) | instskip(NEXT) | instid1(VALU_DEP_2)
	v_sub_nc_u32_e32 v1, v22, v21
	v_sub_co_u32 v3, vcc_lo, v18, v20
	s_delay_alu instid0(VALU_DEP_1) | instskip(NEXT) | instid1(VALU_DEP_3)
	v_sub_co_ci_u32_e64 v9, null, v22, v21, vcc_lo
	v_subrev_co_ci_u32_e64 v1, null, s67, v1, vcc_lo
	s_delay_alu instid0(VALU_DEP_3) | instskip(SKIP_1) | instid1(VALU_DEP_3)
	v_sub_co_u32 v5, s0, v3, s66
	v_add_nc_u64_e32 v[18:19], 2, v[16:17]
	v_subrev_co_ci_u32_e64 v1, null, 0, v1, s0
	s_delay_alu instid0(VALU_DEP_3) | instskip(SKIP_2) | instid1(VALU_DEP_4)
	v_cmp_le_u32_e32 vcc_lo, s66, v5
	v_add_nc_u64_e32 v[20:21], 1, v[16:17]
	v_cndmask_b32_e64 v5, 0, -1, vcc_lo
	v_cmp_le_u32_e32 vcc_lo, s67, v1
	v_cndmask_b32_e64 v13, 0, -1, vcc_lo
	v_cmp_le_u32_e32 vcc_lo, s66, v3
	;; [unrolled: 2-line block ×3, first 2 shown]
	v_cndmask_b32_e64 v15, 0, -1, vcc_lo
	v_cmp_eq_u32_e32 vcc_lo, s67, v1
	v_cndmask_b32_e32 v1, v13, v5, vcc_lo
	v_cmp_eq_u32_e32 vcc_lo, s67, v9
	s_delay_alu instid0(VALU_DEP_4) | instskip(NEXT) | instid1(VALU_DEP_3)
	v_cndmask_b32_e32 v3, v15, v3, vcc_lo
	v_cmp_ne_u32_e32 vcc_lo, 0, v1
	s_delay_alu instid0(VALU_DEP_2) | instskip(SKIP_1) | instid1(VALU_DEP_1)
	v_cmp_ne_u32_e64 s0, 0, v3
	v_dual_cndmask_b32 v1, v21, v19, vcc_lo :: v_dual_cndmask_b32 v3, v20, v18, vcc_lo
	v_dual_cndmask_b32 v1, v17, v1, s0 :: v_dual_bitop2_b32 v12, s64, v12 bitop3:0x14
	s_delay_alu instid0(VALU_DEP_1) | instskip(NEXT) | instid1(VALU_DEP_1)
	v_dual_cndmask_b32 v3, v16, v3, s0 :: v_dual_bitop2_b32 v17, v1, v12 bitop3:0x14
	v_dual_mov_b32 v13, v12 :: v_dual_bitop2_b32 v16, v3, v12 bitop3:0x14
	s_delay_alu instid0(VALU_DEP_1)
	v_sub_nc_u64_e32 v[12:13], v[16:17], v[12:13]
.LBB53_92:                              ;   in Loop: Header=BB53_90 Depth=1
	s_and_not1_saveexec_b32 s0, s93
	s_cbranch_execz .LBB53_89
; %bb.93:                               ;   in Loop: Header=BB53_90 Depth=1
	v_cvt_f32_u32_e32 v1, s62
	s_sub_co_i32 s54, 0, s62
	v_mov_b32_e32 v13, v8
	s_delay_alu instid0(VALU_DEP_2) | instskip(SKIP_1) | instid1(TRANS32_DEP_1)
	v_rcp_iflag_f32_e32 v1, v1
	v_nop
	v_mul_f32_e32 v1, 0x4f7ffffe, v1
	s_delay_alu instid0(VALU_DEP_1) | instskip(NEXT) | instid1(VALU_DEP_1)
	v_cvt_u32_f32_e32 v1, v1
	v_mul_lo_u32 v3, s54, v1
	s_delay_alu instid0(VALU_DEP_1) | instskip(NEXT) | instid1(VALU_DEP_1)
	v_mul_hi_u32 v3, v1, v3
	v_add_nc_u32_e32 v1, v1, v3
	s_delay_alu instid0(VALU_DEP_1) | instskip(NEXT) | instid1(VALU_DEP_1)
	v_mul_hi_u32 v1, v10, v1
	v_mul_lo_u32 v3, v1, s62
	s_delay_alu instid0(VALU_DEP_1) | instskip(NEXT) | instid1(VALU_DEP_1)
	v_dual_add_nc_u32 v5, 1, v1 :: v_dual_sub_nc_u32 v3, v10, v3
	v_subrev_nc_u32_e32 v9, s62, v3
	v_cmp_le_u32_e32 vcc_lo, s62, v3
	s_delay_alu instid0(VALU_DEP_2) | instskip(NEXT) | instid1(VALU_DEP_4)
	v_cndmask_b32_e32 v3, v3, v9, vcc_lo
	v_cndmask_b32_e32 v1, v1, v5, vcc_lo
	s_delay_alu instid0(VALU_DEP_2) | instskip(NEXT) | instid1(VALU_DEP_2)
	v_cmp_le_u32_e32 vcc_lo, s62, v3
	v_add_nc_u32_e32 v5, 1, v1
	s_delay_alu instid0(VALU_DEP_1)
	v_cndmask_b32_e32 v12, v1, v5, vcc_lo
	s_branch .LBB53_89
.LBB53_94:
	s_mov_b32 s55, -1
	s_mov_b32 s49, s85
	s_mov_b32 s0, exec_lo
	v_cmpx_gt_i32_e64 v2, v4
	s_cbranch_execz .LBB53_100
; %bb.95:
	s_delay_alu instid0(VALU_DEP_2) | instskip(SKIP_3) | instid1(VALU_DEP_1)
	v_lshlrev_b64_e32 v[6:7], 2, v[6:7]
	v_dual_ashrrev_i32 v5, 31, v4 :: v_dual_ashrrev_i32 v3, 31, v2
	s_mov_b32 s49, 0
	s_xor_b32 s55, s17, -1
                                        ; implicit-def: $sgpr54
                                        ; implicit-def: $sgpr57
                                        ; implicit-def: $sgpr56
	v_lshl_add_u64 v[4:5], v[4:5], 2, v[6:7]
	v_add_nc_u64_e32 v[6:7], s[30:31], v[6:7]
	s_delay_alu instid0(VALU_DEP_2) | instskip(NEXT) | instid1(VALU_DEP_2)
	v_add_nc_u64_e32 v[4:5], s[30:31], v[4:5]
	v_lshl_add_u64 v[2:3], v[2:3], 2, v[6:7]
	s_delay_alu instid0(VALU_DEP_2)
	v_add_nc_u64_e32 v[4:5], 4, v[4:5]
	s_branch .LBB53_97
.LBB53_96:                              ;   in Loop: Header=BB53_97 Depth=1
	s_or_b32 exec_lo, exec_lo, s58
	s_delay_alu instid0(SALU_CYCLE_1) | instskip(NEXT) | instid1(SALU_CYCLE_1)
	s_and_b32 s58, exec_lo, s57
	s_or_b32 s49, s58, s49
	s_and_not1_b32 s54, s54, exec_lo
	s_and_b32 s58, s56, exec_lo
	s_delay_alu instid0(SALU_CYCLE_1)
	s_or_b32 s54, s54, s58
	s_and_not1_b32 exec_lo, exec_lo, s49
	s_cbranch_execz .LBB53_99
.LBB53_97:                              ; =>This Inner Loop Header: Depth=1
	s_or_b32 s56, s56, exec_lo
	s_or_b32 s57, s57, exec_lo
	s_mov_b32 s58, exec_lo
	s_delay_alu instid0(VALU_DEP_1)
	v_cmpx_lt_u64_e64 v[4:5], v[2:3]
	s_cbranch_execz .LBB53_96
; %bb.98:                               ;   in Loop: Header=BB53_97 Depth=1
	global_load_b64 v[6:7], v[4:5], off offset:-4
	s_wait_xcnt 0x0
	v_add_nc_u64_e32 v[4:5], 4, v[4:5]
	s_and_not1_b32 s57, s57, exec_lo
	s_and_not1_b32 s56, s56, exec_lo
	s_wait_loadcnt 0x0
	v_cmp_ge_i32_e32 vcc_lo, v6, v7
	s_or_b32 s59, s55, vcc_lo
	s_delay_alu instid0(SALU_CYCLE_1) | instskip(NEXT) | instid1(SALU_CYCLE_1)
	s_and_b32 s59, s59, exec_lo
	s_or_b32 s57, s57, s59
	s_branch .LBB53_96
.LBB53_99:
	s_or_b32 exec_lo, exec_lo, s49
	s_delay_alu instid0(SALU_CYCLE_1)
	s_or_b32 s49, s85, exec_lo
	s_or_not1_b32 s55, s54, exec_lo
.LBB53_100:
	s_or_b32 exec_lo, exec_lo, s0
	s_mov_b32 s54, 0
	s_and_saveexec_b32 s0, s55
	s_cbranch_execz .LBB53_102
; %bb.101:
	v_dual_mov_b32 v1, 0 :: v_dual_add_nc_u32 v0, 0x80, v0
	s_mov_b32 s54, exec_lo
	s_and_not1_b32 s49, s49, exec_lo
	global_store_b32 v14, v1, s[4:5]
.LBB53_102:
	s_wait_xcnt 0x0
	s_or_b32 exec_lo, exec_lo, s0
	s_delay_alu instid0(SALU_CYCLE_1) | instskip(SKIP_1) | instid1(SALU_CYCLE_1)
	s_and_not1_b32 s0, s85, exec_lo
	s_and_b32 s49, s49, exec_lo
	s_or_b32 s55, s0, s49
	s_xor_b32 s0, exec_lo, -1
	s_and_b32 s49, s54, exec_lo
.LBB53_103:
	s_or_b32 exec_lo, exec_lo, s92
	s_delay_alu instid0(SALU_CYCLE_1)
	s_and_not1_b32 s54, s85, exec_lo
	s_and_b32 s55, s55, exec_lo
	s_and_not1_b32 s56, s86, exec_lo
	s_and_b32 s0, s0, exec_lo
	s_or_b32 s55, s54, s55
	s_or_b32 s54, s56, s0
	s_xor_b32 s0, exec_lo, -1
	s_and_b32 s49, s49, exec_lo
.LBB53_104:
	s_or_b32 exec_lo, exec_lo, s91
	s_delay_alu instid0(SALU_CYCLE_1)
	s_and_not1_b32 s56, s85, exec_lo
	s_and_b32 s55, s55, exec_lo
	s_and_b32 s54, s54, exec_lo
	s_or_b32 s56, s56, s55
	s_and_not1_b32 s55, s86, exec_lo
	s_and_not1_b32 s58, s87, exec_lo
	s_and_b32 s0, s0, exec_lo
	s_or_b32 s57, s55, s54
	s_or_b32 s55, s58, s0
	s_xor_b32 s0, exec_lo, -1
	s_and_b32 s54, s49, exec_lo
.LBB53_105:
	s_or_b32 exec_lo, exec_lo, s90
	s_delay_alu instid0(SALU_CYCLE_1)
	s_and_not1_b32 s49, s85, exec_lo
	s_and_b32 s56, s56, exec_lo
	s_and_not1_b32 s58, s86, exec_lo
	s_and_b32 s57, s57, exec_lo
	s_or_b32 s59, s49, s56
	s_or_b32 s49, s58, s57
	s_and_not1_b32 s56, s87, exec_lo
	s_and_b32 s55, s55, exec_lo
	s_and_not1_b32 s57, s84, exec_lo
	s_and_b32 s0, s0, exec_lo
	s_or_b32 s58, s56, s55
	s_or_b32 s0, s57, s0
	s_or_not1_b32 s55, s54, exec_lo
.LBB53_106:
	s_or_b32 exec_lo, exec_lo, s89
	s_mov_b32 s54, 0
                                        ; implicit-def: $vgpr12
                                        ; implicit-def: $vgpr4
                                        ; implicit-def: $vgpr7
                                        ; implicit-def: $vgpr6
                                        ; implicit-def: $vgpr5
	s_and_saveexec_b32 s60, s55
	s_cbranch_execz .LBB53_122
; %bb.107:
	s_mov_b32 s55, s0
	s_mov_b32 s61, exec_lo
                                        ; implicit-def: $vgpr12
                                        ; implicit-def: $vgpr4
                                        ; implicit-def: $vgpr7
                                        ; implicit-def: $vgpr6
                                        ; implicit-def: $vgpr5
	v_cmpx_gt_i32_e64 s78, v0
	s_cbranch_execz .LBB53_121
; %bb.108:
	s_and_not1_b32 vcc_lo, exec_lo, s70
	s_cbranch_vccnz .LBB53_114
; %bb.109:
	s_and_not1_b32 vcc_lo, exec_lo, s79
	s_cbranch_vccnz .LBB53_115
; %bb.110:
	v_dual_mov_b32 v5, 0 :: v_dual_mov_b32 v1, v0
	v_dual_mov_b32 v6, 0 :: v_dual_mov_b32 v7, 0
	;; [unrolled: 1-line block ×3, first 2 shown]
	v_mov_b32_e32 v8, 0
	s_add_co_i32 s56, s77, 1
	s_mov_b64 s[54:55], 0xffffffffffffffd0
	s_and_b32 s62, s56, 30
	s_add_nc_u64 s[54:55], s[2:3], s[54:55]
	s_mov_b64 s[56:57], s[2:3]
.LBB53_111:                             ; =>This Inner Loop Header: Depth=1
	s_clause 0x1
	s_load_b128 s[64:67], s[56:57], 0x4
	s_load_b64 s[78:79], s[56:57], 0x14
	s_clause 0x1
	s_load_b256 s[92:99], s[54:55], 0xf4
	s_load_b128 s[100:103], s[54:55], 0x114
	s_add_co_i32 s62, s62, -2
	s_wait_xcnt 0x0
	s_add_nc_u64 s[56:57], s[56:57], 24
	s_cmp_eq_u32 s62, 0
	s_add_nc_u64 s[54:55], s[54:55], 48
	s_wait_kmcnt 0x0
	v_mul_hi_u32 v2, s65, v1
	s_delay_alu instid0(VALU_DEP_1) | instskip(NEXT) | instid1(VALU_DEP_1)
	v_add_nc_u32_e32 v2, v1, v2
	v_lshrrev_b32_e32 v2, s66, v2
	s_delay_alu instid0(VALU_DEP_1) | instskip(SKIP_1) | instid1(VALU_DEP_1)
	v_mul_hi_u32 v3, s78, v2
	v_mul_lo_u32 v9, v2, s64
	v_dual_add_nc_u32 v3, v2, v3 :: v_dual_sub_nc_u32 v9, v1, v9
	s_delay_alu instid0(VALU_DEP_1) | instskip(NEXT) | instid1(VALU_DEP_2)
	v_lshrrev_b32_e32 v1, s79, v3
	v_mad_u32 v3, v9, s93, v8
	v_mad_u32 v10, v9, s92, v12
	;; [unrolled: 1-line block ×4, first 2 shown]
	v_mul_lo_u32 v8, v1, s67
	v_mad_u32 v6, s97, v9, v6
	v_mad_u32 v5, s96, v9, v5
	s_delay_alu instid0(VALU_DEP_3) | instskip(NEXT) | instid1(VALU_DEP_1)
	v_sub_nc_u32_e32 v2, v2, v8
	v_mad_u32 v8, v2, s99, v3
	v_mad_u32 v12, v2, s98, v10
	;; [unrolled: 1-line block ×6, first 2 shown]
	s_cbranch_scc0 .LBB53_111
; %bb.112:
	s_bitcmp1_b32 s77, 0
	s_cselect_b32 s62, -1, 0
	s_delay_alu instid0(SALU_CYCLE_1)
	s_and_b32 vcc_lo, exec_lo, s62
	s_cbranch_vccnz .LBB53_116
; %bb.113:
	s_load_b96 s[92:94], s[56:57], 0x4
	s_load_b128 s[64:67], s[54:55], 0xf4
	s_wait_xcnt 0x0
	s_load_b64 s[56:57], s[54:55], 0x104
	s_wait_kmcnt 0x0
	v_mul_hi_u32 v2, s93, v1
	s_delay_alu instid0(VALU_DEP_1) | instskip(NEXT) | instid1(VALU_DEP_1)
	v_add_nc_u32_e32 v2, v1, v2
	v_lshrrev_b32_e32 v2, s94, v2
	s_delay_alu instid0(VALU_DEP_1) | instskip(NEXT) | instid1(VALU_DEP_1)
	v_mul_lo_u32 v2, v2, s92
	v_sub_nc_u32_e32 v1, v1, v2
	s_delay_alu instid0(VALU_DEP_1)
	v_mad_u32 v12, v1, s64, v12
	v_mad_u32 v8, v1, s65, v8
	;; [unrolled: 1-line block ×6, first 2 shown]
	s_branch .LBB53_116
.LBB53_114:
	s_mov_b32 s54, -1
                                        ; implicit-def: $vgpr8
                                        ; implicit-def: $vgpr12
                                        ; implicit-def: $vgpr4
                                        ; implicit-def: $vgpr7
                                        ; implicit-def: $vgpr6
                                        ; implicit-def: $vgpr5
	s_branch .LBB53_117
.LBB53_115:
	v_dual_mov_b32 v8, 0 :: v_dual_mov_b32 v12, 0
	v_dual_mov_b32 v4, 0 :: v_dual_mov_b32 v7, 0
	;; [unrolled: 1-line block ×3, first 2 shown]
.LBB53_116:
	s_mov_b32 s54, 0
.LBB53_117:
	s_delay_alu instid0(SALU_CYCLE_1)
	s_and_not1_b32 vcc_lo, exec_lo, s54
	s_cbranch_vccnz .LBB53_120
; %bb.118:
	v_mov_b32_e32 v1, 0
	s_and_not1_b32 vcc_lo, exec_lo, s76
	s_delay_alu instid0(VALU_DEP_1) | instskip(NEXT) | instid1(VALU_DEP_1)
	v_mul_u64_e32 v[2:3], s[50:51], v[0:1]
	v_add_nc_u32_e32 v2, v0, v3
	s_delay_alu instid0(VALU_DEP_1) | instskip(NEXT) | instid1(VALU_DEP_1)
	v_lshrrev_b32_e32 v2, s46, v2
	v_mul_lo_u32 v3, v2, s44
	s_delay_alu instid0(VALU_DEP_1) | instskip(NEXT) | instid1(VALU_DEP_1)
	v_sub_nc_u32_e32 v0, v0, v3
	v_mul_lo_u32 v8, v0, s21
	v_mul_lo_u32 v12, v0, s20
	;; [unrolled: 1-line block ×6, first 2 shown]
	s_cbranch_vccnz .LBB53_120
; %bb.119:
	v_mov_b32_e32 v3, v1
	s_delay_alu instid0(VALU_DEP_1) | instskip(NEXT) | instid1(VALU_DEP_1)
	v_mul_u64_e32 v[0:1], s[52:53], v[2:3]
	v_add_nc_u32_e32 v0, v2, v1
	s_delay_alu instid0(VALU_DEP_1) | instskip(NEXT) | instid1(VALU_DEP_1)
	v_lshrrev_b32_e32 v0, s1, v0
	v_mul_lo_u32 v0, v0, s47
	s_delay_alu instid0(VALU_DEP_1) | instskip(NEXT) | instid1(VALU_DEP_1)
	v_sub_nc_u32_e32 v0, v2, v0
	v_mad_u32 v12, v0, s26, v12
	v_mad_u32 v8, v0, s27, v8
	;; [unrolled: 1-line block ×6, first 2 shown]
.LBB53_120:
	global_load_b32 v0, v8, s[6:7]
	s_xor_b32 s1, s75, -1
	s_wait_xcnt 0x0
	s_and_not1_b32 s6, s0, exec_lo
	s_mov_b32 s54, exec_lo
	s_wait_loadcnt 0x0
	v_cmp_ne_u32_e32 vcc_lo, s72, v0
	s_or_b32 s1, s1, vcc_lo
	s_delay_alu instid0(SALU_CYCLE_1) | instskip(NEXT) | instid1(SALU_CYCLE_1)
	s_and_b32 s1, s1, exec_lo
	s_or_b32 s55, s6, s1
.LBB53_121:
	s_or_b32 exec_lo, exec_lo, s61
	s_delay_alu instid0(SALU_CYCLE_1)
	s_and_not1_b32 s0, s0, exec_lo
	s_and_b32 s1, s55, exec_lo
	s_and_b32 s54, s54, exec_lo
	s_or_b32 s0, s0, s1
.LBB53_122:
	s_or_b32 exec_lo, exec_lo, s60
	s_delay_alu instid0(SALU_CYCLE_1)
	s_and_not1_b32 s1, s85, exec_lo
	s_and_b32 s6, s59, exec_lo
	s_and_not1_b32 s7, s87, exec_lo
	s_or_b32 s85, s1, s6
	s_and_not1_b32 s1, s86, exec_lo
	s_and_b32 s6, s49, exec_lo
	s_and_b32 s20, s58, exec_lo
	s_or_b32 s86, s1, s6
	s_and_not1_b32 s1, s84, exec_lo
	s_and_b32 s6, s0, exec_lo
	s_or_b32 s87, s7, s20
	s_and_b32 s0, s54, exec_lo
	s_or_b32 s84, s1, s6
.LBB53_123:
	s_or_b32 exec_lo, exec_lo, s88
	s_delay_alu instid0(SALU_CYCLE_1)
	s_and_not1_b32 s1, s45, exec_lo
	s_and_b32 s6, s85, exec_lo
	s_and_not1_b32 s7, s81, exec_lo
	s_or_b32 s45, s1, s6
	s_and_not1_b32 s1, s80, exec_lo
	s_and_b32 s6, s86, exec_lo
	s_and_b32 s20, s87, exec_lo
	s_or_b32 s80, s1, s6
	s_and_not1_b32 s1, s82, exec_lo
	s_and_b32 s6, s84, exec_lo
	s_or_b32 s81, s7, s20
	s_and_b32 s51, s0, exec_lo
	s_or_b32 s82, s1, s6
.LBB53_124:
	s_or_b32 exec_lo, exec_lo, s83
	s_mov_b32 s0, 0
	s_mov_b32 s1, 0
	s_and_saveexec_b32 s6, s82
	s_cbranch_execnz .LBB53_128
; %bb.125:
	s_or_b32 exec_lo, exec_lo, s6
	s_and_saveexec_b32 s6, s51
	s_delay_alu instid0(SALU_CYCLE_1)
	s_xor_b32 s6, exec_lo, s6
	s_cbranch_execz .LBB53_129
.LBB53_126:
	global_load_b32 v0, v7, s[8:9]
	s_xor_b32 s7, s74, -1
	s_wait_xcnt 0x0
	s_and_not1_b32 s8, s81, exec_lo
	s_mov_b32 s0, exec_lo
	s_wait_loadcnt 0x0
	v_cmp_ne_u32_e32 vcc_lo, s14, v0
	s_or_b32 s7, s7, vcc_lo
	s_delay_alu instid0(SALU_CYCLE_1) | instskip(NEXT) | instid1(SALU_CYCLE_1)
	s_and_b32 s7, s7, exec_lo
	s_or_b32 s81, s8, s7
	s_or_b32 exec_lo, exec_lo, s6
	s_and_saveexec_b32 s6, s81
	s_cbranch_execz .LBB53_130
.LBB53_127:
	s_or_b32 s1, s1, exec_lo
	s_and_not1_b32 s0, s0, exec_lo
	s_trap 2
	s_branch .LBB53_130
.LBB53_128:
	s_mov_b32 s1, exec_lo
	s_and_not1_b32 s51, s51, exec_lo
	s_trap 2
	s_or_b32 exec_lo, exec_lo, s6
	s_and_saveexec_b32 s6, s51
	s_delay_alu instid0(SALU_CYCLE_1)
	s_xor_b32 s6, exec_lo, s6
	s_cbranch_execnz .LBB53_126
.LBB53_129:
	s_or_b32 exec_lo, exec_lo, s6
	s_and_saveexec_b32 s6, s81
	s_cbranch_execnz .LBB53_127
.LBB53_130:
	s_or_b32 exec_lo, exec_lo, s6
	s_mov_b32 s6, 0
                                        ; implicit-def: $vgpr0
                                        ; implicit-def: $vgpr2
	s_and_saveexec_b32 s7, s0
	s_delay_alu instid0(SALU_CYCLE_1)
	s_xor_b32 s7, exec_lo, s7
	s_cbranch_execz .LBB53_147
; %bb.131:
	global_load_b32 v2, v4, s[10:11]
	global_load_b32 v0, v5, s[36:37]
	s_and_not1_b32 s8, s80, exec_lo
	s_mov_b32 s6, exec_lo
	s_wait_loadcnt 0x0
	v_sub_nc_u32_e32 v1, v0, v2
	s_delay_alu instid0(VALU_DEP_1) | instskip(SKIP_2) | instid1(SALU_CYCLE_1)
	v_cmp_le_i32_e32 vcc_lo, s72, v1
	v_cmp_ge_i32_e64 s0, s12, v1
	s_and_b32 s0, vcc_lo, s0
	s_and_b32 s0, s73, s0
	s_delay_alu instid0(SALU_CYCLE_1) | instskip(NEXT) | instid1(SALU_CYCLE_1)
	s_xor_b32 s0, s0, -1
	s_and_b32 s0, s0, exec_lo
	s_delay_alu instid0(SALU_CYCLE_1)
	s_or_b32 s80, s8, s0
	s_wait_xcnt 0x0
	s_or_b32 exec_lo, exec_lo, s7
	s_and_saveexec_b32 s0, s80
	s_cbranch_execz .LBB53_148
.LBB53_132:
	s_or_b32 s1, s1, exec_lo
	s_and_not1_b32 s6, s6, exec_lo
	s_trap 2
	s_or_b32 exec_lo, exec_lo, s0
	s_mov_b32 s0, 0
	s_and_saveexec_b32 s20, s6
	s_cbranch_execnz .LBB53_149
.LBB53_133:
	s_or_b32 exec_lo, exec_lo, s20
	s_and_saveexec_b32 s6, s45
	s_cbranch_execnz .LBB53_167
.LBB53_134:
	s_or_b32 exec_lo, exec_lo, s6
	s_and_saveexec_b32 s6, s0
	s_delay_alu instid0(SALU_CYCLE_1)
	s_xor_b32 s0, exec_lo, s6
	s_cbranch_execz .LBB53_136
.LBB53_135:
	v_mov_b32_e32 v0, 0
	global_store_b32 v12, v0, s[4:5]
.LBB53_136:
	s_wait_xcnt 0x0
	s_or_b32 exec_lo, exec_lo, s0
	s_delay_alu instid0(SALU_CYCLE_1)
	s_and_b32 s38, s1, exec_lo
                                        ; implicit-def: $vgpr5
                                        ; implicit-def: $vgpr0
.LBB53_137:
	s_or_saveexec_b32 s39, s71
                                        ; implicit-def: $sgpr4_sgpr5_sgpr6_sgpr7
                                        ; implicit-def: $vgpr15
                                        ; implicit-def: $vgpr14
                                        ; implicit-def: $vgpr13
                                        ; implicit-def: $vgpr12
	s_delay_alu instid0(SALU_CYCLE_1)
	s_xor_b32 exec_lo, exec_lo, s39
	s_cbranch_execz .LBB53_144
; %bb.138:
	v_cndmask_b32_e64 v7, 0, 1, s70
	s_and_not1_b32 vcc_lo, exec_lo, s70
	s_cbranch_vccnz .LBB53_156
; %bb.139:
	s_cmp_lg_u32 s33, 0
	s_mov_b32 s6, 0
	s_cbranch_scc0 .LBB53_168
; %bb.140:
	s_min_u32 s7, s68, 15
	v_dual_mov_b32 v3, 0 :: v_dual_mov_b32 v8, v0
	v_dual_mov_b32 v1, 0 :: v_dual_mov_b32 v2, 0
	;; [unrolled: 1-line block ×3, first 2 shown]
	v_mov_b32_e32 v6, 0
	s_add_co_i32 s4, s7, 1
	s_mov_b64 s[0:1], 0xffffffffffffffd0
	s_and_b32 s8, s4, 30
	s_add_nc_u64 s[0:1], s[2:3], s[0:1]
	s_mov_b64 s[4:5], s[2:3]
.LBB53_141:                             ; =>This Inner Loop Header: Depth=1
	s_clause 0x1
	s_load_b128 s[20:23], s[4:5], 0x4
	s_load_b64 s[10:11], s[4:5], 0x14
	s_clause 0x1
	s_load_b256 s[12:19], s[0:1], 0xf4
	s_load_b128 s[24:27], s[0:1], 0x114
	s_add_co_i32 s8, s8, -2
	s_wait_xcnt 0x0
	s_add_nc_u64 s[4:5], s[4:5], 24
	s_cmp_lg_u32 s8, 0
	s_add_nc_u64 s[0:1], s[0:1], 48
	s_wait_kmcnt 0x0
	v_mul_hi_u32 v9, s21, v8
	s_delay_alu instid0(VALU_DEP_1) | instskip(NEXT) | instid1(VALU_DEP_1)
	v_add_nc_u32_e32 v9, v8, v9
	v_lshrrev_b32_e32 v9, s22, v9
	s_delay_alu instid0(VALU_DEP_1) | instskip(SKIP_1) | instid1(VALU_DEP_1)
	v_mul_hi_u32 v10, s10, v9
	v_mul_lo_u32 v11, v9, s20
	v_dual_add_nc_u32 v10, v9, v10 :: v_dual_sub_nc_u32 v11, v8, v11
	s_delay_alu instid0(VALU_DEP_1) | instskip(NEXT) | instid1(VALU_DEP_2)
	v_lshrrev_b32_e32 v8, s11, v10
	v_mad_u32 v6, v11, s13, v6
	v_mad_u32 v12, v11, s12, v12
	;; [unrolled: 1-line block ×4, first 2 shown]
	v_mul_lo_u32 v10, v8, s23
	v_mad_u32 v1, s17, v11, v1
	v_mad_u32 v3, s16, v11, v3
	s_delay_alu instid0(VALU_DEP_3) | instskip(NEXT) | instid1(VALU_DEP_1)
	v_sub_nc_u32_e32 v9, v9, v10
	v_mad_u32 v6, v9, s19, v6
	v_mad_u32 v12, v9, s18, v12
	;; [unrolled: 1-line block ×6, first 2 shown]
	s_cbranch_scc1 .LBB53_141
; %bb.142:
	s_bitcmp1_b32 s7, 0
	s_cselect_b32 s7, -1, 0
	s_delay_alu instid0(SALU_CYCLE_1)
	s_and_b32 vcc_lo, exec_lo, s7
	s_cbranch_vccnz .LBB53_157
; %bb.143:
	s_load_b96 s[12:14], s[4:5], 0x4
	s_load_b128 s[8:11], s[0:1], 0xf4
	s_wait_xcnt 0x0
	s_load_b64 s[4:5], s[0:1], 0x104
	s_wait_kmcnt 0x0
	v_mul_hi_u32 v9, s13, v8
	s_delay_alu instid0(VALU_DEP_1) | instskip(NEXT) | instid1(VALU_DEP_1)
	v_add_nc_u32_e32 v9, v8, v9
	v_lshrrev_b32_e32 v9, s14, v9
	s_delay_alu instid0(VALU_DEP_1) | instskip(NEXT) | instid1(VALU_DEP_1)
	v_mul_lo_u32 v9, v9, s12
	v_sub_nc_u32_e32 v8, v8, v9
	s_delay_alu instid0(VALU_DEP_1)
	v_mad_u32 v12, v8, s8, v12
	v_mad_u32 v6, v8, s9, v6
	;; [unrolled: 1-line block ×6, first 2 shown]
	s_and_not1_b32 vcc_lo, exec_lo, s6
	s_cbranch_vccz .LBB53_158
	s_branch .LBB53_169
.LBB53_144:
	s_or_b32 exec_lo, exec_lo, s39
	s_and_saveexec_b32 s0, s38
	s_cbranch_execz .LBB53_308
.LBB53_145:
	; divergent unreachable
	s_or_b32 exec_lo, exec_lo, s0
	s_and_saveexec_b32 s0, s69
	s_cbranch_execnz .LBB53_309
.LBB53_146:
	s_endpgm
.LBB53_147:
	s_or_b32 exec_lo, exec_lo, s7
	s_and_saveexec_b32 s0, s80
	s_cbranch_execnz .LBB53_132
.LBB53_148:
	s_or_b32 exec_lo, exec_lo, s0
	s_mov_b32 s0, 0
	s_and_saveexec_b32 s20, s6
	s_cbranch_execz .LBB53_133
.LBB53_149:
	v_mov_b64_e32 v[4:5], 0
	s_and_not1_b32 vcc_lo, exec_lo, s13
	s_cbranch_vccnz .LBB53_160
; %bb.150:
	global_load_b32 v4, v6, s[38:39]
	s_mov_b32 s49, 0
	s_mov_b64 s[6:7], 0xffffffff
	s_lshl_b64 s[10:11], s[48:49], 3
	s_wait_xcnt 0x0
	v_mov_b32_e32 v6, 0
	s_add_nc_u64 s[8:9], s[18:19], s[10:11]
	s_add_nc_u64 s[10:11], s[28:29], s[10:11]
	s_wait_loadcnt 0x0
	v_ashrrev_i32_e32 v5, 31, v4
	s_delay_alu instid0(VALU_DEP_1)
	v_mul_u64_e32 v[8:9], s[14:15], v[4:5]
	v_mov_b64_e32 v[4:5], 0
	s_branch .LBB53_152
.LBB53_151:                             ;   in Loop: Header=BB53_152 Depth=1
	s_or_b32 exec_lo, exec_lo, s0
	s_delay_alu instid0(VALU_DEP_1)
	v_mul_u64_e32 v[14:15], s[12:13], v[10:11]
	s_load_b64 s[12:13], s[10:11], 0x0
	s_add_co_i32 s16, s16, -1
	s_add_nc_u64 s[8:9], s[8:9], -8
	s_cmp_lg_u32 s16, 0
	s_wait_xcnt 0x0
	s_add_nc_u64 s[10:11], s[10:11], -8
	s_delay_alu instid0(VALU_DEP_1) | instskip(SKIP_1) | instid1(VALU_DEP_1)
	v_sub_nc_u64_e32 v[8:9], v[8:9], v[14:15]
	s_wait_kmcnt 0x0
	v_mad_nc_u64_u32 v[4:5], v8, s12, v[4:5]
	s_delay_alu instid0(VALU_DEP_1) | instskip(NEXT) | instid1(VALU_DEP_1)
	v_mad_u32 v1, v9, s12, v5
	v_mad_u32 v5, v8, s13, v1
	v_mov_b64_e32 v[8:9], v[10:11]
	s_cbranch_scc0 .LBB53_160
.LBB53_152:                             ; =>This Inner Loop Header: Depth=1
	s_load_b64 s[12:13], s[8:9], 0x0
                                        ; implicit-def: $vgpr10_vgpr11
	s_mov_b32 s0, exec_lo
	s_wait_kmcnt 0x0
	s_delay_alu instid0(VALU_DEP_1) | instskip(NEXT) | instid1(VALU_DEP_1)
	v_or_b32_e32 v7, s13, v9
	v_cmpx_ne_u64_e32 0, v[6:7]
	s_xor_b32 s21, exec_lo, s0
	s_cbranch_execz .LBB53_154
; %bb.153:                              ;   in Loop: Header=BB53_152 Depth=1
	s_ashr_i32 s14, s13, 31
	v_dual_mov_b32 v17, v6 :: v_dual_ashrrev_i32 v10, 31, v9
	s_mov_b32 s15, s14
	v_mov_b32_e32 v21, v6
	s_add_nc_u64 s[18:19], s[12:13], s[14:15]
	s_delay_alu instid0(VALU_DEP_2)
	v_mov_b32_e32 v11, v10
	s_xor_b64 s[18:19], s[18:19], s[14:15]
	v_mov_b32_e32 v25, v6
	s_cvt_f32_u32 s0, s18
	s_cvt_f32_u32 s15, s19
	s_sub_nc_u64 s[24:25], 0, s[18:19]
	v_add_nc_u64_e32 v[14:15], v[8:9], v[10:11]
	s_delay_alu instid0(SALU_CYCLE_1) | instskip(NEXT) | instid1(SALU_CYCLE_3)
	s_fmamk_f32 s0, s15, 0x4f800000, s0
	v_s_rcp_f32 s0, s0
	s_delay_alu instid0(VALU_DEP_1) | instskip(NEXT) | instid1(VALU_DEP_2)
	v_xor_b32_e32 v20, v15, v10
	v_xor_b32_e32 v16, v14, v10
	s_delay_alu instid0(TRANS32_DEP_1) | instskip(NEXT) | instid1(SALU_CYCLE_3)
	s_mul_f32 s0, s0, 0x5f7ffffc
	s_mul_f32 s15, s0, 0x2f800000
	s_delay_alu instid0(SALU_CYCLE_3) | instskip(NEXT) | instid1(SALU_CYCLE_3)
	s_trunc_f32 s15, s15
	s_fmamk_f32 s0, s15, 0xcf800000, s0
	s_cvt_u32_f32 s23, s15
	s_delay_alu instid0(SALU_CYCLE_2) | instskip(NEXT) | instid1(SALU_CYCLE_3)
	s_cvt_u32_f32 s22, s0
	s_mul_u64 s[26:27], s[24:25], s[22:23]
	s_delay_alu instid0(SALU_CYCLE_1)
	s_mul_hi_u32 s29, s22, s27
	s_mul_i32 s28, s22, s27
	s_mul_hi_u32 s48, s22, s26
	s_mul_i32 s15, s23, s26
	s_add_nc_u64 s[28:29], s[48:49], s[28:29]
	s_mul_hi_u32 s0, s23, s26
	s_mul_hi_u32 s36, s23, s27
	s_add_co_u32 s15, s28, s15
	s_add_co_ci_u32 s48, s29, s0
	s_mul_i32 s26, s23, s27
	s_add_co_ci_u32 s27, s36, 0
	s_delay_alu instid0(SALU_CYCLE_1) | instskip(NEXT) | instid1(SALU_CYCLE_1)
	s_add_nc_u64 s[26:27], s[48:49], s[26:27]
	s_add_co_u32 s22, s22, s26
	s_cselect_b32 s0, -1, 0
	s_delay_alu instid0(SALU_CYCLE_1) | instskip(SKIP_1) | instid1(SALU_CYCLE_1)
	s_cmp_lg_u32 s0, 0
	s_add_co_ci_u32 s23, s23, s27
	s_mul_u64 s[24:25], s[24:25], s[22:23]
	s_delay_alu instid0(SALU_CYCLE_1)
	s_mul_hi_u32 s27, s22, s25
	s_mul_i32 s26, s22, s25
	s_mul_hi_u32 s48, s22, s24
	s_mul_i32 s15, s23, s24
	s_add_nc_u64 s[26:27], s[48:49], s[26:27]
	s_mul_hi_u32 s0, s23, s24
	s_mul_hi_u32 s28, s23, s25
	s_add_co_u32 s15, s26, s15
	s_add_co_ci_u32 s48, s27, s0
	s_mul_i32 s24, s23, s25
	s_add_co_ci_u32 s25, s28, 0
	s_delay_alu instid0(SALU_CYCLE_1) | instskip(NEXT) | instid1(SALU_CYCLE_1)
	s_add_nc_u64 s[24:25], s[48:49], s[24:25]
	s_add_co_u32 s0, s22, s24
	s_cselect_b32 s15, -1, 0
	v_mul_hi_u32 v24, v16, s0
	s_cmp_lg_u32 s15, 0
	s_add_co_ci_u32 s48, s23, s25
	s_and_b64 s[22:23], s[0:1], s[6:7]
	v_mul_u64_e32 v[18:19], s[48:49], v[16:17]
	v_mul_u64_e32 v[14:15], s[22:23], v[20:21]
	;; [unrolled: 1-line block ×3, first 2 shown]
	s_delay_alu instid0(VALU_DEP_3) | instskip(NEXT) | instid1(VALU_DEP_1)
	v_add_nc_u64_e32 v[18:19], v[24:25], v[18:19]
	v_add_co_u32 v1, vcc_lo, v18, v14
	s_delay_alu instid0(VALU_DEP_2) | instskip(NEXT) | instid1(VALU_DEP_4)
	v_add_co_ci_u32_e32 v24, vcc_lo, v19, v15, vcc_lo
	v_add_co_ci_u32_e32 v23, vcc_lo, 0, v23, vcc_lo
	s_delay_alu instid0(VALU_DEP_1) | instskip(NEXT) | instid1(VALU_DEP_1)
	v_add_nc_u64_e32 v[14:15], v[24:25], v[22:23]
	v_mul_u64_e32 v[18:19], s[18:19], v[14:15]
	s_delay_alu instid0(VALU_DEP_1) | instskip(NEXT) | instid1(VALU_DEP_2)
	v_sub_nc_u32_e32 v1, v20, v19
	v_sub_co_u32 v3, vcc_lo, v16, v18
	s_delay_alu instid0(VALU_DEP_1) | instskip(NEXT) | instid1(VALU_DEP_3)
	v_sub_co_ci_u32_e64 v11, null, v20, v19, vcc_lo
	v_subrev_co_ci_u32_e64 v1, null, s19, v1, vcc_lo
	s_delay_alu instid0(VALU_DEP_3) | instskip(SKIP_1) | instid1(VALU_DEP_3)
	v_sub_co_u32 v7, s0, v3, s18
	v_add_nc_u64_e32 v[16:17], 2, v[14:15]
	v_subrev_co_ci_u32_e64 v1, null, 0, v1, s0
	s_delay_alu instid0(VALU_DEP_3) | instskip(SKIP_2) | instid1(VALU_DEP_4)
	v_cmp_le_u32_e32 vcc_lo, s18, v7
	v_add_nc_u64_e32 v[18:19], 1, v[14:15]
	v_cndmask_b32_e64 v7, 0, -1, vcc_lo
	v_cmp_le_u32_e32 vcc_lo, s19, v1
	v_cndmask_b32_e64 v13, 0, -1, vcc_lo
	v_cmp_le_u32_e32 vcc_lo, s18, v3
	;; [unrolled: 2-line block ×3, first 2 shown]
	v_cndmask_b32_e64 v20, 0, -1, vcc_lo
	v_cmp_eq_u32_e32 vcc_lo, s19, v1
	v_cndmask_b32_e32 v1, v13, v7, vcc_lo
	v_cmp_eq_u32_e32 vcc_lo, s19, v11
	s_delay_alu instid0(VALU_DEP_4) | instskip(NEXT) | instid1(VALU_DEP_3)
	v_cndmask_b32_e32 v3, v20, v3, vcc_lo
	v_cmp_ne_u32_e32 vcc_lo, 0, v1
	v_cndmask_b32_e32 v1, v19, v17, vcc_lo
	s_delay_alu instid0(VALU_DEP_3) | instskip(SKIP_1) | instid1(VALU_DEP_1)
	v_cmp_ne_u32_e64 s0, 0, v3
	v_dual_cndmask_b32 v3, v18, v16, vcc_lo :: v_dual_bitop2_b32 v10, s14, v10 bitop3:0x14
	v_dual_cndmask_b32 v1, v15, v1, s0 :: v_dual_cndmask_b32 v3, v14, v3, s0
	s_delay_alu instid0(VALU_DEP_1) | instskip(NEXT) | instid1(VALU_DEP_2)
	v_dual_mov_b32 v11, v10 :: v_dual_bitop2_b32 v15, v1, v10 bitop3:0x14
	v_xor_b32_e32 v14, v3, v10
	s_delay_alu instid0(VALU_DEP_1)
	v_sub_nc_u64_e32 v[10:11], v[14:15], v[10:11]
.LBB53_154:                             ;   in Loop: Header=BB53_152 Depth=1
	s_and_not1_saveexec_b32 s0, s21
	s_cbranch_execz .LBB53_151
; %bb.155:                              ;   in Loop: Header=BB53_152 Depth=1
	v_cvt_f32_u32_e32 v1, s12
	s_sub_co_i32 s14, 0, s12
	v_mov_b32_e32 v11, v6
	s_delay_alu instid0(VALU_DEP_2) | instskip(SKIP_1) | instid1(TRANS32_DEP_1)
	v_rcp_iflag_f32_e32 v1, v1
	v_nop
	v_mul_f32_e32 v1, 0x4f7ffffe, v1
	s_delay_alu instid0(VALU_DEP_1) | instskip(NEXT) | instid1(VALU_DEP_1)
	v_cvt_u32_f32_e32 v1, v1
	v_mul_lo_u32 v3, s14, v1
	s_delay_alu instid0(VALU_DEP_1) | instskip(NEXT) | instid1(VALU_DEP_1)
	v_mul_hi_u32 v3, v1, v3
	v_add_nc_u32_e32 v1, v1, v3
	s_delay_alu instid0(VALU_DEP_1) | instskip(NEXT) | instid1(VALU_DEP_1)
	v_mul_hi_u32 v1, v8, v1
	v_mul_lo_u32 v3, v1, s12
	s_delay_alu instid0(VALU_DEP_1) | instskip(NEXT) | instid1(VALU_DEP_1)
	v_sub_nc_u32_e32 v3, v8, v3
	v_subrev_nc_u32_e32 v10, s12, v3
	v_cmp_le_u32_e32 vcc_lo, s12, v3
	s_delay_alu instid0(VALU_DEP_2) | instskip(NEXT) | instid1(VALU_DEP_1)
	v_dual_add_nc_u32 v7, 1, v1 :: v_dual_cndmask_b32 v3, v3, v10, vcc_lo
	v_cndmask_b32_e32 v1, v1, v7, vcc_lo
	s_delay_alu instid0(VALU_DEP_2) | instskip(NEXT) | instid1(VALU_DEP_2)
	v_cmp_le_u32_e32 vcc_lo, s12, v3
	v_add_nc_u32_e32 v7, 1, v1
	s_delay_alu instid0(VALU_DEP_1)
	v_cndmask_b32_e32 v10, v1, v7, vcc_lo
	s_branch .LBB53_151
.LBB53_156:
	s_mov_b32 s6, -1
                                        ; implicit-def: $vgpr6
                                        ; implicit-def: $vgpr12
                                        ; implicit-def: $vgpr4
                                        ; implicit-def: $vgpr2
                                        ; implicit-def: $vgpr1
                                        ; implicit-def: $vgpr3
.LBB53_157:
	s_delay_alu instid0(SALU_CYCLE_1)
	s_and_not1_b32 vcc_lo, exec_lo, s6
	s_cbranch_vccnz .LBB53_169
.LBB53_158:
	s_clause 0x2
	s_load_b96 s[8:10], s[2:3], 0x4
	s_load_b128 s[4:7], s[2:3], 0xc4
	s_load_b64 s[0:1], s[2:3], 0xd4
	s_cmp_lt_u32 s33, 2
	s_wait_kmcnt 0x0
	v_mul_hi_u32 v1, s9, v0
	s_delay_alu instid0(VALU_DEP_1) | instskip(NEXT) | instid1(VALU_DEP_1)
	v_add_nc_u32_e32 v1, v0, v1
	v_lshrrev_b32_e32 v8, s10, v1
	s_delay_alu instid0(VALU_DEP_1) | instskip(NEXT) | instid1(VALU_DEP_1)
	v_mul_lo_u32 v1, v8, s8
	v_sub_nc_u32_e32 v3, v0, v1
	s_delay_alu instid0(VALU_DEP_1)
	v_mul_lo_u32 v6, v3, s5
	v_mul_lo_u32 v12, v3, s4
	;; [unrolled: 1-line block ×6, first 2 shown]
	s_cbranch_scc1 .LBB53_169
; %bb.159:
	s_clause 0x2
	s_load_b96 s[8:10], s[2:3], 0x10
	s_load_b128 s[4:7], s[2:3], 0xdc
	s_load_b64 s[0:1], s[2:3], 0xec
	s_wait_kmcnt 0x0
	v_mul_hi_u32 v9, s9, v8
	s_delay_alu instid0(VALU_DEP_1) | instskip(NEXT) | instid1(VALU_DEP_1)
	v_add_nc_u32_e32 v9, v8, v9
	v_lshrrev_b32_e32 v9, s10, v9
	s_delay_alu instid0(VALU_DEP_1) | instskip(NEXT) | instid1(VALU_DEP_1)
	v_mul_lo_u32 v9, v9, s8
	v_sub_nc_u32_e32 v8, v8, v9
	s_delay_alu instid0(VALU_DEP_1)
	v_mad_u32 v12, v8, s4, v12
	v_mad_u32 v6, v8, s5, v6
	;; [unrolled: 1-line block ×6, first 2 shown]
	s_branch .LBB53_169
.LBB53_160:
	s_mov_b32 s6, s45
	s_mov_b32 s0, exec_lo
	v_cmpx_gt_i32_e64 v0, v2
	s_cbranch_execz .LBB53_166
; %bb.161:
	s_delay_alu instid0(VALU_DEP_2) | instskip(SKIP_3) | instid1(VALU_DEP_1)
	v_lshlrev_b64_e32 v[4:5], 2, v[4:5]
	v_dual_ashrrev_i32 v3, 31, v2 :: v_dual_ashrrev_i32 v1, 31, v0
	s_mov_b32 s6, 0
	s_xor_b32 s8, s17, -1
                                        ; implicit-def: $sgpr7
                                        ; implicit-def: $sgpr10
                                        ; implicit-def: $sgpr9
	v_lshl_add_u64 v[2:3], v[2:3], 2, v[4:5]
	v_add_nc_u64_e32 v[4:5], s[30:31], v[4:5]
	s_delay_alu instid0(VALU_DEP_2) | instskip(NEXT) | instid1(VALU_DEP_2)
	v_add_nc_u64_e32 v[2:3], s[30:31], v[2:3]
	v_lshl_add_u64 v[0:1], v[0:1], 2, v[4:5]
	s_delay_alu instid0(VALU_DEP_2)
	v_add_nc_u64_e32 v[2:3], 4, v[2:3]
	s_branch .LBB53_163
.LBB53_162:                             ;   in Loop: Header=BB53_163 Depth=1
	s_or_b32 exec_lo, exec_lo, s11
	s_xor_b32 s11, s9, -1
	s_and_b32 s12, exec_lo, s10
	s_delay_alu instid0(SALU_CYCLE_1) | instskip(SKIP_2) | instid1(SALU_CYCLE_1)
	s_or_b32 s6, s12, s6
	s_and_not1_b32 s7, s7, exec_lo
	s_and_b32 s11, s11, exec_lo
	s_or_b32 s7, s7, s11
	s_and_not1_b32 exec_lo, exec_lo, s6
	s_cbranch_execz .LBB53_165
.LBB53_163:                             ; =>This Inner Loop Header: Depth=1
	s_or_b32 s9, s9, exec_lo
	s_or_b32 s10, s10, exec_lo
	s_mov_b32 s11, exec_lo
	s_delay_alu instid0(VALU_DEP_1)
	v_cmpx_lt_u64_e64 v[2:3], v[0:1]
	s_cbranch_execz .LBB53_162
; %bb.164:                              ;   in Loop: Header=BB53_163 Depth=1
	global_load_b64 v[4:5], v[2:3], off offset:-4
	s_wait_xcnt 0x0
	v_add_nc_u64_e32 v[2:3], 4, v[2:3]
	s_and_not1_b32 s10, s10, exec_lo
	s_and_not1_b32 s9, s9, exec_lo
	s_wait_loadcnt 0x0
	v_cmp_ge_i32_e32 vcc_lo, v4, v5
	s_or_b32 s12, s8, vcc_lo
	s_delay_alu instid0(SALU_CYCLE_1) | instskip(NEXT) | instid1(SALU_CYCLE_1)
	s_and_b32 s12, s12, exec_lo
	s_or_b32 s10, s10, s12
	s_branch .LBB53_162
.LBB53_165:
	s_or_b32 exec_lo, exec_lo, s6
	s_delay_alu instid0(SALU_CYCLE_1) | instskip(SKIP_1) | instid1(SALU_CYCLE_1)
	s_and_not1_b32 s6, s45, exec_lo
	s_and_b32 s7, s7, exec_lo
	s_or_b32 s6, s6, s7
.LBB53_166:
	s_or_b32 exec_lo, exec_lo, s0
	s_delay_alu instid0(SALU_CYCLE_1)
	s_and_not1_b32 s7, s45, exec_lo
	s_and_b32 s6, s6, exec_lo
	s_mov_b32 s0, exec_lo
	s_or_b32 s45, s7, s6
	s_or_b32 exec_lo, exec_lo, s20
	s_and_saveexec_b32 s6, s45
	s_cbranch_execz .LBB53_134
.LBB53_167:
	s_or_b32 s1, s1, exec_lo
	s_and_not1_b32 s0, s0, exec_lo
	s_trap 2
	s_or_b32 exec_lo, exec_lo, s6
	s_and_saveexec_b32 s6, s0
	s_delay_alu instid0(SALU_CYCLE_1)
	s_xor_b32 s0, exec_lo, s6
	s_cbranch_execnz .LBB53_135
	s_branch .LBB53_136
.LBB53_168:
	v_dual_mov_b32 v6, 0 :: v_dual_mov_b32 v12, 0
	v_dual_mov_b32 v4, 0 :: v_dual_mov_b32 v2, 0
	;; [unrolled: 1-line block ×3, first 2 shown]
	s_and_not1_b32 vcc_lo, exec_lo, s6
	s_cbranch_vccz .LBB53_158
.LBB53_169:
	v_cmp_ne_u32_e32 vcc_lo, 1, v7
	v_add_nc_u32_e32 v8, 0x80, v0
	s_cbranch_vccnz .LBB53_175
; %bb.170:
	s_cmp_lg_u32 s33, 0
	s_mov_b32 s6, 0
	s_cbranch_scc0 .LBB53_179
; %bb.171:
	s_min_u32 s7, s68, 15
	v_dual_mov_b32 v30, 0 :: v_dual_mov_b32 v9, v8
	v_dual_mov_b32 v29, 0 :: v_dual_mov_b32 v32, 0
	v_dual_mov_b32 v31, 0 :: v_dual_mov_b32 v13, 0
	v_mov_b32_e32 v33, 0
	s_add_co_i32 s4, s7, 1
	s_mov_b64 s[0:1], 0xffffffffffffffd0
	s_and_b32 s8, s4, 30
	s_add_nc_u64 s[0:1], s[2:3], s[0:1]
	s_mov_b64 s[4:5], s[2:3]
.LBB53_172:                             ; =>This Inner Loop Header: Depth=1
	s_clause 0x1
	s_load_b128 s[20:23], s[4:5], 0x4
	s_load_b64 s[10:11], s[4:5], 0x14
	s_clause 0x1
	s_load_b256 s[12:19], s[0:1], 0xf4
	s_load_b128 s[24:27], s[0:1], 0x114
	s_add_co_i32 s8, s8, -2
	s_wait_xcnt 0x0
	s_add_nc_u64 s[4:5], s[4:5], 24
	s_cmp_lg_u32 s8, 0
	s_add_nc_u64 s[0:1], s[0:1], 48
	s_wait_kmcnt 0x0
	v_mul_hi_u32 v10, s21, v9
	s_delay_alu instid0(VALU_DEP_1) | instskip(NEXT) | instid1(VALU_DEP_1)
	v_add_nc_u32_e32 v10, v9, v10
	v_lshrrev_b32_e32 v10, s22, v10
	s_delay_alu instid0(VALU_DEP_1) | instskip(SKIP_1) | instid1(VALU_DEP_1)
	v_mul_hi_u32 v11, s10, v10
	v_mul_lo_u32 v14, v10, s20
	v_dual_add_nc_u32 v11, v10, v11 :: v_dual_sub_nc_u32 v14, v9, v14
	s_delay_alu instid0(VALU_DEP_1) | instskip(NEXT) | instid1(VALU_DEP_2)
	v_lshrrev_b32_e32 v9, s11, v11
	v_mad_u32 v11, v14, s13, v33
	v_mad_u32 v13, v14, s12, v13
	;; [unrolled: 1-line block ×4, first 2 shown]
	v_mul_lo_u32 v15, v9, s23
	v_mad_u32 v18, s17, v14, v29
	v_mad_u32 v14, s16, v14, v30
	s_delay_alu instid0(VALU_DEP_3) | instskip(NEXT) | instid1(VALU_DEP_1)
	v_sub_nc_u32_e32 v10, v10, v15
	v_mad_u32 v33, v10, s19, v11
	v_mad_u32 v13, v10, s18, v13
	;; [unrolled: 1-line block ×6, first 2 shown]
	s_cbranch_scc1 .LBB53_172
; %bb.173:
	s_bitcmp1_b32 s7, 0
	s_cselect_b32 s7, -1, 0
	s_delay_alu instid0(SALU_CYCLE_1)
	s_and_b32 vcc_lo, exec_lo, s7
	s_cbranch_vccnz .LBB53_176
; %bb.174:
	s_load_b96 s[12:14], s[4:5], 0x4
	s_load_b128 s[8:11], s[0:1], 0xf4
	s_wait_xcnt 0x0
	s_load_b64 s[4:5], s[0:1], 0x104
	s_wait_kmcnt 0x0
	v_mul_hi_u32 v10, s13, v9
	s_delay_alu instid0(VALU_DEP_1) | instskip(NEXT) | instid1(VALU_DEP_1)
	v_add_nc_u32_e32 v10, v9, v10
	v_lshrrev_b32_e32 v10, s14, v10
	s_delay_alu instid0(VALU_DEP_1) | instskip(NEXT) | instid1(VALU_DEP_1)
	v_mul_lo_u32 v10, v10, s12
	v_sub_nc_u32_e32 v9, v9, v10
	s_delay_alu instid0(VALU_DEP_1)
	v_mad_u32 v13, v9, s8, v13
	v_mad_u32 v33, v9, s9, v33
	;; [unrolled: 1-line block ×6, first 2 shown]
	s_and_not1_b32 vcc_lo, exec_lo, s6
	s_cbranch_vccz .LBB53_177
	s_branch .LBB53_180
.LBB53_175:
	s_mov_b32 s6, -1
                                        ; implicit-def: $vgpr33
                                        ; implicit-def: $vgpr13
                                        ; implicit-def: $vgpr31
                                        ; implicit-def: $vgpr32
                                        ; implicit-def: $vgpr29
                                        ; implicit-def: $vgpr30
.LBB53_176:
	s_delay_alu instid0(SALU_CYCLE_1)
	s_and_not1_b32 vcc_lo, exec_lo, s6
	s_cbranch_vccnz .LBB53_180
.LBB53_177:
	s_clause 0x2
	s_load_b96 s[8:10], s[2:3], 0x4
	s_load_b128 s[4:7], s[2:3], 0xc4
	s_load_b64 s[0:1], s[2:3], 0xd4
	s_cmp_lt_u32 s33, 2
	s_wait_kmcnt 0x0
	v_mul_hi_u32 v9, s9, v8
	s_delay_alu instid0(VALU_DEP_1) | instskip(NEXT) | instid1(VALU_DEP_1)
	v_add_nc_u32_e32 v9, v8, v9
	v_lshrrev_b32_e32 v9, s10, v9
	s_delay_alu instid0(VALU_DEP_1) | instskip(NEXT) | instid1(VALU_DEP_1)
	v_mul_lo_u32 v10, v9, s8
	v_sub_nc_u32_e32 v8, v8, v10
	s_delay_alu instid0(VALU_DEP_1)
	v_mul_lo_u32 v33, v8, s5
	v_mul_lo_u32 v13, v8, s4
	;; [unrolled: 1-line block ×6, first 2 shown]
	s_cbranch_scc1 .LBB53_180
; %bb.178:
	s_clause 0x2
	s_load_b96 s[8:10], s[2:3], 0x10
	s_load_b128 s[4:7], s[2:3], 0xdc
	s_load_b64 s[0:1], s[2:3], 0xec
	s_wait_kmcnt 0x0
	v_mul_hi_u32 v8, s9, v9
	s_delay_alu instid0(VALU_DEP_1) | instskip(NEXT) | instid1(VALU_DEP_1)
	v_add_nc_u32_e32 v8, v9, v8
	v_lshrrev_b32_e32 v8, s10, v8
	s_delay_alu instid0(VALU_DEP_1) | instskip(NEXT) | instid1(VALU_DEP_1)
	v_mul_lo_u32 v8, v8, s8
	v_sub_nc_u32_e32 v8, v9, v8
	s_delay_alu instid0(VALU_DEP_1)
	v_mad_u32 v13, v8, s4, v13
	v_mad_u32 v33, v8, s5, v33
	;; [unrolled: 1-line block ×6, first 2 shown]
	s_branch .LBB53_180
.LBB53_179:
	v_dual_mov_b32 v33, 0 :: v_dual_mov_b32 v13, 0
	v_dual_mov_b32 v31, 0 :: v_dual_mov_b32 v32, 0
	v_dual_mov_b32 v29, 0 :: v_dual_mov_b32 v30, 0
	s_and_not1_b32 vcc_lo, exec_lo, s6
	s_cbranch_vccz .LBB53_177
.LBB53_180:
	v_cmp_ne_u32_e32 vcc_lo, 1, v7
	v_add_nc_u32_e32 v0, 0x100, v0
	s_cbranch_vccnz .LBB53_186
; %bb.181:
	s_cmp_lg_u32 s33, 0
	s_mov_b32 s6, 0
	s_cbranch_scc0 .LBB53_190
; %bb.182:
	s_min_u32 s7, s68, 15
	v_dual_mov_b32 v22, 0 :: v_dual_mov_b32 v8, v0
	v_dual_mov_b32 v21, 0 :: v_dual_mov_b32 v26, 0
	;; [unrolled: 1-line block ×3, first 2 shown]
	v_mov_b32_e32 v27, 0
	s_add_co_i32 s4, s7, 1
	s_mov_b64 s[0:1], 0xffffffffffffffd0
	s_and_b32 s8, s4, 30
	s_add_nc_u64 s[0:1], s[2:3], s[0:1]
	s_mov_b64 s[4:5], s[2:3]
.LBB53_183:                             ; =>This Inner Loop Header: Depth=1
	s_clause 0x1
	s_load_b128 s[20:23], s[4:5], 0x4
	s_load_b64 s[10:11], s[4:5], 0x14
	s_clause 0x1
	s_load_b256 s[12:19], s[0:1], 0xf4
	s_load_b128 s[24:27], s[0:1], 0x114
	s_add_co_i32 s8, s8, -2
	s_wait_xcnt 0x0
	s_add_nc_u64 s[4:5], s[4:5], 24
	s_cmp_lg_u32 s8, 0
	s_add_nc_u64 s[0:1], s[0:1], 48
	s_wait_kmcnt 0x0
	v_mul_hi_u32 v9, s21, v8
	s_delay_alu instid0(VALU_DEP_1) | instskip(NEXT) | instid1(VALU_DEP_1)
	v_add_nc_u32_e32 v9, v8, v9
	v_lshrrev_b32_e32 v9, s22, v9
	s_delay_alu instid0(VALU_DEP_1) | instskip(SKIP_1) | instid1(VALU_DEP_1)
	v_mul_hi_u32 v10, s10, v9
	v_mul_lo_u32 v11, v9, s20
	v_dual_add_nc_u32 v10, v9, v10 :: v_dual_sub_nc_u32 v11, v8, v11
	s_delay_alu instid0(VALU_DEP_1) | instskip(NEXT) | instid1(VALU_DEP_2)
	v_lshrrev_b32_e32 v8, s11, v10
	v_mad_u32 v10, v11, s13, v27
	v_mad_u32 v14, v11, s12, v14
	;; [unrolled: 1-line block ×4, first 2 shown]
	v_mul_lo_u32 v15, v8, s23
	v_mad_u32 v18, s17, v11, v21
	v_mad_u32 v11, s16, v11, v22
	s_delay_alu instid0(VALU_DEP_3) | instskip(NEXT) | instid1(VALU_DEP_1)
	v_sub_nc_u32_e32 v9, v9, v15
	v_mad_u32 v27, v9, s19, v10
	v_mad_u32 v14, v9, s18, v14
	v_mad_u32 v25, v9, s25, v16
	v_mad_u32 v26, v9, s24, v17
	v_mad_u32 v21, s27, v9, v18
	v_mad_u32 v22, s26, v9, v11
	s_cbranch_scc1 .LBB53_183
; %bb.184:
	s_bitcmp1_b32 s7, 0
	s_cselect_b32 s7, -1, 0
	s_delay_alu instid0(SALU_CYCLE_1)
	s_and_b32 vcc_lo, exec_lo, s7
	s_cbranch_vccnz .LBB53_187
; %bb.185:
	s_load_b96 s[12:14], s[4:5], 0x4
	s_load_b128 s[8:11], s[0:1], 0xf4
	s_wait_xcnt 0x0
	s_load_b64 s[4:5], s[0:1], 0x104
	s_wait_kmcnt 0x0
	v_mul_hi_u32 v9, s13, v8
	s_delay_alu instid0(VALU_DEP_1) | instskip(NEXT) | instid1(VALU_DEP_1)
	v_add_nc_u32_e32 v9, v8, v9
	v_lshrrev_b32_e32 v9, s14, v9
	s_delay_alu instid0(VALU_DEP_1) | instskip(NEXT) | instid1(VALU_DEP_1)
	v_mul_lo_u32 v9, v9, s12
	v_sub_nc_u32_e32 v8, v8, v9
	s_delay_alu instid0(VALU_DEP_1)
	v_mad_u32 v14, v8, s8, v14
	v_mad_u32 v27, v8, s9, v27
	;; [unrolled: 1-line block ×6, first 2 shown]
	s_and_not1_b32 vcc_lo, exec_lo, s6
	s_cbranch_vccz .LBB53_188
	s_branch .LBB53_191
.LBB53_186:
	s_mov_b32 s6, -1
                                        ; implicit-def: $vgpr27
                                        ; implicit-def: $vgpr14
                                        ; implicit-def: $vgpr25
                                        ; implicit-def: $vgpr26
                                        ; implicit-def: $vgpr21
                                        ; implicit-def: $vgpr22
.LBB53_187:
	s_delay_alu instid0(SALU_CYCLE_1)
	s_and_not1_b32 vcc_lo, exec_lo, s6
	s_cbranch_vccnz .LBB53_191
.LBB53_188:
	s_clause 0x2
	s_load_b96 s[8:10], s[2:3], 0x4
	s_load_b128 s[4:7], s[2:3], 0xc4
	s_load_b64 s[0:1], s[2:3], 0xd4
	s_cmp_lt_u32 s33, 2
	s_wait_kmcnt 0x0
	v_mul_hi_u32 v8, s9, v0
	s_delay_alu instid0(VALU_DEP_1) | instskip(NEXT) | instid1(VALU_DEP_1)
	v_add_nc_u32_e32 v8, v0, v8
	v_lshrrev_b32_e32 v8, s10, v8
	s_delay_alu instid0(VALU_DEP_1) | instskip(NEXT) | instid1(VALU_DEP_1)
	v_mul_lo_u32 v9, v8, s8
	v_sub_nc_u32_e32 v0, v0, v9
	s_delay_alu instid0(VALU_DEP_1)
	v_mul_lo_u32 v27, v0, s5
	v_mul_lo_u32 v14, v0, s4
	;; [unrolled: 1-line block ×6, first 2 shown]
	s_cbranch_scc1 .LBB53_191
; %bb.189:
	s_clause 0x2
	s_load_b96 s[8:10], s[2:3], 0x10
	s_load_b128 s[4:7], s[2:3], 0xdc
	s_load_b64 s[0:1], s[2:3], 0xec
	s_wait_kmcnt 0x0
	v_mul_hi_u32 v0, s9, v8
	s_delay_alu instid0(VALU_DEP_1) | instskip(NEXT) | instid1(VALU_DEP_1)
	v_add_nc_u32_e32 v0, v8, v0
	v_lshrrev_b32_e32 v0, s10, v0
	s_delay_alu instid0(VALU_DEP_1) | instskip(NEXT) | instid1(VALU_DEP_1)
	v_mul_lo_u32 v0, v0, s8
	v_sub_nc_u32_e32 v0, v8, v0
	s_delay_alu instid0(VALU_DEP_1)
	v_mad_u32 v14, v0, s4, v14
	v_mad_u32 v27, v0, s5, v27
	;; [unrolled: 1-line block ×6, first 2 shown]
	s_branch .LBB53_191
.LBB53_190:
	v_dual_mov_b32 v27, 0 :: v_dual_mov_b32 v14, 0
	v_dual_mov_b32 v25, 0 :: v_dual_mov_b32 v26, 0
	;; [unrolled: 1-line block ×3, first 2 shown]
	s_and_not1_b32 vcc_lo, exec_lo, s6
	s_cbranch_vccz .LBB53_188
.LBB53_191:
	v_cmp_ne_u32_e32 vcc_lo, 1, v7
	s_cbranch_vccnz .LBB53_197
; %bb.192:
	s_cmp_lg_u32 s33, 0
	s_mov_b32 s6, 0
	s_cbranch_scc0 .LBB53_201
; %bb.193:
	s_min_u32 s7, s68, 15
	v_dual_mov_b32 v17, 0 :: v_dual_mov_b32 v0, v5
	v_dual_mov_b32 v16, 0 :: v_dual_mov_b32 v19, 0
	;; [unrolled: 1-line block ×3, first 2 shown]
	v_mov_b32_e32 v20, 0
	s_add_co_i32 s4, s7, 1
	s_mov_b64 s[0:1], 0xffffffffffffffd0
	s_and_b32 s8, s4, 30
	s_add_nc_u64 s[0:1], s[2:3], s[0:1]
	s_mov_b64 s[4:5], s[2:3]
.LBB53_194:                             ; =>This Inner Loop Header: Depth=1
	s_clause 0x1
	s_load_b128 s[20:23], s[4:5], 0x4
	s_load_b64 s[10:11], s[4:5], 0x14
	s_clause 0x1
	s_load_b256 s[12:19], s[0:1], 0xf4
	s_load_b128 s[24:27], s[0:1], 0x114
	s_add_co_i32 s8, s8, -2
	s_wait_xcnt 0x0
	s_add_nc_u64 s[4:5], s[4:5], 24
	s_cmp_lg_u32 s8, 0
	s_add_nc_u64 s[0:1], s[0:1], 48
	s_wait_kmcnt 0x0
	v_mul_hi_u32 v7, s21, v0
	s_delay_alu instid0(VALU_DEP_1) | instskip(NEXT) | instid1(VALU_DEP_1)
	v_add_nc_u32_e32 v7, v0, v7
	v_lshrrev_b32_e32 v7, s22, v7
	s_delay_alu instid0(VALU_DEP_1) | instskip(SKIP_1) | instid1(VALU_DEP_1)
	v_mul_hi_u32 v8, s10, v7
	v_mul_lo_u32 v9, v7, s20
	v_dual_add_nc_u32 v8, v7, v8 :: v_dual_sub_nc_u32 v9, v0, v9
	s_delay_alu instid0(VALU_DEP_1) | instskip(NEXT) | instid1(VALU_DEP_2)
	v_lshrrev_b32_e32 v0, s11, v8
	v_mad_u32 v8, v9, s13, v20
	v_mad_u32 v11, v9, s12, v15
	;; [unrolled: 1-line block ×4, first 2 shown]
	v_mul_lo_u32 v10, v0, s23
	v_mad_u32 v16, s17, v9, v16
	v_mad_u32 v9, s16, v9, v17
	s_delay_alu instid0(VALU_DEP_3) | instskip(NEXT) | instid1(VALU_DEP_1)
	v_sub_nc_u32_e32 v7, v7, v10
	v_mad_u32 v20, v7, s19, v8
	v_mad_u32 v15, v7, s18, v11
	;; [unrolled: 1-line block ×6, first 2 shown]
	s_cbranch_scc1 .LBB53_194
; %bb.195:
	s_bitcmp1_b32 s7, 0
	s_cselect_b32 s7, -1, 0
	s_delay_alu instid0(SALU_CYCLE_1)
	s_and_b32 vcc_lo, exec_lo, s7
	s_cbranch_vccnz .LBB53_198
; %bb.196:
	s_load_b96 s[12:14], s[4:5], 0x4
	s_load_b128 s[8:11], s[0:1], 0xf4
	s_wait_xcnt 0x0
	s_load_b64 s[4:5], s[0:1], 0x104
	s_wait_kmcnt 0x0
	v_mul_hi_u32 v7, s13, v0
	s_delay_alu instid0(VALU_DEP_1) | instskip(NEXT) | instid1(VALU_DEP_1)
	v_add_nc_u32_e32 v7, v0, v7
	v_lshrrev_b32_e32 v7, s14, v7
	s_delay_alu instid0(VALU_DEP_1) | instskip(NEXT) | instid1(VALU_DEP_1)
	v_mul_lo_u32 v7, v7, s12
	v_sub_nc_u32_e32 v0, v0, v7
	s_delay_alu instid0(VALU_DEP_1)
	v_mad_u32 v15, v0, s8, v15
	v_mad_u32 v20, v0, s9, v20
	;; [unrolled: 1-line block ×6, first 2 shown]
	s_and_not1_b32 vcc_lo, exec_lo, s6
	s_cbranch_vccz .LBB53_199
	s_branch .LBB53_202
.LBB53_197:
	s_mov_b32 s6, -1
                                        ; implicit-def: $vgpr20
                                        ; implicit-def: $vgpr15
                                        ; implicit-def: $vgpr18
                                        ; implicit-def: $vgpr19
                                        ; implicit-def: $vgpr16
                                        ; implicit-def: $vgpr17
.LBB53_198:
	s_delay_alu instid0(SALU_CYCLE_1)
	s_and_not1_b32 vcc_lo, exec_lo, s6
	s_cbranch_vccnz .LBB53_202
.LBB53_199:
	s_clause 0x2
	s_load_b96 s[8:10], s[2:3], 0x4
	s_load_b128 s[4:7], s[2:3], 0xc4
	s_load_b64 s[0:1], s[2:3], 0xd4
	s_cmp_lt_u32 s33, 2
	s_wait_kmcnt 0x0
	v_mul_hi_u32 v0, s9, v5
	s_delay_alu instid0(VALU_DEP_1) | instskip(NEXT) | instid1(VALU_DEP_1)
	v_add_nc_u32_e32 v0, v5, v0
	v_lshrrev_b32_e32 v0, s10, v0
	s_delay_alu instid0(VALU_DEP_1) | instskip(NEXT) | instid1(VALU_DEP_1)
	v_mul_lo_u32 v7, v0, s8
	v_sub_nc_u32_e32 v5, v5, v7
	s_delay_alu instid0(VALU_DEP_1)
	v_mul_lo_u32 v20, v5, s5
	v_mul_lo_u32 v15, v5, s4
	;; [unrolled: 1-line block ×6, first 2 shown]
	s_cbranch_scc1 .LBB53_202
; %bb.200:
	s_clause 0x2
	s_load_b96 s[8:10], s[2:3], 0x10
	s_load_b128 s[4:7], s[2:3], 0xdc
	s_load_b64 s[0:1], s[2:3], 0xec
	s_wait_kmcnt 0x0
	v_mul_hi_u32 v5, s9, v0
	s_delay_alu instid0(VALU_DEP_1) | instskip(NEXT) | instid1(VALU_DEP_1)
	v_add_nc_u32_e32 v5, v0, v5
	v_lshrrev_b32_e32 v5, s10, v5
	s_delay_alu instid0(VALU_DEP_1) | instskip(NEXT) | instid1(VALU_DEP_1)
	v_mul_lo_u32 v5, v5, s8
	v_sub_nc_u32_e32 v0, v0, v5
	s_delay_alu instid0(VALU_DEP_1)
	v_mad_u32 v15, v0, s4, v15
	v_mad_u32 v20, v0, s5, v20
	;; [unrolled: 1-line block ×6, first 2 shown]
	s_branch .LBB53_202
.LBB53_201:
	v_dual_mov_b32 v20, 0 :: v_dual_mov_b32 v15, 0
	v_dual_mov_b32 v18, 0 :: v_dual_mov_b32 v19, 0
	v_dual_mov_b32 v16, 0 :: v_dual_mov_b32 v17, 0
	s_and_not1_b32 vcc_lo, exec_lo, s6
	s_cbranch_vccz .LBB53_199
.LBB53_202:
	s_clause 0x1
	s_load_b128 s[4:7], s[2:3], 0x248
	s_load_b32 s0, s[2:3], 0x278
	s_cmp_eq_u64 s[34:35], 0
	s_mov_b32 s33, s38
	s_wait_kmcnt 0x0
	global_load_b32 v24, v6, s[6:7]
	s_wait_loadcnt 0x0
	v_cmp_ne_u32_e32 vcc_lo, s0, v24
	s_cselect_b32 s0, -1, 0
	s_delay_alu instid0(SALU_CYCLE_1) | instskip(SKIP_2) | instid1(SALU_CYCLE_1)
	s_or_b32 s0, s0, vcc_lo
	s_wait_xcnt 0x0
	s_and_saveexec_b32 s1, s0
	s_xor_b32 s0, exec_lo, s1
	s_cbranch_execnz .LBB53_258
; %bb.203:
	s_or_saveexec_b32 s40, s0
	s_mov_b32 s0, 0
	s_xor_b32 exec_lo, exec_lo, s40
	s_cbranch_execz .LBB53_307
.LBB53_204:
	s_clause 0x1
	s_load_b64 s[16:17], s[2:3], 0x258
	s_load_b64 s[14:15], s[2:3], 0x288
	s_get_pc_i64 s[0:1]
	s_add_nc_u64 s[0:1], s[0:1], .str.2@rel64+4
	s_mov_b32 s41, s33
	s_cmp_eq_u64 s[0:1], 0
	s_cselect_b32 s0, -1, 0
	s_wait_kmcnt 0x0
	global_load_b32 v23, v2, s[16:17]
	s_wait_loadcnt 0x0
	v_cmp_ne_u32_e32 vcc_lo, s14, v23
	s_or_b32 s0, s0, vcc_lo
	s_wait_xcnt 0x0
	s_and_saveexec_b32 s1, s0
	s_delay_alu instid0(SALU_CYCLE_1)
	s_xor_b32 s0, exec_lo, s1
	s_cbranch_execnz .LBB53_264
; %bb.205:
	s_or_saveexec_b32 s42, s0
	s_mov_b32 s0, 0
	s_xor_b32 exec_lo, exec_lo, s42
	s_cbranch_execz .LBB53_306
.LBB53_206:
	s_clause 0x1
	s_load_b128 s[8:11], s[2:3], 0x260
	s_load_b64 s[18:19], s[2:3], 0x280
	s_get_pc_i64 s[12:13]
	s_add_nc_u64 s[12:13], s[12:13], .str.3@rel64+4
	s_wait_kmcnt 0x0
	s_mov_b32 s19, s41
	global_load_b32 v2, v4, s[8:9]
	global_load_b32 v0, v3, s[10:11]
	s_wait_loadcnt 0x0
	v_sub_nc_u32_e32 v3, v0, v2
	s_delay_alu instid0(VALU_DEP_1) | instskip(SKIP_4) | instid1(SALU_CYCLE_1)
	v_cmp_gt_i32_e32 vcc_lo, v24, v3
	v_cmp_lt_i32_e64 s0, s18, v3
	s_or_b32 s0, vcc_lo, s0
	s_cmp_eq_u64 s[12:13], 0
	s_cselect_b32 s1, -1, 0
	s_or_b32 s0, s1, s0
	s_delay_alu instid0(SALU_CYCLE_1) | instskip(NEXT) | instid1(SALU_CYCLE_1)
	s_and_saveexec_b32 s1, s0
	s_xor_b32 s0, exec_lo, s1
	s_cbranch_execnz .LBB53_282
; %bb.207:
	s_or_saveexec_b32 s43, s0
	s_mov_b32 s0, 0
	s_xor_b32 exec_lo, exec_lo, s43
	s_cbranch_execz .LBB53_305
.LBB53_208:
	s_clause 0x1
	s_load_b32 s44, s[2:3], 0x290
	s_load_b64 s[22:23], s[2:3], 0x270
	v_cmp_gt_i64_e64 s0, s[14:15], 0
	v_mov_b64_e32 v[4:5], 0
	s_wait_kmcnt 0x0
	s_add_co_i32 s12, s44, -1
	s_delay_alu instid0(SALU_CYCLE_1) | instskip(SKIP_1) | instid1(SALU_CYCLE_1)
	s_cmp_gt_i32 s12, -1
	s_cselect_b32 s1, -1, 0
	s_and_b32 s0, s0, s1
	s_delay_alu instid0(SALU_CYCLE_1) | instskip(NEXT) | instid1(VALU_DEP_1)
	v_cndmask_b32_e64 v28, 0, 1, s0
	v_cmp_ne_u32_e32 vcc_lo, 1, v28
	s_cbranch_vccnz .LBB53_215
; %bb.209:
	global_load_b32 v4, v1, s[22:23]
	s_load_b128 s[24:27], s[2:3], 0x298
	s_mov_b32 s1, 0
	s_mov_b64 s[20:21], 0xffffffff
	s_mov_b32 s13, s1
	v_mov_b32_e32 v8, 0
	s_lshl_b64 s[28:29], s[12:13], 3
	s_mov_b32 s13, s44
	s_wait_kmcnt 0x0
	s_add_nc_u64 s[24:25], s[24:25], s[28:29]
	s_add_nc_u64 s[26:27], s[26:27], s[28:29]
	s_wait_loadcnt 0x0
	v_ashrrev_i32_e32 v5, 31, v4
	s_delay_alu instid0(VALU_DEP_1)
	v_mul_u64_e32 v[6:7], s[14:15], v[4:5]
	v_mov_b64_e32 v[4:5], 0
	s_branch .LBB53_211
.LBB53_210:                             ;   in Loop: Header=BB53_211 Depth=1
	s_or_b32 exec_lo, exec_lo, s0
	s_delay_alu instid0(VALU_DEP_1)
	v_mul_u64_e32 v[34:35], s[28:29], v[10:11]
	s_load_b64 s[28:29], s[26:27], 0x0
	s_add_co_i32 s13, s13, -1
	s_add_nc_u64 s[24:25], s[24:25], -8
	s_cmp_eq_u32 s13, 0
	s_wait_xcnt 0x0
	s_add_nc_u64 s[26:27], s[26:27], -8
	s_delay_alu instid0(VALU_DEP_1) | instskip(SKIP_1) | instid1(VALU_DEP_1)
	v_sub_nc_u64_e32 v[6:7], v[6:7], v[34:35]
	s_wait_kmcnt 0x0
	v_mad_nc_u64_u32 v[4:5], v6, s28, v[4:5]
	s_delay_alu instid0(VALU_DEP_1) | instskip(NEXT) | instid1(VALU_DEP_1)
	v_mad_u32 v1, v7, s28, v5
	v_mad_u32 v5, v6, s29, v1
	v_mov_b64_e32 v[6:7], v[10:11]
	s_cbranch_scc1 .LBB53_215
.LBB53_211:                             ; =>This Inner Loop Header: Depth=1
	s_load_b64 s[28:29], s[24:25], 0x0
                                        ; implicit-def: $vgpr10_vgpr11
	s_mov_b32 s0, exec_lo
	s_wait_kmcnt 0x0
	s_delay_alu instid0(VALU_DEP_1) | instskip(NEXT) | instid1(VALU_DEP_1)
	v_or_b32_e32 v9, s29, v7
	v_cmpx_ne_u64_e32 0, v[8:9]
	s_xor_b32 s36, exec_lo, s0
	s_cbranch_execz .LBB53_213
; %bb.212:                              ;   in Loop: Header=BB53_211 Depth=1
	s_ashr_i32 s30, s29, 31
	v_dual_mov_b32 v37, v8 :: v_dual_ashrrev_i32 v10, 31, v7
	s_mov_b32 s31, s30
	v_mov_b32_e32 v41, v8
	s_add_nc_u64 s[34:35], s[28:29], s[30:31]
	s_delay_alu instid0(VALU_DEP_2)
	v_mov_b32_e32 v11, v10
	s_xor_b64 s[34:35], s[34:35], s[30:31]
	v_mov_b32_e32 v45, v8
	s_cvt_f32_u32 s0, s34
	s_cvt_f32_u32 s31, s35
	s_sub_nc_u64 s[48:49], 0, s[34:35]
	v_add_nc_u64_e32 v[34:35], v[6:7], v[10:11]
	s_delay_alu instid0(SALU_CYCLE_1) | instskip(NEXT) | instid1(SALU_CYCLE_3)
	s_fmamk_f32 s0, s31, 0x4f800000, s0
	v_s_rcp_f32 s0, s0
	s_delay_alu instid0(VALU_DEP_1) | instskip(NEXT) | instid1(VALU_DEP_2)
	v_xor_b32_e32 v36, v34, v10
	v_xor_b32_e32 v40, v35, v10
	s_delay_alu instid0(TRANS32_DEP_1) | instskip(NEXT) | instid1(SALU_CYCLE_3)
	s_mul_f32 s0, s0, 0x5f7ffffc
	s_mul_f32 s31, s0, 0x2f800000
	s_delay_alu instid0(SALU_CYCLE_3) | instskip(NEXT) | instid1(SALU_CYCLE_3)
	s_trunc_f32 s31, s31
	s_fmamk_f32 s0, s31, 0xcf800000, s0
	s_cvt_u32_f32 s47, s31
	s_delay_alu instid0(SALU_CYCLE_2) | instskip(NEXT) | instid1(SALU_CYCLE_3)
	s_cvt_u32_f32 s46, s0
	s_mul_u64 s[50:51], s[48:49], s[46:47]
	s_delay_alu instid0(SALU_CYCLE_1)
	s_mul_hi_u32 s53, s46, s51
	s_mul_i32 s52, s46, s51
	s_mul_hi_u32 s0, s46, s50
	s_mul_i32 s37, s47, s50
	s_add_nc_u64 s[52:53], s[0:1], s[52:53]
	s_mul_hi_u32 s31, s47, s50
	s_mul_hi_u32 s45, s47, s51
	s_add_co_u32 s0, s52, s37
	s_add_co_ci_u32 s0, s53, s31
	s_mul_i32 s50, s47, s51
	s_add_co_ci_u32 s51, s45, 0
	s_delay_alu instid0(SALU_CYCLE_1) | instskip(NEXT) | instid1(SALU_CYCLE_1)
	s_add_nc_u64 s[50:51], s[0:1], s[50:51]
	s_add_co_u32 s46, s46, s50
	s_cselect_b32 s0, -1, 0
	s_delay_alu instid0(SALU_CYCLE_1) | instskip(SKIP_1) | instid1(SALU_CYCLE_1)
	s_cmp_lg_u32 s0, 0
	s_add_co_ci_u32 s47, s47, s51
	s_mul_u64 s[48:49], s[48:49], s[46:47]
	s_delay_alu instid0(SALU_CYCLE_1)
	s_mul_hi_u32 s51, s46, s49
	s_mul_i32 s50, s46, s49
	s_mul_hi_u32 s0, s46, s48
	s_mul_i32 s37, s47, s48
	s_add_nc_u64 s[50:51], s[0:1], s[50:51]
	s_mul_hi_u32 s31, s47, s48
	s_mul_hi_u32 s45, s47, s49
	s_add_co_u32 s0, s50, s37
	s_add_co_ci_u32 s0, s51, s31
	s_mul_i32 s48, s47, s49
	s_add_co_ci_u32 s49, s45, 0
	s_delay_alu instid0(SALU_CYCLE_1) | instskip(NEXT) | instid1(SALU_CYCLE_1)
	s_add_nc_u64 s[48:49], s[0:1], s[48:49]
	s_add_co_u32 s46, s46, s48
	s_cselect_b32 s0, -1, 0
	v_mul_hi_u32 v44, v36, s46
	s_cmp_lg_u32 s0, 0
	s_add_co_ci_u32 s0, s47, s49
	s_and_b64 s[48:49], s[46:47], s[20:21]
	v_mul_u64_e32 v[38:39], s[0:1], v[36:37]
	v_mul_u64_e32 v[34:35], s[48:49], v[40:41]
	;; [unrolled: 1-line block ×3, first 2 shown]
	s_delay_alu instid0(VALU_DEP_3) | instskip(NEXT) | instid1(VALU_DEP_1)
	v_add_nc_u64_e32 v[38:39], v[44:45], v[38:39]
	v_add_co_u32 v1, vcc_lo, v38, v34
	s_delay_alu instid0(VALU_DEP_2) | instskip(NEXT) | instid1(VALU_DEP_4)
	v_add_co_ci_u32_e32 v44, vcc_lo, v39, v35, vcc_lo
	v_add_co_ci_u32_e32 v43, vcc_lo, 0, v43, vcc_lo
	s_delay_alu instid0(VALU_DEP_1) | instskip(NEXT) | instid1(VALU_DEP_1)
	v_add_nc_u64_e32 v[34:35], v[44:45], v[42:43]
	v_mul_u64_e32 v[38:39], s[34:35], v[34:35]
	s_delay_alu instid0(VALU_DEP_1) | instskip(NEXT) | instid1(VALU_DEP_2)
	v_sub_nc_u32_e32 v1, v40, v39
	v_sub_co_u32 v3, vcc_lo, v36, v38
	s_delay_alu instid0(VALU_DEP_1) | instskip(NEXT) | instid1(VALU_DEP_3)
	v_sub_co_ci_u32_e64 v11, null, v40, v39, vcc_lo
	v_subrev_co_ci_u32_e64 v1, null, s35, v1, vcc_lo
	s_delay_alu instid0(VALU_DEP_3) | instskip(SKIP_1) | instid1(VALU_DEP_3)
	v_sub_co_u32 v9, s0, v3, s34
	v_add_nc_u64_e32 v[38:39], 1, v[34:35]
	v_subrev_co_ci_u32_e64 v1, null, 0, v1, s0
	s_delay_alu instid0(VALU_DEP_3) | instskip(SKIP_1) | instid1(VALU_DEP_3)
	v_cmp_le_u32_e32 vcc_lo, s34, v9
	v_cndmask_b32_e64 v9, 0, -1, vcc_lo
	v_cmp_le_u32_e32 vcc_lo, s35, v1
	v_cndmask_b32_e64 v36, 0, -1, vcc_lo
	;; [unrolled: 2-line block ×4, first 2 shown]
	v_cmp_eq_u32_e32 vcc_lo, s35, v1
	v_cndmask_b32_e32 v1, v36, v9, vcc_lo
	v_cmp_eq_u32_e32 vcc_lo, s35, v11
	v_add_nc_u64_e32 v[36:37], 2, v[34:35]
	v_cndmask_b32_e32 v3, v40, v3, vcc_lo
	s_delay_alu instid0(VALU_DEP_4) | instskip(NEXT) | instid1(VALU_DEP_3)
	v_cmp_ne_u32_e32 vcc_lo, 0, v1
	v_cndmask_b32_e32 v1, v39, v37, vcc_lo
	s_delay_alu instid0(VALU_DEP_3) | instskip(SKIP_1) | instid1(VALU_DEP_1)
	v_cmp_ne_u32_e64 s0, 0, v3
	v_dual_cndmask_b32 v3, v38, v36, vcc_lo :: v_dual_bitop2_b32 v10, s30, v10 bitop3:0x14
	v_dual_cndmask_b32 v1, v35, v1, s0 :: v_dual_cndmask_b32 v3, v34, v3, s0
	s_delay_alu instid0(VALU_DEP_1) | instskip(NEXT) | instid1(VALU_DEP_2)
	v_dual_mov_b32 v11, v10 :: v_dual_bitop2_b32 v35, v1, v10 bitop3:0x14
	v_xor_b32_e32 v34, v3, v10
	s_delay_alu instid0(VALU_DEP_1)
	v_sub_nc_u64_e32 v[10:11], v[34:35], v[10:11]
.LBB53_213:                             ;   in Loop: Header=BB53_211 Depth=1
	s_and_not1_saveexec_b32 s0, s36
	s_cbranch_execz .LBB53_210
; %bb.214:                              ;   in Loop: Header=BB53_211 Depth=1
	v_cvt_f32_u32_e32 v1, s28
	s_sub_co_i32 s30, 0, s28
	v_mov_b32_e32 v11, v8
	s_delay_alu instid0(VALU_DEP_2) | instskip(SKIP_1) | instid1(TRANS32_DEP_1)
	v_rcp_iflag_f32_e32 v1, v1
	v_nop
	v_mul_f32_e32 v1, 0x4f7ffffe, v1
	s_delay_alu instid0(VALU_DEP_1) | instskip(NEXT) | instid1(VALU_DEP_1)
	v_cvt_u32_f32_e32 v1, v1
	v_mul_lo_u32 v3, s30, v1
	s_delay_alu instid0(VALU_DEP_1) | instskip(NEXT) | instid1(VALU_DEP_1)
	v_mul_hi_u32 v3, v1, v3
	v_add_nc_u32_e32 v1, v1, v3
	s_delay_alu instid0(VALU_DEP_1) | instskip(NEXT) | instid1(VALU_DEP_1)
	v_mul_hi_u32 v1, v6, v1
	v_mul_lo_u32 v3, v1, s28
	s_delay_alu instid0(VALU_DEP_1) | instskip(NEXT) | instid1(VALU_DEP_1)
	v_sub_nc_u32_e32 v3, v6, v3
	v_subrev_nc_u32_e32 v10, s28, v3
	v_cmp_le_u32_e32 vcc_lo, s28, v3
	s_delay_alu instid0(VALU_DEP_2) | instskip(NEXT) | instid1(VALU_DEP_1)
	v_dual_add_nc_u32 v9, 1, v1 :: v_dual_cndmask_b32 v3, v3, v10, vcc_lo
	v_cndmask_b32_e32 v1, v1, v9, vcc_lo
	s_delay_alu instid0(VALU_DEP_2) | instskip(NEXT) | instid1(VALU_DEP_2)
	v_cmp_le_u32_e32 vcc_lo, s28, v3
	v_add_nc_u32_e32 v9, 1, v1
	s_delay_alu instid0(VALU_DEP_1)
	v_cndmask_b32_e32 v10, v1, v9, vcc_lo
	s_branch .LBB53_210
.LBB53_215:
	s_load_b64 s[20:21], s[2:3], 0x2a8
	s_get_pc_i64 s[0:1]
	s_add_nc_u64 s[0:1], s[0:1], .str.4@rel64+4
	s_mov_b32 s45, s19
	s_cmp_lg_u64 s[0:1], 0
	s_mov_b32 s1, -1
	s_cselect_b32 s50, -1, 0
	s_mov_b32 s0, exec_lo
	v_cmpx_gt_i32_e64 v0, v2
	s_cbranch_execz .LBB53_222
; %bb.216:
	v_lshlrev_b64_e32 v[4:5], 2, v[4:5]
	v_dual_ashrrev_i32 v3, 31, v2 :: v_dual_ashrrev_i32 v1, 31, v0
	s_mov_b32 s13, 0
	s_xor_b32 s24, s50, -1
                                        ; implicit-def: $sgpr1
                                        ; implicit-def: $sgpr26
                                        ; implicit-def: $sgpr25
	s_delay_alu instid0(VALU_DEP_1) | instskip(SKIP_2) | instid1(VALU_DEP_2)
	v_lshl_add_u64 v[2:3], v[2:3], 2, v[4:5]
	s_wait_kmcnt 0x0
	v_add_nc_u64_e32 v[4:5], s[20:21], v[4:5]
	v_add_nc_u64_e32 v[2:3], s[20:21], v[2:3]
	s_delay_alu instid0(VALU_DEP_2) | instskip(NEXT) | instid1(VALU_DEP_2)
	v_lshl_add_u64 v[0:1], v[0:1], 2, v[4:5]
	v_add_nc_u64_e32 v[2:3], 4, v[2:3]
	s_branch .LBB53_218
.LBB53_217:                             ;   in Loop: Header=BB53_218 Depth=1
	s_or_b32 exec_lo, exec_lo, s27
	s_xor_b32 s27, s25, -1
	s_and_b32 s28, exec_lo, s26
	s_delay_alu instid0(SALU_CYCLE_1) | instskip(SKIP_2) | instid1(SALU_CYCLE_1)
	s_or_b32 s13, s28, s13
	s_and_not1_b32 s1, s1, exec_lo
	s_and_b32 s27, s27, exec_lo
	s_or_b32 s1, s1, s27
	s_and_not1_b32 exec_lo, exec_lo, s13
	s_cbranch_execz .LBB53_220
.LBB53_218:                             ; =>This Inner Loop Header: Depth=1
	s_or_b32 s25, s25, exec_lo
	s_or_b32 s26, s26, exec_lo
	s_mov_b32 s27, exec_lo
	s_delay_alu instid0(VALU_DEP_1)
	v_cmpx_lt_u64_e64 v[2:3], v[0:1]
	s_cbranch_execz .LBB53_217
; %bb.219:                              ;   in Loop: Header=BB53_218 Depth=1
	global_load_b64 v[4:5], v[2:3], off offset:-4
	s_wait_xcnt 0x0
	v_add_nc_u64_e32 v[2:3], 4, v[2:3]
	s_and_not1_b32 s26, s26, exec_lo
	s_and_not1_b32 s25, s25, exec_lo
	s_wait_loadcnt 0x0
	v_cmp_ge_i32_e32 vcc_lo, v4, v5
	s_or_b32 s28, s24, vcc_lo
	s_delay_alu instid0(SALU_CYCLE_1) | instskip(NEXT) | instid1(SALU_CYCLE_1)
	s_and_b32 s28, s28, exec_lo
	s_or_b32 s26, s26, s28
	s_branch .LBB53_217
.LBB53_220:
	s_or_b32 exec_lo, exec_lo, s13
	s_mov_b32 s13, -1
	s_mov_b32 s24, s19
	s_and_saveexec_b32 s25, s1
	s_delay_alu instid0(SALU_CYCLE_1)
	s_xor_b32 s1, exec_lo, s25
	s_cbranch_execnz .LBB53_257
.LBB53_221:
	s_or_b32 exec_lo, exec_lo, s1
	s_delay_alu instid0(SALU_CYCLE_1) | instskip(SKIP_1) | instid1(SALU_CYCLE_1)
	s_and_not1_b32 s1, s19, exec_lo
	s_and_b32 s24, s24, exec_lo
	s_or_b32 s45, s1, s24
	s_or_not1_b32 s1, s13, exec_lo
.LBB53_222:
	s_or_b32 exec_lo, exec_lo, s0
	s_mov_b32 s0, 0
	s_and_saveexec_b32 s46, s1
	s_cbranch_execz .LBB53_304
; %bb.223:
	global_load_b32 v0, v33, s[6:7]
	s_mov_b32 s47, s45
	s_mov_b32 s0, exec_lo
	s_wait_loadcnt 0x0
	v_cmpx_ne_u32_e64 v0, v24
	s_xor_b32 s0, exec_lo, s0
	s_cbranch_execnz .LBB53_283
; %bb.224:
	s_or_saveexec_b32 s48, s0
	s_mov_b32 s0, 0
	s_xor_b32 exec_lo, exec_lo, s48
	s_cbranch_execz .LBB53_303
.LBB53_225:
	global_load_b32 v0, v32, s[16:17]
	s_mov_b32 s49, s47
	s_mov_b32 s0, exec_lo
	s_wait_loadcnt 0x0
	v_cmpx_ne_u32_e64 v0, v23
	s_xor_b32 s0, exec_lo, s0
	s_cbranch_execnz .LBB53_289
; %bb.226:
	s_or_saveexec_b32 s51, s0
	s_mov_b32 s0, 0
	s_xor_b32 exec_lo, exec_lo, s51
	s_cbranch_execz .LBB53_302
.LBB53_227:
	global_load_b32 v2, v31, s[8:9]
	global_load_b32 v0, v30, s[10:11]
	s_mov_b32 s52, s49
	s_wait_loadcnt 0x0
	v_sub_nc_u32_e32 v1, v0, v2
	s_delay_alu instid0(VALU_DEP_1) | instskip(SKIP_4) | instid1(SALU_CYCLE_1)
	v_cmp_gt_i32_e32 vcc_lo, v24, v1
	v_cmp_lt_i32_e64 s0, s18, v1
	s_or_b32 s0, vcc_lo, s0
	s_wait_xcnt 0x0
	s_and_saveexec_b32 s1, s0
	s_xor_b32 s0, exec_lo, s1
	s_cbranch_execnz .LBB53_311
; %bb.228:
	s_or_saveexec_b32 s53, s0
	s_mov_b32 s0, 0
	s_xor_b32 exec_lo, exec_lo, s53
	s_cbranch_execz .LBB53_301
.LBB53_229:
	v_cmp_ne_u32_e32 vcc_lo, 1, v28
	v_mov_b64_e32 v[4:5], 0
	s_cbranch_vccnz .LBB53_236
; %bb.230:
	global_load_b32 v4, v29, s[22:23]
	s_load_b128 s[28:31], s[2:3], 0x298
	s_mov_b32 s1, 0
	s_mov_b64 s[24:25], 0xffffffff
	s_mov_b32 s13, s1
	v_mov_b32_e32 v8, 0
	s_lshl_b64 s[34:35], s[12:13], 3
	s_mov_b32 s13, s44
	s_wait_kmcnt 0x0
	s_add_nc_u64 s[26:27], s[28:29], s[34:35]
	s_add_nc_u64 s[28:29], s[30:31], s[34:35]
	s_wait_loadcnt 0x0
	v_ashrrev_i32_e32 v5, 31, v4
	s_delay_alu instid0(VALU_DEP_1)
	v_mul_u64_e32 v[6:7], s[14:15], v[4:5]
	v_mov_b64_e32 v[4:5], 0
	s_branch .LBB53_232
.LBB53_231:                             ;   in Loop: Header=BB53_232 Depth=1
	s_or_b32 exec_lo, exec_lo, s0
	s_delay_alu instid0(VALU_DEP_1)
	v_mul_u64_e32 v[30:31], s[30:31], v[10:11]
	s_load_b64 s[30:31], s[28:29], 0x0
	s_add_co_i32 s13, s13, -1
	s_add_nc_u64 s[26:27], s[26:27], -8
	s_cmp_eq_u32 s13, 0
	s_wait_xcnt 0x0
	s_add_nc_u64 s[28:29], s[28:29], -8
	s_delay_alu instid0(VALU_DEP_1) | instskip(SKIP_1) | instid1(VALU_DEP_1)
	v_sub_nc_u64_e32 v[6:7], v[6:7], v[30:31]
	s_wait_kmcnt 0x0
	v_mad_nc_u64_u32 v[4:5], v6, s30, v[4:5]
	s_delay_alu instid0(VALU_DEP_1) | instskip(NEXT) | instid1(VALU_DEP_1)
	v_mad_u32 v1, v7, s30, v5
	v_mad_u32 v5, v6, s31, v1
	v_mov_b64_e32 v[6:7], v[10:11]
	s_cbranch_scc1 .LBB53_236
.LBB53_232:                             ; =>This Inner Loop Header: Depth=1
	s_load_b64 s[30:31], s[26:27], 0x0
                                        ; implicit-def: $vgpr10_vgpr11
	s_mov_b32 s0, exec_lo
	s_wait_kmcnt 0x0
	s_delay_alu instid0(VALU_DEP_1) | instskip(NEXT) | instid1(VALU_DEP_1)
	v_or_b32_e32 v9, s31, v7
	v_cmpx_ne_u64_e32 0, v[8:9]
	s_xor_b32 s54, exec_lo, s0
	s_cbranch_execz .LBB53_234
; %bb.233:                              ;   in Loop: Header=BB53_232 Depth=1
	s_ashr_i32 s34, s31, 31
	v_dual_mov_b32 v33, v8 :: v_dual_ashrrev_i32 v10, 31, v7
	s_mov_b32 s35, s34
	v_mov_b32_e32 v37, v8
	s_add_nc_u64 s[36:37], s[30:31], s[34:35]
	s_delay_alu instid0(VALU_DEP_2)
	v_mov_b32_e32 v11, v10
	s_xor_b64 s[36:37], s[36:37], s[34:35]
	v_mov_b32_e32 v41, v8
	s_cvt_f32_u32 s0, s36
	s_cvt_f32_u32 s35, s37
	s_sub_nc_u64 s[58:59], 0, s[36:37]
	v_add_nc_u64_e32 v[30:31], v[6:7], v[10:11]
	s_delay_alu instid0(SALU_CYCLE_1) | instskip(NEXT) | instid1(SALU_CYCLE_3)
	s_fmamk_f32 s0, s35, 0x4f800000, s0
	v_s_rcp_f32 s0, s0
	s_delay_alu instid0(VALU_DEP_1) | instskip(NEXT) | instid1(VALU_DEP_2)
	v_xor_b32_e32 v32, v30, v10
	v_xor_b32_e32 v36, v31, v10
	s_delay_alu instid0(TRANS32_DEP_1) | instskip(NEXT) | instid1(SALU_CYCLE_3)
	s_mul_f32 s0, s0, 0x5f7ffffc
	s_mul_f32 s35, s0, 0x2f800000
	s_delay_alu instid0(SALU_CYCLE_3) | instskip(NEXT) | instid1(SALU_CYCLE_3)
	s_trunc_f32 s35, s35
	s_fmamk_f32 s0, s35, 0xcf800000, s0
	s_cvt_u32_f32 s57, s35
	s_delay_alu instid0(SALU_CYCLE_2) | instskip(NEXT) | instid1(SALU_CYCLE_3)
	s_cvt_u32_f32 s56, s0
	s_mul_u64 s[60:61], s[58:59], s[56:57]
	s_delay_alu instid0(SALU_CYCLE_1)
	s_mul_hi_u32 s63, s56, s61
	s_mul_i32 s62, s56, s61
	s_mul_hi_u32 s0, s56, s60
	s_mul_i32 s55, s57, s60
	s_add_nc_u64 s[62:63], s[0:1], s[62:63]
	s_mul_hi_u32 s35, s57, s60
	s_mul_hi_u32 s64, s57, s61
	s_add_co_u32 s0, s62, s55
	s_add_co_ci_u32 s0, s63, s35
	s_mul_i32 s60, s57, s61
	s_add_co_ci_u32 s61, s64, 0
	s_delay_alu instid0(SALU_CYCLE_1) | instskip(NEXT) | instid1(SALU_CYCLE_1)
	s_add_nc_u64 s[60:61], s[0:1], s[60:61]
	s_add_co_u32 s56, s56, s60
	s_cselect_b32 s0, -1, 0
	s_delay_alu instid0(SALU_CYCLE_1) | instskip(SKIP_1) | instid1(SALU_CYCLE_1)
	s_cmp_lg_u32 s0, 0
	s_add_co_ci_u32 s57, s57, s61
	s_mul_u64 s[58:59], s[58:59], s[56:57]
	s_delay_alu instid0(SALU_CYCLE_1)
	s_mul_hi_u32 s61, s56, s59
	s_mul_i32 s60, s56, s59
	s_mul_hi_u32 s0, s56, s58
	s_mul_i32 s55, s57, s58
	s_add_nc_u64 s[60:61], s[0:1], s[60:61]
	s_mul_hi_u32 s35, s57, s58
	s_mul_hi_u32 s62, s57, s59
	s_add_co_u32 s0, s60, s55
	s_add_co_ci_u32 s0, s61, s35
	s_mul_i32 s58, s57, s59
	s_add_co_ci_u32 s59, s62, 0
	s_delay_alu instid0(SALU_CYCLE_1) | instskip(NEXT) | instid1(SALU_CYCLE_1)
	s_add_nc_u64 s[58:59], s[0:1], s[58:59]
	s_add_co_u32 s56, s56, s58
	s_cselect_b32 s0, -1, 0
	v_mul_hi_u32 v40, v32, s56
	s_cmp_lg_u32 s0, 0
	s_add_co_ci_u32 s0, s57, s59
	s_and_b64 s[58:59], s[56:57], s[24:25]
	v_mul_u64_e32 v[34:35], s[0:1], v[32:33]
	v_mul_u64_e32 v[30:31], s[58:59], v[36:37]
	;; [unrolled: 1-line block ×3, first 2 shown]
	s_delay_alu instid0(VALU_DEP_3) | instskip(NEXT) | instid1(VALU_DEP_1)
	v_add_nc_u64_e32 v[34:35], v[40:41], v[34:35]
	v_add_co_u32 v1, vcc_lo, v34, v30
	s_delay_alu instid0(VALU_DEP_2) | instskip(NEXT) | instid1(VALU_DEP_4)
	v_add_co_ci_u32_e32 v40, vcc_lo, v35, v31, vcc_lo
	v_add_co_ci_u32_e32 v39, vcc_lo, 0, v39, vcc_lo
	s_delay_alu instid0(VALU_DEP_1) | instskip(NEXT) | instid1(VALU_DEP_1)
	v_add_nc_u64_e32 v[30:31], v[40:41], v[38:39]
	v_mul_u64_e32 v[34:35], s[36:37], v[30:31]
	s_delay_alu instid0(VALU_DEP_1) | instskip(SKIP_1) | instid1(VALU_DEP_3)
	v_sub_co_u32 v3, vcc_lo, v32, v34
	v_add_nc_u64_e32 v[32:33], 2, v[30:31]
	v_sub_nc_u32_e32 v1, v36, v35
	v_sub_co_ci_u32_e64 v11, null, v36, v35, vcc_lo
	s_delay_alu instid0(VALU_DEP_4) | instskip(NEXT) | instid1(VALU_DEP_3)
	v_sub_co_u32 v9, s0, v3, s36
	v_subrev_co_ci_u32_e64 v1, null, s37, v1, vcc_lo
	v_add_nc_u64_e32 v[34:35], 1, v[30:31]
	s_delay_alu instid0(VALU_DEP_3) | instskip(NEXT) | instid1(VALU_DEP_3)
	v_cmp_le_u32_e32 vcc_lo, s36, v9
	v_subrev_co_ci_u32_e64 v1, null, 0, v1, s0
	v_cndmask_b32_e64 v9, 0, -1, vcc_lo
	s_delay_alu instid0(VALU_DEP_2)
	v_cmp_le_u32_e32 vcc_lo, s37, v1
	v_cndmask_b32_e64 v29, 0, -1, vcc_lo
	v_cmp_le_u32_e32 vcc_lo, s36, v3
	v_cndmask_b32_e64 v3, 0, -1, vcc_lo
	;; [unrolled: 2-line block ×3, first 2 shown]
	v_cmp_eq_u32_e32 vcc_lo, s37, v1
	v_cndmask_b32_e32 v1, v29, v9, vcc_lo
	v_cmp_eq_u32_e32 vcc_lo, s37, v11
	s_delay_alu instid0(VALU_DEP_4) | instskip(NEXT) | instid1(VALU_DEP_3)
	v_cndmask_b32_e32 v3, v36, v3, vcc_lo
	v_cmp_ne_u32_e32 vcc_lo, 0, v1
	v_cndmask_b32_e32 v1, v35, v33, vcc_lo
	s_delay_alu instid0(VALU_DEP_3) | instskip(SKIP_1) | instid1(VALU_DEP_1)
	v_cmp_ne_u32_e64 s0, 0, v3
	v_dual_cndmask_b32 v3, v34, v32, vcc_lo :: v_dual_bitop2_b32 v10, s34, v10 bitop3:0x14
	v_dual_cndmask_b32 v1, v31, v1, s0 :: v_dual_cndmask_b32 v3, v30, v3, s0
	s_delay_alu instid0(VALU_DEP_1) | instskip(NEXT) | instid1(VALU_DEP_2)
	v_dual_mov_b32 v11, v10 :: v_dual_bitop2_b32 v31, v1, v10 bitop3:0x14
	v_xor_b32_e32 v30, v3, v10
	s_delay_alu instid0(VALU_DEP_1)
	v_sub_nc_u64_e32 v[10:11], v[30:31], v[10:11]
.LBB53_234:                             ;   in Loop: Header=BB53_232 Depth=1
	s_and_not1_saveexec_b32 s0, s54
	s_cbranch_execz .LBB53_231
; %bb.235:                              ;   in Loop: Header=BB53_232 Depth=1
	v_cvt_f32_u32_e32 v1, s30
	s_sub_co_i32 s34, 0, s30
	v_mov_b32_e32 v11, v8
	s_delay_alu instid0(VALU_DEP_2) | instskip(SKIP_1) | instid1(TRANS32_DEP_1)
	v_rcp_iflag_f32_e32 v1, v1
	v_nop
	v_mul_f32_e32 v1, 0x4f7ffffe, v1
	s_delay_alu instid0(VALU_DEP_1) | instskip(NEXT) | instid1(VALU_DEP_1)
	v_cvt_u32_f32_e32 v1, v1
	v_mul_lo_u32 v3, s34, v1
	s_delay_alu instid0(VALU_DEP_1) | instskip(NEXT) | instid1(VALU_DEP_1)
	v_mul_hi_u32 v3, v1, v3
	v_add_nc_u32_e32 v1, v1, v3
	s_delay_alu instid0(VALU_DEP_1) | instskip(NEXT) | instid1(VALU_DEP_1)
	v_mul_hi_u32 v1, v6, v1
	v_mul_lo_u32 v3, v1, s30
	s_delay_alu instid0(VALU_DEP_1) | instskip(NEXT) | instid1(VALU_DEP_1)
	v_sub_nc_u32_e32 v3, v6, v3
	v_subrev_nc_u32_e32 v10, s30, v3
	v_cmp_le_u32_e32 vcc_lo, s30, v3
	s_delay_alu instid0(VALU_DEP_2) | instskip(NEXT) | instid1(VALU_DEP_1)
	v_dual_add_nc_u32 v9, 1, v1 :: v_dual_cndmask_b32 v3, v3, v10, vcc_lo
	v_cndmask_b32_e32 v1, v1, v9, vcc_lo
	s_delay_alu instid0(VALU_DEP_2) | instskip(NEXT) | instid1(VALU_DEP_2)
	v_cmp_le_u32_e32 vcc_lo, s30, v3
	v_add_nc_u32_e32 v9, 1, v1
	s_delay_alu instid0(VALU_DEP_1)
	v_cndmask_b32_e32 v10, v1, v9, vcc_lo
	s_branch .LBB53_231
.LBB53_236:
	s_mov_b32 s1, -1
	s_mov_b32 s54, s52
	s_mov_b32 s0, exec_lo
	v_cmpx_gt_i32_e64 v0, v2
	s_cbranch_execz .LBB53_243
; %bb.237:
	s_delay_alu instid0(VALU_DEP_2) | instskip(SKIP_3) | instid1(VALU_DEP_1)
	v_lshlrev_b64_e32 v[4:5], 2, v[4:5]
	v_dual_ashrrev_i32 v3, 31, v2 :: v_dual_ashrrev_i32 v1, 31, v0
	s_mov_b32 s13, 0
	s_xor_b32 s24, s50, -1
                                        ; implicit-def: $sgpr1
                                        ; implicit-def: $sgpr26
                                        ; implicit-def: $sgpr25
	v_lshl_add_u64 v[2:3], v[2:3], 2, v[4:5]
	s_wait_kmcnt 0x0
	v_add_nc_u64_e32 v[4:5], s[20:21], v[4:5]
	s_delay_alu instid0(VALU_DEP_2) | instskip(NEXT) | instid1(VALU_DEP_2)
	v_add_nc_u64_e32 v[2:3], s[20:21], v[2:3]
	v_lshl_add_u64 v[0:1], v[0:1], 2, v[4:5]
	s_delay_alu instid0(VALU_DEP_2)
	v_add_nc_u64_e32 v[2:3], 4, v[2:3]
	s_branch .LBB53_239
.LBB53_238:                             ;   in Loop: Header=BB53_239 Depth=1
	s_or_b32 exec_lo, exec_lo, s27
	s_xor_b32 s27, s25, -1
	s_and_b32 s28, exec_lo, s26
	s_delay_alu instid0(SALU_CYCLE_1) | instskip(SKIP_2) | instid1(SALU_CYCLE_1)
	s_or_b32 s13, s28, s13
	s_and_not1_b32 s1, s1, exec_lo
	s_and_b32 s27, s27, exec_lo
	s_or_b32 s1, s1, s27
	s_and_not1_b32 exec_lo, exec_lo, s13
	s_cbranch_execz .LBB53_241
.LBB53_239:                             ; =>This Inner Loop Header: Depth=1
	s_or_b32 s25, s25, exec_lo
	s_or_b32 s26, s26, exec_lo
	s_mov_b32 s27, exec_lo
	s_delay_alu instid0(VALU_DEP_1)
	v_cmpx_lt_u64_e64 v[2:3], v[0:1]
	s_cbranch_execz .LBB53_238
; %bb.240:                              ;   in Loop: Header=BB53_239 Depth=1
	global_load_b64 v[4:5], v[2:3], off offset:-4
	s_wait_xcnt 0x0
	v_add_nc_u64_e32 v[2:3], 4, v[2:3]
	s_and_not1_b32 s26, s26, exec_lo
	s_and_not1_b32 s25, s25, exec_lo
	s_wait_loadcnt 0x0
	v_cmp_ge_i32_e32 vcc_lo, v4, v5
	s_or_b32 s28, s24, vcc_lo
	s_delay_alu instid0(SALU_CYCLE_1) | instskip(NEXT) | instid1(SALU_CYCLE_1)
	s_and_b32 s28, s28, exec_lo
	s_or_b32 s26, s26, s28
	s_branch .LBB53_238
.LBB53_241:
	s_or_b32 exec_lo, exec_lo, s13
	s_mov_b32 s13, -1
	s_mov_b32 s24, s52
	s_and_saveexec_b32 s25, s1
	s_delay_alu instid0(SALU_CYCLE_1)
	s_xor_b32 s1, exec_lo, s25
	s_cbranch_execnz .LBB53_281
.LBB53_242:
	s_or_b32 exec_lo, exec_lo, s1
	s_delay_alu instid0(SALU_CYCLE_1) | instskip(SKIP_1) | instid1(SALU_CYCLE_1)
	s_and_not1_b32 s1, s52, exec_lo
	s_and_b32 s24, s24, exec_lo
	s_or_b32 s54, s1, s24
	s_or_not1_b32 s1, s13, exec_lo
.LBB53_243:
	s_or_b32 exec_lo, exec_lo, s0
	s_mov_b32 s0, 0
	s_and_saveexec_b32 s55, s1
	s_cbranch_execz .LBB53_300
; %bb.244:
	global_load_b32 v0, v27, s[6:7]
	s_mov_b32 s56, s54
	s_mov_b32 s0, exec_lo
	s_wait_loadcnt 0x0
	v_cmpx_ne_u32_e64 v0, v24
	s_xor_b32 s0, exec_lo, s0
	s_cbranch_execnz .LBB53_312
; %bb.245:
	s_or_saveexec_b32 s57, s0
	s_mov_b32 s0, 0
	s_xor_b32 exec_lo, exec_lo, s57
	s_cbranch_execz .LBB53_299
.LBB53_246:
	global_load_b32 v0, v26, s[16:17]
	s_mov_b32 s58, s56
	s_mov_b32 s0, exec_lo
	s_wait_loadcnt 0x0
	v_cmpx_ne_u32_e64 v0, v23
	s_xor_b32 s0, exec_lo, s0
	s_cbranch_execnz .LBB53_313
; %bb.247:
	s_or_saveexec_b32 s59, s0
	s_mov_b32 s0, 0
	s_xor_b32 exec_lo, exec_lo, s59
	s_cbranch_execz .LBB53_298
.LBB53_248:
	global_load_b32 v2, v25, s[8:9]
	global_load_b32 v0, v22, s[10:11]
	s_mov_b32 s60, s58
	s_wait_loadcnt 0x0
	v_sub_nc_u32_e32 v1, v0, v2
	s_delay_alu instid0(VALU_DEP_1) | instskip(SKIP_4) | instid1(SALU_CYCLE_1)
	v_cmp_gt_i32_e32 vcc_lo, v24, v1
	v_cmp_lt_i32_e64 s0, s18, v1
	s_or_b32 s0, vcc_lo, s0
	s_wait_xcnt 0x0
	s_and_saveexec_b32 s1, s0
	s_xor_b32 s0, exec_lo, s1
	s_cbranch_execnz .LBB53_315
; %bb.249:
	s_or_saveexec_b32 s61, s0
	s_mov_b32 s0, 0
	s_xor_b32 exec_lo, exec_lo, s61
	s_cbranch_execz .LBB53_297
.LBB53_250:
	v_cmp_ne_u32_e32 vcc_lo, 1, v28
	v_mov_b64_e32 v[4:5], 0
	s_cbranch_vccnz .LBB53_259
; %bb.251:
	global_load_b32 v4, v21, s[22:23]
	s_load_b128 s[28:31], s[2:3], 0x298
	s_mov_b32 s1, 0
	s_mov_b64 s[24:25], 0xffffffff
	s_mov_b32 s13, s1
	v_mov_b32_e32 v8, 0
	s_lshl_b64 s[34:35], s[12:13], 3
	s_mov_b32 s13, s44
	s_wait_kmcnt 0x0
	s_add_nc_u64 s[26:27], s[28:29], s[34:35]
	s_add_nc_u64 s[28:29], s[30:31], s[34:35]
	s_wait_loadcnt 0x0
	v_ashrrev_i32_e32 v5, 31, v4
	s_delay_alu instid0(VALU_DEP_1)
	v_mul_u64_e32 v[6:7], s[14:15], v[4:5]
	v_mov_b64_e32 v[4:5], 0
	s_branch .LBB53_253
.LBB53_252:                             ;   in Loop: Header=BB53_253 Depth=1
	s_or_b32 exec_lo, exec_lo, s0
	s_delay_alu instid0(VALU_DEP_1)
	v_mul_u64_e32 v[26:27], s[30:31], v[10:11]
	s_load_b64 s[30:31], s[28:29], 0x0
	s_add_co_i32 s13, s13, -1
	s_add_nc_u64 s[26:27], s[26:27], -8
	s_cmp_eq_u32 s13, 0
	s_wait_xcnt 0x0
	s_add_nc_u64 s[28:29], s[28:29], -8
	s_delay_alu instid0(VALU_DEP_1) | instskip(SKIP_1) | instid1(VALU_DEP_1)
	v_sub_nc_u64_e32 v[6:7], v[6:7], v[26:27]
	s_wait_kmcnt 0x0
	v_mad_nc_u64_u32 v[4:5], v6, s30, v[4:5]
	s_delay_alu instid0(VALU_DEP_1) | instskip(NEXT) | instid1(VALU_DEP_1)
	v_mad_u32 v1, v7, s30, v5
	v_mad_u32 v5, v6, s31, v1
	v_mov_b64_e32 v[6:7], v[10:11]
	s_cbranch_scc1 .LBB53_259
.LBB53_253:                             ; =>This Inner Loop Header: Depth=1
	s_load_b64 s[30:31], s[26:27], 0x0
                                        ; implicit-def: $vgpr10_vgpr11
	s_mov_b32 s0, exec_lo
	s_wait_kmcnt 0x0
	s_delay_alu instid0(VALU_DEP_1) | instskip(NEXT) | instid1(VALU_DEP_1)
	v_or_b32_e32 v9, s31, v7
	v_cmpx_ne_u64_e32 0, v[8:9]
	s_xor_b32 s62, exec_lo, s0
	s_cbranch_execz .LBB53_255
; %bb.254:                              ;   in Loop: Header=BB53_253 Depth=1
	s_ashr_i32 s34, s31, 31
	v_dual_mov_b32 v31, v8 :: v_dual_ashrrev_i32 v10, 31, v7
	s_mov_b32 s35, s34
	v_mov_b32_e32 v35, v8
	s_add_nc_u64 s[36:37], s[30:31], s[34:35]
	s_delay_alu instid0(VALU_DEP_2)
	v_mov_b32_e32 v11, v10
	s_xor_b64 s[36:37], s[36:37], s[34:35]
	v_mov_b32_e32 v39, v8
	s_cvt_f32_u32 s0, s36
	s_cvt_f32_u32 s35, s37
	s_sub_nc_u64 s[66:67], 0, s[36:37]
	v_add_nc_u64_e32 v[26:27], v[6:7], v[10:11]
	s_delay_alu instid0(SALU_CYCLE_1) | instskip(NEXT) | instid1(SALU_CYCLE_3)
	s_fmamk_f32 s0, s35, 0x4f800000, s0
	v_s_rcp_f32 s0, s0
	s_delay_alu instid0(VALU_DEP_1) | instskip(NEXT) | instid1(VALU_DEP_2)
	v_xor_b32_e32 v30, v26, v10
	v_xor_b32_e32 v34, v27, v10
	;; [unrolled: 1-line block ×3, first 2 shown]
	s_delay_alu instid0(TRANS32_DEP_1) | instskip(NEXT) | instid1(SALU_CYCLE_3)
	s_mul_f32 s0, s0, 0x5f7ffffc
	s_mul_f32 s35, s0, 0x2f800000
	s_delay_alu instid0(SALU_CYCLE_3) | instskip(NEXT) | instid1(SALU_CYCLE_3)
	s_trunc_f32 s35, s35
	s_fmamk_f32 s0, s35, 0xcf800000, s0
	s_cvt_u32_f32 s65, s35
	s_delay_alu instid0(SALU_CYCLE_2) | instskip(NEXT) | instid1(SALU_CYCLE_3)
	s_cvt_u32_f32 s64, s0
	s_mul_u64 s[68:69], s[66:67], s[64:65]
	s_delay_alu instid0(SALU_CYCLE_1)
	s_mul_hi_u32 s71, s64, s69
	s_mul_i32 s70, s64, s69
	s_mul_hi_u32 s0, s64, s68
	s_mul_i32 s63, s65, s68
	s_add_nc_u64 s[70:71], s[0:1], s[70:71]
	s_mul_hi_u32 s35, s65, s68
	s_mul_hi_u32 s72, s65, s69
	s_add_co_u32 s0, s70, s63
	s_add_co_ci_u32 s0, s71, s35
	s_mul_i32 s68, s65, s69
	s_add_co_ci_u32 s69, s72, 0
	s_delay_alu instid0(SALU_CYCLE_1) | instskip(NEXT) | instid1(SALU_CYCLE_1)
	s_add_nc_u64 s[68:69], s[0:1], s[68:69]
	s_add_co_u32 s64, s64, s68
	s_cselect_b32 s0, -1, 0
	s_delay_alu instid0(SALU_CYCLE_1) | instskip(SKIP_1) | instid1(SALU_CYCLE_1)
	s_cmp_lg_u32 s0, 0
	s_add_co_ci_u32 s65, s65, s69
	s_mul_u64 s[66:67], s[66:67], s[64:65]
	s_delay_alu instid0(SALU_CYCLE_1)
	s_mul_hi_u32 s69, s64, s67
	s_mul_i32 s68, s64, s67
	s_mul_hi_u32 s0, s64, s66
	s_mul_i32 s63, s65, s66
	s_add_nc_u64 s[68:69], s[0:1], s[68:69]
	s_mul_hi_u32 s35, s65, s66
	s_mul_hi_u32 s70, s65, s67
	s_add_co_u32 s0, s68, s63
	s_add_co_ci_u32 s0, s69, s35
	s_mul_i32 s66, s65, s67
	s_add_co_ci_u32 s67, s70, 0
	s_delay_alu instid0(SALU_CYCLE_1) | instskip(NEXT) | instid1(SALU_CYCLE_1)
	s_add_nc_u64 s[66:67], s[0:1], s[66:67]
	s_add_co_u32 s64, s64, s66
	s_cselect_b32 s0, -1, 0
	v_mul_hi_u32 v38, v30, s64
	s_cmp_lg_u32 s0, 0
	s_add_co_ci_u32 s0, s65, s67
	s_and_b64 s[66:67], s[64:65], s[24:25]
	v_mul_u64_e32 v[32:33], s[0:1], v[30:31]
	v_mul_u64_e32 v[26:27], s[66:67], v[34:35]
	;; [unrolled: 1-line block ×3, first 2 shown]
	s_delay_alu instid0(VALU_DEP_3) | instskip(NEXT) | instid1(VALU_DEP_1)
	v_add_nc_u64_e32 v[32:33], v[38:39], v[32:33]
	v_add_co_u32 v1, vcc_lo, v32, v26
	s_delay_alu instid0(VALU_DEP_2) | instskip(NEXT) | instid1(VALU_DEP_4)
	v_add_co_ci_u32_e32 v38, vcc_lo, v33, v27, vcc_lo
	v_add_co_ci_u32_e32 v37, vcc_lo, 0, v37, vcc_lo
	s_delay_alu instid0(VALU_DEP_1) | instskip(NEXT) | instid1(VALU_DEP_1)
	v_add_nc_u64_e32 v[26:27], v[38:39], v[36:37]
	v_mul_u64_e32 v[32:33], s[36:37], v[26:27]
	s_delay_alu instid0(VALU_DEP_1) | instskip(SKIP_1) | instid1(VALU_DEP_3)
	v_sub_co_u32 v3, vcc_lo, v30, v32
	v_add_nc_u64_e32 v[30:31], 2, v[26:27]
	v_sub_nc_u32_e32 v1, v34, v33
	v_sub_co_ci_u32_e64 v11, null, v34, v33, vcc_lo
	s_delay_alu instid0(VALU_DEP_4) | instskip(NEXT) | instid1(VALU_DEP_3)
	v_sub_co_u32 v9, s0, v3, s36
	v_subrev_co_ci_u32_e64 v1, null, s37, v1, vcc_lo
	v_add_nc_u64_e32 v[32:33], 1, v[26:27]
	s_delay_alu instid0(VALU_DEP_3) | instskip(NEXT) | instid1(VALU_DEP_3)
	v_cmp_le_u32_e32 vcc_lo, s36, v9
	v_subrev_co_ci_u32_e64 v1, null, 0, v1, s0
	v_cndmask_b32_e64 v9, 0, -1, vcc_lo
	s_delay_alu instid0(VALU_DEP_2)
	v_cmp_le_u32_e32 vcc_lo, s37, v1
	v_cndmask_b32_e64 v21, 0, -1, vcc_lo
	v_cmp_le_u32_e32 vcc_lo, s36, v3
	v_cndmask_b32_e64 v3, 0, -1, vcc_lo
	;; [unrolled: 2-line block ×3, first 2 shown]
	v_cmp_eq_u32_e32 vcc_lo, s37, v1
	v_cndmask_b32_e32 v1, v21, v9, vcc_lo
	v_cmp_eq_u32_e32 vcc_lo, s37, v11
	v_mov_b32_e32 v11, v10
	v_cndmask_b32_e32 v3, v22, v3, vcc_lo
	s_delay_alu instid0(VALU_DEP_4) | instskip(NEXT) | instid1(VALU_DEP_2)
	v_cmp_ne_u32_e32 vcc_lo, 0, v1
	v_cmp_ne_u32_e64 s0, 0, v3
	v_dual_cndmask_b32 v1, v33, v31, vcc_lo :: v_dual_cndmask_b32 v3, v32, v30, vcc_lo
	s_delay_alu instid0(VALU_DEP_1) | instskip(NEXT) | instid1(VALU_DEP_1)
	v_dual_cndmask_b32 v1, v27, v1, s0 :: v_dual_cndmask_b32 v3, v26, v3, s0
	v_xor_b32_e32 v27, v1, v10
	s_delay_alu instid0(VALU_DEP_2) | instskip(NEXT) | instid1(VALU_DEP_1)
	v_xor_b32_e32 v26, v3, v10
	v_sub_nc_u64_e32 v[10:11], v[26:27], v[10:11]
.LBB53_255:                             ;   in Loop: Header=BB53_253 Depth=1
	s_and_not1_saveexec_b32 s0, s62
	s_cbranch_execz .LBB53_252
; %bb.256:                              ;   in Loop: Header=BB53_253 Depth=1
	v_cvt_f32_u32_e32 v1, s30
	s_sub_co_i32 s34, 0, s30
	v_mov_b32_e32 v11, v8
	s_delay_alu instid0(VALU_DEP_2) | instskip(SKIP_1) | instid1(TRANS32_DEP_1)
	v_rcp_iflag_f32_e32 v1, v1
	v_nop
	v_mul_f32_e32 v1, 0x4f7ffffe, v1
	s_delay_alu instid0(VALU_DEP_1) | instskip(NEXT) | instid1(VALU_DEP_1)
	v_cvt_u32_f32_e32 v1, v1
	v_mul_lo_u32 v3, s34, v1
	s_delay_alu instid0(VALU_DEP_1) | instskip(NEXT) | instid1(VALU_DEP_1)
	v_mul_hi_u32 v3, v1, v3
	v_add_nc_u32_e32 v1, v1, v3
	s_delay_alu instid0(VALU_DEP_1) | instskip(NEXT) | instid1(VALU_DEP_1)
	v_mul_hi_u32 v1, v6, v1
	v_mul_lo_u32 v3, v1, s30
	s_delay_alu instid0(VALU_DEP_1) | instskip(NEXT) | instid1(VALU_DEP_1)
	v_sub_nc_u32_e32 v3, v6, v3
	v_subrev_nc_u32_e32 v10, s30, v3
	v_cmp_le_u32_e32 vcc_lo, s30, v3
	s_delay_alu instid0(VALU_DEP_2) | instskip(NEXT) | instid1(VALU_DEP_1)
	v_dual_add_nc_u32 v9, 1, v1 :: v_dual_cndmask_b32 v3, v3, v10, vcc_lo
	v_cndmask_b32_e32 v1, v1, v9, vcc_lo
	s_delay_alu instid0(VALU_DEP_2) | instskip(NEXT) | instid1(VALU_DEP_2)
	v_cmp_le_u32_e32 vcc_lo, s30, v3
	v_add_nc_u32_e32 v9, 1, v1
	s_delay_alu instid0(VALU_DEP_1)
	v_cndmask_b32_e32 v10, v1, v9, vcc_lo
	s_branch .LBB53_252
.LBB53_257:
	s_or_b32 s24, s19, exec_lo
	s_xor_b32 s13, exec_lo, -1
	s_trap 2
	s_branch .LBB53_221
.LBB53_258:
	s_or_b32 s33, s38, exec_lo
	s_trap 2
                                        ; implicit-def: $vgpr3
                                        ; implicit-def: $vgpr1
                                        ; implicit-def: $vgpr2
                                        ; implicit-def: $vgpr4
                                        ; implicit-def: $vgpr30
                                        ; implicit-def: $vgpr29
                                        ; implicit-def: $vgpr32
                                        ; implicit-def: $vgpr31
                                        ; implicit-def: $vgpr33
                                        ; implicit-def: $vgpr22
                                        ; implicit-def: $vgpr21
                                        ; implicit-def: $vgpr26
                                        ; implicit-def: $vgpr25
                                        ; implicit-def: $vgpr27
                                        ; implicit-def: $vgpr17
                                        ; implicit-def: $vgpr16
                                        ; implicit-def: $vgpr19
                                        ; implicit-def: $vgpr18
                                        ; implicit-def: $vgpr20
                                        ; implicit-def: $vgpr24
	s_or_saveexec_b32 s40, s0
	s_mov_b32 s0, 0
	s_xor_b32 exec_lo, exec_lo, s40
	s_cbranch_execnz .LBB53_204
	s_branch .LBB53_307
.LBB53_259:
	s_mov_b32 s13, -1
	s_mov_b32 s1, s60
	s_mov_b32 s0, exec_lo
	v_cmpx_gt_i32_e64 v0, v2
	s_cbranch_execz .LBB53_267
; %bb.260:
	s_delay_alu instid0(VALU_DEP_2) | instskip(SKIP_3) | instid1(VALU_DEP_1)
	v_lshlrev_b64_e32 v[4:5], 2, v[4:5]
	v_dual_ashrrev_i32 v3, 31, v2 :: v_dual_ashrrev_i32 v1, 31, v0
	s_mov_b32 s13, 0
	s_xor_b32 s24, s50, -1
                                        ; implicit-def: $sgpr1
                                        ; implicit-def: $sgpr26
                                        ; implicit-def: $sgpr25
	v_lshl_add_u64 v[2:3], v[2:3], 2, v[4:5]
	s_wait_kmcnt 0x0
	v_add_nc_u64_e32 v[4:5], s[20:21], v[4:5]
	s_delay_alu instid0(VALU_DEP_2) | instskip(NEXT) | instid1(VALU_DEP_2)
	v_add_nc_u64_e32 v[2:3], s[20:21], v[2:3]
	v_lshl_add_u64 v[0:1], v[0:1], 2, v[4:5]
	s_delay_alu instid0(VALU_DEP_2)
	v_add_nc_u64_e32 v[2:3], 4, v[2:3]
	s_branch .LBB53_262
.LBB53_261:                             ;   in Loop: Header=BB53_262 Depth=1
	s_or_b32 exec_lo, exec_lo, s27
	s_xor_b32 s27, s25, -1
	s_and_b32 s28, exec_lo, s26
	s_delay_alu instid0(SALU_CYCLE_1) | instskip(SKIP_2) | instid1(SALU_CYCLE_1)
	s_or_b32 s13, s28, s13
	s_and_not1_b32 s1, s1, exec_lo
	s_and_b32 s27, s27, exec_lo
	s_or_b32 s1, s1, s27
	s_and_not1_b32 exec_lo, exec_lo, s13
	s_cbranch_execz .LBB53_265
.LBB53_262:                             ; =>This Inner Loop Header: Depth=1
	s_or_b32 s25, s25, exec_lo
	s_or_b32 s26, s26, exec_lo
	s_mov_b32 s27, exec_lo
	s_delay_alu instid0(VALU_DEP_1)
	v_cmpx_lt_u64_e64 v[2:3], v[0:1]
	s_cbranch_execz .LBB53_261
; %bb.263:                              ;   in Loop: Header=BB53_262 Depth=1
	global_load_b64 v[4:5], v[2:3], off offset:-4
	s_wait_xcnt 0x0
	v_add_nc_u64_e32 v[2:3], 4, v[2:3]
	s_and_not1_b32 s26, s26, exec_lo
	s_and_not1_b32 s25, s25, exec_lo
	s_wait_loadcnt 0x0
	v_cmp_ge_i32_e32 vcc_lo, v4, v5
	s_or_b32 s28, s24, vcc_lo
	s_delay_alu instid0(SALU_CYCLE_1) | instskip(NEXT) | instid1(SALU_CYCLE_1)
	s_and_b32 s28, s28, exec_lo
	s_or_b32 s26, s26, s28
	s_branch .LBB53_261
.LBB53_264:
	s_or_b32 s41, s33, exec_lo
	s_trap 2
                                        ; implicit-def: $vgpr23
                                        ; implicit-def: $vgpr3
                                        ; implicit-def: $vgpr1
                                        ; implicit-def: $vgpr4
                                        ; implicit-def: $vgpr30
                                        ; implicit-def: $vgpr29
                                        ; implicit-def: $vgpr32
                                        ; implicit-def: $vgpr31
                                        ; implicit-def: $vgpr33
                                        ; implicit-def: $vgpr22
                                        ; implicit-def: $vgpr21
                                        ; implicit-def: $vgpr26
                                        ; implicit-def: $vgpr25
                                        ; implicit-def: $vgpr27
                                        ; implicit-def: $vgpr17
                                        ; implicit-def: $vgpr16
                                        ; implicit-def: $vgpr19
                                        ; implicit-def: $vgpr18
                                        ; implicit-def: $vgpr20
                                        ; implicit-def: $vgpr24
	s_or_saveexec_b32 s42, s0
	s_mov_b32 s0, 0
	s_xor_b32 exec_lo, exec_lo, s42
	s_cbranch_execnz .LBB53_206
	s_branch .LBB53_306
.LBB53_265:
	s_or_b32 exec_lo, exec_lo, s13
	s_mov_b32 s13, -1
	s_mov_b32 s24, s60
	s_and_saveexec_b32 s25, s1
	s_delay_alu instid0(SALU_CYCLE_1)
	s_xor_b32 s1, exec_lo, s25
	s_cbranch_execnz .LBB53_310
.LBB53_266:
	s_or_b32 exec_lo, exec_lo, s1
	s_delay_alu instid0(SALU_CYCLE_1)
	s_and_not1_b32 s1, s60, exec_lo
	s_and_b32 s24, s24, exec_lo
	s_or_not1_b32 s13, s13, exec_lo
	s_or_b32 s1, s1, s24
.LBB53_267:
	s_or_b32 exec_lo, exec_lo, s0
	s_mov_b32 s0, 0
	s_and_saveexec_b32 s24, s13
	s_cbranch_execz .LBB53_296
; %bb.268:
	global_load_b32 v0, v20, s[6:7]
	s_mov_b32 s25, s1
	s_mov_b32 s0, exec_lo
	s_wait_loadcnt 0x0
	v_cmpx_ne_u32_e64 v0, v24
	s_xor_b32 s0, exec_lo, s0
	s_cbranch_execnz .LBB53_316
; %bb.269:
	s_or_saveexec_b32 s26, s0
	s_mov_b32 s0, 0
	s_xor_b32 exec_lo, exec_lo, s26
	s_cbranch_execz .LBB53_295
.LBB53_270:
	global_load_b32 v0, v19, s[16:17]
	s_mov_b32 s27, s25
	s_mov_b32 s0, exec_lo
	s_wait_loadcnt 0x0
	v_cmpx_ne_u32_e64 v0, v23
	s_xor_b32 s0, exec_lo, s0
	s_cbranch_execnz .LBB53_317
; %bb.271:
	s_or_saveexec_b32 s28, s0
	s_mov_b32 s0, 0
	s_xor_b32 exec_lo, exec_lo, s28
	s_cbranch_execz .LBB53_294
.LBB53_272:
	global_load_b32 v2, v18, s[8:9]
	global_load_b32 v0, v17, s[10:11]
	s_wait_loadcnt 0x0
	v_sub_nc_u32_e32 v1, v0, v2
	s_delay_alu instid0(VALU_DEP_1)
	v_cmp_gt_i32_e32 vcc_lo, v24, v1
	v_cmp_lt_i32_e64 s0, s18, v1
	s_mov_b32 s18, s27
	s_or_b32 s0, vcc_lo, s0
	s_wait_xcnt 0x0
	s_and_saveexec_b32 s6, s0
	s_delay_alu instid0(SALU_CYCLE_1)
	s_xor_b32 s0, exec_lo, s6
	s_cbranch_execnz .LBB53_318
; %bb.273:
	s_or_saveexec_b32 s29, s0
	s_mov_b32 s0, 0
	s_xor_b32 exec_lo, exec_lo, s29
	s_cbranch_execz .LBB53_293
.LBB53_274:
	v_cmp_ne_u32_e32 vcc_lo, 1, v28
	v_mov_b64_e32 v[4:5], 0
	s_cbranch_vccnz .LBB53_284
; %bb.275:
	global_load_b32 v4, v16, s[22:23]
	s_load_b128 s[8:11], s[2:3], 0x298
	s_mov_b32 s13, 0
	s_wait_xcnt 0x0
	s_mov_b64 s[2:3], 0xffffffff
	s_wait_loadcnt 0x0
	v_dual_mov_b32 v8, 0 :: v_dual_ashrrev_i32 v5, 31, v4
	s_delay_alu instid0(VALU_DEP_1)
	v_mul_u64_e32 v[6:7], s[14:15], v[4:5]
	v_mov_b64_e32 v[4:5], 0
	s_lshl_b64 s[14:15], s[12:13], 3
	s_wait_kmcnt 0x0
	s_add_nc_u64 s[6:7], s[8:9], s[14:15]
	s_add_nc_u64 s[8:9], s[10:11], s[14:15]
	s_branch .LBB53_277
.LBB53_276:                             ;   in Loop: Header=BB53_277 Depth=1
	s_or_b32 exec_lo, exec_lo, s0
	s_delay_alu instid0(VALU_DEP_1)
	v_mul_u64_e32 v[16:17], s[10:11], v[10:11]
	s_load_b64 s[10:11], s[8:9], 0x0
	s_add_co_i32 s44, s44, -1
	s_add_nc_u64 s[6:7], s[6:7], -8
	s_cmp_eq_u32 s44, 0
	s_wait_xcnt 0x0
	s_add_nc_u64 s[8:9], s[8:9], -8
	s_delay_alu instid0(VALU_DEP_1) | instskip(SKIP_1) | instid1(VALU_DEP_1)
	v_sub_nc_u64_e32 v[6:7], v[6:7], v[16:17]
	s_wait_kmcnt 0x0
	v_mad_nc_u64_u32 v[4:5], v6, s10, v[4:5]
	s_delay_alu instid0(VALU_DEP_1) | instskip(NEXT) | instid1(VALU_DEP_1)
	v_mad_u32 v1, v7, s10, v5
	v_mad_u32 v5, v6, s11, v1
	v_mov_b64_e32 v[6:7], v[10:11]
	s_cbranch_scc1 .LBB53_284
.LBB53_277:                             ; =>This Inner Loop Header: Depth=1
	s_load_b64 s[10:11], s[6:7], 0x0
                                        ; implicit-def: $vgpr10_vgpr11
	s_mov_b32 s0, exec_lo
	s_wait_kmcnt 0x0
	s_delay_alu instid0(VALU_DEP_1) | instskip(NEXT) | instid1(VALU_DEP_1)
	v_or_b32_e32 v9, s11, v7
	v_cmpx_ne_u64_e32 0, v[8:9]
	s_xor_b32 s22, exec_lo, s0
	s_cbranch_execz .LBB53_279
; %bb.278:                              ;   in Loop: Header=BB53_277 Depth=1
	s_ashr_i32 s14, s11, 31
	v_dual_mov_b32 v19, v8 :: v_dual_ashrrev_i32 v10, 31, v7
	s_mov_b32 s15, s14
	s_delay_alu instid0(SALU_CYCLE_1) | instskip(NEXT) | instid1(VALU_DEP_1)
	s_add_nc_u64 s[16:17], s[10:11], s[14:15]
	v_mov_b32_e32 v11, v10
	s_xor_b64 s[16:17], s[16:17], s[14:15]
	s_delay_alu instid0(SALU_CYCLE_1)
	s_cvt_f32_u32 s0, s16
	s_cvt_f32_u32 s12, s17
	s_sub_nc_u64 s[34:35], 0, s[16:17]
	v_add_nc_u64_e32 v[16:17], v[6:7], v[10:11]
	v_mov_b32_e32 v23, v8
	s_fmamk_f32 s0, s12, 0x4f800000, s0
	s_delay_alu instid0(SALU_CYCLE_3) | instskip(NEXT) | instid1(VALU_DEP_2)
	v_s_rcp_f32 s0, s0
	v_xor_b32_e32 v18, v16, v10
	s_delay_alu instid0(VALU_DEP_3) | instskip(SKIP_1) | instid1(TRANS32_DEP_1)
	v_dual_mov_b32 v27, v8 :: v_dual_bitop2_b32 v22, v17, v10 bitop3:0x14
	v_xor_b32_e32 v10, s14, v10
	s_mul_f32 s0, s0, 0x5f7ffffc
	s_delay_alu instid0(SALU_CYCLE_3) | instskip(NEXT) | instid1(SALU_CYCLE_3)
	s_mul_f32 s12, s0, 0x2f800000
	s_trunc_f32 s12, s12
	s_delay_alu instid0(SALU_CYCLE_3) | instskip(SKIP_1) | instid1(SALU_CYCLE_2)
	s_fmamk_f32 s0, s12, 0xcf800000, s0
	s_cvt_u32_f32 s31, s12
	s_cvt_u32_f32 s30, s0
	s_delay_alu instid0(SALU_CYCLE_3) | instskip(NEXT) | instid1(SALU_CYCLE_1)
	s_mul_u64 s[36:37], s[34:35], s[30:31]
	s_mul_hi_u32 s63, s30, s37
	s_mul_i32 s62, s30, s37
	s_mul_hi_u32 s12, s30, s36
	s_mul_i32 s15, s31, s36
	s_add_nc_u64 s[62:63], s[12:13], s[62:63]
	s_mul_hi_u32 s0, s31, s36
	s_mul_hi_u32 s23, s31, s37
	s_add_co_u32 s12, s62, s15
	s_add_co_ci_u32 s12, s63, s0
	s_mul_i32 s36, s31, s37
	s_add_co_ci_u32 s37, s23, 0
	s_delay_alu instid0(SALU_CYCLE_1) | instskip(NEXT) | instid1(SALU_CYCLE_1)
	s_add_nc_u64 s[36:37], s[12:13], s[36:37]
	s_add_co_u32 s30, s30, s36
	s_cselect_b32 s0, -1, 0
	s_delay_alu instid0(SALU_CYCLE_1) | instskip(SKIP_1) | instid1(SALU_CYCLE_1)
	s_cmp_lg_u32 s0, 0
	s_add_co_ci_u32 s31, s31, s37
	s_mul_u64 s[34:35], s[34:35], s[30:31]
	s_delay_alu instid0(SALU_CYCLE_1)
	s_mul_hi_u32 s37, s30, s35
	s_mul_i32 s36, s30, s35
	s_mul_hi_u32 s12, s30, s34
	s_mul_i32 s15, s31, s34
	s_add_nc_u64 s[36:37], s[12:13], s[36:37]
	s_mul_hi_u32 s0, s31, s34
	s_mul_hi_u32 s23, s31, s35
	s_add_co_u32 s12, s36, s15
	s_add_co_ci_u32 s12, s37, s0
	s_mul_i32 s34, s31, s35
	s_add_co_ci_u32 s35, s23, 0
	s_delay_alu instid0(SALU_CYCLE_1) | instskip(NEXT) | instid1(SALU_CYCLE_1)
	s_add_nc_u64 s[34:35], s[12:13], s[34:35]
	s_add_co_u32 s0, s30, s34
	s_cselect_b32 s12, -1, 0
	v_mul_hi_u32 v26, v18, s0
	s_cmp_lg_u32 s12, 0
	s_add_co_ci_u32 s12, s31, s35
	s_and_b64 s[30:31], s[0:1], s[2:3]
	v_mul_u64_e32 v[20:21], s[12:13], v[18:19]
	v_mul_u64_e32 v[16:17], s[30:31], v[22:23]
	v_mul_u64_e32 v[24:25], s[12:13], v[22:23]
	s_delay_alu instid0(VALU_DEP_3) | instskip(NEXT) | instid1(VALU_DEP_1)
	v_add_nc_u64_e32 v[20:21], v[26:27], v[20:21]
	v_add_co_u32 v1, vcc_lo, v20, v16
	s_delay_alu instid0(VALU_DEP_2) | instskip(NEXT) | instid1(VALU_DEP_4)
	v_add_co_ci_u32_e32 v26, vcc_lo, v21, v17, vcc_lo
	v_add_co_ci_u32_e32 v25, vcc_lo, 0, v25, vcc_lo
	s_delay_alu instid0(VALU_DEP_1) | instskip(NEXT) | instid1(VALU_DEP_1)
	v_add_nc_u64_e32 v[16:17], v[26:27], v[24:25]
	v_mul_u64_e32 v[20:21], s[16:17], v[16:17]
	s_delay_alu instid0(VALU_DEP_1) | instskip(NEXT) | instid1(VALU_DEP_2)
	v_sub_nc_u32_e32 v1, v22, v21
	v_sub_co_u32 v3, vcc_lo, v18, v20
	s_delay_alu instid0(VALU_DEP_1) | instskip(NEXT) | instid1(VALU_DEP_3)
	v_sub_co_ci_u32_e64 v11, null, v22, v21, vcc_lo
	v_subrev_co_ci_u32_e64 v1, null, s17, v1, vcc_lo
	s_delay_alu instid0(VALU_DEP_3) | instskip(SKIP_1) | instid1(VALU_DEP_3)
	v_sub_co_u32 v9, s0, v3, s16
	v_add_nc_u64_e32 v[20:21], 1, v[16:17]
	v_subrev_co_ci_u32_e64 v1, null, 0, v1, s0
	s_delay_alu instid0(VALU_DEP_3) | instskip(SKIP_1) | instid1(VALU_DEP_3)
	v_cmp_le_u32_e32 vcc_lo, s16, v9
	v_cndmask_b32_e64 v9, 0, -1, vcc_lo
	v_cmp_le_u32_e32 vcc_lo, s17, v1
	v_cndmask_b32_e64 v18, 0, -1, vcc_lo
	;; [unrolled: 2-line block ×4, first 2 shown]
	v_cmp_eq_u32_e32 vcc_lo, s17, v1
	v_cndmask_b32_e32 v1, v18, v9, vcc_lo
	v_cmp_eq_u32_e32 vcc_lo, s17, v11
	v_add_nc_u64_e32 v[18:19], 2, v[16:17]
	v_mov_b32_e32 v11, v10
	v_cndmask_b32_e32 v3, v22, v3, vcc_lo
	v_cmp_ne_u32_e32 vcc_lo, 0, v1
	s_delay_alu instid0(VALU_DEP_2) | instskip(SKIP_1) | instid1(VALU_DEP_1)
	v_cmp_ne_u32_e64 s0, 0, v3
	v_dual_cndmask_b32 v1, v21, v19, vcc_lo :: v_dual_cndmask_b32 v3, v20, v18, vcc_lo
	v_dual_cndmask_b32 v1, v17, v1, s0 :: v_dual_cndmask_b32 v3, v16, v3, s0
	s_delay_alu instid0(VALU_DEP_1) | instskip(NEXT) | instid1(VALU_DEP_2)
	v_xor_b32_e32 v17, v1, v10
	v_xor_b32_e32 v16, v3, v10
	s_delay_alu instid0(VALU_DEP_1)
	v_sub_nc_u64_e32 v[10:11], v[16:17], v[10:11]
.LBB53_279:                             ;   in Loop: Header=BB53_277 Depth=1
	s_and_not1_saveexec_b32 s0, s22
	s_cbranch_execz .LBB53_276
; %bb.280:                              ;   in Loop: Header=BB53_277 Depth=1
	v_cvt_f32_u32_e32 v1, s10
	s_sub_co_i32 s12, 0, s10
	v_mov_b32_e32 v11, v8
	s_delay_alu instid0(VALU_DEP_2) | instskip(SKIP_1) | instid1(TRANS32_DEP_1)
	v_rcp_iflag_f32_e32 v1, v1
	v_nop
	v_mul_f32_e32 v1, 0x4f7ffffe, v1
	s_delay_alu instid0(VALU_DEP_1) | instskip(NEXT) | instid1(VALU_DEP_1)
	v_cvt_u32_f32_e32 v1, v1
	v_mul_lo_u32 v3, s12, v1
	s_delay_alu instid0(VALU_DEP_1) | instskip(NEXT) | instid1(VALU_DEP_1)
	v_mul_hi_u32 v3, v1, v3
	v_add_nc_u32_e32 v1, v1, v3
	s_delay_alu instid0(VALU_DEP_1) | instskip(NEXT) | instid1(VALU_DEP_1)
	v_mul_hi_u32 v1, v6, v1
	v_mul_lo_u32 v3, v1, s10
	s_delay_alu instid0(VALU_DEP_1) | instskip(NEXT) | instid1(VALU_DEP_1)
	v_sub_nc_u32_e32 v3, v6, v3
	v_subrev_nc_u32_e32 v10, s10, v3
	v_cmp_le_u32_e32 vcc_lo, s10, v3
	s_delay_alu instid0(VALU_DEP_2) | instskip(NEXT) | instid1(VALU_DEP_1)
	v_dual_add_nc_u32 v9, 1, v1 :: v_dual_cndmask_b32 v3, v3, v10, vcc_lo
	v_cndmask_b32_e32 v1, v1, v9, vcc_lo
	s_delay_alu instid0(VALU_DEP_2) | instskip(NEXT) | instid1(VALU_DEP_2)
	v_cmp_le_u32_e32 vcc_lo, s10, v3
	v_add_nc_u32_e32 v9, 1, v1
	s_delay_alu instid0(VALU_DEP_1)
	v_cndmask_b32_e32 v10, v1, v9, vcc_lo
	s_branch .LBB53_276
.LBB53_281:
	s_or_b32 s24, s52, exec_lo
	s_xor_b32 s13, exec_lo, -1
	s_trap 2
	s_branch .LBB53_242
.LBB53_282:
	s_or_b32 s19, s41, exec_lo
	s_trap 2
                                        ; implicit-def: $vgpr2
                                        ; implicit-def: $vgpr0
                                        ; implicit-def: $vgpr23
                                        ; implicit-def: $vgpr1
                                        ; implicit-def: $vgpr30
                                        ; implicit-def: $vgpr29
                                        ; implicit-def: $vgpr32
                                        ; implicit-def: $vgpr31
                                        ; implicit-def: $vgpr33
                                        ; implicit-def: $vgpr22
                                        ; implicit-def: $vgpr21
                                        ; implicit-def: $vgpr26
                                        ; implicit-def: $vgpr25
                                        ; implicit-def: $vgpr27
                                        ; implicit-def: $vgpr17
                                        ; implicit-def: $vgpr16
                                        ; implicit-def: $vgpr19
                                        ; implicit-def: $vgpr18
                                        ; implicit-def: $vgpr20
                                        ; implicit-def: $vgpr24
	s_or_saveexec_b32 s43, s0
	s_mov_b32 s0, 0
	s_xor_b32 exec_lo, exec_lo, s43
	s_cbranch_execnz .LBB53_208
	s_branch .LBB53_305
.LBB53_283:
	s_or_b32 s47, s45, exec_lo
	s_trap 2
                                        ; implicit-def: $vgpr28
                                        ; implicit-def: $vgpr23
                                        ; implicit-def: $vgpr30
                                        ; implicit-def: $vgpr29
                                        ; implicit-def: $vgpr32
                                        ; implicit-def: $vgpr31
                                        ; implicit-def: $vgpr22
                                        ; implicit-def: $vgpr21
                                        ; implicit-def: $vgpr26
                                        ; implicit-def: $vgpr25
                                        ; implicit-def: $vgpr27
                                        ; implicit-def: $vgpr17
                                        ; implicit-def: $vgpr16
                                        ; implicit-def: $vgpr19
                                        ; implicit-def: $vgpr18
                                        ; implicit-def: $vgpr20
                                        ; implicit-def: $vgpr24
	s_or_saveexec_b32 s48, s0
	s_mov_b32 s0, 0
	s_xor_b32 exec_lo, exec_lo, s48
	s_cbranch_execnz .LBB53_225
	s_branch .LBB53_303
.LBB53_284:
	s_mov_b32 s2, -1
	s_mov_b32 s3, s18
	s_mov_b32 s0, exec_lo
	v_cmpx_gt_i32_e64 v0, v2
	s_cbranch_execz .LBB53_292
; %bb.285:
	s_delay_alu instid0(VALU_DEP_2) | instskip(SKIP_3) | instid1(VALU_DEP_1)
	v_lshlrev_b64_e32 v[4:5], 2, v[4:5]
	v_dual_ashrrev_i32 v3, 31, v2 :: v_dual_ashrrev_i32 v1, 31, v0
	s_mov_b32 s3, 0
	s_xor_b32 s6, s50, -1
                                        ; implicit-def: $sgpr2
                                        ; implicit-def: $sgpr8
                                        ; implicit-def: $sgpr7
	v_lshl_add_u64 v[2:3], v[2:3], 2, v[4:5]
	s_wait_kmcnt 0x0
	v_add_nc_u64_e32 v[4:5], s[20:21], v[4:5]
	s_delay_alu instid0(VALU_DEP_2) | instskip(NEXT) | instid1(VALU_DEP_2)
	v_add_nc_u64_e32 v[2:3], s[20:21], v[2:3]
	v_lshl_add_u64 v[0:1], v[0:1], 2, v[4:5]
	s_delay_alu instid0(VALU_DEP_2)
	v_add_nc_u64_e32 v[2:3], 4, v[2:3]
	s_branch .LBB53_287
.LBB53_286:                             ;   in Loop: Header=BB53_287 Depth=1
	s_or_b32 exec_lo, exec_lo, s9
	s_xor_b32 s9, s7, -1
	s_and_b32 s10, exec_lo, s8
	s_delay_alu instid0(SALU_CYCLE_1) | instskip(SKIP_2) | instid1(SALU_CYCLE_1)
	s_or_b32 s3, s10, s3
	s_and_not1_b32 s2, s2, exec_lo
	s_and_b32 s9, s9, exec_lo
	s_or_b32 s2, s2, s9
	s_and_not1_b32 exec_lo, exec_lo, s3
	s_cbranch_execz .LBB53_290
.LBB53_287:                             ; =>This Inner Loop Header: Depth=1
	s_or_b32 s7, s7, exec_lo
	s_or_b32 s8, s8, exec_lo
	s_mov_b32 s9, exec_lo
	s_delay_alu instid0(VALU_DEP_1)
	v_cmpx_lt_u64_e64 v[2:3], v[0:1]
	s_cbranch_execz .LBB53_286
; %bb.288:                              ;   in Loop: Header=BB53_287 Depth=1
	global_load_b64 v[4:5], v[2:3], off offset:-4
	s_wait_xcnt 0x0
	v_add_nc_u64_e32 v[2:3], 4, v[2:3]
	s_and_not1_b32 s8, s8, exec_lo
	s_and_not1_b32 s7, s7, exec_lo
	s_wait_loadcnt 0x0
	v_cmp_ge_i32_e32 vcc_lo, v4, v5
	s_or_b32 s10, s6, vcc_lo
	s_delay_alu instid0(SALU_CYCLE_1) | instskip(NEXT) | instid1(SALU_CYCLE_1)
	s_and_b32 s10, s10, exec_lo
	s_or_b32 s8, s8, s10
	s_branch .LBB53_286
.LBB53_289:
	s_or_b32 s49, s47, exec_lo
	s_trap 2
                                        ; implicit-def: $vgpr28
                                        ; implicit-def: $vgpr23
                                        ; implicit-def: $vgpr30
                                        ; implicit-def: $vgpr29
                                        ; implicit-def: $vgpr31
                                        ; implicit-def: $vgpr22
                                        ; implicit-def: $vgpr21
                                        ; implicit-def: $vgpr26
                                        ; implicit-def: $vgpr25
                                        ; implicit-def: $vgpr27
                                        ; implicit-def: $vgpr17
                                        ; implicit-def: $vgpr16
                                        ; implicit-def: $vgpr19
                                        ; implicit-def: $vgpr18
                                        ; implicit-def: $vgpr20
                                        ; implicit-def: $vgpr24
	s_or_saveexec_b32 s51, s0
	s_mov_b32 s0, 0
	s_xor_b32 exec_lo, exec_lo, s51
	s_cbranch_execnz .LBB53_227
	s_branch .LBB53_302
.LBB53_290:
	s_or_b32 exec_lo, exec_lo, s3
	s_mov_b32 s3, -1
	s_mov_b32 s6, s18
	s_and_saveexec_b32 s7, s2
	s_delay_alu instid0(SALU_CYCLE_1)
	s_xor_b32 s2, exec_lo, s7
	s_cbranch_execnz .LBB53_314
.LBB53_291:
	s_or_b32 exec_lo, exec_lo, s2
	s_delay_alu instid0(SALU_CYCLE_1)
	s_and_not1_b32 s7, s18, exec_lo
	s_and_b32 s6, s6, exec_lo
	s_or_not1_b32 s2, s3, exec_lo
	s_or_b32 s3, s7, s6
.LBB53_292:
	s_or_b32 exec_lo, exec_lo, s0
	s_delay_alu instid0(SALU_CYCLE_1)
	s_and_not1_b32 s6, s18, exec_lo
	s_and_b32 s3, s3, exec_lo
	s_and_b32 s0, s2, exec_lo
	s_or_b32 s18, s6, s3
.LBB53_293:
	s_or_b32 exec_lo, exec_lo, s29
	s_delay_alu instid0(SALU_CYCLE_1)
	s_and_not1_b32 s2, s27, exec_lo
	s_and_b32 s3, s18, exec_lo
	s_and_b32 s0, s0, exec_lo
	s_or_b32 s27, s2, s3
.LBB53_294:
	s_or_b32 exec_lo, exec_lo, s28
	s_delay_alu instid0(SALU_CYCLE_1)
	s_and_not1_b32 s2, s25, exec_lo
	s_and_b32 s3, s27, exec_lo
	s_and_b32 s0, s0, exec_lo
	s_or_b32 s25, s2, s3
.LBB53_295:
	s_or_b32 exec_lo, exec_lo, s26
	s_delay_alu instid0(SALU_CYCLE_1)
	s_and_not1_b32 s1, s1, exec_lo
	s_and_b32 s2, s25, exec_lo
	s_and_b32 s0, s0, exec_lo
	s_or_b32 s1, s1, s2
.LBB53_296:
	s_or_b32 exec_lo, exec_lo, s24
	s_delay_alu instid0(SALU_CYCLE_1)
	s_and_not1_b32 s2, s60, exec_lo
	s_and_b32 s1, s1, exec_lo
	s_and_b32 s0, s0, exec_lo
	s_or_b32 s60, s2, s1
.LBB53_297:
	s_or_b32 exec_lo, exec_lo, s61
	s_delay_alu instid0(SALU_CYCLE_1)
	s_and_not1_b32 s1, s58, exec_lo
	s_and_b32 s2, s60, exec_lo
	s_and_b32 s0, s0, exec_lo
	s_or_b32 s58, s1, s2
.LBB53_298:
	s_or_b32 exec_lo, exec_lo, s59
	s_delay_alu instid0(SALU_CYCLE_1)
	s_and_not1_b32 s1, s56, exec_lo
	s_and_b32 s2, s58, exec_lo
	s_and_b32 s0, s0, exec_lo
	s_or_b32 s56, s1, s2
.LBB53_299:
	s_or_b32 exec_lo, exec_lo, s57
	s_delay_alu instid0(SALU_CYCLE_1)
	s_and_not1_b32 s1, s54, exec_lo
	s_and_b32 s2, s56, exec_lo
	s_and_b32 s0, s0, exec_lo
	s_or_b32 s54, s1, s2
.LBB53_300:
	s_or_b32 exec_lo, exec_lo, s55
	s_delay_alu instid0(SALU_CYCLE_1)
	s_and_not1_b32 s1, s52, exec_lo
	s_and_b32 s2, s54, exec_lo
	s_and_b32 s0, s0, exec_lo
	s_or_b32 s52, s1, s2
.LBB53_301:
	s_or_b32 exec_lo, exec_lo, s53
	s_delay_alu instid0(SALU_CYCLE_1)
	s_and_not1_b32 s1, s49, exec_lo
	s_and_b32 s2, s52, exec_lo
	s_and_b32 s0, s0, exec_lo
	s_or_b32 s49, s1, s2
.LBB53_302:
	s_or_b32 exec_lo, exec_lo, s51
	s_delay_alu instid0(SALU_CYCLE_1)
	s_and_not1_b32 s1, s47, exec_lo
	s_and_b32 s2, s49, exec_lo
	s_and_b32 s0, s0, exec_lo
	s_or_b32 s47, s1, s2
.LBB53_303:
	s_or_b32 exec_lo, exec_lo, s48
	s_delay_alu instid0(SALU_CYCLE_1)
	s_and_not1_b32 s1, s45, exec_lo
	s_and_b32 s2, s47, exec_lo
	s_and_b32 s0, s0, exec_lo
	s_or_b32 s45, s1, s2
.LBB53_304:
	s_or_b32 exec_lo, exec_lo, s46
	s_delay_alu instid0(SALU_CYCLE_1)
	s_and_not1_b32 s1, s19, exec_lo
	s_wait_xcnt 0x0
	s_and_b32 s2, s45, exec_lo
	s_and_b32 s0, s0, exec_lo
	s_or_b32 s19, s1, s2
.LBB53_305:
	s_or_b32 exec_lo, exec_lo, s43
	s_delay_alu instid0(SALU_CYCLE_1)
	s_and_not1_b32 s1, s41, exec_lo
	s_and_b32 s2, s19, exec_lo
	s_and_b32 s0, s0, exec_lo
	s_or_b32 s41, s1, s2
.LBB53_306:
	s_or_b32 exec_lo, exec_lo, s42
	s_delay_alu instid0(SALU_CYCLE_1)
	s_and_not1_b32 s1, s33, exec_lo
	s_and_b32 s2, s41, exec_lo
	s_and_b32 s0, s0, exec_lo
	s_or_b32 s33, s1, s2
.LBB53_307:
	s_or_b32 exec_lo, exec_lo, s40
	s_delay_alu instid0(SALU_CYCLE_1)
	s_and_not1_b32 s1, s38, exec_lo
	s_and_b32 s2, s33, exec_lo
	s_and_b32 s69, s0, exec_lo
	s_or_b32 s38, s1, s2
	s_or_b32 exec_lo, exec_lo, s39
	s_and_saveexec_b32 s0, s38
	s_cbranch_execnz .LBB53_145
.LBB53_308:
	s_or_b32 exec_lo, exec_lo, s0
	s_and_saveexec_b32 s0, s69
	s_cbranch_execz .LBB53_146
.LBB53_309:
	v_mov_b32_e32 v0, 0
	s_clause 0x3
	global_store_b32 v12, v0, s[4:5]
	global_store_b32 v13, v0, s[4:5]
	;; [unrolled: 1-line block ×4, first 2 shown]
	s_endpgm
.LBB53_310:
	s_or_b32 s24, s60, exec_lo
	s_xor_b32 s13, exec_lo, -1
	s_trap 2
	s_branch .LBB53_266
.LBB53_311:
	s_or_b32 s52, s49, exec_lo
	s_trap 2
                                        ; implicit-def: $vgpr2
                                        ; implicit-def: $vgpr0
                                        ; implicit-def: $vgpr28
                                        ; implicit-def: $vgpr23
                                        ; implicit-def: $vgpr29
                                        ; implicit-def: $vgpr22
                                        ; implicit-def: $vgpr21
                                        ; implicit-def: $vgpr26
                                        ; implicit-def: $vgpr25
                                        ; implicit-def: $vgpr27
                                        ; implicit-def: $vgpr17
                                        ; implicit-def: $vgpr16
                                        ; implicit-def: $vgpr19
                                        ; implicit-def: $vgpr18
                                        ; implicit-def: $vgpr20
                                        ; implicit-def: $vgpr24
	s_or_saveexec_b32 s53, s0
	s_mov_b32 s0, 0
	s_xor_b32 exec_lo, exec_lo, s53
	s_cbranch_execnz .LBB53_229
	s_branch .LBB53_301
.LBB53_312:
	s_or_b32 s56, s54, exec_lo
	s_trap 2
                                        ; implicit-def: $vgpr28
                                        ; implicit-def: $vgpr23
                                        ; implicit-def: $vgpr22
                                        ; implicit-def: $vgpr21
                                        ; implicit-def: $vgpr26
                                        ; implicit-def: $vgpr25
                                        ; implicit-def: $vgpr17
                                        ; implicit-def: $vgpr16
                                        ; implicit-def: $vgpr19
                                        ; implicit-def: $vgpr18
                                        ; implicit-def: $vgpr20
                                        ; implicit-def: $vgpr24
	s_or_saveexec_b32 s57, s0
	s_mov_b32 s0, 0
	s_xor_b32 exec_lo, exec_lo, s57
	s_cbranch_execnz .LBB53_246
	s_branch .LBB53_299
.LBB53_313:
	s_or_b32 s58, s56, exec_lo
	s_trap 2
                                        ; implicit-def: $vgpr28
                                        ; implicit-def: $vgpr23
                                        ; implicit-def: $vgpr22
                                        ; implicit-def: $vgpr21
                                        ; implicit-def: $vgpr25
                                        ; implicit-def: $vgpr17
                                        ; implicit-def: $vgpr16
                                        ; implicit-def: $vgpr19
                                        ; implicit-def: $vgpr18
                                        ; implicit-def: $vgpr20
                                        ; implicit-def: $vgpr24
	s_or_saveexec_b32 s59, s0
	s_mov_b32 s0, 0
	s_xor_b32 exec_lo, exec_lo, s59
	s_cbranch_execnz .LBB53_248
	s_branch .LBB53_298
.LBB53_314:
	s_xor_b32 s3, exec_lo, -1
	s_or_b32 s6, s18, exec_lo
	s_trap 2
	s_branch .LBB53_291
.LBB53_315:
	s_or_b32 s60, s58, exec_lo
	s_trap 2
                                        ; implicit-def: $vgpr2
                                        ; implicit-def: $vgpr0
                                        ; implicit-def: $vgpr28
                                        ; implicit-def: $vgpr23
                                        ; implicit-def: $vgpr21
                                        ; implicit-def: $vgpr17
                                        ; implicit-def: $vgpr16
                                        ; implicit-def: $vgpr19
                                        ; implicit-def: $vgpr18
                                        ; implicit-def: $vgpr20
                                        ; implicit-def: $vgpr24
	s_or_saveexec_b32 s61, s0
	s_mov_b32 s0, 0
	s_xor_b32 exec_lo, exec_lo, s61
	s_cbranch_execnz .LBB53_250
	s_branch .LBB53_297
.LBB53_316:
	s_or_b32 s25, s1, exec_lo
	s_trap 2
                                        ; implicit-def: $vgpr19
                                        ; implicit-def: $vgpr23
                                        ; implicit-def: $vgpr18
                                        ; implicit-def: $vgpr17
                                        ; implicit-def: $vgpr24
                                        ; implicit-def: $vgpr28
                                        ; implicit-def: $vgpr16
	s_or_saveexec_b32 s26, s0
	s_mov_b32 s0, 0
	s_xor_b32 exec_lo, exec_lo, s26
	s_cbranch_execnz .LBB53_270
	s_branch .LBB53_295
.LBB53_317:
	s_or_b32 s27, s25, exec_lo
	s_trap 2
                                        ; implicit-def: $vgpr18
                                        ; implicit-def: $vgpr17
                                        ; implicit-def: $vgpr24
                                        ; implicit-def: $vgpr28
                                        ; implicit-def: $vgpr16
	s_or_saveexec_b32 s28, s0
	s_mov_b32 s0, 0
	s_xor_b32 exec_lo, exec_lo, s28
	s_cbranch_execnz .LBB53_272
	s_branch .LBB53_294
.LBB53_318:
	s_or_b32 s18, s27, exec_lo
	s_trap 2
                                        ; implicit-def: $vgpr0
                                        ; implicit-def: $vgpr2
                                        ; implicit-def: $vgpr28
                                        ; implicit-def: $vgpr16
	s_or_saveexec_b32 s29, s0
	s_mov_b32 s0, 0
	s_xor_b32 exec_lo, exec_lo, s29
	s_cbranch_execnz .LBB53_274
	s_branch .LBB53_293
	.section	.rodata,"a",@progbits
	.p2align	6, 0x0
	.amdhsa_kernel _ZN2at6native32elementwise_kernel_manual_unrollILi128ELi4EZNS0_22gpu_kernel_impl_nocastIZZZNS0_12_GLOBAL__N_142_validate_compressed_sparse_indices_kernelILNS3_8CDimNameE0ENS3_18CUDAKernelLauncherENS3_14EmptyVecKernelENS3_8DummyVecELm0EEEvRKNS_6TensorESB_lllENKUlvE1_clEvENKUlvE_clEvEUliiiiiE_EEvRNS_18TensorIteratorBaseERKT_EUlibE_EEviT1_
		.amdhsa_group_segment_fixed_size 0
		.amdhsa_private_segment_fixed_size 0
		.amdhsa_kernarg_size 696
		.amdhsa_user_sgpr_count 2
		.amdhsa_user_sgpr_dispatch_ptr 0
		.amdhsa_user_sgpr_queue_ptr 0
		.amdhsa_user_sgpr_kernarg_segment_ptr 1
		.amdhsa_user_sgpr_dispatch_id 0
		.amdhsa_user_sgpr_kernarg_preload_length 0
		.amdhsa_user_sgpr_kernarg_preload_offset 0
		.amdhsa_user_sgpr_private_segment_size 0
		.amdhsa_wavefront_size32 1
		.amdhsa_uses_dynamic_stack 0
		.amdhsa_enable_private_segment 0
		.amdhsa_system_sgpr_workgroup_id_x 1
		.amdhsa_system_sgpr_workgroup_id_y 0
		.amdhsa_system_sgpr_workgroup_id_z 0
		.amdhsa_system_sgpr_workgroup_info 0
		.amdhsa_system_vgpr_workitem_id 0
		.amdhsa_next_free_vgpr 46
		.amdhsa_next_free_sgpr 104
		.amdhsa_named_barrier_count 0
		.amdhsa_reserve_vcc 1
		.amdhsa_float_round_mode_32 0
		.amdhsa_float_round_mode_16_64 0
		.amdhsa_float_denorm_mode_32 3
		.amdhsa_float_denorm_mode_16_64 3
		.amdhsa_fp16_overflow 0
		.amdhsa_memory_ordered 1
		.amdhsa_forward_progress 1
		.amdhsa_inst_pref_size 154
		.amdhsa_round_robin_scheduling 0
		.amdhsa_exception_fp_ieee_invalid_op 0
		.amdhsa_exception_fp_denorm_src 0
		.amdhsa_exception_fp_ieee_div_zero 0
		.amdhsa_exception_fp_ieee_overflow 0
		.amdhsa_exception_fp_ieee_underflow 0
		.amdhsa_exception_fp_ieee_inexact 0
		.amdhsa_exception_int_div_zero 0
	.end_amdhsa_kernel
	.section	.text._ZN2at6native32elementwise_kernel_manual_unrollILi128ELi4EZNS0_22gpu_kernel_impl_nocastIZZZNS0_12_GLOBAL__N_142_validate_compressed_sparse_indices_kernelILNS3_8CDimNameE0ENS3_18CUDAKernelLauncherENS3_14EmptyVecKernelENS3_8DummyVecELm0EEEvRKNS_6TensorESB_lllENKUlvE1_clEvENKUlvE_clEvEUliiiiiE_EEvRNS_18TensorIteratorBaseERKT_EUlibE_EEviT1_,"axG",@progbits,_ZN2at6native32elementwise_kernel_manual_unrollILi128ELi4EZNS0_22gpu_kernel_impl_nocastIZZZNS0_12_GLOBAL__N_142_validate_compressed_sparse_indices_kernelILNS3_8CDimNameE0ENS3_18CUDAKernelLauncherENS3_14EmptyVecKernelENS3_8DummyVecELm0EEEvRKNS_6TensorESB_lllENKUlvE1_clEvENKUlvE_clEvEUliiiiiE_EEvRNS_18TensorIteratorBaseERKT_EUlibE_EEviT1_,comdat
.Lfunc_end53:
	.size	_ZN2at6native32elementwise_kernel_manual_unrollILi128ELi4EZNS0_22gpu_kernel_impl_nocastIZZZNS0_12_GLOBAL__N_142_validate_compressed_sparse_indices_kernelILNS3_8CDimNameE0ENS3_18CUDAKernelLauncherENS3_14EmptyVecKernelENS3_8DummyVecELm0EEEvRKNS_6TensorESB_lllENKUlvE1_clEvENKUlvE_clEvEUliiiiiE_EEvRNS_18TensorIteratorBaseERKT_EUlibE_EEviT1_, .Lfunc_end53-_ZN2at6native32elementwise_kernel_manual_unrollILi128ELi4EZNS0_22gpu_kernel_impl_nocastIZZZNS0_12_GLOBAL__N_142_validate_compressed_sparse_indices_kernelILNS3_8CDimNameE0ENS3_18CUDAKernelLauncherENS3_14EmptyVecKernelENS3_8DummyVecELm0EEEvRKNS_6TensorESB_lllENKUlvE1_clEvENKUlvE_clEvEUliiiiiE_EEvRNS_18TensorIteratorBaseERKT_EUlibE_EEviT1_
                                        ; -- End function
	.set _ZN2at6native32elementwise_kernel_manual_unrollILi128ELi4EZNS0_22gpu_kernel_impl_nocastIZZZNS0_12_GLOBAL__N_142_validate_compressed_sparse_indices_kernelILNS3_8CDimNameE0ENS3_18CUDAKernelLauncherENS3_14EmptyVecKernelENS3_8DummyVecELm0EEEvRKNS_6TensorESB_lllENKUlvE1_clEvENKUlvE_clEvEUliiiiiE_EEvRNS_18TensorIteratorBaseERKT_EUlibE_EEviT1_.num_vgpr, 46
	.set _ZN2at6native32elementwise_kernel_manual_unrollILi128ELi4EZNS0_22gpu_kernel_impl_nocastIZZZNS0_12_GLOBAL__N_142_validate_compressed_sparse_indices_kernelILNS3_8CDimNameE0ENS3_18CUDAKernelLauncherENS3_14EmptyVecKernelENS3_8DummyVecELm0EEEvRKNS_6TensorESB_lllENKUlvE1_clEvENKUlvE_clEvEUliiiiiE_EEvRNS_18TensorIteratorBaseERKT_EUlibE_EEviT1_.num_agpr, 0
	.set _ZN2at6native32elementwise_kernel_manual_unrollILi128ELi4EZNS0_22gpu_kernel_impl_nocastIZZZNS0_12_GLOBAL__N_142_validate_compressed_sparse_indices_kernelILNS3_8CDimNameE0ENS3_18CUDAKernelLauncherENS3_14EmptyVecKernelENS3_8DummyVecELm0EEEvRKNS_6TensorESB_lllENKUlvE1_clEvENKUlvE_clEvEUliiiiiE_EEvRNS_18TensorIteratorBaseERKT_EUlibE_EEviT1_.numbered_sgpr, 104
	.set _ZN2at6native32elementwise_kernel_manual_unrollILi128ELi4EZNS0_22gpu_kernel_impl_nocastIZZZNS0_12_GLOBAL__N_142_validate_compressed_sparse_indices_kernelILNS3_8CDimNameE0ENS3_18CUDAKernelLauncherENS3_14EmptyVecKernelENS3_8DummyVecELm0EEEvRKNS_6TensorESB_lllENKUlvE1_clEvENKUlvE_clEvEUliiiiiE_EEvRNS_18TensorIteratorBaseERKT_EUlibE_EEviT1_.num_named_barrier, 0
	.set _ZN2at6native32elementwise_kernel_manual_unrollILi128ELi4EZNS0_22gpu_kernel_impl_nocastIZZZNS0_12_GLOBAL__N_142_validate_compressed_sparse_indices_kernelILNS3_8CDimNameE0ENS3_18CUDAKernelLauncherENS3_14EmptyVecKernelENS3_8DummyVecELm0EEEvRKNS_6TensorESB_lllENKUlvE1_clEvENKUlvE_clEvEUliiiiiE_EEvRNS_18TensorIteratorBaseERKT_EUlibE_EEviT1_.private_seg_size, 0
	.set _ZN2at6native32elementwise_kernel_manual_unrollILi128ELi4EZNS0_22gpu_kernel_impl_nocastIZZZNS0_12_GLOBAL__N_142_validate_compressed_sparse_indices_kernelILNS3_8CDimNameE0ENS3_18CUDAKernelLauncherENS3_14EmptyVecKernelENS3_8DummyVecELm0EEEvRKNS_6TensorESB_lllENKUlvE1_clEvENKUlvE_clEvEUliiiiiE_EEvRNS_18TensorIteratorBaseERKT_EUlibE_EEviT1_.uses_vcc, 1
	.set _ZN2at6native32elementwise_kernel_manual_unrollILi128ELi4EZNS0_22gpu_kernel_impl_nocastIZZZNS0_12_GLOBAL__N_142_validate_compressed_sparse_indices_kernelILNS3_8CDimNameE0ENS3_18CUDAKernelLauncherENS3_14EmptyVecKernelENS3_8DummyVecELm0EEEvRKNS_6TensorESB_lllENKUlvE1_clEvENKUlvE_clEvEUliiiiiE_EEvRNS_18TensorIteratorBaseERKT_EUlibE_EEviT1_.uses_flat_scratch, 0
	.set _ZN2at6native32elementwise_kernel_manual_unrollILi128ELi4EZNS0_22gpu_kernel_impl_nocastIZZZNS0_12_GLOBAL__N_142_validate_compressed_sparse_indices_kernelILNS3_8CDimNameE0ENS3_18CUDAKernelLauncherENS3_14EmptyVecKernelENS3_8DummyVecELm0EEEvRKNS_6TensorESB_lllENKUlvE1_clEvENKUlvE_clEvEUliiiiiE_EEvRNS_18TensorIteratorBaseERKT_EUlibE_EEviT1_.has_dyn_sized_stack, 0
	.set _ZN2at6native32elementwise_kernel_manual_unrollILi128ELi4EZNS0_22gpu_kernel_impl_nocastIZZZNS0_12_GLOBAL__N_142_validate_compressed_sparse_indices_kernelILNS3_8CDimNameE0ENS3_18CUDAKernelLauncherENS3_14EmptyVecKernelENS3_8DummyVecELm0EEEvRKNS_6TensorESB_lllENKUlvE1_clEvENKUlvE_clEvEUliiiiiE_EEvRNS_18TensorIteratorBaseERKT_EUlibE_EEviT1_.has_recursion, 0
	.set _ZN2at6native32elementwise_kernel_manual_unrollILi128ELi4EZNS0_22gpu_kernel_impl_nocastIZZZNS0_12_GLOBAL__N_142_validate_compressed_sparse_indices_kernelILNS3_8CDimNameE0ENS3_18CUDAKernelLauncherENS3_14EmptyVecKernelENS3_8DummyVecELm0EEEvRKNS_6TensorESB_lllENKUlvE1_clEvENKUlvE_clEvEUliiiiiE_EEvRNS_18TensorIteratorBaseERKT_EUlibE_EEviT1_.has_indirect_call, 0
	.section	.AMDGPU.csdata,"",@progbits
; Kernel info:
; codeLenInByte = 19700
; TotalNumSgprs: 106
; NumVgprs: 46
; ScratchSize: 0
; MemoryBound: 0
; FloatMode: 240
; IeeeMode: 1
; LDSByteSize: 0 bytes/workgroup (compile time only)
; SGPRBlocks: 0
; VGPRBlocks: 2
; NumSGPRsForWavesPerEU: 106
; NumVGPRsForWavesPerEU: 46
; NamedBarCnt: 0
; Occupancy: 16
; WaveLimiterHint : 1
; COMPUTE_PGM_RSRC2:SCRATCH_EN: 0
; COMPUTE_PGM_RSRC2:USER_SGPR: 2
; COMPUTE_PGM_RSRC2:TRAP_HANDLER: 0
; COMPUTE_PGM_RSRC2:TGID_X_EN: 1
; COMPUTE_PGM_RSRC2:TGID_Y_EN: 0
; COMPUTE_PGM_RSRC2:TGID_Z_EN: 0
; COMPUTE_PGM_RSRC2:TIDIG_COMP_CNT: 0
	.section	.text._ZN2at6native32elementwise_kernel_manual_unrollILi128ELi4EZNS0_15gpu_kernel_implIZZZNS0_12_GLOBAL__N_142_validate_compressed_sparse_indices_kernelILNS3_8CDimNameE0ENS3_18CUDAKernelLauncherENS3_14EmptyVecKernelENS3_8DummyVecELm0EEEvRKNS_6TensorESB_lllENKUlvE1_clEvENKUlvE_clEvEUliiiiiE_EEvRNS_18TensorIteratorBaseERKT_EUlibE_EEviT1_,"axG",@progbits,_ZN2at6native32elementwise_kernel_manual_unrollILi128ELi4EZNS0_15gpu_kernel_implIZZZNS0_12_GLOBAL__N_142_validate_compressed_sparse_indices_kernelILNS3_8CDimNameE0ENS3_18CUDAKernelLauncherENS3_14EmptyVecKernelENS3_8DummyVecELm0EEEvRKNS_6TensorESB_lllENKUlvE1_clEvENKUlvE_clEvEUliiiiiE_EEvRNS_18TensorIteratorBaseERKT_EUlibE_EEviT1_,comdat
	.globl	_ZN2at6native32elementwise_kernel_manual_unrollILi128ELi4EZNS0_15gpu_kernel_implIZZZNS0_12_GLOBAL__N_142_validate_compressed_sparse_indices_kernelILNS3_8CDimNameE0ENS3_18CUDAKernelLauncherENS3_14EmptyVecKernelENS3_8DummyVecELm0EEEvRKNS_6TensorESB_lllENKUlvE1_clEvENKUlvE_clEvEUliiiiiE_EEvRNS_18TensorIteratorBaseERKT_EUlibE_EEviT1_ ; -- Begin function _ZN2at6native32elementwise_kernel_manual_unrollILi128ELi4EZNS0_15gpu_kernel_implIZZZNS0_12_GLOBAL__N_142_validate_compressed_sparse_indices_kernelILNS3_8CDimNameE0ENS3_18CUDAKernelLauncherENS3_14EmptyVecKernelENS3_8DummyVecELm0EEEvRKNS_6TensorESB_lllENKUlvE1_clEvENKUlvE_clEvEUliiiiiE_EEvRNS_18TensorIteratorBaseERKT_EUlibE_EEviT1_
	.p2align	8
	.type	_ZN2at6native32elementwise_kernel_manual_unrollILi128ELi4EZNS0_15gpu_kernel_implIZZZNS0_12_GLOBAL__N_142_validate_compressed_sparse_indices_kernelILNS3_8CDimNameE0ENS3_18CUDAKernelLauncherENS3_14EmptyVecKernelENS3_8DummyVecELm0EEEvRKNS_6TensorESB_lllENKUlvE1_clEvENKUlvE_clEvEUliiiiiE_EEvRNS_18TensorIteratorBaseERKT_EUlibE_EEviT1_,@function
_ZN2at6native32elementwise_kernel_manual_unrollILi128ELi4EZNS0_15gpu_kernel_implIZZZNS0_12_GLOBAL__N_142_validate_compressed_sparse_indices_kernelILNS3_8CDimNameE0ENS3_18CUDAKernelLauncherENS3_14EmptyVecKernelENS3_8DummyVecELm0EEEvRKNS_6TensorESB_lllENKUlvE1_clEvENKUlvE_clEvEUliiiiiE_EEvRNS_18TensorIteratorBaseERKT_EUlibE_EEviT1_: ; @_ZN2at6native32elementwise_kernel_manual_unrollILi128ELi4EZNS0_15gpu_kernel_implIZZZNS0_12_GLOBAL__N_142_validate_compressed_sparse_indices_kernelILNS3_8CDimNameE0ENS3_18CUDAKernelLauncherENS3_14EmptyVecKernelENS3_8DummyVecELm0EEEvRKNS_6TensorESB_lllENKUlvE1_clEvENKUlvE_clEvEUliiiiiE_EEvRNS_18TensorIteratorBaseERKT_EUlibE_EEviT1_
; %bb.0:
	s_clause 0x1
	s_load_b64 s[2:3], s[0:1], 0x88
	s_load_b128 s[28:31], s[0:1], 0x78
	s_bfe_u32 s20, ttmp6, 0x4000c
	s_and_b32 s33, ttmp6, 15
	s_add_co_i32 s34, s20, 1
	s_clause 0x4
	s_load_b256 s[20:27], s[0:1], 0x58
	s_load_b32 s60, s[0:1], 0x0
	s_load_b256 s[4:11], s[0:1], 0x8
	s_load_b256 s[12:19], s[0:1], 0x28
	s_load_b96 s[36:38], s[0:1], 0x48
	s_wait_xcnt 0x0
	s_mul_i32 s0, ttmp9, s34
	s_getreg_b32 s40, hwreg(HW_REG_IB_STS2, 6, 4)
	s_add_co_i32 s33, s33, s0
	s_mov_b32 s52, 0
	s_wait_kmcnt 0x0
	s_lshr_b32 s39, s2, 8
	s_lshr_b32 s25, s2, 16
	s_lshr_b64 s[34:35], s[2:3], 24
	s_lshr_b32 s21, s3, 8
	s_cmp_eq_u32 s40, 0
	s_cselect_b32 s0, ttmp9, s33
	s_mov_b32 s33, 0
	v_lshl_or_b32 v22, s0, 9, v0
	s_mov_b32 s0, exec_lo
	s_delay_alu instid0(VALU_DEP_1) | instskip(NEXT) | instid1(VALU_DEP_1)
	v_or_b32_e32 v0, 0x180, v22
	v_cmpx_le_i32_e64 s60, v0
	s_xor_b32 s35, exec_lo, s0
	s_cbranch_execz .LBB54_2803
; %bb.1:
	s_get_pc_i64 s[0:1]
	s_add_nc_u64 s[0:1], s[0:1], .str.1@rel64+4
	s_get_pc_i64 s[40:41]
	s_add_nc_u64 s[40:41], s[40:41], .str.2@rel64+4
	s_cmp_lg_u64 s[0:1], 0
	s_get_pc_i64 s[0:1]
	s_add_nc_u64 s[0:1], s[0:1], .str.3@rel64+4
	s_cselect_b32 s58, -1, 0
	s_cmp_lg_u64 s[40:41], 0
	v_cmp_gt_i64_e64 s41, s[22:23], 0
	s_cselect_b32 s57, -1, 0
	s_cmp_lg_u64 s[0:1], 0
	s_get_pc_i64 s[42:43]
	s_add_nc_u64 s[42:43], s[42:43], .str.4@rel64+4
	s_cselect_b32 s56, -1, 0
	s_add_co_i32 s40, s24, -1
	s_mov_b32 s1, -1
	s_cmp_gt_i32 s40, -1
	s_mov_b32 s71, 0
	s_cselect_b32 s0, -1, 0
	s_mov_b32 s69, 0
	s_and_b32 s55, s41, s0
	s_cmp_lg_u64 s[42:43], 0
	s_mov_b32 s68, 0
	s_cselect_b32 s54, -1, 0
	s_mov_b32 s67, 0
	s_mov_b32 s66, 0
	;; [unrolled: 1-line block ×8, first 2 shown]
	s_mov_b32 s70, exec_lo
	v_cmpx_gt_i32_e64 s60, v22
	s_cbranch_execz .LBB54_630
; %bb.2:
	v_mul_lo_u32 v0, v22, s17
	s_and_b32 s0, s39, 0xff
	s_delay_alu instid0(SALU_CYCLE_1) | instskip(NEXT) | instid1(VALU_DEP_1)
	s_cmp_lt_i32 s0, 11
	v_ashrrev_i32_e32 v1, 31, v0
	s_delay_alu instid0(VALU_DEP_1)
	v_add_nc_u64_e32 v[0:1], s[6:7], v[0:1]
	s_cbranch_scc1 .LBB54_9
; %bb.3:
	s_and_b32 s1, 0xffff, s0
	s_delay_alu instid0(SALU_CYCLE_1)
	s_cmp_gt_i32 s1, 25
	s_cbranch_scc0 .LBB54_11
; %bb.4:
	s_cmp_gt_i32 s1, 28
	s_cbranch_scc0 .LBB54_12
; %bb.5:
	s_cmp_gt_i32 s1, 43
	s_cbranch_scc0 .LBB54_13
; %bb.6:
	s_cmp_gt_i32 s1, 45
	s_cbranch_scc0 .LBB54_14
; %bb.7:
	s_cmp_eq_u32 s1, 46
	s_mov_b32 s42, 0
	s_cbranch_scc0 .LBB54_15
; %bb.8:
	global_load_b32 v2, v[0:1], off
	s_mov_b32 s41, -1
	s_wait_loadcnt 0x0
	v_lshlrev_b32_e32 v2, 16, v2
	s_delay_alu instid0(VALU_DEP_1)
	v_cvt_i32_f32_e32 v7, v2
	s_branch .LBB54_17
.LBB54_9:
	s_mov_b32 s41, 0
                                        ; implicit-def: $vgpr7
	s_and_b32 vcc_lo, exec_lo, s1
	s_cbranch_vccnz .LBB54_77
.LBB54_10:
	s_and_not1_b32 vcc_lo, exec_lo, s41
	s_cbranch_vccz .LBB54_124
	s_branch .LBB54_628
.LBB54_11:
	s_mov_b32 s41, 0
                                        ; implicit-def: $vgpr7
	s_cbranch_execnz .LBB54_44
	s_branch .LBB54_76
.LBB54_12:
	s_mov_b32 s42, -1
	s_mov_b32 s41, 0
                                        ; implicit-def: $vgpr7
	s_branch .LBB54_27
.LBB54_13:
	s_mov_b32 s42, -1
	s_mov_b32 s41, 0
                                        ; implicit-def: $vgpr7
	s_branch .LBB54_22
.LBB54_14:
	s_mov_b32 s42, -1
	s_branch .LBB54_16
.LBB54_15:
	s_mov_b32 s69, -1
.LBB54_16:
	s_mov_b32 s41, 0
                                        ; implicit-def: $vgpr7
.LBB54_17:
	s_and_b32 vcc_lo, exec_lo, s42
	s_cbranch_vccz .LBB54_21
; %bb.18:
	s_cmp_eq_u32 s1, 44
	s_cbranch_scc0 .LBB54_20
; %bb.19:
	global_load_u8 v2, v[0:1], off
	s_mov_b32 s69, 0
	s_mov_b32 s41, -1
	s_wait_loadcnt 0x0
	v_lshlrev_b32_e32 v3, 23, v2
	v_cmp_ne_u32_e32 vcc_lo, 0, v2
	s_delay_alu instid0(VALU_DEP_2) | instskip(NEXT) | instid1(VALU_DEP_1)
	v_cvt_i32_f32_e32 v3, v3
	v_cndmask_b32_e32 v7, 0, v3, vcc_lo
	s_branch .LBB54_21
.LBB54_20:
	s_mov_b32 s69, -1
                                        ; implicit-def: $vgpr7
.LBB54_21:
	s_mov_b32 s42, 0
.LBB54_22:
	s_delay_alu instid0(SALU_CYCLE_1)
	s_and_b32 vcc_lo, exec_lo, s42
	s_cbranch_vccz .LBB54_26
; %bb.23:
	s_cmp_eq_u32 s1, 29
	s_cbranch_scc0 .LBB54_25
; %bb.24:
	global_load_b32 v7, v[0:1], off
	s_mov_b32 s41, -1
	s_mov_b32 s69, 0
	s_branch .LBB54_26
.LBB54_25:
	s_mov_b32 s69, -1
                                        ; implicit-def: $vgpr7
.LBB54_26:
	s_mov_b32 s42, 0
.LBB54_27:
	s_delay_alu instid0(SALU_CYCLE_1)
	s_and_b32 vcc_lo, exec_lo, s42
	s_cbranch_vccz .LBB54_43
; %bb.28:
	s_cmp_lt_i32 s1, 27
	s_cbranch_scc1 .LBB54_31
; %bb.29:
	s_cmp_gt_i32 s1, 27
	s_cbranch_scc0 .LBB54_32
; %bb.30:
	s_wait_loadcnt 0x0
	global_load_b32 v7, v[0:1], off
	s_mov_b32 s41, 0
	s_branch .LBB54_33
.LBB54_31:
	s_mov_b32 s41, -1
                                        ; implicit-def: $vgpr7
	s_branch .LBB54_36
.LBB54_32:
	s_mov_b32 s41, -1
                                        ; implicit-def: $vgpr7
.LBB54_33:
	s_delay_alu instid0(SALU_CYCLE_1)
	s_and_not1_b32 vcc_lo, exec_lo, s41
	s_cbranch_vccnz .LBB54_35
; %bb.34:
	s_wait_loadcnt 0x0
	global_load_u16 v7, v[0:1], off
.LBB54_35:
	s_mov_b32 s41, 0
.LBB54_36:
	s_delay_alu instid0(SALU_CYCLE_1)
	s_and_not1_b32 vcc_lo, exec_lo, s41
	s_cbranch_vccnz .LBB54_42
; %bb.37:
	global_load_u8 v2, v[0:1], off
	s_mov_b32 s42, 0
	s_mov_b32 s41, exec_lo
	s_wait_loadcnt 0x0
	v_cmpx_lt_i16_e32 0x7f, v2
	s_xor_b32 s41, exec_lo, s41
	s_cbranch_execz .LBB54_53
; %bb.38:
	v_cmp_ne_u16_e32 vcc_lo, 0x80, v2
	s_and_b32 s42, vcc_lo, exec_lo
	s_and_not1_saveexec_b32 s41, s41
	s_cbranch_execnz .LBB54_54
.LBB54_39:
	s_or_b32 exec_lo, exec_lo, s41
	v_mov_b32_e32 v7, 0
	s_and_saveexec_b32 s41, s42
	s_cbranch_execz .LBB54_41
.LBB54_40:
	v_and_b32_e32 v3, 0xffff, v2
	s_delay_alu instid0(VALU_DEP_1) | instskip(SKIP_1) | instid1(VALU_DEP_2)
	v_and_b32_e32 v4, 7, v3
	v_bfe_u32 v7, v3, 3, 4
	v_clz_i32_u32_e32 v5, v4
	s_delay_alu instid0(VALU_DEP_2) | instskip(NEXT) | instid1(VALU_DEP_2)
	v_cmp_eq_u32_e32 vcc_lo, 0, v7
	v_min_u32_e32 v5, 32, v5
	s_delay_alu instid0(VALU_DEP_1) | instskip(NEXT) | instid1(VALU_DEP_1)
	v_subrev_nc_u32_e32 v6, 28, v5
	v_dual_lshlrev_b32 v3, v6, v3 :: v_dual_sub_nc_u32 v5, 29, v5
	s_delay_alu instid0(VALU_DEP_1) | instskip(NEXT) | instid1(VALU_DEP_1)
	v_dual_lshlrev_b32 v2, 24, v2 :: v_dual_bitop2_b32 v3, 7, v3 bitop3:0x40
	v_dual_cndmask_b32 v5, v7, v5, vcc_lo :: v_dual_cndmask_b32 v3, v4, v3, vcc_lo
	s_delay_alu instid0(VALU_DEP_2) | instskip(NEXT) | instid1(VALU_DEP_2)
	v_and_b32_e32 v2, 0x80000000, v2
	v_lshl_add_u32 v4, v5, 23, 0x3b800000
	s_delay_alu instid0(VALU_DEP_3) | instskip(NEXT) | instid1(VALU_DEP_1)
	v_lshlrev_b32_e32 v3, 20, v3
	v_or3_b32 v2, v2, v4, v3
	s_delay_alu instid0(VALU_DEP_1)
	v_cvt_i32_f32_e32 v7, v2
.LBB54_41:
	s_or_b32 exec_lo, exec_lo, s41
.LBB54_42:
	s_mov_b32 s41, -1
.LBB54_43:
	s_branch .LBB54_76
.LBB54_44:
	s_cmp_gt_i32 s1, 22
	s_cbranch_scc0 .LBB54_52
; %bb.45:
	s_cmp_lt_i32 s1, 24
	s_cbranch_scc1 .LBB54_55
; %bb.46:
	s_cmp_gt_i32 s1, 24
	s_cbranch_scc0 .LBB54_56
; %bb.47:
	global_load_u8 v2, v[0:1], off
	s_mov_b32 s42, 0
	s_mov_b32 s41, exec_lo
	s_wait_loadcnt 0x0
	v_cmpx_lt_i16_e32 0x7f, v2
	s_xor_b32 s41, exec_lo, s41
	s_cbranch_execz .LBB54_68
; %bb.48:
	v_cmp_ne_u16_e32 vcc_lo, 0x80, v2
	s_and_b32 s42, vcc_lo, exec_lo
	s_and_not1_saveexec_b32 s41, s41
	s_cbranch_execnz .LBB54_69
.LBB54_49:
	s_or_b32 exec_lo, exec_lo, s41
	v_mov_b32_e32 v7, 0
	s_and_saveexec_b32 s41, s42
	s_cbranch_execz .LBB54_51
.LBB54_50:
	v_and_b32_e32 v3, 0xffff, v2
	s_delay_alu instid0(VALU_DEP_1) | instskip(SKIP_1) | instid1(VALU_DEP_2)
	v_and_b32_e32 v4, 3, v3
	v_bfe_u32 v7, v3, 2, 5
	v_clz_i32_u32_e32 v5, v4
	s_delay_alu instid0(VALU_DEP_2) | instskip(NEXT) | instid1(VALU_DEP_2)
	v_cmp_eq_u32_e32 vcc_lo, 0, v7
	v_min_u32_e32 v5, 32, v5
	s_delay_alu instid0(VALU_DEP_1) | instskip(NEXT) | instid1(VALU_DEP_1)
	v_subrev_nc_u32_e32 v6, 29, v5
	v_dual_lshlrev_b32 v3, v6, v3 :: v_dual_sub_nc_u32 v5, 30, v5
	s_delay_alu instid0(VALU_DEP_1) | instskip(NEXT) | instid1(VALU_DEP_1)
	v_dual_lshlrev_b32 v2, 24, v2 :: v_dual_bitop2_b32 v3, 3, v3 bitop3:0x40
	v_dual_cndmask_b32 v5, v7, v5, vcc_lo :: v_dual_cndmask_b32 v3, v4, v3, vcc_lo
	s_delay_alu instid0(VALU_DEP_2) | instskip(NEXT) | instid1(VALU_DEP_2)
	v_and_b32_e32 v2, 0x80000000, v2
	v_lshl_add_u32 v4, v5, 23, 0x37800000
	s_delay_alu instid0(VALU_DEP_3) | instskip(NEXT) | instid1(VALU_DEP_1)
	v_lshlrev_b32_e32 v3, 21, v3
	v_or3_b32 v2, v2, v4, v3
	s_delay_alu instid0(VALU_DEP_1)
	v_cvt_i32_f32_e32 v7, v2
.LBB54_51:
	s_or_b32 exec_lo, exec_lo, s41
	s_mov_b32 s41, 0
	s_branch .LBB54_57
.LBB54_52:
	s_mov_b32 s42, -1
                                        ; implicit-def: $vgpr7
	s_branch .LBB54_63
.LBB54_53:
	s_and_not1_saveexec_b32 s41, s41
	s_cbranch_execz .LBB54_39
.LBB54_54:
	v_cmp_ne_u16_e32 vcc_lo, 0, v2
	s_and_not1_b32 s42, s42, exec_lo
	s_and_b32 s43, vcc_lo, exec_lo
	s_delay_alu instid0(SALU_CYCLE_1)
	s_or_b32 s42, s42, s43
	s_or_b32 exec_lo, exec_lo, s41
	v_mov_b32_e32 v7, 0
	s_and_saveexec_b32 s41, s42
	s_cbranch_execnz .LBB54_40
	s_branch .LBB54_41
.LBB54_55:
	s_mov_b32 s41, -1
                                        ; implicit-def: $vgpr7
	s_branch .LBB54_60
.LBB54_56:
	s_mov_b32 s41, -1
                                        ; implicit-def: $vgpr7
.LBB54_57:
	s_delay_alu instid0(SALU_CYCLE_1)
	s_and_b32 vcc_lo, exec_lo, s41
	s_cbranch_vccz .LBB54_59
; %bb.58:
	global_load_u8 v2, v[0:1], off
	s_wait_loadcnt 0x0
	v_lshlrev_b32_e32 v2, 24, v2
	s_delay_alu instid0(VALU_DEP_1) | instskip(NEXT) | instid1(VALU_DEP_1)
	v_and_b32_e32 v3, 0x7f000000, v2
	v_clz_i32_u32_e32 v4, v3
	v_cmp_ne_u32_e32 vcc_lo, 0, v3
	v_add_nc_u32_e32 v6, 0x1000000, v3
	s_delay_alu instid0(VALU_DEP_3) | instskip(NEXT) | instid1(VALU_DEP_1)
	v_min_u32_e32 v4, 32, v4
	v_sub_nc_u32_e64 v4, v4, 4 clamp
	s_delay_alu instid0(VALU_DEP_1) | instskip(NEXT) | instid1(VALU_DEP_1)
	v_dual_lshlrev_b32 v5, v4, v3 :: v_dual_lshlrev_b32 v4, 23, v4
	v_lshrrev_b32_e32 v5, 4, v5
	s_delay_alu instid0(VALU_DEP_1) | instskip(NEXT) | instid1(VALU_DEP_1)
	v_dual_sub_nc_u32 v4, v5, v4 :: v_dual_ashrrev_i32 v5, 8, v6
	v_add_nc_u32_e32 v4, 0x3c000000, v4
	s_delay_alu instid0(VALU_DEP_1) | instskip(NEXT) | instid1(VALU_DEP_1)
	v_and_or_b32 v4, 0x7f800000, v5, v4
	v_cndmask_b32_e32 v3, 0, v4, vcc_lo
	s_delay_alu instid0(VALU_DEP_1) | instskip(NEXT) | instid1(VALU_DEP_1)
	v_and_or_b32 v2, 0x80000000, v2, v3
	v_cvt_i32_f32_e32 v7, v2
.LBB54_59:
	s_mov_b32 s41, 0
.LBB54_60:
	s_delay_alu instid0(SALU_CYCLE_1)
	s_and_not1_b32 vcc_lo, exec_lo, s41
	s_cbranch_vccnz .LBB54_62
; %bb.61:
	global_load_u8 v2, v[0:1], off
	s_wait_loadcnt 0x0
	v_lshlrev_b32_e32 v3, 25, v2
	v_lshlrev_b16 v2, 8, v2
	s_delay_alu instid0(VALU_DEP_1) | instskip(SKIP_1) | instid1(VALU_DEP_2)
	v_and_or_b32 v5, 0x7f00, v2, 0.5
	v_bfe_i32 v2, v2, 0, 16
	v_dual_add_f32 v5, -0.5, v5 :: v_dual_lshrrev_b32 v4, 4, v3
	v_cmp_gt_u32_e32 vcc_lo, 0x8000000, v3
	s_delay_alu instid0(VALU_DEP_2) | instskip(NEXT) | instid1(VALU_DEP_1)
	v_or_b32_e32 v4, 0x70000000, v4
	v_mul_f32_e32 v4, 0x7800000, v4
	s_delay_alu instid0(VALU_DEP_1) | instskip(NEXT) | instid1(VALU_DEP_1)
	v_cndmask_b32_e32 v3, v4, v5, vcc_lo
	v_and_or_b32 v2, 0x80000000, v2, v3
	s_delay_alu instid0(VALU_DEP_1)
	v_cvt_i32_f32_e32 v7, v2
.LBB54_62:
	s_mov_b32 s42, 0
	s_mov_b32 s41, -1
.LBB54_63:
	s_and_not1_b32 vcc_lo, exec_lo, s42
	s_cbranch_vccnz .LBB54_76
; %bb.64:
	s_cmp_gt_i32 s1, 14
	s_cbranch_scc0 .LBB54_67
; %bb.65:
	s_cmp_eq_u32 s1, 15
	s_cbranch_scc0 .LBB54_70
; %bb.66:
	global_load_u16 v2, v[0:1], off
	s_mov_b32 s41, -1
	s_mov_b32 s69, 0
	s_wait_loadcnt 0x0
	v_lshlrev_b32_e32 v2, 16, v2
	s_delay_alu instid0(VALU_DEP_1)
	v_cvt_i32_f32_e32 v7, v2
	s_branch .LBB54_71
.LBB54_67:
	s_mov_b32 s42, -1
                                        ; implicit-def: $vgpr7
	s_branch .LBB54_72
.LBB54_68:
	s_and_not1_saveexec_b32 s41, s41
	s_cbranch_execz .LBB54_49
.LBB54_69:
	v_cmp_ne_u16_e32 vcc_lo, 0, v2
	s_and_not1_b32 s42, s42, exec_lo
	s_and_b32 s43, vcc_lo, exec_lo
	s_delay_alu instid0(SALU_CYCLE_1)
	s_or_b32 s42, s42, s43
	s_or_b32 exec_lo, exec_lo, s41
	v_mov_b32_e32 v7, 0
	s_and_saveexec_b32 s41, s42
	s_cbranch_execnz .LBB54_50
	s_branch .LBB54_51
.LBB54_70:
	s_mov_b32 s69, -1
                                        ; implicit-def: $vgpr7
.LBB54_71:
	s_mov_b32 s42, 0
.LBB54_72:
	s_delay_alu instid0(SALU_CYCLE_1)
	s_and_b32 vcc_lo, exec_lo, s42
	s_cbranch_vccz .LBB54_76
; %bb.73:
	s_cmp_eq_u32 s1, 11
	s_cbranch_scc0 .LBB54_75
; %bb.74:
	global_load_u8 v2, v[0:1], off
	s_mov_b32 s69, 0
	s_mov_b32 s41, -1
	s_wait_loadcnt 0x0
	v_cmp_ne_u16_e32 vcc_lo, 0, v2
	v_cndmask_b32_e64 v7, 0, 1, vcc_lo
	s_branch .LBB54_76
.LBB54_75:
	s_mov_b32 s69, -1
                                        ; implicit-def: $vgpr7
.LBB54_76:
	s_branch .LBB54_10
.LBB54_77:
	s_and_b32 s0, 0xffff, s0
	s_delay_alu instid0(SALU_CYCLE_1)
	s_cmp_lt_i32 s0, 5
	s_cbranch_scc1 .LBB54_82
; %bb.78:
	s_cmp_lt_i32 s0, 8
	s_cbranch_scc1 .LBB54_83
; %bb.79:
	;; [unrolled: 3-line block ×3, first 2 shown]
	s_cmp_gt_i32 s0, 9
	s_cbranch_scc0 .LBB54_85
; %bb.81:
	global_load_b64 v[2:3], v[0:1], off
	s_mov_b32 s1, 0
	s_wait_loadcnt 0x0
	v_cvt_i32_f64_e32 v7, v[2:3]
	s_branch .LBB54_86
.LBB54_82:
                                        ; implicit-def: $vgpr7
	s_branch .LBB54_104
.LBB54_83:
	s_mov_b32 s1, -1
                                        ; implicit-def: $vgpr7
	s_branch .LBB54_92
.LBB54_84:
	s_mov_b32 s1, -1
                                        ; implicit-def: $vgpr7
	s_branch .LBB54_89
.LBB54_85:
	s_mov_b32 s1, -1
                                        ; implicit-def: $vgpr7
.LBB54_86:
	s_delay_alu instid0(SALU_CYCLE_1)
	s_and_not1_b32 vcc_lo, exec_lo, s1
	s_cbranch_vccnz .LBB54_88
; %bb.87:
	global_load_b32 v2, v[0:1], off
	s_wait_loadcnt 0x0
	v_cvt_i32_f32_e32 v7, v2
.LBB54_88:
	s_mov_b32 s1, 0
.LBB54_89:
	s_delay_alu instid0(SALU_CYCLE_1)
	s_and_not1_b32 vcc_lo, exec_lo, s1
	s_cbranch_vccnz .LBB54_91
; %bb.90:
	global_load_b32 v2, v[0:1], off
	s_wait_loadcnt 0x0
	v_cvt_f32_f16_e32 v2, v2
	s_delay_alu instid0(VALU_DEP_1)
	v_cvt_i32_f32_e32 v7, v2
.LBB54_91:
	s_mov_b32 s1, 0
.LBB54_92:
	s_delay_alu instid0(SALU_CYCLE_1)
	s_and_not1_b32 vcc_lo, exec_lo, s1
	s_cbranch_vccnz .LBB54_103
; %bb.93:
	s_cmp_lt_i32 s0, 6
	s_cbranch_scc1 .LBB54_96
; %bb.94:
	s_cmp_gt_i32 s0, 6
	s_cbranch_scc0 .LBB54_97
; %bb.95:
	global_load_b64 v[2:3], v[0:1], off
	s_mov_b32 s1, 0
	s_wait_loadcnt 0x0
	v_cvt_i32_f64_e32 v7, v[2:3]
	s_branch .LBB54_98
.LBB54_96:
	s_mov_b32 s1, -1
                                        ; implicit-def: $vgpr7
	s_branch .LBB54_101
.LBB54_97:
	s_mov_b32 s1, -1
                                        ; implicit-def: $vgpr7
.LBB54_98:
	s_delay_alu instid0(SALU_CYCLE_1)
	s_and_not1_b32 vcc_lo, exec_lo, s1
	s_cbranch_vccnz .LBB54_100
; %bb.99:
	global_load_b32 v2, v[0:1], off
	s_wait_loadcnt 0x0
	v_cvt_i32_f32_e32 v7, v2
.LBB54_100:
	s_mov_b32 s1, 0
.LBB54_101:
	s_delay_alu instid0(SALU_CYCLE_1)
	s_and_not1_b32 vcc_lo, exec_lo, s1
	s_cbranch_vccnz .LBB54_103
; %bb.102:
	global_load_u16 v2, v[0:1], off
	s_wait_loadcnt 0x0
	v_cvt_f32_f16_e32 v2, v2
	s_delay_alu instid0(VALU_DEP_1)
	v_cvt_i32_f32_e32 v7, v2
.LBB54_103:
	s_cbranch_execnz .LBB54_123
.LBB54_104:
	s_cmp_lt_i32 s0, 2
	s_cbranch_scc1 .LBB54_108
; %bb.105:
	s_cmp_lt_i32 s0, 3
	s_cbranch_scc1 .LBB54_109
; %bb.106:
	s_cmp_gt_i32 s0, 3
	s_cbranch_scc0 .LBB54_110
; %bb.107:
	s_wait_loadcnt 0x0
	global_load_b32 v7, v[0:1], off
	s_mov_b32 s1, 0
	s_branch .LBB54_111
.LBB54_108:
	s_mov_b32 s1, -1
                                        ; implicit-def: $vgpr7
	s_branch .LBB54_117
.LBB54_109:
	s_mov_b32 s1, -1
                                        ; implicit-def: $vgpr7
	s_branch .LBB54_114
.LBB54_110:
	s_mov_b32 s1, -1
                                        ; implicit-def: $vgpr7
.LBB54_111:
	s_delay_alu instid0(SALU_CYCLE_1)
	s_and_not1_b32 vcc_lo, exec_lo, s1
	s_cbranch_vccnz .LBB54_113
; %bb.112:
	s_wait_loadcnt 0x0
	global_load_b32 v7, v[0:1], off
.LBB54_113:
	s_mov_b32 s1, 0
.LBB54_114:
	s_delay_alu instid0(SALU_CYCLE_1)
	s_and_not1_b32 vcc_lo, exec_lo, s1
	s_cbranch_vccnz .LBB54_116
; %bb.115:
	s_wait_loadcnt 0x0
	global_load_i16 v7, v[0:1], off
.LBB54_116:
	s_mov_b32 s1, 0
.LBB54_117:
	s_delay_alu instid0(SALU_CYCLE_1)
	s_and_not1_b32 vcc_lo, exec_lo, s1
	s_cbranch_vccnz .LBB54_123
; %bb.118:
	s_cmp_gt_i32 s0, 0
	s_mov_b32 s0, 0
	s_cbranch_scc0 .LBB54_120
; %bb.119:
	s_wait_loadcnt 0x0
	global_load_i8 v7, v[0:1], off
	s_branch .LBB54_121
.LBB54_120:
	s_mov_b32 s0, -1
                                        ; implicit-def: $vgpr7
.LBB54_121:
	s_delay_alu instid0(SALU_CYCLE_1)
	s_and_not1_b32 vcc_lo, exec_lo, s0
	s_cbranch_vccnz .LBB54_123
; %bb.122:
	s_wait_loadcnt 0x0
	global_load_u8 v7, v[0:1], off
.LBB54_123:
.LBB54_124:
	s_wait_xcnt 0x0
	v_mul_lo_u32 v0, v22, s18
	s_and_b32 s0, s25, 0xff
	s_delay_alu instid0(SALU_CYCLE_1) | instskip(NEXT) | instid1(VALU_DEP_1)
	s_cmp_lt_i32 s0, 11
	v_ashrrev_i32_e32 v1, 31, v0
	s_delay_alu instid0(VALU_DEP_1)
	v_add_nc_u64_e32 v[0:1], s[8:9], v[0:1]
	s_cbranch_scc1 .LBB54_131
; %bb.125:
	s_and_b32 s1, 0xffff, s0
	s_delay_alu instid0(SALU_CYCLE_1)
	s_cmp_gt_i32 s1, 25
	s_cbranch_scc0 .LBB54_133
; %bb.126:
	s_cmp_gt_i32 s1, 28
	s_cbranch_scc0 .LBB54_134
; %bb.127:
	;; [unrolled: 3-line block ×4, first 2 shown]
	s_cmp_eq_u32 s1, 46
	s_mov_b32 s42, 0
	s_cbranch_scc0 .LBB54_137
; %bb.130:
	global_load_b32 v2, v[0:1], off
	s_mov_b32 s41, -1
	s_wait_loadcnt 0x0
	v_lshlrev_b32_e32 v2, 16, v2
	s_delay_alu instid0(VALU_DEP_1)
	v_cvt_i32_f32_e32 v8, v2
	s_branch .LBB54_139
.LBB54_131:
	s_mov_b32 s41, 0
                                        ; implicit-def: $vgpr8
	s_cbranch_execnz .LBB54_200
.LBB54_132:
	s_and_not1_b32 vcc_lo, exec_lo, s41
	s_cbranch_vccnz .LBB54_628
	s_branch .LBB54_248
.LBB54_133:
	s_mov_b32 s42, -1
	s_mov_b32 s41, 0
                                        ; implicit-def: $vgpr8
	s_branch .LBB54_166
.LBB54_134:
	s_mov_b32 s42, -1
	s_mov_b32 s41, 0
                                        ; implicit-def: $vgpr8
	s_branch .LBB54_149
.LBB54_135:
	s_mov_b32 s42, -1
	s_mov_b32 s41, 0
                                        ; implicit-def: $vgpr8
	s_branch .LBB54_144
.LBB54_136:
	s_mov_b32 s42, -1
	s_branch .LBB54_138
.LBB54_137:
	s_mov_b32 s68, -1
.LBB54_138:
	s_mov_b32 s41, 0
                                        ; implicit-def: $vgpr8
.LBB54_139:
	s_and_b32 vcc_lo, exec_lo, s42
	s_cbranch_vccz .LBB54_143
; %bb.140:
	s_cmp_eq_u32 s1, 44
	s_cbranch_scc0 .LBB54_142
; %bb.141:
	global_load_u8 v2, v[0:1], off
	s_mov_b32 s68, 0
	s_mov_b32 s41, -1
	s_wait_loadcnt 0x0
	v_lshlrev_b32_e32 v3, 23, v2
	v_cmp_ne_u32_e32 vcc_lo, 0, v2
	s_delay_alu instid0(VALU_DEP_2) | instskip(NEXT) | instid1(VALU_DEP_1)
	v_cvt_i32_f32_e32 v3, v3
	v_cndmask_b32_e32 v8, 0, v3, vcc_lo
	s_branch .LBB54_143
.LBB54_142:
	s_mov_b32 s68, -1
                                        ; implicit-def: $vgpr8
.LBB54_143:
	s_mov_b32 s42, 0
.LBB54_144:
	s_delay_alu instid0(SALU_CYCLE_1)
	s_and_b32 vcc_lo, exec_lo, s42
	s_cbranch_vccz .LBB54_148
; %bb.145:
	s_cmp_eq_u32 s1, 29
	s_cbranch_scc0 .LBB54_147
; %bb.146:
	global_load_b32 v8, v[0:1], off
	s_mov_b32 s41, -1
	s_mov_b32 s68, 0
	s_branch .LBB54_148
.LBB54_147:
	s_mov_b32 s68, -1
                                        ; implicit-def: $vgpr8
.LBB54_148:
	s_mov_b32 s42, 0
.LBB54_149:
	s_delay_alu instid0(SALU_CYCLE_1)
	s_and_b32 vcc_lo, exec_lo, s42
	s_cbranch_vccz .LBB54_165
; %bb.150:
	s_cmp_lt_i32 s1, 27
	s_cbranch_scc1 .LBB54_153
; %bb.151:
	s_cmp_gt_i32 s1, 27
	s_cbranch_scc0 .LBB54_154
; %bb.152:
	s_wait_loadcnt 0x0
	global_load_b32 v8, v[0:1], off
	s_mov_b32 s41, 0
	s_branch .LBB54_155
.LBB54_153:
	s_mov_b32 s41, -1
                                        ; implicit-def: $vgpr8
	s_branch .LBB54_158
.LBB54_154:
	s_mov_b32 s41, -1
                                        ; implicit-def: $vgpr8
.LBB54_155:
	s_delay_alu instid0(SALU_CYCLE_1)
	s_and_not1_b32 vcc_lo, exec_lo, s41
	s_cbranch_vccnz .LBB54_157
; %bb.156:
	s_wait_loadcnt 0x0
	global_load_u16 v8, v[0:1], off
.LBB54_157:
	s_mov_b32 s41, 0
.LBB54_158:
	s_delay_alu instid0(SALU_CYCLE_1)
	s_and_not1_b32 vcc_lo, exec_lo, s41
	s_cbranch_vccnz .LBB54_164
; %bb.159:
	global_load_u8 v2, v[0:1], off
	s_mov_b32 s42, 0
	s_mov_b32 s41, exec_lo
	s_wait_loadcnt 0x0
	v_cmpx_lt_i16_e32 0x7f, v2
	s_xor_b32 s41, exec_lo, s41
	s_cbranch_execz .LBB54_176
; %bb.160:
	v_cmp_ne_u16_e32 vcc_lo, 0x80, v2
	s_and_b32 s42, vcc_lo, exec_lo
	s_and_not1_saveexec_b32 s41, s41
	s_cbranch_execnz .LBB54_177
.LBB54_161:
	s_or_b32 exec_lo, exec_lo, s41
	v_mov_b32_e32 v8, 0
	s_and_saveexec_b32 s41, s42
	s_cbranch_execz .LBB54_163
.LBB54_162:
	v_and_b32_e32 v3, 0xffff, v2
	s_delay_alu instid0(VALU_DEP_1) | instskip(SKIP_1) | instid1(VALU_DEP_2)
	v_and_b32_e32 v4, 7, v3
	v_bfe_u32 v8, v3, 3, 4
	v_clz_i32_u32_e32 v5, v4
	s_delay_alu instid0(VALU_DEP_2) | instskip(NEXT) | instid1(VALU_DEP_2)
	v_cmp_eq_u32_e32 vcc_lo, 0, v8
	v_min_u32_e32 v5, 32, v5
	s_delay_alu instid0(VALU_DEP_1) | instskip(NEXT) | instid1(VALU_DEP_1)
	v_subrev_nc_u32_e32 v6, 28, v5
	v_dual_lshlrev_b32 v3, v6, v3 :: v_dual_sub_nc_u32 v5, 29, v5
	s_delay_alu instid0(VALU_DEP_1) | instskip(NEXT) | instid1(VALU_DEP_2)
	v_dual_lshlrev_b32 v2, 24, v2 :: v_dual_bitop2_b32 v3, 7, v3 bitop3:0x40
	v_cndmask_b32_e32 v5, v8, v5, vcc_lo
	s_delay_alu instid0(VALU_DEP_2) | instskip(NEXT) | instid1(VALU_DEP_3)
	v_cndmask_b32_e32 v3, v4, v3, vcc_lo
	v_and_b32_e32 v2, 0x80000000, v2
	s_delay_alu instid0(VALU_DEP_3) | instskip(NEXT) | instid1(VALU_DEP_3)
	v_lshl_add_u32 v4, v5, 23, 0x3b800000
	v_lshlrev_b32_e32 v3, 20, v3
	s_delay_alu instid0(VALU_DEP_1) | instskip(NEXT) | instid1(VALU_DEP_1)
	v_or3_b32 v2, v2, v4, v3
	v_cvt_i32_f32_e32 v8, v2
.LBB54_163:
	s_or_b32 exec_lo, exec_lo, s41
.LBB54_164:
	s_mov_b32 s41, -1
.LBB54_165:
	s_mov_b32 s42, 0
.LBB54_166:
	s_delay_alu instid0(SALU_CYCLE_1)
	s_and_b32 vcc_lo, exec_lo, s42
	s_cbranch_vccz .LBB54_199
; %bb.167:
	s_cmp_gt_i32 s1, 22
	s_cbranch_scc0 .LBB54_175
; %bb.168:
	s_cmp_lt_i32 s1, 24
	s_cbranch_scc1 .LBB54_178
; %bb.169:
	s_cmp_gt_i32 s1, 24
	s_cbranch_scc0 .LBB54_179
; %bb.170:
	global_load_u8 v2, v[0:1], off
	s_mov_b32 s42, 0
	s_mov_b32 s41, exec_lo
	s_wait_loadcnt 0x0
	v_cmpx_lt_i16_e32 0x7f, v2
	s_xor_b32 s41, exec_lo, s41
	s_cbranch_execz .LBB54_191
; %bb.171:
	v_cmp_ne_u16_e32 vcc_lo, 0x80, v2
	s_and_b32 s42, vcc_lo, exec_lo
	s_and_not1_saveexec_b32 s41, s41
	s_cbranch_execnz .LBB54_192
.LBB54_172:
	s_or_b32 exec_lo, exec_lo, s41
	v_mov_b32_e32 v8, 0
	s_and_saveexec_b32 s41, s42
	s_cbranch_execz .LBB54_174
.LBB54_173:
	v_and_b32_e32 v3, 0xffff, v2
	s_delay_alu instid0(VALU_DEP_1) | instskip(SKIP_1) | instid1(VALU_DEP_2)
	v_and_b32_e32 v4, 3, v3
	v_bfe_u32 v8, v3, 2, 5
	v_clz_i32_u32_e32 v5, v4
	s_delay_alu instid0(VALU_DEP_2) | instskip(NEXT) | instid1(VALU_DEP_2)
	v_cmp_eq_u32_e32 vcc_lo, 0, v8
	v_min_u32_e32 v5, 32, v5
	s_delay_alu instid0(VALU_DEP_1) | instskip(NEXT) | instid1(VALU_DEP_1)
	v_subrev_nc_u32_e32 v6, 29, v5
	v_dual_lshlrev_b32 v3, v6, v3 :: v_dual_sub_nc_u32 v5, 30, v5
	s_delay_alu instid0(VALU_DEP_1) | instskip(NEXT) | instid1(VALU_DEP_2)
	v_dual_lshlrev_b32 v2, 24, v2 :: v_dual_bitop2_b32 v3, 3, v3 bitop3:0x40
	v_cndmask_b32_e32 v5, v8, v5, vcc_lo
	s_delay_alu instid0(VALU_DEP_2) | instskip(NEXT) | instid1(VALU_DEP_3)
	v_cndmask_b32_e32 v3, v4, v3, vcc_lo
	v_and_b32_e32 v2, 0x80000000, v2
	s_delay_alu instid0(VALU_DEP_3) | instskip(NEXT) | instid1(VALU_DEP_3)
	v_lshl_add_u32 v4, v5, 23, 0x37800000
	v_lshlrev_b32_e32 v3, 21, v3
	s_delay_alu instid0(VALU_DEP_1) | instskip(NEXT) | instid1(VALU_DEP_1)
	v_or3_b32 v2, v2, v4, v3
	v_cvt_i32_f32_e32 v8, v2
.LBB54_174:
	s_or_b32 exec_lo, exec_lo, s41
	s_mov_b32 s41, 0
	s_branch .LBB54_180
.LBB54_175:
	s_mov_b32 s42, -1
                                        ; implicit-def: $vgpr8
	s_branch .LBB54_186
.LBB54_176:
	s_and_not1_saveexec_b32 s41, s41
	s_cbranch_execz .LBB54_161
.LBB54_177:
	v_cmp_ne_u16_e32 vcc_lo, 0, v2
	s_and_not1_b32 s42, s42, exec_lo
	s_and_b32 s43, vcc_lo, exec_lo
	s_delay_alu instid0(SALU_CYCLE_1)
	s_or_b32 s42, s42, s43
	s_or_b32 exec_lo, exec_lo, s41
	v_mov_b32_e32 v8, 0
	s_and_saveexec_b32 s41, s42
	s_cbranch_execnz .LBB54_162
	s_branch .LBB54_163
.LBB54_178:
	s_mov_b32 s41, -1
                                        ; implicit-def: $vgpr8
	s_branch .LBB54_183
.LBB54_179:
	s_mov_b32 s41, -1
                                        ; implicit-def: $vgpr8
.LBB54_180:
	s_delay_alu instid0(SALU_CYCLE_1)
	s_and_b32 vcc_lo, exec_lo, s41
	s_cbranch_vccz .LBB54_182
; %bb.181:
	global_load_u8 v2, v[0:1], off
	s_wait_loadcnt 0x0
	v_lshlrev_b32_e32 v2, 24, v2
	s_delay_alu instid0(VALU_DEP_1) | instskip(NEXT) | instid1(VALU_DEP_1)
	v_and_b32_e32 v3, 0x7f000000, v2
	v_clz_i32_u32_e32 v4, v3
	v_cmp_ne_u32_e32 vcc_lo, 0, v3
	v_add_nc_u32_e32 v6, 0x1000000, v3
	s_delay_alu instid0(VALU_DEP_3) | instskip(NEXT) | instid1(VALU_DEP_1)
	v_min_u32_e32 v4, 32, v4
	v_sub_nc_u32_e64 v4, v4, 4 clamp
	s_delay_alu instid0(VALU_DEP_1) | instskip(NEXT) | instid1(VALU_DEP_1)
	v_dual_lshlrev_b32 v5, v4, v3 :: v_dual_lshlrev_b32 v4, 23, v4
	v_lshrrev_b32_e32 v5, 4, v5
	s_delay_alu instid0(VALU_DEP_1) | instskip(NEXT) | instid1(VALU_DEP_1)
	v_dual_sub_nc_u32 v4, v5, v4 :: v_dual_ashrrev_i32 v5, 8, v6
	v_add_nc_u32_e32 v4, 0x3c000000, v4
	s_delay_alu instid0(VALU_DEP_1) | instskip(NEXT) | instid1(VALU_DEP_1)
	v_and_or_b32 v4, 0x7f800000, v5, v4
	v_cndmask_b32_e32 v3, 0, v4, vcc_lo
	s_delay_alu instid0(VALU_DEP_1) | instskip(NEXT) | instid1(VALU_DEP_1)
	v_and_or_b32 v2, 0x80000000, v2, v3
	v_cvt_i32_f32_e32 v8, v2
.LBB54_182:
	s_mov_b32 s41, 0
.LBB54_183:
	s_delay_alu instid0(SALU_CYCLE_1)
	s_and_not1_b32 vcc_lo, exec_lo, s41
	s_cbranch_vccnz .LBB54_185
; %bb.184:
	global_load_u8 v2, v[0:1], off
	s_wait_loadcnt 0x0
	v_lshlrev_b32_e32 v3, 25, v2
	v_lshlrev_b16 v2, 8, v2
	s_delay_alu instid0(VALU_DEP_1) | instskip(SKIP_1) | instid1(VALU_DEP_2)
	v_and_or_b32 v5, 0x7f00, v2, 0.5
	v_bfe_i32 v2, v2, 0, 16
	v_dual_add_f32 v5, -0.5, v5 :: v_dual_lshrrev_b32 v4, 4, v3
	v_cmp_gt_u32_e32 vcc_lo, 0x8000000, v3
	s_delay_alu instid0(VALU_DEP_2) | instskip(NEXT) | instid1(VALU_DEP_1)
	v_or_b32_e32 v4, 0x70000000, v4
	v_mul_f32_e32 v4, 0x7800000, v4
	s_delay_alu instid0(VALU_DEP_1) | instskip(NEXT) | instid1(VALU_DEP_1)
	v_cndmask_b32_e32 v3, v4, v5, vcc_lo
	v_and_or_b32 v2, 0x80000000, v2, v3
	s_delay_alu instid0(VALU_DEP_1)
	v_cvt_i32_f32_e32 v8, v2
.LBB54_185:
	s_mov_b32 s42, 0
	s_mov_b32 s41, -1
.LBB54_186:
	s_and_not1_b32 vcc_lo, exec_lo, s42
	s_cbranch_vccnz .LBB54_199
; %bb.187:
	s_cmp_gt_i32 s1, 14
	s_cbranch_scc0 .LBB54_190
; %bb.188:
	s_cmp_eq_u32 s1, 15
	s_cbranch_scc0 .LBB54_193
; %bb.189:
	global_load_u16 v2, v[0:1], off
	s_mov_b32 s41, -1
	s_mov_b32 s68, 0
	s_wait_loadcnt 0x0
	v_lshlrev_b32_e32 v2, 16, v2
	s_delay_alu instid0(VALU_DEP_1)
	v_cvt_i32_f32_e32 v8, v2
	s_branch .LBB54_194
.LBB54_190:
	s_mov_b32 s42, -1
                                        ; implicit-def: $vgpr8
	s_branch .LBB54_195
.LBB54_191:
	s_and_not1_saveexec_b32 s41, s41
	s_cbranch_execz .LBB54_172
.LBB54_192:
	v_cmp_ne_u16_e32 vcc_lo, 0, v2
	s_and_not1_b32 s42, s42, exec_lo
	s_and_b32 s43, vcc_lo, exec_lo
	s_delay_alu instid0(SALU_CYCLE_1)
	s_or_b32 s42, s42, s43
	s_or_b32 exec_lo, exec_lo, s41
	v_mov_b32_e32 v8, 0
	s_and_saveexec_b32 s41, s42
	s_cbranch_execnz .LBB54_173
	s_branch .LBB54_174
.LBB54_193:
	s_mov_b32 s68, -1
                                        ; implicit-def: $vgpr8
.LBB54_194:
	s_mov_b32 s42, 0
.LBB54_195:
	s_delay_alu instid0(SALU_CYCLE_1)
	s_and_b32 vcc_lo, exec_lo, s42
	s_cbranch_vccz .LBB54_199
; %bb.196:
	s_cmp_eq_u32 s1, 11
	s_cbranch_scc0 .LBB54_198
; %bb.197:
	global_load_u8 v2, v[0:1], off
	s_mov_b32 s68, 0
	s_mov_b32 s41, -1
	s_wait_loadcnt 0x0
	v_cmp_ne_u16_e32 vcc_lo, 0, v2
	v_cndmask_b32_e64 v8, 0, 1, vcc_lo
	s_branch .LBB54_199
.LBB54_198:
	s_mov_b32 s68, -1
                                        ; implicit-def: $vgpr8
.LBB54_199:
	s_branch .LBB54_132
.LBB54_200:
	s_and_b32 s0, 0xffff, s0
	s_delay_alu instid0(SALU_CYCLE_1)
	s_cmp_lt_i32 s0, 5
	s_cbranch_scc1 .LBB54_205
; %bb.201:
	s_cmp_lt_i32 s0, 8
	s_cbranch_scc1 .LBB54_206
; %bb.202:
	;; [unrolled: 3-line block ×3, first 2 shown]
	s_cmp_gt_i32 s0, 9
	s_cbranch_scc0 .LBB54_208
; %bb.204:
	global_load_b64 v[2:3], v[0:1], off
	s_mov_b32 s1, 0
	s_wait_loadcnt 0x0
	v_cvt_i32_f64_e32 v8, v[2:3]
	s_branch .LBB54_209
.LBB54_205:
	s_mov_b32 s1, -1
                                        ; implicit-def: $vgpr8
	s_branch .LBB54_227
.LBB54_206:
	s_mov_b32 s1, -1
                                        ; implicit-def: $vgpr8
	s_branch .LBB54_215
.LBB54_207:
	s_mov_b32 s1, -1
                                        ; implicit-def: $vgpr8
	s_branch .LBB54_212
.LBB54_208:
	s_mov_b32 s1, -1
                                        ; implicit-def: $vgpr8
.LBB54_209:
	s_delay_alu instid0(SALU_CYCLE_1)
	s_and_not1_b32 vcc_lo, exec_lo, s1
	s_cbranch_vccnz .LBB54_211
; %bb.210:
	global_load_b32 v2, v[0:1], off
	s_wait_loadcnt 0x0
	v_cvt_i32_f32_e32 v8, v2
.LBB54_211:
	s_mov_b32 s1, 0
.LBB54_212:
	s_delay_alu instid0(SALU_CYCLE_1)
	s_and_not1_b32 vcc_lo, exec_lo, s1
	s_cbranch_vccnz .LBB54_214
; %bb.213:
	global_load_b32 v2, v[0:1], off
	s_wait_loadcnt 0x0
	v_cvt_f32_f16_e32 v2, v2
	s_delay_alu instid0(VALU_DEP_1)
	v_cvt_i32_f32_e32 v8, v2
.LBB54_214:
	s_mov_b32 s1, 0
.LBB54_215:
	s_delay_alu instid0(SALU_CYCLE_1)
	s_and_not1_b32 vcc_lo, exec_lo, s1
	s_cbranch_vccnz .LBB54_226
; %bb.216:
	s_cmp_lt_i32 s0, 6
	s_cbranch_scc1 .LBB54_219
; %bb.217:
	s_cmp_gt_i32 s0, 6
	s_cbranch_scc0 .LBB54_220
; %bb.218:
	global_load_b64 v[2:3], v[0:1], off
	s_mov_b32 s1, 0
	s_wait_loadcnt 0x0
	v_cvt_i32_f64_e32 v8, v[2:3]
	s_branch .LBB54_221
.LBB54_219:
	s_mov_b32 s1, -1
                                        ; implicit-def: $vgpr8
	s_branch .LBB54_224
.LBB54_220:
	s_mov_b32 s1, -1
                                        ; implicit-def: $vgpr8
.LBB54_221:
	s_delay_alu instid0(SALU_CYCLE_1)
	s_and_not1_b32 vcc_lo, exec_lo, s1
	s_cbranch_vccnz .LBB54_223
; %bb.222:
	global_load_b32 v2, v[0:1], off
	s_wait_loadcnt 0x0
	v_cvt_i32_f32_e32 v8, v2
.LBB54_223:
	s_mov_b32 s1, 0
.LBB54_224:
	s_delay_alu instid0(SALU_CYCLE_1)
	s_and_not1_b32 vcc_lo, exec_lo, s1
	s_cbranch_vccnz .LBB54_226
; %bb.225:
	global_load_u16 v2, v[0:1], off
	s_wait_loadcnt 0x0
	v_cvt_f32_f16_e32 v2, v2
	s_delay_alu instid0(VALU_DEP_1)
	v_cvt_i32_f32_e32 v8, v2
.LBB54_226:
	s_mov_b32 s1, 0
.LBB54_227:
	s_delay_alu instid0(SALU_CYCLE_1)
	s_and_not1_b32 vcc_lo, exec_lo, s1
	s_cbranch_vccnz .LBB54_247
; %bb.228:
	s_cmp_lt_i32 s0, 2
	s_cbranch_scc1 .LBB54_232
; %bb.229:
	s_cmp_lt_i32 s0, 3
	s_cbranch_scc1 .LBB54_233
; %bb.230:
	s_cmp_gt_i32 s0, 3
	s_cbranch_scc0 .LBB54_234
; %bb.231:
	s_wait_loadcnt 0x0
	global_load_b32 v8, v[0:1], off
	s_mov_b32 s1, 0
	s_branch .LBB54_235
.LBB54_232:
	s_mov_b32 s1, -1
                                        ; implicit-def: $vgpr8
	s_branch .LBB54_241
.LBB54_233:
	s_mov_b32 s1, -1
                                        ; implicit-def: $vgpr8
	s_branch .LBB54_238
.LBB54_234:
	s_mov_b32 s1, -1
                                        ; implicit-def: $vgpr8
.LBB54_235:
	s_delay_alu instid0(SALU_CYCLE_1)
	s_and_not1_b32 vcc_lo, exec_lo, s1
	s_cbranch_vccnz .LBB54_237
; %bb.236:
	s_wait_loadcnt 0x0
	global_load_b32 v8, v[0:1], off
.LBB54_237:
	s_mov_b32 s1, 0
.LBB54_238:
	s_delay_alu instid0(SALU_CYCLE_1)
	s_and_not1_b32 vcc_lo, exec_lo, s1
	s_cbranch_vccnz .LBB54_240
; %bb.239:
	s_wait_loadcnt 0x0
	global_load_i16 v8, v[0:1], off
.LBB54_240:
	s_mov_b32 s1, 0
.LBB54_241:
	s_delay_alu instid0(SALU_CYCLE_1)
	s_and_not1_b32 vcc_lo, exec_lo, s1
	s_cbranch_vccnz .LBB54_247
; %bb.242:
	s_cmp_gt_i32 s0, 0
	s_mov_b32 s0, 0
	s_cbranch_scc0 .LBB54_244
; %bb.243:
	s_wait_loadcnt 0x0
	global_load_i8 v8, v[0:1], off
	s_branch .LBB54_245
.LBB54_244:
	s_mov_b32 s0, -1
                                        ; implicit-def: $vgpr8
.LBB54_245:
	s_delay_alu instid0(SALU_CYCLE_1)
	s_and_not1_b32 vcc_lo, exec_lo, s0
	s_cbranch_vccnz .LBB54_247
; %bb.246:
	s_wait_loadcnt 0x0
	global_load_u8 v8, v[0:1], off
.LBB54_247:
.LBB54_248:
	s_wait_xcnt 0x0
	v_mul_lo_u32 v0, v22, s19
	s_and_b32 s0, s34, 0xff
	s_delay_alu instid0(SALU_CYCLE_1) | instskip(NEXT) | instid1(VALU_DEP_1)
	s_cmp_lt_i32 s0, 11
	v_ashrrev_i32_e32 v1, 31, v0
	s_delay_alu instid0(VALU_DEP_1)
	v_add_nc_u64_e32 v[2:3], s[10:11], v[0:1]
	s_cbranch_scc1 .LBB54_255
; %bb.249:
	s_and_b32 s1, 0xffff, s0
	s_delay_alu instid0(SALU_CYCLE_1)
	s_cmp_gt_i32 s1, 25
	s_cbranch_scc0 .LBB54_256
; %bb.250:
	s_cmp_gt_i32 s1, 28
	s_cbranch_scc0 .LBB54_257
; %bb.251:
	;; [unrolled: 3-line block ×4, first 2 shown]
	s_cmp_eq_u32 s1, 46
	s_mov_b32 s42, 0
	s_cbranch_scc0 .LBB54_260
; %bb.254:
	global_load_b32 v0, v[2:3], off
	s_mov_b32 s41, -1
	s_wait_loadcnt 0x0
	v_lshlrev_b32_e32 v0, 16, v0
	s_delay_alu instid0(VALU_DEP_1)
	v_cvt_i32_f32_e32 v0, v0
	s_branch .LBB54_262
.LBB54_255:
	s_mov_b32 s1, -1
	s_mov_b32 s41, 0
                                        ; implicit-def: $vgpr0
	s_branch .LBB54_323
.LBB54_256:
	s_mov_b32 s42, -1
	s_mov_b32 s41, 0
                                        ; implicit-def: $vgpr0
	s_branch .LBB54_289
.LBB54_257:
	s_mov_b32 s42, -1
	s_mov_b32 s41, 0
                                        ; implicit-def: $vgpr0
	s_branch .LBB54_272
.LBB54_258:
	s_mov_b32 s42, -1
	s_mov_b32 s41, 0
                                        ; implicit-def: $vgpr0
	s_branch .LBB54_267
.LBB54_259:
	s_mov_b32 s42, -1
	s_branch .LBB54_261
.LBB54_260:
	s_mov_b32 s67, -1
.LBB54_261:
	s_mov_b32 s41, 0
                                        ; implicit-def: $vgpr0
.LBB54_262:
	s_and_b32 vcc_lo, exec_lo, s42
	s_cbranch_vccz .LBB54_266
; %bb.263:
	s_cmp_eq_u32 s1, 44
	s_cbranch_scc0 .LBB54_265
; %bb.264:
	global_load_u8 v0, v[2:3], off
	s_mov_b32 s67, 0
	s_mov_b32 s41, -1
	s_wait_loadcnt 0x0
	v_lshlrev_b32_e32 v1, 23, v0
	v_cmp_ne_u32_e32 vcc_lo, 0, v0
	s_delay_alu instid0(VALU_DEP_2) | instskip(NEXT) | instid1(VALU_DEP_1)
	v_cvt_i32_f32_e32 v1, v1
	v_cndmask_b32_e32 v0, 0, v1, vcc_lo
	s_branch .LBB54_266
.LBB54_265:
	s_mov_b32 s67, -1
                                        ; implicit-def: $vgpr0
.LBB54_266:
	s_mov_b32 s42, 0
.LBB54_267:
	s_delay_alu instid0(SALU_CYCLE_1)
	s_and_b32 vcc_lo, exec_lo, s42
	s_cbranch_vccz .LBB54_271
; %bb.268:
	s_cmp_eq_u32 s1, 29
	s_cbranch_scc0 .LBB54_270
; %bb.269:
	global_load_b32 v0, v[2:3], off
	s_mov_b32 s41, -1
	s_mov_b32 s67, 0
	s_branch .LBB54_271
.LBB54_270:
	s_mov_b32 s67, -1
                                        ; implicit-def: $vgpr0
.LBB54_271:
	s_mov_b32 s42, 0
.LBB54_272:
	s_delay_alu instid0(SALU_CYCLE_1)
	s_and_b32 vcc_lo, exec_lo, s42
	s_cbranch_vccz .LBB54_288
; %bb.273:
	s_cmp_lt_i32 s1, 27
	s_cbranch_scc1 .LBB54_276
; %bb.274:
	s_cmp_gt_i32 s1, 27
	s_cbranch_scc0 .LBB54_277
; %bb.275:
	s_wait_loadcnt 0x0
	global_load_b32 v0, v[2:3], off
	s_mov_b32 s41, 0
	s_branch .LBB54_278
.LBB54_276:
	s_mov_b32 s41, -1
                                        ; implicit-def: $vgpr0
	s_branch .LBB54_281
.LBB54_277:
	s_mov_b32 s41, -1
                                        ; implicit-def: $vgpr0
.LBB54_278:
	s_delay_alu instid0(SALU_CYCLE_1)
	s_and_not1_b32 vcc_lo, exec_lo, s41
	s_cbranch_vccnz .LBB54_280
; %bb.279:
	s_wait_loadcnt 0x0
	global_load_u16 v0, v[2:3], off
.LBB54_280:
	s_mov_b32 s41, 0
.LBB54_281:
	s_delay_alu instid0(SALU_CYCLE_1)
	s_and_not1_b32 vcc_lo, exec_lo, s41
	s_cbranch_vccnz .LBB54_287
; %bb.282:
	global_load_u8 v1, v[2:3], off
	s_mov_b32 s42, 0
	s_mov_b32 s41, exec_lo
	s_wait_loadcnt 0x0
	v_cmpx_lt_i16_e32 0x7f, v1
	s_xor_b32 s41, exec_lo, s41
	s_cbranch_execz .LBB54_299
; %bb.283:
	v_cmp_ne_u16_e32 vcc_lo, 0x80, v1
	s_and_b32 s42, vcc_lo, exec_lo
	s_and_not1_saveexec_b32 s41, s41
	s_cbranch_execnz .LBB54_300
.LBB54_284:
	s_or_b32 exec_lo, exec_lo, s41
	v_mov_b32_e32 v0, 0
	s_and_saveexec_b32 s41, s42
	s_cbranch_execz .LBB54_286
.LBB54_285:
	v_and_b32_e32 v0, 0xffff, v1
	s_delay_alu instid0(VALU_DEP_1) | instskip(SKIP_1) | instid1(VALU_DEP_2)
	v_and_b32_e32 v4, 7, v0
	v_bfe_u32 v9, v0, 3, 4
	v_clz_i32_u32_e32 v5, v4
	s_delay_alu instid0(VALU_DEP_2) | instskip(NEXT) | instid1(VALU_DEP_2)
	v_cmp_eq_u32_e32 vcc_lo, 0, v9
	v_min_u32_e32 v5, 32, v5
	s_delay_alu instid0(VALU_DEP_1) | instskip(NEXT) | instid1(VALU_DEP_1)
	v_subrev_nc_u32_e32 v6, 28, v5
	v_dual_lshlrev_b32 v0, v6, v0 :: v_dual_sub_nc_u32 v5, 29, v5
	s_delay_alu instid0(VALU_DEP_1) | instskip(NEXT) | instid1(VALU_DEP_1)
	v_dual_lshlrev_b32 v1, 24, v1 :: v_dual_bitop2_b32 v0, 7, v0 bitop3:0x40
	v_dual_cndmask_b32 v0, v4, v0 :: v_dual_cndmask_b32 v5, v9, v5
	s_delay_alu instid0(VALU_DEP_2) | instskip(NEXT) | instid1(VALU_DEP_2)
	v_and_b32_e32 v1, 0x80000000, v1
	v_lshlrev_b32_e32 v0, 20, v0
	s_delay_alu instid0(VALU_DEP_3) | instskip(NEXT) | instid1(VALU_DEP_1)
	v_lshl_add_u32 v4, v5, 23, 0x3b800000
	v_or3_b32 v0, v1, v4, v0
	s_delay_alu instid0(VALU_DEP_1)
	v_cvt_i32_f32_e32 v0, v0
.LBB54_286:
	s_or_b32 exec_lo, exec_lo, s41
.LBB54_287:
	s_mov_b32 s41, -1
.LBB54_288:
	s_mov_b32 s42, 0
.LBB54_289:
	s_delay_alu instid0(SALU_CYCLE_1)
	s_and_b32 vcc_lo, exec_lo, s42
	s_cbranch_vccz .LBB54_322
; %bb.290:
	s_cmp_gt_i32 s1, 22
	s_cbranch_scc0 .LBB54_298
; %bb.291:
	s_cmp_lt_i32 s1, 24
	s_cbranch_scc1 .LBB54_301
; %bb.292:
	s_cmp_gt_i32 s1, 24
	s_cbranch_scc0 .LBB54_302
; %bb.293:
	global_load_u8 v1, v[2:3], off
	s_mov_b32 s42, 0
	s_mov_b32 s41, exec_lo
	s_wait_loadcnt 0x0
	v_cmpx_lt_i16_e32 0x7f, v1
	s_xor_b32 s41, exec_lo, s41
	s_cbranch_execz .LBB54_314
; %bb.294:
	v_cmp_ne_u16_e32 vcc_lo, 0x80, v1
	s_and_b32 s42, vcc_lo, exec_lo
	s_and_not1_saveexec_b32 s41, s41
	s_cbranch_execnz .LBB54_315
.LBB54_295:
	s_or_b32 exec_lo, exec_lo, s41
	v_mov_b32_e32 v0, 0
	s_and_saveexec_b32 s41, s42
	s_cbranch_execz .LBB54_297
.LBB54_296:
	v_and_b32_e32 v0, 0xffff, v1
	s_delay_alu instid0(VALU_DEP_1) | instskip(SKIP_1) | instid1(VALU_DEP_2)
	v_and_b32_e32 v4, 3, v0
	v_bfe_u32 v9, v0, 2, 5
	v_clz_i32_u32_e32 v5, v4
	s_delay_alu instid0(VALU_DEP_2) | instskip(NEXT) | instid1(VALU_DEP_2)
	v_cmp_eq_u32_e32 vcc_lo, 0, v9
	v_min_u32_e32 v5, 32, v5
	s_delay_alu instid0(VALU_DEP_1) | instskip(NEXT) | instid1(VALU_DEP_1)
	v_subrev_nc_u32_e32 v6, 29, v5
	v_dual_lshlrev_b32 v0, v6, v0 :: v_dual_sub_nc_u32 v5, 30, v5
	s_delay_alu instid0(VALU_DEP_1) | instskip(NEXT) | instid1(VALU_DEP_1)
	v_dual_lshlrev_b32 v1, 24, v1 :: v_dual_bitop2_b32 v0, 3, v0 bitop3:0x40
	v_dual_cndmask_b32 v0, v4, v0 :: v_dual_cndmask_b32 v5, v9, v5
	s_delay_alu instid0(VALU_DEP_2) | instskip(NEXT) | instid1(VALU_DEP_2)
	v_and_b32_e32 v1, 0x80000000, v1
	v_lshlrev_b32_e32 v0, 21, v0
	s_delay_alu instid0(VALU_DEP_3) | instskip(NEXT) | instid1(VALU_DEP_1)
	v_lshl_add_u32 v4, v5, 23, 0x37800000
	v_or3_b32 v0, v1, v4, v0
	s_delay_alu instid0(VALU_DEP_1)
	v_cvt_i32_f32_e32 v0, v0
.LBB54_297:
	s_or_b32 exec_lo, exec_lo, s41
	s_mov_b32 s41, 0
	s_branch .LBB54_303
.LBB54_298:
	s_mov_b32 s42, -1
                                        ; implicit-def: $vgpr0
	s_branch .LBB54_309
.LBB54_299:
	s_and_not1_saveexec_b32 s41, s41
	s_cbranch_execz .LBB54_284
.LBB54_300:
	v_cmp_ne_u16_e32 vcc_lo, 0, v1
	s_and_not1_b32 s42, s42, exec_lo
	s_and_b32 s43, vcc_lo, exec_lo
	s_delay_alu instid0(SALU_CYCLE_1)
	s_or_b32 s42, s42, s43
	s_or_b32 exec_lo, exec_lo, s41
	v_mov_b32_e32 v0, 0
	s_and_saveexec_b32 s41, s42
	s_cbranch_execnz .LBB54_285
	s_branch .LBB54_286
.LBB54_301:
	s_mov_b32 s41, -1
                                        ; implicit-def: $vgpr0
	s_branch .LBB54_306
.LBB54_302:
	s_mov_b32 s41, -1
                                        ; implicit-def: $vgpr0
.LBB54_303:
	s_delay_alu instid0(SALU_CYCLE_1)
	s_and_b32 vcc_lo, exec_lo, s41
	s_cbranch_vccz .LBB54_305
; %bb.304:
	s_wait_loadcnt 0x0
	global_load_u8 v0, v[2:3], off
	s_wait_loadcnt 0x0
	v_lshlrev_b32_e32 v0, 24, v0
	s_delay_alu instid0(VALU_DEP_1) | instskip(NEXT) | instid1(VALU_DEP_1)
	v_and_b32_e32 v1, 0x7f000000, v0
	v_clz_i32_u32_e32 v4, v1
	v_cmp_ne_u32_e32 vcc_lo, 0, v1
	v_add_nc_u32_e32 v6, 0x1000000, v1
	s_delay_alu instid0(VALU_DEP_3) | instskip(NEXT) | instid1(VALU_DEP_1)
	v_min_u32_e32 v4, 32, v4
	v_sub_nc_u32_e64 v4, v4, 4 clamp
	s_delay_alu instid0(VALU_DEP_1) | instskip(NEXT) | instid1(VALU_DEP_1)
	v_dual_lshlrev_b32 v5, v4, v1 :: v_dual_lshlrev_b32 v4, 23, v4
	v_lshrrev_b32_e32 v5, 4, v5
	s_delay_alu instid0(VALU_DEP_1) | instskip(NEXT) | instid1(VALU_DEP_1)
	v_dual_sub_nc_u32 v4, v5, v4 :: v_dual_ashrrev_i32 v5, 8, v6
	v_add_nc_u32_e32 v4, 0x3c000000, v4
	s_delay_alu instid0(VALU_DEP_1) | instskip(NEXT) | instid1(VALU_DEP_1)
	v_and_or_b32 v4, 0x7f800000, v5, v4
	v_cndmask_b32_e32 v1, 0, v4, vcc_lo
	s_delay_alu instid0(VALU_DEP_1) | instskip(NEXT) | instid1(VALU_DEP_1)
	v_and_or_b32 v0, 0x80000000, v0, v1
	v_cvt_i32_f32_e32 v0, v0
.LBB54_305:
	s_mov_b32 s41, 0
.LBB54_306:
	s_delay_alu instid0(SALU_CYCLE_1)
	s_and_not1_b32 vcc_lo, exec_lo, s41
	s_cbranch_vccnz .LBB54_308
; %bb.307:
	s_wait_loadcnt 0x0
	global_load_u8 v0, v[2:3], off
	s_wait_loadcnt 0x0
	v_lshlrev_b32_e32 v1, 25, v0
	v_lshlrev_b16 v0, 8, v0
	s_delay_alu instid0(VALU_DEP_1) | instskip(SKIP_1) | instid1(VALU_DEP_2)
	v_and_or_b32 v5, 0x7f00, v0, 0.5
	v_bfe_i32 v0, v0, 0, 16
	v_add_f32_e32 v5, -0.5, v5
	v_lshrrev_b32_e32 v4, 4, v1
	v_cmp_gt_u32_e32 vcc_lo, 0x8000000, v1
	s_delay_alu instid0(VALU_DEP_2) | instskip(NEXT) | instid1(VALU_DEP_1)
	v_or_b32_e32 v4, 0x70000000, v4
	v_mul_f32_e32 v4, 0x7800000, v4
	s_delay_alu instid0(VALU_DEP_1) | instskip(NEXT) | instid1(VALU_DEP_1)
	v_cndmask_b32_e32 v1, v4, v5, vcc_lo
	v_and_or_b32 v0, 0x80000000, v0, v1
	s_delay_alu instid0(VALU_DEP_1)
	v_cvt_i32_f32_e32 v0, v0
.LBB54_308:
	s_mov_b32 s42, 0
	s_mov_b32 s41, -1
.LBB54_309:
	s_and_not1_b32 vcc_lo, exec_lo, s42
	s_cbranch_vccnz .LBB54_322
; %bb.310:
	s_cmp_gt_i32 s1, 14
	s_cbranch_scc0 .LBB54_313
; %bb.311:
	s_cmp_eq_u32 s1, 15
	s_cbranch_scc0 .LBB54_316
; %bb.312:
	s_wait_loadcnt 0x0
	global_load_u16 v0, v[2:3], off
	s_mov_b32 s41, -1
	s_mov_b32 s67, 0
	s_wait_loadcnt 0x0
	v_lshlrev_b32_e32 v0, 16, v0
	s_delay_alu instid0(VALU_DEP_1)
	v_cvt_i32_f32_e32 v0, v0
	s_branch .LBB54_317
.LBB54_313:
	s_mov_b32 s42, -1
                                        ; implicit-def: $vgpr0
	s_branch .LBB54_318
.LBB54_314:
	s_and_not1_saveexec_b32 s41, s41
	s_cbranch_execz .LBB54_295
.LBB54_315:
	v_cmp_ne_u16_e32 vcc_lo, 0, v1
	s_and_not1_b32 s42, s42, exec_lo
	s_and_b32 s43, vcc_lo, exec_lo
	s_delay_alu instid0(SALU_CYCLE_1)
	s_or_b32 s42, s42, s43
	s_or_b32 exec_lo, exec_lo, s41
	v_mov_b32_e32 v0, 0
	s_and_saveexec_b32 s41, s42
	s_cbranch_execnz .LBB54_296
	s_branch .LBB54_297
.LBB54_316:
	s_mov_b32 s67, -1
                                        ; implicit-def: $vgpr0
.LBB54_317:
	s_mov_b32 s42, 0
.LBB54_318:
	s_delay_alu instid0(SALU_CYCLE_1)
	s_and_b32 vcc_lo, exec_lo, s42
	s_cbranch_vccz .LBB54_322
; %bb.319:
	s_cmp_eq_u32 s1, 11
	s_cbranch_scc0 .LBB54_321
; %bb.320:
	s_wait_loadcnt 0x0
	global_load_u8 v0, v[2:3], off
	s_mov_b32 s67, 0
	s_mov_b32 s41, -1
	s_wait_loadcnt 0x0
	v_cmp_ne_u16_e32 vcc_lo, 0, v0
	v_cndmask_b32_e64 v0, 0, 1, vcc_lo
	s_branch .LBB54_322
.LBB54_321:
	s_mov_b32 s67, -1
                                        ; implicit-def: $vgpr0
.LBB54_322:
	s_mov_b32 s1, 0
.LBB54_323:
	s_delay_alu instid0(SALU_CYCLE_1)
	s_and_b32 vcc_lo, exec_lo, s1
	s_cbranch_vccz .LBB54_372
; %bb.324:
	s_and_b32 s0, 0xffff, s0
	s_delay_alu instid0(SALU_CYCLE_1)
	s_cmp_lt_i32 s0, 5
	s_cbranch_scc1 .LBB54_329
; %bb.325:
	s_cmp_lt_i32 s0, 8
	s_cbranch_scc1 .LBB54_330
; %bb.326:
	;; [unrolled: 3-line block ×3, first 2 shown]
	s_cmp_gt_i32 s0, 9
	s_cbranch_scc0 .LBB54_332
; %bb.328:
	s_wait_loadcnt 0x0
	global_load_b64 v[0:1], v[2:3], off
	s_mov_b32 s1, 0
	s_wait_loadcnt 0x0
	v_cvt_i32_f64_e32 v0, v[0:1]
	s_branch .LBB54_333
.LBB54_329:
	s_mov_b32 s1, -1
                                        ; implicit-def: $vgpr0
	s_branch .LBB54_351
.LBB54_330:
	s_mov_b32 s1, -1
                                        ; implicit-def: $vgpr0
	s_branch .LBB54_339
.LBB54_331:
	s_mov_b32 s1, -1
                                        ; implicit-def: $vgpr0
	s_branch .LBB54_336
.LBB54_332:
	s_mov_b32 s1, -1
                                        ; implicit-def: $vgpr0
.LBB54_333:
	s_delay_alu instid0(SALU_CYCLE_1)
	s_and_not1_b32 vcc_lo, exec_lo, s1
	s_cbranch_vccnz .LBB54_335
; %bb.334:
	s_wait_loadcnt 0x0
	global_load_b32 v0, v[2:3], off
	s_wait_loadcnt 0x0
	v_cvt_i32_f32_e32 v0, v0
.LBB54_335:
	s_mov_b32 s1, 0
.LBB54_336:
	s_delay_alu instid0(SALU_CYCLE_1)
	s_and_not1_b32 vcc_lo, exec_lo, s1
	s_cbranch_vccnz .LBB54_338
; %bb.337:
	s_wait_loadcnt 0x0
	global_load_b32 v0, v[2:3], off
	s_wait_loadcnt 0x0
	v_cvt_f32_f16_e32 v0, v0
	s_delay_alu instid0(VALU_DEP_1)
	v_cvt_i32_f32_e32 v0, v0
.LBB54_338:
	s_mov_b32 s1, 0
.LBB54_339:
	s_delay_alu instid0(SALU_CYCLE_1)
	s_and_not1_b32 vcc_lo, exec_lo, s1
	s_cbranch_vccnz .LBB54_350
; %bb.340:
	s_cmp_lt_i32 s0, 6
	s_cbranch_scc1 .LBB54_343
; %bb.341:
	s_cmp_gt_i32 s0, 6
	s_cbranch_scc0 .LBB54_344
; %bb.342:
	s_wait_loadcnt 0x0
	global_load_b64 v[0:1], v[2:3], off
	s_mov_b32 s1, 0
	s_wait_loadcnt 0x0
	v_cvt_i32_f64_e32 v0, v[0:1]
	s_branch .LBB54_345
.LBB54_343:
	s_mov_b32 s1, -1
                                        ; implicit-def: $vgpr0
	s_branch .LBB54_348
.LBB54_344:
	s_mov_b32 s1, -1
                                        ; implicit-def: $vgpr0
.LBB54_345:
	s_delay_alu instid0(SALU_CYCLE_1)
	s_and_not1_b32 vcc_lo, exec_lo, s1
	s_cbranch_vccnz .LBB54_347
; %bb.346:
	s_wait_loadcnt 0x0
	global_load_b32 v0, v[2:3], off
	s_wait_loadcnt 0x0
	v_cvt_i32_f32_e32 v0, v0
.LBB54_347:
	s_mov_b32 s1, 0
.LBB54_348:
	s_delay_alu instid0(SALU_CYCLE_1)
	s_and_not1_b32 vcc_lo, exec_lo, s1
	s_cbranch_vccnz .LBB54_350
; %bb.349:
	s_wait_loadcnt 0x0
	global_load_u16 v0, v[2:3], off
	s_wait_loadcnt 0x0
	v_cvt_f32_f16_e32 v0, v0
	s_delay_alu instid0(VALU_DEP_1)
	v_cvt_i32_f32_e32 v0, v0
.LBB54_350:
	s_mov_b32 s1, 0
.LBB54_351:
	s_delay_alu instid0(SALU_CYCLE_1)
	s_and_not1_b32 vcc_lo, exec_lo, s1
	s_cbranch_vccnz .LBB54_371
; %bb.352:
	s_cmp_lt_i32 s0, 2
	s_cbranch_scc1 .LBB54_356
; %bb.353:
	s_cmp_lt_i32 s0, 3
	s_cbranch_scc1 .LBB54_357
; %bb.354:
	s_cmp_gt_i32 s0, 3
	s_cbranch_scc0 .LBB54_358
; %bb.355:
	s_wait_loadcnt 0x0
	global_load_b32 v0, v[2:3], off
	s_mov_b32 s1, 0
	s_branch .LBB54_359
.LBB54_356:
	s_mov_b32 s1, -1
                                        ; implicit-def: $vgpr0
	s_branch .LBB54_365
.LBB54_357:
	s_mov_b32 s1, -1
                                        ; implicit-def: $vgpr0
	s_branch .LBB54_362
.LBB54_358:
	s_mov_b32 s1, -1
                                        ; implicit-def: $vgpr0
.LBB54_359:
	s_delay_alu instid0(SALU_CYCLE_1)
	s_and_not1_b32 vcc_lo, exec_lo, s1
	s_cbranch_vccnz .LBB54_361
; %bb.360:
	s_wait_loadcnt 0x0
	global_load_b32 v0, v[2:3], off
.LBB54_361:
	s_mov_b32 s1, 0
.LBB54_362:
	s_delay_alu instid0(SALU_CYCLE_1)
	s_and_not1_b32 vcc_lo, exec_lo, s1
	s_cbranch_vccnz .LBB54_364
; %bb.363:
	s_wait_loadcnt 0x0
	global_load_i16 v0, v[2:3], off
.LBB54_364:
	s_mov_b32 s1, 0
.LBB54_365:
	s_delay_alu instid0(SALU_CYCLE_1)
	s_and_not1_b32 vcc_lo, exec_lo, s1
	s_cbranch_vccnz .LBB54_371
; %bb.366:
	s_cmp_gt_i32 s0, 0
	s_mov_b32 s0, 0
	s_cbranch_scc0 .LBB54_368
; %bb.367:
	s_wait_loadcnt 0x0
	global_load_i8 v0, v[2:3], off
	s_branch .LBB54_369
.LBB54_368:
	s_mov_b32 s0, -1
                                        ; implicit-def: $vgpr0
.LBB54_369:
	s_delay_alu instid0(SALU_CYCLE_1)
	s_and_not1_b32 vcc_lo, exec_lo, s0
	s_cbranch_vccnz .LBB54_371
; %bb.370:
	s_wait_loadcnt 0x0
	global_load_u8 v0, v[2:3], off
.LBB54_371:
	s_mov_b32 s41, -1
.LBB54_372:
	s_delay_alu instid0(SALU_CYCLE_1)
	s_and_not1_b32 vcc_lo, exec_lo, s41
	s_cbranch_vccnz .LBB54_628
; %bb.373:
	s_wait_xcnt 0x0
	v_mul_lo_u32 v2, v22, s36
	s_and_b32 s0, s3, 0xff
	s_delay_alu instid0(SALU_CYCLE_1) | instskip(NEXT) | instid1(VALU_DEP_1)
	s_cmp_lt_i32 s0, 11
	v_ashrrev_i32_e32 v3, 31, v2
	s_delay_alu instid0(VALU_DEP_1)
	v_add_nc_u64_e32 v[4:5], s[12:13], v[2:3]
	s_cbranch_scc1 .LBB54_380
; %bb.374:
	s_and_b32 s1, 0xffff, s0
	s_delay_alu instid0(SALU_CYCLE_1)
	s_cmp_gt_i32 s1, 25
	s_cbranch_scc0 .LBB54_381
; %bb.375:
	s_cmp_gt_i32 s1, 28
	s_cbranch_scc0 .LBB54_382
; %bb.376:
	;; [unrolled: 3-line block ×4, first 2 shown]
	s_cmp_eq_u32 s1, 46
	s_mov_b32 s42, 0
	s_cbranch_scc0 .LBB54_385
; %bb.379:
	global_load_b32 v1, v[4:5], off
	s_mov_b32 s41, -1
	s_wait_loadcnt 0x0
	v_lshlrev_b32_e32 v1, 16, v1
	s_delay_alu instid0(VALU_DEP_1)
	v_cvt_i32_f32_e32 v2, v1
	s_branch .LBB54_387
.LBB54_380:
	s_mov_b32 s1, -1
	s_mov_b32 s41, 0
                                        ; implicit-def: $vgpr2
	s_branch .LBB54_448
.LBB54_381:
	s_mov_b32 s42, -1
	s_mov_b32 s41, 0
                                        ; implicit-def: $vgpr2
	s_branch .LBB54_414
.LBB54_382:
	s_mov_b32 s42, -1
	s_mov_b32 s41, 0
                                        ; implicit-def: $vgpr2
	s_branch .LBB54_397
.LBB54_383:
	s_mov_b32 s42, -1
	s_mov_b32 s41, 0
                                        ; implicit-def: $vgpr2
	s_branch .LBB54_392
.LBB54_384:
	s_mov_b32 s42, -1
	s_branch .LBB54_386
.LBB54_385:
	s_mov_b32 s66, -1
.LBB54_386:
	s_mov_b32 s41, 0
                                        ; implicit-def: $vgpr2
.LBB54_387:
	s_and_b32 vcc_lo, exec_lo, s42
	s_cbranch_vccz .LBB54_391
; %bb.388:
	s_cmp_eq_u32 s1, 44
	s_cbranch_scc0 .LBB54_390
; %bb.389:
	global_load_u8 v1, v[4:5], off
	s_mov_b32 s66, 0
	s_mov_b32 s41, -1
	s_wait_loadcnt 0x0
	v_lshlrev_b32_e32 v2, 23, v1
	v_cmp_ne_u32_e32 vcc_lo, 0, v1
	s_delay_alu instid0(VALU_DEP_2) | instskip(NEXT) | instid1(VALU_DEP_1)
	v_cvt_i32_f32_e32 v2, v2
	v_cndmask_b32_e32 v2, 0, v2, vcc_lo
	s_branch .LBB54_391
.LBB54_390:
	s_mov_b32 s66, -1
                                        ; implicit-def: $vgpr2
.LBB54_391:
	s_mov_b32 s42, 0
.LBB54_392:
	s_delay_alu instid0(SALU_CYCLE_1)
	s_and_b32 vcc_lo, exec_lo, s42
	s_cbranch_vccz .LBB54_396
; %bb.393:
	s_cmp_eq_u32 s1, 29
	s_cbranch_scc0 .LBB54_395
; %bb.394:
	global_load_b32 v2, v[4:5], off
	s_mov_b32 s41, -1
	s_mov_b32 s66, 0
	s_branch .LBB54_396
.LBB54_395:
	s_mov_b32 s66, -1
                                        ; implicit-def: $vgpr2
.LBB54_396:
	s_mov_b32 s42, 0
.LBB54_397:
	s_delay_alu instid0(SALU_CYCLE_1)
	s_and_b32 vcc_lo, exec_lo, s42
	s_cbranch_vccz .LBB54_413
; %bb.398:
	s_cmp_lt_i32 s1, 27
	s_cbranch_scc1 .LBB54_401
; %bb.399:
	s_cmp_gt_i32 s1, 27
	s_cbranch_scc0 .LBB54_402
; %bb.400:
	s_wait_loadcnt 0x0
	global_load_b32 v2, v[4:5], off
	s_mov_b32 s41, 0
	s_branch .LBB54_403
.LBB54_401:
	s_mov_b32 s41, -1
                                        ; implicit-def: $vgpr2
	s_branch .LBB54_406
.LBB54_402:
	s_mov_b32 s41, -1
                                        ; implicit-def: $vgpr2
.LBB54_403:
	s_delay_alu instid0(SALU_CYCLE_1)
	s_and_not1_b32 vcc_lo, exec_lo, s41
	s_cbranch_vccnz .LBB54_405
; %bb.404:
	s_wait_loadcnt 0x0
	global_load_u16 v2, v[4:5], off
.LBB54_405:
	s_mov_b32 s41, 0
.LBB54_406:
	s_delay_alu instid0(SALU_CYCLE_1)
	s_and_not1_b32 vcc_lo, exec_lo, s41
	s_cbranch_vccnz .LBB54_412
; %bb.407:
	global_load_u8 v1, v[4:5], off
	s_mov_b32 s42, 0
	s_mov_b32 s41, exec_lo
	s_wait_loadcnt 0x0
	v_cmpx_lt_i16_e32 0x7f, v1
	s_xor_b32 s41, exec_lo, s41
	s_cbranch_execz .LBB54_424
; %bb.408:
	v_cmp_ne_u16_e32 vcc_lo, 0x80, v1
	s_and_b32 s42, vcc_lo, exec_lo
	s_and_not1_saveexec_b32 s41, s41
	s_cbranch_execnz .LBB54_425
.LBB54_409:
	s_or_b32 exec_lo, exec_lo, s41
	v_mov_b32_e32 v2, 0
	s_and_saveexec_b32 s41, s42
	s_cbranch_execz .LBB54_411
.LBB54_410:
	v_and_b32_e32 v2, 0xffff, v1
	s_delay_alu instid0(VALU_DEP_1) | instskip(SKIP_1) | instid1(VALU_DEP_2)
	v_dual_lshlrev_b32 v1, 24, v1 :: v_dual_bitop2_b32 v3, 7, v2 bitop3:0x40
	v_bfe_u32 v10, v2, 3, 4
	v_and_b32_e32 v1, 0x80000000, v1
	s_delay_alu instid0(VALU_DEP_3) | instskip(NEXT) | instid1(VALU_DEP_3)
	v_clz_i32_u32_e32 v6, v3
	v_cmp_eq_u32_e32 vcc_lo, 0, v10
	s_delay_alu instid0(VALU_DEP_2) | instskip(NEXT) | instid1(VALU_DEP_1)
	v_min_u32_e32 v6, 32, v6
	v_subrev_nc_u32_e32 v9, 28, v6
	v_sub_nc_u32_e32 v6, 29, v6
	s_delay_alu instid0(VALU_DEP_2) | instskip(NEXT) | instid1(VALU_DEP_2)
	v_lshlrev_b32_e32 v2, v9, v2
	v_cndmask_b32_e32 v6, v10, v6, vcc_lo
	s_delay_alu instid0(VALU_DEP_2) | instskip(NEXT) | instid1(VALU_DEP_1)
	v_and_b32_e32 v2, 7, v2
	v_cndmask_b32_e32 v2, v3, v2, vcc_lo
	s_delay_alu instid0(VALU_DEP_3) | instskip(NEXT) | instid1(VALU_DEP_2)
	v_lshl_add_u32 v3, v6, 23, 0x3b800000
	v_lshlrev_b32_e32 v2, 20, v2
	s_delay_alu instid0(VALU_DEP_1) | instskip(NEXT) | instid1(VALU_DEP_1)
	v_or3_b32 v1, v1, v3, v2
	v_cvt_i32_f32_e32 v2, v1
.LBB54_411:
	s_or_b32 exec_lo, exec_lo, s41
.LBB54_412:
	s_mov_b32 s41, -1
.LBB54_413:
	s_mov_b32 s42, 0
.LBB54_414:
	s_delay_alu instid0(SALU_CYCLE_1)
	s_and_b32 vcc_lo, exec_lo, s42
	s_cbranch_vccz .LBB54_447
; %bb.415:
	s_cmp_gt_i32 s1, 22
	s_cbranch_scc0 .LBB54_423
; %bb.416:
	s_cmp_lt_i32 s1, 24
	s_cbranch_scc1 .LBB54_426
; %bb.417:
	s_cmp_gt_i32 s1, 24
	s_cbranch_scc0 .LBB54_427
; %bb.418:
	global_load_u8 v1, v[4:5], off
	s_mov_b32 s42, 0
	s_mov_b32 s41, exec_lo
	s_wait_loadcnt 0x0
	v_cmpx_lt_i16_e32 0x7f, v1
	s_xor_b32 s41, exec_lo, s41
	s_cbranch_execz .LBB54_439
; %bb.419:
	v_cmp_ne_u16_e32 vcc_lo, 0x80, v1
	s_and_b32 s42, vcc_lo, exec_lo
	s_and_not1_saveexec_b32 s41, s41
	s_cbranch_execnz .LBB54_440
.LBB54_420:
	s_or_b32 exec_lo, exec_lo, s41
	v_mov_b32_e32 v2, 0
	s_and_saveexec_b32 s41, s42
	s_cbranch_execz .LBB54_422
.LBB54_421:
	v_and_b32_e32 v2, 0xffff, v1
	s_delay_alu instid0(VALU_DEP_1) | instskip(SKIP_1) | instid1(VALU_DEP_2)
	v_dual_lshlrev_b32 v1, 24, v1 :: v_dual_bitop2_b32 v3, 3, v2 bitop3:0x40
	v_bfe_u32 v10, v2, 2, 5
	v_and_b32_e32 v1, 0x80000000, v1
	s_delay_alu instid0(VALU_DEP_3) | instskip(NEXT) | instid1(VALU_DEP_3)
	v_clz_i32_u32_e32 v6, v3
	v_cmp_eq_u32_e32 vcc_lo, 0, v10
	s_delay_alu instid0(VALU_DEP_2) | instskip(NEXT) | instid1(VALU_DEP_1)
	v_min_u32_e32 v6, 32, v6
	v_subrev_nc_u32_e32 v9, 29, v6
	v_sub_nc_u32_e32 v6, 30, v6
	s_delay_alu instid0(VALU_DEP_2) | instskip(NEXT) | instid1(VALU_DEP_2)
	v_lshlrev_b32_e32 v2, v9, v2
	v_cndmask_b32_e32 v6, v10, v6, vcc_lo
	s_delay_alu instid0(VALU_DEP_2) | instskip(NEXT) | instid1(VALU_DEP_1)
	v_and_b32_e32 v2, 3, v2
	v_cndmask_b32_e32 v2, v3, v2, vcc_lo
	s_delay_alu instid0(VALU_DEP_3) | instskip(NEXT) | instid1(VALU_DEP_2)
	v_lshl_add_u32 v3, v6, 23, 0x37800000
	v_lshlrev_b32_e32 v2, 21, v2
	s_delay_alu instid0(VALU_DEP_1) | instskip(NEXT) | instid1(VALU_DEP_1)
	v_or3_b32 v1, v1, v3, v2
	v_cvt_i32_f32_e32 v2, v1
.LBB54_422:
	s_or_b32 exec_lo, exec_lo, s41
	s_mov_b32 s41, 0
	s_branch .LBB54_428
.LBB54_423:
	s_mov_b32 s42, -1
                                        ; implicit-def: $vgpr2
	s_branch .LBB54_434
.LBB54_424:
	s_and_not1_saveexec_b32 s41, s41
	s_cbranch_execz .LBB54_409
.LBB54_425:
	v_cmp_ne_u16_e32 vcc_lo, 0, v1
	s_and_not1_b32 s42, s42, exec_lo
	s_and_b32 s43, vcc_lo, exec_lo
	s_delay_alu instid0(SALU_CYCLE_1)
	s_or_b32 s42, s42, s43
	s_or_b32 exec_lo, exec_lo, s41
	v_mov_b32_e32 v2, 0
	s_and_saveexec_b32 s41, s42
	s_cbranch_execnz .LBB54_410
	s_branch .LBB54_411
.LBB54_426:
	s_mov_b32 s41, -1
                                        ; implicit-def: $vgpr2
	s_branch .LBB54_431
.LBB54_427:
	s_mov_b32 s41, -1
                                        ; implicit-def: $vgpr2
.LBB54_428:
	s_delay_alu instid0(SALU_CYCLE_1)
	s_and_b32 vcc_lo, exec_lo, s41
	s_cbranch_vccz .LBB54_430
; %bb.429:
	global_load_u8 v1, v[4:5], off
	s_wait_loadcnt 0x0
	v_lshlrev_b32_e32 v1, 24, v1
	s_delay_alu instid0(VALU_DEP_1) | instskip(NEXT) | instid1(VALU_DEP_1)
	v_and_b32_e32 v2, 0x7f000000, v1
	v_clz_i32_u32_e32 v3, v2
	v_cmp_ne_u32_e32 vcc_lo, 0, v2
	v_add_nc_u32_e32 v9, 0x1000000, v2
	s_delay_alu instid0(VALU_DEP_3) | instskip(NEXT) | instid1(VALU_DEP_1)
	v_min_u32_e32 v3, 32, v3
	v_sub_nc_u32_e64 v3, v3, 4 clamp
	s_delay_alu instid0(VALU_DEP_1) | instskip(NEXT) | instid1(VALU_DEP_1)
	v_dual_lshlrev_b32 v6, v3, v2 :: v_dual_lshlrev_b32 v3, 23, v3
	v_lshrrev_b32_e32 v6, 4, v6
	s_delay_alu instid0(VALU_DEP_1) | instskip(NEXT) | instid1(VALU_DEP_1)
	v_dual_sub_nc_u32 v3, v6, v3 :: v_dual_ashrrev_i32 v6, 8, v9
	v_add_nc_u32_e32 v3, 0x3c000000, v3
	s_delay_alu instid0(VALU_DEP_1) | instskip(NEXT) | instid1(VALU_DEP_1)
	v_and_or_b32 v3, 0x7f800000, v6, v3
	v_cndmask_b32_e32 v2, 0, v3, vcc_lo
	s_delay_alu instid0(VALU_DEP_1) | instskip(NEXT) | instid1(VALU_DEP_1)
	v_and_or_b32 v1, 0x80000000, v1, v2
	v_cvt_i32_f32_e32 v2, v1
.LBB54_430:
	s_mov_b32 s41, 0
.LBB54_431:
	s_delay_alu instid0(SALU_CYCLE_1)
	s_and_not1_b32 vcc_lo, exec_lo, s41
	s_cbranch_vccnz .LBB54_433
; %bb.432:
	global_load_u8 v1, v[4:5], off
	s_wait_loadcnt 0x0
	v_lshlrev_b32_e32 v2, 25, v1
	v_lshlrev_b16 v1, 8, v1
	s_delay_alu instid0(VALU_DEP_1) | instskip(SKIP_1) | instid1(VALU_DEP_2)
	v_and_or_b32 v6, 0x7f00, v1, 0.5
	v_bfe_i32 v1, v1, 0, 16
	v_add_f32_e32 v6, -0.5, v6
	v_lshrrev_b32_e32 v3, 4, v2
	v_cmp_gt_u32_e32 vcc_lo, 0x8000000, v2
	s_delay_alu instid0(VALU_DEP_2) | instskip(NEXT) | instid1(VALU_DEP_1)
	v_or_b32_e32 v3, 0x70000000, v3
	v_mul_f32_e32 v3, 0x7800000, v3
	s_delay_alu instid0(VALU_DEP_1) | instskip(NEXT) | instid1(VALU_DEP_1)
	v_cndmask_b32_e32 v2, v3, v6, vcc_lo
	v_and_or_b32 v1, 0x80000000, v1, v2
	s_delay_alu instid0(VALU_DEP_1)
	v_cvt_i32_f32_e32 v2, v1
.LBB54_433:
	s_mov_b32 s42, 0
	s_mov_b32 s41, -1
.LBB54_434:
	s_and_not1_b32 vcc_lo, exec_lo, s42
	s_cbranch_vccnz .LBB54_447
; %bb.435:
	s_cmp_gt_i32 s1, 14
	s_cbranch_scc0 .LBB54_438
; %bb.436:
	s_cmp_eq_u32 s1, 15
	s_cbranch_scc0 .LBB54_441
; %bb.437:
	global_load_u16 v1, v[4:5], off
	s_mov_b32 s41, -1
	s_mov_b32 s66, 0
	s_wait_loadcnt 0x0
	v_lshlrev_b32_e32 v1, 16, v1
	s_delay_alu instid0(VALU_DEP_1)
	v_cvt_i32_f32_e32 v2, v1
	s_branch .LBB54_442
.LBB54_438:
	s_mov_b32 s42, -1
                                        ; implicit-def: $vgpr2
	s_branch .LBB54_443
.LBB54_439:
	s_and_not1_saveexec_b32 s41, s41
	s_cbranch_execz .LBB54_420
.LBB54_440:
	v_cmp_ne_u16_e32 vcc_lo, 0, v1
	s_and_not1_b32 s42, s42, exec_lo
	s_and_b32 s43, vcc_lo, exec_lo
	s_delay_alu instid0(SALU_CYCLE_1)
	s_or_b32 s42, s42, s43
	s_or_b32 exec_lo, exec_lo, s41
	v_mov_b32_e32 v2, 0
	s_and_saveexec_b32 s41, s42
	s_cbranch_execnz .LBB54_421
	s_branch .LBB54_422
.LBB54_441:
	s_mov_b32 s66, -1
                                        ; implicit-def: $vgpr2
.LBB54_442:
	s_mov_b32 s42, 0
.LBB54_443:
	s_delay_alu instid0(SALU_CYCLE_1)
	s_and_b32 vcc_lo, exec_lo, s42
	s_cbranch_vccz .LBB54_447
; %bb.444:
	s_cmp_eq_u32 s1, 11
	s_cbranch_scc0 .LBB54_446
; %bb.445:
	global_load_u8 v1, v[4:5], off
	s_mov_b32 s66, 0
	s_mov_b32 s41, -1
	s_wait_loadcnt 0x0
	v_cmp_ne_u16_e32 vcc_lo, 0, v1
	v_cndmask_b32_e64 v2, 0, 1, vcc_lo
	s_branch .LBB54_447
.LBB54_446:
	s_mov_b32 s66, -1
                                        ; implicit-def: $vgpr2
.LBB54_447:
	s_mov_b32 s1, 0
.LBB54_448:
	s_delay_alu instid0(SALU_CYCLE_1)
	s_and_b32 vcc_lo, exec_lo, s1
	s_cbranch_vccz .LBB54_497
; %bb.449:
	s_and_b32 s0, 0xffff, s0
	s_delay_alu instid0(SALU_CYCLE_1)
	s_cmp_lt_i32 s0, 5
	s_cbranch_scc1 .LBB54_454
; %bb.450:
	s_cmp_lt_i32 s0, 8
	s_cbranch_scc1 .LBB54_455
; %bb.451:
	;; [unrolled: 3-line block ×3, first 2 shown]
	s_cmp_gt_i32 s0, 9
	s_cbranch_scc0 .LBB54_457
; %bb.453:
	s_wait_loadcnt 0x0
	global_load_b64 v[2:3], v[4:5], off
	s_mov_b32 s1, 0
	s_wait_loadcnt 0x0
	v_cvt_i32_f64_e32 v2, v[2:3]
	s_branch .LBB54_458
.LBB54_454:
	s_mov_b32 s1, -1
                                        ; implicit-def: $vgpr2
	s_branch .LBB54_476
.LBB54_455:
	s_mov_b32 s1, -1
                                        ; implicit-def: $vgpr2
	s_branch .LBB54_464
.LBB54_456:
	s_mov_b32 s1, -1
                                        ; implicit-def: $vgpr2
	s_branch .LBB54_461
.LBB54_457:
	s_mov_b32 s1, -1
                                        ; implicit-def: $vgpr2
.LBB54_458:
	s_delay_alu instid0(SALU_CYCLE_1)
	s_and_not1_b32 vcc_lo, exec_lo, s1
	s_cbranch_vccnz .LBB54_460
; %bb.459:
	global_load_b32 v1, v[4:5], off
	s_wait_loadcnt 0x0
	v_cvt_i32_f32_e32 v2, v1
.LBB54_460:
	s_mov_b32 s1, 0
.LBB54_461:
	s_delay_alu instid0(SALU_CYCLE_1)
	s_and_not1_b32 vcc_lo, exec_lo, s1
	s_cbranch_vccnz .LBB54_463
; %bb.462:
	global_load_b32 v1, v[4:5], off
	s_wait_loadcnt 0x0
	v_cvt_f32_f16_e32 v1, v1
	s_delay_alu instid0(VALU_DEP_1)
	v_cvt_i32_f32_e32 v2, v1
.LBB54_463:
	s_mov_b32 s1, 0
.LBB54_464:
	s_delay_alu instid0(SALU_CYCLE_1)
	s_and_not1_b32 vcc_lo, exec_lo, s1
	s_cbranch_vccnz .LBB54_475
; %bb.465:
	s_cmp_lt_i32 s0, 6
	s_cbranch_scc1 .LBB54_468
; %bb.466:
	s_cmp_gt_i32 s0, 6
	s_cbranch_scc0 .LBB54_469
; %bb.467:
	s_wait_loadcnt 0x0
	global_load_b64 v[2:3], v[4:5], off
	s_mov_b32 s1, 0
	s_wait_loadcnt 0x0
	v_cvt_i32_f64_e32 v2, v[2:3]
	s_branch .LBB54_470
.LBB54_468:
	s_mov_b32 s1, -1
                                        ; implicit-def: $vgpr2
	s_branch .LBB54_473
.LBB54_469:
	s_mov_b32 s1, -1
                                        ; implicit-def: $vgpr2
.LBB54_470:
	s_delay_alu instid0(SALU_CYCLE_1)
	s_and_not1_b32 vcc_lo, exec_lo, s1
	s_cbranch_vccnz .LBB54_472
; %bb.471:
	global_load_b32 v1, v[4:5], off
	s_wait_loadcnt 0x0
	v_cvt_i32_f32_e32 v2, v1
.LBB54_472:
	s_mov_b32 s1, 0
.LBB54_473:
	s_delay_alu instid0(SALU_CYCLE_1)
	s_and_not1_b32 vcc_lo, exec_lo, s1
	s_cbranch_vccnz .LBB54_475
; %bb.474:
	global_load_u16 v1, v[4:5], off
	s_wait_loadcnt 0x0
	v_cvt_f32_f16_e32 v1, v1
	s_delay_alu instid0(VALU_DEP_1)
	v_cvt_i32_f32_e32 v2, v1
.LBB54_475:
	s_mov_b32 s1, 0
.LBB54_476:
	s_delay_alu instid0(SALU_CYCLE_1)
	s_and_not1_b32 vcc_lo, exec_lo, s1
	s_cbranch_vccnz .LBB54_496
; %bb.477:
	s_cmp_lt_i32 s0, 2
	s_cbranch_scc1 .LBB54_481
; %bb.478:
	s_cmp_lt_i32 s0, 3
	s_cbranch_scc1 .LBB54_482
; %bb.479:
	s_cmp_gt_i32 s0, 3
	s_cbranch_scc0 .LBB54_483
; %bb.480:
	s_wait_loadcnt 0x0
	global_load_b32 v2, v[4:5], off
	s_mov_b32 s1, 0
	s_branch .LBB54_484
.LBB54_481:
	s_mov_b32 s1, -1
                                        ; implicit-def: $vgpr2
	s_branch .LBB54_490
.LBB54_482:
	s_mov_b32 s1, -1
                                        ; implicit-def: $vgpr2
	s_branch .LBB54_487
.LBB54_483:
	s_mov_b32 s1, -1
                                        ; implicit-def: $vgpr2
.LBB54_484:
	s_delay_alu instid0(SALU_CYCLE_1)
	s_and_not1_b32 vcc_lo, exec_lo, s1
	s_cbranch_vccnz .LBB54_486
; %bb.485:
	s_wait_loadcnt 0x0
	global_load_b32 v2, v[4:5], off
.LBB54_486:
	s_mov_b32 s1, 0
.LBB54_487:
	s_delay_alu instid0(SALU_CYCLE_1)
	s_and_not1_b32 vcc_lo, exec_lo, s1
	s_cbranch_vccnz .LBB54_489
; %bb.488:
	s_wait_loadcnt 0x0
	global_load_i16 v2, v[4:5], off
.LBB54_489:
	s_mov_b32 s1, 0
.LBB54_490:
	s_delay_alu instid0(SALU_CYCLE_1)
	s_and_not1_b32 vcc_lo, exec_lo, s1
	s_cbranch_vccnz .LBB54_496
; %bb.491:
	s_cmp_gt_i32 s0, 0
	s_mov_b32 s0, 0
	s_cbranch_scc0 .LBB54_493
; %bb.492:
	s_wait_loadcnt 0x0
	global_load_i8 v2, v[4:5], off
	s_branch .LBB54_494
.LBB54_493:
	s_mov_b32 s0, -1
                                        ; implicit-def: $vgpr2
.LBB54_494:
	s_delay_alu instid0(SALU_CYCLE_1)
	s_and_not1_b32 vcc_lo, exec_lo, s0
	s_cbranch_vccnz .LBB54_496
; %bb.495:
	s_wait_loadcnt 0x0
	global_load_u8 v2, v[4:5], off
.LBB54_496:
	s_mov_b32 s41, -1
.LBB54_497:
	s_delay_alu instid0(SALU_CYCLE_1)
	s_and_not1_b32 vcc_lo, exec_lo, s41
	s_cbranch_vccnz .LBB54_628
; %bb.498:
	s_wait_xcnt 0x0
	v_mul_lo_u32 v4, v22, s37
	s_and_b32 s0, s21, 0xff
	s_delay_alu instid0(SALU_CYCLE_1) | instskip(NEXT) | instid1(VALU_DEP_1)
	s_cmp_lt_i32 s0, 11
	v_ashrrev_i32_e32 v5, 31, v4
	s_delay_alu instid0(VALU_DEP_1)
	v_add_nc_u64_e32 v[4:5], s[14:15], v[4:5]
	s_cbranch_scc1 .LBB54_505
; %bb.499:
	s_and_b32 s1, 0xffff, s0
	s_delay_alu instid0(SALU_CYCLE_1)
	s_cmp_gt_i32 s1, 25
	s_cbranch_scc0 .LBB54_506
; %bb.500:
	s_cmp_gt_i32 s1, 28
	s_cbranch_scc0 .LBB54_507
; %bb.501:
	s_cmp_gt_i32 s1, 43
	s_cbranch_scc0 .LBB54_508
; %bb.502:
	s_cmp_gt_i32 s1, 45
	s_cbranch_scc0 .LBB54_509
; %bb.503:
	s_cmp_eq_u32 s1, 46
	s_mov_b32 s42, 0
	s_cbranch_scc0 .LBB54_510
; %bb.504:
	global_load_b32 v1, v[4:5], off
	s_mov_b32 s41, -1
	s_wait_loadcnt 0x0
	v_lshlrev_b32_e32 v1, 16, v1
	s_delay_alu instid0(VALU_DEP_1)
	v_cvt_i32_f32_e32 v6, v1
	s_branch .LBB54_512
.LBB54_505:
	s_mov_b32 s1, -1
	s_mov_b32 s41, 0
                                        ; implicit-def: $vgpr6
	s_branch .LBB54_573
.LBB54_506:
	s_mov_b32 s42, -1
	s_mov_b32 s41, 0
                                        ; implicit-def: $vgpr6
	s_branch .LBB54_539
.LBB54_507:
	s_mov_b32 s42, -1
	s_mov_b32 s41, 0
                                        ; implicit-def: $vgpr6
	s_branch .LBB54_522
.LBB54_508:
	s_mov_b32 s42, -1
	s_mov_b32 s41, 0
                                        ; implicit-def: $vgpr6
	s_branch .LBB54_517
.LBB54_509:
	s_mov_b32 s42, -1
	s_branch .LBB54_511
.LBB54_510:
	s_mov_b32 s65, -1
.LBB54_511:
	s_mov_b32 s41, 0
                                        ; implicit-def: $vgpr6
.LBB54_512:
	s_and_b32 vcc_lo, exec_lo, s42
	s_cbranch_vccz .LBB54_516
; %bb.513:
	s_cmp_eq_u32 s1, 44
	s_cbranch_scc0 .LBB54_515
; %bb.514:
	global_load_u8 v1, v[4:5], off
	s_mov_b32 s65, 0
	s_mov_b32 s41, -1
	s_wait_loadcnt 0x0
	v_lshlrev_b32_e32 v3, 23, v1
	v_cmp_ne_u32_e32 vcc_lo, 0, v1
	s_delay_alu instid0(VALU_DEP_2) | instskip(NEXT) | instid1(VALU_DEP_1)
	v_cvt_i32_f32_e32 v3, v3
	v_cndmask_b32_e32 v6, 0, v3, vcc_lo
	s_branch .LBB54_516
.LBB54_515:
	s_mov_b32 s65, -1
                                        ; implicit-def: $vgpr6
.LBB54_516:
	s_mov_b32 s42, 0
.LBB54_517:
	s_delay_alu instid0(SALU_CYCLE_1)
	s_and_b32 vcc_lo, exec_lo, s42
	s_cbranch_vccz .LBB54_521
; %bb.518:
	s_cmp_eq_u32 s1, 29
	s_cbranch_scc0 .LBB54_520
; %bb.519:
	global_load_b32 v6, v[4:5], off
	s_mov_b32 s41, -1
	s_mov_b32 s65, 0
	s_branch .LBB54_521
.LBB54_520:
	s_mov_b32 s65, -1
                                        ; implicit-def: $vgpr6
.LBB54_521:
	s_mov_b32 s42, 0
.LBB54_522:
	s_delay_alu instid0(SALU_CYCLE_1)
	s_and_b32 vcc_lo, exec_lo, s42
	s_cbranch_vccz .LBB54_538
; %bb.523:
	s_cmp_lt_i32 s1, 27
	s_cbranch_scc1 .LBB54_526
; %bb.524:
	s_cmp_gt_i32 s1, 27
	s_cbranch_scc0 .LBB54_527
; %bb.525:
	s_wait_loadcnt 0x0
	global_load_b32 v6, v[4:5], off
	s_mov_b32 s41, 0
	s_branch .LBB54_528
.LBB54_526:
	s_mov_b32 s41, -1
                                        ; implicit-def: $vgpr6
	s_branch .LBB54_531
.LBB54_527:
	s_mov_b32 s41, -1
                                        ; implicit-def: $vgpr6
.LBB54_528:
	s_delay_alu instid0(SALU_CYCLE_1)
	s_and_not1_b32 vcc_lo, exec_lo, s41
	s_cbranch_vccnz .LBB54_530
; %bb.529:
	s_wait_loadcnt 0x0
	global_load_u16 v6, v[4:5], off
.LBB54_530:
	s_mov_b32 s41, 0
.LBB54_531:
	s_delay_alu instid0(SALU_CYCLE_1)
	s_and_not1_b32 vcc_lo, exec_lo, s41
	s_cbranch_vccnz .LBB54_537
; %bb.532:
	global_load_u8 v1, v[4:5], off
	s_mov_b32 s42, 0
	s_mov_b32 s41, exec_lo
	s_wait_loadcnt 0x0
	v_cmpx_lt_i16_e32 0x7f, v1
	s_xor_b32 s41, exec_lo, s41
	s_cbranch_execz .LBB54_549
; %bb.533:
	v_cmp_ne_u16_e32 vcc_lo, 0x80, v1
	s_and_b32 s42, vcc_lo, exec_lo
	s_and_not1_saveexec_b32 s41, s41
	s_cbranch_execnz .LBB54_550
.LBB54_534:
	s_or_b32 exec_lo, exec_lo, s41
	v_mov_b32_e32 v6, 0
	s_and_saveexec_b32 s41, s42
	s_cbranch_execz .LBB54_536
.LBB54_535:
	v_and_b32_e32 v3, 0xffff, v1
	s_delay_alu instid0(VALU_DEP_1) | instskip(SKIP_1) | instid1(VALU_DEP_2)
	v_and_b32_e32 v6, 7, v3
	v_bfe_u32 v11, v3, 3, 4
	v_clz_i32_u32_e32 v9, v6
	s_delay_alu instid0(VALU_DEP_2) | instskip(NEXT) | instid1(VALU_DEP_2)
	v_cmp_eq_u32_e32 vcc_lo, 0, v11
	v_min_u32_e32 v9, 32, v9
	s_delay_alu instid0(VALU_DEP_1) | instskip(NEXT) | instid1(VALU_DEP_1)
	v_subrev_nc_u32_e32 v10, 28, v9
	v_dual_lshlrev_b32 v3, v10, v3 :: v_dual_sub_nc_u32 v9, 29, v9
	s_delay_alu instid0(VALU_DEP_1) | instskip(NEXT) | instid1(VALU_DEP_1)
	v_dual_lshlrev_b32 v1, 24, v1 :: v_dual_bitop2_b32 v3, 7, v3 bitop3:0x40
	v_dual_cndmask_b32 v3, v6, v3, vcc_lo :: v_dual_cndmask_b32 v9, v11, v9, vcc_lo
	s_delay_alu instid0(VALU_DEP_2) | instskip(NEXT) | instid1(VALU_DEP_2)
	v_and_b32_e32 v1, 0x80000000, v1
	v_lshlrev_b32_e32 v3, 20, v3
	s_delay_alu instid0(VALU_DEP_3) | instskip(NEXT) | instid1(VALU_DEP_1)
	v_lshl_add_u32 v6, v9, 23, 0x3b800000
	v_or3_b32 v1, v1, v6, v3
	s_delay_alu instid0(VALU_DEP_1)
	v_cvt_i32_f32_e32 v6, v1
.LBB54_536:
	s_or_b32 exec_lo, exec_lo, s41
.LBB54_537:
	s_mov_b32 s41, -1
.LBB54_538:
	s_mov_b32 s42, 0
.LBB54_539:
	s_delay_alu instid0(SALU_CYCLE_1)
	s_and_b32 vcc_lo, exec_lo, s42
	s_cbranch_vccz .LBB54_572
; %bb.540:
	s_cmp_gt_i32 s1, 22
	s_cbranch_scc0 .LBB54_548
; %bb.541:
	s_cmp_lt_i32 s1, 24
	s_cbranch_scc1 .LBB54_551
; %bb.542:
	s_cmp_gt_i32 s1, 24
	s_cbranch_scc0 .LBB54_552
; %bb.543:
	global_load_u8 v1, v[4:5], off
	s_mov_b32 s42, 0
	s_mov_b32 s41, exec_lo
	s_wait_loadcnt 0x0
	v_cmpx_lt_i16_e32 0x7f, v1
	s_xor_b32 s41, exec_lo, s41
	s_cbranch_execz .LBB54_564
; %bb.544:
	v_cmp_ne_u16_e32 vcc_lo, 0x80, v1
	s_and_b32 s42, vcc_lo, exec_lo
	s_and_not1_saveexec_b32 s41, s41
	s_cbranch_execnz .LBB54_565
.LBB54_545:
	s_or_b32 exec_lo, exec_lo, s41
	v_mov_b32_e32 v6, 0
	s_and_saveexec_b32 s41, s42
	s_cbranch_execz .LBB54_547
.LBB54_546:
	v_and_b32_e32 v3, 0xffff, v1
	s_delay_alu instid0(VALU_DEP_1) | instskip(SKIP_1) | instid1(VALU_DEP_2)
	v_and_b32_e32 v6, 3, v3
	v_bfe_u32 v11, v3, 2, 5
	v_clz_i32_u32_e32 v9, v6
	s_delay_alu instid0(VALU_DEP_2) | instskip(NEXT) | instid1(VALU_DEP_2)
	v_cmp_eq_u32_e32 vcc_lo, 0, v11
	v_min_u32_e32 v9, 32, v9
	s_delay_alu instid0(VALU_DEP_1) | instskip(NEXT) | instid1(VALU_DEP_1)
	v_subrev_nc_u32_e32 v10, 29, v9
	v_dual_lshlrev_b32 v3, v10, v3 :: v_dual_sub_nc_u32 v9, 30, v9
	s_delay_alu instid0(VALU_DEP_1) | instskip(NEXT) | instid1(VALU_DEP_1)
	v_dual_lshlrev_b32 v1, 24, v1 :: v_dual_bitop2_b32 v3, 3, v3 bitop3:0x40
	v_dual_cndmask_b32 v3, v6, v3, vcc_lo :: v_dual_cndmask_b32 v9, v11, v9, vcc_lo
	s_delay_alu instid0(VALU_DEP_2) | instskip(NEXT) | instid1(VALU_DEP_2)
	v_and_b32_e32 v1, 0x80000000, v1
	v_lshlrev_b32_e32 v3, 21, v3
	s_delay_alu instid0(VALU_DEP_3) | instskip(NEXT) | instid1(VALU_DEP_1)
	v_lshl_add_u32 v6, v9, 23, 0x37800000
	v_or3_b32 v1, v1, v6, v3
	s_delay_alu instid0(VALU_DEP_1)
	v_cvt_i32_f32_e32 v6, v1
.LBB54_547:
	s_or_b32 exec_lo, exec_lo, s41
	s_mov_b32 s41, 0
	s_branch .LBB54_553
.LBB54_548:
	s_mov_b32 s42, -1
                                        ; implicit-def: $vgpr6
	s_branch .LBB54_559
.LBB54_549:
	s_and_not1_saveexec_b32 s41, s41
	s_cbranch_execz .LBB54_534
.LBB54_550:
	v_cmp_ne_u16_e32 vcc_lo, 0, v1
	s_and_not1_b32 s42, s42, exec_lo
	s_and_b32 s43, vcc_lo, exec_lo
	s_delay_alu instid0(SALU_CYCLE_1)
	s_or_b32 s42, s42, s43
	s_or_b32 exec_lo, exec_lo, s41
	v_mov_b32_e32 v6, 0
	s_and_saveexec_b32 s41, s42
	s_cbranch_execnz .LBB54_535
	s_branch .LBB54_536
.LBB54_551:
	s_mov_b32 s41, -1
                                        ; implicit-def: $vgpr6
	s_branch .LBB54_556
.LBB54_552:
	s_mov_b32 s41, -1
                                        ; implicit-def: $vgpr6
.LBB54_553:
	s_delay_alu instid0(SALU_CYCLE_1)
	s_and_b32 vcc_lo, exec_lo, s41
	s_cbranch_vccz .LBB54_555
; %bb.554:
	global_load_u8 v1, v[4:5], off
	s_wait_loadcnt 0x0
	v_lshlrev_b32_e32 v1, 24, v1
	s_delay_alu instid0(VALU_DEP_1) | instskip(NEXT) | instid1(VALU_DEP_1)
	v_and_b32_e32 v3, 0x7f000000, v1
	v_clz_i32_u32_e32 v6, v3
	v_cmp_ne_u32_e32 vcc_lo, 0, v3
	v_add_nc_u32_e32 v10, 0x1000000, v3
	s_delay_alu instid0(VALU_DEP_3) | instskip(NEXT) | instid1(VALU_DEP_1)
	v_min_u32_e32 v6, 32, v6
	v_sub_nc_u32_e64 v6, v6, 4 clamp
	s_delay_alu instid0(VALU_DEP_1) | instskip(NEXT) | instid1(VALU_DEP_1)
	v_dual_lshlrev_b32 v9, v6, v3 :: v_dual_lshlrev_b32 v6, 23, v6
	v_lshrrev_b32_e32 v9, 4, v9
	s_delay_alu instid0(VALU_DEP_1) | instskip(SKIP_1) | instid1(VALU_DEP_2)
	v_sub_nc_u32_e32 v6, v9, v6
	v_ashrrev_i32_e32 v9, 8, v10
	v_add_nc_u32_e32 v6, 0x3c000000, v6
	s_delay_alu instid0(VALU_DEP_1) | instskip(NEXT) | instid1(VALU_DEP_1)
	v_and_or_b32 v6, 0x7f800000, v9, v6
	v_cndmask_b32_e32 v3, 0, v6, vcc_lo
	s_delay_alu instid0(VALU_DEP_1) | instskip(NEXT) | instid1(VALU_DEP_1)
	v_and_or_b32 v1, 0x80000000, v1, v3
	v_cvt_i32_f32_e32 v6, v1
.LBB54_555:
	s_mov_b32 s41, 0
.LBB54_556:
	s_delay_alu instid0(SALU_CYCLE_1)
	s_and_not1_b32 vcc_lo, exec_lo, s41
	s_cbranch_vccnz .LBB54_558
; %bb.557:
	global_load_u8 v1, v[4:5], off
	s_wait_loadcnt 0x0
	v_lshlrev_b32_e32 v3, 25, v1
	v_lshlrev_b16 v1, 8, v1
	s_delay_alu instid0(VALU_DEP_1) | instskip(NEXT) | instid1(VALU_DEP_3)
	v_and_or_b32 v9, 0x7f00, v1, 0.5
	v_lshrrev_b32_e32 v6, 4, v3
	v_bfe_i32 v1, v1, 0, 16
	s_delay_alu instid0(VALU_DEP_3) | instskip(NEXT) | instid1(VALU_DEP_3)
	v_add_f32_e32 v9, -0.5, v9
	v_or_b32_e32 v6, 0x70000000, v6
	s_delay_alu instid0(VALU_DEP_1) | instskip(SKIP_1) | instid1(VALU_DEP_2)
	v_mul_f32_e32 v6, 0x7800000, v6
	v_cmp_gt_u32_e32 vcc_lo, 0x8000000, v3
	v_cndmask_b32_e32 v3, v6, v9, vcc_lo
	s_delay_alu instid0(VALU_DEP_1) | instskip(NEXT) | instid1(VALU_DEP_1)
	v_and_or_b32 v1, 0x80000000, v1, v3
	v_cvt_i32_f32_e32 v6, v1
.LBB54_558:
	s_mov_b32 s42, 0
	s_mov_b32 s41, -1
.LBB54_559:
	s_and_not1_b32 vcc_lo, exec_lo, s42
	s_cbranch_vccnz .LBB54_572
; %bb.560:
	s_cmp_gt_i32 s1, 14
	s_cbranch_scc0 .LBB54_563
; %bb.561:
	s_cmp_eq_u32 s1, 15
	s_cbranch_scc0 .LBB54_566
; %bb.562:
	global_load_u16 v1, v[4:5], off
	s_mov_b32 s41, -1
	s_mov_b32 s65, 0
	s_wait_loadcnt 0x0
	v_lshlrev_b32_e32 v1, 16, v1
	s_delay_alu instid0(VALU_DEP_1)
	v_cvt_i32_f32_e32 v6, v1
	s_branch .LBB54_567
.LBB54_563:
	s_mov_b32 s42, -1
                                        ; implicit-def: $vgpr6
	s_branch .LBB54_568
.LBB54_564:
	s_and_not1_saveexec_b32 s41, s41
	s_cbranch_execz .LBB54_545
.LBB54_565:
	v_cmp_ne_u16_e32 vcc_lo, 0, v1
	s_and_not1_b32 s42, s42, exec_lo
	s_and_b32 s43, vcc_lo, exec_lo
	s_delay_alu instid0(SALU_CYCLE_1)
	s_or_b32 s42, s42, s43
	s_or_b32 exec_lo, exec_lo, s41
	v_mov_b32_e32 v6, 0
	s_and_saveexec_b32 s41, s42
	s_cbranch_execnz .LBB54_546
	s_branch .LBB54_547
.LBB54_566:
	s_mov_b32 s65, -1
                                        ; implicit-def: $vgpr6
.LBB54_567:
	s_mov_b32 s42, 0
.LBB54_568:
	s_delay_alu instid0(SALU_CYCLE_1)
	s_and_b32 vcc_lo, exec_lo, s42
	s_cbranch_vccz .LBB54_572
; %bb.569:
	s_cmp_eq_u32 s1, 11
	s_cbranch_scc0 .LBB54_571
; %bb.570:
	global_load_u8 v1, v[4:5], off
	s_mov_b32 s65, 0
	s_mov_b32 s41, -1
	s_wait_loadcnt 0x0
	v_cmp_ne_u16_e32 vcc_lo, 0, v1
	v_cndmask_b32_e64 v6, 0, 1, vcc_lo
	s_branch .LBB54_572
.LBB54_571:
	s_mov_b32 s65, -1
                                        ; implicit-def: $vgpr6
.LBB54_572:
	s_mov_b32 s1, 0
.LBB54_573:
	s_delay_alu instid0(SALU_CYCLE_1)
	s_and_b32 vcc_lo, exec_lo, s1
	s_cbranch_vccz .LBB54_622
; %bb.574:
	s_and_b32 s0, 0xffff, s0
	s_delay_alu instid0(SALU_CYCLE_1)
	s_cmp_lt_i32 s0, 5
	s_cbranch_scc1 .LBB54_579
; %bb.575:
	s_cmp_lt_i32 s0, 8
	s_cbranch_scc1 .LBB54_580
; %bb.576:
	;; [unrolled: 3-line block ×3, first 2 shown]
	s_cmp_gt_i32 s0, 9
	s_cbranch_scc0 .LBB54_582
; %bb.578:
	global_load_b64 v[10:11], v[4:5], off
	s_mov_b32 s1, 0
	s_wait_loadcnt 0x0
	v_cvt_i32_f64_e32 v6, v[10:11]
	s_branch .LBB54_583
.LBB54_579:
	s_mov_b32 s1, -1
                                        ; implicit-def: $vgpr6
	s_branch .LBB54_601
.LBB54_580:
	s_mov_b32 s1, -1
                                        ; implicit-def: $vgpr6
	s_branch .LBB54_589
.LBB54_581:
	s_mov_b32 s1, -1
                                        ; implicit-def: $vgpr6
	s_branch .LBB54_586
.LBB54_582:
	s_mov_b32 s1, -1
                                        ; implicit-def: $vgpr6
.LBB54_583:
	s_delay_alu instid0(SALU_CYCLE_1)
	s_and_not1_b32 vcc_lo, exec_lo, s1
	s_cbranch_vccnz .LBB54_585
; %bb.584:
	global_load_b32 v1, v[4:5], off
	s_wait_loadcnt 0x0
	v_cvt_i32_f32_e32 v6, v1
.LBB54_585:
	s_mov_b32 s1, 0
.LBB54_586:
	s_delay_alu instid0(SALU_CYCLE_1)
	s_and_not1_b32 vcc_lo, exec_lo, s1
	s_cbranch_vccnz .LBB54_588
; %bb.587:
	global_load_b32 v1, v[4:5], off
	s_wait_loadcnt 0x0
	v_cvt_f32_f16_e32 v1, v1
	s_delay_alu instid0(VALU_DEP_1)
	v_cvt_i32_f32_e32 v6, v1
.LBB54_588:
	s_mov_b32 s1, 0
.LBB54_589:
	s_delay_alu instid0(SALU_CYCLE_1)
	s_and_not1_b32 vcc_lo, exec_lo, s1
	s_cbranch_vccnz .LBB54_600
; %bb.590:
	s_cmp_lt_i32 s0, 6
	s_cbranch_scc1 .LBB54_593
; %bb.591:
	s_cmp_gt_i32 s0, 6
	s_cbranch_scc0 .LBB54_594
; %bb.592:
	global_load_b64 v[10:11], v[4:5], off
	s_mov_b32 s1, 0
	s_wait_loadcnt 0x0
	v_cvt_i32_f64_e32 v6, v[10:11]
	s_branch .LBB54_595
.LBB54_593:
	s_mov_b32 s1, -1
                                        ; implicit-def: $vgpr6
	s_branch .LBB54_598
.LBB54_594:
	s_mov_b32 s1, -1
                                        ; implicit-def: $vgpr6
.LBB54_595:
	s_delay_alu instid0(SALU_CYCLE_1)
	s_and_not1_b32 vcc_lo, exec_lo, s1
	s_cbranch_vccnz .LBB54_597
; %bb.596:
	global_load_b32 v1, v[4:5], off
	s_wait_loadcnt 0x0
	v_cvt_i32_f32_e32 v6, v1
.LBB54_597:
	s_mov_b32 s1, 0
.LBB54_598:
	s_delay_alu instid0(SALU_CYCLE_1)
	s_and_not1_b32 vcc_lo, exec_lo, s1
	s_cbranch_vccnz .LBB54_600
; %bb.599:
	global_load_u16 v1, v[4:5], off
	s_wait_loadcnt 0x0
	v_cvt_f32_f16_e32 v1, v1
	s_delay_alu instid0(VALU_DEP_1)
	v_cvt_i32_f32_e32 v6, v1
.LBB54_600:
	s_mov_b32 s1, 0
.LBB54_601:
	s_delay_alu instid0(SALU_CYCLE_1)
	s_and_not1_b32 vcc_lo, exec_lo, s1
	s_cbranch_vccnz .LBB54_621
; %bb.602:
	s_cmp_lt_i32 s0, 2
	s_cbranch_scc1 .LBB54_606
; %bb.603:
	s_cmp_lt_i32 s0, 3
	s_cbranch_scc1 .LBB54_607
; %bb.604:
	s_cmp_gt_i32 s0, 3
	s_cbranch_scc0 .LBB54_608
; %bb.605:
	s_wait_loadcnt 0x0
	global_load_b32 v6, v[4:5], off
	s_mov_b32 s1, 0
	s_branch .LBB54_609
.LBB54_606:
	s_mov_b32 s1, -1
                                        ; implicit-def: $vgpr6
	s_branch .LBB54_615
.LBB54_607:
	s_mov_b32 s1, -1
                                        ; implicit-def: $vgpr6
	s_branch .LBB54_612
.LBB54_608:
	s_mov_b32 s1, -1
                                        ; implicit-def: $vgpr6
.LBB54_609:
	s_delay_alu instid0(SALU_CYCLE_1)
	s_and_not1_b32 vcc_lo, exec_lo, s1
	s_cbranch_vccnz .LBB54_611
; %bb.610:
	s_wait_loadcnt 0x0
	global_load_b32 v6, v[4:5], off
.LBB54_611:
	s_mov_b32 s1, 0
.LBB54_612:
	s_delay_alu instid0(SALU_CYCLE_1)
	s_and_not1_b32 vcc_lo, exec_lo, s1
	s_cbranch_vccnz .LBB54_614
; %bb.613:
	s_wait_loadcnt 0x0
	global_load_i16 v6, v[4:5], off
.LBB54_614:
	s_mov_b32 s1, 0
.LBB54_615:
	s_delay_alu instid0(SALU_CYCLE_1)
	s_and_not1_b32 vcc_lo, exec_lo, s1
	s_cbranch_vccnz .LBB54_621
; %bb.616:
	s_cmp_gt_i32 s0, 0
	s_mov_b32 s0, 0
	s_cbranch_scc0 .LBB54_618
; %bb.617:
	s_wait_loadcnt 0x0
	global_load_i8 v6, v[4:5], off
	s_branch .LBB54_619
.LBB54_618:
	s_mov_b32 s0, -1
                                        ; implicit-def: $vgpr6
.LBB54_619:
	s_delay_alu instid0(SALU_CYCLE_1)
	s_and_not1_b32 vcc_lo, exec_lo, s0
	s_cbranch_vccnz .LBB54_621
; %bb.620:
	s_wait_loadcnt 0x0
	global_load_u8 v6, v[4:5], off
.LBB54_621:
	s_mov_b32 s41, -1
.LBB54_622:
	s_delay_alu instid0(SALU_CYCLE_1)
	s_and_not1_b32 vcc_lo, exec_lo, s41
	s_cbranch_vccnz .LBB54_628
; %bb.623:
	s_wait_loadcnt 0x0
	v_cmp_eq_u32_e32 vcc_lo, s38, v7
	s_mov_b32 s1, -1
	s_mov_b32 s0, 0
	s_mov_b32 s41, 0
	;; [unrolled: 1-line block ×3, first 2 shown]
	s_and_b32 s45, s58, vcc_lo
	s_mov_b32 s43, 0
	s_mov_b32 s44, 0
	s_and_saveexec_b32 s59, s45
	s_cbranch_execz .LBB54_3937
; %bb.624:
	v_cmp_eq_u32_e32 vcc_lo, s22, v8
	s_and_b32 s41, s57, vcc_lo
	s_delay_alu instid0(SALU_CYCLE_1)
	s_and_saveexec_b32 s61, s41
	s_cbranch_execz .LBB54_1919
; %bb.625:
	v_sub_nc_u32_e32 v1, v2, v0
	s_mov_b32 s41, 0
	s_delay_alu instid0(VALU_DEP_1)
	v_cmp_le_i32_e32 vcc_lo, s38, v1
	v_cmp_ge_i32_e64 s0, s20, v1
	s_and_b32 s42, vcc_lo, s0
	s_mov_b32 s0, 0
	s_and_b32 s43, s56, s42
	s_mov_b32 s42, 0
	s_and_saveexec_b32 s62, s43
	s_cbranch_execz .LBB54_1918
; %bb.626:
	v_mov_b64_e32 v[4:5], 0
	s_and_not1_b32 vcc_lo, exec_lo, s55
	s_cbranch_vccnz .LBB54_662
; %bb.627:
	v_ashrrev_i32_e32 v7, 31, v6
	s_mov_b32 s1, 0
	v_mov_b64_e32 v[4:5], 0
	s_mov_b32 s41, s1
	s_mov_b64 s[42:43], 0xffffffff
	v_mul_u64_e32 v[8:9], s[22:23], v[6:7]
	v_mov_b32_e32 v6, 0
	s_lshl_b64 s[46:47], s[40:41], 3
	s_mov_b32 s41, s24
	s_add_nc_u64 s[44:45], s[26:27], s[46:47]
	s_add_nc_u64 s[46:47], s[28:29], s[46:47]
	s_branch .LBB54_643
.LBB54_628:
	s_mov_b32 s0, 0
	s_mov_b32 s1, 0
	;; [unrolled: 1-line block ×6, first 2 shown]
                                        ; implicit-def: $vgpr22
.LBB54_629:
	s_delay_alu instid0(SALU_CYCLE_1)
	s_and_b32 s59, s44, exec_lo
	s_and_b32 s61, s43, exec_lo
	;; [unrolled: 1-line block ×10, first 2 shown]
	s_or_not1_b32 s1, s0, exec_lo
.LBB54_630:
	s_wait_xcnt 0x0
	s_or_b32 exec_lo, exec_lo, s70
	s_mov_b32 s43, 0
	s_mov_b32 s42, 0
                                        ; implicit-def: $sgpr0
                                        ; implicit-def: $vgpr0_vgpr1
                                        ; implicit-def: $vgpr7
	s_and_saveexec_b32 s70, s1
	s_cbranch_execz .LBB54_639
; %bb.631:
	s_mov_b32 s43, -1
	s_mov_b32 s71, s69
	s_mov_b32 s73, s68
	;; [unrolled: 1-line block ×10, first 2 shown]
	s_mov_b32 s81, exec_lo
	v_cmpx_gt_i32_e64 s60, v22
	s_cbranch_execz .LBB54_1299
; %bb.632:
	s_wait_loadcnt 0x0
	v_mul_lo_u32 v0, v22, s17
	s_and_b32 s0, s39, 0xff
	s_delay_alu instid0(SALU_CYCLE_1) | instskip(NEXT) | instid1(VALU_DEP_1)
	s_cmp_lt_i32 s0, 11
	v_ashrrev_i32_e32 v1, 31, v0
	s_delay_alu instid0(VALU_DEP_1)
	v_add_nc_u64_e32 v[0:1], s[6:7], v[0:1]
	s_cbranch_scc1 .LBB54_647
; %bb.633:
	s_and_b32 s1, 0xffff, s0
	s_delay_alu instid0(SALU_CYCLE_1)
	s_cmp_gt_i32 s1, 25
	s_cbranch_scc0 .LBB54_656
; %bb.634:
	s_cmp_gt_i32 s1, 28
	s_cbranch_scc0 .LBB54_658
; %bb.635:
	;; [unrolled: 3-line block ×4, first 2 shown]
	s_cmp_eq_u32 s1, 46
	s_cbranch_scc0 .LBB54_678
; %bb.638:
	global_load_b32 v2, v[0:1], off
	s_mov_b32 s41, -1
	s_mov_b32 s71, 0
	s_wait_loadcnt 0x0
	v_lshlrev_b32_e32 v2, 16, v2
	s_delay_alu instid0(VALU_DEP_1)
	v_cvt_i32_f32_e32 v7, v2
	s_branch .LBB54_680
.LBB54_639:
	s_or_b32 exec_lo, exec_lo, s70
	s_mov_b32 s1, 0
	s_and_saveexec_b32 s41, s69
	s_cbranch_execnz .LBB54_2140
.LBB54_640:
	s_or_b32 exec_lo, exec_lo, s41
	s_and_saveexec_b32 s41, s71
	s_delay_alu instid0(SALU_CYCLE_1)
	s_xor_b32 s41, exec_lo, s41
	s_cbranch_execz .LBB54_2141
.LBB54_641:
	s_wait_loadcnt 0x0
	global_load_u8 v2, v[0:1], off
	s_or_b32 s42, s42, exec_lo
	s_wait_loadcnt 0x0
	v_cmp_ne_u16_e32 vcc_lo, 0, v2
	v_cndmask_b32_e64 v7, 0, 1, vcc_lo
	s_wait_xcnt 0x0
	s_or_b32 exec_lo, exec_lo, s41
	s_and_saveexec_b32 s41, s43
	s_cbranch_execz .LBB54_2187
	s_branch .LBB54_2142
.LBB54_642:                             ;   in Loop: Header=BB54_643 Depth=1
	s_or_b32 exec_lo, exec_lo, s0
	s_delay_alu instid0(VALU_DEP_1)
	v_mul_u64_e32 v[12:13], s[48:49], v[10:11]
	s_load_b64 s[48:49], s[46:47], 0x0
	s_add_co_i32 s41, s41, -1
	s_add_nc_u64 s[44:45], s[44:45], -8
	s_cmp_eq_u32 s41, 0
	s_wait_xcnt 0x0
	s_add_nc_u64 s[46:47], s[46:47], -8
	s_delay_alu instid0(VALU_DEP_1) | instskip(SKIP_1) | instid1(VALU_DEP_1)
	v_sub_nc_u64_e32 v[8:9], v[8:9], v[12:13]
	s_wait_kmcnt 0x0
	v_mad_nc_u64_u32 v[4:5], v8, s48, v[4:5]
	s_delay_alu instid0(VALU_DEP_1) | instskip(NEXT) | instid1(VALU_DEP_1)
	v_mad_u32 v1, v9, s48, v5
	v_mad_u32 v5, v8, s49, v1
	v_mov_b64_e32 v[8:9], v[10:11]
	s_cbranch_scc1 .LBB54_662
.LBB54_643:                             ; =>This Inner Loop Header: Depth=1
	s_load_b64 s[48:49], s[44:45], 0x0
                                        ; implicit-def: $vgpr10_vgpr11
	s_mov_b32 s0, exec_lo
	s_wait_kmcnt 0x0
	s_delay_alu instid0(VALU_DEP_1) | instskip(NEXT) | instid1(VALU_DEP_1)
	v_or_b32_e32 v7, s49, v9
	v_cmpx_ne_u64_e32 0, v[6:7]
	s_xor_b32 s63, exec_lo, s0
	s_cbranch_execz .LBB54_645
; %bb.644:                              ;   in Loop: Header=BB54_643 Depth=1
	s_ashr_i32 s50, s49, 31
	v_dual_mov_b32 v15, v6 :: v_dual_ashrrev_i32 v10, 31, v9
	s_mov_b32 s51, s50
	v_mov_b32_e32 v25, v6
	s_add_nc_u64 s[52:53], s[48:49], s[50:51]
	s_delay_alu instid0(VALU_DEP_2) | instskip(SKIP_1) | instid1(SALU_CYCLE_1)
	v_mov_b32_e32 v11, v10
	s_xor_b64 s[52:53], s[52:53], s[50:51]
	s_cvt_f32_u32 s0, s52
	s_cvt_f32_u32 s51, s53
	s_sub_nc_u64 s[74:75], 0, s[52:53]
	v_add_nc_u64_e32 v[12:13], v[8:9], v[10:11]
	v_mov_b32_e32 v19, v6
	s_fmamk_f32 s0, s51, 0x4f800000, s0
	s_delay_alu instid0(SALU_CYCLE_3) | instskip(NEXT) | instid1(VALU_DEP_2)
	v_s_rcp_f32 s0, s0
	v_xor_b32_e32 v14, v12, v10
	s_delay_alu instid0(VALU_DEP_3) | instskip(NEXT) | instid1(TRANS32_DEP_1)
	v_xor_b32_e32 v18, v13, v10
	s_mul_f32 s0, s0, 0x5f7ffffc
	s_delay_alu instid0(SALU_CYCLE_3) | instskip(NEXT) | instid1(SALU_CYCLE_3)
	s_mul_f32 s51, s0, 0x2f800000
	s_trunc_f32 s51, s51
	s_delay_alu instid0(SALU_CYCLE_3) | instskip(SKIP_1) | instid1(SALU_CYCLE_2)
	s_fmamk_f32 s0, s51, 0xcf800000, s0
	s_cvt_u32_f32 s73, s51
	s_cvt_u32_f32 s72, s0
	s_delay_alu instid0(SALU_CYCLE_3) | instskip(NEXT) | instid1(SALU_CYCLE_1)
	s_mul_u64 s[76:77], s[74:75], s[72:73]
	s_mul_hi_u32 s79, s72, s77
	s_mul_i32 s78, s72, s77
	s_mul_hi_u32 s0, s72, s76
	s_mul_i32 s64, s73, s76
	s_add_nc_u64 s[78:79], s[0:1], s[78:79]
	s_mul_hi_u32 s51, s73, s76
	s_mul_hi_u32 s80, s73, s77
	s_add_co_u32 s0, s78, s64
	s_add_co_ci_u32 s0, s79, s51
	s_mul_i32 s76, s73, s77
	s_add_co_ci_u32 s77, s80, 0
	s_delay_alu instid0(SALU_CYCLE_1) | instskip(NEXT) | instid1(SALU_CYCLE_1)
	s_add_nc_u64 s[76:77], s[0:1], s[76:77]
	s_add_co_u32 s72, s72, s76
	s_cselect_b32 s0, -1, 0
	s_delay_alu instid0(SALU_CYCLE_1) | instskip(SKIP_1) | instid1(SALU_CYCLE_1)
	s_cmp_lg_u32 s0, 0
	s_add_co_ci_u32 s73, s73, s77
	s_mul_u64 s[74:75], s[74:75], s[72:73]
	s_delay_alu instid0(SALU_CYCLE_1)
	s_mul_hi_u32 s77, s72, s75
	s_mul_i32 s76, s72, s75
	s_mul_hi_u32 s0, s72, s74
	s_mul_i32 s64, s73, s74
	s_add_nc_u64 s[76:77], s[0:1], s[76:77]
	s_mul_hi_u32 s51, s73, s74
	s_mul_hi_u32 s78, s73, s75
	s_add_co_u32 s0, s76, s64
	s_add_co_ci_u32 s0, s77, s51
	s_mul_i32 s74, s73, s75
	s_add_co_ci_u32 s75, s78, 0
	s_delay_alu instid0(SALU_CYCLE_1) | instskip(NEXT) | instid1(SALU_CYCLE_1)
	s_add_nc_u64 s[74:75], s[0:1], s[74:75]
	s_add_co_u32 s64, s72, s74
	s_cselect_b32 s0, -1, 0
	v_mul_hi_u32 v24, v14, s64
	s_cmp_lg_u32 s0, 0
	s_add_co_ci_u32 s0, s73, s75
	s_and_b64 s[72:73], s[64:65], s[42:43]
	v_mul_u64_e32 v[16:17], s[0:1], v[14:15]
	v_mul_u64_e32 v[12:13], s[72:73], v[18:19]
	;; [unrolled: 1-line block ×3, first 2 shown]
	s_delay_alu instid0(VALU_DEP_3) | instskip(NEXT) | instid1(VALU_DEP_1)
	v_add_nc_u64_e32 v[16:17], v[24:25], v[16:17]
	v_add_co_u32 v1, vcc_lo, v16, v12
	s_delay_alu instid0(VALU_DEP_2) | instskip(NEXT) | instid1(VALU_DEP_4)
	v_add_co_ci_u32_e32 v24, vcc_lo, v17, v13, vcc_lo
	v_add_co_ci_u32_e32 v21, vcc_lo, 0, v21, vcc_lo
	s_delay_alu instid0(VALU_DEP_1) | instskip(NEXT) | instid1(VALU_DEP_1)
	v_add_nc_u64_e32 v[12:13], v[24:25], v[20:21]
	v_mul_u64_e32 v[16:17], s[52:53], v[12:13]
	s_delay_alu instid0(VALU_DEP_1) | instskip(NEXT) | instid1(VALU_DEP_2)
	v_sub_nc_u32_e32 v1, v18, v17
	v_sub_co_u32 v3, vcc_lo, v14, v16
	s_delay_alu instid0(VALU_DEP_1) | instskip(NEXT) | instid1(VALU_DEP_3)
	v_sub_co_ci_u32_e64 v11, null, v18, v17, vcc_lo
	v_subrev_co_ci_u32_e64 v1, null, s53, v1, vcc_lo
	s_delay_alu instid0(VALU_DEP_3) | instskip(SKIP_1) | instid1(VALU_DEP_3)
	v_sub_co_u32 v7, s0, v3, s52
	v_add_nc_u64_e32 v[16:17], 1, v[12:13]
	v_subrev_co_ci_u32_e64 v1, null, 0, v1, s0
	s_delay_alu instid0(VALU_DEP_3) | instskip(SKIP_1) | instid1(VALU_DEP_3)
	v_cmp_le_u32_e32 vcc_lo, s52, v7
	v_cndmask_b32_e64 v7, 0, -1, vcc_lo
	v_cmp_le_u32_e32 vcc_lo, s53, v1
	v_cndmask_b32_e64 v14, 0, -1, vcc_lo
	;; [unrolled: 2-line block ×4, first 2 shown]
	v_cmp_eq_u32_e32 vcc_lo, s53, v1
	v_cndmask_b32_e32 v1, v14, v7, vcc_lo
	v_cmp_eq_u32_e32 vcc_lo, s53, v11
	v_add_nc_u64_e32 v[14:15], 2, v[12:13]
	v_cndmask_b32_e32 v3, v18, v3, vcc_lo
	s_delay_alu instid0(VALU_DEP_4) | instskip(NEXT) | instid1(VALU_DEP_2)
	v_cmp_ne_u32_e32 vcc_lo, 0, v1
	v_cmp_ne_u32_e64 s0, 0, v3
	s_delay_alu instid0(VALU_DEP_4) | instskip(NEXT) | instid1(VALU_DEP_1)
	v_dual_cndmask_b32 v1, v17, v15, vcc_lo :: v_dual_cndmask_b32 v3, v16, v14, vcc_lo
	v_dual_cndmask_b32 v1, v13, v1, s0 :: v_dual_bitop2_b32 v10, s50, v10 bitop3:0x14
	s_delay_alu instid0(VALU_DEP_1) | instskip(NEXT) | instid1(VALU_DEP_2)
	v_dual_cndmask_b32 v3, v12, v3, s0 :: v_dual_mov_b32 v11, v10
	v_xor_b32_e32 v13, v1, v10
	s_delay_alu instid0(VALU_DEP_2) | instskip(NEXT) | instid1(VALU_DEP_1)
	v_xor_b32_e32 v12, v3, v10
	v_sub_nc_u64_e32 v[10:11], v[12:13], v[10:11]
.LBB54_645:                             ;   in Loop: Header=BB54_643 Depth=1
	s_and_not1_saveexec_b32 s0, s63
	s_cbranch_execz .LBB54_642
; %bb.646:                              ;   in Loop: Header=BB54_643 Depth=1
	v_cvt_f32_u32_e32 v1, s48
	s_sub_co_i32 s50, 0, s48
	v_mov_b32_e32 v11, v6
	s_delay_alu instid0(VALU_DEP_2) | instskip(SKIP_1) | instid1(TRANS32_DEP_1)
	v_rcp_iflag_f32_e32 v1, v1
	v_nop
	v_mul_f32_e32 v1, 0x4f7ffffe, v1
	s_delay_alu instid0(VALU_DEP_1) | instskip(NEXT) | instid1(VALU_DEP_1)
	v_cvt_u32_f32_e32 v1, v1
	v_mul_lo_u32 v3, s50, v1
	s_delay_alu instid0(VALU_DEP_1) | instskip(NEXT) | instid1(VALU_DEP_1)
	v_mul_hi_u32 v3, v1, v3
	v_add_nc_u32_e32 v1, v1, v3
	s_delay_alu instid0(VALU_DEP_1) | instskip(NEXT) | instid1(VALU_DEP_1)
	v_mul_hi_u32 v1, v8, v1
	v_mul_lo_u32 v3, v1, s48
	s_delay_alu instid0(VALU_DEP_1) | instskip(NEXT) | instid1(VALU_DEP_1)
	v_sub_nc_u32_e32 v3, v8, v3
	v_subrev_nc_u32_e32 v10, s48, v3
	v_cmp_le_u32_e32 vcc_lo, s48, v3
	s_delay_alu instid0(VALU_DEP_2) | instskip(NEXT) | instid1(VALU_DEP_1)
	v_dual_add_nc_u32 v7, 1, v1 :: v_dual_cndmask_b32 v3, v3, v10, vcc_lo
	v_cndmask_b32_e32 v1, v1, v7, vcc_lo
	s_delay_alu instid0(VALU_DEP_2) | instskip(NEXT) | instid1(VALU_DEP_2)
	v_cmp_le_u32_e32 vcc_lo, s48, v3
	v_add_nc_u32_e32 v7, 1, v1
	s_delay_alu instid0(VALU_DEP_1)
	v_cndmask_b32_e32 v10, v1, v7, vcc_lo
	s_branch .LBB54_642
.LBB54_647:
	s_mov_b32 s41, 0
	s_mov_b32 s71, s69
                                        ; implicit-def: $vgpr7
	s_cbranch_execnz .LBB54_742
.LBB54_648:
	s_and_not1_b32 vcc_lo, exec_lo, s41
	s_cbranch_vccnz .LBB54_790
.LBB54_649:
	s_wait_xcnt 0x0
	v_mul_lo_u32 v0, v22, s18
	s_and_b32 s0, s25, 0xff
	s_delay_alu instid0(SALU_CYCLE_1) | instskip(NEXT) | instid1(VALU_DEP_1)
	s_cmp_lt_i32 s0, 11
	v_ashrrev_i32_e32 v1, 31, v0
	s_delay_alu instid0(VALU_DEP_1)
	v_add_nc_u64_e32 v[0:1], s[8:9], v[0:1]
	s_cbranch_scc1 .LBB54_657
; %bb.650:
	s_and_b32 s1, 0xffff, s0
	s_delay_alu instid0(SALU_CYCLE_1)
	s_cmp_gt_i32 s1, 25
	s_cbranch_scc0 .LBB54_659
; %bb.651:
	s_cmp_gt_i32 s1, 28
	s_cbranch_scc0 .LBB54_661
; %bb.652:
	;; [unrolled: 3-line block ×4, first 2 shown]
	s_cmp_eq_u32 s1, 46
	s_mov_b32 s42, 0
	s_cbranch_scc0 .LBB54_792
; %bb.655:
	global_load_b32 v2, v[0:1], off
	s_mov_b32 s41, -1
	s_mov_b32 s73, 0
	s_wait_loadcnt 0x0
	v_lshlrev_b32_e32 v2, 16, v2
	s_delay_alu instid0(VALU_DEP_1)
	v_cvt_i32_f32_e32 v8, v2
	s_branch .LBB54_794
.LBB54_656:
	s_mov_b32 s42, -1
	s_mov_b32 s41, 0
	s_mov_b32 s71, s69
                                        ; implicit-def: $vgpr7
	s_branch .LBB54_708
.LBB54_657:
	s_mov_b32 s1, -1
	s_mov_b32 s41, 0
	s_mov_b32 s73, s68
                                        ; implicit-def: $vgpr8
	s_branch .LBB54_855
.LBB54_658:
	s_mov_b32 s42, -1
	s_mov_b32 s41, 0
	s_mov_b32 s71, s69
                                        ; implicit-def: $vgpr7
	s_branch .LBB54_691
.LBB54_659:
	s_mov_b32 s42, -1
	s_mov_b32 s41, 0
	s_mov_b32 s73, s68
                                        ; implicit-def: $vgpr8
	s_branch .LBB54_821
.LBB54_660:
	s_mov_b32 s42, -1
	s_mov_b32 s41, 0
	s_mov_b32 s71, s69
                                        ; implicit-def: $vgpr7
	s_branch .LBB54_686
.LBB54_661:
	s_mov_b32 s42, -1
	s_mov_b32 s41, 0
	s_mov_b32 s73, s68
                                        ; implicit-def: $vgpr8
	s_branch .LBB54_804
.LBB54_662:
	s_mov_b32 s43, -1
	s_mov_b32 s41, 0
	s_mov_b32 s0, 0
	s_mov_b32 s1, exec_lo
	v_cmpx_gt_i32_e64 v2, v0
	s_cbranch_execz .LBB54_670
; %bb.663:
	s_delay_alu instid0(VALU_DEP_2) | instskip(SKIP_2) | instid1(VALU_DEP_1)
	v_lshlrev_b64_e32 v[4:5], 2, v[4:5]
	v_dual_ashrrev_i32 v1, 31, v0 :: v_dual_ashrrev_i32 v3, 31, v2
	s_xor_b32 s43, s54, -1
                                        ; implicit-def: $sgpr42
                                        ; implicit-def: $sgpr45
                                        ; implicit-def: $sgpr44
	v_lshl_add_u64 v[0:1], v[0:1], 2, v[4:5]
	v_add_nc_u64_e32 v[4:5], s[30:31], v[4:5]
	s_delay_alu instid0(VALU_DEP_2) | instskip(NEXT) | instid1(VALU_DEP_2)
	v_add_nc_u64_e32 v[0:1], s[30:31], v[0:1]
	v_lshl_add_u64 v[2:3], v[2:3], 2, v[4:5]
	s_delay_alu instid0(VALU_DEP_2)
	v_add_nc_u64_e32 v[0:1], 4, v[0:1]
	s_branch .LBB54_665
.LBB54_664:                             ;   in Loop: Header=BB54_665 Depth=1
	s_or_b32 exec_lo, exec_lo, s46
	s_delay_alu instid0(SALU_CYCLE_1) | instskip(NEXT) | instid1(SALU_CYCLE_1)
	s_and_b32 s46, exec_lo, s45
	s_or_b32 s0, s46, s0
	s_and_not1_b32 s42, s42, exec_lo
	s_and_b32 s46, s44, exec_lo
	s_delay_alu instid0(SALU_CYCLE_1)
	s_or_b32 s42, s42, s46
	s_and_not1_b32 exec_lo, exec_lo, s0
	s_cbranch_execz .LBB54_669
.LBB54_665:                             ; =>This Inner Loop Header: Depth=1
	s_or_b32 s44, s44, exec_lo
	s_or_b32 s45, s45, exec_lo
	s_mov_b32 s46, exec_lo
	s_delay_alu instid0(VALU_DEP_1)
	v_cmpx_lt_u64_e64 v[0:1], v[2:3]
	s_cbranch_execz .LBB54_664
; %bb.666:                              ;   in Loop: Header=BB54_665 Depth=1
	global_load_b64 v[4:5], v[0:1], off offset:-4
	s_wait_xcnt 0x0
	v_add_nc_u64_e32 v[0:1], 4, v[0:1]
	s_and_not1_b32 s45, s45, exec_lo
	s_and_not1_b32 s44, s44, exec_lo
	s_wait_loadcnt 0x0
	v_cmp_ge_i32_e32 vcc_lo, v4, v5
	s_or_b32 s47, s43, vcc_lo
	s_delay_alu instid0(SALU_CYCLE_1) | instskip(NEXT) | instid1(SALU_CYCLE_1)
	s_and_b32 s47, s47, exec_lo
	s_or_b32 s45, s45, s47
	s_branch .LBB54_664
.LBB54_667:
	s_mov_b32 s42, -1
	s_mov_b32 s41, 0
	s_mov_b32 s71, s69
	s_branch .LBB54_679
.LBB54_668:
	s_mov_b32 s42, -1
	s_mov_b32 s41, 0
	s_mov_b32 s73, s68
                                        ; implicit-def: $vgpr8
	s_branch .LBB54_799
.LBB54_669:
	s_or_b32 exec_lo, exec_lo, s0
	s_delay_alu instid0(SALU_CYCLE_1)
	s_mov_b32 s0, exec_lo
	s_or_not1_b32 s43, s42, exec_lo
.LBB54_670:
	s_or_b32 exec_lo, exec_lo, s1
	s_mov_b32 s42, 0
	s_and_saveexec_b32 s1, s43
	s_cbranch_execz .LBB54_1917
; %bb.671:
	v_mul_lo_u32 v0, v22, s16
	s_and_b32 s42, s2, 0xff
	s_delay_alu instid0(SALU_CYCLE_1) | instskip(NEXT) | instid1(VALU_DEP_1)
	s_cmp_lt_i32 s42, 11
	v_ashrrev_i32_e32 v1, 31, v0
	s_delay_alu instid0(VALU_DEP_1)
	v_add_nc_u64_e32 v[0:1], s[4:5], v[0:1]
	s_cbranch_scc1 .LBB54_791
; %bb.672:
	s_and_b32 s43, 0xffff, s42
	s_delay_alu instid0(SALU_CYCLE_1)
	s_cmp_gt_i32 s43, 25
	s_cbranch_scc0 .LBB54_918
; %bb.673:
	s_cmp_gt_i32 s43, 28
	s_cbranch_scc0 .LBB54_1045
; %bb.674:
	;; [unrolled: 3-line block ×4, first 2 shown]
	s_mov_b32 s45, 0
	s_mov_b32 s41, -1
	s_cmp_eq_u32 s43, 46
	s_mov_b32 s44, 0
	s_cbranch_scc0 .LBB54_1835
; %bb.677:
	v_mov_b32_e32 v2, 0
	s_mov_b32 s44, -1
	s_mov_b32 s41, 0
	global_store_b32 v[0:1], v2, off
	s_branch .LBB54_1835
.LBB54_678:
	s_mov_b32 s71, -1
	s_mov_b32 s41, 0
.LBB54_679:
                                        ; implicit-def: $vgpr7
.LBB54_680:
	s_and_b32 vcc_lo, exec_lo, s42
	s_cbranch_vccz .LBB54_685
; %bb.681:
	s_cmp_eq_u32 s1, 44
	s_cbranch_scc0 .LBB54_684
; %bb.682:
	global_load_u8 v2, v[0:1], off
	s_mov_b32 s71, 0
	s_mov_b32 s41, -1
	s_wait_loadcnt 0x0
	v_lshlrev_b32_e32 v3, 23, v2
	v_cmp_ne_u32_e32 vcc_lo, 0, v2
	s_delay_alu instid0(VALU_DEP_2) | instskip(NEXT) | instid1(VALU_DEP_1)
	v_cvt_i32_f32_e32 v3, v3
	v_cndmask_b32_e32 v7, 0, v3, vcc_lo
	s_branch .LBB54_685
.LBB54_683:
	s_mov_b32 s42, -1
	s_mov_b32 s41, 0
	s_mov_b32 s73, s68
	s_branch .LBB54_793
.LBB54_684:
	s_mov_b32 s71, -1
                                        ; implicit-def: $vgpr7
.LBB54_685:
	s_mov_b32 s42, 0
.LBB54_686:
	s_delay_alu instid0(SALU_CYCLE_1)
	s_and_b32 vcc_lo, exec_lo, s42
	s_cbranch_vccz .LBB54_690
; %bb.687:
	s_cmp_eq_u32 s1, 29
	s_cbranch_scc0 .LBB54_689
; %bb.688:
	global_load_b32 v7, v[0:1], off
	s_mov_b32 s41, -1
	s_mov_b32 s71, 0
	s_branch .LBB54_690
.LBB54_689:
	s_mov_b32 s71, -1
                                        ; implicit-def: $vgpr7
.LBB54_690:
	s_mov_b32 s42, 0
.LBB54_691:
	s_delay_alu instid0(SALU_CYCLE_1)
	s_and_b32 vcc_lo, exec_lo, s42
	s_cbranch_vccz .LBB54_707
; %bb.692:
	s_cmp_lt_i32 s1, 27
	s_cbranch_scc1 .LBB54_695
; %bb.693:
	s_cmp_gt_i32 s1, 27
	s_cbranch_scc0 .LBB54_696
; %bb.694:
	s_wait_loadcnt 0x0
	global_load_b32 v7, v[0:1], off
	s_mov_b32 s41, 0
	s_branch .LBB54_697
.LBB54_695:
	s_mov_b32 s41, -1
                                        ; implicit-def: $vgpr7
	s_branch .LBB54_700
.LBB54_696:
	s_mov_b32 s41, -1
                                        ; implicit-def: $vgpr7
.LBB54_697:
	s_delay_alu instid0(SALU_CYCLE_1)
	s_and_not1_b32 vcc_lo, exec_lo, s41
	s_cbranch_vccnz .LBB54_699
; %bb.698:
	s_wait_loadcnt 0x0
	global_load_u16 v7, v[0:1], off
.LBB54_699:
	s_mov_b32 s41, 0
.LBB54_700:
	s_delay_alu instid0(SALU_CYCLE_1)
	s_and_not1_b32 vcc_lo, exec_lo, s41
	s_cbranch_vccnz .LBB54_706
; %bb.701:
	global_load_u8 v2, v[0:1], off
	s_mov_b32 s42, 0
	s_mov_b32 s41, exec_lo
	s_wait_loadcnt 0x0
	v_cmpx_lt_i16_e32 0x7f, v2
	s_xor_b32 s41, exec_lo, s41
	s_cbranch_execz .LBB54_718
; %bb.702:
	v_cmp_ne_u16_e32 vcc_lo, 0x80, v2
	s_and_b32 s42, vcc_lo, exec_lo
	s_and_not1_saveexec_b32 s41, s41
	s_cbranch_execnz .LBB54_719
.LBB54_703:
	s_or_b32 exec_lo, exec_lo, s41
	v_mov_b32_e32 v7, 0
	s_and_saveexec_b32 s41, s42
	s_cbranch_execz .LBB54_705
.LBB54_704:
	v_and_b32_e32 v3, 0xffff, v2
	s_delay_alu instid0(VALU_DEP_1) | instskip(SKIP_1) | instid1(VALU_DEP_2)
	v_and_b32_e32 v4, 7, v3
	v_bfe_u32 v7, v3, 3, 4
	v_clz_i32_u32_e32 v5, v4
	s_delay_alu instid0(VALU_DEP_2) | instskip(NEXT) | instid1(VALU_DEP_2)
	v_cmp_eq_u32_e32 vcc_lo, 0, v7
	v_min_u32_e32 v5, 32, v5
	s_delay_alu instid0(VALU_DEP_1) | instskip(NEXT) | instid1(VALU_DEP_1)
	v_subrev_nc_u32_e32 v6, 28, v5
	v_dual_lshlrev_b32 v3, v6, v3 :: v_dual_sub_nc_u32 v5, 29, v5
	s_delay_alu instid0(VALU_DEP_1) | instskip(NEXT) | instid1(VALU_DEP_1)
	v_dual_lshlrev_b32 v2, 24, v2 :: v_dual_bitop2_b32 v3, 7, v3 bitop3:0x40
	v_dual_cndmask_b32 v5, v7, v5, vcc_lo :: v_dual_cndmask_b32 v3, v4, v3, vcc_lo
	s_delay_alu instid0(VALU_DEP_2) | instskip(NEXT) | instid1(VALU_DEP_2)
	v_and_b32_e32 v2, 0x80000000, v2
	v_lshl_add_u32 v4, v5, 23, 0x3b800000
	s_delay_alu instid0(VALU_DEP_3) | instskip(NEXT) | instid1(VALU_DEP_1)
	v_lshlrev_b32_e32 v3, 20, v3
	v_or3_b32 v2, v2, v4, v3
	s_delay_alu instid0(VALU_DEP_1)
	v_cvt_i32_f32_e32 v7, v2
.LBB54_705:
	s_or_b32 exec_lo, exec_lo, s41
.LBB54_706:
	s_mov_b32 s41, -1
.LBB54_707:
	s_mov_b32 s42, 0
.LBB54_708:
	s_delay_alu instid0(SALU_CYCLE_1)
	s_and_b32 vcc_lo, exec_lo, s42
	s_cbranch_vccz .LBB54_741
; %bb.709:
	s_cmp_gt_i32 s1, 22
	s_cbranch_scc0 .LBB54_717
; %bb.710:
	s_cmp_lt_i32 s1, 24
	s_cbranch_scc1 .LBB54_720
; %bb.711:
	s_cmp_gt_i32 s1, 24
	s_cbranch_scc0 .LBB54_721
; %bb.712:
	global_load_u8 v2, v[0:1], off
	s_mov_b32 s42, 0
	s_mov_b32 s41, exec_lo
	s_wait_loadcnt 0x0
	v_cmpx_lt_i16_e32 0x7f, v2
	s_xor_b32 s41, exec_lo, s41
	s_cbranch_execz .LBB54_733
; %bb.713:
	v_cmp_ne_u16_e32 vcc_lo, 0x80, v2
	s_and_b32 s42, vcc_lo, exec_lo
	s_and_not1_saveexec_b32 s41, s41
	s_cbranch_execnz .LBB54_734
.LBB54_714:
	s_or_b32 exec_lo, exec_lo, s41
	v_mov_b32_e32 v7, 0
	s_and_saveexec_b32 s41, s42
	s_cbranch_execz .LBB54_716
.LBB54_715:
	v_and_b32_e32 v3, 0xffff, v2
	s_delay_alu instid0(VALU_DEP_1) | instskip(SKIP_1) | instid1(VALU_DEP_2)
	v_and_b32_e32 v4, 3, v3
	v_bfe_u32 v7, v3, 2, 5
	v_clz_i32_u32_e32 v5, v4
	s_delay_alu instid0(VALU_DEP_2) | instskip(NEXT) | instid1(VALU_DEP_2)
	v_cmp_eq_u32_e32 vcc_lo, 0, v7
	v_min_u32_e32 v5, 32, v5
	s_delay_alu instid0(VALU_DEP_1) | instskip(NEXT) | instid1(VALU_DEP_1)
	v_subrev_nc_u32_e32 v6, 29, v5
	v_dual_lshlrev_b32 v3, v6, v3 :: v_dual_sub_nc_u32 v5, 30, v5
	s_delay_alu instid0(VALU_DEP_1) | instskip(NEXT) | instid1(VALU_DEP_1)
	v_dual_lshlrev_b32 v2, 24, v2 :: v_dual_bitop2_b32 v3, 3, v3 bitop3:0x40
	v_dual_cndmask_b32 v5, v7, v5, vcc_lo :: v_dual_cndmask_b32 v3, v4, v3, vcc_lo
	s_delay_alu instid0(VALU_DEP_2) | instskip(NEXT) | instid1(VALU_DEP_2)
	v_and_b32_e32 v2, 0x80000000, v2
	v_lshl_add_u32 v4, v5, 23, 0x37800000
	s_delay_alu instid0(VALU_DEP_3) | instskip(NEXT) | instid1(VALU_DEP_1)
	v_lshlrev_b32_e32 v3, 21, v3
	v_or3_b32 v2, v2, v4, v3
	s_delay_alu instid0(VALU_DEP_1)
	v_cvt_i32_f32_e32 v7, v2
.LBB54_716:
	s_or_b32 exec_lo, exec_lo, s41
	s_mov_b32 s41, 0
	s_branch .LBB54_722
.LBB54_717:
	s_mov_b32 s42, -1
                                        ; implicit-def: $vgpr7
	s_branch .LBB54_728
.LBB54_718:
	s_and_not1_saveexec_b32 s41, s41
	s_cbranch_execz .LBB54_703
.LBB54_719:
	v_cmp_ne_u16_e32 vcc_lo, 0, v2
	s_and_not1_b32 s42, s42, exec_lo
	s_and_b32 s43, vcc_lo, exec_lo
	s_delay_alu instid0(SALU_CYCLE_1)
	s_or_b32 s42, s42, s43
	s_or_b32 exec_lo, exec_lo, s41
	v_mov_b32_e32 v7, 0
	s_and_saveexec_b32 s41, s42
	s_cbranch_execnz .LBB54_704
	s_branch .LBB54_705
.LBB54_720:
	s_mov_b32 s41, -1
                                        ; implicit-def: $vgpr7
	s_branch .LBB54_725
.LBB54_721:
	s_mov_b32 s41, -1
                                        ; implicit-def: $vgpr7
.LBB54_722:
	s_delay_alu instid0(SALU_CYCLE_1)
	s_and_b32 vcc_lo, exec_lo, s41
	s_cbranch_vccz .LBB54_724
; %bb.723:
	global_load_u8 v2, v[0:1], off
	s_wait_loadcnt 0x0
	v_lshlrev_b32_e32 v2, 24, v2
	s_delay_alu instid0(VALU_DEP_1) | instskip(NEXT) | instid1(VALU_DEP_1)
	v_and_b32_e32 v3, 0x7f000000, v2
	v_clz_i32_u32_e32 v4, v3
	v_cmp_ne_u32_e32 vcc_lo, 0, v3
	v_add_nc_u32_e32 v6, 0x1000000, v3
	s_delay_alu instid0(VALU_DEP_3) | instskip(NEXT) | instid1(VALU_DEP_1)
	v_min_u32_e32 v4, 32, v4
	v_sub_nc_u32_e64 v4, v4, 4 clamp
	s_delay_alu instid0(VALU_DEP_1) | instskip(NEXT) | instid1(VALU_DEP_1)
	v_dual_lshlrev_b32 v5, v4, v3 :: v_dual_lshlrev_b32 v4, 23, v4
	v_lshrrev_b32_e32 v5, 4, v5
	s_delay_alu instid0(VALU_DEP_1) | instskip(NEXT) | instid1(VALU_DEP_1)
	v_dual_sub_nc_u32 v4, v5, v4 :: v_dual_ashrrev_i32 v5, 8, v6
	v_add_nc_u32_e32 v4, 0x3c000000, v4
	s_delay_alu instid0(VALU_DEP_1) | instskip(NEXT) | instid1(VALU_DEP_1)
	v_and_or_b32 v4, 0x7f800000, v5, v4
	v_cndmask_b32_e32 v3, 0, v4, vcc_lo
	s_delay_alu instid0(VALU_DEP_1) | instskip(NEXT) | instid1(VALU_DEP_1)
	v_and_or_b32 v2, 0x80000000, v2, v3
	v_cvt_i32_f32_e32 v7, v2
.LBB54_724:
	s_mov_b32 s41, 0
.LBB54_725:
	s_delay_alu instid0(SALU_CYCLE_1)
	s_and_not1_b32 vcc_lo, exec_lo, s41
	s_cbranch_vccnz .LBB54_727
; %bb.726:
	global_load_u8 v2, v[0:1], off
	s_wait_loadcnt 0x0
	v_lshlrev_b32_e32 v3, 25, v2
	v_lshlrev_b16 v2, 8, v2
	s_delay_alu instid0(VALU_DEP_1) | instskip(SKIP_1) | instid1(VALU_DEP_2)
	v_and_or_b32 v5, 0x7f00, v2, 0.5
	v_bfe_i32 v2, v2, 0, 16
	v_dual_add_f32 v5, -0.5, v5 :: v_dual_lshrrev_b32 v4, 4, v3
	v_cmp_gt_u32_e32 vcc_lo, 0x8000000, v3
	s_delay_alu instid0(VALU_DEP_2) | instskip(NEXT) | instid1(VALU_DEP_1)
	v_or_b32_e32 v4, 0x70000000, v4
	v_mul_f32_e32 v4, 0x7800000, v4
	s_delay_alu instid0(VALU_DEP_1) | instskip(NEXT) | instid1(VALU_DEP_1)
	v_cndmask_b32_e32 v3, v4, v5, vcc_lo
	v_and_or_b32 v2, 0x80000000, v2, v3
	s_delay_alu instid0(VALU_DEP_1)
	v_cvt_i32_f32_e32 v7, v2
.LBB54_727:
	s_mov_b32 s42, 0
	s_mov_b32 s41, -1
.LBB54_728:
	s_and_not1_b32 vcc_lo, exec_lo, s42
	s_cbranch_vccnz .LBB54_741
; %bb.729:
	s_cmp_gt_i32 s1, 14
	s_cbranch_scc0 .LBB54_732
; %bb.730:
	s_cmp_eq_u32 s1, 15
	s_cbranch_scc0 .LBB54_735
; %bb.731:
	global_load_u16 v2, v[0:1], off
	s_mov_b32 s41, -1
	s_mov_b32 s71, 0
	s_wait_loadcnt 0x0
	v_lshlrev_b32_e32 v2, 16, v2
	s_delay_alu instid0(VALU_DEP_1)
	v_cvt_i32_f32_e32 v7, v2
	s_branch .LBB54_736
.LBB54_732:
	s_mov_b32 s42, -1
                                        ; implicit-def: $vgpr7
	s_branch .LBB54_737
.LBB54_733:
	s_and_not1_saveexec_b32 s41, s41
	s_cbranch_execz .LBB54_714
.LBB54_734:
	v_cmp_ne_u16_e32 vcc_lo, 0, v2
	s_and_not1_b32 s42, s42, exec_lo
	s_and_b32 s43, vcc_lo, exec_lo
	s_delay_alu instid0(SALU_CYCLE_1)
	s_or_b32 s42, s42, s43
	s_or_b32 exec_lo, exec_lo, s41
	v_mov_b32_e32 v7, 0
	s_and_saveexec_b32 s41, s42
	s_cbranch_execnz .LBB54_715
	s_branch .LBB54_716
.LBB54_735:
	s_mov_b32 s71, -1
                                        ; implicit-def: $vgpr7
.LBB54_736:
	s_mov_b32 s42, 0
.LBB54_737:
	s_delay_alu instid0(SALU_CYCLE_1)
	s_and_b32 vcc_lo, exec_lo, s42
	s_cbranch_vccz .LBB54_741
; %bb.738:
	s_cmp_eq_u32 s1, 11
	s_cbranch_scc0 .LBB54_740
; %bb.739:
	global_load_u8 v2, v[0:1], off
	s_mov_b32 s71, 0
	s_mov_b32 s41, -1
	s_wait_loadcnt 0x0
	v_cmp_ne_u16_e32 vcc_lo, 0, v2
	v_cndmask_b32_e64 v7, 0, 1, vcc_lo
	s_branch .LBB54_741
.LBB54_740:
	s_mov_b32 s71, -1
                                        ; implicit-def: $vgpr7
.LBB54_741:
	s_branch .LBB54_648
.LBB54_742:
	s_and_b32 s0, 0xffff, s0
	s_delay_alu instid0(SALU_CYCLE_1)
	s_cmp_lt_i32 s0, 5
	s_cbranch_scc1 .LBB54_747
; %bb.743:
	s_cmp_lt_i32 s0, 8
	s_cbranch_scc1 .LBB54_748
; %bb.744:
	;; [unrolled: 3-line block ×3, first 2 shown]
	s_cmp_gt_i32 s0, 9
	s_cbranch_scc0 .LBB54_750
; %bb.746:
	global_load_b64 v[2:3], v[0:1], off
	s_mov_b32 s1, 0
	s_wait_loadcnt 0x0
	v_cvt_i32_f64_e32 v7, v[2:3]
	s_branch .LBB54_751
.LBB54_747:
	s_mov_b32 s1, -1
                                        ; implicit-def: $vgpr7
	s_branch .LBB54_769
.LBB54_748:
	s_mov_b32 s1, -1
                                        ; implicit-def: $vgpr7
	s_branch .LBB54_757
.LBB54_749:
	s_mov_b32 s1, -1
                                        ; implicit-def: $vgpr7
	s_branch .LBB54_754
.LBB54_750:
	s_mov_b32 s1, -1
                                        ; implicit-def: $vgpr7
.LBB54_751:
	s_delay_alu instid0(SALU_CYCLE_1)
	s_and_not1_b32 vcc_lo, exec_lo, s1
	s_cbranch_vccnz .LBB54_753
; %bb.752:
	global_load_b32 v2, v[0:1], off
	s_wait_loadcnt 0x0
	v_cvt_i32_f32_e32 v7, v2
.LBB54_753:
	s_mov_b32 s1, 0
.LBB54_754:
	s_delay_alu instid0(SALU_CYCLE_1)
	s_and_not1_b32 vcc_lo, exec_lo, s1
	s_cbranch_vccnz .LBB54_756
; %bb.755:
	global_load_b32 v2, v[0:1], off
	s_wait_loadcnt 0x0
	v_cvt_f32_f16_e32 v2, v2
	s_delay_alu instid0(VALU_DEP_1)
	v_cvt_i32_f32_e32 v7, v2
.LBB54_756:
	s_mov_b32 s1, 0
.LBB54_757:
	s_delay_alu instid0(SALU_CYCLE_1)
	s_and_not1_b32 vcc_lo, exec_lo, s1
	s_cbranch_vccnz .LBB54_768
; %bb.758:
	s_cmp_lt_i32 s0, 6
	s_cbranch_scc1 .LBB54_761
; %bb.759:
	s_cmp_gt_i32 s0, 6
	s_cbranch_scc0 .LBB54_762
; %bb.760:
	global_load_b64 v[2:3], v[0:1], off
	s_mov_b32 s1, 0
	s_wait_loadcnt 0x0
	v_cvt_i32_f64_e32 v7, v[2:3]
	s_branch .LBB54_763
.LBB54_761:
	s_mov_b32 s1, -1
                                        ; implicit-def: $vgpr7
	s_branch .LBB54_766
.LBB54_762:
	s_mov_b32 s1, -1
                                        ; implicit-def: $vgpr7
.LBB54_763:
	s_delay_alu instid0(SALU_CYCLE_1)
	s_and_not1_b32 vcc_lo, exec_lo, s1
	s_cbranch_vccnz .LBB54_765
; %bb.764:
	global_load_b32 v2, v[0:1], off
	s_wait_loadcnt 0x0
	v_cvt_i32_f32_e32 v7, v2
.LBB54_765:
	s_mov_b32 s1, 0
.LBB54_766:
	s_delay_alu instid0(SALU_CYCLE_1)
	s_and_not1_b32 vcc_lo, exec_lo, s1
	s_cbranch_vccnz .LBB54_768
; %bb.767:
	global_load_u16 v2, v[0:1], off
	s_wait_loadcnt 0x0
	v_cvt_f32_f16_e32 v2, v2
	s_delay_alu instid0(VALU_DEP_1)
	v_cvt_i32_f32_e32 v7, v2
.LBB54_768:
	s_mov_b32 s1, 0
.LBB54_769:
	s_delay_alu instid0(SALU_CYCLE_1)
	s_and_not1_b32 vcc_lo, exec_lo, s1
	s_cbranch_vccnz .LBB54_789
; %bb.770:
	s_cmp_lt_i32 s0, 2
	s_cbranch_scc1 .LBB54_774
; %bb.771:
	s_cmp_lt_i32 s0, 3
	s_cbranch_scc1 .LBB54_775
; %bb.772:
	s_cmp_gt_i32 s0, 3
	s_cbranch_scc0 .LBB54_776
; %bb.773:
	s_wait_loadcnt 0x0
	global_load_b32 v7, v[0:1], off
	s_mov_b32 s1, 0
	s_branch .LBB54_777
.LBB54_774:
	s_mov_b32 s1, -1
                                        ; implicit-def: $vgpr7
	s_branch .LBB54_783
.LBB54_775:
	s_mov_b32 s1, -1
                                        ; implicit-def: $vgpr7
	s_branch .LBB54_780
.LBB54_776:
	s_mov_b32 s1, -1
                                        ; implicit-def: $vgpr7
.LBB54_777:
	s_delay_alu instid0(SALU_CYCLE_1)
	s_and_not1_b32 vcc_lo, exec_lo, s1
	s_cbranch_vccnz .LBB54_779
; %bb.778:
	s_wait_loadcnt 0x0
	global_load_b32 v7, v[0:1], off
.LBB54_779:
	s_mov_b32 s1, 0
.LBB54_780:
	s_delay_alu instid0(SALU_CYCLE_1)
	s_and_not1_b32 vcc_lo, exec_lo, s1
	s_cbranch_vccnz .LBB54_782
; %bb.781:
	s_wait_loadcnt 0x0
	global_load_i16 v7, v[0:1], off
.LBB54_782:
	s_mov_b32 s1, 0
.LBB54_783:
	s_delay_alu instid0(SALU_CYCLE_1)
	s_and_not1_b32 vcc_lo, exec_lo, s1
	s_cbranch_vccnz .LBB54_789
; %bb.784:
	s_cmp_gt_i32 s0, 0
	s_mov_b32 s0, 0
	s_cbranch_scc0 .LBB54_786
; %bb.785:
	s_wait_loadcnt 0x0
	global_load_i8 v7, v[0:1], off
	s_branch .LBB54_787
.LBB54_786:
	s_mov_b32 s0, -1
                                        ; implicit-def: $vgpr7
.LBB54_787:
	s_delay_alu instid0(SALU_CYCLE_1)
	s_and_not1_b32 vcc_lo, exec_lo, s0
	s_cbranch_vccnz .LBB54_789
; %bb.788:
	s_wait_loadcnt 0x0
	global_load_u8 v7, v[0:1], off
.LBB54_789:
	s_branch .LBB54_649
.LBB54_790:
	s_mov_b32 s0, 0
	s_mov_b32 s1, s59
	;; [unrolled: 1-line block ×10, first 2 shown]
	s_branch .LBB54_1297
.LBB54_791:
	s_mov_b32 s43, -1
	s_mov_b32 s41, 0
	s_mov_b32 s44, 0
	s_branch .LBB54_1874
.LBB54_792:
	s_mov_b32 s73, -1
	s_mov_b32 s41, 0
.LBB54_793:
                                        ; implicit-def: $vgpr8
.LBB54_794:
	s_and_b32 vcc_lo, exec_lo, s42
	s_cbranch_vccz .LBB54_798
; %bb.795:
	s_cmp_eq_u32 s1, 44
	s_cbranch_scc0 .LBB54_797
; %bb.796:
	global_load_u8 v2, v[0:1], off
	s_mov_b32 s73, 0
	s_mov_b32 s41, -1
	s_wait_loadcnt 0x0
	v_lshlrev_b32_e32 v3, 23, v2
	v_cmp_ne_u32_e32 vcc_lo, 0, v2
	s_delay_alu instid0(VALU_DEP_2) | instskip(NEXT) | instid1(VALU_DEP_1)
	v_cvt_i32_f32_e32 v3, v3
	v_cndmask_b32_e32 v8, 0, v3, vcc_lo
	s_branch .LBB54_798
.LBB54_797:
	s_mov_b32 s73, -1
                                        ; implicit-def: $vgpr8
.LBB54_798:
	s_mov_b32 s42, 0
.LBB54_799:
	s_delay_alu instid0(SALU_CYCLE_1)
	s_and_b32 vcc_lo, exec_lo, s42
	s_cbranch_vccz .LBB54_803
; %bb.800:
	s_cmp_eq_u32 s1, 29
	s_cbranch_scc0 .LBB54_802
; %bb.801:
	global_load_b32 v8, v[0:1], off
	s_mov_b32 s41, -1
	s_mov_b32 s73, 0
	s_branch .LBB54_803
.LBB54_802:
	s_mov_b32 s73, -1
                                        ; implicit-def: $vgpr8
.LBB54_803:
	s_mov_b32 s42, 0
.LBB54_804:
	s_delay_alu instid0(SALU_CYCLE_1)
	s_and_b32 vcc_lo, exec_lo, s42
	s_cbranch_vccz .LBB54_820
; %bb.805:
	s_cmp_lt_i32 s1, 27
	s_cbranch_scc1 .LBB54_808
; %bb.806:
	s_cmp_gt_i32 s1, 27
	s_cbranch_scc0 .LBB54_809
; %bb.807:
	s_wait_loadcnt 0x0
	global_load_b32 v8, v[0:1], off
	s_mov_b32 s41, 0
	s_branch .LBB54_810
.LBB54_808:
	s_mov_b32 s41, -1
                                        ; implicit-def: $vgpr8
	s_branch .LBB54_813
.LBB54_809:
	s_mov_b32 s41, -1
                                        ; implicit-def: $vgpr8
.LBB54_810:
	s_delay_alu instid0(SALU_CYCLE_1)
	s_and_not1_b32 vcc_lo, exec_lo, s41
	s_cbranch_vccnz .LBB54_812
; %bb.811:
	s_wait_loadcnt 0x0
	global_load_u16 v8, v[0:1], off
.LBB54_812:
	s_mov_b32 s41, 0
.LBB54_813:
	s_delay_alu instid0(SALU_CYCLE_1)
	s_and_not1_b32 vcc_lo, exec_lo, s41
	s_cbranch_vccnz .LBB54_819
; %bb.814:
	global_load_u8 v2, v[0:1], off
	s_mov_b32 s42, 0
	s_mov_b32 s41, exec_lo
	s_wait_loadcnt 0x0
	v_cmpx_lt_i16_e32 0x7f, v2
	s_xor_b32 s41, exec_lo, s41
	s_cbranch_execz .LBB54_831
; %bb.815:
	v_cmp_ne_u16_e32 vcc_lo, 0x80, v2
	s_and_b32 s42, vcc_lo, exec_lo
	s_and_not1_saveexec_b32 s41, s41
	s_cbranch_execnz .LBB54_832
.LBB54_816:
	s_or_b32 exec_lo, exec_lo, s41
	v_mov_b32_e32 v8, 0
	s_and_saveexec_b32 s41, s42
	s_cbranch_execz .LBB54_818
.LBB54_817:
	v_and_b32_e32 v3, 0xffff, v2
	s_delay_alu instid0(VALU_DEP_1) | instskip(SKIP_1) | instid1(VALU_DEP_2)
	v_and_b32_e32 v4, 7, v3
	v_bfe_u32 v8, v3, 3, 4
	v_clz_i32_u32_e32 v5, v4
	s_delay_alu instid0(VALU_DEP_2) | instskip(NEXT) | instid1(VALU_DEP_2)
	v_cmp_eq_u32_e32 vcc_lo, 0, v8
	v_min_u32_e32 v5, 32, v5
	s_delay_alu instid0(VALU_DEP_1) | instskip(NEXT) | instid1(VALU_DEP_1)
	v_subrev_nc_u32_e32 v6, 28, v5
	v_dual_lshlrev_b32 v3, v6, v3 :: v_dual_sub_nc_u32 v5, 29, v5
	s_delay_alu instid0(VALU_DEP_1) | instskip(NEXT) | instid1(VALU_DEP_2)
	v_dual_lshlrev_b32 v2, 24, v2 :: v_dual_bitop2_b32 v3, 7, v3 bitop3:0x40
	v_cndmask_b32_e32 v5, v8, v5, vcc_lo
	s_delay_alu instid0(VALU_DEP_2) | instskip(NEXT) | instid1(VALU_DEP_3)
	v_cndmask_b32_e32 v3, v4, v3, vcc_lo
	v_and_b32_e32 v2, 0x80000000, v2
	s_delay_alu instid0(VALU_DEP_3) | instskip(NEXT) | instid1(VALU_DEP_3)
	v_lshl_add_u32 v4, v5, 23, 0x3b800000
	v_lshlrev_b32_e32 v3, 20, v3
	s_delay_alu instid0(VALU_DEP_1) | instskip(NEXT) | instid1(VALU_DEP_1)
	v_or3_b32 v2, v2, v4, v3
	v_cvt_i32_f32_e32 v8, v2
.LBB54_818:
	s_or_b32 exec_lo, exec_lo, s41
.LBB54_819:
	s_mov_b32 s41, -1
.LBB54_820:
	s_mov_b32 s42, 0
.LBB54_821:
	s_delay_alu instid0(SALU_CYCLE_1)
	s_and_b32 vcc_lo, exec_lo, s42
	s_cbranch_vccz .LBB54_854
; %bb.822:
	s_cmp_gt_i32 s1, 22
	s_cbranch_scc0 .LBB54_830
; %bb.823:
	s_cmp_lt_i32 s1, 24
	s_cbranch_scc1 .LBB54_833
; %bb.824:
	s_cmp_gt_i32 s1, 24
	s_cbranch_scc0 .LBB54_834
; %bb.825:
	global_load_u8 v2, v[0:1], off
	s_mov_b32 s42, 0
	s_mov_b32 s41, exec_lo
	s_wait_loadcnt 0x0
	v_cmpx_lt_i16_e32 0x7f, v2
	s_xor_b32 s41, exec_lo, s41
	s_cbranch_execz .LBB54_846
; %bb.826:
	v_cmp_ne_u16_e32 vcc_lo, 0x80, v2
	s_and_b32 s42, vcc_lo, exec_lo
	s_and_not1_saveexec_b32 s41, s41
	s_cbranch_execnz .LBB54_847
.LBB54_827:
	s_or_b32 exec_lo, exec_lo, s41
	v_mov_b32_e32 v8, 0
	s_and_saveexec_b32 s41, s42
	s_cbranch_execz .LBB54_829
.LBB54_828:
	v_and_b32_e32 v3, 0xffff, v2
	s_delay_alu instid0(VALU_DEP_1) | instskip(SKIP_1) | instid1(VALU_DEP_2)
	v_and_b32_e32 v4, 3, v3
	v_bfe_u32 v8, v3, 2, 5
	v_clz_i32_u32_e32 v5, v4
	s_delay_alu instid0(VALU_DEP_2) | instskip(NEXT) | instid1(VALU_DEP_2)
	v_cmp_eq_u32_e32 vcc_lo, 0, v8
	v_min_u32_e32 v5, 32, v5
	s_delay_alu instid0(VALU_DEP_1) | instskip(NEXT) | instid1(VALU_DEP_1)
	v_subrev_nc_u32_e32 v6, 29, v5
	v_dual_lshlrev_b32 v3, v6, v3 :: v_dual_sub_nc_u32 v5, 30, v5
	s_delay_alu instid0(VALU_DEP_1) | instskip(NEXT) | instid1(VALU_DEP_2)
	v_dual_lshlrev_b32 v2, 24, v2 :: v_dual_bitop2_b32 v3, 3, v3 bitop3:0x40
	v_cndmask_b32_e32 v5, v8, v5, vcc_lo
	s_delay_alu instid0(VALU_DEP_2) | instskip(NEXT) | instid1(VALU_DEP_3)
	v_cndmask_b32_e32 v3, v4, v3, vcc_lo
	v_and_b32_e32 v2, 0x80000000, v2
	s_delay_alu instid0(VALU_DEP_3) | instskip(NEXT) | instid1(VALU_DEP_3)
	v_lshl_add_u32 v4, v5, 23, 0x37800000
	v_lshlrev_b32_e32 v3, 21, v3
	s_delay_alu instid0(VALU_DEP_1) | instskip(NEXT) | instid1(VALU_DEP_1)
	v_or3_b32 v2, v2, v4, v3
	v_cvt_i32_f32_e32 v8, v2
.LBB54_829:
	s_or_b32 exec_lo, exec_lo, s41
	s_mov_b32 s41, 0
	s_branch .LBB54_835
.LBB54_830:
	s_mov_b32 s42, -1
                                        ; implicit-def: $vgpr8
	s_branch .LBB54_841
.LBB54_831:
	s_and_not1_saveexec_b32 s41, s41
	s_cbranch_execz .LBB54_816
.LBB54_832:
	v_cmp_ne_u16_e32 vcc_lo, 0, v2
	s_and_not1_b32 s42, s42, exec_lo
	s_and_b32 s43, vcc_lo, exec_lo
	s_delay_alu instid0(SALU_CYCLE_1)
	s_or_b32 s42, s42, s43
	s_or_b32 exec_lo, exec_lo, s41
	v_mov_b32_e32 v8, 0
	s_and_saveexec_b32 s41, s42
	s_cbranch_execnz .LBB54_817
	s_branch .LBB54_818
.LBB54_833:
	s_mov_b32 s41, -1
                                        ; implicit-def: $vgpr8
	s_branch .LBB54_838
.LBB54_834:
	s_mov_b32 s41, -1
                                        ; implicit-def: $vgpr8
.LBB54_835:
	s_delay_alu instid0(SALU_CYCLE_1)
	s_and_b32 vcc_lo, exec_lo, s41
	s_cbranch_vccz .LBB54_837
; %bb.836:
	global_load_u8 v2, v[0:1], off
	s_wait_loadcnt 0x0
	v_lshlrev_b32_e32 v2, 24, v2
	s_delay_alu instid0(VALU_DEP_1) | instskip(NEXT) | instid1(VALU_DEP_1)
	v_and_b32_e32 v3, 0x7f000000, v2
	v_clz_i32_u32_e32 v4, v3
	v_cmp_ne_u32_e32 vcc_lo, 0, v3
	v_add_nc_u32_e32 v6, 0x1000000, v3
	s_delay_alu instid0(VALU_DEP_3) | instskip(NEXT) | instid1(VALU_DEP_1)
	v_min_u32_e32 v4, 32, v4
	v_sub_nc_u32_e64 v4, v4, 4 clamp
	s_delay_alu instid0(VALU_DEP_1) | instskip(NEXT) | instid1(VALU_DEP_1)
	v_dual_lshlrev_b32 v5, v4, v3 :: v_dual_lshlrev_b32 v4, 23, v4
	v_lshrrev_b32_e32 v5, 4, v5
	s_delay_alu instid0(VALU_DEP_1) | instskip(NEXT) | instid1(VALU_DEP_1)
	v_dual_sub_nc_u32 v4, v5, v4 :: v_dual_ashrrev_i32 v5, 8, v6
	v_add_nc_u32_e32 v4, 0x3c000000, v4
	s_delay_alu instid0(VALU_DEP_1) | instskip(NEXT) | instid1(VALU_DEP_1)
	v_and_or_b32 v4, 0x7f800000, v5, v4
	v_cndmask_b32_e32 v3, 0, v4, vcc_lo
	s_delay_alu instid0(VALU_DEP_1) | instskip(NEXT) | instid1(VALU_DEP_1)
	v_and_or_b32 v2, 0x80000000, v2, v3
	v_cvt_i32_f32_e32 v8, v2
.LBB54_837:
	s_mov_b32 s41, 0
.LBB54_838:
	s_delay_alu instid0(SALU_CYCLE_1)
	s_and_not1_b32 vcc_lo, exec_lo, s41
	s_cbranch_vccnz .LBB54_840
; %bb.839:
	global_load_u8 v2, v[0:1], off
	s_wait_loadcnt 0x0
	v_lshlrev_b32_e32 v3, 25, v2
	v_lshlrev_b16 v2, 8, v2
	s_delay_alu instid0(VALU_DEP_1) | instskip(SKIP_1) | instid1(VALU_DEP_2)
	v_and_or_b32 v5, 0x7f00, v2, 0.5
	v_bfe_i32 v2, v2, 0, 16
	v_dual_add_f32 v5, -0.5, v5 :: v_dual_lshrrev_b32 v4, 4, v3
	v_cmp_gt_u32_e32 vcc_lo, 0x8000000, v3
	s_delay_alu instid0(VALU_DEP_2) | instskip(NEXT) | instid1(VALU_DEP_1)
	v_or_b32_e32 v4, 0x70000000, v4
	v_mul_f32_e32 v4, 0x7800000, v4
	s_delay_alu instid0(VALU_DEP_1) | instskip(NEXT) | instid1(VALU_DEP_1)
	v_cndmask_b32_e32 v3, v4, v5, vcc_lo
	v_and_or_b32 v2, 0x80000000, v2, v3
	s_delay_alu instid0(VALU_DEP_1)
	v_cvt_i32_f32_e32 v8, v2
.LBB54_840:
	s_mov_b32 s42, 0
	s_mov_b32 s41, -1
.LBB54_841:
	s_and_not1_b32 vcc_lo, exec_lo, s42
	s_cbranch_vccnz .LBB54_854
; %bb.842:
	s_cmp_gt_i32 s1, 14
	s_cbranch_scc0 .LBB54_845
; %bb.843:
	s_cmp_eq_u32 s1, 15
	s_cbranch_scc0 .LBB54_848
; %bb.844:
	global_load_u16 v2, v[0:1], off
	s_mov_b32 s41, -1
	s_mov_b32 s73, 0
	s_wait_loadcnt 0x0
	v_lshlrev_b32_e32 v2, 16, v2
	s_delay_alu instid0(VALU_DEP_1)
	v_cvt_i32_f32_e32 v8, v2
	s_branch .LBB54_849
.LBB54_845:
	s_mov_b32 s42, -1
                                        ; implicit-def: $vgpr8
	s_branch .LBB54_850
.LBB54_846:
	s_and_not1_saveexec_b32 s41, s41
	s_cbranch_execz .LBB54_827
.LBB54_847:
	v_cmp_ne_u16_e32 vcc_lo, 0, v2
	s_and_not1_b32 s42, s42, exec_lo
	s_and_b32 s43, vcc_lo, exec_lo
	s_delay_alu instid0(SALU_CYCLE_1)
	s_or_b32 s42, s42, s43
	s_or_b32 exec_lo, exec_lo, s41
	v_mov_b32_e32 v8, 0
	s_and_saveexec_b32 s41, s42
	s_cbranch_execnz .LBB54_828
	s_branch .LBB54_829
.LBB54_848:
	s_mov_b32 s73, -1
                                        ; implicit-def: $vgpr8
.LBB54_849:
	s_mov_b32 s42, 0
.LBB54_850:
	s_delay_alu instid0(SALU_CYCLE_1)
	s_and_b32 vcc_lo, exec_lo, s42
	s_cbranch_vccz .LBB54_854
; %bb.851:
	s_cmp_eq_u32 s1, 11
	s_cbranch_scc0 .LBB54_853
; %bb.852:
	global_load_u8 v2, v[0:1], off
	s_mov_b32 s73, 0
	s_mov_b32 s41, -1
	s_wait_loadcnt 0x0
	v_cmp_ne_u16_e32 vcc_lo, 0, v2
	v_cndmask_b32_e64 v8, 0, 1, vcc_lo
	s_branch .LBB54_854
.LBB54_853:
	s_mov_b32 s73, -1
                                        ; implicit-def: $vgpr8
.LBB54_854:
	s_mov_b32 s1, 0
.LBB54_855:
	s_delay_alu instid0(SALU_CYCLE_1)
	s_and_b32 vcc_lo, exec_lo, s1
	s_cbranch_vccz .LBB54_904
; %bb.856:
	s_and_b32 s0, 0xffff, s0
	s_delay_alu instid0(SALU_CYCLE_1)
	s_cmp_lt_i32 s0, 5
	s_cbranch_scc1 .LBB54_861
; %bb.857:
	s_cmp_lt_i32 s0, 8
	s_cbranch_scc1 .LBB54_862
; %bb.858:
	;; [unrolled: 3-line block ×3, first 2 shown]
	s_cmp_gt_i32 s0, 9
	s_cbranch_scc0 .LBB54_864
; %bb.860:
	global_load_b64 v[2:3], v[0:1], off
	s_mov_b32 s1, 0
	s_wait_loadcnt 0x0
	v_cvt_i32_f64_e32 v8, v[2:3]
	s_branch .LBB54_865
.LBB54_861:
	s_mov_b32 s1, -1
                                        ; implicit-def: $vgpr8
	s_branch .LBB54_883
.LBB54_862:
	s_mov_b32 s1, -1
                                        ; implicit-def: $vgpr8
	s_branch .LBB54_871
.LBB54_863:
	s_mov_b32 s1, -1
                                        ; implicit-def: $vgpr8
	s_branch .LBB54_868
.LBB54_864:
	s_mov_b32 s1, -1
                                        ; implicit-def: $vgpr8
.LBB54_865:
	s_delay_alu instid0(SALU_CYCLE_1)
	s_and_not1_b32 vcc_lo, exec_lo, s1
	s_cbranch_vccnz .LBB54_867
; %bb.866:
	global_load_b32 v2, v[0:1], off
	s_wait_loadcnt 0x0
	v_cvt_i32_f32_e32 v8, v2
.LBB54_867:
	s_mov_b32 s1, 0
.LBB54_868:
	s_delay_alu instid0(SALU_CYCLE_1)
	s_and_not1_b32 vcc_lo, exec_lo, s1
	s_cbranch_vccnz .LBB54_870
; %bb.869:
	global_load_b32 v2, v[0:1], off
	s_wait_loadcnt 0x0
	v_cvt_f32_f16_e32 v2, v2
	s_delay_alu instid0(VALU_DEP_1)
	v_cvt_i32_f32_e32 v8, v2
.LBB54_870:
	s_mov_b32 s1, 0
.LBB54_871:
	s_delay_alu instid0(SALU_CYCLE_1)
	s_and_not1_b32 vcc_lo, exec_lo, s1
	s_cbranch_vccnz .LBB54_882
; %bb.872:
	s_cmp_lt_i32 s0, 6
	s_cbranch_scc1 .LBB54_875
; %bb.873:
	s_cmp_gt_i32 s0, 6
	s_cbranch_scc0 .LBB54_876
; %bb.874:
	global_load_b64 v[2:3], v[0:1], off
	s_mov_b32 s1, 0
	s_wait_loadcnt 0x0
	v_cvt_i32_f64_e32 v8, v[2:3]
	s_branch .LBB54_877
.LBB54_875:
	s_mov_b32 s1, -1
                                        ; implicit-def: $vgpr8
	s_branch .LBB54_880
.LBB54_876:
	s_mov_b32 s1, -1
                                        ; implicit-def: $vgpr8
.LBB54_877:
	s_delay_alu instid0(SALU_CYCLE_1)
	s_and_not1_b32 vcc_lo, exec_lo, s1
	s_cbranch_vccnz .LBB54_879
; %bb.878:
	global_load_b32 v2, v[0:1], off
	s_wait_loadcnt 0x0
	v_cvt_i32_f32_e32 v8, v2
.LBB54_879:
	s_mov_b32 s1, 0
.LBB54_880:
	s_delay_alu instid0(SALU_CYCLE_1)
	s_and_not1_b32 vcc_lo, exec_lo, s1
	s_cbranch_vccnz .LBB54_882
; %bb.881:
	global_load_u16 v2, v[0:1], off
	s_wait_loadcnt 0x0
	v_cvt_f32_f16_e32 v2, v2
	s_delay_alu instid0(VALU_DEP_1)
	v_cvt_i32_f32_e32 v8, v2
.LBB54_882:
	s_mov_b32 s1, 0
.LBB54_883:
	s_delay_alu instid0(SALU_CYCLE_1)
	s_and_not1_b32 vcc_lo, exec_lo, s1
	s_cbranch_vccnz .LBB54_903
; %bb.884:
	s_cmp_lt_i32 s0, 2
	s_cbranch_scc1 .LBB54_888
; %bb.885:
	s_cmp_lt_i32 s0, 3
	s_cbranch_scc1 .LBB54_889
; %bb.886:
	s_cmp_gt_i32 s0, 3
	s_cbranch_scc0 .LBB54_890
; %bb.887:
	s_wait_loadcnt 0x0
	global_load_b32 v8, v[0:1], off
	s_mov_b32 s1, 0
	s_branch .LBB54_891
.LBB54_888:
	s_mov_b32 s1, -1
                                        ; implicit-def: $vgpr8
	s_branch .LBB54_897
.LBB54_889:
	s_mov_b32 s1, -1
                                        ; implicit-def: $vgpr8
	s_branch .LBB54_894
.LBB54_890:
	s_mov_b32 s1, -1
                                        ; implicit-def: $vgpr8
.LBB54_891:
	s_delay_alu instid0(SALU_CYCLE_1)
	s_and_not1_b32 vcc_lo, exec_lo, s1
	s_cbranch_vccnz .LBB54_893
; %bb.892:
	s_wait_loadcnt 0x0
	global_load_b32 v8, v[0:1], off
.LBB54_893:
	s_mov_b32 s1, 0
.LBB54_894:
	s_delay_alu instid0(SALU_CYCLE_1)
	s_and_not1_b32 vcc_lo, exec_lo, s1
	s_cbranch_vccnz .LBB54_896
; %bb.895:
	s_wait_loadcnt 0x0
	global_load_i16 v8, v[0:1], off
.LBB54_896:
	s_mov_b32 s1, 0
.LBB54_897:
	s_delay_alu instid0(SALU_CYCLE_1)
	s_and_not1_b32 vcc_lo, exec_lo, s1
	s_cbranch_vccnz .LBB54_903
; %bb.898:
	s_cmp_gt_i32 s0, 0
	s_mov_b32 s0, 0
	s_cbranch_scc0 .LBB54_900
; %bb.899:
	s_wait_loadcnt 0x0
	global_load_i8 v8, v[0:1], off
	s_branch .LBB54_901
.LBB54_900:
	s_mov_b32 s0, -1
                                        ; implicit-def: $vgpr8
.LBB54_901:
	s_delay_alu instid0(SALU_CYCLE_1)
	s_and_not1_b32 vcc_lo, exec_lo, s0
	s_cbranch_vccnz .LBB54_903
; %bb.902:
	s_wait_loadcnt 0x0
	global_load_u8 v8, v[0:1], off
.LBB54_903:
	s_mov_b32 s41, -1
.LBB54_904:
	s_delay_alu instid0(SALU_CYCLE_1)
	s_and_not1_b32 vcc_lo, exec_lo, s41
	s_cbranch_vccnz .LBB54_912
; %bb.905:
	s_wait_xcnt 0x0
	v_mul_lo_u32 v0, v22, s19
	s_and_b32 s0, s34, 0xff
	s_delay_alu instid0(SALU_CYCLE_1) | instskip(NEXT) | instid1(VALU_DEP_1)
	s_cmp_lt_i32 s0, 11
	v_ashrrev_i32_e32 v1, 31, v0
	s_delay_alu instid0(VALU_DEP_1)
	v_add_nc_u64_e32 v[2:3], s[10:11], v[0:1]
	s_cbranch_scc1 .LBB54_913
; %bb.906:
	s_and_b32 s1, 0xffff, s0
	s_delay_alu instid0(SALU_CYCLE_1)
	s_cmp_gt_i32 s1, 25
	s_cbranch_scc0 .LBB54_914
; %bb.907:
	s_cmp_gt_i32 s1, 28
	s_cbranch_scc0 .LBB54_915
; %bb.908:
	;; [unrolled: 3-line block ×4, first 2 shown]
	s_cmp_eq_u32 s1, 46
	s_mov_b32 s42, 0
	s_cbranch_scc0 .LBB54_919
; %bb.911:
	global_load_b32 v0, v[2:3], off
	s_mov_b32 s41, -1
	s_mov_b32 s72, 0
	s_wait_loadcnt 0x0
	v_lshlrev_b32_e32 v0, 16, v0
	s_delay_alu instid0(VALU_DEP_1)
	v_cvt_i32_f32_e32 v0, v0
	s_branch .LBB54_921
.LBB54_912:
	s_mov_b32 s0, 0
	s_mov_b32 s1, s59
	;; [unrolled: 1-line block ×9, first 2 shown]
	s_branch .LBB54_1297
.LBB54_913:
	s_mov_b32 s1, -1
	s_mov_b32 s41, 0
	s_mov_b32 s72, s67
                                        ; implicit-def: $vgpr0
	s_branch .LBB54_982
.LBB54_914:
	s_mov_b32 s42, -1
	s_mov_b32 s41, 0
	s_mov_b32 s72, s67
                                        ; implicit-def: $vgpr0
	s_branch .LBB54_948
.LBB54_915:
	s_mov_b32 s42, -1
	s_mov_b32 s41, 0
	s_mov_b32 s72, s67
                                        ; implicit-def: $vgpr0
	s_branch .LBB54_931
.LBB54_916:
	s_mov_b32 s42, -1
	s_mov_b32 s41, 0
	s_mov_b32 s72, s67
                                        ; implicit-def: $vgpr0
	s_branch .LBB54_926
.LBB54_917:
	s_mov_b32 s42, -1
	s_mov_b32 s41, 0
	s_mov_b32 s72, s67
	s_branch .LBB54_920
.LBB54_918:
	s_mov_b32 s45, -1
	s_mov_b32 s41, 0
	s_mov_b32 s44, 0
	s_branch .LBB54_1854
.LBB54_919:
	s_mov_b32 s72, -1
	s_mov_b32 s41, 0
.LBB54_920:
                                        ; implicit-def: $vgpr0
.LBB54_921:
	s_and_b32 vcc_lo, exec_lo, s42
	s_cbranch_vccz .LBB54_925
; %bb.922:
	s_cmp_eq_u32 s1, 44
	s_cbranch_scc0 .LBB54_924
; %bb.923:
	global_load_u8 v0, v[2:3], off
	s_mov_b32 s72, 0
	s_mov_b32 s41, -1
	s_wait_loadcnt 0x0
	v_lshlrev_b32_e32 v1, 23, v0
	v_cmp_ne_u32_e32 vcc_lo, 0, v0
	s_delay_alu instid0(VALU_DEP_2) | instskip(NEXT) | instid1(VALU_DEP_1)
	v_cvt_i32_f32_e32 v1, v1
	v_cndmask_b32_e32 v0, 0, v1, vcc_lo
	s_branch .LBB54_925
.LBB54_924:
	s_mov_b32 s72, -1
                                        ; implicit-def: $vgpr0
.LBB54_925:
	s_mov_b32 s42, 0
.LBB54_926:
	s_delay_alu instid0(SALU_CYCLE_1)
	s_and_b32 vcc_lo, exec_lo, s42
	s_cbranch_vccz .LBB54_930
; %bb.927:
	s_cmp_eq_u32 s1, 29
	s_cbranch_scc0 .LBB54_929
; %bb.928:
	global_load_b32 v0, v[2:3], off
	s_mov_b32 s41, -1
	s_mov_b32 s72, 0
	s_branch .LBB54_930
.LBB54_929:
	s_mov_b32 s72, -1
                                        ; implicit-def: $vgpr0
.LBB54_930:
	s_mov_b32 s42, 0
.LBB54_931:
	s_delay_alu instid0(SALU_CYCLE_1)
	s_and_b32 vcc_lo, exec_lo, s42
	s_cbranch_vccz .LBB54_947
; %bb.932:
	s_cmp_lt_i32 s1, 27
	s_cbranch_scc1 .LBB54_935
; %bb.933:
	s_cmp_gt_i32 s1, 27
	s_cbranch_scc0 .LBB54_936
; %bb.934:
	s_wait_loadcnt 0x0
	global_load_b32 v0, v[2:3], off
	s_mov_b32 s41, 0
	s_branch .LBB54_937
.LBB54_935:
	s_mov_b32 s41, -1
                                        ; implicit-def: $vgpr0
	s_branch .LBB54_940
.LBB54_936:
	s_mov_b32 s41, -1
                                        ; implicit-def: $vgpr0
.LBB54_937:
	s_delay_alu instid0(SALU_CYCLE_1)
	s_and_not1_b32 vcc_lo, exec_lo, s41
	s_cbranch_vccnz .LBB54_939
; %bb.938:
	s_wait_loadcnt 0x0
	global_load_u16 v0, v[2:3], off
.LBB54_939:
	s_mov_b32 s41, 0
.LBB54_940:
	s_delay_alu instid0(SALU_CYCLE_1)
	s_and_not1_b32 vcc_lo, exec_lo, s41
	s_cbranch_vccnz .LBB54_946
; %bb.941:
	global_load_u8 v1, v[2:3], off
	s_mov_b32 s42, 0
	s_mov_b32 s41, exec_lo
	s_wait_loadcnt 0x0
	v_cmpx_lt_i16_e32 0x7f, v1
	s_xor_b32 s41, exec_lo, s41
	s_cbranch_execz .LBB54_958
; %bb.942:
	v_cmp_ne_u16_e32 vcc_lo, 0x80, v1
	s_and_b32 s42, vcc_lo, exec_lo
	s_and_not1_saveexec_b32 s41, s41
	s_cbranch_execnz .LBB54_959
.LBB54_943:
	s_or_b32 exec_lo, exec_lo, s41
	v_mov_b32_e32 v0, 0
	s_and_saveexec_b32 s41, s42
	s_cbranch_execz .LBB54_945
.LBB54_944:
	v_and_b32_e32 v0, 0xffff, v1
	s_delay_alu instid0(VALU_DEP_1) | instskip(SKIP_1) | instid1(VALU_DEP_2)
	v_and_b32_e32 v4, 7, v0
	v_bfe_u32 v9, v0, 3, 4
	v_clz_i32_u32_e32 v5, v4
	s_delay_alu instid0(VALU_DEP_2) | instskip(NEXT) | instid1(VALU_DEP_2)
	v_cmp_eq_u32_e32 vcc_lo, 0, v9
	v_min_u32_e32 v5, 32, v5
	s_delay_alu instid0(VALU_DEP_1) | instskip(NEXT) | instid1(VALU_DEP_1)
	v_subrev_nc_u32_e32 v6, 28, v5
	v_dual_lshlrev_b32 v0, v6, v0 :: v_dual_sub_nc_u32 v5, 29, v5
	s_delay_alu instid0(VALU_DEP_1) | instskip(NEXT) | instid1(VALU_DEP_1)
	v_dual_lshlrev_b32 v1, 24, v1 :: v_dual_bitop2_b32 v0, 7, v0 bitop3:0x40
	v_dual_cndmask_b32 v0, v4, v0 :: v_dual_cndmask_b32 v5, v9, v5
	s_delay_alu instid0(VALU_DEP_2) | instskip(NEXT) | instid1(VALU_DEP_2)
	v_and_b32_e32 v1, 0x80000000, v1
	v_lshlrev_b32_e32 v0, 20, v0
	s_delay_alu instid0(VALU_DEP_3) | instskip(NEXT) | instid1(VALU_DEP_1)
	v_lshl_add_u32 v4, v5, 23, 0x3b800000
	v_or3_b32 v0, v1, v4, v0
	s_delay_alu instid0(VALU_DEP_1)
	v_cvt_i32_f32_e32 v0, v0
.LBB54_945:
	s_or_b32 exec_lo, exec_lo, s41
.LBB54_946:
	s_mov_b32 s41, -1
.LBB54_947:
	s_mov_b32 s42, 0
.LBB54_948:
	s_delay_alu instid0(SALU_CYCLE_1)
	s_and_b32 vcc_lo, exec_lo, s42
	s_cbranch_vccz .LBB54_981
; %bb.949:
	s_cmp_gt_i32 s1, 22
	s_cbranch_scc0 .LBB54_957
; %bb.950:
	s_cmp_lt_i32 s1, 24
	s_cbranch_scc1 .LBB54_960
; %bb.951:
	s_cmp_gt_i32 s1, 24
	s_cbranch_scc0 .LBB54_961
; %bb.952:
	global_load_u8 v1, v[2:3], off
	s_mov_b32 s42, 0
	s_mov_b32 s41, exec_lo
	s_wait_loadcnt 0x0
	v_cmpx_lt_i16_e32 0x7f, v1
	s_xor_b32 s41, exec_lo, s41
	s_cbranch_execz .LBB54_973
; %bb.953:
	v_cmp_ne_u16_e32 vcc_lo, 0x80, v1
	s_and_b32 s42, vcc_lo, exec_lo
	s_and_not1_saveexec_b32 s41, s41
	s_cbranch_execnz .LBB54_974
.LBB54_954:
	s_or_b32 exec_lo, exec_lo, s41
	v_mov_b32_e32 v0, 0
	s_and_saveexec_b32 s41, s42
	s_cbranch_execz .LBB54_956
.LBB54_955:
	v_and_b32_e32 v0, 0xffff, v1
	s_delay_alu instid0(VALU_DEP_1) | instskip(SKIP_1) | instid1(VALU_DEP_2)
	v_and_b32_e32 v4, 3, v0
	v_bfe_u32 v9, v0, 2, 5
	v_clz_i32_u32_e32 v5, v4
	s_delay_alu instid0(VALU_DEP_2) | instskip(NEXT) | instid1(VALU_DEP_2)
	v_cmp_eq_u32_e32 vcc_lo, 0, v9
	v_min_u32_e32 v5, 32, v5
	s_delay_alu instid0(VALU_DEP_1) | instskip(NEXT) | instid1(VALU_DEP_1)
	v_subrev_nc_u32_e32 v6, 29, v5
	v_dual_lshlrev_b32 v0, v6, v0 :: v_dual_sub_nc_u32 v5, 30, v5
	s_delay_alu instid0(VALU_DEP_1) | instskip(NEXT) | instid1(VALU_DEP_1)
	v_dual_lshlrev_b32 v1, 24, v1 :: v_dual_bitop2_b32 v0, 3, v0 bitop3:0x40
	v_dual_cndmask_b32 v0, v4, v0 :: v_dual_cndmask_b32 v5, v9, v5
	s_delay_alu instid0(VALU_DEP_2) | instskip(NEXT) | instid1(VALU_DEP_2)
	v_and_b32_e32 v1, 0x80000000, v1
	v_lshlrev_b32_e32 v0, 21, v0
	s_delay_alu instid0(VALU_DEP_3) | instskip(NEXT) | instid1(VALU_DEP_1)
	v_lshl_add_u32 v4, v5, 23, 0x37800000
	v_or3_b32 v0, v1, v4, v0
	s_delay_alu instid0(VALU_DEP_1)
	v_cvt_i32_f32_e32 v0, v0
.LBB54_956:
	s_or_b32 exec_lo, exec_lo, s41
	s_mov_b32 s41, 0
	s_branch .LBB54_962
.LBB54_957:
	s_mov_b32 s42, -1
                                        ; implicit-def: $vgpr0
	s_branch .LBB54_968
.LBB54_958:
	s_and_not1_saveexec_b32 s41, s41
	s_cbranch_execz .LBB54_943
.LBB54_959:
	v_cmp_ne_u16_e32 vcc_lo, 0, v1
	s_and_not1_b32 s42, s42, exec_lo
	s_and_b32 s43, vcc_lo, exec_lo
	s_delay_alu instid0(SALU_CYCLE_1)
	s_or_b32 s42, s42, s43
	s_or_b32 exec_lo, exec_lo, s41
	v_mov_b32_e32 v0, 0
	s_and_saveexec_b32 s41, s42
	s_cbranch_execnz .LBB54_944
	s_branch .LBB54_945
.LBB54_960:
	s_mov_b32 s41, -1
                                        ; implicit-def: $vgpr0
	s_branch .LBB54_965
.LBB54_961:
	s_mov_b32 s41, -1
                                        ; implicit-def: $vgpr0
.LBB54_962:
	s_delay_alu instid0(SALU_CYCLE_1)
	s_and_b32 vcc_lo, exec_lo, s41
	s_cbranch_vccz .LBB54_964
; %bb.963:
	s_wait_loadcnt 0x0
	global_load_u8 v0, v[2:3], off
	s_wait_loadcnt 0x0
	v_lshlrev_b32_e32 v0, 24, v0
	s_delay_alu instid0(VALU_DEP_1) | instskip(NEXT) | instid1(VALU_DEP_1)
	v_and_b32_e32 v1, 0x7f000000, v0
	v_clz_i32_u32_e32 v4, v1
	v_cmp_ne_u32_e32 vcc_lo, 0, v1
	v_add_nc_u32_e32 v6, 0x1000000, v1
	s_delay_alu instid0(VALU_DEP_3) | instskip(NEXT) | instid1(VALU_DEP_1)
	v_min_u32_e32 v4, 32, v4
	v_sub_nc_u32_e64 v4, v4, 4 clamp
	s_delay_alu instid0(VALU_DEP_1) | instskip(NEXT) | instid1(VALU_DEP_1)
	v_dual_lshlrev_b32 v5, v4, v1 :: v_dual_lshlrev_b32 v4, 23, v4
	v_lshrrev_b32_e32 v5, 4, v5
	s_delay_alu instid0(VALU_DEP_1) | instskip(NEXT) | instid1(VALU_DEP_1)
	v_dual_sub_nc_u32 v4, v5, v4 :: v_dual_ashrrev_i32 v5, 8, v6
	v_add_nc_u32_e32 v4, 0x3c000000, v4
	s_delay_alu instid0(VALU_DEP_1) | instskip(NEXT) | instid1(VALU_DEP_1)
	v_and_or_b32 v4, 0x7f800000, v5, v4
	v_cndmask_b32_e32 v1, 0, v4, vcc_lo
	s_delay_alu instid0(VALU_DEP_1) | instskip(NEXT) | instid1(VALU_DEP_1)
	v_and_or_b32 v0, 0x80000000, v0, v1
	v_cvt_i32_f32_e32 v0, v0
.LBB54_964:
	s_mov_b32 s41, 0
.LBB54_965:
	s_delay_alu instid0(SALU_CYCLE_1)
	s_and_not1_b32 vcc_lo, exec_lo, s41
	s_cbranch_vccnz .LBB54_967
; %bb.966:
	s_wait_loadcnt 0x0
	global_load_u8 v0, v[2:3], off
	s_wait_loadcnt 0x0
	v_lshlrev_b32_e32 v1, 25, v0
	v_lshlrev_b16 v0, 8, v0
	s_delay_alu instid0(VALU_DEP_1) | instskip(SKIP_1) | instid1(VALU_DEP_2)
	v_and_or_b32 v5, 0x7f00, v0, 0.5
	v_bfe_i32 v0, v0, 0, 16
	v_add_f32_e32 v5, -0.5, v5
	v_lshrrev_b32_e32 v4, 4, v1
	v_cmp_gt_u32_e32 vcc_lo, 0x8000000, v1
	s_delay_alu instid0(VALU_DEP_2) | instskip(NEXT) | instid1(VALU_DEP_1)
	v_or_b32_e32 v4, 0x70000000, v4
	v_mul_f32_e32 v4, 0x7800000, v4
	s_delay_alu instid0(VALU_DEP_1) | instskip(NEXT) | instid1(VALU_DEP_1)
	v_cndmask_b32_e32 v1, v4, v5, vcc_lo
	v_and_or_b32 v0, 0x80000000, v0, v1
	s_delay_alu instid0(VALU_DEP_1)
	v_cvt_i32_f32_e32 v0, v0
.LBB54_967:
	s_mov_b32 s42, 0
	s_mov_b32 s41, -1
.LBB54_968:
	s_and_not1_b32 vcc_lo, exec_lo, s42
	s_cbranch_vccnz .LBB54_981
; %bb.969:
	s_cmp_gt_i32 s1, 14
	s_cbranch_scc0 .LBB54_972
; %bb.970:
	s_cmp_eq_u32 s1, 15
	s_cbranch_scc0 .LBB54_975
; %bb.971:
	s_wait_loadcnt 0x0
	global_load_u16 v0, v[2:3], off
	s_mov_b32 s41, -1
	s_mov_b32 s72, 0
	s_wait_loadcnt 0x0
	v_lshlrev_b32_e32 v0, 16, v0
	s_delay_alu instid0(VALU_DEP_1)
	v_cvt_i32_f32_e32 v0, v0
	s_branch .LBB54_976
.LBB54_972:
	s_mov_b32 s42, -1
                                        ; implicit-def: $vgpr0
	s_branch .LBB54_977
.LBB54_973:
	s_and_not1_saveexec_b32 s41, s41
	s_cbranch_execz .LBB54_954
.LBB54_974:
	v_cmp_ne_u16_e32 vcc_lo, 0, v1
	s_and_not1_b32 s42, s42, exec_lo
	s_and_b32 s43, vcc_lo, exec_lo
	s_delay_alu instid0(SALU_CYCLE_1)
	s_or_b32 s42, s42, s43
	s_or_b32 exec_lo, exec_lo, s41
	v_mov_b32_e32 v0, 0
	s_and_saveexec_b32 s41, s42
	s_cbranch_execnz .LBB54_955
	s_branch .LBB54_956
.LBB54_975:
	s_mov_b32 s72, -1
                                        ; implicit-def: $vgpr0
.LBB54_976:
	s_mov_b32 s42, 0
.LBB54_977:
	s_delay_alu instid0(SALU_CYCLE_1)
	s_and_b32 vcc_lo, exec_lo, s42
	s_cbranch_vccz .LBB54_981
; %bb.978:
	s_cmp_eq_u32 s1, 11
	s_cbranch_scc0 .LBB54_980
; %bb.979:
	s_wait_loadcnt 0x0
	global_load_u8 v0, v[2:3], off
	s_mov_b32 s72, 0
	s_mov_b32 s41, -1
	s_wait_loadcnt 0x0
	v_cmp_ne_u16_e32 vcc_lo, 0, v0
	v_cndmask_b32_e64 v0, 0, 1, vcc_lo
	s_branch .LBB54_981
.LBB54_980:
	s_mov_b32 s72, -1
                                        ; implicit-def: $vgpr0
.LBB54_981:
	s_mov_b32 s1, 0
.LBB54_982:
	s_delay_alu instid0(SALU_CYCLE_1)
	s_and_b32 vcc_lo, exec_lo, s1
	s_cbranch_vccz .LBB54_1031
; %bb.983:
	s_and_b32 s0, 0xffff, s0
	s_delay_alu instid0(SALU_CYCLE_1)
	s_cmp_lt_i32 s0, 5
	s_cbranch_scc1 .LBB54_988
; %bb.984:
	s_cmp_lt_i32 s0, 8
	s_cbranch_scc1 .LBB54_989
; %bb.985:
	;; [unrolled: 3-line block ×3, first 2 shown]
	s_cmp_gt_i32 s0, 9
	s_cbranch_scc0 .LBB54_991
; %bb.987:
	s_wait_loadcnt 0x0
	global_load_b64 v[0:1], v[2:3], off
	s_mov_b32 s1, 0
	s_wait_loadcnt 0x0
	v_cvt_i32_f64_e32 v0, v[0:1]
	s_branch .LBB54_992
.LBB54_988:
	s_mov_b32 s1, -1
                                        ; implicit-def: $vgpr0
	s_branch .LBB54_1010
.LBB54_989:
	s_mov_b32 s1, -1
                                        ; implicit-def: $vgpr0
	s_branch .LBB54_998
.LBB54_990:
	s_mov_b32 s1, -1
                                        ; implicit-def: $vgpr0
	s_branch .LBB54_995
.LBB54_991:
	s_mov_b32 s1, -1
                                        ; implicit-def: $vgpr0
.LBB54_992:
	s_delay_alu instid0(SALU_CYCLE_1)
	s_and_not1_b32 vcc_lo, exec_lo, s1
	s_cbranch_vccnz .LBB54_994
; %bb.993:
	s_wait_loadcnt 0x0
	global_load_b32 v0, v[2:3], off
	s_wait_loadcnt 0x0
	v_cvt_i32_f32_e32 v0, v0
.LBB54_994:
	s_mov_b32 s1, 0
.LBB54_995:
	s_delay_alu instid0(SALU_CYCLE_1)
	s_and_not1_b32 vcc_lo, exec_lo, s1
	s_cbranch_vccnz .LBB54_997
; %bb.996:
	s_wait_loadcnt 0x0
	global_load_b32 v0, v[2:3], off
	s_wait_loadcnt 0x0
	v_cvt_f32_f16_e32 v0, v0
	s_delay_alu instid0(VALU_DEP_1)
	v_cvt_i32_f32_e32 v0, v0
.LBB54_997:
	s_mov_b32 s1, 0
.LBB54_998:
	s_delay_alu instid0(SALU_CYCLE_1)
	s_and_not1_b32 vcc_lo, exec_lo, s1
	s_cbranch_vccnz .LBB54_1009
; %bb.999:
	s_cmp_lt_i32 s0, 6
	s_cbranch_scc1 .LBB54_1002
; %bb.1000:
	s_cmp_gt_i32 s0, 6
	s_cbranch_scc0 .LBB54_1003
; %bb.1001:
	s_wait_loadcnt 0x0
	global_load_b64 v[0:1], v[2:3], off
	s_mov_b32 s1, 0
	s_wait_loadcnt 0x0
	v_cvt_i32_f64_e32 v0, v[0:1]
	s_branch .LBB54_1004
.LBB54_1002:
	s_mov_b32 s1, -1
                                        ; implicit-def: $vgpr0
	s_branch .LBB54_1007
.LBB54_1003:
	s_mov_b32 s1, -1
                                        ; implicit-def: $vgpr0
.LBB54_1004:
	s_delay_alu instid0(SALU_CYCLE_1)
	s_and_not1_b32 vcc_lo, exec_lo, s1
	s_cbranch_vccnz .LBB54_1006
; %bb.1005:
	s_wait_loadcnt 0x0
	global_load_b32 v0, v[2:3], off
	s_wait_loadcnt 0x0
	v_cvt_i32_f32_e32 v0, v0
.LBB54_1006:
	s_mov_b32 s1, 0
.LBB54_1007:
	s_delay_alu instid0(SALU_CYCLE_1)
	s_and_not1_b32 vcc_lo, exec_lo, s1
	s_cbranch_vccnz .LBB54_1009
; %bb.1008:
	s_wait_loadcnt 0x0
	global_load_u16 v0, v[2:3], off
	s_wait_loadcnt 0x0
	v_cvt_f32_f16_e32 v0, v0
	s_delay_alu instid0(VALU_DEP_1)
	v_cvt_i32_f32_e32 v0, v0
.LBB54_1009:
	s_mov_b32 s1, 0
.LBB54_1010:
	s_delay_alu instid0(SALU_CYCLE_1)
	s_and_not1_b32 vcc_lo, exec_lo, s1
	s_cbranch_vccnz .LBB54_1030
; %bb.1011:
	s_cmp_lt_i32 s0, 2
	s_cbranch_scc1 .LBB54_1015
; %bb.1012:
	s_cmp_lt_i32 s0, 3
	s_cbranch_scc1 .LBB54_1016
; %bb.1013:
	s_cmp_gt_i32 s0, 3
	s_cbranch_scc0 .LBB54_1017
; %bb.1014:
	s_wait_loadcnt 0x0
	global_load_b32 v0, v[2:3], off
	s_mov_b32 s1, 0
	s_branch .LBB54_1018
.LBB54_1015:
	s_mov_b32 s1, -1
                                        ; implicit-def: $vgpr0
	s_branch .LBB54_1024
.LBB54_1016:
	s_mov_b32 s1, -1
                                        ; implicit-def: $vgpr0
	s_branch .LBB54_1021
.LBB54_1017:
	s_mov_b32 s1, -1
                                        ; implicit-def: $vgpr0
.LBB54_1018:
	s_delay_alu instid0(SALU_CYCLE_1)
	s_and_not1_b32 vcc_lo, exec_lo, s1
	s_cbranch_vccnz .LBB54_1020
; %bb.1019:
	s_wait_loadcnt 0x0
	global_load_b32 v0, v[2:3], off
.LBB54_1020:
	s_mov_b32 s1, 0
.LBB54_1021:
	s_delay_alu instid0(SALU_CYCLE_1)
	s_and_not1_b32 vcc_lo, exec_lo, s1
	s_cbranch_vccnz .LBB54_1023
; %bb.1022:
	s_wait_loadcnt 0x0
	global_load_i16 v0, v[2:3], off
.LBB54_1023:
	s_mov_b32 s1, 0
.LBB54_1024:
	s_delay_alu instid0(SALU_CYCLE_1)
	s_and_not1_b32 vcc_lo, exec_lo, s1
	s_cbranch_vccnz .LBB54_1030
; %bb.1025:
	s_cmp_gt_i32 s0, 0
	s_mov_b32 s0, 0
	s_cbranch_scc0 .LBB54_1027
; %bb.1026:
	s_wait_loadcnt 0x0
	global_load_i8 v0, v[2:3], off
	s_branch .LBB54_1028
.LBB54_1027:
	s_mov_b32 s0, -1
                                        ; implicit-def: $vgpr0
.LBB54_1028:
	s_delay_alu instid0(SALU_CYCLE_1)
	s_and_not1_b32 vcc_lo, exec_lo, s0
	s_cbranch_vccnz .LBB54_1030
; %bb.1029:
	s_wait_loadcnt 0x0
	global_load_u8 v0, v[2:3], off
.LBB54_1030:
	s_mov_b32 s41, -1
.LBB54_1031:
	s_delay_alu instid0(SALU_CYCLE_1)
	s_and_not1_b32 vcc_lo, exec_lo, s41
	s_cbranch_vccnz .LBB54_1039
; %bb.1032:
	s_wait_xcnt 0x0
	v_mul_lo_u32 v2, v22, s36
	s_and_b32 s0, s3, 0xff
	s_delay_alu instid0(SALU_CYCLE_1) | instskip(NEXT) | instid1(VALU_DEP_1)
	s_cmp_lt_i32 s0, 11
	v_ashrrev_i32_e32 v3, 31, v2
	s_delay_alu instid0(VALU_DEP_1)
	v_add_nc_u64_e32 v[4:5], s[12:13], v[2:3]
	s_cbranch_scc1 .LBB54_1040
; %bb.1033:
	s_and_b32 s1, 0xffff, s0
	s_delay_alu instid0(SALU_CYCLE_1)
	s_cmp_gt_i32 s1, 25
	s_cbranch_scc0 .LBB54_1041
; %bb.1034:
	s_cmp_gt_i32 s1, 28
	s_cbranch_scc0 .LBB54_1042
; %bb.1035:
	;; [unrolled: 3-line block ×4, first 2 shown]
	s_cmp_eq_u32 s1, 46
	s_mov_b32 s42, 0
	s_cbranch_scc0 .LBB54_1046
; %bb.1038:
	global_load_b32 v1, v[4:5], off
	s_mov_b32 s41, -1
	s_mov_b32 s75, 0
	s_wait_loadcnt 0x0
	v_lshlrev_b32_e32 v1, 16, v1
	s_delay_alu instid0(VALU_DEP_1)
	v_cvt_i32_f32_e32 v2, v1
	s_branch .LBB54_1048
.LBB54_1039:
	s_mov_b32 s0, 0
	s_mov_b32 s1, s59
	;; [unrolled: 1-line block ×8, first 2 shown]
	s_branch .LBB54_1297
.LBB54_1040:
	s_mov_b32 s1, -1
	s_mov_b32 s41, 0
	s_mov_b32 s75, s66
                                        ; implicit-def: $vgpr2
	s_branch .LBB54_1109
.LBB54_1041:
	s_mov_b32 s42, -1
	s_mov_b32 s41, 0
	s_mov_b32 s75, s66
                                        ; implicit-def: $vgpr2
	s_branch .LBB54_1075
.LBB54_1042:
	s_mov_b32 s42, -1
	s_mov_b32 s41, 0
	s_mov_b32 s75, s66
                                        ; implicit-def: $vgpr2
	s_branch .LBB54_1058
.LBB54_1043:
	s_mov_b32 s42, -1
	s_mov_b32 s41, 0
	s_mov_b32 s75, s66
                                        ; implicit-def: $vgpr2
	s_branch .LBB54_1053
.LBB54_1044:
	s_mov_b32 s42, -1
	s_mov_b32 s41, 0
	s_mov_b32 s75, s66
	s_branch .LBB54_1047
.LBB54_1045:
	s_mov_b32 s45, -1
	s_mov_b32 s41, 0
	s_mov_b32 s44, 0
	s_branch .LBB54_1843
.LBB54_1046:
	s_mov_b32 s75, -1
	s_mov_b32 s41, 0
.LBB54_1047:
                                        ; implicit-def: $vgpr2
.LBB54_1048:
	s_and_b32 vcc_lo, exec_lo, s42
	s_cbranch_vccz .LBB54_1052
; %bb.1049:
	s_cmp_eq_u32 s1, 44
	s_cbranch_scc0 .LBB54_1051
; %bb.1050:
	global_load_u8 v1, v[4:5], off
	s_mov_b32 s75, 0
	s_mov_b32 s41, -1
	s_wait_loadcnt 0x0
	v_lshlrev_b32_e32 v2, 23, v1
	v_cmp_ne_u32_e32 vcc_lo, 0, v1
	s_delay_alu instid0(VALU_DEP_2) | instskip(NEXT) | instid1(VALU_DEP_1)
	v_cvt_i32_f32_e32 v2, v2
	v_cndmask_b32_e32 v2, 0, v2, vcc_lo
	s_branch .LBB54_1052
.LBB54_1051:
	s_mov_b32 s75, -1
                                        ; implicit-def: $vgpr2
.LBB54_1052:
	s_mov_b32 s42, 0
.LBB54_1053:
	s_delay_alu instid0(SALU_CYCLE_1)
	s_and_b32 vcc_lo, exec_lo, s42
	s_cbranch_vccz .LBB54_1057
; %bb.1054:
	s_cmp_eq_u32 s1, 29
	s_cbranch_scc0 .LBB54_1056
; %bb.1055:
	global_load_b32 v2, v[4:5], off
	s_mov_b32 s41, -1
	s_mov_b32 s75, 0
	s_branch .LBB54_1057
.LBB54_1056:
	s_mov_b32 s75, -1
                                        ; implicit-def: $vgpr2
.LBB54_1057:
	s_mov_b32 s42, 0
.LBB54_1058:
	s_delay_alu instid0(SALU_CYCLE_1)
	s_and_b32 vcc_lo, exec_lo, s42
	s_cbranch_vccz .LBB54_1074
; %bb.1059:
	s_cmp_lt_i32 s1, 27
	s_cbranch_scc1 .LBB54_1062
; %bb.1060:
	s_cmp_gt_i32 s1, 27
	s_cbranch_scc0 .LBB54_1063
; %bb.1061:
	s_wait_loadcnt 0x0
	global_load_b32 v2, v[4:5], off
	s_mov_b32 s41, 0
	s_branch .LBB54_1064
.LBB54_1062:
	s_mov_b32 s41, -1
                                        ; implicit-def: $vgpr2
	s_branch .LBB54_1067
.LBB54_1063:
	s_mov_b32 s41, -1
                                        ; implicit-def: $vgpr2
.LBB54_1064:
	s_delay_alu instid0(SALU_CYCLE_1)
	s_and_not1_b32 vcc_lo, exec_lo, s41
	s_cbranch_vccnz .LBB54_1066
; %bb.1065:
	s_wait_loadcnt 0x0
	global_load_u16 v2, v[4:5], off
.LBB54_1066:
	s_mov_b32 s41, 0
.LBB54_1067:
	s_delay_alu instid0(SALU_CYCLE_1)
	s_and_not1_b32 vcc_lo, exec_lo, s41
	s_cbranch_vccnz .LBB54_1073
; %bb.1068:
	global_load_u8 v1, v[4:5], off
	s_mov_b32 s42, 0
	s_mov_b32 s41, exec_lo
	s_wait_loadcnt 0x0
	v_cmpx_lt_i16_e32 0x7f, v1
	s_xor_b32 s41, exec_lo, s41
	s_cbranch_execz .LBB54_1085
; %bb.1069:
	v_cmp_ne_u16_e32 vcc_lo, 0x80, v1
	s_and_b32 s42, vcc_lo, exec_lo
	s_and_not1_saveexec_b32 s41, s41
	s_cbranch_execnz .LBB54_1086
.LBB54_1070:
	s_or_b32 exec_lo, exec_lo, s41
	v_mov_b32_e32 v2, 0
	s_and_saveexec_b32 s41, s42
	s_cbranch_execz .LBB54_1072
.LBB54_1071:
	v_and_b32_e32 v2, 0xffff, v1
	s_delay_alu instid0(VALU_DEP_1) | instskip(SKIP_1) | instid1(VALU_DEP_2)
	v_dual_lshlrev_b32 v1, 24, v1 :: v_dual_bitop2_b32 v3, 7, v2 bitop3:0x40
	v_bfe_u32 v10, v2, 3, 4
	v_and_b32_e32 v1, 0x80000000, v1
	s_delay_alu instid0(VALU_DEP_3) | instskip(NEXT) | instid1(VALU_DEP_3)
	v_clz_i32_u32_e32 v6, v3
	v_cmp_eq_u32_e32 vcc_lo, 0, v10
	s_delay_alu instid0(VALU_DEP_2) | instskip(NEXT) | instid1(VALU_DEP_1)
	v_min_u32_e32 v6, 32, v6
	v_subrev_nc_u32_e32 v9, 28, v6
	v_sub_nc_u32_e32 v6, 29, v6
	s_delay_alu instid0(VALU_DEP_2) | instskip(NEXT) | instid1(VALU_DEP_2)
	v_lshlrev_b32_e32 v2, v9, v2
	v_cndmask_b32_e32 v6, v10, v6, vcc_lo
	s_delay_alu instid0(VALU_DEP_2) | instskip(NEXT) | instid1(VALU_DEP_1)
	v_and_b32_e32 v2, 7, v2
	v_cndmask_b32_e32 v2, v3, v2, vcc_lo
	s_delay_alu instid0(VALU_DEP_3) | instskip(NEXT) | instid1(VALU_DEP_2)
	v_lshl_add_u32 v3, v6, 23, 0x3b800000
	v_lshlrev_b32_e32 v2, 20, v2
	s_delay_alu instid0(VALU_DEP_1) | instskip(NEXT) | instid1(VALU_DEP_1)
	v_or3_b32 v1, v1, v3, v2
	v_cvt_i32_f32_e32 v2, v1
.LBB54_1072:
	s_or_b32 exec_lo, exec_lo, s41
.LBB54_1073:
	s_mov_b32 s41, -1
.LBB54_1074:
	s_mov_b32 s42, 0
.LBB54_1075:
	s_delay_alu instid0(SALU_CYCLE_1)
	s_and_b32 vcc_lo, exec_lo, s42
	s_cbranch_vccz .LBB54_1108
; %bb.1076:
	s_cmp_gt_i32 s1, 22
	s_cbranch_scc0 .LBB54_1084
; %bb.1077:
	s_cmp_lt_i32 s1, 24
	s_cbranch_scc1 .LBB54_1087
; %bb.1078:
	s_cmp_gt_i32 s1, 24
	s_cbranch_scc0 .LBB54_1088
; %bb.1079:
	global_load_u8 v1, v[4:5], off
	s_mov_b32 s42, 0
	s_mov_b32 s41, exec_lo
	s_wait_loadcnt 0x0
	v_cmpx_lt_i16_e32 0x7f, v1
	s_xor_b32 s41, exec_lo, s41
	s_cbranch_execz .LBB54_1100
; %bb.1080:
	v_cmp_ne_u16_e32 vcc_lo, 0x80, v1
	s_and_b32 s42, vcc_lo, exec_lo
	s_and_not1_saveexec_b32 s41, s41
	s_cbranch_execnz .LBB54_1101
.LBB54_1081:
	s_or_b32 exec_lo, exec_lo, s41
	v_mov_b32_e32 v2, 0
	s_and_saveexec_b32 s41, s42
	s_cbranch_execz .LBB54_1083
.LBB54_1082:
	v_and_b32_e32 v2, 0xffff, v1
	s_delay_alu instid0(VALU_DEP_1) | instskip(SKIP_1) | instid1(VALU_DEP_2)
	v_dual_lshlrev_b32 v1, 24, v1 :: v_dual_bitop2_b32 v3, 3, v2 bitop3:0x40
	v_bfe_u32 v10, v2, 2, 5
	v_and_b32_e32 v1, 0x80000000, v1
	s_delay_alu instid0(VALU_DEP_3) | instskip(NEXT) | instid1(VALU_DEP_3)
	v_clz_i32_u32_e32 v6, v3
	v_cmp_eq_u32_e32 vcc_lo, 0, v10
	s_delay_alu instid0(VALU_DEP_2) | instskip(NEXT) | instid1(VALU_DEP_1)
	v_min_u32_e32 v6, 32, v6
	v_subrev_nc_u32_e32 v9, 29, v6
	v_sub_nc_u32_e32 v6, 30, v6
	s_delay_alu instid0(VALU_DEP_2) | instskip(NEXT) | instid1(VALU_DEP_2)
	v_lshlrev_b32_e32 v2, v9, v2
	v_cndmask_b32_e32 v6, v10, v6, vcc_lo
	s_delay_alu instid0(VALU_DEP_2) | instskip(NEXT) | instid1(VALU_DEP_1)
	v_and_b32_e32 v2, 3, v2
	v_cndmask_b32_e32 v2, v3, v2, vcc_lo
	s_delay_alu instid0(VALU_DEP_3) | instskip(NEXT) | instid1(VALU_DEP_2)
	v_lshl_add_u32 v3, v6, 23, 0x37800000
	v_lshlrev_b32_e32 v2, 21, v2
	s_delay_alu instid0(VALU_DEP_1) | instskip(NEXT) | instid1(VALU_DEP_1)
	v_or3_b32 v1, v1, v3, v2
	v_cvt_i32_f32_e32 v2, v1
.LBB54_1083:
	s_or_b32 exec_lo, exec_lo, s41
	s_mov_b32 s41, 0
	s_branch .LBB54_1089
.LBB54_1084:
	s_mov_b32 s42, -1
                                        ; implicit-def: $vgpr2
	s_branch .LBB54_1095
.LBB54_1085:
	s_and_not1_saveexec_b32 s41, s41
	s_cbranch_execz .LBB54_1070
.LBB54_1086:
	v_cmp_ne_u16_e32 vcc_lo, 0, v1
	s_and_not1_b32 s42, s42, exec_lo
	s_and_b32 s43, vcc_lo, exec_lo
	s_delay_alu instid0(SALU_CYCLE_1)
	s_or_b32 s42, s42, s43
	s_or_b32 exec_lo, exec_lo, s41
	v_mov_b32_e32 v2, 0
	s_and_saveexec_b32 s41, s42
	s_cbranch_execnz .LBB54_1071
	s_branch .LBB54_1072
.LBB54_1087:
	s_mov_b32 s41, -1
                                        ; implicit-def: $vgpr2
	s_branch .LBB54_1092
.LBB54_1088:
	s_mov_b32 s41, -1
                                        ; implicit-def: $vgpr2
.LBB54_1089:
	s_delay_alu instid0(SALU_CYCLE_1)
	s_and_b32 vcc_lo, exec_lo, s41
	s_cbranch_vccz .LBB54_1091
; %bb.1090:
	global_load_u8 v1, v[4:5], off
	s_wait_loadcnt 0x0
	v_lshlrev_b32_e32 v1, 24, v1
	s_delay_alu instid0(VALU_DEP_1) | instskip(NEXT) | instid1(VALU_DEP_1)
	v_and_b32_e32 v2, 0x7f000000, v1
	v_clz_i32_u32_e32 v3, v2
	v_cmp_ne_u32_e32 vcc_lo, 0, v2
	v_add_nc_u32_e32 v9, 0x1000000, v2
	s_delay_alu instid0(VALU_DEP_3) | instskip(NEXT) | instid1(VALU_DEP_1)
	v_min_u32_e32 v3, 32, v3
	v_sub_nc_u32_e64 v3, v3, 4 clamp
	s_delay_alu instid0(VALU_DEP_1) | instskip(NEXT) | instid1(VALU_DEP_1)
	v_dual_lshlrev_b32 v6, v3, v2 :: v_dual_lshlrev_b32 v3, 23, v3
	v_lshrrev_b32_e32 v6, 4, v6
	s_delay_alu instid0(VALU_DEP_1) | instskip(NEXT) | instid1(VALU_DEP_1)
	v_dual_sub_nc_u32 v3, v6, v3 :: v_dual_ashrrev_i32 v6, 8, v9
	v_add_nc_u32_e32 v3, 0x3c000000, v3
	s_delay_alu instid0(VALU_DEP_1) | instskip(NEXT) | instid1(VALU_DEP_1)
	v_and_or_b32 v3, 0x7f800000, v6, v3
	v_cndmask_b32_e32 v2, 0, v3, vcc_lo
	s_delay_alu instid0(VALU_DEP_1) | instskip(NEXT) | instid1(VALU_DEP_1)
	v_and_or_b32 v1, 0x80000000, v1, v2
	v_cvt_i32_f32_e32 v2, v1
.LBB54_1091:
	s_mov_b32 s41, 0
.LBB54_1092:
	s_delay_alu instid0(SALU_CYCLE_1)
	s_and_not1_b32 vcc_lo, exec_lo, s41
	s_cbranch_vccnz .LBB54_1094
; %bb.1093:
	global_load_u8 v1, v[4:5], off
	s_wait_loadcnt 0x0
	v_lshlrev_b32_e32 v2, 25, v1
	v_lshlrev_b16 v1, 8, v1
	s_delay_alu instid0(VALU_DEP_1) | instskip(SKIP_1) | instid1(VALU_DEP_2)
	v_and_or_b32 v6, 0x7f00, v1, 0.5
	v_bfe_i32 v1, v1, 0, 16
	v_add_f32_e32 v6, -0.5, v6
	v_lshrrev_b32_e32 v3, 4, v2
	v_cmp_gt_u32_e32 vcc_lo, 0x8000000, v2
	s_delay_alu instid0(VALU_DEP_2) | instskip(NEXT) | instid1(VALU_DEP_1)
	v_or_b32_e32 v3, 0x70000000, v3
	v_mul_f32_e32 v3, 0x7800000, v3
	s_delay_alu instid0(VALU_DEP_1) | instskip(NEXT) | instid1(VALU_DEP_1)
	v_cndmask_b32_e32 v2, v3, v6, vcc_lo
	v_and_or_b32 v1, 0x80000000, v1, v2
	s_delay_alu instid0(VALU_DEP_1)
	v_cvt_i32_f32_e32 v2, v1
.LBB54_1094:
	s_mov_b32 s42, 0
	s_mov_b32 s41, -1
.LBB54_1095:
	s_and_not1_b32 vcc_lo, exec_lo, s42
	s_cbranch_vccnz .LBB54_1108
; %bb.1096:
	s_cmp_gt_i32 s1, 14
	s_cbranch_scc0 .LBB54_1099
; %bb.1097:
	s_cmp_eq_u32 s1, 15
	s_cbranch_scc0 .LBB54_1102
; %bb.1098:
	global_load_u16 v1, v[4:5], off
	s_mov_b32 s41, -1
	s_mov_b32 s75, 0
	s_wait_loadcnt 0x0
	v_lshlrev_b32_e32 v1, 16, v1
	s_delay_alu instid0(VALU_DEP_1)
	v_cvt_i32_f32_e32 v2, v1
	s_branch .LBB54_1103
.LBB54_1099:
	s_mov_b32 s42, -1
                                        ; implicit-def: $vgpr2
	s_branch .LBB54_1104
.LBB54_1100:
	s_and_not1_saveexec_b32 s41, s41
	s_cbranch_execz .LBB54_1081
.LBB54_1101:
	v_cmp_ne_u16_e32 vcc_lo, 0, v1
	s_and_not1_b32 s42, s42, exec_lo
	s_and_b32 s43, vcc_lo, exec_lo
	s_delay_alu instid0(SALU_CYCLE_1)
	s_or_b32 s42, s42, s43
	s_or_b32 exec_lo, exec_lo, s41
	v_mov_b32_e32 v2, 0
	s_and_saveexec_b32 s41, s42
	s_cbranch_execnz .LBB54_1082
	s_branch .LBB54_1083
.LBB54_1102:
	s_mov_b32 s75, -1
                                        ; implicit-def: $vgpr2
.LBB54_1103:
	s_mov_b32 s42, 0
.LBB54_1104:
	s_delay_alu instid0(SALU_CYCLE_1)
	s_and_b32 vcc_lo, exec_lo, s42
	s_cbranch_vccz .LBB54_1108
; %bb.1105:
	s_cmp_eq_u32 s1, 11
	s_cbranch_scc0 .LBB54_1107
; %bb.1106:
	global_load_u8 v1, v[4:5], off
	s_mov_b32 s75, 0
	s_mov_b32 s41, -1
	s_wait_loadcnt 0x0
	v_cmp_ne_u16_e32 vcc_lo, 0, v1
	v_cndmask_b32_e64 v2, 0, 1, vcc_lo
	s_branch .LBB54_1108
.LBB54_1107:
	s_mov_b32 s75, -1
                                        ; implicit-def: $vgpr2
.LBB54_1108:
	s_mov_b32 s1, 0
.LBB54_1109:
	s_delay_alu instid0(SALU_CYCLE_1)
	s_and_b32 vcc_lo, exec_lo, s1
	s_cbranch_vccz .LBB54_1158
; %bb.1110:
	s_and_b32 s0, 0xffff, s0
	s_delay_alu instid0(SALU_CYCLE_1)
	s_cmp_lt_i32 s0, 5
	s_cbranch_scc1 .LBB54_1115
; %bb.1111:
	s_cmp_lt_i32 s0, 8
	s_cbranch_scc1 .LBB54_1116
; %bb.1112:
	;; [unrolled: 3-line block ×3, first 2 shown]
	s_cmp_gt_i32 s0, 9
	s_cbranch_scc0 .LBB54_1118
; %bb.1114:
	s_wait_loadcnt 0x0
	global_load_b64 v[2:3], v[4:5], off
	s_mov_b32 s1, 0
	s_wait_loadcnt 0x0
	v_cvt_i32_f64_e32 v2, v[2:3]
	s_branch .LBB54_1119
.LBB54_1115:
	s_mov_b32 s1, -1
                                        ; implicit-def: $vgpr2
	s_branch .LBB54_1137
.LBB54_1116:
	s_mov_b32 s1, -1
                                        ; implicit-def: $vgpr2
	s_branch .LBB54_1125
.LBB54_1117:
	s_mov_b32 s1, -1
                                        ; implicit-def: $vgpr2
	s_branch .LBB54_1122
.LBB54_1118:
	s_mov_b32 s1, -1
                                        ; implicit-def: $vgpr2
.LBB54_1119:
	s_delay_alu instid0(SALU_CYCLE_1)
	s_and_not1_b32 vcc_lo, exec_lo, s1
	s_cbranch_vccnz .LBB54_1121
; %bb.1120:
	global_load_b32 v1, v[4:5], off
	s_wait_loadcnt 0x0
	v_cvt_i32_f32_e32 v2, v1
.LBB54_1121:
	s_mov_b32 s1, 0
.LBB54_1122:
	s_delay_alu instid0(SALU_CYCLE_1)
	s_and_not1_b32 vcc_lo, exec_lo, s1
	s_cbranch_vccnz .LBB54_1124
; %bb.1123:
	global_load_b32 v1, v[4:5], off
	s_wait_loadcnt 0x0
	v_cvt_f32_f16_e32 v1, v1
	s_delay_alu instid0(VALU_DEP_1)
	v_cvt_i32_f32_e32 v2, v1
.LBB54_1124:
	s_mov_b32 s1, 0
.LBB54_1125:
	s_delay_alu instid0(SALU_CYCLE_1)
	s_and_not1_b32 vcc_lo, exec_lo, s1
	s_cbranch_vccnz .LBB54_1136
; %bb.1126:
	s_cmp_lt_i32 s0, 6
	s_cbranch_scc1 .LBB54_1129
; %bb.1127:
	s_cmp_gt_i32 s0, 6
	s_cbranch_scc0 .LBB54_1130
; %bb.1128:
	s_wait_loadcnt 0x0
	global_load_b64 v[2:3], v[4:5], off
	s_mov_b32 s1, 0
	s_wait_loadcnt 0x0
	v_cvt_i32_f64_e32 v2, v[2:3]
	s_branch .LBB54_1131
.LBB54_1129:
	s_mov_b32 s1, -1
                                        ; implicit-def: $vgpr2
	s_branch .LBB54_1134
.LBB54_1130:
	s_mov_b32 s1, -1
                                        ; implicit-def: $vgpr2
.LBB54_1131:
	s_delay_alu instid0(SALU_CYCLE_1)
	s_and_not1_b32 vcc_lo, exec_lo, s1
	s_cbranch_vccnz .LBB54_1133
; %bb.1132:
	global_load_b32 v1, v[4:5], off
	s_wait_loadcnt 0x0
	v_cvt_i32_f32_e32 v2, v1
.LBB54_1133:
	s_mov_b32 s1, 0
.LBB54_1134:
	s_delay_alu instid0(SALU_CYCLE_1)
	s_and_not1_b32 vcc_lo, exec_lo, s1
	s_cbranch_vccnz .LBB54_1136
; %bb.1135:
	global_load_u16 v1, v[4:5], off
	s_wait_loadcnt 0x0
	v_cvt_f32_f16_e32 v1, v1
	s_delay_alu instid0(VALU_DEP_1)
	v_cvt_i32_f32_e32 v2, v1
.LBB54_1136:
	s_mov_b32 s1, 0
.LBB54_1137:
	s_delay_alu instid0(SALU_CYCLE_1)
	s_and_not1_b32 vcc_lo, exec_lo, s1
	s_cbranch_vccnz .LBB54_1157
; %bb.1138:
	s_cmp_lt_i32 s0, 2
	s_cbranch_scc1 .LBB54_1142
; %bb.1139:
	s_cmp_lt_i32 s0, 3
	s_cbranch_scc1 .LBB54_1143
; %bb.1140:
	s_cmp_gt_i32 s0, 3
	s_cbranch_scc0 .LBB54_1144
; %bb.1141:
	s_wait_loadcnt 0x0
	global_load_b32 v2, v[4:5], off
	s_mov_b32 s1, 0
	s_branch .LBB54_1145
.LBB54_1142:
	s_mov_b32 s1, -1
                                        ; implicit-def: $vgpr2
	s_branch .LBB54_1151
.LBB54_1143:
	s_mov_b32 s1, -1
                                        ; implicit-def: $vgpr2
	s_branch .LBB54_1148
.LBB54_1144:
	s_mov_b32 s1, -1
                                        ; implicit-def: $vgpr2
.LBB54_1145:
	s_delay_alu instid0(SALU_CYCLE_1)
	s_and_not1_b32 vcc_lo, exec_lo, s1
	s_cbranch_vccnz .LBB54_1147
; %bb.1146:
	s_wait_loadcnt 0x0
	global_load_b32 v2, v[4:5], off
.LBB54_1147:
	s_mov_b32 s1, 0
.LBB54_1148:
	s_delay_alu instid0(SALU_CYCLE_1)
	s_and_not1_b32 vcc_lo, exec_lo, s1
	s_cbranch_vccnz .LBB54_1150
; %bb.1149:
	s_wait_loadcnt 0x0
	global_load_i16 v2, v[4:5], off
.LBB54_1150:
	s_mov_b32 s1, 0
.LBB54_1151:
	s_delay_alu instid0(SALU_CYCLE_1)
	s_and_not1_b32 vcc_lo, exec_lo, s1
	s_cbranch_vccnz .LBB54_1157
; %bb.1152:
	s_cmp_gt_i32 s0, 0
	s_mov_b32 s0, 0
	s_cbranch_scc0 .LBB54_1154
; %bb.1153:
	s_wait_loadcnt 0x0
	global_load_i8 v2, v[4:5], off
	s_branch .LBB54_1155
.LBB54_1154:
	s_mov_b32 s0, -1
                                        ; implicit-def: $vgpr2
.LBB54_1155:
	s_delay_alu instid0(SALU_CYCLE_1)
	s_and_not1_b32 vcc_lo, exec_lo, s0
	s_cbranch_vccnz .LBB54_1157
; %bb.1156:
	s_wait_loadcnt 0x0
	global_load_u8 v2, v[4:5], off
.LBB54_1157:
	s_mov_b32 s41, -1
.LBB54_1158:
	s_delay_alu instid0(SALU_CYCLE_1)
	s_and_not1_b32 vcc_lo, exec_lo, s41
	s_cbranch_vccnz .LBB54_1166
; %bb.1159:
	s_wait_xcnt 0x0
	v_mul_lo_u32 v4, v22, s37
	s_and_b32 s0, s21, 0xff
	s_delay_alu instid0(SALU_CYCLE_1) | instskip(NEXT) | instid1(VALU_DEP_1)
	s_cmp_lt_i32 s0, 11
	v_ashrrev_i32_e32 v5, 31, v4
	s_delay_alu instid0(VALU_DEP_1)
	v_add_nc_u64_e32 v[4:5], s[14:15], v[4:5]
	s_cbranch_scc1 .LBB54_1167
; %bb.1160:
	s_and_b32 s1, 0xffff, s0
	s_delay_alu instid0(SALU_CYCLE_1)
	s_cmp_gt_i32 s1, 25
	s_cbranch_scc0 .LBB54_1168
; %bb.1161:
	s_cmp_gt_i32 s1, 28
	s_cbranch_scc0 .LBB54_1169
; %bb.1162:
	;; [unrolled: 3-line block ×4, first 2 shown]
	s_cmp_eq_u32 s1, 46
	s_mov_b32 s42, 0
	s_cbranch_scc0 .LBB54_1173
; %bb.1165:
	global_load_b32 v1, v[4:5], off
	s_mov_b32 s41, -1
	s_mov_b32 s74, 0
	s_wait_loadcnt 0x0
	v_lshlrev_b32_e32 v1, 16, v1
	s_delay_alu instid0(VALU_DEP_1)
	v_cvt_i32_f32_e32 v6, v1
	s_branch .LBB54_1175
.LBB54_1166:
	s_mov_b32 s0, 0
	s_mov_b32 s1, s59
	s_mov_b32 s41, s61
	s_mov_b32 s42, s62
	s_mov_b32 s44, s63
	s_mov_b32 s43, s64
	s_mov_b32 s74, s65
	s_branch .LBB54_1297
.LBB54_1167:
	s_mov_b32 s1, -1
	s_mov_b32 s41, 0
	s_mov_b32 s74, s65
                                        ; implicit-def: $vgpr6
	s_branch .LBB54_1236
.LBB54_1168:
	s_mov_b32 s42, -1
	s_mov_b32 s41, 0
	s_mov_b32 s74, s65
                                        ; implicit-def: $vgpr6
	s_branch .LBB54_1202
.LBB54_1169:
	s_mov_b32 s42, -1
	s_mov_b32 s41, 0
	s_mov_b32 s74, s65
                                        ; implicit-def: $vgpr6
	s_branch .LBB54_1185
.LBB54_1170:
	s_mov_b32 s42, -1
	s_mov_b32 s41, 0
	s_mov_b32 s74, s65
                                        ; implicit-def: $vgpr6
	s_branch .LBB54_1180
.LBB54_1171:
	s_mov_b32 s42, -1
	s_mov_b32 s41, 0
	s_mov_b32 s74, s65
	s_branch .LBB54_1174
.LBB54_1172:
	s_mov_b32 s45, -1
	s_mov_b32 s41, 0
	s_mov_b32 s44, 0
	s_branch .LBB54_1839
.LBB54_1173:
	s_mov_b32 s74, -1
	s_mov_b32 s41, 0
.LBB54_1174:
                                        ; implicit-def: $vgpr6
.LBB54_1175:
	s_and_b32 vcc_lo, exec_lo, s42
	s_cbranch_vccz .LBB54_1179
; %bb.1176:
	s_cmp_eq_u32 s1, 44
	s_cbranch_scc0 .LBB54_1178
; %bb.1177:
	global_load_u8 v1, v[4:5], off
	s_mov_b32 s74, 0
	s_mov_b32 s41, -1
	s_wait_loadcnt 0x0
	v_lshlrev_b32_e32 v3, 23, v1
	v_cmp_ne_u32_e32 vcc_lo, 0, v1
	s_delay_alu instid0(VALU_DEP_2) | instskip(NEXT) | instid1(VALU_DEP_1)
	v_cvt_i32_f32_e32 v3, v3
	v_cndmask_b32_e32 v6, 0, v3, vcc_lo
	s_branch .LBB54_1179
.LBB54_1178:
	s_mov_b32 s74, -1
                                        ; implicit-def: $vgpr6
.LBB54_1179:
	s_mov_b32 s42, 0
.LBB54_1180:
	s_delay_alu instid0(SALU_CYCLE_1)
	s_and_b32 vcc_lo, exec_lo, s42
	s_cbranch_vccz .LBB54_1184
; %bb.1181:
	s_cmp_eq_u32 s1, 29
	s_cbranch_scc0 .LBB54_1183
; %bb.1182:
	global_load_b32 v6, v[4:5], off
	s_mov_b32 s41, -1
	s_mov_b32 s74, 0
	s_branch .LBB54_1184
.LBB54_1183:
	s_mov_b32 s74, -1
                                        ; implicit-def: $vgpr6
.LBB54_1184:
	s_mov_b32 s42, 0
.LBB54_1185:
	s_delay_alu instid0(SALU_CYCLE_1)
	s_and_b32 vcc_lo, exec_lo, s42
	s_cbranch_vccz .LBB54_1201
; %bb.1186:
	s_cmp_lt_i32 s1, 27
	s_cbranch_scc1 .LBB54_1189
; %bb.1187:
	s_cmp_gt_i32 s1, 27
	s_cbranch_scc0 .LBB54_1190
; %bb.1188:
	s_wait_loadcnt 0x0
	global_load_b32 v6, v[4:5], off
	s_mov_b32 s41, 0
	s_branch .LBB54_1191
.LBB54_1189:
	s_mov_b32 s41, -1
                                        ; implicit-def: $vgpr6
	s_branch .LBB54_1194
.LBB54_1190:
	s_mov_b32 s41, -1
                                        ; implicit-def: $vgpr6
.LBB54_1191:
	s_delay_alu instid0(SALU_CYCLE_1)
	s_and_not1_b32 vcc_lo, exec_lo, s41
	s_cbranch_vccnz .LBB54_1193
; %bb.1192:
	s_wait_loadcnt 0x0
	global_load_u16 v6, v[4:5], off
.LBB54_1193:
	s_mov_b32 s41, 0
.LBB54_1194:
	s_delay_alu instid0(SALU_CYCLE_1)
	s_and_not1_b32 vcc_lo, exec_lo, s41
	s_cbranch_vccnz .LBB54_1200
; %bb.1195:
	global_load_u8 v1, v[4:5], off
	s_mov_b32 s42, 0
	s_mov_b32 s41, exec_lo
	s_wait_loadcnt 0x0
	v_cmpx_lt_i16_e32 0x7f, v1
	s_xor_b32 s41, exec_lo, s41
	s_cbranch_execz .LBB54_1212
; %bb.1196:
	v_cmp_ne_u16_e32 vcc_lo, 0x80, v1
	s_and_b32 s42, vcc_lo, exec_lo
	s_and_not1_saveexec_b32 s41, s41
	s_cbranch_execnz .LBB54_1213
.LBB54_1197:
	s_or_b32 exec_lo, exec_lo, s41
	v_mov_b32_e32 v6, 0
	s_and_saveexec_b32 s41, s42
	s_cbranch_execz .LBB54_1199
.LBB54_1198:
	v_and_b32_e32 v3, 0xffff, v1
	s_delay_alu instid0(VALU_DEP_1) | instskip(SKIP_1) | instid1(VALU_DEP_2)
	v_and_b32_e32 v6, 7, v3
	v_bfe_u32 v11, v3, 3, 4
	v_clz_i32_u32_e32 v9, v6
	s_delay_alu instid0(VALU_DEP_2) | instskip(NEXT) | instid1(VALU_DEP_2)
	v_cmp_eq_u32_e32 vcc_lo, 0, v11
	v_min_u32_e32 v9, 32, v9
	s_delay_alu instid0(VALU_DEP_1) | instskip(NEXT) | instid1(VALU_DEP_1)
	v_subrev_nc_u32_e32 v10, 28, v9
	v_dual_lshlrev_b32 v3, v10, v3 :: v_dual_sub_nc_u32 v9, 29, v9
	s_delay_alu instid0(VALU_DEP_1) | instskip(NEXT) | instid1(VALU_DEP_1)
	v_dual_lshlrev_b32 v1, 24, v1 :: v_dual_bitop2_b32 v3, 7, v3 bitop3:0x40
	v_dual_cndmask_b32 v3, v6, v3, vcc_lo :: v_dual_cndmask_b32 v9, v11, v9, vcc_lo
	s_delay_alu instid0(VALU_DEP_2) | instskip(NEXT) | instid1(VALU_DEP_2)
	v_and_b32_e32 v1, 0x80000000, v1
	v_lshlrev_b32_e32 v3, 20, v3
	s_delay_alu instid0(VALU_DEP_3) | instskip(NEXT) | instid1(VALU_DEP_1)
	v_lshl_add_u32 v6, v9, 23, 0x3b800000
	v_or3_b32 v1, v1, v6, v3
	s_delay_alu instid0(VALU_DEP_1)
	v_cvt_i32_f32_e32 v6, v1
.LBB54_1199:
	s_or_b32 exec_lo, exec_lo, s41
.LBB54_1200:
	s_mov_b32 s41, -1
.LBB54_1201:
	s_mov_b32 s42, 0
.LBB54_1202:
	s_delay_alu instid0(SALU_CYCLE_1)
	s_and_b32 vcc_lo, exec_lo, s42
	s_cbranch_vccz .LBB54_1235
; %bb.1203:
	s_cmp_gt_i32 s1, 22
	s_cbranch_scc0 .LBB54_1211
; %bb.1204:
	s_cmp_lt_i32 s1, 24
	s_cbranch_scc1 .LBB54_1214
; %bb.1205:
	s_cmp_gt_i32 s1, 24
	s_cbranch_scc0 .LBB54_1215
; %bb.1206:
	global_load_u8 v1, v[4:5], off
	s_mov_b32 s42, 0
	s_mov_b32 s41, exec_lo
	s_wait_loadcnt 0x0
	v_cmpx_lt_i16_e32 0x7f, v1
	s_xor_b32 s41, exec_lo, s41
	s_cbranch_execz .LBB54_1227
; %bb.1207:
	v_cmp_ne_u16_e32 vcc_lo, 0x80, v1
	s_and_b32 s42, vcc_lo, exec_lo
	s_and_not1_saveexec_b32 s41, s41
	s_cbranch_execnz .LBB54_1228
.LBB54_1208:
	s_or_b32 exec_lo, exec_lo, s41
	v_mov_b32_e32 v6, 0
	s_and_saveexec_b32 s41, s42
	s_cbranch_execz .LBB54_1210
.LBB54_1209:
	v_and_b32_e32 v3, 0xffff, v1
	s_delay_alu instid0(VALU_DEP_1) | instskip(SKIP_1) | instid1(VALU_DEP_2)
	v_and_b32_e32 v6, 3, v3
	v_bfe_u32 v11, v3, 2, 5
	v_clz_i32_u32_e32 v9, v6
	s_delay_alu instid0(VALU_DEP_2) | instskip(NEXT) | instid1(VALU_DEP_2)
	v_cmp_eq_u32_e32 vcc_lo, 0, v11
	v_min_u32_e32 v9, 32, v9
	s_delay_alu instid0(VALU_DEP_1) | instskip(NEXT) | instid1(VALU_DEP_1)
	v_subrev_nc_u32_e32 v10, 29, v9
	v_dual_lshlrev_b32 v3, v10, v3 :: v_dual_sub_nc_u32 v9, 30, v9
	s_delay_alu instid0(VALU_DEP_1) | instskip(NEXT) | instid1(VALU_DEP_1)
	v_dual_lshlrev_b32 v1, 24, v1 :: v_dual_bitop2_b32 v3, 3, v3 bitop3:0x40
	v_dual_cndmask_b32 v3, v6, v3, vcc_lo :: v_dual_cndmask_b32 v9, v11, v9, vcc_lo
	s_delay_alu instid0(VALU_DEP_2) | instskip(NEXT) | instid1(VALU_DEP_2)
	v_and_b32_e32 v1, 0x80000000, v1
	v_lshlrev_b32_e32 v3, 21, v3
	s_delay_alu instid0(VALU_DEP_3) | instskip(NEXT) | instid1(VALU_DEP_1)
	v_lshl_add_u32 v6, v9, 23, 0x37800000
	v_or3_b32 v1, v1, v6, v3
	s_delay_alu instid0(VALU_DEP_1)
	v_cvt_i32_f32_e32 v6, v1
.LBB54_1210:
	s_or_b32 exec_lo, exec_lo, s41
	s_mov_b32 s41, 0
	s_branch .LBB54_1216
.LBB54_1211:
	s_mov_b32 s42, -1
                                        ; implicit-def: $vgpr6
	s_branch .LBB54_1222
.LBB54_1212:
	s_and_not1_saveexec_b32 s41, s41
	s_cbranch_execz .LBB54_1197
.LBB54_1213:
	v_cmp_ne_u16_e32 vcc_lo, 0, v1
	s_and_not1_b32 s42, s42, exec_lo
	s_and_b32 s43, vcc_lo, exec_lo
	s_delay_alu instid0(SALU_CYCLE_1)
	s_or_b32 s42, s42, s43
	s_or_b32 exec_lo, exec_lo, s41
	v_mov_b32_e32 v6, 0
	s_and_saveexec_b32 s41, s42
	s_cbranch_execnz .LBB54_1198
	s_branch .LBB54_1199
.LBB54_1214:
	s_mov_b32 s41, -1
                                        ; implicit-def: $vgpr6
	s_branch .LBB54_1219
.LBB54_1215:
	s_mov_b32 s41, -1
                                        ; implicit-def: $vgpr6
.LBB54_1216:
	s_delay_alu instid0(SALU_CYCLE_1)
	s_and_b32 vcc_lo, exec_lo, s41
	s_cbranch_vccz .LBB54_1218
; %bb.1217:
	global_load_u8 v1, v[4:5], off
	s_wait_loadcnt 0x0
	v_lshlrev_b32_e32 v1, 24, v1
	s_delay_alu instid0(VALU_DEP_1) | instskip(NEXT) | instid1(VALU_DEP_1)
	v_and_b32_e32 v3, 0x7f000000, v1
	v_clz_i32_u32_e32 v6, v3
	v_cmp_ne_u32_e32 vcc_lo, 0, v3
	v_add_nc_u32_e32 v10, 0x1000000, v3
	s_delay_alu instid0(VALU_DEP_3) | instskip(NEXT) | instid1(VALU_DEP_1)
	v_min_u32_e32 v6, 32, v6
	v_sub_nc_u32_e64 v6, v6, 4 clamp
	s_delay_alu instid0(VALU_DEP_1) | instskip(NEXT) | instid1(VALU_DEP_1)
	v_dual_lshlrev_b32 v9, v6, v3 :: v_dual_lshlrev_b32 v6, 23, v6
	v_lshrrev_b32_e32 v9, 4, v9
	s_delay_alu instid0(VALU_DEP_1) | instskip(SKIP_1) | instid1(VALU_DEP_2)
	v_sub_nc_u32_e32 v6, v9, v6
	v_ashrrev_i32_e32 v9, 8, v10
	v_add_nc_u32_e32 v6, 0x3c000000, v6
	s_delay_alu instid0(VALU_DEP_1) | instskip(NEXT) | instid1(VALU_DEP_1)
	v_and_or_b32 v6, 0x7f800000, v9, v6
	v_cndmask_b32_e32 v3, 0, v6, vcc_lo
	s_delay_alu instid0(VALU_DEP_1) | instskip(NEXT) | instid1(VALU_DEP_1)
	v_and_or_b32 v1, 0x80000000, v1, v3
	v_cvt_i32_f32_e32 v6, v1
.LBB54_1218:
	s_mov_b32 s41, 0
.LBB54_1219:
	s_delay_alu instid0(SALU_CYCLE_1)
	s_and_not1_b32 vcc_lo, exec_lo, s41
	s_cbranch_vccnz .LBB54_1221
; %bb.1220:
	global_load_u8 v1, v[4:5], off
	s_wait_loadcnt 0x0
	v_lshlrev_b32_e32 v3, 25, v1
	v_lshlrev_b16 v1, 8, v1
	s_delay_alu instid0(VALU_DEP_1) | instskip(NEXT) | instid1(VALU_DEP_3)
	v_and_or_b32 v9, 0x7f00, v1, 0.5
	v_lshrrev_b32_e32 v6, 4, v3
	v_bfe_i32 v1, v1, 0, 16
	s_delay_alu instid0(VALU_DEP_3) | instskip(NEXT) | instid1(VALU_DEP_3)
	v_add_f32_e32 v9, -0.5, v9
	v_or_b32_e32 v6, 0x70000000, v6
	s_delay_alu instid0(VALU_DEP_1) | instskip(SKIP_1) | instid1(VALU_DEP_2)
	v_mul_f32_e32 v6, 0x7800000, v6
	v_cmp_gt_u32_e32 vcc_lo, 0x8000000, v3
	v_cndmask_b32_e32 v3, v6, v9, vcc_lo
	s_delay_alu instid0(VALU_DEP_1) | instskip(NEXT) | instid1(VALU_DEP_1)
	v_and_or_b32 v1, 0x80000000, v1, v3
	v_cvt_i32_f32_e32 v6, v1
.LBB54_1221:
	s_mov_b32 s42, 0
	s_mov_b32 s41, -1
.LBB54_1222:
	s_and_not1_b32 vcc_lo, exec_lo, s42
	s_cbranch_vccnz .LBB54_1235
; %bb.1223:
	s_cmp_gt_i32 s1, 14
	s_cbranch_scc0 .LBB54_1226
; %bb.1224:
	s_cmp_eq_u32 s1, 15
	s_cbranch_scc0 .LBB54_1229
; %bb.1225:
	global_load_u16 v1, v[4:5], off
	s_mov_b32 s41, -1
	s_mov_b32 s74, 0
	s_wait_loadcnt 0x0
	v_lshlrev_b32_e32 v1, 16, v1
	s_delay_alu instid0(VALU_DEP_1)
	v_cvt_i32_f32_e32 v6, v1
	s_branch .LBB54_1230
.LBB54_1226:
	s_mov_b32 s42, -1
                                        ; implicit-def: $vgpr6
	s_branch .LBB54_1231
.LBB54_1227:
	s_and_not1_saveexec_b32 s41, s41
	s_cbranch_execz .LBB54_1208
.LBB54_1228:
	v_cmp_ne_u16_e32 vcc_lo, 0, v1
	s_and_not1_b32 s42, s42, exec_lo
	s_and_b32 s43, vcc_lo, exec_lo
	s_delay_alu instid0(SALU_CYCLE_1)
	s_or_b32 s42, s42, s43
	s_or_b32 exec_lo, exec_lo, s41
	v_mov_b32_e32 v6, 0
	s_and_saveexec_b32 s41, s42
	s_cbranch_execnz .LBB54_1209
	s_branch .LBB54_1210
.LBB54_1229:
	s_mov_b32 s74, -1
                                        ; implicit-def: $vgpr6
.LBB54_1230:
	s_mov_b32 s42, 0
.LBB54_1231:
	s_delay_alu instid0(SALU_CYCLE_1)
	s_and_b32 vcc_lo, exec_lo, s42
	s_cbranch_vccz .LBB54_1235
; %bb.1232:
	s_cmp_eq_u32 s1, 11
	s_cbranch_scc0 .LBB54_1234
; %bb.1233:
	global_load_u8 v1, v[4:5], off
	s_mov_b32 s74, 0
	s_mov_b32 s41, -1
	s_wait_loadcnt 0x0
	v_cmp_ne_u16_e32 vcc_lo, 0, v1
	v_cndmask_b32_e64 v6, 0, 1, vcc_lo
	s_branch .LBB54_1235
.LBB54_1234:
	s_mov_b32 s74, -1
                                        ; implicit-def: $vgpr6
.LBB54_1235:
	s_mov_b32 s1, 0
.LBB54_1236:
	s_delay_alu instid0(SALU_CYCLE_1)
	s_and_b32 vcc_lo, exec_lo, s1
	s_cbranch_vccz .LBB54_1285
; %bb.1237:
	s_and_b32 s0, 0xffff, s0
	s_delay_alu instid0(SALU_CYCLE_1)
	s_cmp_lt_i32 s0, 5
	s_cbranch_scc1 .LBB54_1242
; %bb.1238:
	s_cmp_lt_i32 s0, 8
	s_cbranch_scc1 .LBB54_1243
; %bb.1239:
	;; [unrolled: 3-line block ×3, first 2 shown]
	s_cmp_gt_i32 s0, 9
	s_cbranch_scc0 .LBB54_1245
; %bb.1241:
	global_load_b64 v[10:11], v[4:5], off
	s_mov_b32 s1, 0
	s_wait_loadcnt 0x0
	v_cvt_i32_f64_e32 v6, v[10:11]
	s_branch .LBB54_1246
.LBB54_1242:
	s_mov_b32 s1, -1
                                        ; implicit-def: $vgpr6
	s_branch .LBB54_1264
.LBB54_1243:
	s_mov_b32 s1, -1
                                        ; implicit-def: $vgpr6
	s_branch .LBB54_1252
.LBB54_1244:
	s_mov_b32 s1, -1
                                        ; implicit-def: $vgpr6
	s_branch .LBB54_1249
.LBB54_1245:
	s_mov_b32 s1, -1
                                        ; implicit-def: $vgpr6
.LBB54_1246:
	s_delay_alu instid0(SALU_CYCLE_1)
	s_and_not1_b32 vcc_lo, exec_lo, s1
	s_cbranch_vccnz .LBB54_1248
; %bb.1247:
	global_load_b32 v1, v[4:5], off
	s_wait_loadcnt 0x0
	v_cvt_i32_f32_e32 v6, v1
.LBB54_1248:
	s_mov_b32 s1, 0
.LBB54_1249:
	s_delay_alu instid0(SALU_CYCLE_1)
	s_and_not1_b32 vcc_lo, exec_lo, s1
	s_cbranch_vccnz .LBB54_1251
; %bb.1250:
	global_load_b32 v1, v[4:5], off
	s_wait_loadcnt 0x0
	v_cvt_f32_f16_e32 v1, v1
	s_delay_alu instid0(VALU_DEP_1)
	v_cvt_i32_f32_e32 v6, v1
.LBB54_1251:
	s_mov_b32 s1, 0
.LBB54_1252:
	s_delay_alu instid0(SALU_CYCLE_1)
	s_and_not1_b32 vcc_lo, exec_lo, s1
	s_cbranch_vccnz .LBB54_1263
; %bb.1253:
	s_cmp_lt_i32 s0, 6
	s_cbranch_scc1 .LBB54_1256
; %bb.1254:
	s_cmp_gt_i32 s0, 6
	s_cbranch_scc0 .LBB54_1257
; %bb.1255:
	global_load_b64 v[10:11], v[4:5], off
	s_mov_b32 s1, 0
	s_wait_loadcnt 0x0
	v_cvt_i32_f64_e32 v6, v[10:11]
	s_branch .LBB54_1258
.LBB54_1256:
	s_mov_b32 s1, -1
                                        ; implicit-def: $vgpr6
	s_branch .LBB54_1261
.LBB54_1257:
	s_mov_b32 s1, -1
                                        ; implicit-def: $vgpr6
.LBB54_1258:
	s_delay_alu instid0(SALU_CYCLE_1)
	s_and_not1_b32 vcc_lo, exec_lo, s1
	s_cbranch_vccnz .LBB54_1260
; %bb.1259:
	global_load_b32 v1, v[4:5], off
	s_wait_loadcnt 0x0
	v_cvt_i32_f32_e32 v6, v1
.LBB54_1260:
	s_mov_b32 s1, 0
.LBB54_1261:
	s_delay_alu instid0(SALU_CYCLE_1)
	s_and_not1_b32 vcc_lo, exec_lo, s1
	s_cbranch_vccnz .LBB54_1263
; %bb.1262:
	global_load_u16 v1, v[4:5], off
	s_wait_loadcnt 0x0
	v_cvt_f32_f16_e32 v1, v1
	s_delay_alu instid0(VALU_DEP_1)
	v_cvt_i32_f32_e32 v6, v1
.LBB54_1263:
	s_mov_b32 s1, 0
.LBB54_1264:
	s_delay_alu instid0(SALU_CYCLE_1)
	s_and_not1_b32 vcc_lo, exec_lo, s1
	s_cbranch_vccnz .LBB54_1284
; %bb.1265:
	s_cmp_lt_i32 s0, 2
	s_cbranch_scc1 .LBB54_1269
; %bb.1266:
	s_cmp_lt_i32 s0, 3
	s_cbranch_scc1 .LBB54_1270
; %bb.1267:
	s_cmp_gt_i32 s0, 3
	s_cbranch_scc0 .LBB54_1271
; %bb.1268:
	s_wait_loadcnt 0x0
	global_load_b32 v6, v[4:5], off
	s_mov_b32 s1, 0
	s_branch .LBB54_1272
.LBB54_1269:
	s_mov_b32 s1, -1
                                        ; implicit-def: $vgpr6
	s_branch .LBB54_1278
.LBB54_1270:
	s_mov_b32 s1, -1
                                        ; implicit-def: $vgpr6
	s_branch .LBB54_1275
.LBB54_1271:
	s_mov_b32 s1, -1
                                        ; implicit-def: $vgpr6
.LBB54_1272:
	s_delay_alu instid0(SALU_CYCLE_1)
	s_and_not1_b32 vcc_lo, exec_lo, s1
	s_cbranch_vccnz .LBB54_1274
; %bb.1273:
	s_wait_loadcnt 0x0
	global_load_b32 v6, v[4:5], off
.LBB54_1274:
	s_mov_b32 s1, 0
.LBB54_1275:
	s_delay_alu instid0(SALU_CYCLE_1)
	s_and_not1_b32 vcc_lo, exec_lo, s1
	s_cbranch_vccnz .LBB54_1277
; %bb.1276:
	s_wait_loadcnt 0x0
	global_load_i16 v6, v[4:5], off
.LBB54_1277:
	s_mov_b32 s1, 0
.LBB54_1278:
	s_delay_alu instid0(SALU_CYCLE_1)
	s_and_not1_b32 vcc_lo, exec_lo, s1
	s_cbranch_vccnz .LBB54_1284
; %bb.1279:
	s_cmp_gt_i32 s0, 0
	s_mov_b32 s0, 0
	s_cbranch_scc0 .LBB54_1281
; %bb.1280:
	s_wait_loadcnt 0x0
	global_load_i8 v6, v[4:5], off
	s_branch .LBB54_1282
.LBB54_1281:
	s_mov_b32 s0, -1
                                        ; implicit-def: $vgpr6
.LBB54_1282:
	s_delay_alu instid0(SALU_CYCLE_1)
	s_and_not1_b32 vcc_lo, exec_lo, s0
	s_cbranch_vccnz .LBB54_1284
; %bb.1283:
	s_wait_loadcnt 0x0
	global_load_u8 v6, v[4:5], off
.LBB54_1284:
	s_mov_b32 s41, -1
.LBB54_1285:
	s_delay_alu instid0(SALU_CYCLE_1)
	s_and_not1_b32 vcc_lo, exec_lo, s41
	s_cbranch_vccnz .LBB54_1296
; %bb.1286:
	s_wait_loadcnt 0x0
	v_cmp_eq_u32_e32 vcc_lo, s38, v7
	s_mov_b32 s0, 0
	s_mov_b32 s43, -1
	s_mov_b32 s44, s63
	s_mov_b32 s42, s62
	s_and_b32 s45, s58, vcc_lo
	s_mov_b32 s41, s61
	s_mov_b32 s1, s59
	s_wait_xcnt 0x0
	s_and_saveexec_b32 s76, s45
	s_cbranch_execz .LBB54_4066
; %bb.1287:
	v_cmp_eq_u32_e32 vcc_lo, s22, v8
	s_mov_b32 s42, -1
	s_mov_b32 s43, s62
	s_mov_b32 s41, s61
	;; [unrolled: 1-line block ×3, first 2 shown]
	s_and_b32 s1, s57, vcc_lo
	s_delay_alu instid0(SALU_CYCLE_1)
	s_and_saveexec_b32 s77, s1
	s_cbranch_execz .LBB54_3592
; %bb.1288:
	v_sub_nc_u32_e32 v1, v2, v0
	s_mov_b32 s1, 0
	s_mov_b32 s41, -1
	s_mov_b32 s43, s59
	s_delay_alu instid0(VALU_DEP_1) | instskip(SKIP_4) | instid1(SALU_CYCLE_1)
	v_cmp_le_i32_e32 vcc_lo, s38, v1
	v_cmp_ge_i32_e64 s0, s20, v1
	s_and_b32 s42, vcc_lo, s0
	s_mov_b32 s0, s61
	s_and_b32 s42, s56, s42
	s_and_saveexec_b32 s78, s42
	s_cbranch_execz .LBB54_3591
; %bb.1289:
	v_mov_b64_e32 v[4:5], 0
	s_and_not1_b32 vcc_lo, exec_lo, s55
	s_cbranch_vccnz .LBB54_1312
; %bb.1290:
	v_ashrrev_i32_e32 v7, 31, v6
	v_mov_b64_e32 v[4:5], 0
	s_mov_b32 s41, s1
	s_mov_b64 s[42:43], 0xffffffff
	s_lshl_b64 s[46:47], s[40:41], 3
	v_mul_u64_e32 v[8:9], s[22:23], v[6:7]
	v_mov_b32_e32 v6, 0
	s_add_nc_u64 s[44:45], s[26:27], s[46:47]
	s_add_nc_u64 s[46:47], s[28:29], s[46:47]
	s_mov_b32 s41, s24
	s_branch .LBB54_1292
.LBB54_1291:                            ;   in Loop: Header=BB54_1292 Depth=1
	s_or_b32 exec_lo, exec_lo, s0
	global_load_b64 v[12:13], v6, s[46:47]
	v_mul_u64_e32 v[14:15], s[48:49], v[10:11]
	s_add_co_i32 s41, s41, -1
	s_add_nc_u64 s[44:45], s[44:45], -8
	s_cmp_lg_u32 s41, 0
	s_wait_xcnt 0x0
	s_add_nc_u64 s[46:47], s[46:47], -8
	s_delay_alu instid0(VALU_DEP_1) | instskip(SKIP_1) | instid1(VALU_DEP_1)
	v_sub_nc_u64_e32 v[8:9], v[8:9], v[14:15]
	s_wait_loadcnt 0x0
	v_mad_nc_u64_u32 v[4:5], v8, v12, v[4:5]
	s_delay_alu instid0(VALU_DEP_1) | instskip(NEXT) | instid1(VALU_DEP_1)
	v_mad_u32 v1, v9, v12, v5
	v_mad_u32 v5, v8, v13, v1
	v_mov_b64_e32 v[8:9], v[10:11]
	s_cbranch_scc0 .LBB54_1312
.LBB54_1292:                            ; =>This Inner Loop Header: Depth=1
	global_load_b64 v[10:11], v6, s[44:45]
	s_mov_b32 s0, exec_lo
	s_wait_loadcnt 0x0
	v_or_b32_e32 v7, v9, v11
	v_readfirstlane_b32 s48, v10
	v_readfirstlane_b32 s49, v11
                                        ; implicit-def: $vgpr10_vgpr11
	s_wait_xcnt 0x0
	s_delay_alu instid0(VALU_DEP_3)
	v_cmpx_ne_u64_e32 0, v[6:7]
	s_xor_b32 s79, exec_lo, s0
	s_cbranch_execz .LBB54_1294
; %bb.1293:                             ;   in Loop: Header=BB54_1292 Depth=1
	s_ashr_i32 s50, s49, 31
	v_dual_mov_b32 v15, v6 :: v_dual_ashrrev_i32 v10, 31, v9
	s_mov_b32 s51, s50
	v_mov_b32_e32 v25, v6
	s_add_nc_u64 s[52:53], s[48:49], s[50:51]
	s_delay_alu instid0(VALU_DEP_2) | instskip(SKIP_1) | instid1(SALU_CYCLE_1)
	v_mov_b32_e32 v11, v10
	s_xor_b64 s[52:53], s[52:53], s[50:51]
	s_cvt_f32_u32 s0, s52
	s_cvt_f32_u32 s51, s53
	s_sub_nc_u64 s[84:85], 0, s[52:53]
	v_add_nc_u64_e32 v[12:13], v[8:9], v[10:11]
	v_mov_b32_e32 v19, v6
	s_fmamk_f32 s0, s51, 0x4f800000, s0
	s_delay_alu instid0(SALU_CYCLE_3) | instskip(NEXT) | instid1(VALU_DEP_2)
	v_s_rcp_f32 s0, s0
	v_xor_b32_e32 v14, v12, v10
	s_delay_alu instid0(VALU_DEP_3) | instskip(NEXT) | instid1(TRANS32_DEP_1)
	v_xor_b32_e32 v18, v13, v10
	s_mul_f32 s0, s0, 0x5f7ffffc
	s_delay_alu instid0(SALU_CYCLE_3) | instskip(NEXT) | instid1(SALU_CYCLE_3)
	s_mul_f32 s51, s0, 0x2f800000
	s_trunc_f32 s51, s51
	s_delay_alu instid0(SALU_CYCLE_3) | instskip(SKIP_1) | instid1(SALU_CYCLE_2)
	s_fmamk_f32 s0, s51, 0xcf800000, s0
	s_cvt_u32_f32 s83, s51
	s_cvt_u32_f32 s82, s0
	s_delay_alu instid0(SALU_CYCLE_3) | instskip(NEXT) | instid1(SALU_CYCLE_1)
	s_mul_u64 s[86:87], s[84:85], s[82:83]
	s_mul_hi_u32 s89, s82, s87
	s_mul_i32 s88, s82, s87
	s_mul_hi_u32 s0, s82, s86
	s_mul_i32 s80, s83, s86
	s_add_nc_u64 s[88:89], s[0:1], s[88:89]
	s_mul_hi_u32 s51, s83, s86
	s_mul_hi_u32 s90, s83, s87
	s_add_co_u32 s0, s88, s80
	s_add_co_ci_u32 s0, s89, s51
	s_mul_i32 s86, s83, s87
	s_add_co_ci_u32 s87, s90, 0
	s_delay_alu instid0(SALU_CYCLE_1) | instskip(NEXT) | instid1(SALU_CYCLE_1)
	s_add_nc_u64 s[86:87], s[0:1], s[86:87]
	s_add_co_u32 s82, s82, s86
	s_cselect_b32 s0, -1, 0
	s_delay_alu instid0(SALU_CYCLE_1) | instskip(SKIP_1) | instid1(SALU_CYCLE_1)
	s_cmp_lg_u32 s0, 0
	s_add_co_ci_u32 s83, s83, s87
	s_mul_u64 s[84:85], s[84:85], s[82:83]
	s_delay_alu instid0(SALU_CYCLE_1)
	s_mul_hi_u32 s87, s82, s85
	s_mul_i32 s86, s82, s85
	s_mul_hi_u32 s0, s82, s84
	s_mul_i32 s80, s83, s84
	s_add_nc_u64 s[86:87], s[0:1], s[86:87]
	s_mul_hi_u32 s51, s83, s84
	s_mul_hi_u32 s88, s83, s85
	s_add_co_u32 s0, s86, s80
	s_add_co_ci_u32 s0, s87, s51
	s_mul_i32 s84, s83, s85
	s_add_co_ci_u32 s85, s88, 0
	s_delay_alu instid0(SALU_CYCLE_1) | instskip(NEXT) | instid1(SALU_CYCLE_1)
	s_add_nc_u64 s[84:85], s[0:1], s[84:85]
	s_add_co_u32 s80, s82, s84
	s_cselect_b32 s0, -1, 0
	v_mul_hi_u32 v24, v14, s80
	s_cmp_lg_u32 s0, 0
	s_add_co_ci_u32 s0, s83, s85
	s_and_b64 s[82:83], s[80:81], s[42:43]
	v_mul_u64_e32 v[16:17], s[0:1], v[14:15]
	v_mul_u64_e32 v[12:13], s[82:83], v[18:19]
	;; [unrolled: 1-line block ×3, first 2 shown]
	s_delay_alu instid0(VALU_DEP_3) | instskip(NEXT) | instid1(VALU_DEP_1)
	v_add_nc_u64_e32 v[16:17], v[24:25], v[16:17]
	v_add_co_u32 v1, vcc_lo, v16, v12
	s_delay_alu instid0(VALU_DEP_2) | instskip(NEXT) | instid1(VALU_DEP_4)
	v_add_co_ci_u32_e32 v24, vcc_lo, v17, v13, vcc_lo
	v_add_co_ci_u32_e32 v21, vcc_lo, 0, v21, vcc_lo
	s_delay_alu instid0(VALU_DEP_1) | instskip(NEXT) | instid1(VALU_DEP_1)
	v_add_nc_u64_e32 v[12:13], v[24:25], v[20:21]
	v_mul_u64_e32 v[16:17], s[52:53], v[12:13]
	s_delay_alu instid0(VALU_DEP_1) | instskip(NEXT) | instid1(VALU_DEP_2)
	v_sub_nc_u32_e32 v1, v18, v17
	v_sub_co_u32 v3, vcc_lo, v14, v16
	s_delay_alu instid0(VALU_DEP_1) | instskip(NEXT) | instid1(VALU_DEP_3)
	v_sub_co_ci_u32_e64 v11, null, v18, v17, vcc_lo
	v_subrev_co_ci_u32_e64 v1, null, s53, v1, vcc_lo
	s_delay_alu instid0(VALU_DEP_3) | instskip(SKIP_1) | instid1(VALU_DEP_3)
	v_sub_co_u32 v7, s0, v3, s52
	v_add_nc_u64_e32 v[16:17], 1, v[12:13]
	v_subrev_co_ci_u32_e64 v1, null, 0, v1, s0
	s_delay_alu instid0(VALU_DEP_3) | instskip(SKIP_1) | instid1(VALU_DEP_3)
	v_cmp_le_u32_e32 vcc_lo, s52, v7
	v_cndmask_b32_e64 v7, 0, -1, vcc_lo
	v_cmp_le_u32_e32 vcc_lo, s53, v1
	v_cndmask_b32_e64 v14, 0, -1, vcc_lo
	;; [unrolled: 2-line block ×4, first 2 shown]
	v_cmp_eq_u32_e32 vcc_lo, s53, v1
	v_cndmask_b32_e32 v1, v14, v7, vcc_lo
	v_cmp_eq_u32_e32 vcc_lo, s53, v11
	v_add_nc_u64_e32 v[14:15], 2, v[12:13]
	v_cndmask_b32_e32 v3, v18, v3, vcc_lo
	s_delay_alu instid0(VALU_DEP_4) | instskip(NEXT) | instid1(VALU_DEP_2)
	v_cmp_ne_u32_e32 vcc_lo, 0, v1
	v_cmp_ne_u32_e64 s0, 0, v3
	s_delay_alu instid0(VALU_DEP_4) | instskip(NEXT) | instid1(VALU_DEP_1)
	v_dual_cndmask_b32 v1, v17, v15, vcc_lo :: v_dual_cndmask_b32 v3, v16, v14, vcc_lo
	v_dual_cndmask_b32 v1, v13, v1, s0 :: v_dual_bitop2_b32 v10, s50, v10 bitop3:0x14
	s_delay_alu instid0(VALU_DEP_1) | instskip(NEXT) | instid1(VALU_DEP_2)
	v_dual_cndmask_b32 v3, v12, v3, s0 :: v_dual_mov_b32 v11, v10
	v_xor_b32_e32 v13, v1, v10
	s_delay_alu instid0(VALU_DEP_2) | instskip(NEXT) | instid1(VALU_DEP_1)
	v_xor_b32_e32 v12, v3, v10
	v_sub_nc_u64_e32 v[10:11], v[12:13], v[10:11]
.LBB54_1294:                            ;   in Loop: Header=BB54_1292 Depth=1
	s_and_not1_saveexec_b32 s0, s79
	s_cbranch_execz .LBB54_1291
; %bb.1295:                             ;   in Loop: Header=BB54_1292 Depth=1
	v_cvt_f32_u32_e32 v1, s48
	s_sub_co_i32 s50, 0, s48
	v_mov_b32_e32 v11, v6
	s_delay_alu instid0(VALU_DEP_2) | instskip(SKIP_1) | instid1(TRANS32_DEP_1)
	v_rcp_iflag_f32_e32 v1, v1
	v_nop
	v_mul_f32_e32 v1, 0x4f7ffffe, v1
	s_delay_alu instid0(VALU_DEP_1) | instskip(NEXT) | instid1(VALU_DEP_1)
	v_cvt_u32_f32_e32 v1, v1
	v_mul_lo_u32 v3, s50, v1
	s_delay_alu instid0(VALU_DEP_1) | instskip(NEXT) | instid1(VALU_DEP_1)
	v_mul_hi_u32 v3, v1, v3
	v_add_nc_u32_e32 v1, v1, v3
	s_delay_alu instid0(VALU_DEP_1) | instskip(NEXT) | instid1(VALU_DEP_1)
	v_mul_hi_u32 v1, v8, v1
	v_mul_lo_u32 v3, v1, s48
	s_delay_alu instid0(VALU_DEP_1) | instskip(NEXT) | instid1(VALU_DEP_1)
	v_sub_nc_u32_e32 v3, v8, v3
	v_subrev_nc_u32_e32 v10, s48, v3
	v_cmp_le_u32_e32 vcc_lo, s48, v3
	s_delay_alu instid0(VALU_DEP_2) | instskip(NEXT) | instid1(VALU_DEP_1)
	v_dual_add_nc_u32 v7, 1, v1 :: v_dual_cndmask_b32 v3, v3, v10, vcc_lo
	v_cndmask_b32_e32 v1, v1, v7, vcc_lo
	s_delay_alu instid0(VALU_DEP_2) | instskip(NEXT) | instid1(VALU_DEP_2)
	v_cmp_le_u32_e32 vcc_lo, s48, v3
	v_add_nc_u32_e32 v7, 1, v1
	s_delay_alu instid0(VALU_DEP_1)
	v_cndmask_b32_e32 v10, v1, v7, vcc_lo
	s_branch .LBB54_1291
.LBB54_1296:
	s_mov_b32 s0, 0
	s_mov_b32 s1, s59
	;; [unrolled: 1-line block ×6, first 2 shown]
.LBB54_1297:
                                        ; implicit-def: $vgpr22
.LBB54_1298:
	s_and_not1_b32 s45, s59, exec_lo
	s_and_b32 s1, s1, exec_lo
	s_and_not1_b32 s46, s61, exec_lo
	s_and_b32 s41, s41, exec_lo
	s_or_b32 s78, s45, s1
	s_or_b32 s79, s46, s41
	s_and_not1_b32 s1, s62, exec_lo
	s_and_b32 s41, s42, exec_lo
	s_and_not1_b32 s42, s63, exec_lo
	s_and_b32 s44, s44, exec_lo
	s_or_b32 s80, s1, s41
	s_or_b32 s76, s42, s44
	;; [unrolled: 6-line block ×5, first 2 shown]
	s_or_not1_b32 s43, s0, exec_lo
.LBB54_1299:
	s_wait_xcnt 0x0
	s_or_b32 exec_lo, exec_lo, s81
	s_mov_b32 s1, 0
	s_mov_b32 s41, 0
	;; [unrolled: 1-line block ×3, first 2 shown]
                                        ; implicit-def: $sgpr0
                                        ; implicit-def: $vgpr0_vgpr1
                                        ; implicit-def: $vgpr7
	s_and_saveexec_b32 s81, s43
	s_cbranch_execz .LBB54_2139
; %bb.1300:
	s_mov_b32 s83, -1
	s_mov_b32 s1, s71
	s_mov_b32 s43, s73
	;; [unrolled: 1-line block ×10, first 2 shown]
	s_mov_b32 s82, exec_lo
	v_cmpx_gt_i32_e64 s60, v22
	s_cbranch_execz .LBB54_2047
; %bb.1301:
	s_wait_loadcnt 0x0
	v_mul_lo_u32 v0, v22, s17
	s_and_b32 s0, s39, 0xff
	s_delay_alu instid0(SALU_CYCLE_1) | instskip(NEXT) | instid1(VALU_DEP_1)
	s_cmp_lt_i32 s0, 11
	v_ashrrev_i32_e32 v1, 31, v0
	s_delay_alu instid0(VALU_DEP_1)
	v_add_nc_u64_e32 v[0:1], s[6:7], v[0:1]
	s_cbranch_scc1 .LBB54_1308
; %bb.1302:
	s_and_b32 s1, 0xffff, s0
	s_delay_alu instid0(SALU_CYCLE_1)
	s_cmp_gt_i32 s1, 25
	s_cbranch_scc0 .LBB54_1309
; %bb.1303:
	s_cmp_gt_i32 s1, 28
	s_cbranch_scc0 .LBB54_1310
; %bb.1304:
	;; [unrolled: 3-line block ×4, first 2 shown]
	s_cmp_eq_u32 s1, 46
	s_mov_b32 s42, 0
	s_cbranch_scc0 .LBB54_1327
; %bb.1307:
	global_load_b32 v2, v[0:1], off
	s_mov_b32 s41, -1
	s_mov_b32 s83, 0
	s_wait_loadcnt 0x0
	v_lshlrev_b32_e32 v2, 16, v2
	s_delay_alu instid0(VALU_DEP_1)
	v_cvt_i32_f32_e32 v7, v2
	s_branch .LBB54_1329
.LBB54_1308:
	s_mov_b32 s1, -1
	s_mov_b32 s41, 0
	s_mov_b32 s83, s71
                                        ; implicit-def: $vgpr7
	s_branch .LBB54_1390
.LBB54_1309:
	s_mov_b32 s42, -1
	s_mov_b32 s41, 0
	s_mov_b32 s83, s71
                                        ; implicit-def: $vgpr7
	s_branch .LBB54_1356
.LBB54_1310:
	s_mov_b32 s42, -1
	s_mov_b32 s41, 0
	s_mov_b32 s83, s71
                                        ; implicit-def: $vgpr7
	s_branch .LBB54_1339
.LBB54_1311:
	s_mov_b32 s42, -1
	s_mov_b32 s41, 0
	s_mov_b32 s83, s71
                                        ; implicit-def: $vgpr7
	s_branch .LBB54_1334
.LBB54_1312:
	s_mov_b32 s43, -1
	s_mov_b32 s0, s61
	s_mov_b32 s1, exec_lo
	v_cmpx_gt_i32_e64 v2, v0
	s_cbranch_execz .LBB54_1319
; %bb.1313:
	s_delay_alu instid0(VALU_DEP_2) | instskip(SKIP_3) | instid1(VALU_DEP_1)
	v_lshlrev_b64_e32 v[4:5], 2, v[4:5]
	v_dual_ashrrev_i32 v1, 31, v0 :: v_dual_ashrrev_i32 v3, 31, v2
	s_mov_b32 s0, 0
	s_xor_b32 s42, s54, -1
                                        ; implicit-def: $sgpr41
                                        ; implicit-def: $sgpr44
                                        ; implicit-def: $sgpr43
	v_lshl_add_u64 v[0:1], v[0:1], 2, v[4:5]
	v_add_nc_u64_e32 v[4:5], s[30:31], v[4:5]
	s_delay_alu instid0(VALU_DEP_2) | instskip(NEXT) | instid1(VALU_DEP_2)
	v_add_nc_u64_e32 v[0:1], s[30:31], v[0:1]
	v_lshl_add_u64 v[2:3], v[2:3], 2, v[4:5]
	s_delay_alu instid0(VALU_DEP_2)
	v_add_nc_u64_e32 v[0:1], 4, v[0:1]
	s_branch .LBB54_1315
.LBB54_1314:                            ;   in Loop: Header=BB54_1315 Depth=1
	s_or_b32 exec_lo, exec_lo, s45
	s_delay_alu instid0(SALU_CYCLE_1) | instskip(NEXT) | instid1(SALU_CYCLE_1)
	s_and_b32 s45, exec_lo, s44
	s_or_b32 s0, s45, s0
	s_and_not1_b32 s41, s41, exec_lo
	s_and_b32 s45, s43, exec_lo
	s_delay_alu instid0(SALU_CYCLE_1)
	s_or_b32 s41, s41, s45
	s_and_not1_b32 exec_lo, exec_lo, s0
	s_cbranch_execz .LBB54_1318
.LBB54_1315:                            ; =>This Inner Loop Header: Depth=1
	s_or_b32 s43, s43, exec_lo
	s_or_b32 s44, s44, exec_lo
	s_mov_b32 s45, exec_lo
	s_delay_alu instid0(VALU_DEP_1)
	v_cmpx_lt_u64_e64 v[0:1], v[2:3]
	s_cbranch_execz .LBB54_1314
; %bb.1316:                             ;   in Loop: Header=BB54_1315 Depth=1
	global_load_b64 v[4:5], v[0:1], off offset:-4
	s_wait_xcnt 0x0
	v_add_nc_u64_e32 v[0:1], 4, v[0:1]
	s_and_not1_b32 s44, s44, exec_lo
	s_and_not1_b32 s43, s43, exec_lo
	s_wait_loadcnt 0x0
	v_cmp_ge_i32_e32 vcc_lo, v4, v5
	s_or_b32 s46, s42, vcc_lo
	s_delay_alu instid0(SALU_CYCLE_1) | instskip(NEXT) | instid1(SALU_CYCLE_1)
	s_and_b32 s46, s46, exec_lo
	s_or_b32 s44, s44, s46
	s_branch .LBB54_1314
.LBB54_1317:
	s_mov_b32 s42, -1
	s_mov_b32 s41, 0
	s_mov_b32 s83, s71
	s_branch .LBB54_1328
.LBB54_1318:
	s_or_b32 exec_lo, exec_lo, s0
	s_delay_alu instid0(SALU_CYCLE_1)
	s_or_b32 s0, s61, exec_lo
	s_or_not1_b32 s43, s41, exec_lo
.LBB54_1319:
	s_or_b32 exec_lo, exec_lo, s1
	s_mov_b32 s42, 0
	s_mov_b32 s41, s59
	s_and_saveexec_b32 s1, s43
	s_cbranch_execz .LBB54_3590
; %bb.1320:
	v_mul_lo_u32 v0, v22, s16
	s_and_b32 s42, s2, 0xff
	s_delay_alu instid0(SALU_CYCLE_1) | instskip(NEXT) | instid1(VALU_DEP_1)
	s_cmp_lt_i32 s42, 11
	v_ashrrev_i32_e32 v1, 31, v0
	s_delay_alu instid0(VALU_DEP_1)
	v_add_nc_u64_e32 v[0:1], s[4:5], v[0:1]
	s_cbranch_scc1 .LBB54_1453
; %bb.1321:
	s_and_b32 s43, 0xffff, s42
	s_delay_alu instid0(SALU_CYCLE_1)
	s_cmp_gt_i32 s43, 25
	s_cbranch_scc0 .LBB54_1580
; %bb.1322:
	s_cmp_gt_i32 s43, 28
	s_cbranch_scc0 .LBB54_1707
; %bb.1323:
	;; [unrolled: 3-line block ×4, first 2 shown]
	s_mov_b32 s45, 0
	s_mov_b32 s41, -1
	s_cmp_eq_u32 s43, 46
	s_mov_b32 s44, 0
	s_cbranch_scc0 .LBB54_3508
; %bb.1326:
	v_mov_b32_e32 v2, 0
	s_mov_b32 s44, -1
	s_mov_b32 s41, 0
	global_store_b32 v[0:1], v2, off
	s_branch .LBB54_3508
.LBB54_1327:
	s_mov_b32 s41, 0
.LBB54_1328:
                                        ; implicit-def: $vgpr7
.LBB54_1329:
	s_and_b32 vcc_lo, exec_lo, s42
	s_cbranch_vccz .LBB54_1333
; %bb.1330:
	s_cmp_eq_u32 s1, 44
	s_cbranch_scc0 .LBB54_1332
; %bb.1331:
	global_load_u8 v2, v[0:1], off
	s_mov_b32 s83, 0
	s_mov_b32 s41, -1
	s_wait_loadcnt 0x0
	v_lshlrev_b32_e32 v3, 23, v2
	v_cmp_ne_u32_e32 vcc_lo, 0, v2
	s_delay_alu instid0(VALU_DEP_2) | instskip(NEXT) | instid1(VALU_DEP_1)
	v_cvt_i32_f32_e32 v3, v3
	v_cndmask_b32_e32 v7, 0, v3, vcc_lo
	s_branch .LBB54_1333
.LBB54_1332:
	s_mov_b32 s83, -1
                                        ; implicit-def: $vgpr7
.LBB54_1333:
	s_mov_b32 s42, 0
.LBB54_1334:
	s_delay_alu instid0(SALU_CYCLE_1)
	s_and_b32 vcc_lo, exec_lo, s42
	s_cbranch_vccz .LBB54_1338
; %bb.1335:
	s_cmp_eq_u32 s1, 29
	s_cbranch_scc0 .LBB54_1337
; %bb.1336:
	global_load_b32 v7, v[0:1], off
	s_mov_b32 s41, -1
	s_mov_b32 s83, 0
	s_branch .LBB54_1338
.LBB54_1337:
	s_mov_b32 s83, -1
                                        ; implicit-def: $vgpr7
.LBB54_1338:
	s_mov_b32 s42, 0
.LBB54_1339:
	s_delay_alu instid0(SALU_CYCLE_1)
	s_and_b32 vcc_lo, exec_lo, s42
	s_cbranch_vccz .LBB54_1355
; %bb.1340:
	s_cmp_lt_i32 s1, 27
	s_cbranch_scc1 .LBB54_1343
; %bb.1341:
	s_cmp_gt_i32 s1, 27
	s_cbranch_scc0 .LBB54_1344
; %bb.1342:
	s_wait_loadcnt 0x0
	global_load_b32 v7, v[0:1], off
	s_mov_b32 s41, 0
	s_branch .LBB54_1345
.LBB54_1343:
	s_mov_b32 s41, -1
                                        ; implicit-def: $vgpr7
	s_branch .LBB54_1348
.LBB54_1344:
	s_mov_b32 s41, -1
                                        ; implicit-def: $vgpr7
.LBB54_1345:
	s_delay_alu instid0(SALU_CYCLE_1)
	s_and_not1_b32 vcc_lo, exec_lo, s41
	s_cbranch_vccnz .LBB54_1347
; %bb.1346:
	s_wait_loadcnt 0x0
	global_load_u16 v7, v[0:1], off
.LBB54_1347:
	s_mov_b32 s41, 0
.LBB54_1348:
	s_delay_alu instid0(SALU_CYCLE_1)
	s_and_not1_b32 vcc_lo, exec_lo, s41
	s_cbranch_vccnz .LBB54_1354
; %bb.1349:
	global_load_u8 v2, v[0:1], off
	s_mov_b32 s42, 0
	s_mov_b32 s41, exec_lo
	s_wait_loadcnt 0x0
	v_cmpx_lt_i16_e32 0x7f, v2
	s_xor_b32 s41, exec_lo, s41
	s_cbranch_execz .LBB54_1366
; %bb.1350:
	v_cmp_ne_u16_e32 vcc_lo, 0x80, v2
	s_and_b32 s42, vcc_lo, exec_lo
	s_and_not1_saveexec_b32 s41, s41
	s_cbranch_execnz .LBB54_1367
.LBB54_1351:
	s_or_b32 exec_lo, exec_lo, s41
	v_mov_b32_e32 v7, 0
	s_and_saveexec_b32 s41, s42
	s_cbranch_execz .LBB54_1353
.LBB54_1352:
	v_and_b32_e32 v3, 0xffff, v2
	s_delay_alu instid0(VALU_DEP_1) | instskip(SKIP_1) | instid1(VALU_DEP_2)
	v_and_b32_e32 v4, 7, v3
	v_bfe_u32 v7, v3, 3, 4
	v_clz_i32_u32_e32 v5, v4
	s_delay_alu instid0(VALU_DEP_2) | instskip(NEXT) | instid1(VALU_DEP_2)
	v_cmp_eq_u32_e32 vcc_lo, 0, v7
	v_min_u32_e32 v5, 32, v5
	s_delay_alu instid0(VALU_DEP_1) | instskip(NEXT) | instid1(VALU_DEP_1)
	v_subrev_nc_u32_e32 v6, 28, v5
	v_dual_lshlrev_b32 v3, v6, v3 :: v_dual_sub_nc_u32 v5, 29, v5
	s_delay_alu instid0(VALU_DEP_1) | instskip(NEXT) | instid1(VALU_DEP_1)
	v_dual_lshlrev_b32 v2, 24, v2 :: v_dual_bitop2_b32 v3, 7, v3 bitop3:0x40
	v_dual_cndmask_b32 v5, v7, v5, vcc_lo :: v_dual_cndmask_b32 v3, v4, v3, vcc_lo
	s_delay_alu instid0(VALU_DEP_2) | instskip(NEXT) | instid1(VALU_DEP_2)
	v_and_b32_e32 v2, 0x80000000, v2
	v_lshl_add_u32 v4, v5, 23, 0x3b800000
	s_delay_alu instid0(VALU_DEP_3) | instskip(NEXT) | instid1(VALU_DEP_1)
	v_lshlrev_b32_e32 v3, 20, v3
	v_or3_b32 v2, v2, v4, v3
	s_delay_alu instid0(VALU_DEP_1)
	v_cvt_i32_f32_e32 v7, v2
.LBB54_1353:
	s_or_b32 exec_lo, exec_lo, s41
.LBB54_1354:
	s_mov_b32 s41, -1
.LBB54_1355:
	s_mov_b32 s42, 0
.LBB54_1356:
	s_delay_alu instid0(SALU_CYCLE_1)
	s_and_b32 vcc_lo, exec_lo, s42
	s_cbranch_vccz .LBB54_1389
; %bb.1357:
	s_cmp_gt_i32 s1, 22
	s_cbranch_scc0 .LBB54_1365
; %bb.1358:
	s_cmp_lt_i32 s1, 24
	s_cbranch_scc1 .LBB54_1368
; %bb.1359:
	s_cmp_gt_i32 s1, 24
	s_cbranch_scc0 .LBB54_1369
; %bb.1360:
	global_load_u8 v2, v[0:1], off
	s_mov_b32 s42, 0
	s_mov_b32 s41, exec_lo
	s_wait_loadcnt 0x0
	v_cmpx_lt_i16_e32 0x7f, v2
	s_xor_b32 s41, exec_lo, s41
	s_cbranch_execz .LBB54_1381
; %bb.1361:
	v_cmp_ne_u16_e32 vcc_lo, 0x80, v2
	s_and_b32 s42, vcc_lo, exec_lo
	s_and_not1_saveexec_b32 s41, s41
	s_cbranch_execnz .LBB54_1382
.LBB54_1362:
	s_or_b32 exec_lo, exec_lo, s41
	v_mov_b32_e32 v7, 0
	s_and_saveexec_b32 s41, s42
	s_cbranch_execz .LBB54_1364
.LBB54_1363:
	v_and_b32_e32 v3, 0xffff, v2
	s_delay_alu instid0(VALU_DEP_1) | instskip(SKIP_1) | instid1(VALU_DEP_2)
	v_and_b32_e32 v4, 3, v3
	v_bfe_u32 v7, v3, 2, 5
	v_clz_i32_u32_e32 v5, v4
	s_delay_alu instid0(VALU_DEP_2) | instskip(NEXT) | instid1(VALU_DEP_2)
	v_cmp_eq_u32_e32 vcc_lo, 0, v7
	v_min_u32_e32 v5, 32, v5
	s_delay_alu instid0(VALU_DEP_1) | instskip(NEXT) | instid1(VALU_DEP_1)
	v_subrev_nc_u32_e32 v6, 29, v5
	v_dual_lshlrev_b32 v3, v6, v3 :: v_dual_sub_nc_u32 v5, 30, v5
	s_delay_alu instid0(VALU_DEP_1) | instskip(NEXT) | instid1(VALU_DEP_1)
	v_dual_lshlrev_b32 v2, 24, v2 :: v_dual_bitop2_b32 v3, 3, v3 bitop3:0x40
	v_dual_cndmask_b32 v5, v7, v5, vcc_lo :: v_dual_cndmask_b32 v3, v4, v3, vcc_lo
	s_delay_alu instid0(VALU_DEP_2) | instskip(NEXT) | instid1(VALU_DEP_2)
	v_and_b32_e32 v2, 0x80000000, v2
	v_lshl_add_u32 v4, v5, 23, 0x37800000
	s_delay_alu instid0(VALU_DEP_3) | instskip(NEXT) | instid1(VALU_DEP_1)
	v_lshlrev_b32_e32 v3, 21, v3
	v_or3_b32 v2, v2, v4, v3
	s_delay_alu instid0(VALU_DEP_1)
	v_cvt_i32_f32_e32 v7, v2
.LBB54_1364:
	s_or_b32 exec_lo, exec_lo, s41
	s_mov_b32 s41, 0
	s_branch .LBB54_1370
.LBB54_1365:
	s_mov_b32 s42, -1
                                        ; implicit-def: $vgpr7
	s_branch .LBB54_1376
.LBB54_1366:
	s_and_not1_saveexec_b32 s41, s41
	s_cbranch_execz .LBB54_1351
.LBB54_1367:
	v_cmp_ne_u16_e32 vcc_lo, 0, v2
	s_and_not1_b32 s42, s42, exec_lo
	s_and_b32 s43, vcc_lo, exec_lo
	s_delay_alu instid0(SALU_CYCLE_1)
	s_or_b32 s42, s42, s43
	s_or_b32 exec_lo, exec_lo, s41
	v_mov_b32_e32 v7, 0
	s_and_saveexec_b32 s41, s42
	s_cbranch_execnz .LBB54_1352
	s_branch .LBB54_1353
.LBB54_1368:
	s_mov_b32 s41, -1
                                        ; implicit-def: $vgpr7
	s_branch .LBB54_1373
.LBB54_1369:
	s_mov_b32 s41, -1
                                        ; implicit-def: $vgpr7
.LBB54_1370:
	s_delay_alu instid0(SALU_CYCLE_1)
	s_and_b32 vcc_lo, exec_lo, s41
	s_cbranch_vccz .LBB54_1372
; %bb.1371:
	global_load_u8 v2, v[0:1], off
	s_wait_loadcnt 0x0
	v_lshlrev_b32_e32 v2, 24, v2
	s_delay_alu instid0(VALU_DEP_1) | instskip(NEXT) | instid1(VALU_DEP_1)
	v_and_b32_e32 v3, 0x7f000000, v2
	v_clz_i32_u32_e32 v4, v3
	v_cmp_ne_u32_e32 vcc_lo, 0, v3
	v_add_nc_u32_e32 v6, 0x1000000, v3
	s_delay_alu instid0(VALU_DEP_3) | instskip(NEXT) | instid1(VALU_DEP_1)
	v_min_u32_e32 v4, 32, v4
	v_sub_nc_u32_e64 v4, v4, 4 clamp
	s_delay_alu instid0(VALU_DEP_1) | instskip(NEXT) | instid1(VALU_DEP_1)
	v_dual_lshlrev_b32 v5, v4, v3 :: v_dual_lshlrev_b32 v4, 23, v4
	v_lshrrev_b32_e32 v5, 4, v5
	s_delay_alu instid0(VALU_DEP_1) | instskip(NEXT) | instid1(VALU_DEP_1)
	v_dual_sub_nc_u32 v4, v5, v4 :: v_dual_ashrrev_i32 v5, 8, v6
	v_add_nc_u32_e32 v4, 0x3c000000, v4
	s_delay_alu instid0(VALU_DEP_1) | instskip(NEXT) | instid1(VALU_DEP_1)
	v_and_or_b32 v4, 0x7f800000, v5, v4
	v_cndmask_b32_e32 v3, 0, v4, vcc_lo
	s_delay_alu instid0(VALU_DEP_1) | instskip(NEXT) | instid1(VALU_DEP_1)
	v_and_or_b32 v2, 0x80000000, v2, v3
	v_cvt_i32_f32_e32 v7, v2
.LBB54_1372:
	s_mov_b32 s41, 0
.LBB54_1373:
	s_delay_alu instid0(SALU_CYCLE_1)
	s_and_not1_b32 vcc_lo, exec_lo, s41
	s_cbranch_vccnz .LBB54_1375
; %bb.1374:
	global_load_u8 v2, v[0:1], off
	s_wait_loadcnt 0x0
	v_lshlrev_b32_e32 v3, 25, v2
	v_lshlrev_b16 v2, 8, v2
	s_delay_alu instid0(VALU_DEP_1) | instskip(SKIP_1) | instid1(VALU_DEP_2)
	v_and_or_b32 v5, 0x7f00, v2, 0.5
	v_bfe_i32 v2, v2, 0, 16
	v_dual_add_f32 v5, -0.5, v5 :: v_dual_lshrrev_b32 v4, 4, v3
	v_cmp_gt_u32_e32 vcc_lo, 0x8000000, v3
	s_delay_alu instid0(VALU_DEP_2) | instskip(NEXT) | instid1(VALU_DEP_1)
	v_or_b32_e32 v4, 0x70000000, v4
	v_mul_f32_e32 v4, 0x7800000, v4
	s_delay_alu instid0(VALU_DEP_1) | instskip(NEXT) | instid1(VALU_DEP_1)
	v_cndmask_b32_e32 v3, v4, v5, vcc_lo
	v_and_or_b32 v2, 0x80000000, v2, v3
	s_delay_alu instid0(VALU_DEP_1)
	v_cvt_i32_f32_e32 v7, v2
.LBB54_1375:
	s_mov_b32 s42, 0
	s_mov_b32 s41, -1
.LBB54_1376:
	s_and_not1_b32 vcc_lo, exec_lo, s42
	s_cbranch_vccnz .LBB54_1389
; %bb.1377:
	s_cmp_gt_i32 s1, 14
	s_cbranch_scc0 .LBB54_1380
; %bb.1378:
	s_cmp_eq_u32 s1, 15
	s_cbranch_scc0 .LBB54_1383
; %bb.1379:
	global_load_u16 v2, v[0:1], off
	s_mov_b32 s41, -1
	s_mov_b32 s83, 0
	s_wait_loadcnt 0x0
	v_lshlrev_b32_e32 v2, 16, v2
	s_delay_alu instid0(VALU_DEP_1)
	v_cvt_i32_f32_e32 v7, v2
	s_branch .LBB54_1384
.LBB54_1380:
	s_mov_b32 s42, -1
                                        ; implicit-def: $vgpr7
	s_branch .LBB54_1385
.LBB54_1381:
	s_and_not1_saveexec_b32 s41, s41
	s_cbranch_execz .LBB54_1362
.LBB54_1382:
	v_cmp_ne_u16_e32 vcc_lo, 0, v2
	s_and_not1_b32 s42, s42, exec_lo
	s_and_b32 s43, vcc_lo, exec_lo
	s_delay_alu instid0(SALU_CYCLE_1)
	s_or_b32 s42, s42, s43
	s_or_b32 exec_lo, exec_lo, s41
	v_mov_b32_e32 v7, 0
	s_and_saveexec_b32 s41, s42
	s_cbranch_execnz .LBB54_1363
	s_branch .LBB54_1364
.LBB54_1383:
	s_mov_b32 s83, -1
                                        ; implicit-def: $vgpr7
.LBB54_1384:
	s_mov_b32 s42, 0
.LBB54_1385:
	s_delay_alu instid0(SALU_CYCLE_1)
	s_and_b32 vcc_lo, exec_lo, s42
	s_cbranch_vccz .LBB54_1389
; %bb.1386:
	s_cmp_eq_u32 s1, 11
	s_cbranch_scc0 .LBB54_1388
; %bb.1387:
	global_load_u8 v2, v[0:1], off
	s_mov_b32 s83, 0
	s_mov_b32 s41, -1
	s_wait_loadcnt 0x0
	v_cmp_ne_u16_e32 vcc_lo, 0, v2
	v_cndmask_b32_e64 v7, 0, 1, vcc_lo
	s_branch .LBB54_1389
.LBB54_1388:
	s_mov_b32 s83, -1
                                        ; implicit-def: $vgpr7
.LBB54_1389:
	s_mov_b32 s1, 0
.LBB54_1390:
	s_delay_alu instid0(SALU_CYCLE_1)
	s_and_b32 vcc_lo, exec_lo, s1
	s_cbranch_vccz .LBB54_1439
; %bb.1391:
	s_and_b32 s0, 0xffff, s0
	s_delay_alu instid0(SALU_CYCLE_1)
	s_cmp_lt_i32 s0, 5
	s_cbranch_scc1 .LBB54_1396
; %bb.1392:
	s_cmp_lt_i32 s0, 8
	s_cbranch_scc1 .LBB54_1397
; %bb.1393:
	;; [unrolled: 3-line block ×3, first 2 shown]
	s_cmp_gt_i32 s0, 9
	s_cbranch_scc0 .LBB54_1399
; %bb.1395:
	global_load_b64 v[2:3], v[0:1], off
	s_mov_b32 s1, 0
	s_wait_loadcnt 0x0
	v_cvt_i32_f64_e32 v7, v[2:3]
	s_branch .LBB54_1400
.LBB54_1396:
	s_mov_b32 s1, -1
                                        ; implicit-def: $vgpr7
	s_branch .LBB54_1418
.LBB54_1397:
	s_mov_b32 s1, -1
                                        ; implicit-def: $vgpr7
	s_branch .LBB54_1406
.LBB54_1398:
	s_mov_b32 s1, -1
                                        ; implicit-def: $vgpr7
	s_branch .LBB54_1403
.LBB54_1399:
	s_mov_b32 s1, -1
                                        ; implicit-def: $vgpr7
.LBB54_1400:
	s_delay_alu instid0(SALU_CYCLE_1)
	s_and_not1_b32 vcc_lo, exec_lo, s1
	s_cbranch_vccnz .LBB54_1402
; %bb.1401:
	global_load_b32 v2, v[0:1], off
	s_wait_loadcnt 0x0
	v_cvt_i32_f32_e32 v7, v2
.LBB54_1402:
	s_mov_b32 s1, 0
.LBB54_1403:
	s_delay_alu instid0(SALU_CYCLE_1)
	s_and_not1_b32 vcc_lo, exec_lo, s1
	s_cbranch_vccnz .LBB54_1405
; %bb.1404:
	global_load_b32 v2, v[0:1], off
	s_wait_loadcnt 0x0
	v_cvt_f32_f16_e32 v2, v2
	s_delay_alu instid0(VALU_DEP_1)
	v_cvt_i32_f32_e32 v7, v2
.LBB54_1405:
	s_mov_b32 s1, 0
.LBB54_1406:
	s_delay_alu instid0(SALU_CYCLE_1)
	s_and_not1_b32 vcc_lo, exec_lo, s1
	s_cbranch_vccnz .LBB54_1417
; %bb.1407:
	s_cmp_lt_i32 s0, 6
	s_cbranch_scc1 .LBB54_1410
; %bb.1408:
	s_cmp_gt_i32 s0, 6
	s_cbranch_scc0 .LBB54_1411
; %bb.1409:
	global_load_b64 v[2:3], v[0:1], off
	s_mov_b32 s1, 0
	s_wait_loadcnt 0x0
	v_cvt_i32_f64_e32 v7, v[2:3]
	s_branch .LBB54_1412
.LBB54_1410:
	s_mov_b32 s1, -1
                                        ; implicit-def: $vgpr7
	s_branch .LBB54_1415
.LBB54_1411:
	s_mov_b32 s1, -1
                                        ; implicit-def: $vgpr7
.LBB54_1412:
	s_delay_alu instid0(SALU_CYCLE_1)
	s_and_not1_b32 vcc_lo, exec_lo, s1
	s_cbranch_vccnz .LBB54_1414
; %bb.1413:
	global_load_b32 v2, v[0:1], off
	s_wait_loadcnt 0x0
	v_cvt_i32_f32_e32 v7, v2
.LBB54_1414:
	s_mov_b32 s1, 0
.LBB54_1415:
	s_delay_alu instid0(SALU_CYCLE_1)
	s_and_not1_b32 vcc_lo, exec_lo, s1
	s_cbranch_vccnz .LBB54_1417
; %bb.1416:
	global_load_u16 v2, v[0:1], off
	s_wait_loadcnt 0x0
	v_cvt_f32_f16_e32 v2, v2
	s_delay_alu instid0(VALU_DEP_1)
	v_cvt_i32_f32_e32 v7, v2
.LBB54_1417:
	s_mov_b32 s1, 0
.LBB54_1418:
	s_delay_alu instid0(SALU_CYCLE_1)
	s_and_not1_b32 vcc_lo, exec_lo, s1
	s_cbranch_vccnz .LBB54_1438
; %bb.1419:
	s_cmp_lt_i32 s0, 2
	s_cbranch_scc1 .LBB54_1423
; %bb.1420:
	s_cmp_lt_i32 s0, 3
	s_cbranch_scc1 .LBB54_1424
; %bb.1421:
	s_cmp_gt_i32 s0, 3
	s_cbranch_scc0 .LBB54_1425
; %bb.1422:
	s_wait_loadcnt 0x0
	global_load_b32 v7, v[0:1], off
	s_mov_b32 s1, 0
	s_branch .LBB54_1426
.LBB54_1423:
	s_mov_b32 s1, -1
                                        ; implicit-def: $vgpr7
	s_branch .LBB54_1432
.LBB54_1424:
	s_mov_b32 s1, -1
                                        ; implicit-def: $vgpr7
	s_branch .LBB54_1429
.LBB54_1425:
	s_mov_b32 s1, -1
                                        ; implicit-def: $vgpr7
.LBB54_1426:
	s_delay_alu instid0(SALU_CYCLE_1)
	s_and_not1_b32 vcc_lo, exec_lo, s1
	s_cbranch_vccnz .LBB54_1428
; %bb.1427:
	s_wait_loadcnt 0x0
	global_load_b32 v7, v[0:1], off
.LBB54_1428:
	s_mov_b32 s1, 0
.LBB54_1429:
	s_delay_alu instid0(SALU_CYCLE_1)
	s_and_not1_b32 vcc_lo, exec_lo, s1
	s_cbranch_vccnz .LBB54_1431
; %bb.1430:
	s_wait_loadcnt 0x0
	global_load_i16 v7, v[0:1], off
.LBB54_1431:
	s_mov_b32 s1, 0
.LBB54_1432:
	s_delay_alu instid0(SALU_CYCLE_1)
	s_and_not1_b32 vcc_lo, exec_lo, s1
	s_cbranch_vccnz .LBB54_1438
; %bb.1433:
	s_cmp_gt_i32 s0, 0
	s_mov_b32 s0, 0
	s_cbranch_scc0 .LBB54_1435
; %bb.1434:
	s_wait_loadcnt 0x0
	global_load_i8 v7, v[0:1], off
	s_branch .LBB54_1436
.LBB54_1435:
	s_mov_b32 s0, -1
                                        ; implicit-def: $vgpr7
.LBB54_1436:
	s_delay_alu instid0(SALU_CYCLE_1)
	s_and_not1_b32 vcc_lo, exec_lo, s0
	s_cbranch_vccnz .LBB54_1438
; %bb.1437:
	s_wait_loadcnt 0x0
	global_load_u8 v7, v[0:1], off
.LBB54_1438:
	s_mov_b32 s41, -1
.LBB54_1439:
	s_delay_alu instid0(SALU_CYCLE_1)
	s_and_not1_b32 vcc_lo, exec_lo, s41
	s_cbranch_vccnz .LBB54_1447
; %bb.1440:
	s_wait_xcnt 0x0
	v_mul_lo_u32 v0, v22, s18
	s_and_b32 s0, s25, 0xff
	s_delay_alu instid0(SALU_CYCLE_1) | instskip(NEXT) | instid1(VALU_DEP_1)
	s_cmp_lt_i32 s0, 11
	v_ashrrev_i32_e32 v1, 31, v0
	s_delay_alu instid0(VALU_DEP_1)
	v_add_nc_u64_e32 v[0:1], s[8:9], v[0:1]
	s_cbranch_scc1 .LBB54_1448
; %bb.1441:
	s_and_b32 s1, 0xffff, s0
	s_delay_alu instid0(SALU_CYCLE_1)
	s_cmp_gt_i32 s1, 25
	s_cbranch_scc0 .LBB54_1449
; %bb.1442:
	s_cmp_gt_i32 s1, 28
	s_cbranch_scc0 .LBB54_1450
; %bb.1443:
	;; [unrolled: 3-line block ×4, first 2 shown]
	s_cmp_eq_u32 s1, 46
	s_mov_b32 s42, 0
	s_cbranch_scc0 .LBB54_1454
; %bb.1446:
	global_load_b32 v2, v[0:1], off
	s_mov_b32 s41, -1
	s_mov_b32 s84, 0
	s_wait_loadcnt 0x0
	v_lshlrev_b32_e32 v2, 16, v2
	s_delay_alu instid0(VALU_DEP_1)
	v_cvt_i32_f32_e32 v8, v2
	s_branch .LBB54_1456
.LBB54_1447:
	s_mov_b32 s0, 0
	s_mov_b32 s1, s78
	;; [unrolled: 1-line block ×10, first 2 shown]
	s_branch .LBB54_2045
.LBB54_1448:
	s_mov_b32 s1, -1
	s_mov_b32 s41, 0
	s_mov_b32 s84, s73
                                        ; implicit-def: $vgpr8
	s_branch .LBB54_1517
.LBB54_1449:
	s_mov_b32 s42, -1
	s_mov_b32 s41, 0
	s_mov_b32 s84, s73
                                        ; implicit-def: $vgpr8
	s_branch .LBB54_1483
.LBB54_1450:
	s_mov_b32 s42, -1
	s_mov_b32 s41, 0
	s_mov_b32 s84, s73
                                        ; implicit-def: $vgpr8
	s_branch .LBB54_1466
.LBB54_1451:
	s_mov_b32 s42, -1
	s_mov_b32 s41, 0
	s_mov_b32 s84, s73
                                        ; implicit-def: $vgpr8
	s_branch .LBB54_1461
.LBB54_1452:
	s_mov_b32 s42, -1
	s_mov_b32 s41, 0
	s_mov_b32 s84, s73
	s_branch .LBB54_1455
.LBB54_1453:
	s_mov_b32 s43, -1
	s_mov_b32 s44, 0
	s_mov_b32 s41, s59
	s_branch .LBB54_3547
.LBB54_1454:
	s_mov_b32 s84, -1
	s_mov_b32 s41, 0
.LBB54_1455:
                                        ; implicit-def: $vgpr8
.LBB54_1456:
	s_and_b32 vcc_lo, exec_lo, s42
	s_cbranch_vccz .LBB54_1460
; %bb.1457:
	s_cmp_eq_u32 s1, 44
	s_cbranch_scc0 .LBB54_1459
; %bb.1458:
	global_load_u8 v2, v[0:1], off
	s_mov_b32 s84, 0
	s_mov_b32 s41, -1
	s_wait_loadcnt 0x0
	v_lshlrev_b32_e32 v3, 23, v2
	v_cmp_ne_u32_e32 vcc_lo, 0, v2
	s_delay_alu instid0(VALU_DEP_2) | instskip(NEXT) | instid1(VALU_DEP_1)
	v_cvt_i32_f32_e32 v3, v3
	v_cndmask_b32_e32 v8, 0, v3, vcc_lo
	s_branch .LBB54_1460
.LBB54_1459:
	s_mov_b32 s84, -1
                                        ; implicit-def: $vgpr8
.LBB54_1460:
	s_mov_b32 s42, 0
.LBB54_1461:
	s_delay_alu instid0(SALU_CYCLE_1)
	s_and_b32 vcc_lo, exec_lo, s42
	s_cbranch_vccz .LBB54_1465
; %bb.1462:
	s_cmp_eq_u32 s1, 29
	s_cbranch_scc0 .LBB54_1464
; %bb.1463:
	global_load_b32 v8, v[0:1], off
	s_mov_b32 s41, -1
	s_mov_b32 s84, 0
	s_branch .LBB54_1465
.LBB54_1464:
	s_mov_b32 s84, -1
                                        ; implicit-def: $vgpr8
.LBB54_1465:
	s_mov_b32 s42, 0
.LBB54_1466:
	s_delay_alu instid0(SALU_CYCLE_1)
	s_and_b32 vcc_lo, exec_lo, s42
	s_cbranch_vccz .LBB54_1482
; %bb.1467:
	s_cmp_lt_i32 s1, 27
	s_cbranch_scc1 .LBB54_1470
; %bb.1468:
	s_cmp_gt_i32 s1, 27
	s_cbranch_scc0 .LBB54_1471
; %bb.1469:
	s_wait_loadcnt 0x0
	global_load_b32 v8, v[0:1], off
	s_mov_b32 s41, 0
	s_branch .LBB54_1472
.LBB54_1470:
	s_mov_b32 s41, -1
                                        ; implicit-def: $vgpr8
	s_branch .LBB54_1475
.LBB54_1471:
	s_mov_b32 s41, -1
                                        ; implicit-def: $vgpr8
.LBB54_1472:
	s_delay_alu instid0(SALU_CYCLE_1)
	s_and_not1_b32 vcc_lo, exec_lo, s41
	s_cbranch_vccnz .LBB54_1474
; %bb.1473:
	s_wait_loadcnt 0x0
	global_load_u16 v8, v[0:1], off
.LBB54_1474:
	s_mov_b32 s41, 0
.LBB54_1475:
	s_delay_alu instid0(SALU_CYCLE_1)
	s_and_not1_b32 vcc_lo, exec_lo, s41
	s_cbranch_vccnz .LBB54_1481
; %bb.1476:
	global_load_u8 v2, v[0:1], off
	s_mov_b32 s42, 0
	s_mov_b32 s41, exec_lo
	s_wait_loadcnt 0x0
	v_cmpx_lt_i16_e32 0x7f, v2
	s_xor_b32 s41, exec_lo, s41
	s_cbranch_execz .LBB54_1493
; %bb.1477:
	v_cmp_ne_u16_e32 vcc_lo, 0x80, v2
	s_and_b32 s42, vcc_lo, exec_lo
	s_and_not1_saveexec_b32 s41, s41
	s_cbranch_execnz .LBB54_1494
.LBB54_1478:
	s_or_b32 exec_lo, exec_lo, s41
	v_mov_b32_e32 v8, 0
	s_and_saveexec_b32 s41, s42
	s_cbranch_execz .LBB54_1480
.LBB54_1479:
	v_and_b32_e32 v3, 0xffff, v2
	s_delay_alu instid0(VALU_DEP_1) | instskip(SKIP_1) | instid1(VALU_DEP_2)
	v_and_b32_e32 v4, 7, v3
	v_bfe_u32 v8, v3, 3, 4
	v_clz_i32_u32_e32 v5, v4
	s_delay_alu instid0(VALU_DEP_2) | instskip(NEXT) | instid1(VALU_DEP_2)
	v_cmp_eq_u32_e32 vcc_lo, 0, v8
	v_min_u32_e32 v5, 32, v5
	s_delay_alu instid0(VALU_DEP_1) | instskip(NEXT) | instid1(VALU_DEP_1)
	v_subrev_nc_u32_e32 v6, 28, v5
	v_dual_lshlrev_b32 v3, v6, v3 :: v_dual_sub_nc_u32 v5, 29, v5
	s_delay_alu instid0(VALU_DEP_1) | instskip(NEXT) | instid1(VALU_DEP_2)
	v_dual_lshlrev_b32 v2, 24, v2 :: v_dual_bitop2_b32 v3, 7, v3 bitop3:0x40
	v_cndmask_b32_e32 v5, v8, v5, vcc_lo
	s_delay_alu instid0(VALU_DEP_2) | instskip(NEXT) | instid1(VALU_DEP_3)
	v_cndmask_b32_e32 v3, v4, v3, vcc_lo
	v_and_b32_e32 v2, 0x80000000, v2
	s_delay_alu instid0(VALU_DEP_3) | instskip(NEXT) | instid1(VALU_DEP_3)
	v_lshl_add_u32 v4, v5, 23, 0x3b800000
	v_lshlrev_b32_e32 v3, 20, v3
	s_delay_alu instid0(VALU_DEP_1) | instskip(NEXT) | instid1(VALU_DEP_1)
	v_or3_b32 v2, v2, v4, v3
	v_cvt_i32_f32_e32 v8, v2
.LBB54_1480:
	s_or_b32 exec_lo, exec_lo, s41
.LBB54_1481:
	s_mov_b32 s41, -1
.LBB54_1482:
	s_mov_b32 s42, 0
.LBB54_1483:
	s_delay_alu instid0(SALU_CYCLE_1)
	s_and_b32 vcc_lo, exec_lo, s42
	s_cbranch_vccz .LBB54_1516
; %bb.1484:
	s_cmp_gt_i32 s1, 22
	s_cbranch_scc0 .LBB54_1492
; %bb.1485:
	s_cmp_lt_i32 s1, 24
	s_cbranch_scc1 .LBB54_1495
; %bb.1486:
	s_cmp_gt_i32 s1, 24
	s_cbranch_scc0 .LBB54_1496
; %bb.1487:
	global_load_u8 v2, v[0:1], off
	s_mov_b32 s42, 0
	s_mov_b32 s41, exec_lo
	s_wait_loadcnt 0x0
	v_cmpx_lt_i16_e32 0x7f, v2
	s_xor_b32 s41, exec_lo, s41
	s_cbranch_execz .LBB54_1508
; %bb.1488:
	v_cmp_ne_u16_e32 vcc_lo, 0x80, v2
	s_and_b32 s42, vcc_lo, exec_lo
	s_and_not1_saveexec_b32 s41, s41
	s_cbranch_execnz .LBB54_1509
.LBB54_1489:
	s_or_b32 exec_lo, exec_lo, s41
	v_mov_b32_e32 v8, 0
	s_and_saveexec_b32 s41, s42
	s_cbranch_execz .LBB54_1491
.LBB54_1490:
	v_and_b32_e32 v3, 0xffff, v2
	s_delay_alu instid0(VALU_DEP_1) | instskip(SKIP_1) | instid1(VALU_DEP_2)
	v_and_b32_e32 v4, 3, v3
	v_bfe_u32 v8, v3, 2, 5
	v_clz_i32_u32_e32 v5, v4
	s_delay_alu instid0(VALU_DEP_2) | instskip(NEXT) | instid1(VALU_DEP_2)
	v_cmp_eq_u32_e32 vcc_lo, 0, v8
	v_min_u32_e32 v5, 32, v5
	s_delay_alu instid0(VALU_DEP_1) | instskip(NEXT) | instid1(VALU_DEP_1)
	v_subrev_nc_u32_e32 v6, 29, v5
	v_dual_lshlrev_b32 v3, v6, v3 :: v_dual_sub_nc_u32 v5, 30, v5
	s_delay_alu instid0(VALU_DEP_1) | instskip(NEXT) | instid1(VALU_DEP_2)
	v_dual_lshlrev_b32 v2, 24, v2 :: v_dual_bitop2_b32 v3, 3, v3 bitop3:0x40
	v_cndmask_b32_e32 v5, v8, v5, vcc_lo
	s_delay_alu instid0(VALU_DEP_2) | instskip(NEXT) | instid1(VALU_DEP_3)
	v_cndmask_b32_e32 v3, v4, v3, vcc_lo
	v_and_b32_e32 v2, 0x80000000, v2
	s_delay_alu instid0(VALU_DEP_3) | instskip(NEXT) | instid1(VALU_DEP_3)
	v_lshl_add_u32 v4, v5, 23, 0x37800000
	v_lshlrev_b32_e32 v3, 21, v3
	s_delay_alu instid0(VALU_DEP_1) | instskip(NEXT) | instid1(VALU_DEP_1)
	v_or3_b32 v2, v2, v4, v3
	v_cvt_i32_f32_e32 v8, v2
.LBB54_1491:
	s_or_b32 exec_lo, exec_lo, s41
	s_mov_b32 s41, 0
	s_branch .LBB54_1497
.LBB54_1492:
	s_mov_b32 s42, -1
                                        ; implicit-def: $vgpr8
	s_branch .LBB54_1503
.LBB54_1493:
	s_and_not1_saveexec_b32 s41, s41
	s_cbranch_execz .LBB54_1478
.LBB54_1494:
	v_cmp_ne_u16_e32 vcc_lo, 0, v2
	s_and_not1_b32 s42, s42, exec_lo
	s_and_b32 s43, vcc_lo, exec_lo
	s_delay_alu instid0(SALU_CYCLE_1)
	s_or_b32 s42, s42, s43
	s_or_b32 exec_lo, exec_lo, s41
	v_mov_b32_e32 v8, 0
	s_and_saveexec_b32 s41, s42
	s_cbranch_execnz .LBB54_1479
	s_branch .LBB54_1480
.LBB54_1495:
	s_mov_b32 s41, -1
                                        ; implicit-def: $vgpr8
	s_branch .LBB54_1500
.LBB54_1496:
	s_mov_b32 s41, -1
                                        ; implicit-def: $vgpr8
.LBB54_1497:
	s_delay_alu instid0(SALU_CYCLE_1)
	s_and_b32 vcc_lo, exec_lo, s41
	s_cbranch_vccz .LBB54_1499
; %bb.1498:
	global_load_u8 v2, v[0:1], off
	s_wait_loadcnt 0x0
	v_lshlrev_b32_e32 v2, 24, v2
	s_delay_alu instid0(VALU_DEP_1) | instskip(NEXT) | instid1(VALU_DEP_1)
	v_and_b32_e32 v3, 0x7f000000, v2
	v_clz_i32_u32_e32 v4, v3
	v_cmp_ne_u32_e32 vcc_lo, 0, v3
	v_add_nc_u32_e32 v6, 0x1000000, v3
	s_delay_alu instid0(VALU_DEP_3) | instskip(NEXT) | instid1(VALU_DEP_1)
	v_min_u32_e32 v4, 32, v4
	v_sub_nc_u32_e64 v4, v4, 4 clamp
	s_delay_alu instid0(VALU_DEP_1) | instskip(NEXT) | instid1(VALU_DEP_1)
	v_dual_lshlrev_b32 v5, v4, v3 :: v_dual_lshlrev_b32 v4, 23, v4
	v_lshrrev_b32_e32 v5, 4, v5
	s_delay_alu instid0(VALU_DEP_1) | instskip(NEXT) | instid1(VALU_DEP_1)
	v_dual_sub_nc_u32 v4, v5, v4 :: v_dual_ashrrev_i32 v5, 8, v6
	v_add_nc_u32_e32 v4, 0x3c000000, v4
	s_delay_alu instid0(VALU_DEP_1) | instskip(NEXT) | instid1(VALU_DEP_1)
	v_and_or_b32 v4, 0x7f800000, v5, v4
	v_cndmask_b32_e32 v3, 0, v4, vcc_lo
	s_delay_alu instid0(VALU_DEP_1) | instskip(NEXT) | instid1(VALU_DEP_1)
	v_and_or_b32 v2, 0x80000000, v2, v3
	v_cvt_i32_f32_e32 v8, v2
.LBB54_1499:
	s_mov_b32 s41, 0
.LBB54_1500:
	s_delay_alu instid0(SALU_CYCLE_1)
	s_and_not1_b32 vcc_lo, exec_lo, s41
	s_cbranch_vccnz .LBB54_1502
; %bb.1501:
	global_load_u8 v2, v[0:1], off
	s_wait_loadcnt 0x0
	v_lshlrev_b32_e32 v3, 25, v2
	v_lshlrev_b16 v2, 8, v2
	s_delay_alu instid0(VALU_DEP_1) | instskip(SKIP_1) | instid1(VALU_DEP_2)
	v_and_or_b32 v5, 0x7f00, v2, 0.5
	v_bfe_i32 v2, v2, 0, 16
	v_dual_add_f32 v5, -0.5, v5 :: v_dual_lshrrev_b32 v4, 4, v3
	v_cmp_gt_u32_e32 vcc_lo, 0x8000000, v3
	s_delay_alu instid0(VALU_DEP_2) | instskip(NEXT) | instid1(VALU_DEP_1)
	v_or_b32_e32 v4, 0x70000000, v4
	v_mul_f32_e32 v4, 0x7800000, v4
	s_delay_alu instid0(VALU_DEP_1) | instskip(NEXT) | instid1(VALU_DEP_1)
	v_cndmask_b32_e32 v3, v4, v5, vcc_lo
	v_and_or_b32 v2, 0x80000000, v2, v3
	s_delay_alu instid0(VALU_DEP_1)
	v_cvt_i32_f32_e32 v8, v2
.LBB54_1502:
	s_mov_b32 s42, 0
	s_mov_b32 s41, -1
.LBB54_1503:
	s_and_not1_b32 vcc_lo, exec_lo, s42
	s_cbranch_vccnz .LBB54_1516
; %bb.1504:
	s_cmp_gt_i32 s1, 14
	s_cbranch_scc0 .LBB54_1507
; %bb.1505:
	s_cmp_eq_u32 s1, 15
	s_cbranch_scc0 .LBB54_1510
; %bb.1506:
	global_load_u16 v2, v[0:1], off
	s_mov_b32 s41, -1
	s_mov_b32 s84, 0
	s_wait_loadcnt 0x0
	v_lshlrev_b32_e32 v2, 16, v2
	s_delay_alu instid0(VALU_DEP_1)
	v_cvt_i32_f32_e32 v8, v2
	s_branch .LBB54_1511
.LBB54_1507:
	s_mov_b32 s42, -1
                                        ; implicit-def: $vgpr8
	s_branch .LBB54_1512
.LBB54_1508:
	s_and_not1_saveexec_b32 s41, s41
	s_cbranch_execz .LBB54_1489
.LBB54_1509:
	v_cmp_ne_u16_e32 vcc_lo, 0, v2
	s_and_not1_b32 s42, s42, exec_lo
	s_and_b32 s43, vcc_lo, exec_lo
	s_delay_alu instid0(SALU_CYCLE_1)
	s_or_b32 s42, s42, s43
	s_or_b32 exec_lo, exec_lo, s41
	v_mov_b32_e32 v8, 0
	s_and_saveexec_b32 s41, s42
	s_cbranch_execnz .LBB54_1490
	s_branch .LBB54_1491
.LBB54_1510:
	s_mov_b32 s84, -1
                                        ; implicit-def: $vgpr8
.LBB54_1511:
	s_mov_b32 s42, 0
.LBB54_1512:
	s_delay_alu instid0(SALU_CYCLE_1)
	s_and_b32 vcc_lo, exec_lo, s42
	s_cbranch_vccz .LBB54_1516
; %bb.1513:
	s_cmp_eq_u32 s1, 11
	s_cbranch_scc0 .LBB54_1515
; %bb.1514:
	global_load_u8 v2, v[0:1], off
	s_mov_b32 s84, 0
	s_mov_b32 s41, -1
	s_wait_loadcnt 0x0
	v_cmp_ne_u16_e32 vcc_lo, 0, v2
	v_cndmask_b32_e64 v8, 0, 1, vcc_lo
	s_branch .LBB54_1516
.LBB54_1515:
	s_mov_b32 s84, -1
                                        ; implicit-def: $vgpr8
.LBB54_1516:
	s_mov_b32 s1, 0
.LBB54_1517:
	s_delay_alu instid0(SALU_CYCLE_1)
	s_and_b32 vcc_lo, exec_lo, s1
	s_cbranch_vccz .LBB54_1566
; %bb.1518:
	s_and_b32 s0, 0xffff, s0
	s_delay_alu instid0(SALU_CYCLE_1)
	s_cmp_lt_i32 s0, 5
	s_cbranch_scc1 .LBB54_1523
; %bb.1519:
	s_cmp_lt_i32 s0, 8
	s_cbranch_scc1 .LBB54_1524
; %bb.1520:
	;; [unrolled: 3-line block ×3, first 2 shown]
	s_cmp_gt_i32 s0, 9
	s_cbranch_scc0 .LBB54_1526
; %bb.1522:
	global_load_b64 v[2:3], v[0:1], off
	s_mov_b32 s1, 0
	s_wait_loadcnt 0x0
	v_cvt_i32_f64_e32 v8, v[2:3]
	s_branch .LBB54_1527
.LBB54_1523:
	s_mov_b32 s1, -1
                                        ; implicit-def: $vgpr8
	s_branch .LBB54_1545
.LBB54_1524:
	s_mov_b32 s1, -1
                                        ; implicit-def: $vgpr8
	s_branch .LBB54_1533
.LBB54_1525:
	s_mov_b32 s1, -1
                                        ; implicit-def: $vgpr8
	s_branch .LBB54_1530
.LBB54_1526:
	s_mov_b32 s1, -1
                                        ; implicit-def: $vgpr8
.LBB54_1527:
	s_delay_alu instid0(SALU_CYCLE_1)
	s_and_not1_b32 vcc_lo, exec_lo, s1
	s_cbranch_vccnz .LBB54_1529
; %bb.1528:
	global_load_b32 v2, v[0:1], off
	s_wait_loadcnt 0x0
	v_cvt_i32_f32_e32 v8, v2
.LBB54_1529:
	s_mov_b32 s1, 0
.LBB54_1530:
	s_delay_alu instid0(SALU_CYCLE_1)
	s_and_not1_b32 vcc_lo, exec_lo, s1
	s_cbranch_vccnz .LBB54_1532
; %bb.1531:
	global_load_b32 v2, v[0:1], off
	s_wait_loadcnt 0x0
	v_cvt_f32_f16_e32 v2, v2
	s_delay_alu instid0(VALU_DEP_1)
	v_cvt_i32_f32_e32 v8, v2
.LBB54_1532:
	s_mov_b32 s1, 0
.LBB54_1533:
	s_delay_alu instid0(SALU_CYCLE_1)
	s_and_not1_b32 vcc_lo, exec_lo, s1
	s_cbranch_vccnz .LBB54_1544
; %bb.1534:
	s_cmp_lt_i32 s0, 6
	s_cbranch_scc1 .LBB54_1537
; %bb.1535:
	s_cmp_gt_i32 s0, 6
	s_cbranch_scc0 .LBB54_1538
; %bb.1536:
	global_load_b64 v[2:3], v[0:1], off
	s_mov_b32 s1, 0
	s_wait_loadcnt 0x0
	v_cvt_i32_f64_e32 v8, v[2:3]
	s_branch .LBB54_1539
.LBB54_1537:
	s_mov_b32 s1, -1
                                        ; implicit-def: $vgpr8
	s_branch .LBB54_1542
.LBB54_1538:
	s_mov_b32 s1, -1
                                        ; implicit-def: $vgpr8
.LBB54_1539:
	s_delay_alu instid0(SALU_CYCLE_1)
	s_and_not1_b32 vcc_lo, exec_lo, s1
	s_cbranch_vccnz .LBB54_1541
; %bb.1540:
	global_load_b32 v2, v[0:1], off
	s_wait_loadcnt 0x0
	v_cvt_i32_f32_e32 v8, v2
.LBB54_1541:
	s_mov_b32 s1, 0
.LBB54_1542:
	s_delay_alu instid0(SALU_CYCLE_1)
	s_and_not1_b32 vcc_lo, exec_lo, s1
	s_cbranch_vccnz .LBB54_1544
; %bb.1543:
	global_load_u16 v2, v[0:1], off
	s_wait_loadcnt 0x0
	v_cvt_f32_f16_e32 v2, v2
	s_delay_alu instid0(VALU_DEP_1)
	v_cvt_i32_f32_e32 v8, v2
.LBB54_1544:
	s_mov_b32 s1, 0
.LBB54_1545:
	s_delay_alu instid0(SALU_CYCLE_1)
	s_and_not1_b32 vcc_lo, exec_lo, s1
	s_cbranch_vccnz .LBB54_1565
; %bb.1546:
	s_cmp_lt_i32 s0, 2
	s_cbranch_scc1 .LBB54_1550
; %bb.1547:
	s_cmp_lt_i32 s0, 3
	s_cbranch_scc1 .LBB54_1551
; %bb.1548:
	s_cmp_gt_i32 s0, 3
	s_cbranch_scc0 .LBB54_1552
; %bb.1549:
	s_wait_loadcnt 0x0
	global_load_b32 v8, v[0:1], off
	s_mov_b32 s1, 0
	s_branch .LBB54_1553
.LBB54_1550:
	s_mov_b32 s1, -1
                                        ; implicit-def: $vgpr8
	s_branch .LBB54_1559
.LBB54_1551:
	s_mov_b32 s1, -1
                                        ; implicit-def: $vgpr8
	s_branch .LBB54_1556
.LBB54_1552:
	s_mov_b32 s1, -1
                                        ; implicit-def: $vgpr8
.LBB54_1553:
	s_delay_alu instid0(SALU_CYCLE_1)
	s_and_not1_b32 vcc_lo, exec_lo, s1
	s_cbranch_vccnz .LBB54_1555
; %bb.1554:
	s_wait_loadcnt 0x0
	global_load_b32 v8, v[0:1], off
.LBB54_1555:
	s_mov_b32 s1, 0
.LBB54_1556:
	s_delay_alu instid0(SALU_CYCLE_1)
	s_and_not1_b32 vcc_lo, exec_lo, s1
	s_cbranch_vccnz .LBB54_1558
; %bb.1557:
	s_wait_loadcnt 0x0
	global_load_i16 v8, v[0:1], off
.LBB54_1558:
	s_mov_b32 s1, 0
.LBB54_1559:
	s_delay_alu instid0(SALU_CYCLE_1)
	s_and_not1_b32 vcc_lo, exec_lo, s1
	s_cbranch_vccnz .LBB54_1565
; %bb.1560:
	s_cmp_gt_i32 s0, 0
	s_mov_b32 s0, 0
	s_cbranch_scc0 .LBB54_1562
; %bb.1561:
	s_wait_loadcnt 0x0
	global_load_i8 v8, v[0:1], off
	s_branch .LBB54_1563
.LBB54_1562:
	s_mov_b32 s0, -1
                                        ; implicit-def: $vgpr8
.LBB54_1563:
	s_delay_alu instid0(SALU_CYCLE_1)
	s_and_not1_b32 vcc_lo, exec_lo, s0
	s_cbranch_vccnz .LBB54_1565
; %bb.1564:
	s_wait_loadcnt 0x0
	global_load_u8 v8, v[0:1], off
.LBB54_1565:
	s_mov_b32 s41, -1
.LBB54_1566:
	s_delay_alu instid0(SALU_CYCLE_1)
	s_and_not1_b32 vcc_lo, exec_lo, s41
	s_cbranch_vccnz .LBB54_1574
; %bb.1567:
	s_wait_xcnt 0x0
	v_mul_lo_u32 v0, v22, s19
	s_and_b32 s0, s34, 0xff
	s_delay_alu instid0(SALU_CYCLE_1) | instskip(NEXT) | instid1(VALU_DEP_1)
	s_cmp_lt_i32 s0, 11
	v_ashrrev_i32_e32 v1, 31, v0
	s_delay_alu instid0(VALU_DEP_1)
	v_add_nc_u64_e32 v[2:3], s[10:11], v[0:1]
	s_cbranch_scc1 .LBB54_1575
; %bb.1568:
	s_and_b32 s1, 0xffff, s0
	s_delay_alu instid0(SALU_CYCLE_1)
	s_cmp_gt_i32 s1, 25
	s_cbranch_scc0 .LBB54_1576
; %bb.1569:
	s_cmp_gt_i32 s1, 28
	s_cbranch_scc0 .LBB54_1577
; %bb.1570:
	;; [unrolled: 3-line block ×4, first 2 shown]
	s_cmp_eq_u32 s1, 46
	s_mov_b32 s42, 0
	s_cbranch_scc0 .LBB54_1581
; %bb.1573:
	global_load_b32 v0, v[2:3], off
	s_mov_b32 s41, -1
	s_mov_b32 s85, 0
	s_wait_loadcnt 0x0
	v_lshlrev_b32_e32 v0, 16, v0
	s_delay_alu instid0(VALU_DEP_1)
	v_cvt_i32_f32_e32 v0, v0
	s_branch .LBB54_1583
.LBB54_1574:
	s_mov_b32 s0, 0
	s_mov_b32 s1, s78
	;; [unrolled: 1-line block ×9, first 2 shown]
	s_branch .LBB54_2045
.LBB54_1575:
	s_mov_b32 s1, -1
	s_mov_b32 s41, 0
	s_mov_b32 s85, s72
                                        ; implicit-def: $vgpr0
	s_branch .LBB54_1644
.LBB54_1576:
	s_mov_b32 s42, -1
	s_mov_b32 s41, 0
	s_mov_b32 s85, s72
                                        ; implicit-def: $vgpr0
	s_branch .LBB54_1610
.LBB54_1577:
	s_mov_b32 s42, -1
	s_mov_b32 s41, 0
	s_mov_b32 s85, s72
                                        ; implicit-def: $vgpr0
	s_branch .LBB54_1593
.LBB54_1578:
	s_mov_b32 s42, -1
	s_mov_b32 s41, 0
	s_mov_b32 s85, s72
                                        ; implicit-def: $vgpr0
	s_branch .LBB54_1588
.LBB54_1579:
	s_mov_b32 s42, -1
	s_mov_b32 s41, 0
	s_mov_b32 s85, s72
	s_branch .LBB54_1582
.LBB54_1580:
	s_mov_b32 s45, -1
	s_mov_b32 s44, 0
	s_mov_b32 s41, s59
	s_branch .LBB54_3527
.LBB54_1581:
	s_mov_b32 s85, -1
	s_mov_b32 s41, 0
.LBB54_1582:
                                        ; implicit-def: $vgpr0
.LBB54_1583:
	s_and_b32 vcc_lo, exec_lo, s42
	s_cbranch_vccz .LBB54_1587
; %bb.1584:
	s_cmp_eq_u32 s1, 44
	s_cbranch_scc0 .LBB54_1586
; %bb.1585:
	global_load_u8 v0, v[2:3], off
	s_mov_b32 s85, 0
	s_mov_b32 s41, -1
	s_wait_loadcnt 0x0
	v_lshlrev_b32_e32 v1, 23, v0
	v_cmp_ne_u32_e32 vcc_lo, 0, v0
	s_delay_alu instid0(VALU_DEP_2) | instskip(NEXT) | instid1(VALU_DEP_1)
	v_cvt_i32_f32_e32 v1, v1
	v_cndmask_b32_e32 v0, 0, v1, vcc_lo
	s_branch .LBB54_1587
.LBB54_1586:
	s_mov_b32 s85, -1
                                        ; implicit-def: $vgpr0
.LBB54_1587:
	s_mov_b32 s42, 0
.LBB54_1588:
	s_delay_alu instid0(SALU_CYCLE_1)
	s_and_b32 vcc_lo, exec_lo, s42
	s_cbranch_vccz .LBB54_1592
; %bb.1589:
	s_cmp_eq_u32 s1, 29
	s_cbranch_scc0 .LBB54_1591
; %bb.1590:
	global_load_b32 v0, v[2:3], off
	s_mov_b32 s41, -1
	s_mov_b32 s85, 0
	s_branch .LBB54_1592
.LBB54_1591:
	s_mov_b32 s85, -1
                                        ; implicit-def: $vgpr0
.LBB54_1592:
	s_mov_b32 s42, 0
.LBB54_1593:
	s_delay_alu instid0(SALU_CYCLE_1)
	s_and_b32 vcc_lo, exec_lo, s42
	s_cbranch_vccz .LBB54_1609
; %bb.1594:
	s_cmp_lt_i32 s1, 27
	s_cbranch_scc1 .LBB54_1597
; %bb.1595:
	s_cmp_gt_i32 s1, 27
	s_cbranch_scc0 .LBB54_1598
; %bb.1596:
	s_wait_loadcnt 0x0
	global_load_b32 v0, v[2:3], off
	s_mov_b32 s41, 0
	s_branch .LBB54_1599
.LBB54_1597:
	s_mov_b32 s41, -1
                                        ; implicit-def: $vgpr0
	s_branch .LBB54_1602
.LBB54_1598:
	s_mov_b32 s41, -1
                                        ; implicit-def: $vgpr0
.LBB54_1599:
	s_delay_alu instid0(SALU_CYCLE_1)
	s_and_not1_b32 vcc_lo, exec_lo, s41
	s_cbranch_vccnz .LBB54_1601
; %bb.1600:
	s_wait_loadcnt 0x0
	global_load_u16 v0, v[2:3], off
.LBB54_1601:
	s_mov_b32 s41, 0
.LBB54_1602:
	s_delay_alu instid0(SALU_CYCLE_1)
	s_and_not1_b32 vcc_lo, exec_lo, s41
	s_cbranch_vccnz .LBB54_1608
; %bb.1603:
	global_load_u8 v1, v[2:3], off
	s_mov_b32 s42, 0
	s_mov_b32 s41, exec_lo
	s_wait_loadcnt 0x0
	v_cmpx_lt_i16_e32 0x7f, v1
	s_xor_b32 s41, exec_lo, s41
	s_cbranch_execz .LBB54_1620
; %bb.1604:
	v_cmp_ne_u16_e32 vcc_lo, 0x80, v1
	s_and_b32 s42, vcc_lo, exec_lo
	s_and_not1_saveexec_b32 s41, s41
	s_cbranch_execnz .LBB54_1621
.LBB54_1605:
	s_or_b32 exec_lo, exec_lo, s41
	v_mov_b32_e32 v0, 0
	s_and_saveexec_b32 s41, s42
	s_cbranch_execz .LBB54_1607
.LBB54_1606:
	v_and_b32_e32 v0, 0xffff, v1
	s_delay_alu instid0(VALU_DEP_1) | instskip(SKIP_1) | instid1(VALU_DEP_2)
	v_and_b32_e32 v4, 7, v0
	v_bfe_u32 v9, v0, 3, 4
	v_clz_i32_u32_e32 v5, v4
	s_delay_alu instid0(VALU_DEP_2) | instskip(NEXT) | instid1(VALU_DEP_2)
	v_cmp_eq_u32_e32 vcc_lo, 0, v9
	v_min_u32_e32 v5, 32, v5
	s_delay_alu instid0(VALU_DEP_1) | instskip(NEXT) | instid1(VALU_DEP_1)
	v_subrev_nc_u32_e32 v6, 28, v5
	v_dual_lshlrev_b32 v0, v6, v0 :: v_dual_sub_nc_u32 v5, 29, v5
	s_delay_alu instid0(VALU_DEP_1) | instskip(NEXT) | instid1(VALU_DEP_1)
	v_dual_lshlrev_b32 v1, 24, v1 :: v_dual_bitop2_b32 v0, 7, v0 bitop3:0x40
	v_dual_cndmask_b32 v0, v4, v0 :: v_dual_cndmask_b32 v5, v9, v5
	s_delay_alu instid0(VALU_DEP_2) | instskip(NEXT) | instid1(VALU_DEP_2)
	v_and_b32_e32 v1, 0x80000000, v1
	v_lshlrev_b32_e32 v0, 20, v0
	s_delay_alu instid0(VALU_DEP_3) | instskip(NEXT) | instid1(VALU_DEP_1)
	v_lshl_add_u32 v4, v5, 23, 0x3b800000
	v_or3_b32 v0, v1, v4, v0
	s_delay_alu instid0(VALU_DEP_1)
	v_cvt_i32_f32_e32 v0, v0
.LBB54_1607:
	s_or_b32 exec_lo, exec_lo, s41
.LBB54_1608:
	s_mov_b32 s41, -1
.LBB54_1609:
	s_mov_b32 s42, 0
.LBB54_1610:
	s_delay_alu instid0(SALU_CYCLE_1)
	s_and_b32 vcc_lo, exec_lo, s42
	s_cbranch_vccz .LBB54_1643
; %bb.1611:
	s_cmp_gt_i32 s1, 22
	s_cbranch_scc0 .LBB54_1619
; %bb.1612:
	s_cmp_lt_i32 s1, 24
	s_cbranch_scc1 .LBB54_1622
; %bb.1613:
	s_cmp_gt_i32 s1, 24
	s_cbranch_scc0 .LBB54_1623
; %bb.1614:
	global_load_u8 v1, v[2:3], off
	s_mov_b32 s42, 0
	s_mov_b32 s41, exec_lo
	s_wait_loadcnt 0x0
	v_cmpx_lt_i16_e32 0x7f, v1
	s_xor_b32 s41, exec_lo, s41
	s_cbranch_execz .LBB54_1635
; %bb.1615:
	v_cmp_ne_u16_e32 vcc_lo, 0x80, v1
	s_and_b32 s42, vcc_lo, exec_lo
	s_and_not1_saveexec_b32 s41, s41
	s_cbranch_execnz .LBB54_1636
.LBB54_1616:
	s_or_b32 exec_lo, exec_lo, s41
	v_mov_b32_e32 v0, 0
	s_and_saveexec_b32 s41, s42
	s_cbranch_execz .LBB54_1618
.LBB54_1617:
	v_and_b32_e32 v0, 0xffff, v1
	s_delay_alu instid0(VALU_DEP_1) | instskip(SKIP_1) | instid1(VALU_DEP_2)
	v_and_b32_e32 v4, 3, v0
	v_bfe_u32 v9, v0, 2, 5
	v_clz_i32_u32_e32 v5, v4
	s_delay_alu instid0(VALU_DEP_2) | instskip(NEXT) | instid1(VALU_DEP_2)
	v_cmp_eq_u32_e32 vcc_lo, 0, v9
	v_min_u32_e32 v5, 32, v5
	s_delay_alu instid0(VALU_DEP_1) | instskip(NEXT) | instid1(VALU_DEP_1)
	v_subrev_nc_u32_e32 v6, 29, v5
	v_dual_lshlrev_b32 v0, v6, v0 :: v_dual_sub_nc_u32 v5, 30, v5
	s_delay_alu instid0(VALU_DEP_1) | instskip(NEXT) | instid1(VALU_DEP_1)
	v_dual_lshlrev_b32 v1, 24, v1 :: v_dual_bitop2_b32 v0, 3, v0 bitop3:0x40
	v_dual_cndmask_b32 v0, v4, v0 :: v_dual_cndmask_b32 v5, v9, v5
	s_delay_alu instid0(VALU_DEP_2) | instskip(NEXT) | instid1(VALU_DEP_2)
	v_and_b32_e32 v1, 0x80000000, v1
	v_lshlrev_b32_e32 v0, 21, v0
	s_delay_alu instid0(VALU_DEP_3) | instskip(NEXT) | instid1(VALU_DEP_1)
	v_lshl_add_u32 v4, v5, 23, 0x37800000
	v_or3_b32 v0, v1, v4, v0
	s_delay_alu instid0(VALU_DEP_1)
	v_cvt_i32_f32_e32 v0, v0
.LBB54_1618:
	s_or_b32 exec_lo, exec_lo, s41
	s_mov_b32 s41, 0
	s_branch .LBB54_1624
.LBB54_1619:
	s_mov_b32 s42, -1
                                        ; implicit-def: $vgpr0
	s_branch .LBB54_1630
.LBB54_1620:
	s_and_not1_saveexec_b32 s41, s41
	s_cbranch_execz .LBB54_1605
.LBB54_1621:
	v_cmp_ne_u16_e32 vcc_lo, 0, v1
	s_and_not1_b32 s42, s42, exec_lo
	s_and_b32 s43, vcc_lo, exec_lo
	s_delay_alu instid0(SALU_CYCLE_1)
	s_or_b32 s42, s42, s43
	s_or_b32 exec_lo, exec_lo, s41
	v_mov_b32_e32 v0, 0
	s_and_saveexec_b32 s41, s42
	s_cbranch_execnz .LBB54_1606
	s_branch .LBB54_1607
.LBB54_1622:
	s_mov_b32 s41, -1
                                        ; implicit-def: $vgpr0
	s_branch .LBB54_1627
.LBB54_1623:
	s_mov_b32 s41, -1
                                        ; implicit-def: $vgpr0
.LBB54_1624:
	s_delay_alu instid0(SALU_CYCLE_1)
	s_and_b32 vcc_lo, exec_lo, s41
	s_cbranch_vccz .LBB54_1626
; %bb.1625:
	s_wait_loadcnt 0x0
	global_load_u8 v0, v[2:3], off
	s_wait_loadcnt 0x0
	v_lshlrev_b32_e32 v0, 24, v0
	s_delay_alu instid0(VALU_DEP_1) | instskip(NEXT) | instid1(VALU_DEP_1)
	v_and_b32_e32 v1, 0x7f000000, v0
	v_clz_i32_u32_e32 v4, v1
	v_cmp_ne_u32_e32 vcc_lo, 0, v1
	v_add_nc_u32_e32 v6, 0x1000000, v1
	s_delay_alu instid0(VALU_DEP_3) | instskip(NEXT) | instid1(VALU_DEP_1)
	v_min_u32_e32 v4, 32, v4
	v_sub_nc_u32_e64 v4, v4, 4 clamp
	s_delay_alu instid0(VALU_DEP_1) | instskip(NEXT) | instid1(VALU_DEP_1)
	v_dual_lshlrev_b32 v5, v4, v1 :: v_dual_lshlrev_b32 v4, 23, v4
	v_lshrrev_b32_e32 v5, 4, v5
	s_delay_alu instid0(VALU_DEP_1) | instskip(NEXT) | instid1(VALU_DEP_1)
	v_dual_sub_nc_u32 v4, v5, v4 :: v_dual_ashrrev_i32 v5, 8, v6
	v_add_nc_u32_e32 v4, 0x3c000000, v4
	s_delay_alu instid0(VALU_DEP_1) | instskip(NEXT) | instid1(VALU_DEP_1)
	v_and_or_b32 v4, 0x7f800000, v5, v4
	v_cndmask_b32_e32 v1, 0, v4, vcc_lo
	s_delay_alu instid0(VALU_DEP_1) | instskip(NEXT) | instid1(VALU_DEP_1)
	v_and_or_b32 v0, 0x80000000, v0, v1
	v_cvt_i32_f32_e32 v0, v0
.LBB54_1626:
	s_mov_b32 s41, 0
.LBB54_1627:
	s_delay_alu instid0(SALU_CYCLE_1)
	s_and_not1_b32 vcc_lo, exec_lo, s41
	s_cbranch_vccnz .LBB54_1629
; %bb.1628:
	s_wait_loadcnt 0x0
	global_load_u8 v0, v[2:3], off
	s_wait_loadcnt 0x0
	v_lshlrev_b32_e32 v1, 25, v0
	v_lshlrev_b16 v0, 8, v0
	s_delay_alu instid0(VALU_DEP_1) | instskip(SKIP_1) | instid1(VALU_DEP_2)
	v_and_or_b32 v5, 0x7f00, v0, 0.5
	v_bfe_i32 v0, v0, 0, 16
	v_add_f32_e32 v5, -0.5, v5
	v_lshrrev_b32_e32 v4, 4, v1
	v_cmp_gt_u32_e32 vcc_lo, 0x8000000, v1
	s_delay_alu instid0(VALU_DEP_2) | instskip(NEXT) | instid1(VALU_DEP_1)
	v_or_b32_e32 v4, 0x70000000, v4
	v_mul_f32_e32 v4, 0x7800000, v4
	s_delay_alu instid0(VALU_DEP_1) | instskip(NEXT) | instid1(VALU_DEP_1)
	v_cndmask_b32_e32 v1, v4, v5, vcc_lo
	v_and_or_b32 v0, 0x80000000, v0, v1
	s_delay_alu instid0(VALU_DEP_1)
	v_cvt_i32_f32_e32 v0, v0
.LBB54_1629:
	s_mov_b32 s42, 0
	s_mov_b32 s41, -1
.LBB54_1630:
	s_and_not1_b32 vcc_lo, exec_lo, s42
	s_cbranch_vccnz .LBB54_1643
; %bb.1631:
	s_cmp_gt_i32 s1, 14
	s_cbranch_scc0 .LBB54_1634
; %bb.1632:
	s_cmp_eq_u32 s1, 15
	s_cbranch_scc0 .LBB54_1637
; %bb.1633:
	s_wait_loadcnt 0x0
	global_load_u16 v0, v[2:3], off
	s_mov_b32 s41, -1
	s_mov_b32 s85, 0
	s_wait_loadcnt 0x0
	v_lshlrev_b32_e32 v0, 16, v0
	s_delay_alu instid0(VALU_DEP_1)
	v_cvt_i32_f32_e32 v0, v0
	s_branch .LBB54_1638
.LBB54_1634:
	s_mov_b32 s42, -1
                                        ; implicit-def: $vgpr0
	s_branch .LBB54_1639
.LBB54_1635:
	s_and_not1_saveexec_b32 s41, s41
	s_cbranch_execz .LBB54_1616
.LBB54_1636:
	v_cmp_ne_u16_e32 vcc_lo, 0, v1
	s_and_not1_b32 s42, s42, exec_lo
	s_and_b32 s43, vcc_lo, exec_lo
	s_delay_alu instid0(SALU_CYCLE_1)
	s_or_b32 s42, s42, s43
	s_or_b32 exec_lo, exec_lo, s41
	v_mov_b32_e32 v0, 0
	s_and_saveexec_b32 s41, s42
	s_cbranch_execnz .LBB54_1617
	s_branch .LBB54_1618
.LBB54_1637:
	s_mov_b32 s85, -1
                                        ; implicit-def: $vgpr0
.LBB54_1638:
	s_mov_b32 s42, 0
.LBB54_1639:
	s_delay_alu instid0(SALU_CYCLE_1)
	s_and_b32 vcc_lo, exec_lo, s42
	s_cbranch_vccz .LBB54_1643
; %bb.1640:
	s_cmp_eq_u32 s1, 11
	s_cbranch_scc0 .LBB54_1642
; %bb.1641:
	s_wait_loadcnt 0x0
	global_load_u8 v0, v[2:3], off
	s_mov_b32 s85, 0
	s_mov_b32 s41, -1
	s_wait_loadcnt 0x0
	v_cmp_ne_u16_e32 vcc_lo, 0, v0
	v_cndmask_b32_e64 v0, 0, 1, vcc_lo
	s_branch .LBB54_1643
.LBB54_1642:
	s_mov_b32 s85, -1
                                        ; implicit-def: $vgpr0
.LBB54_1643:
	s_mov_b32 s1, 0
.LBB54_1644:
	s_delay_alu instid0(SALU_CYCLE_1)
	s_and_b32 vcc_lo, exec_lo, s1
	s_cbranch_vccz .LBB54_1693
; %bb.1645:
	s_and_b32 s0, 0xffff, s0
	s_delay_alu instid0(SALU_CYCLE_1)
	s_cmp_lt_i32 s0, 5
	s_cbranch_scc1 .LBB54_1650
; %bb.1646:
	s_cmp_lt_i32 s0, 8
	s_cbranch_scc1 .LBB54_1651
; %bb.1647:
	;; [unrolled: 3-line block ×3, first 2 shown]
	s_cmp_gt_i32 s0, 9
	s_cbranch_scc0 .LBB54_1653
; %bb.1649:
	s_wait_loadcnt 0x0
	global_load_b64 v[0:1], v[2:3], off
	s_mov_b32 s1, 0
	s_wait_loadcnt 0x0
	v_cvt_i32_f64_e32 v0, v[0:1]
	s_branch .LBB54_1654
.LBB54_1650:
	s_mov_b32 s1, -1
                                        ; implicit-def: $vgpr0
	s_branch .LBB54_1672
.LBB54_1651:
	s_mov_b32 s1, -1
                                        ; implicit-def: $vgpr0
	s_branch .LBB54_1660
.LBB54_1652:
	s_mov_b32 s1, -1
                                        ; implicit-def: $vgpr0
	s_branch .LBB54_1657
.LBB54_1653:
	s_mov_b32 s1, -1
                                        ; implicit-def: $vgpr0
.LBB54_1654:
	s_delay_alu instid0(SALU_CYCLE_1)
	s_and_not1_b32 vcc_lo, exec_lo, s1
	s_cbranch_vccnz .LBB54_1656
; %bb.1655:
	s_wait_loadcnt 0x0
	global_load_b32 v0, v[2:3], off
	s_wait_loadcnt 0x0
	v_cvt_i32_f32_e32 v0, v0
.LBB54_1656:
	s_mov_b32 s1, 0
.LBB54_1657:
	s_delay_alu instid0(SALU_CYCLE_1)
	s_and_not1_b32 vcc_lo, exec_lo, s1
	s_cbranch_vccnz .LBB54_1659
; %bb.1658:
	s_wait_loadcnt 0x0
	global_load_b32 v0, v[2:3], off
	s_wait_loadcnt 0x0
	v_cvt_f32_f16_e32 v0, v0
	s_delay_alu instid0(VALU_DEP_1)
	v_cvt_i32_f32_e32 v0, v0
.LBB54_1659:
	s_mov_b32 s1, 0
.LBB54_1660:
	s_delay_alu instid0(SALU_CYCLE_1)
	s_and_not1_b32 vcc_lo, exec_lo, s1
	s_cbranch_vccnz .LBB54_1671
; %bb.1661:
	s_cmp_lt_i32 s0, 6
	s_cbranch_scc1 .LBB54_1664
; %bb.1662:
	s_cmp_gt_i32 s0, 6
	s_cbranch_scc0 .LBB54_1665
; %bb.1663:
	s_wait_loadcnt 0x0
	global_load_b64 v[0:1], v[2:3], off
	s_mov_b32 s1, 0
	s_wait_loadcnt 0x0
	v_cvt_i32_f64_e32 v0, v[0:1]
	s_branch .LBB54_1666
.LBB54_1664:
	s_mov_b32 s1, -1
                                        ; implicit-def: $vgpr0
	s_branch .LBB54_1669
.LBB54_1665:
	s_mov_b32 s1, -1
                                        ; implicit-def: $vgpr0
.LBB54_1666:
	s_delay_alu instid0(SALU_CYCLE_1)
	s_and_not1_b32 vcc_lo, exec_lo, s1
	s_cbranch_vccnz .LBB54_1668
; %bb.1667:
	s_wait_loadcnt 0x0
	global_load_b32 v0, v[2:3], off
	s_wait_loadcnt 0x0
	v_cvt_i32_f32_e32 v0, v0
.LBB54_1668:
	s_mov_b32 s1, 0
.LBB54_1669:
	s_delay_alu instid0(SALU_CYCLE_1)
	s_and_not1_b32 vcc_lo, exec_lo, s1
	s_cbranch_vccnz .LBB54_1671
; %bb.1670:
	s_wait_loadcnt 0x0
	global_load_u16 v0, v[2:3], off
	s_wait_loadcnt 0x0
	v_cvt_f32_f16_e32 v0, v0
	s_delay_alu instid0(VALU_DEP_1)
	v_cvt_i32_f32_e32 v0, v0
.LBB54_1671:
	s_mov_b32 s1, 0
.LBB54_1672:
	s_delay_alu instid0(SALU_CYCLE_1)
	s_and_not1_b32 vcc_lo, exec_lo, s1
	s_cbranch_vccnz .LBB54_1692
; %bb.1673:
	s_cmp_lt_i32 s0, 2
	s_cbranch_scc1 .LBB54_1677
; %bb.1674:
	s_cmp_lt_i32 s0, 3
	s_cbranch_scc1 .LBB54_1678
; %bb.1675:
	s_cmp_gt_i32 s0, 3
	s_cbranch_scc0 .LBB54_1679
; %bb.1676:
	s_wait_loadcnt 0x0
	global_load_b32 v0, v[2:3], off
	s_mov_b32 s1, 0
	s_branch .LBB54_1680
.LBB54_1677:
	s_mov_b32 s1, -1
                                        ; implicit-def: $vgpr0
	s_branch .LBB54_1686
.LBB54_1678:
	s_mov_b32 s1, -1
                                        ; implicit-def: $vgpr0
	s_branch .LBB54_1683
.LBB54_1679:
	s_mov_b32 s1, -1
                                        ; implicit-def: $vgpr0
.LBB54_1680:
	s_delay_alu instid0(SALU_CYCLE_1)
	s_and_not1_b32 vcc_lo, exec_lo, s1
	s_cbranch_vccnz .LBB54_1682
; %bb.1681:
	s_wait_loadcnt 0x0
	global_load_b32 v0, v[2:3], off
.LBB54_1682:
	s_mov_b32 s1, 0
.LBB54_1683:
	s_delay_alu instid0(SALU_CYCLE_1)
	s_and_not1_b32 vcc_lo, exec_lo, s1
	s_cbranch_vccnz .LBB54_1685
; %bb.1684:
	s_wait_loadcnt 0x0
	global_load_i16 v0, v[2:3], off
.LBB54_1685:
	s_mov_b32 s1, 0
.LBB54_1686:
	s_delay_alu instid0(SALU_CYCLE_1)
	s_and_not1_b32 vcc_lo, exec_lo, s1
	s_cbranch_vccnz .LBB54_1692
; %bb.1687:
	s_cmp_gt_i32 s0, 0
	s_mov_b32 s0, 0
	s_cbranch_scc0 .LBB54_1689
; %bb.1688:
	s_wait_loadcnt 0x0
	global_load_i8 v0, v[2:3], off
	s_branch .LBB54_1690
.LBB54_1689:
	s_mov_b32 s0, -1
                                        ; implicit-def: $vgpr0
.LBB54_1690:
	s_delay_alu instid0(SALU_CYCLE_1)
	s_and_not1_b32 vcc_lo, exec_lo, s0
	s_cbranch_vccnz .LBB54_1692
; %bb.1691:
	s_wait_loadcnt 0x0
	global_load_u8 v0, v[2:3], off
.LBB54_1692:
	s_mov_b32 s41, -1
.LBB54_1693:
	s_delay_alu instid0(SALU_CYCLE_1)
	s_and_not1_b32 vcc_lo, exec_lo, s41
	s_cbranch_vccnz .LBB54_1701
; %bb.1694:
	s_wait_xcnt 0x0
	v_mul_lo_u32 v2, v22, s36
	s_and_b32 s0, s3, 0xff
	s_delay_alu instid0(SALU_CYCLE_1) | instskip(NEXT) | instid1(VALU_DEP_1)
	s_cmp_lt_i32 s0, 11
	v_ashrrev_i32_e32 v3, 31, v2
	s_delay_alu instid0(VALU_DEP_1)
	v_add_nc_u64_e32 v[4:5], s[12:13], v[2:3]
	s_cbranch_scc1 .LBB54_1702
; %bb.1695:
	s_and_b32 s1, 0xffff, s0
	s_delay_alu instid0(SALU_CYCLE_1)
	s_cmp_gt_i32 s1, 25
	s_cbranch_scc0 .LBB54_1703
; %bb.1696:
	s_cmp_gt_i32 s1, 28
	s_cbranch_scc0 .LBB54_1704
; %bb.1697:
	;; [unrolled: 3-line block ×4, first 2 shown]
	s_cmp_eq_u32 s1, 46
	s_mov_b32 s42, 0
	s_cbranch_scc0 .LBB54_1708
; %bb.1700:
	global_load_b32 v1, v[4:5], off
	s_mov_b32 s41, -1
	s_mov_b32 s86, 0
	s_wait_loadcnt 0x0
	v_lshlrev_b32_e32 v1, 16, v1
	s_delay_alu instid0(VALU_DEP_1)
	v_cvt_i32_f32_e32 v2, v1
	s_branch .LBB54_1710
.LBB54_1701:
	s_mov_b32 s0, 0
	s_mov_b32 s1, s78
	;; [unrolled: 1-line block ×8, first 2 shown]
	s_branch .LBB54_2045
.LBB54_1702:
	s_mov_b32 s1, -1
	s_mov_b32 s41, 0
	s_mov_b32 s86, s75
                                        ; implicit-def: $vgpr2
	s_branch .LBB54_1771
.LBB54_1703:
	s_mov_b32 s42, -1
	s_mov_b32 s41, 0
	s_mov_b32 s86, s75
                                        ; implicit-def: $vgpr2
	s_branch .LBB54_1737
.LBB54_1704:
	s_mov_b32 s42, -1
	s_mov_b32 s41, 0
	s_mov_b32 s86, s75
                                        ; implicit-def: $vgpr2
	s_branch .LBB54_1720
.LBB54_1705:
	s_mov_b32 s42, -1
	s_mov_b32 s41, 0
	s_mov_b32 s86, s75
                                        ; implicit-def: $vgpr2
	s_branch .LBB54_1715
.LBB54_1706:
	s_mov_b32 s42, -1
	s_mov_b32 s41, 0
	s_mov_b32 s86, s75
	s_branch .LBB54_1709
.LBB54_1707:
	s_mov_b32 s45, -1
	s_mov_b32 s44, 0
	s_mov_b32 s41, s59
	s_branch .LBB54_3516
.LBB54_1708:
	s_mov_b32 s86, -1
	s_mov_b32 s41, 0
.LBB54_1709:
                                        ; implicit-def: $vgpr2
.LBB54_1710:
	s_and_b32 vcc_lo, exec_lo, s42
	s_cbranch_vccz .LBB54_1714
; %bb.1711:
	s_cmp_eq_u32 s1, 44
	s_cbranch_scc0 .LBB54_1713
; %bb.1712:
	global_load_u8 v1, v[4:5], off
	s_mov_b32 s86, 0
	s_mov_b32 s41, -1
	s_wait_loadcnt 0x0
	v_lshlrev_b32_e32 v2, 23, v1
	v_cmp_ne_u32_e32 vcc_lo, 0, v1
	s_delay_alu instid0(VALU_DEP_2) | instskip(NEXT) | instid1(VALU_DEP_1)
	v_cvt_i32_f32_e32 v2, v2
	v_cndmask_b32_e32 v2, 0, v2, vcc_lo
	s_branch .LBB54_1714
.LBB54_1713:
	s_mov_b32 s86, -1
                                        ; implicit-def: $vgpr2
.LBB54_1714:
	s_mov_b32 s42, 0
.LBB54_1715:
	s_delay_alu instid0(SALU_CYCLE_1)
	s_and_b32 vcc_lo, exec_lo, s42
	s_cbranch_vccz .LBB54_1719
; %bb.1716:
	s_cmp_eq_u32 s1, 29
	s_cbranch_scc0 .LBB54_1718
; %bb.1717:
	global_load_b32 v2, v[4:5], off
	s_mov_b32 s41, -1
	s_mov_b32 s86, 0
	s_branch .LBB54_1719
.LBB54_1718:
	s_mov_b32 s86, -1
                                        ; implicit-def: $vgpr2
.LBB54_1719:
	s_mov_b32 s42, 0
.LBB54_1720:
	s_delay_alu instid0(SALU_CYCLE_1)
	s_and_b32 vcc_lo, exec_lo, s42
	s_cbranch_vccz .LBB54_1736
; %bb.1721:
	s_cmp_lt_i32 s1, 27
	s_cbranch_scc1 .LBB54_1724
; %bb.1722:
	s_cmp_gt_i32 s1, 27
	s_cbranch_scc0 .LBB54_1725
; %bb.1723:
	s_wait_loadcnt 0x0
	global_load_b32 v2, v[4:5], off
	s_mov_b32 s41, 0
	s_branch .LBB54_1726
.LBB54_1724:
	s_mov_b32 s41, -1
                                        ; implicit-def: $vgpr2
	s_branch .LBB54_1729
.LBB54_1725:
	s_mov_b32 s41, -1
                                        ; implicit-def: $vgpr2
.LBB54_1726:
	s_delay_alu instid0(SALU_CYCLE_1)
	s_and_not1_b32 vcc_lo, exec_lo, s41
	s_cbranch_vccnz .LBB54_1728
; %bb.1727:
	s_wait_loadcnt 0x0
	global_load_u16 v2, v[4:5], off
.LBB54_1728:
	s_mov_b32 s41, 0
.LBB54_1729:
	s_delay_alu instid0(SALU_CYCLE_1)
	s_and_not1_b32 vcc_lo, exec_lo, s41
	s_cbranch_vccnz .LBB54_1735
; %bb.1730:
	global_load_u8 v1, v[4:5], off
	s_mov_b32 s42, 0
	s_mov_b32 s41, exec_lo
	s_wait_loadcnt 0x0
	v_cmpx_lt_i16_e32 0x7f, v1
	s_xor_b32 s41, exec_lo, s41
	s_cbranch_execz .LBB54_1747
; %bb.1731:
	v_cmp_ne_u16_e32 vcc_lo, 0x80, v1
	s_and_b32 s42, vcc_lo, exec_lo
	s_and_not1_saveexec_b32 s41, s41
	s_cbranch_execnz .LBB54_1748
.LBB54_1732:
	s_or_b32 exec_lo, exec_lo, s41
	v_mov_b32_e32 v2, 0
	s_and_saveexec_b32 s41, s42
	s_cbranch_execz .LBB54_1734
.LBB54_1733:
	v_and_b32_e32 v2, 0xffff, v1
	s_delay_alu instid0(VALU_DEP_1) | instskip(SKIP_1) | instid1(VALU_DEP_2)
	v_dual_lshlrev_b32 v1, 24, v1 :: v_dual_bitop2_b32 v3, 7, v2 bitop3:0x40
	v_bfe_u32 v10, v2, 3, 4
	v_and_b32_e32 v1, 0x80000000, v1
	s_delay_alu instid0(VALU_DEP_3) | instskip(NEXT) | instid1(VALU_DEP_3)
	v_clz_i32_u32_e32 v6, v3
	v_cmp_eq_u32_e32 vcc_lo, 0, v10
	s_delay_alu instid0(VALU_DEP_2) | instskip(NEXT) | instid1(VALU_DEP_1)
	v_min_u32_e32 v6, 32, v6
	v_subrev_nc_u32_e32 v9, 28, v6
	v_sub_nc_u32_e32 v6, 29, v6
	s_delay_alu instid0(VALU_DEP_2) | instskip(NEXT) | instid1(VALU_DEP_2)
	v_lshlrev_b32_e32 v2, v9, v2
	v_cndmask_b32_e32 v6, v10, v6, vcc_lo
	s_delay_alu instid0(VALU_DEP_2) | instskip(NEXT) | instid1(VALU_DEP_1)
	v_and_b32_e32 v2, 7, v2
	v_cndmask_b32_e32 v2, v3, v2, vcc_lo
	s_delay_alu instid0(VALU_DEP_3) | instskip(NEXT) | instid1(VALU_DEP_2)
	v_lshl_add_u32 v3, v6, 23, 0x3b800000
	v_lshlrev_b32_e32 v2, 20, v2
	s_delay_alu instid0(VALU_DEP_1) | instskip(NEXT) | instid1(VALU_DEP_1)
	v_or3_b32 v1, v1, v3, v2
	v_cvt_i32_f32_e32 v2, v1
.LBB54_1734:
	s_or_b32 exec_lo, exec_lo, s41
.LBB54_1735:
	s_mov_b32 s41, -1
.LBB54_1736:
	s_mov_b32 s42, 0
.LBB54_1737:
	s_delay_alu instid0(SALU_CYCLE_1)
	s_and_b32 vcc_lo, exec_lo, s42
	s_cbranch_vccz .LBB54_1770
; %bb.1738:
	s_cmp_gt_i32 s1, 22
	s_cbranch_scc0 .LBB54_1746
; %bb.1739:
	s_cmp_lt_i32 s1, 24
	s_cbranch_scc1 .LBB54_1749
; %bb.1740:
	s_cmp_gt_i32 s1, 24
	s_cbranch_scc0 .LBB54_1750
; %bb.1741:
	global_load_u8 v1, v[4:5], off
	s_mov_b32 s42, 0
	s_mov_b32 s41, exec_lo
	s_wait_loadcnt 0x0
	v_cmpx_lt_i16_e32 0x7f, v1
	s_xor_b32 s41, exec_lo, s41
	s_cbranch_execz .LBB54_1762
; %bb.1742:
	v_cmp_ne_u16_e32 vcc_lo, 0x80, v1
	s_and_b32 s42, vcc_lo, exec_lo
	s_and_not1_saveexec_b32 s41, s41
	s_cbranch_execnz .LBB54_1763
.LBB54_1743:
	s_or_b32 exec_lo, exec_lo, s41
	v_mov_b32_e32 v2, 0
	s_and_saveexec_b32 s41, s42
	s_cbranch_execz .LBB54_1745
.LBB54_1744:
	v_and_b32_e32 v2, 0xffff, v1
	s_delay_alu instid0(VALU_DEP_1) | instskip(SKIP_1) | instid1(VALU_DEP_2)
	v_dual_lshlrev_b32 v1, 24, v1 :: v_dual_bitop2_b32 v3, 3, v2 bitop3:0x40
	v_bfe_u32 v10, v2, 2, 5
	v_and_b32_e32 v1, 0x80000000, v1
	s_delay_alu instid0(VALU_DEP_3) | instskip(NEXT) | instid1(VALU_DEP_3)
	v_clz_i32_u32_e32 v6, v3
	v_cmp_eq_u32_e32 vcc_lo, 0, v10
	s_delay_alu instid0(VALU_DEP_2) | instskip(NEXT) | instid1(VALU_DEP_1)
	v_min_u32_e32 v6, 32, v6
	v_subrev_nc_u32_e32 v9, 29, v6
	v_sub_nc_u32_e32 v6, 30, v6
	s_delay_alu instid0(VALU_DEP_2) | instskip(NEXT) | instid1(VALU_DEP_2)
	v_lshlrev_b32_e32 v2, v9, v2
	v_cndmask_b32_e32 v6, v10, v6, vcc_lo
	s_delay_alu instid0(VALU_DEP_2) | instskip(NEXT) | instid1(VALU_DEP_1)
	v_and_b32_e32 v2, 3, v2
	v_cndmask_b32_e32 v2, v3, v2, vcc_lo
	s_delay_alu instid0(VALU_DEP_3) | instskip(NEXT) | instid1(VALU_DEP_2)
	v_lshl_add_u32 v3, v6, 23, 0x37800000
	v_lshlrev_b32_e32 v2, 21, v2
	s_delay_alu instid0(VALU_DEP_1) | instskip(NEXT) | instid1(VALU_DEP_1)
	v_or3_b32 v1, v1, v3, v2
	v_cvt_i32_f32_e32 v2, v1
.LBB54_1745:
	s_or_b32 exec_lo, exec_lo, s41
	s_mov_b32 s41, 0
	s_branch .LBB54_1751
.LBB54_1746:
	s_mov_b32 s42, -1
                                        ; implicit-def: $vgpr2
	s_branch .LBB54_1757
.LBB54_1747:
	s_and_not1_saveexec_b32 s41, s41
	s_cbranch_execz .LBB54_1732
.LBB54_1748:
	v_cmp_ne_u16_e32 vcc_lo, 0, v1
	s_and_not1_b32 s42, s42, exec_lo
	s_and_b32 s43, vcc_lo, exec_lo
	s_delay_alu instid0(SALU_CYCLE_1)
	s_or_b32 s42, s42, s43
	s_or_b32 exec_lo, exec_lo, s41
	v_mov_b32_e32 v2, 0
	s_and_saveexec_b32 s41, s42
	s_cbranch_execnz .LBB54_1733
	s_branch .LBB54_1734
.LBB54_1749:
	s_mov_b32 s41, -1
                                        ; implicit-def: $vgpr2
	s_branch .LBB54_1754
.LBB54_1750:
	s_mov_b32 s41, -1
                                        ; implicit-def: $vgpr2
.LBB54_1751:
	s_delay_alu instid0(SALU_CYCLE_1)
	s_and_b32 vcc_lo, exec_lo, s41
	s_cbranch_vccz .LBB54_1753
; %bb.1752:
	global_load_u8 v1, v[4:5], off
	s_wait_loadcnt 0x0
	v_lshlrev_b32_e32 v1, 24, v1
	s_delay_alu instid0(VALU_DEP_1) | instskip(NEXT) | instid1(VALU_DEP_1)
	v_and_b32_e32 v2, 0x7f000000, v1
	v_clz_i32_u32_e32 v3, v2
	v_cmp_ne_u32_e32 vcc_lo, 0, v2
	v_add_nc_u32_e32 v9, 0x1000000, v2
	s_delay_alu instid0(VALU_DEP_3) | instskip(NEXT) | instid1(VALU_DEP_1)
	v_min_u32_e32 v3, 32, v3
	v_sub_nc_u32_e64 v3, v3, 4 clamp
	s_delay_alu instid0(VALU_DEP_1) | instskip(NEXT) | instid1(VALU_DEP_1)
	v_dual_lshlrev_b32 v6, v3, v2 :: v_dual_lshlrev_b32 v3, 23, v3
	v_lshrrev_b32_e32 v6, 4, v6
	s_delay_alu instid0(VALU_DEP_1) | instskip(NEXT) | instid1(VALU_DEP_1)
	v_dual_sub_nc_u32 v3, v6, v3 :: v_dual_ashrrev_i32 v6, 8, v9
	v_add_nc_u32_e32 v3, 0x3c000000, v3
	s_delay_alu instid0(VALU_DEP_1) | instskip(NEXT) | instid1(VALU_DEP_1)
	v_and_or_b32 v3, 0x7f800000, v6, v3
	v_cndmask_b32_e32 v2, 0, v3, vcc_lo
	s_delay_alu instid0(VALU_DEP_1) | instskip(NEXT) | instid1(VALU_DEP_1)
	v_and_or_b32 v1, 0x80000000, v1, v2
	v_cvt_i32_f32_e32 v2, v1
.LBB54_1753:
	s_mov_b32 s41, 0
.LBB54_1754:
	s_delay_alu instid0(SALU_CYCLE_1)
	s_and_not1_b32 vcc_lo, exec_lo, s41
	s_cbranch_vccnz .LBB54_1756
; %bb.1755:
	global_load_u8 v1, v[4:5], off
	s_wait_loadcnt 0x0
	v_lshlrev_b32_e32 v2, 25, v1
	v_lshlrev_b16 v1, 8, v1
	s_delay_alu instid0(VALU_DEP_1) | instskip(SKIP_1) | instid1(VALU_DEP_2)
	v_and_or_b32 v6, 0x7f00, v1, 0.5
	v_bfe_i32 v1, v1, 0, 16
	v_add_f32_e32 v6, -0.5, v6
	v_lshrrev_b32_e32 v3, 4, v2
	v_cmp_gt_u32_e32 vcc_lo, 0x8000000, v2
	s_delay_alu instid0(VALU_DEP_2) | instskip(NEXT) | instid1(VALU_DEP_1)
	v_or_b32_e32 v3, 0x70000000, v3
	v_mul_f32_e32 v3, 0x7800000, v3
	s_delay_alu instid0(VALU_DEP_1) | instskip(NEXT) | instid1(VALU_DEP_1)
	v_cndmask_b32_e32 v2, v3, v6, vcc_lo
	v_and_or_b32 v1, 0x80000000, v1, v2
	s_delay_alu instid0(VALU_DEP_1)
	v_cvt_i32_f32_e32 v2, v1
.LBB54_1756:
	s_mov_b32 s42, 0
	s_mov_b32 s41, -1
.LBB54_1757:
	s_and_not1_b32 vcc_lo, exec_lo, s42
	s_cbranch_vccnz .LBB54_1770
; %bb.1758:
	s_cmp_gt_i32 s1, 14
	s_cbranch_scc0 .LBB54_1761
; %bb.1759:
	s_cmp_eq_u32 s1, 15
	s_cbranch_scc0 .LBB54_1764
; %bb.1760:
	global_load_u16 v1, v[4:5], off
	s_mov_b32 s41, -1
	s_mov_b32 s86, 0
	s_wait_loadcnt 0x0
	v_lshlrev_b32_e32 v1, 16, v1
	s_delay_alu instid0(VALU_DEP_1)
	v_cvt_i32_f32_e32 v2, v1
	s_branch .LBB54_1765
.LBB54_1761:
	s_mov_b32 s42, -1
                                        ; implicit-def: $vgpr2
	s_branch .LBB54_1766
.LBB54_1762:
	s_and_not1_saveexec_b32 s41, s41
	s_cbranch_execz .LBB54_1743
.LBB54_1763:
	v_cmp_ne_u16_e32 vcc_lo, 0, v1
	s_and_not1_b32 s42, s42, exec_lo
	s_and_b32 s43, vcc_lo, exec_lo
	s_delay_alu instid0(SALU_CYCLE_1)
	s_or_b32 s42, s42, s43
	s_or_b32 exec_lo, exec_lo, s41
	v_mov_b32_e32 v2, 0
	s_and_saveexec_b32 s41, s42
	s_cbranch_execnz .LBB54_1744
	s_branch .LBB54_1745
.LBB54_1764:
	s_mov_b32 s86, -1
                                        ; implicit-def: $vgpr2
.LBB54_1765:
	s_mov_b32 s42, 0
.LBB54_1766:
	s_delay_alu instid0(SALU_CYCLE_1)
	s_and_b32 vcc_lo, exec_lo, s42
	s_cbranch_vccz .LBB54_1770
; %bb.1767:
	s_cmp_eq_u32 s1, 11
	s_cbranch_scc0 .LBB54_1769
; %bb.1768:
	global_load_u8 v1, v[4:5], off
	s_mov_b32 s86, 0
	s_mov_b32 s41, -1
	s_wait_loadcnt 0x0
	v_cmp_ne_u16_e32 vcc_lo, 0, v1
	v_cndmask_b32_e64 v2, 0, 1, vcc_lo
	s_branch .LBB54_1770
.LBB54_1769:
	s_mov_b32 s86, -1
                                        ; implicit-def: $vgpr2
.LBB54_1770:
	s_mov_b32 s1, 0
.LBB54_1771:
	s_delay_alu instid0(SALU_CYCLE_1)
	s_and_b32 vcc_lo, exec_lo, s1
	s_cbranch_vccz .LBB54_1820
; %bb.1772:
	s_and_b32 s0, 0xffff, s0
	s_delay_alu instid0(SALU_CYCLE_1)
	s_cmp_lt_i32 s0, 5
	s_cbranch_scc1 .LBB54_1777
; %bb.1773:
	s_cmp_lt_i32 s0, 8
	s_cbranch_scc1 .LBB54_1778
; %bb.1774:
	;; [unrolled: 3-line block ×3, first 2 shown]
	s_cmp_gt_i32 s0, 9
	s_cbranch_scc0 .LBB54_1780
; %bb.1776:
	s_wait_loadcnt 0x0
	global_load_b64 v[2:3], v[4:5], off
	s_mov_b32 s1, 0
	s_wait_loadcnt 0x0
	v_cvt_i32_f64_e32 v2, v[2:3]
	s_branch .LBB54_1781
.LBB54_1777:
	s_mov_b32 s1, -1
                                        ; implicit-def: $vgpr2
	s_branch .LBB54_1799
.LBB54_1778:
	s_mov_b32 s1, -1
                                        ; implicit-def: $vgpr2
	s_branch .LBB54_1787
.LBB54_1779:
	s_mov_b32 s1, -1
                                        ; implicit-def: $vgpr2
	s_branch .LBB54_1784
.LBB54_1780:
	s_mov_b32 s1, -1
                                        ; implicit-def: $vgpr2
.LBB54_1781:
	s_delay_alu instid0(SALU_CYCLE_1)
	s_and_not1_b32 vcc_lo, exec_lo, s1
	s_cbranch_vccnz .LBB54_1783
; %bb.1782:
	global_load_b32 v1, v[4:5], off
	s_wait_loadcnt 0x0
	v_cvt_i32_f32_e32 v2, v1
.LBB54_1783:
	s_mov_b32 s1, 0
.LBB54_1784:
	s_delay_alu instid0(SALU_CYCLE_1)
	s_and_not1_b32 vcc_lo, exec_lo, s1
	s_cbranch_vccnz .LBB54_1786
; %bb.1785:
	global_load_b32 v1, v[4:5], off
	s_wait_loadcnt 0x0
	v_cvt_f32_f16_e32 v1, v1
	s_delay_alu instid0(VALU_DEP_1)
	v_cvt_i32_f32_e32 v2, v1
.LBB54_1786:
	s_mov_b32 s1, 0
.LBB54_1787:
	s_delay_alu instid0(SALU_CYCLE_1)
	s_and_not1_b32 vcc_lo, exec_lo, s1
	s_cbranch_vccnz .LBB54_1798
; %bb.1788:
	s_cmp_lt_i32 s0, 6
	s_cbranch_scc1 .LBB54_1791
; %bb.1789:
	s_cmp_gt_i32 s0, 6
	s_cbranch_scc0 .LBB54_1792
; %bb.1790:
	s_wait_loadcnt 0x0
	global_load_b64 v[2:3], v[4:5], off
	s_mov_b32 s1, 0
	s_wait_loadcnt 0x0
	v_cvt_i32_f64_e32 v2, v[2:3]
	s_branch .LBB54_1793
.LBB54_1791:
	s_mov_b32 s1, -1
                                        ; implicit-def: $vgpr2
	s_branch .LBB54_1796
.LBB54_1792:
	s_mov_b32 s1, -1
                                        ; implicit-def: $vgpr2
.LBB54_1793:
	s_delay_alu instid0(SALU_CYCLE_1)
	s_and_not1_b32 vcc_lo, exec_lo, s1
	s_cbranch_vccnz .LBB54_1795
; %bb.1794:
	global_load_b32 v1, v[4:5], off
	s_wait_loadcnt 0x0
	v_cvt_i32_f32_e32 v2, v1
.LBB54_1795:
	s_mov_b32 s1, 0
.LBB54_1796:
	s_delay_alu instid0(SALU_CYCLE_1)
	s_and_not1_b32 vcc_lo, exec_lo, s1
	s_cbranch_vccnz .LBB54_1798
; %bb.1797:
	global_load_u16 v1, v[4:5], off
	s_wait_loadcnt 0x0
	v_cvt_f32_f16_e32 v1, v1
	s_delay_alu instid0(VALU_DEP_1)
	v_cvt_i32_f32_e32 v2, v1
.LBB54_1798:
	s_mov_b32 s1, 0
.LBB54_1799:
	s_delay_alu instid0(SALU_CYCLE_1)
	s_and_not1_b32 vcc_lo, exec_lo, s1
	s_cbranch_vccnz .LBB54_1819
; %bb.1800:
	s_cmp_lt_i32 s0, 2
	s_cbranch_scc1 .LBB54_1804
; %bb.1801:
	s_cmp_lt_i32 s0, 3
	s_cbranch_scc1 .LBB54_1805
; %bb.1802:
	s_cmp_gt_i32 s0, 3
	s_cbranch_scc0 .LBB54_1806
; %bb.1803:
	s_wait_loadcnt 0x0
	global_load_b32 v2, v[4:5], off
	s_mov_b32 s1, 0
	s_branch .LBB54_1807
.LBB54_1804:
	s_mov_b32 s1, -1
                                        ; implicit-def: $vgpr2
	s_branch .LBB54_1813
.LBB54_1805:
	s_mov_b32 s1, -1
                                        ; implicit-def: $vgpr2
	s_branch .LBB54_1810
.LBB54_1806:
	s_mov_b32 s1, -1
                                        ; implicit-def: $vgpr2
.LBB54_1807:
	s_delay_alu instid0(SALU_CYCLE_1)
	s_and_not1_b32 vcc_lo, exec_lo, s1
	s_cbranch_vccnz .LBB54_1809
; %bb.1808:
	s_wait_loadcnt 0x0
	global_load_b32 v2, v[4:5], off
.LBB54_1809:
	s_mov_b32 s1, 0
.LBB54_1810:
	s_delay_alu instid0(SALU_CYCLE_1)
	s_and_not1_b32 vcc_lo, exec_lo, s1
	s_cbranch_vccnz .LBB54_1812
; %bb.1811:
	s_wait_loadcnt 0x0
	global_load_i16 v2, v[4:5], off
.LBB54_1812:
	s_mov_b32 s1, 0
.LBB54_1813:
	s_delay_alu instid0(SALU_CYCLE_1)
	s_and_not1_b32 vcc_lo, exec_lo, s1
	s_cbranch_vccnz .LBB54_1819
; %bb.1814:
	s_cmp_gt_i32 s0, 0
	s_mov_b32 s0, 0
	s_cbranch_scc0 .LBB54_1816
; %bb.1815:
	s_wait_loadcnt 0x0
	global_load_i8 v2, v[4:5], off
	s_branch .LBB54_1817
.LBB54_1816:
	s_mov_b32 s0, -1
                                        ; implicit-def: $vgpr2
.LBB54_1817:
	s_delay_alu instid0(SALU_CYCLE_1)
	s_and_not1_b32 vcc_lo, exec_lo, s0
	s_cbranch_vccnz .LBB54_1819
; %bb.1818:
	s_wait_loadcnt 0x0
	global_load_u8 v2, v[4:5], off
.LBB54_1819:
	s_mov_b32 s41, -1
.LBB54_1820:
	s_delay_alu instid0(SALU_CYCLE_1)
	s_and_not1_b32 vcc_lo, exec_lo, s41
	s_cbranch_vccnz .LBB54_1828
; %bb.1821:
	s_wait_xcnt 0x0
	v_mul_lo_u32 v4, v22, s37
	s_and_b32 s0, s21, 0xff
	s_delay_alu instid0(SALU_CYCLE_1) | instskip(NEXT) | instid1(VALU_DEP_1)
	s_cmp_lt_i32 s0, 11
	v_ashrrev_i32_e32 v5, 31, v4
	s_delay_alu instid0(VALU_DEP_1)
	v_add_nc_u64_e32 v[4:5], s[14:15], v[4:5]
	s_cbranch_scc1 .LBB54_1829
; %bb.1822:
	s_and_b32 s1, 0xffff, s0
	s_delay_alu instid0(SALU_CYCLE_1)
	s_cmp_gt_i32 s1, 25
	s_cbranch_scc0 .LBB54_1830
; %bb.1823:
	s_cmp_gt_i32 s1, 28
	s_cbranch_scc0 .LBB54_1831
; %bb.1824:
	;; [unrolled: 3-line block ×4, first 2 shown]
	s_cmp_eq_u32 s1, 46
	s_mov_b32 s42, 0
	s_cbranch_scc0 .LBB54_1921
; %bb.1827:
	global_load_b32 v1, v[4:5], off
	s_mov_b32 s41, -1
	s_mov_b32 s87, 0
	s_wait_loadcnt 0x0
	v_lshlrev_b32_e32 v1, 16, v1
	s_delay_alu instid0(VALU_DEP_1)
	v_cvt_i32_f32_e32 v6, v1
	s_branch .LBB54_1923
.LBB54_1828:
	s_mov_b32 s0, 0
	s_mov_b32 s1, s78
	;; [unrolled: 1-line block ×7, first 2 shown]
	s_branch .LBB54_2045
.LBB54_1829:
	s_mov_b32 s1, -1
	s_mov_b32 s41, 0
	s_mov_b32 s87, s74
                                        ; implicit-def: $vgpr6
	s_branch .LBB54_1984
.LBB54_1830:
	s_mov_b32 s42, -1
	s_mov_b32 s41, 0
	s_mov_b32 s87, s74
                                        ; implicit-def: $vgpr6
	s_branch .LBB54_1950
.LBB54_1831:
	s_mov_b32 s42, -1
	s_mov_b32 s41, 0
	s_mov_b32 s87, s74
                                        ; implicit-def: $vgpr6
	s_branch .LBB54_1933
.LBB54_1832:
	s_mov_b32 s42, -1
	s_mov_b32 s41, 0
	s_mov_b32 s87, s74
                                        ; implicit-def: $vgpr6
	s_branch .LBB54_1928
.LBB54_1833:
	s_mov_b32 s42, -1
	s_mov_b32 s41, 0
	s_mov_b32 s87, s74
	s_branch .LBB54_1922
.LBB54_1834:
	s_mov_b32 s45, -1
	s_mov_b32 s41, 0
	s_mov_b32 s44, 0
.LBB54_1835:
	s_and_b32 vcc_lo, exec_lo, s45
	s_cbranch_vccz .LBB54_1838
; %bb.1836:
	s_cmp_eq_u32 s43, 44
	s_mov_b32 s41, -1
	s_cbranch_scc0 .LBB54_1838
; %bb.1837:
	s_wait_xcnt 0x0
	v_mov_b32_e32 v2, 0
	s_mov_b32 s44, -1
	s_mov_b32 s41, 0
	s_mov_b32 s45, 0
	global_store_b8 v[0:1], v2, off
	s_branch .LBB54_1839
.LBB54_1838:
	s_mov_b32 s45, 0
.LBB54_1839:
	s_delay_alu instid0(SALU_CYCLE_1)
	s_and_b32 vcc_lo, exec_lo, s45
	s_cbranch_vccz .LBB54_1842
; %bb.1840:
	s_cmp_eq_u32 s43, 29
	s_mov_b32 s41, -1
	s_cbranch_scc0 .LBB54_1842
; %bb.1841:
	s_wait_xcnt 0x0
	v_mov_b64_e32 v[2:3], 0
	s_mov_b32 s44, -1
	s_mov_b32 s41, 0
	s_mov_b32 s45, 0
	global_store_b64 v[0:1], v[2:3], off
	s_branch .LBB54_1843
.LBB54_1842:
	s_mov_b32 s45, 0
.LBB54_1843:
	s_delay_alu instid0(SALU_CYCLE_1)
	s_and_b32 vcc_lo, exec_lo, s45
	s_cbranch_vccz .LBB54_1853
; %bb.1844:
	s_cmp_lt_i32 s43, 27
	s_mov_b32 s44, -1
	s_cbranch_scc1 .LBB54_1850
; %bb.1845:
	s_cmp_gt_i32 s43, 27
	s_cbranch_scc0 .LBB54_1847
; %bb.1846:
	s_wait_xcnt 0x0
	v_mov_b32_e32 v2, 0
	s_mov_b32 s44, 0
	global_store_b32 v[0:1], v2, off
.LBB54_1847:
	s_and_not1_b32 vcc_lo, exec_lo, s44
	s_cbranch_vccnz .LBB54_1849
; %bb.1848:
	s_wait_xcnt 0x0
	v_mov_b32_e32 v2, 0
	global_store_b16 v[0:1], v2, off
.LBB54_1849:
	s_mov_b32 s44, 0
.LBB54_1850:
	s_delay_alu instid0(SALU_CYCLE_1)
	s_and_not1_b32 vcc_lo, exec_lo, s44
	s_cbranch_vccnz .LBB54_1852
; %bb.1851:
	s_wait_xcnt 0x0
	v_mov_b32_e32 v2, 0
	global_store_b8 v[0:1], v2, off
.LBB54_1852:
	s_mov_b32 s44, -1
.LBB54_1853:
	s_mov_b32 s45, 0
.LBB54_1854:
	s_delay_alu instid0(SALU_CYCLE_1)
	s_and_b32 vcc_lo, exec_lo, s45
	s_cbranch_vccz .LBB54_1873
; %bb.1855:
	s_cmp_gt_i32 s43, 22
	s_mov_b32 s45, -1
	s_cbranch_scc0 .LBB54_1865
; %bb.1856:
	s_cmp_lt_i32 s43, 24
	s_mov_b32 s44, -1
	s_cbranch_scc1 .LBB54_1862
; %bb.1857:
	s_cmp_gt_i32 s43, 24
	s_cbranch_scc0 .LBB54_1859
; %bb.1858:
	s_wait_xcnt 0x0
	v_mov_b32_e32 v2, 0
	s_mov_b32 s44, 0
	global_store_b8 v[0:1], v2, off
.LBB54_1859:
	s_and_not1_b32 vcc_lo, exec_lo, s44
	s_cbranch_vccnz .LBB54_1861
; %bb.1860:
	s_wait_xcnt 0x0
	v_mov_b32_e32 v2, 0
	global_store_b8 v[0:1], v2, off
.LBB54_1861:
	s_mov_b32 s44, 0
.LBB54_1862:
	s_delay_alu instid0(SALU_CYCLE_1)
	s_and_not1_b32 vcc_lo, exec_lo, s44
	s_cbranch_vccnz .LBB54_1864
; %bb.1863:
	s_wait_xcnt 0x0
	v_mov_b32_e32 v2, 0
	global_store_b8 v[0:1], v2, off
.LBB54_1864:
	s_mov_b32 s45, 0
	s_mov_b32 s44, -1
.LBB54_1865:
	s_and_not1_b32 vcc_lo, exec_lo, s45
	s_cbranch_vccnz .LBB54_1873
; %bb.1866:
	s_cmp_gt_i32 s43, 14
	s_mov_b32 s45, -1
	s_cbranch_scc0 .LBB54_1870
; %bb.1867:
	s_cmp_eq_u32 s43, 15
	s_mov_b32 s41, -1
	s_cbranch_scc0 .LBB54_1869
; %bb.1868:
	s_wait_xcnt 0x0
	v_mov_b32_e32 v2, 0
	s_mov_b32 s44, -1
	s_mov_b32 s41, 0
	global_store_b16 v[0:1], v2, off
.LBB54_1869:
	s_mov_b32 s45, 0
.LBB54_1870:
	s_delay_alu instid0(SALU_CYCLE_1)
	s_and_b32 vcc_lo, exec_lo, s45
	s_cbranch_vccz .LBB54_1873
; %bb.1871:
	s_cmp_eq_u32 s43, 11
	s_mov_b32 s41, -1
	s_cbranch_scc0 .LBB54_1873
; %bb.1872:
	s_wait_xcnt 0x0
	v_mov_b32_e32 v2, 0
	s_mov_b32 s44, -1
	s_mov_b32 s41, 0
	global_store_b8 v[0:1], v2, off
.LBB54_1873:
	s_mov_b32 s43, 0
.LBB54_1874:
	s_delay_alu instid0(SALU_CYCLE_1)
	s_and_b32 vcc_lo, exec_lo, s43
	s_cbranch_vccz .LBB54_1913
; %bb.1875:
	s_and_b32 s42, 0xffff, s42
	s_mov_b32 s43, -1
	s_cmp_lt_i32 s42, 5
	s_cbranch_scc1 .LBB54_1896
; %bb.1876:
	s_cmp_lt_i32 s42, 8
	s_cbranch_scc1 .LBB54_1886
; %bb.1877:
	;; [unrolled: 3-line block ×3, first 2 shown]
	s_cmp_gt_i32 s42, 9
	s_cbranch_scc0 .LBB54_1880
; %bb.1879:
	s_wait_xcnt 0x0
	v_mov_b32_e32 v2, 0
	s_mov_b32 s43, 0
	s_delay_alu instid0(VALU_DEP_1)
	v_dual_mov_b32 v3, v2 :: v_dual_mov_b32 v4, v2
	v_mov_b32_e32 v5, v2
	global_store_b128 v[0:1], v[2:5], off
.LBB54_1880:
	s_and_not1_b32 vcc_lo, exec_lo, s43
	s_cbranch_vccnz .LBB54_1882
; %bb.1881:
	s_wait_xcnt 0x0
	v_mov_b64_e32 v[2:3], 0
	global_store_b64 v[0:1], v[2:3], off
.LBB54_1882:
	s_mov_b32 s43, 0
.LBB54_1883:
	s_delay_alu instid0(SALU_CYCLE_1)
	s_and_not1_b32 vcc_lo, exec_lo, s43
	s_cbranch_vccnz .LBB54_1885
; %bb.1884:
	s_wait_xcnt 0x0
	v_mov_b32_e32 v2, 0
	global_store_b32 v[0:1], v2, off
.LBB54_1885:
	s_mov_b32 s43, 0
.LBB54_1886:
	s_delay_alu instid0(SALU_CYCLE_1)
	s_and_not1_b32 vcc_lo, exec_lo, s43
	s_cbranch_vccnz .LBB54_1895
; %bb.1887:
	s_cmp_lt_i32 s42, 6
	s_mov_b32 s43, -1
	s_cbranch_scc1 .LBB54_1893
; %bb.1888:
	s_cmp_gt_i32 s42, 6
	s_cbranch_scc0 .LBB54_1890
; %bb.1889:
	s_wait_xcnt 0x0
	v_mov_b64_e32 v[2:3], 0
	s_mov_b32 s43, 0
	global_store_b64 v[0:1], v[2:3], off
.LBB54_1890:
	s_and_not1_b32 vcc_lo, exec_lo, s43
	s_cbranch_vccnz .LBB54_1892
; %bb.1891:
	s_wait_xcnt 0x0
	v_mov_b32_e32 v2, 0
	global_store_b32 v[0:1], v2, off
.LBB54_1892:
	s_mov_b32 s43, 0
.LBB54_1893:
	s_delay_alu instid0(SALU_CYCLE_1)
	s_and_not1_b32 vcc_lo, exec_lo, s43
	s_cbranch_vccnz .LBB54_1895
; %bb.1894:
	s_wait_xcnt 0x0
	v_mov_b32_e32 v2, 0
	global_store_b16 v[0:1], v2, off
.LBB54_1895:
	s_mov_b32 s43, 0
.LBB54_1896:
	s_delay_alu instid0(SALU_CYCLE_1)
	s_and_not1_b32 vcc_lo, exec_lo, s43
	s_cbranch_vccnz .LBB54_1912
; %bb.1897:
	s_cmp_lt_i32 s42, 2
	s_mov_b32 s43, -1
	s_cbranch_scc1 .LBB54_1907
; %bb.1898:
	s_cmp_lt_i32 s42, 3
	s_cbranch_scc1 .LBB54_1904
; %bb.1899:
	s_cmp_gt_i32 s42, 3
	s_cbranch_scc0 .LBB54_1901
; %bb.1900:
	s_wait_xcnt 0x0
	v_mov_b64_e32 v[2:3], 0
	s_mov_b32 s43, 0
	global_store_b64 v[0:1], v[2:3], off
.LBB54_1901:
	s_and_not1_b32 vcc_lo, exec_lo, s43
	s_cbranch_vccnz .LBB54_1903
; %bb.1902:
	s_wait_xcnt 0x0
	v_mov_b32_e32 v2, 0
	global_store_b32 v[0:1], v2, off
.LBB54_1903:
	s_mov_b32 s43, 0
.LBB54_1904:
	s_delay_alu instid0(SALU_CYCLE_1)
	s_and_not1_b32 vcc_lo, exec_lo, s43
	s_cbranch_vccnz .LBB54_1906
; %bb.1905:
	s_wait_xcnt 0x0
	v_mov_b32_e32 v2, 0
	global_store_b16 v[0:1], v2, off
.LBB54_1906:
	s_mov_b32 s43, 0
.LBB54_1907:
	s_delay_alu instid0(SALU_CYCLE_1)
	s_and_not1_b32 vcc_lo, exec_lo, s43
	s_cbranch_vccnz .LBB54_1912
; %bb.1908:
	s_cmp_gt_i32 s42, 0
	s_mov_b32 s42, -1
	s_cbranch_scc0 .LBB54_1910
; %bb.1909:
	s_wait_xcnt 0x0
	v_mov_b32_e32 v2, 0
	s_mov_b32 s42, 0
	global_store_b8 v[0:1], v2, off
.LBB54_1910:
	s_and_not1_b32 vcc_lo, exec_lo, s42
	s_cbranch_vccnz .LBB54_1912
; %bb.1911:
	s_wait_xcnt 0x0
	v_mov_b32_e32 v2, 0
	global_store_b8 v[0:1], v2, off
.LBB54_1912:
	s_mov_b32 s44, -1
.LBB54_1913:
	s_delay_alu instid0(SALU_CYCLE_1)
	s_and_not1_b32 vcc_lo, exec_lo, s44
	s_cbranch_vccnz .LBB54_1915
; %bb.1914:
	v_add_nc_u32_e32 v22, 0x80, v22
	s_mov_b32 s43, -1
	s_branch .LBB54_1916
.LBB54_1915:
	s_mov_b32 s43, 0
                                        ; implicit-def: $vgpr22
.LBB54_1916:
	s_and_b32 s42, s41, exec_lo
	s_and_not1_b32 s0, s0, exec_lo
	s_and_b32 s41, s43, exec_lo
.LBB54_1917:
	s_wait_xcnt 0x0
	s_or_b32 exec_lo, exec_lo, s1
	s_delay_alu instid0(SALU_CYCLE_1)
	s_and_b32 s42, s42, exec_lo
	s_and_b32 s0, s0, exec_lo
	s_xor_b32 s1, exec_lo, -1
	s_and_b32 s41, s41, exec_lo
.LBB54_1918:
	s_or_b32 exec_lo, exec_lo, s62
	s_delay_alu instid0(SALU_CYCLE_1)
	s_and_b32 s44, s42, exec_lo
	s_and_b32 s43, s0, exec_lo
	;; [unrolled: 1-line block ×3, first 2 shown]
	s_xor_b32 s1, exec_lo, -1
	s_and_b32 s0, s41, exec_lo
.LBB54_1919:
	s_or_b32 exec_lo, exec_lo, s61
	s_delay_alu instid0(SALU_CYCLE_1)
	s_and_b32 s44, s44, exec_lo
	s_and_b32 s43, s43, exec_lo
	;; [unrolled: 1-line block ×4, first 2 shown]
	s_xor_b32 s1, exec_lo, -1
	s_and_b32 s0, s0, exec_lo
	s_or_b32 exec_lo, exec_lo, s59
	s_branch .LBB54_629
.LBB54_1920:
	s_mov_b32 s45, -1
	s_mov_b32 s44, 0
	s_mov_b32 s41, s59
	s_branch .LBB54_3512
.LBB54_1921:
	s_mov_b32 s87, -1
	s_mov_b32 s41, 0
.LBB54_1922:
                                        ; implicit-def: $vgpr6
.LBB54_1923:
	s_and_b32 vcc_lo, exec_lo, s42
	s_cbranch_vccz .LBB54_1927
; %bb.1924:
	s_cmp_eq_u32 s1, 44
	s_cbranch_scc0 .LBB54_1926
; %bb.1925:
	global_load_u8 v1, v[4:5], off
	s_mov_b32 s87, 0
	s_mov_b32 s41, -1
	s_wait_loadcnt 0x0
	v_lshlrev_b32_e32 v3, 23, v1
	v_cmp_ne_u32_e32 vcc_lo, 0, v1
	s_delay_alu instid0(VALU_DEP_2) | instskip(NEXT) | instid1(VALU_DEP_1)
	v_cvt_i32_f32_e32 v3, v3
	v_cndmask_b32_e32 v6, 0, v3, vcc_lo
	s_branch .LBB54_1927
.LBB54_1926:
	s_mov_b32 s87, -1
                                        ; implicit-def: $vgpr6
.LBB54_1927:
	s_mov_b32 s42, 0
.LBB54_1928:
	s_delay_alu instid0(SALU_CYCLE_1)
	s_and_b32 vcc_lo, exec_lo, s42
	s_cbranch_vccz .LBB54_1932
; %bb.1929:
	s_cmp_eq_u32 s1, 29
	s_cbranch_scc0 .LBB54_1931
; %bb.1930:
	global_load_b32 v6, v[4:5], off
	s_mov_b32 s41, -1
	s_mov_b32 s87, 0
	s_branch .LBB54_1932
.LBB54_1931:
	s_mov_b32 s87, -1
                                        ; implicit-def: $vgpr6
.LBB54_1932:
	s_mov_b32 s42, 0
.LBB54_1933:
	s_delay_alu instid0(SALU_CYCLE_1)
	s_and_b32 vcc_lo, exec_lo, s42
	s_cbranch_vccz .LBB54_1949
; %bb.1934:
	s_cmp_lt_i32 s1, 27
	s_cbranch_scc1 .LBB54_1937
; %bb.1935:
	s_cmp_gt_i32 s1, 27
	s_cbranch_scc0 .LBB54_1938
; %bb.1936:
	s_wait_loadcnt 0x0
	global_load_b32 v6, v[4:5], off
	s_mov_b32 s41, 0
	s_branch .LBB54_1939
.LBB54_1937:
	s_mov_b32 s41, -1
                                        ; implicit-def: $vgpr6
	s_branch .LBB54_1942
.LBB54_1938:
	s_mov_b32 s41, -1
                                        ; implicit-def: $vgpr6
.LBB54_1939:
	s_delay_alu instid0(SALU_CYCLE_1)
	s_and_not1_b32 vcc_lo, exec_lo, s41
	s_cbranch_vccnz .LBB54_1941
; %bb.1940:
	s_wait_loadcnt 0x0
	global_load_u16 v6, v[4:5], off
.LBB54_1941:
	s_mov_b32 s41, 0
.LBB54_1942:
	s_delay_alu instid0(SALU_CYCLE_1)
	s_and_not1_b32 vcc_lo, exec_lo, s41
	s_cbranch_vccnz .LBB54_1948
; %bb.1943:
	global_load_u8 v1, v[4:5], off
	s_mov_b32 s42, 0
	s_mov_b32 s41, exec_lo
	s_wait_loadcnt 0x0
	v_cmpx_lt_i16_e32 0x7f, v1
	s_xor_b32 s41, exec_lo, s41
	s_cbranch_execz .LBB54_1960
; %bb.1944:
	v_cmp_ne_u16_e32 vcc_lo, 0x80, v1
	s_and_b32 s42, vcc_lo, exec_lo
	s_and_not1_saveexec_b32 s41, s41
	s_cbranch_execnz .LBB54_1961
.LBB54_1945:
	s_or_b32 exec_lo, exec_lo, s41
	v_mov_b32_e32 v6, 0
	s_and_saveexec_b32 s41, s42
	s_cbranch_execz .LBB54_1947
.LBB54_1946:
	v_and_b32_e32 v3, 0xffff, v1
	s_delay_alu instid0(VALU_DEP_1) | instskip(SKIP_1) | instid1(VALU_DEP_2)
	v_and_b32_e32 v6, 7, v3
	v_bfe_u32 v11, v3, 3, 4
	v_clz_i32_u32_e32 v9, v6
	s_delay_alu instid0(VALU_DEP_2) | instskip(NEXT) | instid1(VALU_DEP_2)
	v_cmp_eq_u32_e32 vcc_lo, 0, v11
	v_min_u32_e32 v9, 32, v9
	s_delay_alu instid0(VALU_DEP_1) | instskip(NEXT) | instid1(VALU_DEP_1)
	v_subrev_nc_u32_e32 v10, 28, v9
	v_dual_lshlrev_b32 v3, v10, v3 :: v_dual_sub_nc_u32 v9, 29, v9
	s_delay_alu instid0(VALU_DEP_1) | instskip(NEXT) | instid1(VALU_DEP_1)
	v_dual_lshlrev_b32 v1, 24, v1 :: v_dual_bitop2_b32 v3, 7, v3 bitop3:0x40
	v_dual_cndmask_b32 v3, v6, v3, vcc_lo :: v_dual_cndmask_b32 v9, v11, v9, vcc_lo
	s_delay_alu instid0(VALU_DEP_2) | instskip(NEXT) | instid1(VALU_DEP_2)
	v_and_b32_e32 v1, 0x80000000, v1
	v_lshlrev_b32_e32 v3, 20, v3
	s_delay_alu instid0(VALU_DEP_3) | instskip(NEXT) | instid1(VALU_DEP_1)
	v_lshl_add_u32 v6, v9, 23, 0x3b800000
	v_or3_b32 v1, v1, v6, v3
	s_delay_alu instid0(VALU_DEP_1)
	v_cvt_i32_f32_e32 v6, v1
.LBB54_1947:
	s_or_b32 exec_lo, exec_lo, s41
.LBB54_1948:
	s_mov_b32 s41, -1
.LBB54_1949:
	s_mov_b32 s42, 0
.LBB54_1950:
	s_delay_alu instid0(SALU_CYCLE_1)
	s_and_b32 vcc_lo, exec_lo, s42
	s_cbranch_vccz .LBB54_1983
; %bb.1951:
	s_cmp_gt_i32 s1, 22
	s_cbranch_scc0 .LBB54_1959
; %bb.1952:
	s_cmp_lt_i32 s1, 24
	s_cbranch_scc1 .LBB54_1962
; %bb.1953:
	s_cmp_gt_i32 s1, 24
	s_cbranch_scc0 .LBB54_1963
; %bb.1954:
	global_load_u8 v1, v[4:5], off
	s_mov_b32 s42, 0
	s_mov_b32 s41, exec_lo
	s_wait_loadcnt 0x0
	v_cmpx_lt_i16_e32 0x7f, v1
	s_xor_b32 s41, exec_lo, s41
	s_cbranch_execz .LBB54_1975
; %bb.1955:
	v_cmp_ne_u16_e32 vcc_lo, 0x80, v1
	s_and_b32 s42, vcc_lo, exec_lo
	s_and_not1_saveexec_b32 s41, s41
	s_cbranch_execnz .LBB54_1976
.LBB54_1956:
	s_or_b32 exec_lo, exec_lo, s41
	v_mov_b32_e32 v6, 0
	s_and_saveexec_b32 s41, s42
	s_cbranch_execz .LBB54_1958
.LBB54_1957:
	v_and_b32_e32 v3, 0xffff, v1
	s_delay_alu instid0(VALU_DEP_1) | instskip(SKIP_1) | instid1(VALU_DEP_2)
	v_and_b32_e32 v6, 3, v3
	v_bfe_u32 v11, v3, 2, 5
	v_clz_i32_u32_e32 v9, v6
	s_delay_alu instid0(VALU_DEP_2) | instskip(NEXT) | instid1(VALU_DEP_2)
	v_cmp_eq_u32_e32 vcc_lo, 0, v11
	v_min_u32_e32 v9, 32, v9
	s_delay_alu instid0(VALU_DEP_1) | instskip(NEXT) | instid1(VALU_DEP_1)
	v_subrev_nc_u32_e32 v10, 29, v9
	v_dual_lshlrev_b32 v3, v10, v3 :: v_dual_sub_nc_u32 v9, 30, v9
	s_delay_alu instid0(VALU_DEP_1) | instskip(NEXT) | instid1(VALU_DEP_1)
	v_dual_lshlrev_b32 v1, 24, v1 :: v_dual_bitop2_b32 v3, 3, v3 bitop3:0x40
	v_dual_cndmask_b32 v3, v6, v3, vcc_lo :: v_dual_cndmask_b32 v9, v11, v9, vcc_lo
	s_delay_alu instid0(VALU_DEP_2) | instskip(NEXT) | instid1(VALU_DEP_2)
	v_and_b32_e32 v1, 0x80000000, v1
	v_lshlrev_b32_e32 v3, 21, v3
	s_delay_alu instid0(VALU_DEP_3) | instskip(NEXT) | instid1(VALU_DEP_1)
	v_lshl_add_u32 v6, v9, 23, 0x37800000
	v_or3_b32 v1, v1, v6, v3
	s_delay_alu instid0(VALU_DEP_1)
	v_cvt_i32_f32_e32 v6, v1
.LBB54_1958:
	s_or_b32 exec_lo, exec_lo, s41
	s_mov_b32 s41, 0
	s_branch .LBB54_1964
.LBB54_1959:
	s_mov_b32 s42, -1
                                        ; implicit-def: $vgpr6
	s_branch .LBB54_1970
.LBB54_1960:
	s_and_not1_saveexec_b32 s41, s41
	s_cbranch_execz .LBB54_1945
.LBB54_1961:
	v_cmp_ne_u16_e32 vcc_lo, 0, v1
	s_and_not1_b32 s42, s42, exec_lo
	s_and_b32 s43, vcc_lo, exec_lo
	s_delay_alu instid0(SALU_CYCLE_1)
	s_or_b32 s42, s42, s43
	s_or_b32 exec_lo, exec_lo, s41
	v_mov_b32_e32 v6, 0
	s_and_saveexec_b32 s41, s42
	s_cbranch_execnz .LBB54_1946
	s_branch .LBB54_1947
.LBB54_1962:
	s_mov_b32 s41, -1
                                        ; implicit-def: $vgpr6
	s_branch .LBB54_1967
.LBB54_1963:
	s_mov_b32 s41, -1
                                        ; implicit-def: $vgpr6
.LBB54_1964:
	s_delay_alu instid0(SALU_CYCLE_1)
	s_and_b32 vcc_lo, exec_lo, s41
	s_cbranch_vccz .LBB54_1966
; %bb.1965:
	global_load_u8 v1, v[4:5], off
	s_wait_loadcnt 0x0
	v_lshlrev_b32_e32 v1, 24, v1
	s_delay_alu instid0(VALU_DEP_1) | instskip(NEXT) | instid1(VALU_DEP_1)
	v_and_b32_e32 v3, 0x7f000000, v1
	v_clz_i32_u32_e32 v6, v3
	v_cmp_ne_u32_e32 vcc_lo, 0, v3
	v_add_nc_u32_e32 v10, 0x1000000, v3
	s_delay_alu instid0(VALU_DEP_3) | instskip(NEXT) | instid1(VALU_DEP_1)
	v_min_u32_e32 v6, 32, v6
	v_sub_nc_u32_e64 v6, v6, 4 clamp
	s_delay_alu instid0(VALU_DEP_1) | instskip(NEXT) | instid1(VALU_DEP_1)
	v_dual_lshlrev_b32 v9, v6, v3 :: v_dual_lshlrev_b32 v6, 23, v6
	v_lshrrev_b32_e32 v9, 4, v9
	s_delay_alu instid0(VALU_DEP_1) | instskip(SKIP_1) | instid1(VALU_DEP_2)
	v_sub_nc_u32_e32 v6, v9, v6
	v_ashrrev_i32_e32 v9, 8, v10
	v_add_nc_u32_e32 v6, 0x3c000000, v6
	s_delay_alu instid0(VALU_DEP_1) | instskip(NEXT) | instid1(VALU_DEP_1)
	v_and_or_b32 v6, 0x7f800000, v9, v6
	v_cndmask_b32_e32 v3, 0, v6, vcc_lo
	s_delay_alu instid0(VALU_DEP_1) | instskip(NEXT) | instid1(VALU_DEP_1)
	v_and_or_b32 v1, 0x80000000, v1, v3
	v_cvt_i32_f32_e32 v6, v1
.LBB54_1966:
	s_mov_b32 s41, 0
.LBB54_1967:
	s_delay_alu instid0(SALU_CYCLE_1)
	s_and_not1_b32 vcc_lo, exec_lo, s41
	s_cbranch_vccnz .LBB54_1969
; %bb.1968:
	global_load_u8 v1, v[4:5], off
	s_wait_loadcnt 0x0
	v_lshlrev_b32_e32 v3, 25, v1
	v_lshlrev_b16 v1, 8, v1
	s_delay_alu instid0(VALU_DEP_1) | instskip(NEXT) | instid1(VALU_DEP_3)
	v_and_or_b32 v9, 0x7f00, v1, 0.5
	v_lshrrev_b32_e32 v6, 4, v3
	v_bfe_i32 v1, v1, 0, 16
	s_delay_alu instid0(VALU_DEP_3) | instskip(NEXT) | instid1(VALU_DEP_3)
	v_add_f32_e32 v9, -0.5, v9
	v_or_b32_e32 v6, 0x70000000, v6
	s_delay_alu instid0(VALU_DEP_1) | instskip(SKIP_1) | instid1(VALU_DEP_2)
	v_mul_f32_e32 v6, 0x7800000, v6
	v_cmp_gt_u32_e32 vcc_lo, 0x8000000, v3
	v_cndmask_b32_e32 v3, v6, v9, vcc_lo
	s_delay_alu instid0(VALU_DEP_1) | instskip(NEXT) | instid1(VALU_DEP_1)
	v_and_or_b32 v1, 0x80000000, v1, v3
	v_cvt_i32_f32_e32 v6, v1
.LBB54_1969:
	s_mov_b32 s42, 0
	s_mov_b32 s41, -1
.LBB54_1970:
	s_and_not1_b32 vcc_lo, exec_lo, s42
	s_cbranch_vccnz .LBB54_1983
; %bb.1971:
	s_cmp_gt_i32 s1, 14
	s_cbranch_scc0 .LBB54_1974
; %bb.1972:
	s_cmp_eq_u32 s1, 15
	s_cbranch_scc0 .LBB54_1977
; %bb.1973:
	global_load_u16 v1, v[4:5], off
	s_mov_b32 s41, -1
	s_mov_b32 s87, 0
	s_wait_loadcnt 0x0
	v_lshlrev_b32_e32 v1, 16, v1
	s_delay_alu instid0(VALU_DEP_1)
	v_cvt_i32_f32_e32 v6, v1
	s_branch .LBB54_1978
.LBB54_1974:
	s_mov_b32 s42, -1
                                        ; implicit-def: $vgpr6
	s_branch .LBB54_1979
.LBB54_1975:
	s_and_not1_saveexec_b32 s41, s41
	s_cbranch_execz .LBB54_1956
.LBB54_1976:
	v_cmp_ne_u16_e32 vcc_lo, 0, v1
	s_and_not1_b32 s42, s42, exec_lo
	s_and_b32 s43, vcc_lo, exec_lo
	s_delay_alu instid0(SALU_CYCLE_1)
	s_or_b32 s42, s42, s43
	s_or_b32 exec_lo, exec_lo, s41
	v_mov_b32_e32 v6, 0
	s_and_saveexec_b32 s41, s42
	s_cbranch_execnz .LBB54_1957
	s_branch .LBB54_1958
.LBB54_1977:
	s_mov_b32 s87, -1
                                        ; implicit-def: $vgpr6
.LBB54_1978:
	s_mov_b32 s42, 0
.LBB54_1979:
	s_delay_alu instid0(SALU_CYCLE_1)
	s_and_b32 vcc_lo, exec_lo, s42
	s_cbranch_vccz .LBB54_1983
; %bb.1980:
	s_cmp_eq_u32 s1, 11
	s_cbranch_scc0 .LBB54_1982
; %bb.1981:
	global_load_u8 v1, v[4:5], off
	s_mov_b32 s87, 0
	s_mov_b32 s41, -1
	s_wait_loadcnt 0x0
	v_cmp_ne_u16_e32 vcc_lo, 0, v1
	v_cndmask_b32_e64 v6, 0, 1, vcc_lo
	s_branch .LBB54_1983
.LBB54_1982:
	s_mov_b32 s87, -1
                                        ; implicit-def: $vgpr6
.LBB54_1983:
	s_mov_b32 s1, 0
.LBB54_1984:
	s_delay_alu instid0(SALU_CYCLE_1)
	s_and_b32 vcc_lo, exec_lo, s1
	s_cbranch_vccz .LBB54_2033
; %bb.1985:
	s_and_b32 s0, 0xffff, s0
	s_delay_alu instid0(SALU_CYCLE_1)
	s_cmp_lt_i32 s0, 5
	s_cbranch_scc1 .LBB54_1990
; %bb.1986:
	s_cmp_lt_i32 s0, 8
	s_cbranch_scc1 .LBB54_1991
; %bb.1987:
	;; [unrolled: 3-line block ×3, first 2 shown]
	s_cmp_gt_i32 s0, 9
	s_cbranch_scc0 .LBB54_1993
; %bb.1989:
	global_load_b64 v[10:11], v[4:5], off
	s_mov_b32 s1, 0
	s_wait_loadcnt 0x0
	v_cvt_i32_f64_e32 v6, v[10:11]
	s_branch .LBB54_1994
.LBB54_1990:
	s_mov_b32 s1, -1
                                        ; implicit-def: $vgpr6
	s_branch .LBB54_2012
.LBB54_1991:
	s_mov_b32 s1, -1
                                        ; implicit-def: $vgpr6
	s_branch .LBB54_2000
.LBB54_1992:
	s_mov_b32 s1, -1
                                        ; implicit-def: $vgpr6
	s_branch .LBB54_1997
.LBB54_1993:
	s_mov_b32 s1, -1
                                        ; implicit-def: $vgpr6
.LBB54_1994:
	s_delay_alu instid0(SALU_CYCLE_1)
	s_and_not1_b32 vcc_lo, exec_lo, s1
	s_cbranch_vccnz .LBB54_1996
; %bb.1995:
	global_load_b32 v1, v[4:5], off
	s_wait_loadcnt 0x0
	v_cvt_i32_f32_e32 v6, v1
.LBB54_1996:
	s_mov_b32 s1, 0
.LBB54_1997:
	s_delay_alu instid0(SALU_CYCLE_1)
	s_and_not1_b32 vcc_lo, exec_lo, s1
	s_cbranch_vccnz .LBB54_1999
; %bb.1998:
	global_load_b32 v1, v[4:5], off
	s_wait_loadcnt 0x0
	v_cvt_f32_f16_e32 v1, v1
	s_delay_alu instid0(VALU_DEP_1)
	v_cvt_i32_f32_e32 v6, v1
.LBB54_1999:
	s_mov_b32 s1, 0
.LBB54_2000:
	s_delay_alu instid0(SALU_CYCLE_1)
	s_and_not1_b32 vcc_lo, exec_lo, s1
	s_cbranch_vccnz .LBB54_2011
; %bb.2001:
	s_cmp_lt_i32 s0, 6
	s_cbranch_scc1 .LBB54_2004
; %bb.2002:
	s_cmp_gt_i32 s0, 6
	s_cbranch_scc0 .LBB54_2005
; %bb.2003:
	global_load_b64 v[10:11], v[4:5], off
	s_mov_b32 s1, 0
	s_wait_loadcnt 0x0
	v_cvt_i32_f64_e32 v6, v[10:11]
	s_branch .LBB54_2006
.LBB54_2004:
	s_mov_b32 s1, -1
                                        ; implicit-def: $vgpr6
	s_branch .LBB54_2009
.LBB54_2005:
	s_mov_b32 s1, -1
                                        ; implicit-def: $vgpr6
.LBB54_2006:
	s_delay_alu instid0(SALU_CYCLE_1)
	s_and_not1_b32 vcc_lo, exec_lo, s1
	s_cbranch_vccnz .LBB54_2008
; %bb.2007:
	global_load_b32 v1, v[4:5], off
	s_wait_loadcnt 0x0
	v_cvt_i32_f32_e32 v6, v1
.LBB54_2008:
	s_mov_b32 s1, 0
.LBB54_2009:
	s_delay_alu instid0(SALU_CYCLE_1)
	s_and_not1_b32 vcc_lo, exec_lo, s1
	s_cbranch_vccnz .LBB54_2011
; %bb.2010:
	global_load_u16 v1, v[4:5], off
	s_wait_loadcnt 0x0
	v_cvt_f32_f16_e32 v1, v1
	s_delay_alu instid0(VALU_DEP_1)
	v_cvt_i32_f32_e32 v6, v1
.LBB54_2011:
	s_mov_b32 s1, 0
.LBB54_2012:
	s_delay_alu instid0(SALU_CYCLE_1)
	s_and_not1_b32 vcc_lo, exec_lo, s1
	s_cbranch_vccnz .LBB54_2032
; %bb.2013:
	s_cmp_lt_i32 s0, 2
	s_cbranch_scc1 .LBB54_2017
; %bb.2014:
	s_cmp_lt_i32 s0, 3
	s_cbranch_scc1 .LBB54_2018
; %bb.2015:
	s_cmp_gt_i32 s0, 3
	s_cbranch_scc0 .LBB54_2019
; %bb.2016:
	s_wait_loadcnt 0x0
	global_load_b32 v6, v[4:5], off
	s_mov_b32 s1, 0
	s_branch .LBB54_2020
.LBB54_2017:
	s_mov_b32 s1, -1
                                        ; implicit-def: $vgpr6
	s_branch .LBB54_2026
.LBB54_2018:
	s_mov_b32 s1, -1
                                        ; implicit-def: $vgpr6
	s_branch .LBB54_2023
.LBB54_2019:
	s_mov_b32 s1, -1
                                        ; implicit-def: $vgpr6
.LBB54_2020:
	s_delay_alu instid0(SALU_CYCLE_1)
	s_and_not1_b32 vcc_lo, exec_lo, s1
	s_cbranch_vccnz .LBB54_2022
; %bb.2021:
	s_wait_loadcnt 0x0
	global_load_b32 v6, v[4:5], off
.LBB54_2022:
	s_mov_b32 s1, 0
.LBB54_2023:
	s_delay_alu instid0(SALU_CYCLE_1)
	s_and_not1_b32 vcc_lo, exec_lo, s1
	s_cbranch_vccnz .LBB54_2025
; %bb.2024:
	s_wait_loadcnt 0x0
	global_load_i16 v6, v[4:5], off
.LBB54_2025:
	s_mov_b32 s1, 0
.LBB54_2026:
	s_delay_alu instid0(SALU_CYCLE_1)
	s_and_not1_b32 vcc_lo, exec_lo, s1
	s_cbranch_vccnz .LBB54_2032
; %bb.2027:
	s_cmp_gt_i32 s0, 0
	s_mov_b32 s0, 0
	s_cbranch_scc0 .LBB54_2029
; %bb.2028:
	s_wait_loadcnt 0x0
	global_load_i8 v6, v[4:5], off
	s_branch .LBB54_2030
.LBB54_2029:
	s_mov_b32 s0, -1
                                        ; implicit-def: $vgpr6
.LBB54_2030:
	s_delay_alu instid0(SALU_CYCLE_1)
	s_and_not1_b32 vcc_lo, exec_lo, s0
	s_cbranch_vccnz .LBB54_2032
; %bb.2031:
	s_wait_loadcnt 0x0
	global_load_u8 v6, v[4:5], off
.LBB54_2032:
	s_mov_b32 s41, -1
.LBB54_2033:
	s_delay_alu instid0(SALU_CYCLE_1)
	s_and_not1_b32 vcc_lo, exec_lo, s41
	s_cbranch_vccnz .LBB54_2044
; %bb.2034:
	s_wait_loadcnt 0x0
	v_cmp_eq_u32_e32 vcc_lo, s38, v7
	s_mov_b32 s0, 0
	s_mov_b32 s43, -1
	s_mov_b32 s44, s76
	s_mov_b32 s42, s80
	s_and_b32 s45, s58, vcc_lo
	s_mov_b32 s41, s79
	s_mov_b32 s1, s78
	s_wait_xcnt 0x0
	s_and_saveexec_b32 s88, s45
	s_cbranch_execz .LBB54_4195
; %bb.2035:
	v_cmp_eq_u32_e32 vcc_lo, s22, v8
	s_mov_b32 s42, -1
	s_mov_b32 s43, s80
	s_mov_b32 s41, s79
	;; [unrolled: 1-line block ×3, first 2 shown]
	s_and_b32 s1, s57, vcc_lo
	s_delay_alu instid0(SALU_CYCLE_1)
	s_and_saveexec_b32 s89, s1
	s_cbranch_execz .LBB54_3681
; %bb.2036:
	v_sub_nc_u32_e32 v1, v2, v0
	s_mov_b32 s1, 0
	s_mov_b32 s41, -1
	s_mov_b32 s43, s78
	s_delay_alu instid0(VALU_DEP_1) | instskip(SKIP_4) | instid1(SALU_CYCLE_1)
	v_cmp_le_i32_e32 vcc_lo, s38, v1
	v_cmp_ge_i32_e64 s0, s20, v1
	s_and_b32 s42, vcc_lo, s0
	s_mov_b32 s0, s79
	s_and_b32 s42, s56, s42
	s_and_saveexec_b32 s90, s42
	s_cbranch_execz .LBB54_3680
; %bb.2037:
	v_mov_b64_e32 v[4:5], 0
	s_and_not1_b32 vcc_lo, exec_lo, s55
	s_cbranch_vccnz .LBB54_2060
; %bb.2038:
	v_ashrrev_i32_e32 v7, 31, v6
	v_mov_b64_e32 v[4:5], 0
	s_mov_b32 s41, s1
	s_mov_b64 s[42:43], 0xffffffff
	s_lshl_b64 s[46:47], s[40:41], 3
	v_mul_u64_e32 v[8:9], s[22:23], v[6:7]
	v_mov_b32_e32 v6, 0
	s_add_nc_u64 s[44:45], s[26:27], s[46:47]
	s_add_nc_u64 s[46:47], s[28:29], s[46:47]
	s_mov_b32 s41, s24
	s_branch .LBB54_2040
.LBB54_2039:                            ;   in Loop: Header=BB54_2040 Depth=1
	s_or_b32 exec_lo, exec_lo, s0
	global_load_b64 v[12:13], v6, s[46:47]
	v_mul_u64_e32 v[14:15], s[48:49], v[10:11]
	s_add_co_i32 s41, s41, -1
	s_add_nc_u64 s[44:45], s[44:45], -8
	s_cmp_lg_u32 s41, 0
	s_wait_xcnt 0x0
	s_add_nc_u64 s[46:47], s[46:47], -8
	s_delay_alu instid0(VALU_DEP_1) | instskip(SKIP_1) | instid1(VALU_DEP_1)
	v_sub_nc_u64_e32 v[8:9], v[8:9], v[14:15]
	s_wait_loadcnt 0x0
	v_mad_nc_u64_u32 v[4:5], v8, v12, v[4:5]
	s_delay_alu instid0(VALU_DEP_1) | instskip(NEXT) | instid1(VALU_DEP_1)
	v_mad_u32 v1, v9, v12, v5
	v_mad_u32 v5, v8, v13, v1
	v_mov_b64_e32 v[8:9], v[10:11]
	s_cbranch_scc0 .LBB54_2060
.LBB54_2040:                            ; =>This Inner Loop Header: Depth=1
	global_load_b64 v[10:11], v6, s[44:45]
	s_mov_b32 s0, exec_lo
	s_wait_loadcnt 0x0
	v_or_b32_e32 v7, v9, v11
	v_readfirstlane_b32 s48, v10
	v_readfirstlane_b32 s49, v11
                                        ; implicit-def: $vgpr10_vgpr11
	s_wait_xcnt 0x0
	s_delay_alu instid0(VALU_DEP_3)
	v_cmpx_ne_u64_e32 0, v[6:7]
	s_xor_b32 s91, exec_lo, s0
	s_cbranch_execz .LBB54_2042
; %bb.2041:                             ;   in Loop: Header=BB54_2040 Depth=1
	s_ashr_i32 s50, s49, 31
	v_dual_mov_b32 v15, v6 :: v_dual_ashrrev_i32 v10, 31, v9
	s_mov_b32 s51, s50
	v_mov_b32_e32 v25, v6
	s_add_nc_u64 s[52:53], s[48:49], s[50:51]
	s_delay_alu instid0(VALU_DEP_2) | instskip(SKIP_1) | instid1(SALU_CYCLE_1)
	v_mov_b32_e32 v11, v10
	s_xor_b64 s[52:53], s[52:53], s[50:51]
	s_cvt_f32_u32 s0, s52
	s_cvt_f32_u32 s51, s53
	s_sub_nc_u64 s[94:95], 0, s[52:53]
	v_add_nc_u64_e32 v[12:13], v[8:9], v[10:11]
	v_mov_b32_e32 v19, v6
	s_fmamk_f32 s0, s51, 0x4f800000, s0
	s_delay_alu instid0(SALU_CYCLE_3) | instskip(NEXT) | instid1(VALU_DEP_2)
	v_s_rcp_f32 s0, s0
	v_xor_b32_e32 v14, v12, v10
	s_delay_alu instid0(VALU_DEP_3) | instskip(NEXT) | instid1(TRANS32_DEP_1)
	v_xor_b32_e32 v18, v13, v10
	s_mul_f32 s0, s0, 0x5f7ffffc
	s_delay_alu instid0(SALU_CYCLE_3) | instskip(NEXT) | instid1(SALU_CYCLE_3)
	s_mul_f32 s51, s0, 0x2f800000
	s_trunc_f32 s51, s51
	s_delay_alu instid0(SALU_CYCLE_3) | instskip(SKIP_1) | instid1(SALU_CYCLE_2)
	s_fmamk_f32 s0, s51, 0xcf800000, s0
	s_cvt_u32_f32 s93, s51
	s_cvt_u32_f32 s92, s0
	s_delay_alu instid0(SALU_CYCLE_3) | instskip(NEXT) | instid1(SALU_CYCLE_1)
	s_mul_u64 s[96:97], s[94:95], s[92:93]
	s_mul_hi_u32 s99, s92, s97
	s_mul_i32 s98, s92, s97
	s_mul_hi_u32 s0, s92, s96
	s_mul_i32 s100, s93, s96
	s_add_nc_u64 s[98:99], s[0:1], s[98:99]
	s_mul_hi_u32 s51, s93, s96
	s_mul_hi_u32 s101, s93, s97
	s_add_co_u32 s0, s98, s100
	s_add_co_ci_u32 s0, s99, s51
	s_mul_i32 s96, s93, s97
	s_add_co_ci_u32 s97, s101, 0
	s_delay_alu instid0(SALU_CYCLE_1) | instskip(NEXT) | instid1(SALU_CYCLE_1)
	s_add_nc_u64 s[96:97], s[0:1], s[96:97]
	s_add_co_u32 s92, s92, s96
	s_cselect_b32 s0, -1, 0
	s_delay_alu instid0(SALU_CYCLE_1) | instskip(SKIP_1) | instid1(SALU_CYCLE_1)
	s_cmp_lg_u32 s0, 0
	s_add_co_ci_u32 s93, s93, s97
	s_mul_u64 s[94:95], s[94:95], s[92:93]
	s_delay_alu instid0(SALU_CYCLE_1)
	s_mul_hi_u32 s97, s92, s95
	s_mul_i32 s96, s92, s95
	s_mul_hi_u32 s0, s92, s94
	s_mul_i32 s98, s93, s94
	s_add_nc_u64 s[96:97], s[0:1], s[96:97]
	s_mul_hi_u32 s51, s93, s94
	s_mul_hi_u32 s99, s93, s95
	s_add_co_u32 s0, s96, s98
	s_add_co_ci_u32 s0, s97, s51
	s_mul_i32 s94, s93, s95
	s_add_co_ci_u32 s95, s99, 0
	s_delay_alu instid0(SALU_CYCLE_1) | instskip(NEXT) | instid1(SALU_CYCLE_1)
	s_add_nc_u64 s[94:95], s[0:1], s[94:95]
	s_add_co_u32 s92, s92, s94
	s_cselect_b32 s0, -1, 0
	v_mul_hi_u32 v24, v14, s92
	s_cmp_lg_u32 s0, 0
	s_add_co_ci_u32 s0, s93, s95
	s_and_b64 s[94:95], s[92:93], s[42:43]
	v_mul_u64_e32 v[16:17], s[0:1], v[14:15]
	v_mul_u64_e32 v[12:13], s[94:95], v[18:19]
	;; [unrolled: 1-line block ×3, first 2 shown]
	s_delay_alu instid0(VALU_DEP_3) | instskip(NEXT) | instid1(VALU_DEP_1)
	v_add_nc_u64_e32 v[16:17], v[24:25], v[16:17]
	v_add_co_u32 v1, vcc_lo, v16, v12
	s_delay_alu instid0(VALU_DEP_2) | instskip(NEXT) | instid1(VALU_DEP_4)
	v_add_co_ci_u32_e32 v24, vcc_lo, v17, v13, vcc_lo
	v_add_co_ci_u32_e32 v21, vcc_lo, 0, v21, vcc_lo
	s_delay_alu instid0(VALU_DEP_1) | instskip(NEXT) | instid1(VALU_DEP_1)
	v_add_nc_u64_e32 v[12:13], v[24:25], v[20:21]
	v_mul_u64_e32 v[16:17], s[52:53], v[12:13]
	s_delay_alu instid0(VALU_DEP_1) | instskip(NEXT) | instid1(VALU_DEP_2)
	v_sub_nc_u32_e32 v1, v18, v17
	v_sub_co_u32 v3, vcc_lo, v14, v16
	s_delay_alu instid0(VALU_DEP_1) | instskip(NEXT) | instid1(VALU_DEP_3)
	v_sub_co_ci_u32_e64 v11, null, v18, v17, vcc_lo
	v_subrev_co_ci_u32_e64 v1, null, s53, v1, vcc_lo
	s_delay_alu instid0(VALU_DEP_3) | instskip(SKIP_1) | instid1(VALU_DEP_3)
	v_sub_co_u32 v7, s0, v3, s52
	v_add_nc_u64_e32 v[16:17], 1, v[12:13]
	v_subrev_co_ci_u32_e64 v1, null, 0, v1, s0
	s_delay_alu instid0(VALU_DEP_3) | instskip(SKIP_1) | instid1(VALU_DEP_3)
	v_cmp_le_u32_e32 vcc_lo, s52, v7
	v_cndmask_b32_e64 v7, 0, -1, vcc_lo
	v_cmp_le_u32_e32 vcc_lo, s53, v1
	v_cndmask_b32_e64 v14, 0, -1, vcc_lo
	;; [unrolled: 2-line block ×4, first 2 shown]
	v_cmp_eq_u32_e32 vcc_lo, s53, v1
	v_cndmask_b32_e32 v1, v14, v7, vcc_lo
	v_cmp_eq_u32_e32 vcc_lo, s53, v11
	v_add_nc_u64_e32 v[14:15], 2, v[12:13]
	v_cndmask_b32_e32 v3, v18, v3, vcc_lo
	s_delay_alu instid0(VALU_DEP_4) | instskip(NEXT) | instid1(VALU_DEP_2)
	v_cmp_ne_u32_e32 vcc_lo, 0, v1
	v_cmp_ne_u32_e64 s0, 0, v3
	s_delay_alu instid0(VALU_DEP_4) | instskip(NEXT) | instid1(VALU_DEP_1)
	v_dual_cndmask_b32 v1, v17, v15, vcc_lo :: v_dual_cndmask_b32 v3, v16, v14, vcc_lo
	v_dual_cndmask_b32 v1, v13, v1, s0 :: v_dual_bitop2_b32 v10, s50, v10 bitop3:0x14
	s_delay_alu instid0(VALU_DEP_1) | instskip(NEXT) | instid1(VALU_DEP_2)
	v_dual_cndmask_b32 v3, v12, v3, s0 :: v_dual_mov_b32 v11, v10
	v_xor_b32_e32 v13, v1, v10
	s_delay_alu instid0(VALU_DEP_2) | instskip(NEXT) | instid1(VALU_DEP_1)
	v_xor_b32_e32 v12, v3, v10
	v_sub_nc_u64_e32 v[10:11], v[12:13], v[10:11]
.LBB54_2042:                            ;   in Loop: Header=BB54_2040 Depth=1
	s_and_not1_saveexec_b32 s0, s91
	s_cbranch_execz .LBB54_2039
; %bb.2043:                             ;   in Loop: Header=BB54_2040 Depth=1
	v_cvt_f32_u32_e32 v1, s48
	s_sub_co_i32 s50, 0, s48
	v_mov_b32_e32 v11, v6
	s_delay_alu instid0(VALU_DEP_2) | instskip(SKIP_1) | instid1(TRANS32_DEP_1)
	v_rcp_iflag_f32_e32 v1, v1
	v_nop
	v_mul_f32_e32 v1, 0x4f7ffffe, v1
	s_delay_alu instid0(VALU_DEP_1) | instskip(NEXT) | instid1(VALU_DEP_1)
	v_cvt_u32_f32_e32 v1, v1
	v_mul_lo_u32 v3, s50, v1
	s_delay_alu instid0(VALU_DEP_1) | instskip(NEXT) | instid1(VALU_DEP_1)
	v_mul_hi_u32 v3, v1, v3
	v_add_nc_u32_e32 v1, v1, v3
	s_delay_alu instid0(VALU_DEP_1) | instskip(NEXT) | instid1(VALU_DEP_1)
	v_mul_hi_u32 v1, v8, v1
	v_mul_lo_u32 v3, v1, s48
	s_delay_alu instid0(VALU_DEP_1) | instskip(NEXT) | instid1(VALU_DEP_1)
	v_sub_nc_u32_e32 v3, v8, v3
	v_subrev_nc_u32_e32 v10, s48, v3
	v_cmp_le_u32_e32 vcc_lo, s48, v3
	s_delay_alu instid0(VALU_DEP_2) | instskip(NEXT) | instid1(VALU_DEP_1)
	v_dual_add_nc_u32 v7, 1, v1 :: v_dual_cndmask_b32 v3, v3, v10, vcc_lo
	v_cndmask_b32_e32 v1, v1, v7, vcc_lo
	s_delay_alu instid0(VALU_DEP_2) | instskip(NEXT) | instid1(VALU_DEP_2)
	v_cmp_le_u32_e32 vcc_lo, s48, v3
	v_add_nc_u32_e32 v7, 1, v1
	s_delay_alu instid0(VALU_DEP_1)
	v_cndmask_b32_e32 v10, v1, v7, vcc_lo
	s_branch .LBB54_2039
.LBB54_2044:
	s_mov_b32 s0, 0
	s_mov_b32 s1, s78
	;; [unrolled: 1-line block ×6, first 2 shown]
.LBB54_2045:
                                        ; implicit-def: $vgpr22
.LBB54_2046:
	s_and_not1_b32 s45, s78, exec_lo
	s_and_b32 s1, s1, exec_lo
	s_and_not1_b32 s46, s79, exec_lo
	s_and_b32 s41, s41, exec_lo
	s_or_b32 s49, s45, s1
	s_or_b32 s46, s46, s41
	s_and_not1_b32 s1, s80, exec_lo
	s_and_b32 s41, s42, exec_lo
	s_and_not1_b32 s42, s76, exec_lo
	s_and_b32 s44, s44, exec_lo
	s_or_b32 s48, s1, s41
	s_or_b32 s44, s42, s44
	;; [unrolled: 6-line block ×5, first 2 shown]
	s_or_not1_b32 s83, s0, exec_lo
.LBB54_2047:
	s_wait_xcnt 0x0
	s_or_b32 exec_lo, exec_lo, s82
	s_mov_b32 s51, 0
	s_mov_b32 s52, 0
	;; [unrolled: 1-line block ×3, first 2 shown]
                                        ; implicit-def: $sgpr0
                                        ; implicit-def: $vgpr0_vgpr1
                                        ; implicit-def: $vgpr7
	s_and_saveexec_b32 s50, s83
	s_cbranch_execz .LBB54_2138
; %bb.2048:
	v_cmp_gt_i32_e32 vcc_lo, s60, v22
	s_mov_b32 s60, 0
	s_mov_b32 s83, s1
	;; [unrolled: 1-line block ×3, first 2 shown]
                                        ; implicit-def: $sgpr0
                                        ; implicit-def: $vgpr0_vgpr1
                                        ; implicit-def: $vgpr7
	s_and_saveexec_b32 s51, vcc_lo
	s_cbranch_execz .LBB54_2137
; %bb.2049:
	s_wait_loadcnt 0x0
	v_mul_lo_u32 v0, v22, s17
	s_and_b32 s0, s39, 0xff
	s_delay_alu instid0(SALU_CYCLE_1) | instskip(NEXT) | instid1(VALU_DEP_1)
	s_cmp_lt_i32 s0, 11
	v_ashrrev_i32_e32 v1, 31, v0
	s_delay_alu instid0(VALU_DEP_1)
	v_add_nc_u64_e32 v[0:1], s[6:7], v[0:1]
	s_cbranch_scc1 .LBB54_2056
; %bb.2050:
	s_and_b32 s53, 0xffff, s0
	s_delay_alu instid0(SALU_CYCLE_1)
	s_cmp_gt_i32 s53, 25
	s_cbranch_scc0 .LBB54_2057
; %bb.2051:
	s_cmp_gt_i32 s53, 28
	s_cbranch_scc0 .LBB54_2058
; %bb.2052:
	;; [unrolled: 3-line block ×4, first 2 shown]
	s_cmp_eq_u32 s53, 46
	s_mov_b32 s83, 0
	s_cbranch_scc0 .LBB54_2075
; %bb.2055:
	global_load_b32 v2, v[0:1], off
	s_mov_b32 s82, -1
	s_wait_loadcnt 0x0
	v_lshlrev_b32_e32 v2, 16, v2
	s_delay_alu instid0(VALU_DEP_1)
	v_cvt_i32_f32_e32 v7, v2
	s_branch .LBB54_2077
.LBB54_2056:
	s_mov_b32 s83, -1
	s_mov_b32 s52, s1
                                        ; implicit-def: $vgpr7
	s_branch .LBB54_2136
.LBB54_2057:
	s_mov_b32 s83, -1
	s_mov_b32 s52, s1
                                        ; implicit-def: $vgpr7
	s_branch .LBB54_2104
.LBB54_2058:
	s_mov_b32 s83, -1
	s_mov_b32 s52, s1
                                        ; implicit-def: $vgpr7
	s_branch .LBB54_2087
.LBB54_2059:
	s_mov_b32 s83, -1
	s_mov_b32 s52, s1
                                        ; implicit-def: $vgpr7
	s_branch .LBB54_2082
.LBB54_2060:
	s_mov_b32 s43, -1
	s_mov_b32 s0, s79
	s_mov_b32 s1, exec_lo
	v_cmpx_gt_i32_e64 v2, v0
	s_cbranch_execz .LBB54_2067
; %bb.2061:
	s_delay_alu instid0(VALU_DEP_2) | instskip(SKIP_3) | instid1(VALU_DEP_1)
	v_lshlrev_b64_e32 v[4:5], 2, v[4:5]
	v_dual_ashrrev_i32 v1, 31, v0 :: v_dual_ashrrev_i32 v3, 31, v2
	s_mov_b32 s0, 0
	s_xor_b32 s42, s54, -1
                                        ; implicit-def: $sgpr41
                                        ; implicit-def: $sgpr44
                                        ; implicit-def: $sgpr43
	v_lshl_add_u64 v[0:1], v[0:1], 2, v[4:5]
	v_add_nc_u64_e32 v[4:5], s[30:31], v[4:5]
	s_delay_alu instid0(VALU_DEP_2) | instskip(NEXT) | instid1(VALU_DEP_2)
	v_add_nc_u64_e32 v[0:1], s[30:31], v[0:1]
	v_lshl_add_u64 v[2:3], v[2:3], 2, v[4:5]
	s_delay_alu instid0(VALU_DEP_2)
	v_add_nc_u64_e32 v[0:1], 4, v[0:1]
	s_branch .LBB54_2063
.LBB54_2062:                            ;   in Loop: Header=BB54_2063 Depth=1
	s_or_b32 exec_lo, exec_lo, s45
	s_delay_alu instid0(SALU_CYCLE_1) | instskip(NEXT) | instid1(SALU_CYCLE_1)
	s_and_b32 s45, exec_lo, s44
	s_or_b32 s0, s45, s0
	s_and_not1_b32 s41, s41, exec_lo
	s_and_b32 s45, s43, exec_lo
	s_delay_alu instid0(SALU_CYCLE_1)
	s_or_b32 s41, s41, s45
	s_and_not1_b32 exec_lo, exec_lo, s0
	s_cbranch_execz .LBB54_2066
.LBB54_2063:                            ; =>This Inner Loop Header: Depth=1
	s_or_b32 s43, s43, exec_lo
	s_or_b32 s44, s44, exec_lo
	s_mov_b32 s45, exec_lo
	s_delay_alu instid0(VALU_DEP_1)
	v_cmpx_lt_u64_e64 v[0:1], v[2:3]
	s_cbranch_execz .LBB54_2062
; %bb.2064:                             ;   in Loop: Header=BB54_2063 Depth=1
	global_load_b64 v[4:5], v[0:1], off offset:-4
	s_wait_xcnt 0x0
	v_add_nc_u64_e32 v[0:1], 4, v[0:1]
	s_and_not1_b32 s44, s44, exec_lo
	s_and_not1_b32 s43, s43, exec_lo
	s_wait_loadcnt 0x0
	v_cmp_ge_i32_e32 vcc_lo, v4, v5
	s_or_b32 s46, s42, vcc_lo
	s_delay_alu instid0(SALU_CYCLE_1) | instskip(NEXT) | instid1(SALU_CYCLE_1)
	s_and_b32 s46, s46, exec_lo
	s_or_b32 s44, s44, s46
	s_branch .LBB54_2062
.LBB54_2065:
	s_mov_b32 s83, -1
	s_mov_b32 s52, s1
	s_branch .LBB54_2076
.LBB54_2066:
	s_or_b32 exec_lo, exec_lo, s0
	s_delay_alu instid0(SALU_CYCLE_1)
	s_or_b32 s0, s79, exec_lo
	s_or_not1_b32 s43, s41, exec_lo
.LBB54_2067:
	s_or_b32 exec_lo, exec_lo, s1
	s_mov_b32 s42, 0
	s_mov_b32 s41, s78
	s_and_saveexec_b32 s1, s43
	s_cbranch_execz .LBB54_3679
; %bb.2068:
	v_mul_lo_u32 v0, v22, s16
	s_and_b32 s42, s2, 0xff
	s_delay_alu instid0(SALU_CYCLE_1) | instskip(NEXT) | instid1(VALU_DEP_1)
	s_cmp_lt_i32 s42, 11
	v_ashrrev_i32_e32 v1, 31, v0
	s_delay_alu instid0(VALU_DEP_1)
	v_add_nc_u64_e32 v[0:1], s[4:5], v[0:1]
	s_cbranch_scc1 .LBB54_3501
; %bb.2069:
	s_and_b32 s43, 0xffff, s42
	s_delay_alu instid0(SALU_CYCLE_1)
	s_cmp_gt_i32 s43, 25
	s_cbranch_scc0 .LBB54_3503
; %bb.2070:
	s_cmp_gt_i32 s43, 28
	s_cbranch_scc0 .LBB54_3505
; %bb.2071:
	;; [unrolled: 3-line block ×4, first 2 shown]
	s_mov_b32 s45, 0
	s_mov_b32 s41, -1
	s_cmp_eq_u32 s43, 46
	s_mov_b32 s44, 0
	s_cbranch_scc0 .LBB54_3597
; %bb.2074:
	v_mov_b32_e32 v2, 0
	s_mov_b32 s44, -1
	s_mov_b32 s41, 0
	global_store_b32 v[0:1], v2, off
	s_branch .LBB54_3597
.LBB54_2075:
	s_mov_b32 s52, -1
.LBB54_2076:
                                        ; implicit-def: $vgpr7
.LBB54_2077:
	s_and_b32 vcc_lo, exec_lo, s83
	s_cbranch_vccz .LBB54_2081
; %bb.2078:
	s_cmp_eq_u32 s53, 44
	s_cbranch_scc0 .LBB54_2080
; %bb.2079:
	global_load_u8 v2, v[0:1], off
	s_mov_b32 s52, 0
	s_mov_b32 s82, -1
	s_wait_loadcnt 0x0
	v_lshlrev_b32_e32 v3, 23, v2
	v_cmp_ne_u32_e32 vcc_lo, 0, v2
	s_delay_alu instid0(VALU_DEP_2) | instskip(NEXT) | instid1(VALU_DEP_1)
	v_cvt_i32_f32_e32 v3, v3
	v_cndmask_b32_e32 v7, 0, v3, vcc_lo
	s_branch .LBB54_2081
.LBB54_2080:
	s_mov_b32 s52, -1
                                        ; implicit-def: $vgpr7
.LBB54_2081:
	s_mov_b32 s83, 0
.LBB54_2082:
	s_delay_alu instid0(SALU_CYCLE_1)
	s_and_b32 vcc_lo, exec_lo, s83
	s_cbranch_vccz .LBB54_2086
; %bb.2083:
	s_cmp_eq_u32 s53, 29
	s_cbranch_scc0 .LBB54_2085
; %bb.2084:
	global_load_b32 v7, v[0:1], off
	s_mov_b32 s52, 0
	s_mov_b32 s82, -1
	s_branch .LBB54_2086
.LBB54_2085:
	s_mov_b32 s52, -1
                                        ; implicit-def: $vgpr7
.LBB54_2086:
	s_mov_b32 s83, 0
.LBB54_2087:
	s_delay_alu instid0(SALU_CYCLE_1)
	s_and_b32 vcc_lo, exec_lo, s83
	s_cbranch_vccz .LBB54_2103
; %bb.2088:
	s_cmp_lt_i32 s53, 27
	s_cbranch_scc1 .LBB54_2091
; %bb.2089:
	s_cmp_gt_i32 s53, 27
	s_cbranch_scc0 .LBB54_2092
; %bb.2090:
	s_wait_loadcnt 0x0
	global_load_b32 v7, v[0:1], off
	s_mov_b32 s82, 0
	s_branch .LBB54_2093
.LBB54_2091:
	s_mov_b32 s82, -1
                                        ; implicit-def: $vgpr7
	s_branch .LBB54_2096
.LBB54_2092:
	s_mov_b32 s82, -1
                                        ; implicit-def: $vgpr7
.LBB54_2093:
	s_delay_alu instid0(SALU_CYCLE_1)
	s_and_not1_b32 vcc_lo, exec_lo, s82
	s_cbranch_vccnz .LBB54_2095
; %bb.2094:
	s_wait_loadcnt 0x0
	global_load_u16 v7, v[0:1], off
.LBB54_2095:
	s_mov_b32 s82, 0
.LBB54_2096:
	s_delay_alu instid0(SALU_CYCLE_1)
	s_and_not1_b32 vcc_lo, exec_lo, s82
	s_cbranch_vccnz .LBB54_2102
; %bb.2097:
	global_load_u8 v2, v[0:1], off
	s_mov_b32 s83, 0
	s_mov_b32 s82, exec_lo
	s_wait_loadcnt 0x0
	v_cmpx_lt_i16_e32 0x7f, v2
	s_xor_b32 s82, exec_lo, s82
	s_cbranch_execz .LBB54_2114
; %bb.2098:
	v_cmp_ne_u16_e32 vcc_lo, 0x80, v2
	s_and_b32 s83, vcc_lo, exec_lo
	s_and_not1_saveexec_b32 s82, s82
	s_cbranch_execnz .LBB54_2115
.LBB54_2099:
	s_or_b32 exec_lo, exec_lo, s82
	v_mov_b32_e32 v7, 0
	s_and_saveexec_b32 s82, s83
	s_cbranch_execz .LBB54_2101
.LBB54_2100:
	v_and_b32_e32 v3, 0xffff, v2
	s_delay_alu instid0(VALU_DEP_1) | instskip(SKIP_1) | instid1(VALU_DEP_2)
	v_and_b32_e32 v4, 7, v3
	v_bfe_u32 v7, v3, 3, 4
	v_clz_i32_u32_e32 v5, v4
	s_delay_alu instid0(VALU_DEP_2) | instskip(NEXT) | instid1(VALU_DEP_2)
	v_cmp_eq_u32_e32 vcc_lo, 0, v7
	v_min_u32_e32 v5, 32, v5
	s_delay_alu instid0(VALU_DEP_1) | instskip(NEXT) | instid1(VALU_DEP_1)
	v_subrev_nc_u32_e32 v6, 28, v5
	v_dual_lshlrev_b32 v3, v6, v3 :: v_dual_sub_nc_u32 v5, 29, v5
	s_delay_alu instid0(VALU_DEP_1) | instskip(NEXT) | instid1(VALU_DEP_1)
	v_dual_lshlrev_b32 v2, 24, v2 :: v_dual_bitop2_b32 v3, 7, v3 bitop3:0x40
	v_dual_cndmask_b32 v5, v7, v5, vcc_lo :: v_dual_cndmask_b32 v3, v4, v3, vcc_lo
	s_delay_alu instid0(VALU_DEP_2) | instskip(NEXT) | instid1(VALU_DEP_2)
	v_and_b32_e32 v2, 0x80000000, v2
	v_lshl_add_u32 v4, v5, 23, 0x3b800000
	s_delay_alu instid0(VALU_DEP_3) | instskip(NEXT) | instid1(VALU_DEP_1)
	v_lshlrev_b32_e32 v3, 20, v3
	v_or3_b32 v2, v2, v4, v3
	s_delay_alu instid0(VALU_DEP_1)
	v_cvt_i32_f32_e32 v7, v2
.LBB54_2101:
	s_or_b32 exec_lo, exec_lo, s82
.LBB54_2102:
	s_mov_b32 s82, -1
.LBB54_2103:
	s_mov_b32 s83, 0
.LBB54_2104:
	s_delay_alu instid0(SALU_CYCLE_1)
	s_and_b32 vcc_lo, exec_lo, s83
	s_cbranch_vccz .LBB54_2135
; %bb.2105:
	s_cmp_gt_i32 s53, 22
	s_cbranch_scc0 .LBB54_2113
; %bb.2106:
	s_cmp_lt_i32 s53, 24
	s_cbranch_scc1 .LBB54_2116
; %bb.2107:
	s_cmp_gt_i32 s53, 24
	s_cbranch_scc0 .LBB54_2117
; %bb.2108:
	global_load_u8 v2, v[0:1], off
	s_mov_b32 s82, 0
	s_mov_b32 s60, exec_lo
	s_wait_loadcnt 0x0
	v_cmpx_lt_i16_e32 0x7f, v2
	s_xor_b32 s60, exec_lo, s60
	s_cbranch_execz .LBB54_2129
; %bb.2109:
	v_cmp_ne_u16_e32 vcc_lo, 0x80, v2
	s_and_b32 s82, vcc_lo, exec_lo
	s_and_not1_saveexec_b32 s60, s60
	s_cbranch_execnz .LBB54_2130
.LBB54_2110:
	s_or_b32 exec_lo, exec_lo, s60
	v_mov_b32_e32 v7, 0
	s_and_saveexec_b32 s60, s82
	s_cbranch_execz .LBB54_2112
.LBB54_2111:
	v_and_b32_e32 v3, 0xffff, v2
	s_delay_alu instid0(VALU_DEP_1) | instskip(SKIP_1) | instid1(VALU_DEP_2)
	v_and_b32_e32 v4, 3, v3
	v_bfe_u32 v7, v3, 2, 5
	v_clz_i32_u32_e32 v5, v4
	s_delay_alu instid0(VALU_DEP_2) | instskip(NEXT) | instid1(VALU_DEP_2)
	v_cmp_eq_u32_e32 vcc_lo, 0, v7
	v_min_u32_e32 v5, 32, v5
	s_delay_alu instid0(VALU_DEP_1) | instskip(NEXT) | instid1(VALU_DEP_1)
	v_subrev_nc_u32_e32 v6, 29, v5
	v_dual_lshlrev_b32 v3, v6, v3 :: v_dual_sub_nc_u32 v5, 30, v5
	s_delay_alu instid0(VALU_DEP_1) | instskip(NEXT) | instid1(VALU_DEP_1)
	v_dual_lshlrev_b32 v2, 24, v2 :: v_dual_bitop2_b32 v3, 3, v3 bitop3:0x40
	v_dual_cndmask_b32 v5, v7, v5, vcc_lo :: v_dual_cndmask_b32 v3, v4, v3, vcc_lo
	s_delay_alu instid0(VALU_DEP_2) | instskip(NEXT) | instid1(VALU_DEP_2)
	v_and_b32_e32 v2, 0x80000000, v2
	v_lshl_add_u32 v4, v5, 23, 0x37800000
	s_delay_alu instid0(VALU_DEP_3) | instskip(NEXT) | instid1(VALU_DEP_1)
	v_lshlrev_b32_e32 v3, 21, v3
	v_or3_b32 v2, v2, v4, v3
	s_delay_alu instid0(VALU_DEP_1)
	v_cvt_i32_f32_e32 v7, v2
.LBB54_2112:
	s_or_b32 exec_lo, exec_lo, s60
	s_mov_b32 s60, 0
	s_branch .LBB54_2118
.LBB54_2113:
	s_mov_b32 s60, -1
                                        ; implicit-def: $vgpr7
	s_branch .LBB54_2124
.LBB54_2114:
	s_and_not1_saveexec_b32 s82, s82
	s_cbranch_execz .LBB54_2099
.LBB54_2115:
	v_cmp_ne_u16_e32 vcc_lo, 0, v2
	s_and_not1_b32 s83, s83, exec_lo
	s_and_b32 s84, vcc_lo, exec_lo
	s_delay_alu instid0(SALU_CYCLE_1)
	s_or_b32 s83, s83, s84
	s_or_b32 exec_lo, exec_lo, s82
	v_mov_b32_e32 v7, 0
	s_and_saveexec_b32 s82, s83
	s_cbranch_execnz .LBB54_2100
	s_branch .LBB54_2101
.LBB54_2116:
	s_mov_b32 s60, -1
                                        ; implicit-def: $vgpr7
	s_branch .LBB54_2121
.LBB54_2117:
	s_mov_b32 s60, -1
                                        ; implicit-def: $vgpr7
.LBB54_2118:
	s_delay_alu instid0(SALU_CYCLE_1)
	s_and_b32 vcc_lo, exec_lo, s60
	s_cbranch_vccz .LBB54_2120
; %bb.2119:
	global_load_u8 v2, v[0:1], off
	s_wait_loadcnt 0x0
	v_lshlrev_b32_e32 v2, 24, v2
	s_delay_alu instid0(VALU_DEP_1) | instskip(NEXT) | instid1(VALU_DEP_1)
	v_and_b32_e32 v3, 0x7f000000, v2
	v_clz_i32_u32_e32 v4, v3
	v_cmp_ne_u32_e32 vcc_lo, 0, v3
	v_add_nc_u32_e32 v6, 0x1000000, v3
	s_delay_alu instid0(VALU_DEP_3) | instskip(NEXT) | instid1(VALU_DEP_1)
	v_min_u32_e32 v4, 32, v4
	v_sub_nc_u32_e64 v4, v4, 4 clamp
	s_delay_alu instid0(VALU_DEP_1) | instskip(NEXT) | instid1(VALU_DEP_1)
	v_dual_lshlrev_b32 v5, v4, v3 :: v_dual_lshlrev_b32 v4, 23, v4
	v_lshrrev_b32_e32 v5, 4, v5
	s_delay_alu instid0(VALU_DEP_1) | instskip(NEXT) | instid1(VALU_DEP_1)
	v_dual_sub_nc_u32 v4, v5, v4 :: v_dual_ashrrev_i32 v5, 8, v6
	v_add_nc_u32_e32 v4, 0x3c000000, v4
	s_delay_alu instid0(VALU_DEP_1) | instskip(NEXT) | instid1(VALU_DEP_1)
	v_and_or_b32 v4, 0x7f800000, v5, v4
	v_cndmask_b32_e32 v3, 0, v4, vcc_lo
	s_delay_alu instid0(VALU_DEP_1) | instskip(NEXT) | instid1(VALU_DEP_1)
	v_and_or_b32 v2, 0x80000000, v2, v3
	v_cvt_i32_f32_e32 v7, v2
.LBB54_2120:
	s_mov_b32 s60, 0
.LBB54_2121:
	s_delay_alu instid0(SALU_CYCLE_1)
	s_and_not1_b32 vcc_lo, exec_lo, s60
	s_cbranch_vccnz .LBB54_2123
; %bb.2122:
	global_load_u8 v2, v[0:1], off
	s_wait_loadcnt 0x0
	v_lshlrev_b32_e32 v3, 25, v2
	v_lshlrev_b16 v2, 8, v2
	s_delay_alu instid0(VALU_DEP_1) | instskip(SKIP_1) | instid1(VALU_DEP_2)
	v_and_or_b32 v5, 0x7f00, v2, 0.5
	v_bfe_i32 v2, v2, 0, 16
	v_dual_add_f32 v5, -0.5, v5 :: v_dual_lshrrev_b32 v4, 4, v3
	v_cmp_gt_u32_e32 vcc_lo, 0x8000000, v3
	s_delay_alu instid0(VALU_DEP_2) | instskip(NEXT) | instid1(VALU_DEP_1)
	v_or_b32_e32 v4, 0x70000000, v4
	v_mul_f32_e32 v4, 0x7800000, v4
	s_delay_alu instid0(VALU_DEP_1) | instskip(NEXT) | instid1(VALU_DEP_1)
	v_cndmask_b32_e32 v3, v4, v5, vcc_lo
	v_and_or_b32 v2, 0x80000000, v2, v3
	s_delay_alu instid0(VALU_DEP_1)
	v_cvt_i32_f32_e32 v7, v2
.LBB54_2123:
	s_mov_b32 s60, 0
	s_mov_b32 s82, -1
.LBB54_2124:
	s_and_not1_b32 vcc_lo, exec_lo, s60
	s_mov_b32 s60, 0
	s_cbranch_vccnz .LBB54_2135
; %bb.2125:
	s_cmp_gt_i32 s53, 14
	s_cbranch_scc0 .LBB54_2128
; %bb.2126:
	s_cmp_eq_u32 s53, 15
	s_cbranch_scc0 .LBB54_2131
; %bb.2127:
	global_load_u16 v2, v[0:1], off
	s_mov_b32 s52, 0
	s_mov_b32 s82, -1
	s_wait_loadcnt 0x0
	v_lshlrev_b32_e32 v2, 16, v2
	s_delay_alu instid0(VALU_DEP_1)
	v_cvt_i32_f32_e32 v7, v2
	s_branch .LBB54_2133
.LBB54_2128:
	s_mov_b32 s60, -1
	s_branch .LBB54_2132
.LBB54_2129:
	s_and_not1_saveexec_b32 s60, s60
	s_cbranch_execz .LBB54_2110
.LBB54_2130:
	v_cmp_ne_u16_e32 vcc_lo, 0, v2
	s_and_not1_b32 s82, s82, exec_lo
	s_and_b32 s83, vcc_lo, exec_lo
	s_delay_alu instid0(SALU_CYCLE_1)
	s_or_b32 s82, s82, s83
	s_or_b32 exec_lo, exec_lo, s60
	v_mov_b32_e32 v7, 0
	s_and_saveexec_b32 s60, s82
	s_cbranch_execnz .LBB54_2111
	s_branch .LBB54_2112
.LBB54_2131:
	s_mov_b32 s52, -1
.LBB54_2132:
                                        ; implicit-def: $vgpr7
.LBB54_2133:
	s_and_b32 vcc_lo, exec_lo, s60
	s_mov_b32 s60, 0
	s_cbranch_vccz .LBB54_2135
; %bb.2134:
	s_cmp_lg_u32 s53, 11
	s_mov_b32 s60, -1
	s_cselect_b32 s53, -1, 0
	s_and_not1_b32 s52, s52, exec_lo
	s_and_b32 s53, s53, exec_lo
	s_delay_alu instid0(SALU_CYCLE_1)
	s_or_b32 s52, s52, s53
.LBB54_2135:
	s_mov_b32 s83, 0
.LBB54_2136:
	s_and_b32 s53, s82, exec_lo
	s_and_b32 s82, s83, exec_lo
	s_and_not1_b32 s83, s1, exec_lo
	s_and_b32 s52, s52, exec_lo
	s_and_b32 s60, s60, exec_lo
	s_or_b32 s83, s83, s52
.LBB54_2137:
	s_wait_xcnt 0x0
	s_or_b32 exec_lo, exec_lo, s51
	s_delay_alu instid0(SALU_CYCLE_1)
	s_and_b32 s52, s82, exec_lo
	s_and_not1_b32 s1, s1, exec_lo
	s_and_b32 s82, s83, exec_lo
	s_and_b32 s53, s53, exec_lo
	s_and_b32 s51, s60, exec_lo
	s_or_b32 s1, s1, s82
.LBB54_2138:
	s_or_b32 exec_lo, exec_lo, s50
	s_delay_alu instid0(SALU_CYCLE_1)
	s_and_not1_b32 s50, s78, exec_lo
	s_and_b32 s49, s49, exec_lo
	s_and_b32 s46, s46, exec_lo
	s_or_b32 s78, s50, s49
	s_and_not1_b32 s49, s79, exec_lo
	s_and_b32 s44, s44, exec_lo
	s_or_b32 s79, s49, s46
	s_and_not1_b32 s46, s76, exec_lo
	;; [unrolled: 3-line block ×3, first 2 shown]
	s_and_not1_b32 s50, s80, exec_lo
	s_and_b32 s48, s48, exec_lo
	s_or_b32 s74, s44, s42
	s_and_not1_b32 s44, s73, exec_lo
	s_and_b32 s43, s43, exec_lo
	s_or_b32 s80, s50, s48
	s_and_not1_b32 s48, s77, exec_lo
	s_and_b32 s47, s47, exec_lo
	s_and_not1_b32 s46, s75, exec_lo
	s_and_b32 s45, s45, exec_lo
	s_and_not1_b32 s42, s72, exec_lo
	s_and_b32 s41, s41, exec_lo
	s_or_b32 s73, s44, s43
	s_and_not1_b32 s43, s71, exec_lo
	s_and_b32 s44, s1, exec_lo
	s_or_b32 s77, s48, s47
	s_or_b32 s75, s46, s45
	;; [unrolled: 1-line block ×3, first 2 shown]
	s_and_b32 s42, s53, exec_lo
	s_and_b32 s41, s52, exec_lo
	;; [unrolled: 1-line block ×3, first 2 shown]
	s_or_b32 s71, s43, s44
.LBB54_2139:
	s_or_b32 exec_lo, exec_lo, s81
	s_delay_alu instid0(SALU_CYCLE_1)
	s_and_not1_b32 s43, s59, exec_lo
	s_and_b32 s44, s78, exec_lo
	s_and_not1_b32 s45, s62, exec_lo
	s_or_b32 s59, s43, s44
	s_and_not1_b32 s43, s61, exec_lo
	s_and_b32 s44, s79, exec_lo
	s_and_b32 s46, s80, exec_lo
	s_or_b32 s61, s43, s44
	s_and_not1_b32 s43, s63, exec_lo
	s_and_b32 s44, s76, exec_lo
	s_or_b32 s62, s45, s46
	s_and_not1_b32 s45, s64, exec_lo
	;; [unrolled: 3-line block ×6, first 2 shown]
	s_and_b32 s46, s73, exec_lo
	s_or_b32 s67, s43, s44
	s_and_b32 s43, s41, exec_lo
	s_and_not1_b32 s41, s69, exec_lo
	s_and_b32 s44, s71, exec_lo
	s_or_b32 s68, s45, s46
	s_and_b32 s42, s42, exec_lo
	s_and_b32 s71, s1, exec_lo
	s_or_b32 s69, s41, s44
	s_or_b32 exec_lo, exec_lo, s70
	s_mov_b32 s1, 0
	s_and_saveexec_b32 s41, s69
	s_cbranch_execz .LBB54_640
.LBB54_2140:
	s_mov_b32 s1, exec_lo
	s_and_not1_b32 s71, s71, exec_lo
	s_trap 2
	s_or_b32 exec_lo, exec_lo, s41
	s_and_saveexec_b32 s41, s71
	s_delay_alu instid0(SALU_CYCLE_1)
	s_xor_b32 s41, exec_lo, s41
	s_cbranch_execnz .LBB54_641
.LBB54_2141:
	s_or_b32 exec_lo, exec_lo, s41
	s_and_saveexec_b32 s41, s43
	s_cbranch_execz .LBB54_2187
.LBB54_2142:
	s_sext_i32_i16 s43, s0
	s_delay_alu instid0(SALU_CYCLE_1)
	s_cmp_lt_i32 s43, 5
	s_cbranch_scc1 .LBB54_2147
; %bb.2143:
	s_cmp_lt_i32 s43, 8
	s_cbranch_scc1 .LBB54_2148
; %bb.2144:
	;; [unrolled: 3-line block ×3, first 2 shown]
	s_cmp_gt_i32 s43, 9
	s_cbranch_scc0 .LBB54_2150
; %bb.2146:
	s_wait_loadcnt 0x0
	global_load_b64 v[2:3], v[0:1], off
	s_mov_b32 s43, 0
	s_wait_loadcnt 0x0
	v_cvt_i32_f64_e32 v7, v[2:3]
	s_branch .LBB54_2151
.LBB54_2147:
                                        ; implicit-def: $vgpr7
	s_branch .LBB54_2168
.LBB54_2148:
                                        ; implicit-def: $vgpr7
	s_branch .LBB54_2157
.LBB54_2149:
	s_mov_b32 s43, -1
                                        ; implicit-def: $vgpr7
	s_branch .LBB54_2154
.LBB54_2150:
	s_mov_b32 s43, -1
                                        ; implicit-def: $vgpr7
.LBB54_2151:
	s_delay_alu instid0(SALU_CYCLE_1)
	s_and_not1_b32 vcc_lo, exec_lo, s43
	s_cbranch_vccnz .LBB54_2153
; %bb.2152:
	s_wait_loadcnt 0x0
	global_load_b32 v2, v[0:1], off
	s_wait_loadcnt 0x0
	v_cvt_i32_f32_e32 v7, v2
.LBB54_2153:
	s_mov_b32 s43, 0
.LBB54_2154:
	s_delay_alu instid0(SALU_CYCLE_1)
	s_and_not1_b32 vcc_lo, exec_lo, s43
	s_cbranch_vccnz .LBB54_2156
; %bb.2155:
	s_wait_loadcnt 0x0
	global_load_b32 v2, v[0:1], off
	s_wait_loadcnt 0x0
	v_cvt_f32_f16_e32 v2, v2
	s_delay_alu instid0(VALU_DEP_1)
	v_cvt_i32_f32_e32 v7, v2
.LBB54_2156:
	s_cbranch_execnz .LBB54_2167
.LBB54_2157:
	s_sext_i32_i16 s43, s0
	s_delay_alu instid0(SALU_CYCLE_1)
	s_cmp_lt_i32 s43, 6
	s_cbranch_scc1 .LBB54_2160
; %bb.2158:
	s_cmp_gt_i32 s43, 6
	s_cbranch_scc0 .LBB54_2161
; %bb.2159:
	s_wait_loadcnt 0x0
	global_load_b64 v[2:3], v[0:1], off
	s_mov_b32 s43, 0
	s_wait_loadcnt 0x0
	v_cvt_i32_f64_e32 v7, v[2:3]
	s_branch .LBB54_2162
.LBB54_2160:
	s_mov_b32 s43, -1
                                        ; implicit-def: $vgpr7
	s_branch .LBB54_2165
.LBB54_2161:
	s_mov_b32 s43, -1
                                        ; implicit-def: $vgpr7
.LBB54_2162:
	s_delay_alu instid0(SALU_CYCLE_1)
	s_and_not1_b32 vcc_lo, exec_lo, s43
	s_cbranch_vccnz .LBB54_2164
; %bb.2163:
	s_wait_loadcnt 0x0
	global_load_b32 v2, v[0:1], off
	s_wait_loadcnt 0x0
	v_cvt_i32_f32_e32 v7, v2
.LBB54_2164:
	s_mov_b32 s43, 0
.LBB54_2165:
	s_delay_alu instid0(SALU_CYCLE_1)
	s_and_not1_b32 vcc_lo, exec_lo, s43
	s_cbranch_vccnz .LBB54_2167
; %bb.2166:
	s_wait_loadcnt 0x0
	global_load_u16 v2, v[0:1], off
	s_wait_loadcnt 0x0
	v_cvt_f32_f16_e32 v2, v2
	s_delay_alu instid0(VALU_DEP_1)
	v_cvt_i32_f32_e32 v7, v2
.LBB54_2167:
	s_cbranch_execnz .LBB54_2186
.LBB54_2168:
	s_sext_i32_i16 s43, s0
	s_delay_alu instid0(SALU_CYCLE_1)
	s_cmp_lt_i32 s43, 2
	s_cbranch_scc1 .LBB54_2172
; %bb.2169:
	s_cmp_lt_i32 s43, 3
	s_cbranch_scc1 .LBB54_2173
; %bb.2170:
	s_cmp_gt_i32 s43, 3
	s_cbranch_scc0 .LBB54_2174
; %bb.2171:
	s_wait_loadcnt 0x0
	global_load_b32 v7, v[0:1], off
	s_mov_b32 s43, 0
	s_branch .LBB54_2175
.LBB54_2172:
                                        ; implicit-def: $vgpr7
	s_branch .LBB54_2181
.LBB54_2173:
	s_mov_b32 s43, -1
                                        ; implicit-def: $vgpr7
	s_branch .LBB54_2178
.LBB54_2174:
	s_mov_b32 s43, -1
                                        ; implicit-def: $vgpr7
.LBB54_2175:
	s_delay_alu instid0(SALU_CYCLE_1)
	s_and_not1_b32 vcc_lo, exec_lo, s43
	s_cbranch_vccnz .LBB54_2177
; %bb.2176:
	s_wait_loadcnt 0x0
	global_load_b32 v7, v[0:1], off
.LBB54_2177:
	s_mov_b32 s43, 0
.LBB54_2178:
	s_delay_alu instid0(SALU_CYCLE_1)
	s_and_not1_b32 vcc_lo, exec_lo, s43
	s_cbranch_vccnz .LBB54_2180
; %bb.2179:
	s_wait_loadcnt 0x0
	global_load_i16 v7, v[0:1], off
.LBB54_2180:
	s_cbranch_execnz .LBB54_2186
.LBB54_2181:
	s_sext_i32_i16 s0, s0
	s_delay_alu instid0(SALU_CYCLE_1)
	s_cmp_gt_i32 s0, 0
	s_mov_b32 s0, 0
	s_cbranch_scc0 .LBB54_2183
; %bb.2182:
	s_wait_loadcnt 0x0
	global_load_i8 v7, v[0:1], off
	s_branch .LBB54_2184
.LBB54_2183:
	s_mov_b32 s0, -1
                                        ; implicit-def: $vgpr7
.LBB54_2184:
	s_delay_alu instid0(SALU_CYCLE_1)
	s_and_not1_b32 vcc_lo, exec_lo, s0
	s_cbranch_vccnz .LBB54_2186
; %bb.2185:
	s_wait_loadcnt 0x0
	global_load_u8 v7, v[0:1], off
.LBB54_2186:
	s_or_b32 s42, s42, exec_lo
.LBB54_2187:
	s_wait_xcnt 0x0
	s_or_b32 exec_lo, exec_lo, s41
	s_mov_b32 s44, 0
	s_mov_b32 s45, 0
	;; [unrolled: 1-line block ×3, first 2 shown]
                                        ; implicit-def: $sgpr0
                                        ; implicit-def: $vgpr0_vgpr1
                                        ; implicit-def: $vgpr8
	s_and_saveexec_b32 s41, s42
	s_cbranch_execz .LBB54_2195
; %bb.2188:
	s_wait_loadcnt 0x0
	v_mul_lo_u32 v0, v22, s18
	s_and_b32 s0, s25, 0xff
	s_delay_alu instid0(SALU_CYCLE_1) | instskip(NEXT) | instid1(VALU_DEP_1)
	s_cmp_lt_i32 s0, 11
	v_ashrrev_i32_e32 v1, 31, v0
	s_delay_alu instid0(VALU_DEP_1)
	v_add_nc_u64_e32 v[0:1], s[8:9], v[0:1]
	s_cbranch_scc1 .LBB54_2198
; %bb.2189:
	s_and_b32 s43, 0xffff, s0
	s_delay_alu instid0(SALU_CYCLE_1)
	s_cmp_gt_i32 s43, 25
	s_cbranch_scc0 .LBB54_2199
; %bb.2190:
	s_cmp_gt_i32 s43, 28
	s_cbranch_scc0 .LBB54_2200
; %bb.2191:
	;; [unrolled: 3-line block ×4, first 2 shown]
	s_cmp_eq_u32 s43, 46
	s_mov_b32 s46, 0
	s_cbranch_scc0 .LBB54_2203
; %bb.2194:
	global_load_b32 v2, v[0:1], off
	s_mov_b32 s42, 0
	s_mov_b32 s45, -1
	s_wait_loadcnt 0x0
	v_lshlrev_b32_e32 v2, 16, v2
	s_delay_alu instid0(VALU_DEP_1)
	v_cvt_i32_f32_e32 v8, v2
	s_branch .LBB54_2205
.LBB54_2195:
	s_or_b32 exec_lo, exec_lo, s41
	s_and_saveexec_b32 s41, s68
	s_cbranch_execnz .LBB54_2264
.LBB54_2196:
	s_or_b32 exec_lo, exec_lo, s41
	s_and_saveexec_b32 s41, s44
	s_delay_alu instid0(SALU_CYCLE_1)
	s_xor_b32 s41, exec_lo, s41
	s_cbranch_execz .LBB54_2265
.LBB54_2197:
	s_wait_loadcnt 0x0
	global_load_u8 v2, v[0:1], off
	s_or_b32 s43, s43, exec_lo
	s_wait_loadcnt 0x0
	v_cmp_ne_u16_e32 vcc_lo, 0, v2
	v_cndmask_b32_e64 v8, 0, 1, vcc_lo
	s_wait_xcnt 0x0
	s_or_b32 exec_lo, exec_lo, s41
	s_and_saveexec_b32 s41, s45
	s_cbranch_execz .LBB54_2311
	s_branch .LBB54_2266
.LBB54_2198:
	s_mov_b32 s46, -1
	s_mov_b32 s42, s68
                                        ; implicit-def: $vgpr8
	s_branch .LBB54_2263
.LBB54_2199:
	s_mov_b32 s42, s68
                                        ; implicit-def: $vgpr8
	s_cbranch_execnz .LBB54_2232
	s_branch .LBB54_2262
.LBB54_2200:
	s_mov_b32 s46, -1
	s_mov_b32 s42, s68
                                        ; implicit-def: $vgpr8
	s_branch .LBB54_2215
.LBB54_2201:
	s_mov_b32 s46, -1
	s_mov_b32 s42, s68
                                        ; implicit-def: $vgpr8
	s_branch .LBB54_2210
.LBB54_2202:
	s_mov_b32 s46, -1
	s_mov_b32 s42, s68
	s_branch .LBB54_2204
.LBB54_2203:
	s_mov_b32 s42, -1
.LBB54_2204:
                                        ; implicit-def: $vgpr8
.LBB54_2205:
	s_and_b32 vcc_lo, exec_lo, s46
	s_cbranch_vccz .LBB54_2209
; %bb.2206:
	s_cmp_eq_u32 s43, 44
	s_cbranch_scc0 .LBB54_2208
; %bb.2207:
	global_load_u8 v2, v[0:1], off
	s_mov_b32 s42, 0
	s_mov_b32 s45, -1
	s_wait_loadcnt 0x0
	v_lshlrev_b32_e32 v3, 23, v2
	v_cmp_ne_u32_e32 vcc_lo, 0, v2
	s_delay_alu instid0(VALU_DEP_2) | instskip(NEXT) | instid1(VALU_DEP_1)
	v_cvt_i32_f32_e32 v3, v3
	v_cndmask_b32_e32 v8, 0, v3, vcc_lo
	s_branch .LBB54_2209
.LBB54_2208:
	s_mov_b32 s42, -1
                                        ; implicit-def: $vgpr8
.LBB54_2209:
	s_mov_b32 s46, 0
.LBB54_2210:
	s_delay_alu instid0(SALU_CYCLE_1)
	s_and_b32 vcc_lo, exec_lo, s46
	s_cbranch_vccz .LBB54_2214
; %bb.2211:
	s_cmp_eq_u32 s43, 29
	s_cbranch_scc0 .LBB54_2213
; %bb.2212:
	global_load_b32 v8, v[0:1], off
	s_mov_b32 s42, 0
	s_mov_b32 s45, -1
	s_branch .LBB54_2214
.LBB54_2213:
	s_mov_b32 s42, -1
                                        ; implicit-def: $vgpr8
.LBB54_2214:
	s_mov_b32 s46, 0
.LBB54_2215:
	s_delay_alu instid0(SALU_CYCLE_1)
	s_and_b32 vcc_lo, exec_lo, s46
	s_cbranch_vccz .LBB54_2231
; %bb.2216:
	s_cmp_lt_i32 s43, 27
	s_cbranch_scc1 .LBB54_2219
; %bb.2217:
	s_cmp_gt_i32 s43, 27
	s_cbranch_scc0 .LBB54_2220
; %bb.2218:
	s_wait_loadcnt 0x0
	global_load_b32 v8, v[0:1], off
	s_mov_b32 s45, 0
	s_branch .LBB54_2221
.LBB54_2219:
	s_mov_b32 s45, -1
                                        ; implicit-def: $vgpr8
	s_branch .LBB54_2224
.LBB54_2220:
	s_mov_b32 s45, -1
                                        ; implicit-def: $vgpr8
.LBB54_2221:
	s_delay_alu instid0(SALU_CYCLE_1)
	s_and_not1_b32 vcc_lo, exec_lo, s45
	s_cbranch_vccnz .LBB54_2223
; %bb.2222:
	s_wait_loadcnt 0x0
	global_load_u16 v8, v[0:1], off
.LBB54_2223:
	s_mov_b32 s45, 0
.LBB54_2224:
	s_delay_alu instid0(SALU_CYCLE_1)
	s_and_not1_b32 vcc_lo, exec_lo, s45
	s_cbranch_vccnz .LBB54_2230
; %bb.2225:
	global_load_u8 v2, v[0:1], off
	s_mov_b32 s46, 0
	s_mov_b32 s45, exec_lo
	s_wait_loadcnt 0x0
	v_cmpx_lt_i16_e32 0x7f, v2
	s_xor_b32 s45, exec_lo, s45
	s_cbranch_execz .LBB54_2241
; %bb.2226:
	v_cmp_ne_u16_e32 vcc_lo, 0x80, v2
	s_and_b32 s46, vcc_lo, exec_lo
	s_and_not1_saveexec_b32 s45, s45
	s_cbranch_execnz .LBB54_2242
.LBB54_2227:
	s_or_b32 exec_lo, exec_lo, s45
	v_mov_b32_e32 v8, 0
	s_and_saveexec_b32 s45, s46
	s_cbranch_execz .LBB54_2229
.LBB54_2228:
	v_and_b32_e32 v3, 0xffff, v2
	s_delay_alu instid0(VALU_DEP_1) | instskip(SKIP_1) | instid1(VALU_DEP_2)
	v_and_b32_e32 v4, 7, v3
	v_bfe_u32 v8, v3, 3, 4
	v_clz_i32_u32_e32 v5, v4
	s_delay_alu instid0(VALU_DEP_2) | instskip(NEXT) | instid1(VALU_DEP_2)
	v_cmp_eq_u32_e32 vcc_lo, 0, v8
	v_min_u32_e32 v5, 32, v5
	s_delay_alu instid0(VALU_DEP_1) | instskip(NEXT) | instid1(VALU_DEP_1)
	v_subrev_nc_u32_e32 v6, 28, v5
	v_dual_lshlrev_b32 v3, v6, v3 :: v_dual_sub_nc_u32 v5, 29, v5
	s_delay_alu instid0(VALU_DEP_1) | instskip(NEXT) | instid1(VALU_DEP_2)
	v_dual_lshlrev_b32 v2, 24, v2 :: v_dual_bitop2_b32 v3, 7, v3 bitop3:0x40
	v_cndmask_b32_e32 v5, v8, v5, vcc_lo
	s_delay_alu instid0(VALU_DEP_2) | instskip(NEXT) | instid1(VALU_DEP_3)
	v_cndmask_b32_e32 v3, v4, v3, vcc_lo
	v_and_b32_e32 v2, 0x80000000, v2
	s_delay_alu instid0(VALU_DEP_3) | instskip(NEXT) | instid1(VALU_DEP_3)
	v_lshl_add_u32 v4, v5, 23, 0x3b800000
	v_lshlrev_b32_e32 v3, 20, v3
	s_delay_alu instid0(VALU_DEP_1) | instskip(NEXT) | instid1(VALU_DEP_1)
	v_or3_b32 v2, v2, v4, v3
	v_cvt_i32_f32_e32 v8, v2
.LBB54_2229:
	s_or_b32 exec_lo, exec_lo, s45
.LBB54_2230:
	s_mov_b32 s45, -1
.LBB54_2231:
	s_branch .LBB54_2262
.LBB54_2232:
	s_cmp_gt_i32 s43, 22
	s_cbranch_scc0 .LBB54_2240
; %bb.2233:
	s_cmp_lt_i32 s43, 24
	s_cbranch_scc1 .LBB54_2243
; %bb.2234:
	s_cmp_gt_i32 s43, 24
	s_cbranch_scc0 .LBB54_2244
; %bb.2235:
	global_load_u8 v2, v[0:1], off
	s_mov_b32 s45, 0
	s_mov_b32 s44, exec_lo
	s_wait_loadcnt 0x0
	v_cmpx_lt_i16_e32 0x7f, v2
	s_xor_b32 s44, exec_lo, s44
	s_cbranch_execz .LBB54_2256
; %bb.2236:
	v_cmp_ne_u16_e32 vcc_lo, 0x80, v2
	s_and_b32 s45, vcc_lo, exec_lo
	s_and_not1_saveexec_b32 s44, s44
	s_cbranch_execnz .LBB54_2257
.LBB54_2237:
	s_or_b32 exec_lo, exec_lo, s44
	v_mov_b32_e32 v8, 0
	s_and_saveexec_b32 s44, s45
	s_cbranch_execz .LBB54_2239
.LBB54_2238:
	v_and_b32_e32 v3, 0xffff, v2
	s_delay_alu instid0(VALU_DEP_1) | instskip(SKIP_1) | instid1(VALU_DEP_2)
	v_and_b32_e32 v4, 3, v3
	v_bfe_u32 v8, v3, 2, 5
	v_clz_i32_u32_e32 v5, v4
	s_delay_alu instid0(VALU_DEP_2) | instskip(NEXT) | instid1(VALU_DEP_2)
	v_cmp_eq_u32_e32 vcc_lo, 0, v8
	v_min_u32_e32 v5, 32, v5
	s_delay_alu instid0(VALU_DEP_1) | instskip(NEXT) | instid1(VALU_DEP_1)
	v_subrev_nc_u32_e32 v6, 29, v5
	v_dual_lshlrev_b32 v3, v6, v3 :: v_dual_sub_nc_u32 v5, 30, v5
	s_delay_alu instid0(VALU_DEP_1) | instskip(NEXT) | instid1(VALU_DEP_2)
	v_dual_lshlrev_b32 v2, 24, v2 :: v_dual_bitop2_b32 v3, 3, v3 bitop3:0x40
	v_cndmask_b32_e32 v5, v8, v5, vcc_lo
	s_delay_alu instid0(VALU_DEP_2) | instskip(NEXT) | instid1(VALU_DEP_3)
	v_cndmask_b32_e32 v3, v4, v3, vcc_lo
	v_and_b32_e32 v2, 0x80000000, v2
	s_delay_alu instid0(VALU_DEP_3) | instskip(NEXT) | instid1(VALU_DEP_3)
	v_lshl_add_u32 v4, v5, 23, 0x37800000
	v_lshlrev_b32_e32 v3, 21, v3
	s_delay_alu instid0(VALU_DEP_1) | instskip(NEXT) | instid1(VALU_DEP_1)
	v_or3_b32 v2, v2, v4, v3
	v_cvt_i32_f32_e32 v8, v2
.LBB54_2239:
	s_or_b32 exec_lo, exec_lo, s44
	s_mov_b32 s44, 0
	s_branch .LBB54_2245
.LBB54_2240:
	s_mov_b32 s44, -1
                                        ; implicit-def: $vgpr8
	s_branch .LBB54_2251
.LBB54_2241:
	s_and_not1_saveexec_b32 s45, s45
	s_cbranch_execz .LBB54_2227
.LBB54_2242:
	v_cmp_ne_u16_e32 vcc_lo, 0, v2
	s_and_not1_b32 s46, s46, exec_lo
	s_and_b32 s47, vcc_lo, exec_lo
	s_delay_alu instid0(SALU_CYCLE_1)
	s_or_b32 s46, s46, s47
	s_or_b32 exec_lo, exec_lo, s45
	v_mov_b32_e32 v8, 0
	s_and_saveexec_b32 s45, s46
	s_cbranch_execnz .LBB54_2228
	s_branch .LBB54_2229
.LBB54_2243:
	s_mov_b32 s44, -1
                                        ; implicit-def: $vgpr8
	s_branch .LBB54_2248
.LBB54_2244:
	s_mov_b32 s44, -1
                                        ; implicit-def: $vgpr8
.LBB54_2245:
	s_delay_alu instid0(SALU_CYCLE_1)
	s_and_b32 vcc_lo, exec_lo, s44
	s_cbranch_vccz .LBB54_2247
; %bb.2246:
	global_load_u8 v2, v[0:1], off
	s_wait_loadcnt 0x0
	v_lshlrev_b32_e32 v2, 24, v2
	s_delay_alu instid0(VALU_DEP_1) | instskip(NEXT) | instid1(VALU_DEP_1)
	v_and_b32_e32 v3, 0x7f000000, v2
	v_clz_i32_u32_e32 v4, v3
	v_cmp_ne_u32_e32 vcc_lo, 0, v3
	v_add_nc_u32_e32 v6, 0x1000000, v3
	s_delay_alu instid0(VALU_DEP_3) | instskip(NEXT) | instid1(VALU_DEP_1)
	v_min_u32_e32 v4, 32, v4
	v_sub_nc_u32_e64 v4, v4, 4 clamp
	s_delay_alu instid0(VALU_DEP_1) | instskip(NEXT) | instid1(VALU_DEP_1)
	v_dual_lshlrev_b32 v5, v4, v3 :: v_dual_lshlrev_b32 v4, 23, v4
	v_lshrrev_b32_e32 v5, 4, v5
	s_delay_alu instid0(VALU_DEP_1) | instskip(NEXT) | instid1(VALU_DEP_1)
	v_dual_sub_nc_u32 v4, v5, v4 :: v_dual_ashrrev_i32 v5, 8, v6
	v_add_nc_u32_e32 v4, 0x3c000000, v4
	s_delay_alu instid0(VALU_DEP_1) | instskip(NEXT) | instid1(VALU_DEP_1)
	v_and_or_b32 v4, 0x7f800000, v5, v4
	v_cndmask_b32_e32 v3, 0, v4, vcc_lo
	s_delay_alu instid0(VALU_DEP_1) | instskip(NEXT) | instid1(VALU_DEP_1)
	v_and_or_b32 v2, 0x80000000, v2, v3
	v_cvt_i32_f32_e32 v8, v2
.LBB54_2247:
	s_mov_b32 s44, 0
.LBB54_2248:
	s_delay_alu instid0(SALU_CYCLE_1)
	s_and_not1_b32 vcc_lo, exec_lo, s44
	s_cbranch_vccnz .LBB54_2250
; %bb.2249:
	global_load_u8 v2, v[0:1], off
	s_wait_loadcnt 0x0
	v_lshlrev_b32_e32 v3, 25, v2
	v_lshlrev_b16 v2, 8, v2
	s_delay_alu instid0(VALU_DEP_1) | instskip(SKIP_1) | instid1(VALU_DEP_2)
	v_and_or_b32 v5, 0x7f00, v2, 0.5
	v_bfe_i32 v2, v2, 0, 16
	v_dual_add_f32 v5, -0.5, v5 :: v_dual_lshrrev_b32 v4, 4, v3
	v_cmp_gt_u32_e32 vcc_lo, 0x8000000, v3
	s_delay_alu instid0(VALU_DEP_2) | instskip(NEXT) | instid1(VALU_DEP_1)
	v_or_b32_e32 v4, 0x70000000, v4
	v_mul_f32_e32 v4, 0x7800000, v4
	s_delay_alu instid0(VALU_DEP_1) | instskip(NEXT) | instid1(VALU_DEP_1)
	v_cndmask_b32_e32 v3, v4, v5, vcc_lo
	v_and_or_b32 v2, 0x80000000, v2, v3
	s_delay_alu instid0(VALU_DEP_1)
	v_cvt_i32_f32_e32 v8, v2
.LBB54_2250:
	s_mov_b32 s44, 0
	s_mov_b32 s45, -1
.LBB54_2251:
	s_and_not1_b32 vcc_lo, exec_lo, s44
	s_mov_b32 s44, 0
	s_cbranch_vccnz .LBB54_2262
; %bb.2252:
	s_cmp_gt_i32 s43, 14
	s_cbranch_scc0 .LBB54_2255
; %bb.2253:
	s_cmp_eq_u32 s43, 15
	s_cbranch_scc0 .LBB54_2258
; %bb.2254:
	global_load_u16 v2, v[0:1], off
	s_mov_b32 s42, 0
	s_mov_b32 s45, -1
	s_wait_loadcnt 0x0
	v_lshlrev_b32_e32 v2, 16, v2
	s_delay_alu instid0(VALU_DEP_1)
	v_cvt_i32_f32_e32 v8, v2
	s_branch .LBB54_2260
.LBB54_2255:
	s_mov_b32 s44, -1
	s_branch .LBB54_2259
.LBB54_2256:
	s_and_not1_saveexec_b32 s44, s44
	s_cbranch_execz .LBB54_2237
.LBB54_2257:
	v_cmp_ne_u16_e32 vcc_lo, 0, v2
	s_and_not1_b32 s45, s45, exec_lo
	s_and_b32 s46, vcc_lo, exec_lo
	s_delay_alu instid0(SALU_CYCLE_1)
	s_or_b32 s45, s45, s46
	s_or_b32 exec_lo, exec_lo, s44
	v_mov_b32_e32 v8, 0
	s_and_saveexec_b32 s44, s45
	s_cbranch_execnz .LBB54_2238
	s_branch .LBB54_2239
.LBB54_2258:
	s_mov_b32 s42, -1
.LBB54_2259:
                                        ; implicit-def: $vgpr8
.LBB54_2260:
	s_and_b32 vcc_lo, exec_lo, s44
	s_mov_b32 s44, 0
	s_cbranch_vccz .LBB54_2262
; %bb.2261:
	s_cmp_lg_u32 s43, 11
	s_mov_b32 s44, -1
	s_cselect_b32 s43, -1, 0
	s_and_not1_b32 s42, s42, exec_lo
	s_and_b32 s43, s43, exec_lo
	s_delay_alu instid0(SALU_CYCLE_1)
	s_or_b32 s42, s42, s43
.LBB54_2262:
	s_mov_b32 s46, 0
.LBB54_2263:
	s_and_b32 s43, s45, exec_lo
	s_and_b32 s45, s46, exec_lo
	s_and_not1_b32 s46, s68, exec_lo
	s_and_b32 s42, s42, exec_lo
	s_and_b32 s44, s44, exec_lo
	s_or_b32 s68, s46, s42
	s_wait_xcnt 0x0
	s_or_b32 exec_lo, exec_lo, s41
	s_and_saveexec_b32 s41, s68
	s_cbranch_execz .LBB54_2196
.LBB54_2264:
	s_or_b32 s1, s1, exec_lo
	s_and_not1_b32 s44, s44, exec_lo
	s_trap 2
	s_or_b32 exec_lo, exec_lo, s41
	s_and_saveexec_b32 s41, s44
	s_delay_alu instid0(SALU_CYCLE_1)
	s_xor_b32 s41, exec_lo, s41
	s_cbranch_execnz .LBB54_2197
.LBB54_2265:
	s_or_b32 exec_lo, exec_lo, s41
	s_and_saveexec_b32 s41, s45
	s_cbranch_execz .LBB54_2311
.LBB54_2266:
	s_sext_i32_i16 s42, s0
	s_delay_alu instid0(SALU_CYCLE_1)
	s_cmp_lt_i32 s42, 5
	s_cbranch_scc1 .LBB54_2271
; %bb.2267:
	s_cmp_lt_i32 s42, 8
	s_cbranch_scc1 .LBB54_2272
; %bb.2268:
	;; [unrolled: 3-line block ×3, first 2 shown]
	s_cmp_gt_i32 s42, 9
	s_cbranch_scc0 .LBB54_2274
; %bb.2270:
	s_wait_loadcnt 0x0
	global_load_b64 v[2:3], v[0:1], off
	s_mov_b32 s42, 0
	s_wait_loadcnt 0x0
	v_cvt_i32_f64_e32 v8, v[2:3]
	s_branch .LBB54_2275
.LBB54_2271:
                                        ; implicit-def: $vgpr8
	s_branch .LBB54_2292
.LBB54_2272:
                                        ; implicit-def: $vgpr8
	s_branch .LBB54_2281
.LBB54_2273:
	s_mov_b32 s42, -1
                                        ; implicit-def: $vgpr8
	s_branch .LBB54_2278
.LBB54_2274:
	s_mov_b32 s42, -1
                                        ; implicit-def: $vgpr8
.LBB54_2275:
	s_delay_alu instid0(SALU_CYCLE_1)
	s_and_not1_b32 vcc_lo, exec_lo, s42
	s_cbranch_vccnz .LBB54_2277
; %bb.2276:
	s_wait_loadcnt 0x0
	global_load_b32 v2, v[0:1], off
	s_wait_loadcnt 0x0
	v_cvt_i32_f32_e32 v8, v2
.LBB54_2277:
	s_mov_b32 s42, 0
.LBB54_2278:
	s_delay_alu instid0(SALU_CYCLE_1)
	s_and_not1_b32 vcc_lo, exec_lo, s42
	s_cbranch_vccnz .LBB54_2280
; %bb.2279:
	s_wait_loadcnt 0x0
	global_load_b32 v2, v[0:1], off
	s_wait_loadcnt 0x0
	v_cvt_f32_f16_e32 v2, v2
	s_delay_alu instid0(VALU_DEP_1)
	v_cvt_i32_f32_e32 v8, v2
.LBB54_2280:
	s_cbranch_execnz .LBB54_2291
.LBB54_2281:
	s_sext_i32_i16 s42, s0
	s_delay_alu instid0(SALU_CYCLE_1)
	s_cmp_lt_i32 s42, 6
	s_cbranch_scc1 .LBB54_2284
; %bb.2282:
	s_cmp_gt_i32 s42, 6
	s_cbranch_scc0 .LBB54_2285
; %bb.2283:
	s_wait_loadcnt 0x0
	global_load_b64 v[2:3], v[0:1], off
	s_mov_b32 s42, 0
	s_wait_loadcnt 0x0
	v_cvt_i32_f64_e32 v8, v[2:3]
	s_branch .LBB54_2286
.LBB54_2284:
	s_mov_b32 s42, -1
                                        ; implicit-def: $vgpr8
	s_branch .LBB54_2289
.LBB54_2285:
	s_mov_b32 s42, -1
                                        ; implicit-def: $vgpr8
.LBB54_2286:
	s_delay_alu instid0(SALU_CYCLE_1)
	s_and_not1_b32 vcc_lo, exec_lo, s42
	s_cbranch_vccnz .LBB54_2288
; %bb.2287:
	s_wait_loadcnt 0x0
	global_load_b32 v2, v[0:1], off
	s_wait_loadcnt 0x0
	v_cvt_i32_f32_e32 v8, v2
.LBB54_2288:
	s_mov_b32 s42, 0
.LBB54_2289:
	s_delay_alu instid0(SALU_CYCLE_1)
	s_and_not1_b32 vcc_lo, exec_lo, s42
	s_cbranch_vccnz .LBB54_2291
; %bb.2290:
	s_wait_loadcnt 0x0
	global_load_u16 v2, v[0:1], off
	s_wait_loadcnt 0x0
	v_cvt_f32_f16_e32 v2, v2
	s_delay_alu instid0(VALU_DEP_1)
	v_cvt_i32_f32_e32 v8, v2
.LBB54_2291:
	s_cbranch_execnz .LBB54_2310
.LBB54_2292:
	s_sext_i32_i16 s42, s0
	s_delay_alu instid0(SALU_CYCLE_1)
	s_cmp_lt_i32 s42, 2
	s_cbranch_scc1 .LBB54_2296
; %bb.2293:
	s_cmp_lt_i32 s42, 3
	s_cbranch_scc1 .LBB54_2297
; %bb.2294:
	s_cmp_gt_i32 s42, 3
	s_cbranch_scc0 .LBB54_2298
; %bb.2295:
	s_wait_loadcnt 0x0
	global_load_b32 v8, v[0:1], off
	s_mov_b32 s42, 0
	s_branch .LBB54_2299
.LBB54_2296:
                                        ; implicit-def: $vgpr8
	s_branch .LBB54_2305
.LBB54_2297:
	s_mov_b32 s42, -1
                                        ; implicit-def: $vgpr8
	s_branch .LBB54_2302
.LBB54_2298:
	s_mov_b32 s42, -1
                                        ; implicit-def: $vgpr8
.LBB54_2299:
	s_delay_alu instid0(SALU_CYCLE_1)
	s_and_not1_b32 vcc_lo, exec_lo, s42
	s_cbranch_vccnz .LBB54_2301
; %bb.2300:
	s_wait_loadcnt 0x0
	global_load_b32 v8, v[0:1], off
.LBB54_2301:
	s_mov_b32 s42, 0
.LBB54_2302:
	s_delay_alu instid0(SALU_CYCLE_1)
	s_and_not1_b32 vcc_lo, exec_lo, s42
	s_cbranch_vccnz .LBB54_2304
; %bb.2303:
	s_wait_loadcnt 0x0
	global_load_i16 v8, v[0:1], off
.LBB54_2304:
	s_cbranch_execnz .LBB54_2310
.LBB54_2305:
	s_sext_i32_i16 s0, s0
	s_delay_alu instid0(SALU_CYCLE_1)
	s_cmp_gt_i32 s0, 0
	s_mov_b32 s0, 0
	s_cbranch_scc0 .LBB54_2307
; %bb.2306:
	s_wait_loadcnt 0x0
	global_load_i8 v8, v[0:1], off
	s_branch .LBB54_2308
.LBB54_2307:
	s_mov_b32 s0, -1
                                        ; implicit-def: $vgpr8
.LBB54_2308:
	s_delay_alu instid0(SALU_CYCLE_1)
	s_and_not1_b32 vcc_lo, exec_lo, s0
	s_cbranch_vccnz .LBB54_2310
; %bb.2309:
	s_wait_loadcnt 0x0
	global_load_u8 v8, v[0:1], off
.LBB54_2310:
	s_or_b32 s43, s43, exec_lo
.LBB54_2311:
	s_wait_xcnt 0x0
	s_or_b32 exec_lo, exec_lo, s41
	s_mov_b32 s42, 0
	s_mov_b32 s46, 0
	;; [unrolled: 1-line block ×3, first 2 shown]
                                        ; implicit-def: $sgpr0
                                        ; implicit-def: $vgpr2_vgpr3
                                        ; implicit-def: $vgpr0
	s_and_saveexec_b32 s41, s43
	s_cbranch_execz .LBB54_2319
; %bb.2312:
	s_wait_loadcnt 0x0
	v_mul_lo_u32 v0, v22, s19
	s_and_b32 s0, s34, 0xff
	s_delay_alu instid0(SALU_CYCLE_1) | instskip(NEXT) | instid1(VALU_DEP_1)
	s_cmp_lt_i32 s0, 11
	v_ashrrev_i32_e32 v1, 31, v0
	s_delay_alu instid0(VALU_DEP_1)
	v_add_nc_u64_e32 v[2:3], s[10:11], v[0:1]
	s_cbranch_scc1 .LBB54_2322
; %bb.2313:
	s_and_b32 s43, 0xffff, s0
	s_mov_b32 s45, 0
	s_cmp_gt_i32 s43, 25
	s_cbranch_scc0 .LBB54_2323
; %bb.2314:
	s_cmp_gt_i32 s43, 28
	s_cbranch_scc0 .LBB54_2324
; %bb.2315:
	;; [unrolled: 3-line block ×4, first 2 shown]
	s_cmp_eq_u32 s43, 46
	s_cbranch_scc0 .LBB54_2327
; %bb.2318:
	global_load_b32 v0, v[2:3], off
	s_mov_b32 s44, -1
	s_wait_loadcnt 0x0
	v_lshlrev_b32_e32 v0, 16, v0
	s_delay_alu instid0(VALU_DEP_1)
	v_cvt_i32_f32_e32 v0, v0
	s_branch .LBB54_2329
.LBB54_2319:
	s_or_b32 exec_lo, exec_lo, s41
	s_and_saveexec_b32 s41, s67
	s_cbranch_execnz .LBB54_2388
.LBB54_2320:
	s_or_b32 exec_lo, exec_lo, s41
	s_and_saveexec_b32 s41, s42
	s_delay_alu instid0(SALU_CYCLE_1)
	s_xor_b32 s41, exec_lo, s41
	s_cbranch_execz .LBB54_2389
.LBB54_2321:
	s_wait_loadcnt 0x0
	global_load_u8 v0, v[2:3], off
	s_or_b32 s44, s44, exec_lo
	s_wait_loadcnt 0x0
	v_cmp_ne_u16_e32 vcc_lo, 0, v0
	v_cndmask_b32_e64 v0, 0, 1, vcc_lo
	s_wait_xcnt 0x0
	s_or_b32 exec_lo, exec_lo, s41
	s_and_saveexec_b32 s41, s46
	s_cbranch_execz .LBB54_2435
	s_branch .LBB54_2390
.LBB54_2322:
	s_mov_b32 s43, -1
	s_mov_b32 s45, 0
	s_mov_b32 s42, s67
                                        ; implicit-def: $vgpr0
	s_branch .LBB54_2387
.LBB54_2323:
	s_mov_b32 s42, s67
                                        ; implicit-def: $vgpr0
	s_cbranch_execnz .LBB54_2356
	s_branch .LBB54_2386
.LBB54_2324:
	s_mov_b32 s46, -1
	s_mov_b32 s42, s67
                                        ; implicit-def: $vgpr0
	s_branch .LBB54_2339
.LBB54_2325:
	s_mov_b32 s46, -1
	s_mov_b32 s42, s67
                                        ; implicit-def: $vgpr0
	s_branch .LBB54_2334
.LBB54_2326:
	s_mov_b32 s46, -1
	s_mov_b32 s42, s67
	s_branch .LBB54_2328
.LBB54_2327:
	s_mov_b32 s42, -1
.LBB54_2328:
                                        ; implicit-def: $vgpr0
.LBB54_2329:
	s_and_b32 vcc_lo, exec_lo, s46
	s_cbranch_vccz .LBB54_2333
; %bb.2330:
	s_cmp_eq_u32 s43, 44
	s_cbranch_scc0 .LBB54_2332
; %bb.2331:
	global_load_u8 v0, v[2:3], off
	s_mov_b32 s42, 0
	s_mov_b32 s44, -1
	s_wait_loadcnt 0x0
	v_lshlrev_b32_e32 v1, 23, v0
	v_cmp_ne_u32_e32 vcc_lo, 0, v0
	s_delay_alu instid0(VALU_DEP_2) | instskip(NEXT) | instid1(VALU_DEP_1)
	v_cvt_i32_f32_e32 v1, v1
	v_cndmask_b32_e32 v0, 0, v1, vcc_lo
	s_branch .LBB54_2333
.LBB54_2332:
	s_mov_b32 s42, -1
                                        ; implicit-def: $vgpr0
.LBB54_2333:
	s_mov_b32 s46, 0
.LBB54_2334:
	s_delay_alu instid0(SALU_CYCLE_1)
	s_and_b32 vcc_lo, exec_lo, s46
	s_cbranch_vccz .LBB54_2338
; %bb.2335:
	s_cmp_eq_u32 s43, 29
	s_cbranch_scc0 .LBB54_2337
; %bb.2336:
	global_load_b32 v0, v[2:3], off
	s_mov_b32 s42, 0
	s_mov_b32 s44, -1
	s_branch .LBB54_2338
.LBB54_2337:
	s_mov_b32 s42, -1
                                        ; implicit-def: $vgpr0
.LBB54_2338:
	s_mov_b32 s46, 0
.LBB54_2339:
	s_delay_alu instid0(SALU_CYCLE_1)
	s_and_b32 vcc_lo, exec_lo, s46
	s_cbranch_vccz .LBB54_2355
; %bb.2340:
	s_cmp_lt_i32 s43, 27
	s_cbranch_scc1 .LBB54_2343
; %bb.2341:
	s_cmp_gt_i32 s43, 27
	s_cbranch_scc0 .LBB54_2344
; %bb.2342:
	s_wait_loadcnt 0x0
	global_load_b32 v0, v[2:3], off
	s_mov_b32 s44, 0
	s_branch .LBB54_2345
.LBB54_2343:
	s_mov_b32 s44, -1
                                        ; implicit-def: $vgpr0
	s_branch .LBB54_2348
.LBB54_2344:
	s_mov_b32 s44, -1
                                        ; implicit-def: $vgpr0
.LBB54_2345:
	s_delay_alu instid0(SALU_CYCLE_1)
	s_and_not1_b32 vcc_lo, exec_lo, s44
	s_cbranch_vccnz .LBB54_2347
; %bb.2346:
	s_wait_loadcnt 0x0
	global_load_u16 v0, v[2:3], off
.LBB54_2347:
	s_mov_b32 s44, 0
.LBB54_2348:
	s_delay_alu instid0(SALU_CYCLE_1)
	s_and_not1_b32 vcc_lo, exec_lo, s44
	s_cbranch_vccnz .LBB54_2354
; %bb.2349:
	global_load_u8 v1, v[2:3], off
	s_mov_b32 s46, 0
	s_mov_b32 s44, exec_lo
	s_wait_loadcnt 0x0
	v_cmpx_lt_i16_e32 0x7f, v1
	s_xor_b32 s44, exec_lo, s44
	s_cbranch_execz .LBB54_2365
; %bb.2350:
	v_cmp_ne_u16_e32 vcc_lo, 0x80, v1
	s_and_b32 s46, vcc_lo, exec_lo
	s_and_not1_saveexec_b32 s44, s44
	s_cbranch_execnz .LBB54_2366
.LBB54_2351:
	s_or_b32 exec_lo, exec_lo, s44
	v_mov_b32_e32 v0, 0
	s_and_saveexec_b32 s44, s46
	s_cbranch_execz .LBB54_2353
.LBB54_2352:
	v_and_b32_e32 v0, 0xffff, v1
	s_delay_alu instid0(VALU_DEP_1) | instskip(SKIP_1) | instid1(VALU_DEP_2)
	v_and_b32_e32 v4, 7, v0
	v_bfe_u32 v9, v0, 3, 4
	v_clz_i32_u32_e32 v5, v4
	s_delay_alu instid0(VALU_DEP_2) | instskip(NEXT) | instid1(VALU_DEP_2)
	v_cmp_eq_u32_e32 vcc_lo, 0, v9
	v_min_u32_e32 v5, 32, v5
	s_delay_alu instid0(VALU_DEP_1) | instskip(NEXT) | instid1(VALU_DEP_1)
	v_subrev_nc_u32_e32 v6, 28, v5
	v_dual_lshlrev_b32 v0, v6, v0 :: v_dual_sub_nc_u32 v5, 29, v5
	s_delay_alu instid0(VALU_DEP_1) | instskip(NEXT) | instid1(VALU_DEP_1)
	v_dual_lshlrev_b32 v1, 24, v1 :: v_dual_bitop2_b32 v0, 7, v0 bitop3:0x40
	v_dual_cndmask_b32 v0, v4, v0 :: v_dual_cndmask_b32 v5, v9, v5
	s_delay_alu instid0(VALU_DEP_2) | instskip(NEXT) | instid1(VALU_DEP_2)
	v_and_b32_e32 v1, 0x80000000, v1
	v_lshlrev_b32_e32 v0, 20, v0
	s_delay_alu instid0(VALU_DEP_3) | instskip(NEXT) | instid1(VALU_DEP_1)
	v_lshl_add_u32 v4, v5, 23, 0x3b800000
	v_or3_b32 v0, v1, v4, v0
	s_delay_alu instid0(VALU_DEP_1)
	v_cvt_i32_f32_e32 v0, v0
.LBB54_2353:
	s_or_b32 exec_lo, exec_lo, s44
.LBB54_2354:
	s_mov_b32 s44, -1
.LBB54_2355:
	s_branch .LBB54_2386
.LBB54_2356:
	s_cmp_gt_i32 s43, 22
	s_cbranch_scc0 .LBB54_2364
; %bb.2357:
	s_cmp_lt_i32 s43, 24
	s_cbranch_scc1 .LBB54_2367
; %bb.2358:
	s_cmp_gt_i32 s43, 24
	s_cbranch_scc0 .LBB54_2368
; %bb.2359:
	global_load_u8 v1, v[2:3], off
	s_mov_b32 s44, exec_lo
	s_wait_loadcnt 0x0
	v_cmpx_lt_i16_e32 0x7f, v1
	s_xor_b32 s44, exec_lo, s44
	s_cbranch_execz .LBB54_2380
; %bb.2360:
	v_cmp_ne_u16_e32 vcc_lo, 0x80, v1
	s_and_b32 s45, vcc_lo, exec_lo
	s_and_not1_saveexec_b32 s44, s44
	s_cbranch_execnz .LBB54_2381
.LBB54_2361:
	s_or_b32 exec_lo, exec_lo, s44
	v_mov_b32_e32 v0, 0
	s_and_saveexec_b32 s44, s45
	s_cbranch_execz .LBB54_2363
.LBB54_2362:
	v_and_b32_e32 v0, 0xffff, v1
	s_delay_alu instid0(VALU_DEP_1) | instskip(SKIP_1) | instid1(VALU_DEP_2)
	v_and_b32_e32 v4, 3, v0
	v_bfe_u32 v9, v0, 2, 5
	v_clz_i32_u32_e32 v5, v4
	s_delay_alu instid0(VALU_DEP_2) | instskip(NEXT) | instid1(VALU_DEP_2)
	v_cmp_eq_u32_e32 vcc_lo, 0, v9
	v_min_u32_e32 v5, 32, v5
	s_delay_alu instid0(VALU_DEP_1) | instskip(NEXT) | instid1(VALU_DEP_1)
	v_subrev_nc_u32_e32 v6, 29, v5
	v_dual_lshlrev_b32 v0, v6, v0 :: v_dual_sub_nc_u32 v5, 30, v5
	s_delay_alu instid0(VALU_DEP_1) | instskip(NEXT) | instid1(VALU_DEP_1)
	v_dual_lshlrev_b32 v1, 24, v1 :: v_dual_bitop2_b32 v0, 3, v0 bitop3:0x40
	v_dual_cndmask_b32 v0, v4, v0 :: v_dual_cndmask_b32 v5, v9, v5
	s_delay_alu instid0(VALU_DEP_2) | instskip(NEXT) | instid1(VALU_DEP_2)
	v_and_b32_e32 v1, 0x80000000, v1
	v_lshlrev_b32_e32 v0, 21, v0
	s_delay_alu instid0(VALU_DEP_3) | instskip(NEXT) | instid1(VALU_DEP_1)
	v_lshl_add_u32 v4, v5, 23, 0x37800000
	v_or3_b32 v0, v1, v4, v0
	s_delay_alu instid0(VALU_DEP_1)
	v_cvt_i32_f32_e32 v0, v0
.LBB54_2363:
	s_or_b32 exec_lo, exec_lo, s44
	s_mov_b32 s44, 0
	s_branch .LBB54_2369
.LBB54_2364:
	s_mov_b32 s45, -1
                                        ; implicit-def: $vgpr0
	s_branch .LBB54_2375
.LBB54_2365:
	s_and_not1_saveexec_b32 s44, s44
	s_cbranch_execz .LBB54_2351
.LBB54_2366:
	v_cmp_ne_u16_e32 vcc_lo, 0, v1
	s_and_not1_b32 s46, s46, exec_lo
	s_and_b32 s47, vcc_lo, exec_lo
	s_delay_alu instid0(SALU_CYCLE_1)
	s_or_b32 s46, s46, s47
	s_or_b32 exec_lo, exec_lo, s44
	v_mov_b32_e32 v0, 0
	s_and_saveexec_b32 s44, s46
	s_cbranch_execnz .LBB54_2352
	s_branch .LBB54_2353
.LBB54_2367:
	s_mov_b32 s44, -1
                                        ; implicit-def: $vgpr0
	s_branch .LBB54_2372
.LBB54_2368:
	s_mov_b32 s44, -1
                                        ; implicit-def: $vgpr0
.LBB54_2369:
	s_delay_alu instid0(SALU_CYCLE_1)
	s_and_b32 vcc_lo, exec_lo, s44
	s_cbranch_vccz .LBB54_2371
; %bb.2370:
	s_wait_loadcnt 0x0
	global_load_u8 v0, v[2:3], off
	s_wait_loadcnt 0x0
	v_lshlrev_b32_e32 v0, 24, v0
	s_delay_alu instid0(VALU_DEP_1) | instskip(NEXT) | instid1(VALU_DEP_1)
	v_and_b32_e32 v1, 0x7f000000, v0
	v_clz_i32_u32_e32 v4, v1
	v_cmp_ne_u32_e32 vcc_lo, 0, v1
	v_add_nc_u32_e32 v6, 0x1000000, v1
	s_delay_alu instid0(VALU_DEP_3) | instskip(NEXT) | instid1(VALU_DEP_1)
	v_min_u32_e32 v4, 32, v4
	v_sub_nc_u32_e64 v4, v4, 4 clamp
	s_delay_alu instid0(VALU_DEP_1) | instskip(NEXT) | instid1(VALU_DEP_1)
	v_dual_lshlrev_b32 v5, v4, v1 :: v_dual_lshlrev_b32 v4, 23, v4
	v_lshrrev_b32_e32 v5, 4, v5
	s_delay_alu instid0(VALU_DEP_1) | instskip(NEXT) | instid1(VALU_DEP_1)
	v_dual_sub_nc_u32 v4, v5, v4 :: v_dual_ashrrev_i32 v5, 8, v6
	v_add_nc_u32_e32 v4, 0x3c000000, v4
	s_delay_alu instid0(VALU_DEP_1) | instskip(NEXT) | instid1(VALU_DEP_1)
	v_and_or_b32 v4, 0x7f800000, v5, v4
	v_cndmask_b32_e32 v1, 0, v4, vcc_lo
	s_delay_alu instid0(VALU_DEP_1) | instskip(NEXT) | instid1(VALU_DEP_1)
	v_and_or_b32 v0, 0x80000000, v0, v1
	v_cvt_i32_f32_e32 v0, v0
.LBB54_2371:
	s_mov_b32 s44, 0
.LBB54_2372:
	s_delay_alu instid0(SALU_CYCLE_1)
	s_and_not1_b32 vcc_lo, exec_lo, s44
	s_cbranch_vccnz .LBB54_2374
; %bb.2373:
	s_wait_loadcnt 0x0
	global_load_u8 v0, v[2:3], off
	s_wait_loadcnt 0x0
	v_lshlrev_b32_e32 v1, 25, v0
	v_lshlrev_b16 v0, 8, v0
	s_delay_alu instid0(VALU_DEP_1) | instskip(SKIP_1) | instid1(VALU_DEP_2)
	v_and_or_b32 v5, 0x7f00, v0, 0.5
	v_bfe_i32 v0, v0, 0, 16
	v_add_f32_e32 v5, -0.5, v5
	v_lshrrev_b32_e32 v4, 4, v1
	v_cmp_gt_u32_e32 vcc_lo, 0x8000000, v1
	s_delay_alu instid0(VALU_DEP_2) | instskip(NEXT) | instid1(VALU_DEP_1)
	v_or_b32_e32 v4, 0x70000000, v4
	v_mul_f32_e32 v4, 0x7800000, v4
	s_delay_alu instid0(VALU_DEP_1) | instskip(NEXT) | instid1(VALU_DEP_1)
	v_cndmask_b32_e32 v1, v4, v5, vcc_lo
	v_and_or_b32 v0, 0x80000000, v0, v1
	s_delay_alu instid0(VALU_DEP_1)
	v_cvt_i32_f32_e32 v0, v0
.LBB54_2374:
	s_mov_b32 s45, 0
	s_mov_b32 s44, -1
.LBB54_2375:
	s_and_not1_b32 vcc_lo, exec_lo, s45
	s_mov_b32 s45, 0
	s_cbranch_vccnz .LBB54_2386
; %bb.2376:
	s_cmp_gt_i32 s43, 14
	s_cbranch_scc0 .LBB54_2379
; %bb.2377:
	s_cmp_eq_u32 s43, 15
	s_cbranch_scc0 .LBB54_2382
; %bb.2378:
	s_wait_loadcnt 0x0
	global_load_u16 v0, v[2:3], off
	s_mov_b32 s42, 0
	s_mov_b32 s44, -1
	s_wait_loadcnt 0x0
	v_lshlrev_b32_e32 v0, 16, v0
	s_delay_alu instid0(VALU_DEP_1)
	v_cvt_i32_f32_e32 v0, v0
	s_branch .LBB54_2384
.LBB54_2379:
	s_mov_b32 s45, -1
	s_branch .LBB54_2383
.LBB54_2380:
	s_and_not1_saveexec_b32 s44, s44
	s_cbranch_execz .LBB54_2361
.LBB54_2381:
	v_cmp_ne_u16_e32 vcc_lo, 0, v1
	s_and_not1_b32 s45, s45, exec_lo
	s_and_b32 s46, vcc_lo, exec_lo
	s_delay_alu instid0(SALU_CYCLE_1)
	s_or_b32 s45, s45, s46
	s_or_b32 exec_lo, exec_lo, s44
	v_mov_b32_e32 v0, 0
	s_and_saveexec_b32 s44, s45
	s_cbranch_execnz .LBB54_2362
	s_branch .LBB54_2363
.LBB54_2382:
	s_mov_b32 s42, -1
.LBB54_2383:
                                        ; implicit-def: $vgpr0
.LBB54_2384:
	s_and_b32 vcc_lo, exec_lo, s45
	s_mov_b32 s45, 0
	s_cbranch_vccz .LBB54_2386
; %bb.2385:
	s_cmp_lg_u32 s43, 11
	s_mov_b32 s45, -1
	s_cselect_b32 s43, -1, 0
	s_and_not1_b32 s42, s42, exec_lo
	s_and_b32 s43, s43, exec_lo
	s_delay_alu instid0(SALU_CYCLE_1)
	s_or_b32 s42, s42, s43
.LBB54_2386:
	s_mov_b32 s43, 0
.LBB54_2387:
	s_delay_alu instid0(SALU_CYCLE_1)
	s_and_b32 s46, s43, exec_lo
	s_and_not1_b32 s43, s67, exec_lo
	s_and_b32 s47, s42, exec_lo
	s_and_b32 s44, s44, exec_lo
	;; [unrolled: 1-line block ×3, first 2 shown]
	s_or_b32 s67, s43, s47
	s_wait_xcnt 0x0
	s_or_b32 exec_lo, exec_lo, s41
	s_and_saveexec_b32 s41, s67
	s_cbranch_execz .LBB54_2320
.LBB54_2388:
	s_or_b32 s1, s1, exec_lo
	s_and_not1_b32 s42, s42, exec_lo
	s_trap 2
	s_or_b32 exec_lo, exec_lo, s41
	s_and_saveexec_b32 s41, s42
	s_delay_alu instid0(SALU_CYCLE_1)
	s_xor_b32 s41, exec_lo, s41
	s_cbranch_execnz .LBB54_2321
.LBB54_2389:
	s_or_b32 exec_lo, exec_lo, s41
	s_and_saveexec_b32 s41, s46
	s_cbranch_execz .LBB54_2435
.LBB54_2390:
	s_sext_i32_i16 s42, s0
	s_delay_alu instid0(SALU_CYCLE_1)
	s_cmp_lt_i32 s42, 5
	s_cbranch_scc1 .LBB54_2395
; %bb.2391:
	s_cmp_lt_i32 s42, 8
	s_cbranch_scc1 .LBB54_2396
; %bb.2392:
	;; [unrolled: 3-line block ×3, first 2 shown]
	s_cmp_gt_i32 s42, 9
	s_cbranch_scc0 .LBB54_2398
; %bb.2394:
	s_wait_loadcnt 0x0
	global_load_b64 v[0:1], v[2:3], off
	s_mov_b32 s42, 0
	s_wait_loadcnt 0x0
	v_cvt_i32_f64_e32 v0, v[0:1]
	s_branch .LBB54_2399
.LBB54_2395:
                                        ; implicit-def: $vgpr0
	s_branch .LBB54_2416
.LBB54_2396:
                                        ; implicit-def: $vgpr0
	s_branch .LBB54_2405
.LBB54_2397:
	s_mov_b32 s42, -1
                                        ; implicit-def: $vgpr0
	s_branch .LBB54_2402
.LBB54_2398:
	s_mov_b32 s42, -1
                                        ; implicit-def: $vgpr0
.LBB54_2399:
	s_delay_alu instid0(SALU_CYCLE_1)
	s_and_not1_b32 vcc_lo, exec_lo, s42
	s_cbranch_vccnz .LBB54_2401
; %bb.2400:
	s_wait_loadcnt 0x0
	global_load_b32 v0, v[2:3], off
	s_wait_loadcnt 0x0
	v_cvt_i32_f32_e32 v0, v0
.LBB54_2401:
	s_mov_b32 s42, 0
.LBB54_2402:
	s_delay_alu instid0(SALU_CYCLE_1)
	s_and_not1_b32 vcc_lo, exec_lo, s42
	s_cbranch_vccnz .LBB54_2404
; %bb.2403:
	s_wait_loadcnt 0x0
	global_load_b32 v0, v[2:3], off
	s_wait_loadcnt 0x0
	v_cvt_f32_f16_e32 v0, v0
	s_delay_alu instid0(VALU_DEP_1)
	v_cvt_i32_f32_e32 v0, v0
.LBB54_2404:
	s_cbranch_execnz .LBB54_2415
.LBB54_2405:
	s_sext_i32_i16 s42, s0
	s_delay_alu instid0(SALU_CYCLE_1)
	s_cmp_lt_i32 s42, 6
	s_cbranch_scc1 .LBB54_2408
; %bb.2406:
	s_cmp_gt_i32 s42, 6
	s_cbranch_scc0 .LBB54_2409
; %bb.2407:
	s_wait_loadcnt 0x0
	global_load_b64 v[0:1], v[2:3], off
	s_mov_b32 s42, 0
	s_wait_loadcnt 0x0
	v_cvt_i32_f64_e32 v0, v[0:1]
	s_branch .LBB54_2410
.LBB54_2408:
	s_mov_b32 s42, -1
                                        ; implicit-def: $vgpr0
	s_branch .LBB54_2413
.LBB54_2409:
	s_mov_b32 s42, -1
                                        ; implicit-def: $vgpr0
.LBB54_2410:
	s_delay_alu instid0(SALU_CYCLE_1)
	s_and_not1_b32 vcc_lo, exec_lo, s42
	s_cbranch_vccnz .LBB54_2412
; %bb.2411:
	s_wait_loadcnt 0x0
	global_load_b32 v0, v[2:3], off
	s_wait_loadcnt 0x0
	v_cvt_i32_f32_e32 v0, v0
.LBB54_2412:
	s_mov_b32 s42, 0
.LBB54_2413:
	s_delay_alu instid0(SALU_CYCLE_1)
	s_and_not1_b32 vcc_lo, exec_lo, s42
	s_cbranch_vccnz .LBB54_2415
; %bb.2414:
	s_wait_loadcnt 0x0
	global_load_u16 v0, v[2:3], off
	s_wait_loadcnt 0x0
	v_cvt_f32_f16_e32 v0, v0
	s_delay_alu instid0(VALU_DEP_1)
	v_cvt_i32_f32_e32 v0, v0
.LBB54_2415:
	s_cbranch_execnz .LBB54_2434
.LBB54_2416:
	s_sext_i32_i16 s42, s0
	s_delay_alu instid0(SALU_CYCLE_1)
	s_cmp_lt_i32 s42, 2
	s_cbranch_scc1 .LBB54_2420
; %bb.2417:
	s_cmp_lt_i32 s42, 3
	s_cbranch_scc1 .LBB54_2421
; %bb.2418:
	s_cmp_gt_i32 s42, 3
	s_cbranch_scc0 .LBB54_2422
; %bb.2419:
	s_wait_loadcnt 0x0
	global_load_b32 v0, v[2:3], off
	s_mov_b32 s42, 0
	s_branch .LBB54_2423
.LBB54_2420:
                                        ; implicit-def: $vgpr0
	s_branch .LBB54_2429
.LBB54_2421:
	s_mov_b32 s42, -1
                                        ; implicit-def: $vgpr0
	s_branch .LBB54_2426
.LBB54_2422:
	s_mov_b32 s42, -1
                                        ; implicit-def: $vgpr0
.LBB54_2423:
	s_delay_alu instid0(SALU_CYCLE_1)
	s_and_not1_b32 vcc_lo, exec_lo, s42
	s_cbranch_vccnz .LBB54_2425
; %bb.2424:
	s_wait_loadcnt 0x0
	global_load_b32 v0, v[2:3], off
.LBB54_2425:
	s_mov_b32 s42, 0
.LBB54_2426:
	s_delay_alu instid0(SALU_CYCLE_1)
	s_and_not1_b32 vcc_lo, exec_lo, s42
	s_cbranch_vccnz .LBB54_2428
; %bb.2427:
	s_wait_loadcnt 0x0
	global_load_i16 v0, v[2:3], off
.LBB54_2428:
	s_cbranch_execnz .LBB54_2434
.LBB54_2429:
	s_sext_i32_i16 s0, s0
	s_delay_alu instid0(SALU_CYCLE_1)
	s_cmp_gt_i32 s0, 0
	s_mov_b32 s0, 0
	s_cbranch_scc0 .LBB54_2431
; %bb.2430:
	s_wait_loadcnt 0x0
	global_load_i8 v0, v[2:3], off
	s_branch .LBB54_2432
.LBB54_2431:
	s_mov_b32 s0, -1
                                        ; implicit-def: $vgpr0
.LBB54_2432:
	s_delay_alu instid0(SALU_CYCLE_1)
	s_and_not1_b32 vcc_lo, exec_lo, s0
	s_cbranch_vccnz .LBB54_2434
; %bb.2433:
	s_wait_loadcnt 0x0
	global_load_u8 v0, v[2:3], off
.LBB54_2434:
	s_or_b32 s44, s44, exec_lo
.LBB54_2435:
	s_wait_xcnt 0x0
	s_or_b32 exec_lo, exec_lo, s41
	s_mov_b32 s42, 0
	s_mov_b32 s45, 0
	;; [unrolled: 1-line block ×3, first 2 shown]
                                        ; implicit-def: $sgpr0
                                        ; implicit-def: $vgpr4_vgpr5
                                        ; implicit-def: $vgpr2
	s_and_saveexec_b32 s41, s44
	s_cbranch_execz .LBB54_2443
; %bb.2436:
	s_wait_loadcnt 0x0
	v_mul_lo_u32 v2, v22, s36
	s_and_b32 s0, s3, 0xff
	s_delay_alu instid0(SALU_CYCLE_1) | instskip(NEXT) | instid1(VALU_DEP_1)
	s_cmp_lt_i32 s0, 11
	v_ashrrev_i32_e32 v3, 31, v2
	s_delay_alu instid0(VALU_DEP_1)
	v_add_nc_u64_e32 v[4:5], s[12:13], v[2:3]
	s_cbranch_scc1 .LBB54_2446
; %bb.2437:
	s_and_b32 s43, 0xffff, s0
	s_mov_b32 s44, 0
	s_cmp_gt_i32 s43, 25
	s_cbranch_scc0 .LBB54_2447
; %bb.2438:
	s_cmp_gt_i32 s43, 28
	s_cbranch_scc0 .LBB54_2448
; %bb.2439:
	;; [unrolled: 3-line block ×4, first 2 shown]
	s_cmp_eq_u32 s43, 46
	s_mov_b32 s46, 0
	s_cbranch_scc0 .LBB54_2451
; %bb.2442:
	global_load_b32 v1, v[4:5], off
	s_mov_b32 s45, -1
	s_wait_loadcnt 0x0
	v_lshlrev_b32_e32 v1, 16, v1
	s_delay_alu instid0(VALU_DEP_1)
	v_cvt_i32_f32_e32 v2, v1
	s_branch .LBB54_2453
.LBB54_2443:
	s_or_b32 exec_lo, exec_lo, s41
	s_and_saveexec_b32 s41, s66
	s_cbranch_execnz .LBB54_2512
.LBB54_2444:
	s_or_b32 exec_lo, exec_lo, s41
	s_and_saveexec_b32 s41, s42
	s_delay_alu instid0(SALU_CYCLE_1)
	s_xor_b32 s41, exec_lo, s41
	s_cbranch_execz .LBB54_2513
.LBB54_2445:
	global_load_u8 v1, v[4:5], off
	s_or_b32 s43, s43, exec_lo
	s_wait_loadcnt 0x0
	v_cmp_ne_u16_e32 vcc_lo, 0, v1
	v_cndmask_b32_e64 v2, 0, 1, vcc_lo
	s_wait_xcnt 0x0
	s_or_b32 exec_lo, exec_lo, s41
	s_and_saveexec_b32 s41, s45
	s_cbranch_execz .LBB54_2559
	s_branch .LBB54_2514
.LBB54_2446:
	s_mov_b32 s46, -1
	s_mov_b32 s44, 0
	s_mov_b32 s42, s66
                                        ; implicit-def: $vgpr2
	s_branch .LBB54_2511
.LBB54_2447:
	s_mov_b32 s42, s66
                                        ; implicit-def: $vgpr2
	s_cbranch_execnz .LBB54_2480
	s_branch .LBB54_2510
.LBB54_2448:
	s_mov_b32 s46, -1
	s_mov_b32 s42, s66
                                        ; implicit-def: $vgpr2
	s_branch .LBB54_2463
.LBB54_2449:
	s_mov_b32 s46, -1
	s_mov_b32 s42, s66
                                        ; implicit-def: $vgpr2
	s_branch .LBB54_2458
.LBB54_2450:
	s_mov_b32 s46, -1
	s_mov_b32 s42, s66
	s_branch .LBB54_2452
.LBB54_2451:
	s_mov_b32 s42, -1
.LBB54_2452:
                                        ; implicit-def: $vgpr2
.LBB54_2453:
	s_and_b32 vcc_lo, exec_lo, s46
	s_cbranch_vccz .LBB54_2457
; %bb.2454:
	s_cmp_eq_u32 s43, 44
	s_cbranch_scc0 .LBB54_2456
; %bb.2455:
	global_load_u8 v1, v[4:5], off
	s_mov_b32 s42, 0
	s_mov_b32 s45, -1
	s_wait_loadcnt 0x0
	v_lshlrev_b32_e32 v2, 23, v1
	v_cmp_ne_u32_e32 vcc_lo, 0, v1
	s_delay_alu instid0(VALU_DEP_2) | instskip(NEXT) | instid1(VALU_DEP_1)
	v_cvt_i32_f32_e32 v2, v2
	v_cndmask_b32_e32 v2, 0, v2, vcc_lo
	s_branch .LBB54_2457
.LBB54_2456:
	s_mov_b32 s42, -1
                                        ; implicit-def: $vgpr2
.LBB54_2457:
	s_mov_b32 s46, 0
.LBB54_2458:
	s_delay_alu instid0(SALU_CYCLE_1)
	s_and_b32 vcc_lo, exec_lo, s46
	s_cbranch_vccz .LBB54_2462
; %bb.2459:
	s_cmp_eq_u32 s43, 29
	s_cbranch_scc0 .LBB54_2461
; %bb.2460:
	global_load_b32 v2, v[4:5], off
	s_mov_b32 s42, 0
	s_mov_b32 s45, -1
	s_branch .LBB54_2462
.LBB54_2461:
	s_mov_b32 s42, -1
                                        ; implicit-def: $vgpr2
.LBB54_2462:
	s_mov_b32 s46, 0
.LBB54_2463:
	s_delay_alu instid0(SALU_CYCLE_1)
	s_and_b32 vcc_lo, exec_lo, s46
	s_cbranch_vccz .LBB54_2479
; %bb.2464:
	s_cmp_lt_i32 s43, 27
	s_cbranch_scc1 .LBB54_2467
; %bb.2465:
	s_cmp_gt_i32 s43, 27
	s_cbranch_scc0 .LBB54_2468
; %bb.2466:
	s_wait_loadcnt 0x0
	global_load_b32 v2, v[4:5], off
	s_mov_b32 s45, 0
	s_branch .LBB54_2469
.LBB54_2467:
	s_mov_b32 s45, -1
                                        ; implicit-def: $vgpr2
	s_branch .LBB54_2472
.LBB54_2468:
	s_mov_b32 s45, -1
                                        ; implicit-def: $vgpr2
.LBB54_2469:
	s_delay_alu instid0(SALU_CYCLE_1)
	s_and_not1_b32 vcc_lo, exec_lo, s45
	s_cbranch_vccnz .LBB54_2471
; %bb.2470:
	s_wait_loadcnt 0x0
	global_load_u16 v2, v[4:5], off
.LBB54_2471:
	s_mov_b32 s45, 0
.LBB54_2472:
	s_delay_alu instid0(SALU_CYCLE_1)
	s_and_not1_b32 vcc_lo, exec_lo, s45
	s_cbranch_vccnz .LBB54_2478
; %bb.2473:
	global_load_u8 v1, v[4:5], off
	s_mov_b32 s46, 0
	s_mov_b32 s45, exec_lo
	s_wait_loadcnt 0x0
	v_cmpx_lt_i16_e32 0x7f, v1
	s_xor_b32 s45, exec_lo, s45
	s_cbranch_execz .LBB54_2489
; %bb.2474:
	v_cmp_ne_u16_e32 vcc_lo, 0x80, v1
	s_and_b32 s46, vcc_lo, exec_lo
	s_and_not1_saveexec_b32 s45, s45
	s_cbranch_execnz .LBB54_2490
.LBB54_2475:
	s_or_b32 exec_lo, exec_lo, s45
	v_mov_b32_e32 v2, 0
	s_and_saveexec_b32 s45, s46
	s_cbranch_execz .LBB54_2477
.LBB54_2476:
	v_and_b32_e32 v2, 0xffff, v1
	s_delay_alu instid0(VALU_DEP_1) | instskip(SKIP_1) | instid1(VALU_DEP_2)
	v_dual_lshlrev_b32 v1, 24, v1 :: v_dual_bitop2_b32 v3, 7, v2 bitop3:0x40
	v_bfe_u32 v10, v2, 3, 4
	v_and_b32_e32 v1, 0x80000000, v1
	s_delay_alu instid0(VALU_DEP_3) | instskip(NEXT) | instid1(VALU_DEP_3)
	v_clz_i32_u32_e32 v6, v3
	v_cmp_eq_u32_e32 vcc_lo, 0, v10
	s_delay_alu instid0(VALU_DEP_2) | instskip(NEXT) | instid1(VALU_DEP_1)
	v_min_u32_e32 v6, 32, v6
	v_subrev_nc_u32_e32 v9, 28, v6
	v_sub_nc_u32_e32 v6, 29, v6
	s_delay_alu instid0(VALU_DEP_2) | instskip(NEXT) | instid1(VALU_DEP_2)
	v_lshlrev_b32_e32 v2, v9, v2
	v_cndmask_b32_e32 v6, v10, v6, vcc_lo
	s_delay_alu instid0(VALU_DEP_2) | instskip(NEXT) | instid1(VALU_DEP_1)
	v_and_b32_e32 v2, 7, v2
	v_cndmask_b32_e32 v2, v3, v2, vcc_lo
	s_delay_alu instid0(VALU_DEP_3) | instskip(NEXT) | instid1(VALU_DEP_2)
	v_lshl_add_u32 v3, v6, 23, 0x3b800000
	v_lshlrev_b32_e32 v2, 20, v2
	s_delay_alu instid0(VALU_DEP_1) | instskip(NEXT) | instid1(VALU_DEP_1)
	v_or3_b32 v1, v1, v3, v2
	v_cvt_i32_f32_e32 v2, v1
.LBB54_2477:
	s_or_b32 exec_lo, exec_lo, s45
.LBB54_2478:
	s_mov_b32 s45, -1
.LBB54_2479:
	s_branch .LBB54_2510
.LBB54_2480:
	s_cmp_gt_i32 s43, 22
	s_cbranch_scc0 .LBB54_2488
; %bb.2481:
	s_cmp_lt_i32 s43, 24
	s_cbranch_scc1 .LBB54_2491
; %bb.2482:
	s_cmp_gt_i32 s43, 24
	s_cbranch_scc0 .LBB54_2492
; %bb.2483:
	global_load_u8 v1, v[4:5], off
	s_mov_b32 s45, 0
	s_mov_b32 s44, exec_lo
	s_wait_loadcnt 0x0
	v_cmpx_lt_i16_e32 0x7f, v1
	s_xor_b32 s44, exec_lo, s44
	s_cbranch_execz .LBB54_2504
; %bb.2484:
	v_cmp_ne_u16_e32 vcc_lo, 0x80, v1
	s_and_b32 s45, vcc_lo, exec_lo
	s_and_not1_saveexec_b32 s44, s44
	s_cbranch_execnz .LBB54_2505
.LBB54_2485:
	s_or_b32 exec_lo, exec_lo, s44
	v_mov_b32_e32 v2, 0
	s_and_saveexec_b32 s44, s45
	s_cbranch_execz .LBB54_2487
.LBB54_2486:
	v_and_b32_e32 v2, 0xffff, v1
	s_delay_alu instid0(VALU_DEP_1) | instskip(SKIP_1) | instid1(VALU_DEP_2)
	v_dual_lshlrev_b32 v1, 24, v1 :: v_dual_bitop2_b32 v3, 3, v2 bitop3:0x40
	v_bfe_u32 v10, v2, 2, 5
	v_and_b32_e32 v1, 0x80000000, v1
	s_delay_alu instid0(VALU_DEP_3) | instskip(NEXT) | instid1(VALU_DEP_3)
	v_clz_i32_u32_e32 v6, v3
	v_cmp_eq_u32_e32 vcc_lo, 0, v10
	s_delay_alu instid0(VALU_DEP_2) | instskip(NEXT) | instid1(VALU_DEP_1)
	v_min_u32_e32 v6, 32, v6
	v_subrev_nc_u32_e32 v9, 29, v6
	v_sub_nc_u32_e32 v6, 30, v6
	s_delay_alu instid0(VALU_DEP_2) | instskip(NEXT) | instid1(VALU_DEP_2)
	v_lshlrev_b32_e32 v2, v9, v2
	v_cndmask_b32_e32 v6, v10, v6, vcc_lo
	s_delay_alu instid0(VALU_DEP_2) | instskip(NEXT) | instid1(VALU_DEP_1)
	v_and_b32_e32 v2, 3, v2
	v_cndmask_b32_e32 v2, v3, v2, vcc_lo
	s_delay_alu instid0(VALU_DEP_3) | instskip(NEXT) | instid1(VALU_DEP_2)
	v_lshl_add_u32 v3, v6, 23, 0x37800000
	v_lshlrev_b32_e32 v2, 21, v2
	s_delay_alu instid0(VALU_DEP_1) | instskip(NEXT) | instid1(VALU_DEP_1)
	v_or3_b32 v1, v1, v3, v2
	v_cvt_i32_f32_e32 v2, v1
.LBB54_2487:
	s_or_b32 exec_lo, exec_lo, s44
	s_mov_b32 s44, 0
	s_branch .LBB54_2493
.LBB54_2488:
	s_mov_b32 s44, -1
                                        ; implicit-def: $vgpr2
	s_branch .LBB54_2499
.LBB54_2489:
	s_and_not1_saveexec_b32 s45, s45
	s_cbranch_execz .LBB54_2475
.LBB54_2490:
	v_cmp_ne_u16_e32 vcc_lo, 0, v1
	s_and_not1_b32 s46, s46, exec_lo
	s_and_b32 s47, vcc_lo, exec_lo
	s_delay_alu instid0(SALU_CYCLE_1)
	s_or_b32 s46, s46, s47
	s_or_b32 exec_lo, exec_lo, s45
	v_mov_b32_e32 v2, 0
	s_and_saveexec_b32 s45, s46
	s_cbranch_execnz .LBB54_2476
	s_branch .LBB54_2477
.LBB54_2491:
	s_mov_b32 s44, -1
                                        ; implicit-def: $vgpr2
	s_branch .LBB54_2496
.LBB54_2492:
	s_mov_b32 s44, -1
                                        ; implicit-def: $vgpr2
.LBB54_2493:
	s_delay_alu instid0(SALU_CYCLE_1)
	s_and_b32 vcc_lo, exec_lo, s44
	s_cbranch_vccz .LBB54_2495
; %bb.2494:
	global_load_u8 v1, v[4:5], off
	s_wait_loadcnt 0x0
	v_lshlrev_b32_e32 v1, 24, v1
	s_delay_alu instid0(VALU_DEP_1) | instskip(NEXT) | instid1(VALU_DEP_1)
	v_and_b32_e32 v2, 0x7f000000, v1
	v_clz_i32_u32_e32 v3, v2
	v_cmp_ne_u32_e32 vcc_lo, 0, v2
	v_add_nc_u32_e32 v9, 0x1000000, v2
	s_delay_alu instid0(VALU_DEP_3) | instskip(NEXT) | instid1(VALU_DEP_1)
	v_min_u32_e32 v3, 32, v3
	v_sub_nc_u32_e64 v3, v3, 4 clamp
	s_delay_alu instid0(VALU_DEP_1) | instskip(NEXT) | instid1(VALU_DEP_1)
	v_dual_lshlrev_b32 v6, v3, v2 :: v_dual_lshlrev_b32 v3, 23, v3
	v_lshrrev_b32_e32 v6, 4, v6
	s_delay_alu instid0(VALU_DEP_1) | instskip(NEXT) | instid1(VALU_DEP_1)
	v_dual_sub_nc_u32 v3, v6, v3 :: v_dual_ashrrev_i32 v6, 8, v9
	v_add_nc_u32_e32 v3, 0x3c000000, v3
	s_delay_alu instid0(VALU_DEP_1) | instskip(NEXT) | instid1(VALU_DEP_1)
	v_and_or_b32 v3, 0x7f800000, v6, v3
	v_cndmask_b32_e32 v2, 0, v3, vcc_lo
	s_delay_alu instid0(VALU_DEP_1) | instskip(NEXT) | instid1(VALU_DEP_1)
	v_and_or_b32 v1, 0x80000000, v1, v2
	v_cvt_i32_f32_e32 v2, v1
.LBB54_2495:
	s_mov_b32 s44, 0
.LBB54_2496:
	s_delay_alu instid0(SALU_CYCLE_1)
	s_and_not1_b32 vcc_lo, exec_lo, s44
	s_cbranch_vccnz .LBB54_2498
; %bb.2497:
	global_load_u8 v1, v[4:5], off
	s_wait_loadcnt 0x0
	v_lshlrev_b32_e32 v2, 25, v1
	v_lshlrev_b16 v1, 8, v1
	s_delay_alu instid0(VALU_DEP_1) | instskip(SKIP_1) | instid1(VALU_DEP_2)
	v_and_or_b32 v6, 0x7f00, v1, 0.5
	v_bfe_i32 v1, v1, 0, 16
	v_add_f32_e32 v6, -0.5, v6
	v_lshrrev_b32_e32 v3, 4, v2
	v_cmp_gt_u32_e32 vcc_lo, 0x8000000, v2
	s_delay_alu instid0(VALU_DEP_2) | instskip(NEXT) | instid1(VALU_DEP_1)
	v_or_b32_e32 v3, 0x70000000, v3
	v_mul_f32_e32 v3, 0x7800000, v3
	s_delay_alu instid0(VALU_DEP_1) | instskip(NEXT) | instid1(VALU_DEP_1)
	v_cndmask_b32_e32 v2, v3, v6, vcc_lo
	v_and_or_b32 v1, 0x80000000, v1, v2
	s_delay_alu instid0(VALU_DEP_1)
	v_cvt_i32_f32_e32 v2, v1
.LBB54_2498:
	s_mov_b32 s44, 0
	s_mov_b32 s45, -1
.LBB54_2499:
	s_and_not1_b32 vcc_lo, exec_lo, s44
	s_mov_b32 s44, 0
	s_cbranch_vccnz .LBB54_2510
; %bb.2500:
	s_cmp_gt_i32 s43, 14
	s_cbranch_scc0 .LBB54_2503
; %bb.2501:
	s_cmp_eq_u32 s43, 15
	s_cbranch_scc0 .LBB54_2506
; %bb.2502:
	global_load_u16 v1, v[4:5], off
	s_mov_b32 s42, 0
	s_mov_b32 s45, -1
	s_wait_loadcnt 0x0
	v_lshlrev_b32_e32 v1, 16, v1
	s_delay_alu instid0(VALU_DEP_1)
	v_cvt_i32_f32_e32 v2, v1
	s_branch .LBB54_2508
.LBB54_2503:
	s_mov_b32 s44, -1
	s_branch .LBB54_2507
.LBB54_2504:
	s_and_not1_saveexec_b32 s44, s44
	s_cbranch_execz .LBB54_2485
.LBB54_2505:
	v_cmp_ne_u16_e32 vcc_lo, 0, v1
	s_and_not1_b32 s45, s45, exec_lo
	s_and_b32 s46, vcc_lo, exec_lo
	s_delay_alu instid0(SALU_CYCLE_1)
	s_or_b32 s45, s45, s46
	s_or_b32 exec_lo, exec_lo, s44
	v_mov_b32_e32 v2, 0
	s_and_saveexec_b32 s44, s45
	s_cbranch_execnz .LBB54_2486
	s_branch .LBB54_2487
.LBB54_2506:
	s_mov_b32 s42, -1
.LBB54_2507:
                                        ; implicit-def: $vgpr2
.LBB54_2508:
	s_and_b32 vcc_lo, exec_lo, s44
	s_mov_b32 s44, 0
	s_cbranch_vccz .LBB54_2510
; %bb.2509:
	s_cmp_lg_u32 s43, 11
	s_mov_b32 s44, -1
	s_cselect_b32 s43, -1, 0
	s_and_not1_b32 s42, s42, exec_lo
	s_and_b32 s43, s43, exec_lo
	s_delay_alu instid0(SALU_CYCLE_1)
	s_or_b32 s42, s42, s43
.LBB54_2510:
	s_mov_b32 s46, 0
.LBB54_2511:
	s_and_b32 s43, s45, exec_lo
	s_and_b32 s45, s46, exec_lo
	s_and_not1_b32 s46, s66, exec_lo
	s_and_b32 s47, s42, exec_lo
	s_and_b32 s42, s44, exec_lo
	s_or_b32 s66, s46, s47
	s_wait_xcnt 0x0
	s_or_b32 exec_lo, exec_lo, s41
	s_and_saveexec_b32 s41, s66
	s_cbranch_execz .LBB54_2444
.LBB54_2512:
	s_or_b32 s1, s1, exec_lo
	s_and_not1_b32 s42, s42, exec_lo
	s_trap 2
	s_or_b32 exec_lo, exec_lo, s41
	s_and_saveexec_b32 s41, s42
	s_delay_alu instid0(SALU_CYCLE_1)
	s_xor_b32 s41, exec_lo, s41
	s_cbranch_execnz .LBB54_2445
.LBB54_2513:
	s_or_b32 exec_lo, exec_lo, s41
	s_and_saveexec_b32 s41, s45
	s_cbranch_execz .LBB54_2559
.LBB54_2514:
	s_sext_i32_i16 s42, s0
	s_delay_alu instid0(SALU_CYCLE_1)
	s_cmp_lt_i32 s42, 5
	s_cbranch_scc1 .LBB54_2519
; %bb.2515:
	s_cmp_lt_i32 s42, 8
	s_cbranch_scc1 .LBB54_2520
; %bb.2516:
	;; [unrolled: 3-line block ×3, first 2 shown]
	s_cmp_gt_i32 s42, 9
	s_cbranch_scc0 .LBB54_2522
; %bb.2518:
	s_wait_loadcnt 0x0
	global_load_b64 v[2:3], v[4:5], off
	s_mov_b32 s42, 0
	s_wait_loadcnt 0x0
	v_cvt_i32_f64_e32 v2, v[2:3]
	s_branch .LBB54_2523
.LBB54_2519:
                                        ; implicit-def: $vgpr2
	s_branch .LBB54_2540
.LBB54_2520:
                                        ; implicit-def: $vgpr2
	s_branch .LBB54_2529
.LBB54_2521:
	s_mov_b32 s42, -1
                                        ; implicit-def: $vgpr2
	s_branch .LBB54_2526
.LBB54_2522:
	s_mov_b32 s42, -1
                                        ; implicit-def: $vgpr2
.LBB54_2523:
	s_delay_alu instid0(SALU_CYCLE_1)
	s_and_not1_b32 vcc_lo, exec_lo, s42
	s_cbranch_vccnz .LBB54_2525
; %bb.2524:
	global_load_b32 v1, v[4:5], off
	s_wait_loadcnt 0x0
	v_cvt_i32_f32_e32 v2, v1
.LBB54_2525:
	s_mov_b32 s42, 0
.LBB54_2526:
	s_delay_alu instid0(SALU_CYCLE_1)
	s_and_not1_b32 vcc_lo, exec_lo, s42
	s_cbranch_vccnz .LBB54_2528
; %bb.2527:
	global_load_b32 v1, v[4:5], off
	s_wait_loadcnt 0x0
	v_cvt_f32_f16_e32 v1, v1
	s_delay_alu instid0(VALU_DEP_1)
	v_cvt_i32_f32_e32 v2, v1
.LBB54_2528:
	s_cbranch_execnz .LBB54_2539
.LBB54_2529:
	s_sext_i32_i16 s42, s0
	s_delay_alu instid0(SALU_CYCLE_1)
	s_cmp_lt_i32 s42, 6
	s_cbranch_scc1 .LBB54_2532
; %bb.2530:
	s_cmp_gt_i32 s42, 6
	s_cbranch_scc0 .LBB54_2533
; %bb.2531:
	s_wait_loadcnt 0x0
	global_load_b64 v[2:3], v[4:5], off
	s_mov_b32 s42, 0
	s_wait_loadcnt 0x0
	v_cvt_i32_f64_e32 v2, v[2:3]
	s_branch .LBB54_2534
.LBB54_2532:
	s_mov_b32 s42, -1
                                        ; implicit-def: $vgpr2
	s_branch .LBB54_2537
.LBB54_2533:
	s_mov_b32 s42, -1
                                        ; implicit-def: $vgpr2
.LBB54_2534:
	s_delay_alu instid0(SALU_CYCLE_1)
	s_and_not1_b32 vcc_lo, exec_lo, s42
	s_cbranch_vccnz .LBB54_2536
; %bb.2535:
	global_load_b32 v1, v[4:5], off
	s_wait_loadcnt 0x0
	v_cvt_i32_f32_e32 v2, v1
.LBB54_2536:
	s_mov_b32 s42, 0
.LBB54_2537:
	s_delay_alu instid0(SALU_CYCLE_1)
	s_and_not1_b32 vcc_lo, exec_lo, s42
	s_cbranch_vccnz .LBB54_2539
; %bb.2538:
	global_load_u16 v1, v[4:5], off
	s_wait_loadcnt 0x0
	v_cvt_f32_f16_e32 v1, v1
	s_delay_alu instid0(VALU_DEP_1)
	v_cvt_i32_f32_e32 v2, v1
.LBB54_2539:
	s_cbranch_execnz .LBB54_2558
.LBB54_2540:
	s_sext_i32_i16 s42, s0
	s_delay_alu instid0(SALU_CYCLE_1)
	s_cmp_lt_i32 s42, 2
	s_cbranch_scc1 .LBB54_2544
; %bb.2541:
	s_cmp_lt_i32 s42, 3
	s_cbranch_scc1 .LBB54_2545
; %bb.2542:
	s_cmp_gt_i32 s42, 3
	s_cbranch_scc0 .LBB54_2546
; %bb.2543:
	s_wait_loadcnt 0x0
	global_load_b32 v2, v[4:5], off
	s_mov_b32 s42, 0
	s_branch .LBB54_2547
.LBB54_2544:
                                        ; implicit-def: $vgpr2
	s_branch .LBB54_2553
.LBB54_2545:
	s_mov_b32 s42, -1
                                        ; implicit-def: $vgpr2
	s_branch .LBB54_2550
.LBB54_2546:
	s_mov_b32 s42, -1
                                        ; implicit-def: $vgpr2
.LBB54_2547:
	s_delay_alu instid0(SALU_CYCLE_1)
	s_and_not1_b32 vcc_lo, exec_lo, s42
	s_cbranch_vccnz .LBB54_2549
; %bb.2548:
	s_wait_loadcnt 0x0
	global_load_b32 v2, v[4:5], off
.LBB54_2549:
	s_mov_b32 s42, 0
.LBB54_2550:
	s_delay_alu instid0(SALU_CYCLE_1)
	s_and_not1_b32 vcc_lo, exec_lo, s42
	s_cbranch_vccnz .LBB54_2552
; %bb.2551:
	s_wait_loadcnt 0x0
	global_load_i16 v2, v[4:5], off
.LBB54_2552:
	s_cbranch_execnz .LBB54_2558
.LBB54_2553:
	s_sext_i32_i16 s0, s0
	s_delay_alu instid0(SALU_CYCLE_1)
	s_cmp_gt_i32 s0, 0
	s_mov_b32 s0, 0
	s_cbranch_scc0 .LBB54_2555
; %bb.2554:
	s_wait_loadcnt 0x0
	global_load_i8 v2, v[4:5], off
	s_branch .LBB54_2556
.LBB54_2555:
	s_mov_b32 s0, -1
                                        ; implicit-def: $vgpr2
.LBB54_2556:
	s_delay_alu instid0(SALU_CYCLE_1)
	s_and_not1_b32 vcc_lo, exec_lo, s0
	s_cbranch_vccnz .LBB54_2558
; %bb.2557:
	s_wait_loadcnt 0x0
	global_load_u8 v2, v[4:5], off
.LBB54_2558:
	s_or_b32 s43, s43, exec_lo
.LBB54_2559:
	s_wait_xcnt 0x0
	s_or_b32 exec_lo, exec_lo, s41
	s_mov_b32 s42, 0
	s_mov_b32 s46, 0
	;; [unrolled: 1-line block ×3, first 2 shown]
                                        ; implicit-def: $sgpr0
                                        ; implicit-def: $vgpr4_vgpr5
                                        ; implicit-def: $vgpr6
	s_and_saveexec_b32 s41, s43
	s_cbranch_execz .LBB54_2567
; %bb.2560:
	v_mul_lo_u32 v4, v22, s37
	s_and_b32 s0, s21, 0xff
	s_delay_alu instid0(SALU_CYCLE_1) | instskip(NEXT) | instid1(VALU_DEP_1)
	s_cmp_lt_i32 s0, 11
	v_ashrrev_i32_e32 v5, 31, v4
	s_delay_alu instid0(VALU_DEP_1)
	v_add_nc_u64_e32 v[4:5], s[14:15], v[4:5]
	s_cbranch_scc1 .LBB54_2570
; %bb.2561:
	s_and_b32 s43, 0xffff, s0
	s_mov_b32 s45, 0
	s_cmp_gt_i32 s43, 25
	s_cbranch_scc0 .LBB54_2571
; %bb.2562:
	s_cmp_gt_i32 s43, 28
	s_cbranch_scc0 .LBB54_2572
; %bb.2563:
	;; [unrolled: 3-line block ×4, first 2 shown]
	s_cmp_eq_u32 s43, 46
	s_cbranch_scc0 .LBB54_2575
; %bb.2566:
	global_load_b32 v1, v[4:5], off
	s_mov_b32 s44, -1
	s_wait_loadcnt 0x0
	v_lshlrev_b32_e32 v1, 16, v1
	s_delay_alu instid0(VALU_DEP_1)
	v_cvt_i32_f32_e32 v6, v1
	s_branch .LBB54_2577
.LBB54_2567:
	s_or_b32 exec_lo, exec_lo, s41
	s_and_saveexec_b32 s41, s65
	s_cbranch_execnz .LBB54_2636
.LBB54_2568:
	s_or_b32 exec_lo, exec_lo, s41
	s_and_saveexec_b32 s41, s42
	s_delay_alu instid0(SALU_CYCLE_1)
	s_xor_b32 s41, exec_lo, s41
	s_cbranch_execz .LBB54_2637
.LBB54_2569:
	global_load_u8 v1, v[4:5], off
	s_or_b32 s44, s44, exec_lo
	s_wait_loadcnt 0x0
	v_cmp_ne_u16_e32 vcc_lo, 0, v1
	v_cndmask_b32_e64 v6, 0, 1, vcc_lo
	s_wait_xcnt 0x0
	s_or_b32 exec_lo, exec_lo, s41
	s_and_saveexec_b32 s41, s46
	s_cbranch_execz .LBB54_2683
	s_branch .LBB54_2638
.LBB54_2570:
	s_mov_b32 s43, -1
	s_mov_b32 s45, 0
	s_mov_b32 s42, s65
                                        ; implicit-def: $vgpr6
	s_branch .LBB54_2635
.LBB54_2571:
	s_mov_b32 s42, s65
                                        ; implicit-def: $vgpr6
	s_cbranch_execnz .LBB54_2604
	s_branch .LBB54_2634
.LBB54_2572:
	s_mov_b32 s46, -1
	s_mov_b32 s42, s65
                                        ; implicit-def: $vgpr6
	s_branch .LBB54_2587
.LBB54_2573:
	s_mov_b32 s46, -1
	s_mov_b32 s42, s65
                                        ; implicit-def: $vgpr6
	s_branch .LBB54_2582
.LBB54_2574:
	s_mov_b32 s46, -1
	s_mov_b32 s42, s65
	s_branch .LBB54_2576
.LBB54_2575:
	s_mov_b32 s42, -1
.LBB54_2576:
                                        ; implicit-def: $vgpr6
.LBB54_2577:
	s_and_b32 vcc_lo, exec_lo, s46
	s_cbranch_vccz .LBB54_2581
; %bb.2578:
	s_cmp_eq_u32 s43, 44
	s_cbranch_scc0 .LBB54_2580
; %bb.2579:
	global_load_u8 v1, v[4:5], off
	s_mov_b32 s42, 0
	s_mov_b32 s44, -1
	s_wait_loadcnt 0x0
	v_lshlrev_b32_e32 v3, 23, v1
	v_cmp_ne_u32_e32 vcc_lo, 0, v1
	s_delay_alu instid0(VALU_DEP_2) | instskip(NEXT) | instid1(VALU_DEP_1)
	v_cvt_i32_f32_e32 v3, v3
	v_cndmask_b32_e32 v6, 0, v3, vcc_lo
	s_branch .LBB54_2581
.LBB54_2580:
	s_mov_b32 s42, -1
                                        ; implicit-def: $vgpr6
.LBB54_2581:
	s_mov_b32 s46, 0
.LBB54_2582:
	s_delay_alu instid0(SALU_CYCLE_1)
	s_and_b32 vcc_lo, exec_lo, s46
	s_cbranch_vccz .LBB54_2586
; %bb.2583:
	s_cmp_eq_u32 s43, 29
	s_cbranch_scc0 .LBB54_2585
; %bb.2584:
	s_wait_loadcnt 0x0
	global_load_b32 v6, v[4:5], off
	s_mov_b32 s42, 0
	s_mov_b32 s44, -1
	s_branch .LBB54_2586
.LBB54_2585:
	s_mov_b32 s42, -1
                                        ; implicit-def: $vgpr6
.LBB54_2586:
	s_mov_b32 s46, 0
.LBB54_2587:
	s_delay_alu instid0(SALU_CYCLE_1)
	s_and_b32 vcc_lo, exec_lo, s46
	s_cbranch_vccz .LBB54_2603
; %bb.2588:
	s_cmp_lt_i32 s43, 27
	s_cbranch_scc1 .LBB54_2591
; %bb.2589:
	s_cmp_gt_i32 s43, 27
	s_cbranch_scc0 .LBB54_2592
; %bb.2590:
	s_wait_loadcnt 0x0
	global_load_b32 v6, v[4:5], off
	s_mov_b32 s44, 0
	s_branch .LBB54_2593
.LBB54_2591:
	s_mov_b32 s44, -1
                                        ; implicit-def: $vgpr6
	s_branch .LBB54_2596
.LBB54_2592:
	s_mov_b32 s44, -1
                                        ; implicit-def: $vgpr6
.LBB54_2593:
	s_delay_alu instid0(SALU_CYCLE_1)
	s_and_not1_b32 vcc_lo, exec_lo, s44
	s_cbranch_vccnz .LBB54_2595
; %bb.2594:
	s_wait_loadcnt 0x0
	global_load_u16 v6, v[4:5], off
.LBB54_2595:
	s_mov_b32 s44, 0
.LBB54_2596:
	s_delay_alu instid0(SALU_CYCLE_1)
	s_and_not1_b32 vcc_lo, exec_lo, s44
	s_cbranch_vccnz .LBB54_2602
; %bb.2597:
	global_load_u8 v1, v[4:5], off
	s_mov_b32 s46, 0
	s_mov_b32 s44, exec_lo
	s_wait_loadcnt 0x0
	v_cmpx_lt_i16_e32 0x7f, v1
	s_xor_b32 s44, exec_lo, s44
	s_cbranch_execz .LBB54_2613
; %bb.2598:
	v_cmp_ne_u16_e32 vcc_lo, 0x80, v1
	s_and_b32 s46, vcc_lo, exec_lo
	s_and_not1_saveexec_b32 s44, s44
	s_cbranch_execnz .LBB54_2614
.LBB54_2599:
	s_or_b32 exec_lo, exec_lo, s44
	v_mov_b32_e32 v6, 0
	s_and_saveexec_b32 s44, s46
	s_cbranch_execz .LBB54_2601
.LBB54_2600:
	v_and_b32_e32 v3, 0xffff, v1
	s_delay_alu instid0(VALU_DEP_1) | instskip(SKIP_1) | instid1(VALU_DEP_2)
	v_and_b32_e32 v6, 7, v3
	v_bfe_u32 v11, v3, 3, 4
	v_clz_i32_u32_e32 v9, v6
	s_delay_alu instid0(VALU_DEP_2) | instskip(NEXT) | instid1(VALU_DEP_2)
	v_cmp_eq_u32_e32 vcc_lo, 0, v11
	v_min_u32_e32 v9, 32, v9
	s_delay_alu instid0(VALU_DEP_1) | instskip(NEXT) | instid1(VALU_DEP_1)
	v_subrev_nc_u32_e32 v10, 28, v9
	v_dual_lshlrev_b32 v3, v10, v3 :: v_dual_sub_nc_u32 v9, 29, v9
	s_delay_alu instid0(VALU_DEP_1) | instskip(NEXT) | instid1(VALU_DEP_1)
	v_dual_lshlrev_b32 v1, 24, v1 :: v_dual_bitop2_b32 v3, 7, v3 bitop3:0x40
	v_dual_cndmask_b32 v3, v6, v3, vcc_lo :: v_dual_cndmask_b32 v9, v11, v9, vcc_lo
	s_delay_alu instid0(VALU_DEP_2) | instskip(NEXT) | instid1(VALU_DEP_2)
	v_and_b32_e32 v1, 0x80000000, v1
	v_lshlrev_b32_e32 v3, 20, v3
	s_delay_alu instid0(VALU_DEP_3) | instskip(NEXT) | instid1(VALU_DEP_1)
	v_lshl_add_u32 v6, v9, 23, 0x3b800000
	v_or3_b32 v1, v1, v6, v3
	s_delay_alu instid0(VALU_DEP_1)
	v_cvt_i32_f32_e32 v6, v1
.LBB54_2601:
	s_or_b32 exec_lo, exec_lo, s44
.LBB54_2602:
	s_mov_b32 s44, -1
.LBB54_2603:
	s_branch .LBB54_2634
.LBB54_2604:
	s_cmp_gt_i32 s43, 22
	s_cbranch_scc0 .LBB54_2612
; %bb.2605:
	s_cmp_lt_i32 s43, 24
	s_cbranch_scc1 .LBB54_2615
; %bb.2606:
	s_cmp_gt_i32 s43, 24
	s_cbranch_scc0 .LBB54_2616
; %bb.2607:
	global_load_u8 v1, v[4:5], off
	s_mov_b32 s44, exec_lo
	s_wait_loadcnt 0x0
	v_cmpx_lt_i16_e32 0x7f, v1
	s_xor_b32 s44, exec_lo, s44
	s_cbranch_execz .LBB54_2628
; %bb.2608:
	v_cmp_ne_u16_e32 vcc_lo, 0x80, v1
	s_and_b32 s45, vcc_lo, exec_lo
	s_and_not1_saveexec_b32 s44, s44
	s_cbranch_execnz .LBB54_2629
.LBB54_2609:
	s_or_b32 exec_lo, exec_lo, s44
	v_mov_b32_e32 v6, 0
	s_and_saveexec_b32 s44, s45
	s_cbranch_execz .LBB54_2611
.LBB54_2610:
	v_and_b32_e32 v3, 0xffff, v1
	s_delay_alu instid0(VALU_DEP_1) | instskip(SKIP_1) | instid1(VALU_DEP_2)
	v_and_b32_e32 v6, 3, v3
	v_bfe_u32 v11, v3, 2, 5
	v_clz_i32_u32_e32 v9, v6
	s_delay_alu instid0(VALU_DEP_2) | instskip(NEXT) | instid1(VALU_DEP_2)
	v_cmp_eq_u32_e32 vcc_lo, 0, v11
	v_min_u32_e32 v9, 32, v9
	s_delay_alu instid0(VALU_DEP_1) | instskip(NEXT) | instid1(VALU_DEP_1)
	v_subrev_nc_u32_e32 v10, 29, v9
	v_dual_lshlrev_b32 v3, v10, v3 :: v_dual_sub_nc_u32 v9, 30, v9
	s_delay_alu instid0(VALU_DEP_1) | instskip(NEXT) | instid1(VALU_DEP_1)
	v_dual_lshlrev_b32 v1, 24, v1 :: v_dual_bitop2_b32 v3, 3, v3 bitop3:0x40
	v_dual_cndmask_b32 v3, v6, v3, vcc_lo :: v_dual_cndmask_b32 v9, v11, v9, vcc_lo
	s_delay_alu instid0(VALU_DEP_2) | instskip(NEXT) | instid1(VALU_DEP_2)
	v_and_b32_e32 v1, 0x80000000, v1
	v_lshlrev_b32_e32 v3, 21, v3
	s_delay_alu instid0(VALU_DEP_3) | instskip(NEXT) | instid1(VALU_DEP_1)
	v_lshl_add_u32 v6, v9, 23, 0x37800000
	v_or3_b32 v1, v1, v6, v3
	s_delay_alu instid0(VALU_DEP_1)
	v_cvt_i32_f32_e32 v6, v1
.LBB54_2611:
	s_or_b32 exec_lo, exec_lo, s44
	s_mov_b32 s44, 0
	s_branch .LBB54_2617
.LBB54_2612:
	s_mov_b32 s45, -1
                                        ; implicit-def: $vgpr6
	s_branch .LBB54_2623
.LBB54_2613:
	s_and_not1_saveexec_b32 s44, s44
	s_cbranch_execz .LBB54_2599
.LBB54_2614:
	v_cmp_ne_u16_e32 vcc_lo, 0, v1
	s_and_not1_b32 s46, s46, exec_lo
	s_and_b32 s47, vcc_lo, exec_lo
	s_delay_alu instid0(SALU_CYCLE_1)
	s_or_b32 s46, s46, s47
	s_or_b32 exec_lo, exec_lo, s44
	v_mov_b32_e32 v6, 0
	s_and_saveexec_b32 s44, s46
	s_cbranch_execnz .LBB54_2600
	s_branch .LBB54_2601
.LBB54_2615:
	s_mov_b32 s44, -1
                                        ; implicit-def: $vgpr6
	s_branch .LBB54_2620
.LBB54_2616:
	s_mov_b32 s44, -1
                                        ; implicit-def: $vgpr6
.LBB54_2617:
	s_delay_alu instid0(SALU_CYCLE_1)
	s_and_b32 vcc_lo, exec_lo, s44
	s_cbranch_vccz .LBB54_2619
; %bb.2618:
	global_load_u8 v1, v[4:5], off
	s_wait_loadcnt 0x0
	v_lshlrev_b32_e32 v1, 24, v1
	s_delay_alu instid0(VALU_DEP_1) | instskip(NEXT) | instid1(VALU_DEP_1)
	v_and_b32_e32 v3, 0x7f000000, v1
	v_clz_i32_u32_e32 v6, v3
	v_cmp_ne_u32_e32 vcc_lo, 0, v3
	v_add_nc_u32_e32 v10, 0x1000000, v3
	s_delay_alu instid0(VALU_DEP_3) | instskip(NEXT) | instid1(VALU_DEP_1)
	v_min_u32_e32 v6, 32, v6
	v_sub_nc_u32_e64 v6, v6, 4 clamp
	s_delay_alu instid0(VALU_DEP_1) | instskip(NEXT) | instid1(VALU_DEP_1)
	v_dual_lshlrev_b32 v9, v6, v3 :: v_dual_lshlrev_b32 v6, 23, v6
	v_lshrrev_b32_e32 v9, 4, v9
	s_delay_alu instid0(VALU_DEP_1) | instskip(SKIP_1) | instid1(VALU_DEP_2)
	v_sub_nc_u32_e32 v6, v9, v6
	v_ashrrev_i32_e32 v9, 8, v10
	v_add_nc_u32_e32 v6, 0x3c000000, v6
	s_delay_alu instid0(VALU_DEP_1) | instskip(NEXT) | instid1(VALU_DEP_1)
	v_and_or_b32 v6, 0x7f800000, v9, v6
	v_cndmask_b32_e32 v3, 0, v6, vcc_lo
	s_delay_alu instid0(VALU_DEP_1) | instskip(NEXT) | instid1(VALU_DEP_1)
	v_and_or_b32 v1, 0x80000000, v1, v3
	v_cvt_i32_f32_e32 v6, v1
.LBB54_2619:
	s_mov_b32 s44, 0
.LBB54_2620:
	s_delay_alu instid0(SALU_CYCLE_1)
	s_and_not1_b32 vcc_lo, exec_lo, s44
	s_cbranch_vccnz .LBB54_2622
; %bb.2621:
	global_load_u8 v1, v[4:5], off
	s_wait_loadcnt 0x0
	v_lshlrev_b32_e32 v3, 25, v1
	v_lshlrev_b16 v1, 8, v1
	s_delay_alu instid0(VALU_DEP_1) | instskip(NEXT) | instid1(VALU_DEP_3)
	v_and_or_b32 v9, 0x7f00, v1, 0.5
	v_lshrrev_b32_e32 v6, 4, v3
	v_bfe_i32 v1, v1, 0, 16
	s_delay_alu instid0(VALU_DEP_3) | instskip(NEXT) | instid1(VALU_DEP_3)
	v_add_f32_e32 v9, -0.5, v9
	v_or_b32_e32 v6, 0x70000000, v6
	s_delay_alu instid0(VALU_DEP_1) | instskip(SKIP_1) | instid1(VALU_DEP_2)
	v_mul_f32_e32 v6, 0x7800000, v6
	v_cmp_gt_u32_e32 vcc_lo, 0x8000000, v3
	v_cndmask_b32_e32 v3, v6, v9, vcc_lo
	s_delay_alu instid0(VALU_DEP_1) | instskip(NEXT) | instid1(VALU_DEP_1)
	v_and_or_b32 v1, 0x80000000, v1, v3
	v_cvt_i32_f32_e32 v6, v1
.LBB54_2622:
	s_mov_b32 s45, 0
	s_mov_b32 s44, -1
.LBB54_2623:
	s_and_not1_b32 vcc_lo, exec_lo, s45
	s_mov_b32 s45, 0
	s_cbranch_vccnz .LBB54_2634
; %bb.2624:
	s_cmp_gt_i32 s43, 14
	s_cbranch_scc0 .LBB54_2627
; %bb.2625:
	s_cmp_eq_u32 s43, 15
	s_cbranch_scc0 .LBB54_2630
; %bb.2626:
	global_load_u16 v1, v[4:5], off
	s_mov_b32 s42, 0
	s_mov_b32 s44, -1
	s_wait_loadcnt 0x0
	v_lshlrev_b32_e32 v1, 16, v1
	s_delay_alu instid0(VALU_DEP_1)
	v_cvt_i32_f32_e32 v6, v1
	s_branch .LBB54_2632
.LBB54_2627:
	s_mov_b32 s45, -1
	s_branch .LBB54_2631
.LBB54_2628:
	s_and_not1_saveexec_b32 s44, s44
	s_cbranch_execz .LBB54_2609
.LBB54_2629:
	v_cmp_ne_u16_e32 vcc_lo, 0, v1
	s_and_not1_b32 s45, s45, exec_lo
	s_and_b32 s46, vcc_lo, exec_lo
	s_delay_alu instid0(SALU_CYCLE_1)
	s_or_b32 s45, s45, s46
	s_or_b32 exec_lo, exec_lo, s44
	v_mov_b32_e32 v6, 0
	s_and_saveexec_b32 s44, s45
	s_cbranch_execnz .LBB54_2610
	s_branch .LBB54_2611
.LBB54_2630:
	s_mov_b32 s42, -1
.LBB54_2631:
                                        ; implicit-def: $vgpr6
.LBB54_2632:
	s_and_b32 vcc_lo, exec_lo, s45
	s_mov_b32 s45, 0
	s_cbranch_vccz .LBB54_2634
; %bb.2633:
	s_cmp_lg_u32 s43, 11
	s_mov_b32 s45, -1
	s_cselect_b32 s43, -1, 0
	s_and_not1_b32 s42, s42, exec_lo
	s_and_b32 s43, s43, exec_lo
	s_delay_alu instid0(SALU_CYCLE_1)
	s_or_b32 s42, s42, s43
.LBB54_2634:
	s_mov_b32 s43, 0
.LBB54_2635:
	s_delay_alu instid0(SALU_CYCLE_1)
	s_and_b32 s46, s43, exec_lo
	s_and_not1_b32 s43, s65, exec_lo
	s_and_b32 s47, s42, exec_lo
	s_and_b32 s44, s44, exec_lo
	;; [unrolled: 1-line block ×3, first 2 shown]
	s_or_b32 s65, s43, s47
	s_wait_xcnt 0x0
	s_or_b32 exec_lo, exec_lo, s41
	s_and_saveexec_b32 s41, s65
	s_cbranch_execz .LBB54_2568
.LBB54_2636:
	s_or_b32 s1, s1, exec_lo
	s_and_not1_b32 s42, s42, exec_lo
	s_trap 2
	s_or_b32 exec_lo, exec_lo, s41
	s_and_saveexec_b32 s41, s42
	s_delay_alu instid0(SALU_CYCLE_1)
	s_xor_b32 s41, exec_lo, s41
	s_cbranch_execnz .LBB54_2569
.LBB54_2637:
	s_or_b32 exec_lo, exec_lo, s41
	s_and_saveexec_b32 s41, s46
	s_cbranch_execz .LBB54_2683
.LBB54_2638:
	s_sext_i32_i16 s42, s0
	s_delay_alu instid0(SALU_CYCLE_1)
	s_cmp_lt_i32 s42, 5
	s_cbranch_scc1 .LBB54_2643
; %bb.2639:
	s_cmp_lt_i32 s42, 8
	s_cbranch_scc1 .LBB54_2644
; %bb.2640:
	;; [unrolled: 3-line block ×3, first 2 shown]
	s_cmp_gt_i32 s42, 9
	s_cbranch_scc0 .LBB54_2646
; %bb.2642:
	global_load_b64 v[10:11], v[4:5], off
	s_mov_b32 s42, 0
	s_wait_loadcnt 0x0
	v_cvt_i32_f64_e32 v6, v[10:11]
	s_branch .LBB54_2647
.LBB54_2643:
                                        ; implicit-def: $vgpr6
	s_branch .LBB54_2664
.LBB54_2644:
                                        ; implicit-def: $vgpr6
	s_branch .LBB54_2653
.LBB54_2645:
	s_mov_b32 s42, -1
                                        ; implicit-def: $vgpr6
	s_branch .LBB54_2650
.LBB54_2646:
	s_mov_b32 s42, -1
                                        ; implicit-def: $vgpr6
.LBB54_2647:
	s_delay_alu instid0(SALU_CYCLE_1)
	s_and_not1_b32 vcc_lo, exec_lo, s42
	s_cbranch_vccnz .LBB54_2649
; %bb.2648:
	global_load_b32 v1, v[4:5], off
	s_wait_loadcnt 0x0
	v_cvt_i32_f32_e32 v6, v1
.LBB54_2649:
	s_mov_b32 s42, 0
.LBB54_2650:
	s_delay_alu instid0(SALU_CYCLE_1)
	s_and_not1_b32 vcc_lo, exec_lo, s42
	s_cbranch_vccnz .LBB54_2652
; %bb.2651:
	global_load_b32 v1, v[4:5], off
	s_wait_loadcnt 0x0
	v_cvt_f32_f16_e32 v1, v1
	s_delay_alu instid0(VALU_DEP_1)
	v_cvt_i32_f32_e32 v6, v1
.LBB54_2652:
	s_cbranch_execnz .LBB54_2663
.LBB54_2653:
	s_sext_i32_i16 s42, s0
	s_delay_alu instid0(SALU_CYCLE_1)
	s_cmp_lt_i32 s42, 6
	s_cbranch_scc1 .LBB54_2656
; %bb.2654:
	s_cmp_gt_i32 s42, 6
	s_cbranch_scc0 .LBB54_2657
; %bb.2655:
	global_load_b64 v[10:11], v[4:5], off
	s_mov_b32 s42, 0
	s_wait_loadcnt 0x0
	v_cvt_i32_f64_e32 v6, v[10:11]
	s_branch .LBB54_2658
.LBB54_2656:
	s_mov_b32 s42, -1
                                        ; implicit-def: $vgpr6
	s_branch .LBB54_2661
.LBB54_2657:
	s_mov_b32 s42, -1
                                        ; implicit-def: $vgpr6
.LBB54_2658:
	s_delay_alu instid0(SALU_CYCLE_1)
	s_and_not1_b32 vcc_lo, exec_lo, s42
	s_cbranch_vccnz .LBB54_2660
; %bb.2659:
	global_load_b32 v1, v[4:5], off
	s_wait_loadcnt 0x0
	v_cvt_i32_f32_e32 v6, v1
.LBB54_2660:
	s_mov_b32 s42, 0
.LBB54_2661:
	s_delay_alu instid0(SALU_CYCLE_1)
	s_and_not1_b32 vcc_lo, exec_lo, s42
	s_cbranch_vccnz .LBB54_2663
; %bb.2662:
	global_load_u16 v1, v[4:5], off
	s_wait_loadcnt 0x0
	v_cvt_f32_f16_e32 v1, v1
	s_delay_alu instid0(VALU_DEP_1)
	v_cvt_i32_f32_e32 v6, v1
.LBB54_2663:
	s_cbranch_execnz .LBB54_2682
.LBB54_2664:
	s_sext_i32_i16 s42, s0
	s_delay_alu instid0(SALU_CYCLE_1)
	s_cmp_lt_i32 s42, 2
	s_cbranch_scc1 .LBB54_2668
; %bb.2665:
	s_cmp_lt_i32 s42, 3
	s_cbranch_scc1 .LBB54_2669
; %bb.2666:
	s_cmp_gt_i32 s42, 3
	s_cbranch_scc0 .LBB54_2670
; %bb.2667:
	s_wait_loadcnt 0x0
	global_load_b32 v6, v[4:5], off
	s_mov_b32 s42, 0
	s_branch .LBB54_2671
.LBB54_2668:
                                        ; implicit-def: $vgpr6
	s_branch .LBB54_2677
.LBB54_2669:
	s_mov_b32 s42, -1
                                        ; implicit-def: $vgpr6
	s_branch .LBB54_2674
.LBB54_2670:
	s_mov_b32 s42, -1
                                        ; implicit-def: $vgpr6
.LBB54_2671:
	s_delay_alu instid0(SALU_CYCLE_1)
	s_and_not1_b32 vcc_lo, exec_lo, s42
	s_cbranch_vccnz .LBB54_2673
; %bb.2672:
	s_wait_loadcnt 0x0
	global_load_b32 v6, v[4:5], off
.LBB54_2673:
	s_mov_b32 s42, 0
.LBB54_2674:
	s_delay_alu instid0(SALU_CYCLE_1)
	s_and_not1_b32 vcc_lo, exec_lo, s42
	s_cbranch_vccnz .LBB54_2676
; %bb.2675:
	s_wait_loadcnt 0x0
	global_load_i16 v6, v[4:5], off
.LBB54_2676:
	s_cbranch_execnz .LBB54_2682
.LBB54_2677:
	s_sext_i32_i16 s0, s0
	s_delay_alu instid0(SALU_CYCLE_1)
	s_cmp_gt_i32 s0, 0
	s_mov_b32 s0, 0
	s_cbranch_scc0 .LBB54_2679
; %bb.2678:
	s_wait_loadcnt 0x0
	global_load_i8 v6, v[4:5], off
	s_branch .LBB54_2680
.LBB54_2679:
	s_mov_b32 s0, -1
                                        ; implicit-def: $vgpr6
.LBB54_2680:
	s_delay_alu instid0(SALU_CYCLE_1)
	s_and_not1_b32 vcc_lo, exec_lo, s0
	s_cbranch_vccnz .LBB54_2682
; %bb.2681:
	s_wait_loadcnt 0x0
	global_load_u8 v6, v[4:5], off
.LBB54_2682:
	s_or_b32 s44, s44, exec_lo
.LBB54_2683:
	s_wait_xcnt 0x0
	s_or_b32 exec_lo, exec_lo, s41
	s_mov_b32 s0, 0
	s_and_saveexec_b32 s41, s44
	s_delay_alu instid0(SALU_CYCLE_1)
	s_xor_b32 s41, exec_lo, s41
	s_cbranch_execz .LBB54_2685
; %bb.2684:
	s_wait_loadcnt 0x0
	v_cmp_ne_u32_e32 vcc_lo, s38, v7
	s_xor_b32 s42, s58, -1
	s_and_not1_b32 s43, s64, exec_lo
	s_mov_b32 s0, exec_lo
	s_or_b32 s42, s42, vcc_lo
	s_delay_alu instid0(SALU_CYCLE_1) | instskip(NEXT) | instid1(SALU_CYCLE_1)
	s_and_b32 s42, s42, exec_lo
	s_or_b32 s64, s43, s42
.LBB54_2685:
	s_or_b32 exec_lo, exec_lo, s41
	s_and_saveexec_b32 s41, s64
	s_cbranch_execnz .LBB54_2722
.LBB54_2686:
	s_or_b32 exec_lo, exec_lo, s41
	s_mov_b32 s42, 0
	s_and_saveexec_b32 s41, s0
	s_delay_alu instid0(SALU_CYCLE_1)
	s_xor_b32 s0, exec_lo, s41
	s_cbranch_execz .LBB54_2688
; %bb.2687:
	s_wait_loadcnt 0x0
	v_cmp_ne_u32_e32 vcc_lo, s22, v8
	s_xor_b32 s41, s57, -1
	s_and_not1_b32 s43, s63, exec_lo
	s_mov_b32 s42, exec_lo
	s_or_b32 s41, s41, vcc_lo
	s_delay_alu instid0(SALU_CYCLE_1) | instskip(NEXT) | instid1(SALU_CYCLE_1)
	s_and_b32 s41, s41, exec_lo
	s_or_b32 s63, s43, s41
.LBB54_2688:
	s_or_b32 exec_lo, exec_lo, s0
	s_and_saveexec_b32 s0, s63
	s_cbranch_execnz .LBB54_2723
.LBB54_2689:
	s_or_b32 exec_lo, exec_lo, s0
	s_mov_b32 s41, 0
	s_and_saveexec_b32 s0, s42
	s_delay_alu instid0(SALU_CYCLE_1)
	s_xor_b32 s42, exec_lo, s0
	s_cbranch_execz .LBB54_2701
; %bb.2690:
	s_wait_loadcnt 0x0
	v_sub_nc_u32_e32 v1, v2, v0
	s_and_not1_b32 s43, s62, exec_lo
	s_mov_b32 s41, exec_lo
	s_delay_alu instid0(VALU_DEP_1) | instskip(SKIP_2) | instid1(SALU_CYCLE_1)
	v_cmp_le_i32_e32 vcc_lo, s38, v1
	v_cmp_ge_i32_e64 s0, s20, v1
	s_and_b32 s0, vcc_lo, s0
	s_and_b32 s0, s56, s0
	s_delay_alu instid0(SALU_CYCLE_1) | instskip(NEXT) | instid1(SALU_CYCLE_1)
	s_xor_b32 s0, s0, -1
	s_and_b32 s0, s0, exec_lo
	s_delay_alu instid0(SALU_CYCLE_1)
	s_or_b32 s62, s43, s0
	s_or_b32 exec_lo, exec_lo, s42
	s_and_saveexec_b32 s0, s62
	s_cbranch_execz .LBB54_2702
.LBB54_2691:
	s_or_b32 s1, s1, exec_lo
	s_and_not1_b32 s41, s41, exec_lo
	s_trap 2
	s_or_b32 exec_lo, exec_lo, s0
	s_mov_b32 s43, 0
	s_and_saveexec_b32 s56, s41
	s_cbranch_execnz .LBB54_2703
.LBB54_2692:
	s_or_b32 exec_lo, exec_lo, s56
	s_and_saveexec_b32 s0, s61
	s_cbranch_execnz .LBB54_2721
.LBB54_2693:
	s_or_b32 exec_lo, exec_lo, s0
	s_mov_b32 s41, 0
	s_mov_b32 s42, 0
                                        ; implicit-def: $sgpr0
                                        ; implicit-def: $vgpr0_vgpr1
	s_and_saveexec_b32 s40, s43
	s_cbranch_execz .LBB54_2710
; %bb.2694:
	s_wait_loadcnt 0x0
	v_mul_lo_u32 v0, v22, s16
	s_and_b32 s0, s2, 0xff
	s_delay_alu instid0(SALU_CYCLE_1) | instskip(NEXT) | instid1(VALU_DEP_1)
	s_cmp_lt_i32 s0, 11
	v_ashrrev_i32_e32 v1, 31, v0
	s_delay_alu instid0(VALU_DEP_1)
	v_add_nc_u64_e32 v[0:1], s[4:5], v[0:1]
	s_cbranch_scc1 .LBB54_2718
; %bb.2695:
	s_and_b32 s42, 0xffff, s0
	s_mov_b32 s43, -1
	s_cmp_gt_i32 s42, 25
	s_mov_b32 s41, s59
	s_cbranch_scc0 .LBB54_2743
; %bb.2696:
	s_cmp_gt_i32 s42, 28
	s_mov_b32 s41, s59
	s_cbranch_scc0 .LBB54_2733
; %bb.2697:
	;; [unrolled: 4-line block ×4, first 2 shown]
	s_cmp_eq_u32 s42, 46
	s_mov_b32 s41, -1
	s_cbranch_scc0 .LBB54_2724
; %bb.2700:
	v_mov_b32_e32 v2, 0
	s_mov_b32 s41, 0
	s_mov_b32 s43, 0
	global_store_b32 v[0:1], v2, off
	s_branch .LBB54_2725
.LBB54_2701:
	s_or_b32 exec_lo, exec_lo, s42
	s_and_saveexec_b32 s0, s62
	s_cbranch_execnz .LBB54_2691
.LBB54_2702:
	s_or_b32 exec_lo, exec_lo, s0
	s_mov_b32 s43, 0
	s_and_saveexec_b32 s56, s41
	s_cbranch_execz .LBB54_2692
.LBB54_2703:
	v_mov_b64_e32 v[4:5], 0
	s_and_not1_b32 vcc_lo, exec_lo, s55
	s_cbranch_vccnz .LBB54_2713
; %bb.2704:
	s_wait_loadcnt 0x0
	v_ashrrev_i32_e32 v7, 31, v6
	v_mov_b64_e32 v[4:5], 0
	s_mov_b32 s41, 0
	s_mov_b64 s[42:43], 0xffffffff
	s_lshl_b64 s[46:47], s[40:41], 3
	v_mul_u64_e32 v[8:9], s[22:23], v[6:7]
	v_mov_b32_e32 v6, 0
	s_add_nc_u64 s[44:45], s[26:27], s[46:47]
	s_add_nc_u64 s[46:47], s[28:29], s[46:47]
	s_mov_b32 s55, s24
	s_branch .LBB54_2706
.LBB54_2705:                            ;   in Loop: Header=BB54_2706 Depth=1
	s_or_b32 exec_lo, exec_lo, s0
	global_load_b64 v[12:13], v6, s[46:47]
	v_mul_u64_e32 v[14:15], s[48:49], v[10:11]
	s_add_co_i32 s55, s55, -1
	s_add_nc_u64 s[44:45], s[44:45], -8
	s_cmp_lg_u32 s55, 0
	s_wait_xcnt 0x0
	s_add_nc_u64 s[46:47], s[46:47], -8
	s_delay_alu instid0(VALU_DEP_1) | instskip(SKIP_1) | instid1(VALU_DEP_1)
	v_sub_nc_u64_e32 v[8:9], v[8:9], v[14:15]
	s_wait_loadcnt 0x0
	v_mad_nc_u64_u32 v[4:5], v8, v12, v[4:5]
	s_delay_alu instid0(VALU_DEP_1) | instskip(NEXT) | instid1(VALU_DEP_1)
	v_mad_u32 v1, v9, v12, v5
	v_mad_u32 v5, v8, v13, v1
	v_mov_b64_e32 v[8:9], v[10:11]
	s_cbranch_scc0 .LBB54_2713
.LBB54_2706:                            ; =>This Inner Loop Header: Depth=1
	global_load_b64 v[10:11], v6, s[44:45]
	s_mov_b32 s0, exec_lo
	s_wait_loadcnt 0x0
	v_or_b32_e32 v7, v9, v11
	v_readfirstlane_b32 s48, v10
	v_readfirstlane_b32 s49, v11
                                        ; implicit-def: $vgpr10_vgpr11
	s_wait_xcnt 0x0
	s_delay_alu instid0(VALU_DEP_3)
	v_cmpx_ne_u64_e32 0, v[6:7]
	s_xor_b32 s57, exec_lo, s0
	s_cbranch_execz .LBB54_2708
; %bb.2707:                             ;   in Loop: Header=BB54_2706 Depth=1
	s_ashr_i32 s50, s49, 31
	v_dual_mov_b32 v15, v6 :: v_dual_ashrrev_i32 v10, 31, v9
	s_mov_b32 s51, s50
	v_mov_b32_e32 v25, v6
	s_add_nc_u64 s[52:53], s[48:49], s[50:51]
	s_delay_alu instid0(VALU_DEP_2) | instskip(SKIP_1) | instid1(SALU_CYCLE_1)
	v_mov_b32_e32 v11, v10
	s_xor_b64 s[52:53], s[52:53], s[50:51]
	s_cvt_f32_u32 s0, s52
	s_cvt_f32_u32 s40, s53
	s_sub_nc_u64 s[64:65], 0, s[52:53]
	v_add_nc_u64_e32 v[12:13], v[8:9], v[10:11]
	v_mov_b32_e32 v19, v6
	s_fmamk_f32 s0, s40, 0x4f800000, s0
	s_delay_alu instid0(SALU_CYCLE_3) | instskip(NEXT) | instid1(VALU_DEP_2)
	v_s_rcp_f32 s0, s0
	v_xor_b32_e32 v14, v12, v10
	s_delay_alu instid0(VALU_DEP_3) | instskip(NEXT) | instid1(TRANS32_DEP_1)
	v_xor_b32_e32 v18, v13, v10
	s_mul_f32 s0, s0, 0x5f7ffffc
	s_delay_alu instid0(SALU_CYCLE_3) | instskip(NEXT) | instid1(SALU_CYCLE_3)
	s_mul_f32 s40, s0, 0x2f800000
	s_trunc_f32 s40, s40
	s_delay_alu instid0(SALU_CYCLE_3) | instskip(SKIP_1) | instid1(SALU_CYCLE_2)
	s_fmamk_f32 s0, s40, 0xcf800000, s0
	s_cvt_u32_f32 s63, s40
	s_cvt_u32_f32 s62, s0
	s_delay_alu instid0(SALU_CYCLE_3) | instskip(NEXT) | instid1(SALU_CYCLE_1)
	s_mul_u64 s[66:67], s[64:65], s[62:63]
	s_mul_hi_u32 s69, s62, s67
	s_mul_i32 s68, s62, s67
	s_mul_hi_u32 s40, s62, s66
	s_mul_i32 s51, s63, s66
	s_add_nc_u64 s[68:69], s[40:41], s[68:69]
	s_mul_hi_u32 s0, s63, s66
	s_mul_hi_u32 s58, s63, s67
	s_add_co_u32 s40, s68, s51
	s_add_co_ci_u32 s40, s69, s0
	s_mul_i32 s66, s63, s67
	s_add_co_ci_u32 s67, s58, 0
	s_delay_alu instid0(SALU_CYCLE_1) | instskip(NEXT) | instid1(SALU_CYCLE_1)
	s_add_nc_u64 s[66:67], s[40:41], s[66:67]
	s_add_co_u32 s62, s62, s66
	s_cselect_b32 s0, -1, 0
	s_delay_alu instid0(SALU_CYCLE_1) | instskip(SKIP_1) | instid1(SALU_CYCLE_1)
	s_cmp_lg_u32 s0, 0
	s_add_co_ci_u32 s63, s63, s67
	s_mul_u64 s[64:65], s[64:65], s[62:63]
	s_delay_alu instid0(SALU_CYCLE_1)
	s_mul_hi_u32 s67, s62, s65
	s_mul_i32 s66, s62, s65
	s_mul_hi_u32 s40, s62, s64
	s_mul_i32 s51, s63, s64
	s_add_nc_u64 s[66:67], s[40:41], s[66:67]
	s_mul_hi_u32 s0, s63, s64
	s_mul_hi_u32 s58, s63, s65
	s_add_co_u32 s40, s66, s51
	s_add_co_ci_u32 s40, s67, s0
	s_mul_i32 s64, s63, s65
	s_add_co_ci_u32 s65, s58, 0
	s_delay_alu instid0(SALU_CYCLE_1) | instskip(NEXT) | instid1(SALU_CYCLE_1)
	s_add_nc_u64 s[64:65], s[40:41], s[64:65]
	s_add_co_u32 s0, s62, s64
	s_cselect_b32 s40, -1, 0
	v_mul_hi_u32 v24, v14, s0
	s_cmp_lg_u32 s40, 0
	s_add_co_ci_u32 s40, s63, s65
	s_and_b64 s[62:63], s[0:1], s[42:43]
	v_mul_u64_e32 v[16:17], s[40:41], v[14:15]
	v_mul_u64_e32 v[12:13], s[62:63], v[18:19]
	;; [unrolled: 1-line block ×3, first 2 shown]
	s_delay_alu instid0(VALU_DEP_3) | instskip(NEXT) | instid1(VALU_DEP_1)
	v_add_nc_u64_e32 v[16:17], v[24:25], v[16:17]
	v_add_co_u32 v1, vcc_lo, v16, v12
	s_delay_alu instid0(VALU_DEP_2) | instskip(NEXT) | instid1(VALU_DEP_4)
	v_add_co_ci_u32_e32 v24, vcc_lo, v17, v13, vcc_lo
	v_add_co_ci_u32_e32 v21, vcc_lo, 0, v21, vcc_lo
	s_delay_alu instid0(VALU_DEP_1) | instskip(NEXT) | instid1(VALU_DEP_1)
	v_add_nc_u64_e32 v[12:13], v[24:25], v[20:21]
	v_mul_u64_e32 v[16:17], s[52:53], v[12:13]
	s_delay_alu instid0(VALU_DEP_1) | instskip(NEXT) | instid1(VALU_DEP_2)
	v_sub_nc_u32_e32 v1, v18, v17
	v_sub_co_u32 v3, vcc_lo, v14, v16
	s_delay_alu instid0(VALU_DEP_1) | instskip(NEXT) | instid1(VALU_DEP_3)
	v_sub_co_ci_u32_e64 v11, null, v18, v17, vcc_lo
	v_subrev_co_ci_u32_e64 v1, null, s53, v1, vcc_lo
	s_delay_alu instid0(VALU_DEP_3) | instskip(SKIP_1) | instid1(VALU_DEP_3)
	v_sub_co_u32 v7, s0, v3, s52
	v_add_nc_u64_e32 v[16:17], 1, v[12:13]
	v_subrev_co_ci_u32_e64 v1, null, 0, v1, s0
	s_delay_alu instid0(VALU_DEP_3) | instskip(SKIP_1) | instid1(VALU_DEP_3)
	v_cmp_le_u32_e32 vcc_lo, s52, v7
	v_cndmask_b32_e64 v7, 0, -1, vcc_lo
	v_cmp_le_u32_e32 vcc_lo, s53, v1
	v_cndmask_b32_e64 v14, 0, -1, vcc_lo
	;; [unrolled: 2-line block ×4, first 2 shown]
	v_cmp_eq_u32_e32 vcc_lo, s53, v1
	v_cndmask_b32_e32 v1, v14, v7, vcc_lo
	v_cmp_eq_u32_e32 vcc_lo, s53, v11
	v_add_nc_u64_e32 v[14:15], 2, v[12:13]
	v_cndmask_b32_e32 v3, v18, v3, vcc_lo
	s_delay_alu instid0(VALU_DEP_4) | instskip(NEXT) | instid1(VALU_DEP_2)
	v_cmp_ne_u32_e32 vcc_lo, 0, v1
	v_cmp_ne_u32_e64 s0, 0, v3
	s_delay_alu instid0(VALU_DEP_4) | instskip(NEXT) | instid1(VALU_DEP_1)
	v_dual_cndmask_b32 v1, v17, v15, vcc_lo :: v_dual_cndmask_b32 v3, v16, v14, vcc_lo
	v_dual_cndmask_b32 v1, v13, v1, s0 :: v_dual_bitop2_b32 v10, s50, v10 bitop3:0x14
	s_delay_alu instid0(VALU_DEP_1) | instskip(NEXT) | instid1(VALU_DEP_2)
	v_dual_cndmask_b32 v3, v12, v3, s0 :: v_dual_mov_b32 v11, v10
	v_xor_b32_e32 v13, v1, v10
	s_delay_alu instid0(VALU_DEP_2) | instskip(NEXT) | instid1(VALU_DEP_1)
	v_xor_b32_e32 v12, v3, v10
	v_sub_nc_u64_e32 v[10:11], v[12:13], v[10:11]
.LBB54_2708:                            ;   in Loop: Header=BB54_2706 Depth=1
	s_and_not1_saveexec_b32 s0, s57
	s_cbranch_execz .LBB54_2705
; %bb.2709:                             ;   in Loop: Header=BB54_2706 Depth=1
	v_cvt_f32_u32_e32 v1, s48
	s_sub_co_i32 s40, 0, s48
	v_mov_b32_e32 v11, v6
	s_delay_alu instid0(VALU_DEP_2) | instskip(SKIP_1) | instid1(TRANS32_DEP_1)
	v_rcp_iflag_f32_e32 v1, v1
	v_nop
	v_mul_f32_e32 v1, 0x4f7ffffe, v1
	s_delay_alu instid0(VALU_DEP_1) | instskip(NEXT) | instid1(VALU_DEP_1)
	v_cvt_u32_f32_e32 v1, v1
	v_mul_lo_u32 v3, s40, v1
	s_delay_alu instid0(VALU_DEP_1) | instskip(NEXT) | instid1(VALU_DEP_1)
	v_mul_hi_u32 v3, v1, v3
	v_add_nc_u32_e32 v1, v1, v3
	s_delay_alu instid0(VALU_DEP_1) | instskip(NEXT) | instid1(VALU_DEP_1)
	v_mul_hi_u32 v1, v8, v1
	v_mul_lo_u32 v3, v1, s48
	s_delay_alu instid0(VALU_DEP_1) | instskip(NEXT) | instid1(VALU_DEP_1)
	v_sub_nc_u32_e32 v3, v8, v3
	v_subrev_nc_u32_e32 v10, s48, v3
	v_cmp_le_u32_e32 vcc_lo, s48, v3
	s_delay_alu instid0(VALU_DEP_2) | instskip(NEXT) | instid1(VALU_DEP_1)
	v_dual_add_nc_u32 v7, 1, v1 :: v_dual_cndmask_b32 v3, v3, v10, vcc_lo
	v_cndmask_b32_e32 v1, v1, v7, vcc_lo
	s_delay_alu instid0(VALU_DEP_2) | instskip(NEXT) | instid1(VALU_DEP_2)
	v_cmp_le_u32_e32 vcc_lo, s48, v3
	v_add_nc_u32_e32 v7, 1, v1
	s_delay_alu instid0(VALU_DEP_1)
	v_cndmask_b32_e32 v10, v1, v7, vcc_lo
	s_branch .LBB54_2705
.LBB54_2710:
	s_or_b32 exec_lo, exec_lo, s40
	s_and_saveexec_b32 s40, s59
	s_cbranch_execnz .LBB54_2763
.LBB54_2711:
	s_or_b32 exec_lo, exec_lo, s40
	s_and_saveexec_b32 s40, s41
	s_delay_alu instid0(SALU_CYCLE_1)
	s_xor_b32 s40, exec_lo, s40
	s_cbranch_execz .LBB54_2764
.LBB54_2712:
	s_wait_loadcnt 0x0
	v_mov_b32_e32 v2, 0
	global_store_b8 v[0:1], v2, off
	s_wait_xcnt 0x0
	s_or_b32 exec_lo, exec_lo, s40
	s_and_saveexec_b32 s40, s42
	s_delay_alu instid0(SALU_CYCLE_1)
	s_xor_b32 s40, exec_lo, s40
	s_cbranch_execz .LBB54_2802
	s_branch .LBB54_2765
.LBB54_2713:
	s_mov_b32 s40, s61
	s_mov_b32 s0, exec_lo
	s_wait_loadcnt 0x0
	v_cmpx_gt_i32_e64 v2, v0
	s_cbranch_execz .LBB54_2720
; %bb.2714:
	s_delay_alu instid0(VALU_DEP_2) | instskip(SKIP_3) | instid1(VALU_DEP_1)
	v_lshlrev_b64_e32 v[4:5], 2, v[4:5]
	v_dual_ashrrev_i32 v1, 31, v0 :: v_dual_ashrrev_i32 v3, 31, v2
	s_mov_b32 s40, 0
	s_xor_b32 s42, s54, -1
                                        ; implicit-def: $sgpr41
                                        ; implicit-def: $sgpr44
                                        ; implicit-def: $sgpr43
	v_lshl_add_u64 v[0:1], v[0:1], 2, v[4:5]
	v_add_nc_u64_e32 v[4:5], s[30:31], v[4:5]
	s_delay_alu instid0(VALU_DEP_2) | instskip(NEXT) | instid1(VALU_DEP_2)
	v_add_nc_u64_e32 v[0:1], s[30:31], v[0:1]
	v_lshl_add_u64 v[2:3], v[2:3], 2, v[4:5]
	s_delay_alu instid0(VALU_DEP_2)
	v_add_nc_u64_e32 v[0:1], 4, v[0:1]
	s_branch .LBB54_2716
.LBB54_2715:                            ;   in Loop: Header=BB54_2716 Depth=1
	s_or_b32 exec_lo, exec_lo, s45
	s_xor_b32 s45, s43, -1
	s_and_b32 s46, exec_lo, s44
	s_delay_alu instid0(SALU_CYCLE_1) | instskip(SKIP_2) | instid1(SALU_CYCLE_1)
	s_or_b32 s40, s46, s40
	s_and_not1_b32 s41, s41, exec_lo
	s_and_b32 s45, s45, exec_lo
	s_or_b32 s41, s41, s45
	s_and_not1_b32 exec_lo, exec_lo, s40
	s_cbranch_execz .LBB54_2719
.LBB54_2716:                            ; =>This Inner Loop Header: Depth=1
	s_or_b32 s43, s43, exec_lo
	s_or_b32 s44, s44, exec_lo
	s_mov_b32 s45, exec_lo
	s_delay_alu instid0(VALU_DEP_1)
	v_cmpx_lt_u64_e64 v[0:1], v[2:3]
	s_cbranch_execz .LBB54_2715
; %bb.2717:                             ;   in Loop: Header=BB54_2716 Depth=1
	global_load_b64 v[4:5], v[0:1], off offset:-4
	s_wait_xcnt 0x0
	v_add_nc_u64_e32 v[0:1], 4, v[0:1]
	s_and_not1_b32 s44, s44, exec_lo
	s_and_not1_b32 s43, s43, exec_lo
	s_wait_loadcnt 0x0
	v_cmp_ge_i32_e32 vcc_lo, v4, v5
	s_or_b32 s46, s42, vcc_lo
	s_delay_alu instid0(SALU_CYCLE_1) | instskip(NEXT) | instid1(SALU_CYCLE_1)
	s_and_b32 s46, s46, exec_lo
	s_or_b32 s44, s44, s46
	s_branch .LBB54_2715
.LBB54_2718:
	s_mov_b32 s44, 0
	s_mov_b32 s43, -1
	s_mov_b32 s41, s59
	s_branch .LBB54_2762
.LBB54_2719:
	s_or_b32 exec_lo, exec_lo, s40
	s_delay_alu instid0(SALU_CYCLE_1) | instskip(SKIP_1) | instid1(SALU_CYCLE_1)
	s_and_not1_b32 s40, s61, exec_lo
	s_and_b32 s41, s41, exec_lo
	s_or_b32 s40, s40, s41
.LBB54_2720:
	s_or_b32 exec_lo, exec_lo, s0
	s_delay_alu instid0(SALU_CYCLE_1)
	s_and_not1_b32 s0, s61, exec_lo
	s_and_b32 s40, s40, exec_lo
	s_mov_b32 s43, exec_lo
	s_or_b32 s61, s0, s40
	s_or_b32 exec_lo, exec_lo, s56
	s_and_saveexec_b32 s0, s61
	s_cbranch_execz .LBB54_2693
.LBB54_2721:
	s_or_b32 s1, s1, exec_lo
	s_and_not1_b32 s43, s43, exec_lo
	s_trap 2
	s_branch .LBB54_2693
.LBB54_2722:
	s_or_b32 s1, s1, exec_lo
	s_and_not1_b32 s0, s0, exec_lo
	s_trap 2
	s_branch .LBB54_2686
.LBB54_2723:
	s_or_b32 s1, s1, exec_lo
	s_and_not1_b32 s42, s42, exec_lo
	s_trap 2
	s_branch .LBB54_2689
.LBB54_2724:
	s_mov_b32 s43, 0
.LBB54_2725:
	s_delay_alu instid0(SALU_CYCLE_1)
	s_and_b32 vcc_lo, exec_lo, s43
	s_cbranch_vccz .LBB54_2728
; %bb.2726:
	s_cmp_eq_u32 s42, 44
	s_mov_b32 s41, -1
	s_cbranch_scc0 .LBB54_2728
; %bb.2727:
	s_wait_xcnt 0x0
	v_mov_b32_e32 v2, 0
	s_mov_b32 s41, 0
	s_mov_b32 s43, 0
	global_store_b8 v[0:1], v2, off
	s_branch .LBB54_2729
.LBB54_2728:
	s_mov_b32 s43, 0
.LBB54_2729:
	s_delay_alu instid0(SALU_CYCLE_1)
	s_and_b32 vcc_lo, exec_lo, s43
	s_cbranch_vccz .LBB54_2732
; %bb.2730:
	s_cmp_eq_u32 s42, 29
	s_mov_b32 s41, -1
	s_cbranch_scc0 .LBB54_2732
; %bb.2731:
	s_wait_xcnt 0x0
	v_mov_b64_e32 v[2:3], 0
	s_mov_b32 s41, 0
	s_mov_b32 s43, 0
	global_store_b64 v[0:1], v[2:3], off
	s_branch .LBB54_2733
.LBB54_2732:
	s_mov_b32 s43, 0
.LBB54_2733:
	s_delay_alu instid0(SALU_CYCLE_1)
	s_and_b32 vcc_lo, exec_lo, s43
	s_cbranch_vccz .LBB54_2742
; %bb.2734:
	s_cmp_lt_i32 s42, 27
	s_mov_b32 s43, -1
	s_cbranch_scc1 .LBB54_2740
; %bb.2735:
	s_cmp_gt_i32 s42, 27
	s_cbranch_scc0 .LBB54_2737
; %bb.2736:
	s_wait_xcnt 0x0
	v_mov_b32_e32 v2, 0
	s_mov_b32 s43, 0
	global_store_b32 v[0:1], v2, off
.LBB54_2737:
	s_and_not1_b32 vcc_lo, exec_lo, s43
	s_cbranch_vccnz .LBB54_2739
; %bb.2738:
	s_wait_xcnt 0x0
	v_mov_b32_e32 v2, 0
	global_store_b16 v[0:1], v2, off
.LBB54_2739:
	s_mov_b32 s43, 0
.LBB54_2740:
	s_delay_alu instid0(SALU_CYCLE_1)
	s_and_not1_b32 vcc_lo, exec_lo, s43
	s_cbranch_vccnz .LBB54_2742
; %bb.2741:
	s_wait_xcnt 0x0
	v_mov_b32_e32 v2, 0
	global_store_b8 v[0:1], v2, off
.LBB54_2742:
	s_mov_b32 s43, 0
.LBB54_2743:
	s_delay_alu instid0(SALU_CYCLE_1)
	s_and_b32 vcc_lo, exec_lo, s43
	s_mov_b32 s43, 0
	s_cbranch_vccz .LBB54_2761
; %bb.2744:
	s_cmp_gt_i32 s42, 22
	s_mov_b32 s44, -1
	s_cbranch_scc0 .LBB54_2754
; %bb.2745:
	s_cmp_lt_i32 s42, 24
	s_cbranch_scc1 .LBB54_2751
; %bb.2746:
	s_cmp_gt_i32 s42, 24
	s_cbranch_scc0 .LBB54_2748
; %bb.2747:
	s_wait_xcnt 0x0
	v_mov_b32_e32 v2, 0
	s_mov_b32 s44, 0
	global_store_b8 v[0:1], v2, off
.LBB54_2748:
	s_and_not1_b32 vcc_lo, exec_lo, s44
	s_cbranch_vccnz .LBB54_2750
; %bb.2749:
	s_wait_xcnt 0x0
	v_mov_b32_e32 v2, 0
	global_store_b8 v[0:1], v2, off
.LBB54_2750:
	s_mov_b32 s44, 0
.LBB54_2751:
	s_delay_alu instid0(SALU_CYCLE_1)
	s_and_not1_b32 vcc_lo, exec_lo, s44
	s_cbranch_vccnz .LBB54_2753
; %bb.2752:
	s_wait_xcnt 0x0
	v_mov_b32_e32 v2, 0
	global_store_b8 v[0:1], v2, off
.LBB54_2753:
	s_mov_b32 s44, 0
.LBB54_2754:
	s_delay_alu instid0(SALU_CYCLE_1)
	s_and_not1_b32 vcc_lo, exec_lo, s44
	s_mov_b32 s44, 0
	s_cbranch_vccnz .LBB54_2762
; %bb.2755:
	s_cmp_gt_i32 s42, 14
	s_mov_b32 s44, -1
	s_cbranch_scc0 .LBB54_2759
; %bb.2756:
	s_cmp_eq_u32 s42, 15
	s_mov_b32 s41, -1
	s_cbranch_scc0 .LBB54_2758
; %bb.2757:
	s_wait_xcnt 0x0
	v_mov_b32_e32 v2, 0
	s_mov_b32 s41, 0
	global_store_b16 v[0:1], v2, off
.LBB54_2758:
	s_mov_b32 s44, 0
.LBB54_2759:
	s_delay_alu instid0(SALU_CYCLE_1)
	s_and_b32 vcc_lo, exec_lo, s44
	s_mov_b32 s44, 0
	s_cbranch_vccz .LBB54_2762
; %bb.2760:
	s_cmp_lg_u32 s42, 11
	s_mov_b32 s44, -1
	s_cselect_b32 s42, -1, 0
	s_and_not1_b32 s41, s41, exec_lo
	s_and_b32 s42, s42, exec_lo
	s_delay_alu instid0(SALU_CYCLE_1)
	s_or_b32 s41, s41, s42
	s_branch .LBB54_2762
.LBB54_2761:
	s_mov_b32 s44, 0
.LBB54_2762:
	s_and_b32 s42, s43, exec_lo
	s_and_not1_b32 s43, s59, exec_lo
	s_and_b32 s45, s41, exec_lo
	s_and_b32 s41, s44, exec_lo
	s_or_b32 s59, s43, s45
	s_wait_xcnt 0x0
	s_or_b32 exec_lo, exec_lo, s40
	s_and_saveexec_b32 s40, s59
	s_cbranch_execz .LBB54_2711
.LBB54_2763:
	s_or_b32 s1, s1, exec_lo
	s_and_not1_b32 s41, s41, exec_lo
	s_trap 2
	s_or_b32 exec_lo, exec_lo, s40
	s_and_saveexec_b32 s40, s41
	s_delay_alu instid0(SALU_CYCLE_1)
	s_xor_b32 s40, exec_lo, s40
	s_cbranch_execnz .LBB54_2712
.LBB54_2764:
	s_or_b32 exec_lo, exec_lo, s40
	s_and_saveexec_b32 s40, s42
	s_delay_alu instid0(SALU_CYCLE_1)
	s_xor_b32 s40, exec_lo, s40
	s_cbranch_execz .LBB54_2802
.LBB54_2765:
	s_sext_i32_i16 s42, s0
	s_mov_b32 s41, -1
	s_cmp_lt_i32 s42, 5
	s_cbranch_scc1 .LBB54_2786
; %bb.2766:
	s_cmp_lt_i32 s42, 8
	s_cbranch_scc1 .LBB54_2776
; %bb.2767:
	;; [unrolled: 3-line block ×3, first 2 shown]
	s_cmp_gt_i32 s42, 9
	s_cbranch_scc0 .LBB54_2770
; %bb.2769:
	s_wait_loadcnt 0x0
	v_mov_b32_e32 v2, 0
	s_mov_b32 s41, 0
	s_delay_alu instid0(VALU_DEP_1)
	v_dual_mov_b32 v3, v2 :: v_dual_mov_b32 v4, v2
	v_mov_b32_e32 v5, v2
	global_store_b128 v[0:1], v[2:5], off
.LBB54_2770:
	s_and_not1_b32 vcc_lo, exec_lo, s41
	s_cbranch_vccnz .LBB54_2772
; %bb.2771:
	s_wait_loadcnt 0x0
	v_mov_b64_e32 v[2:3], 0
	global_store_b64 v[0:1], v[2:3], off
.LBB54_2772:
	s_mov_b32 s41, 0
.LBB54_2773:
	s_delay_alu instid0(SALU_CYCLE_1)
	s_and_not1_b32 vcc_lo, exec_lo, s41
	s_cbranch_vccnz .LBB54_2775
; %bb.2774:
	s_wait_loadcnt 0x0
	v_mov_b32_e32 v2, 0
	global_store_b32 v[0:1], v2, off
.LBB54_2775:
	s_mov_b32 s41, 0
.LBB54_2776:
	s_delay_alu instid0(SALU_CYCLE_1)
	s_and_not1_b32 vcc_lo, exec_lo, s41
	s_cbranch_vccnz .LBB54_2785
; %bb.2777:
	s_sext_i32_i16 s42, s0
	s_mov_b32 s41, -1
	s_cmp_lt_i32 s42, 6
	s_cbranch_scc1 .LBB54_2783
; %bb.2778:
	s_cmp_gt_i32 s42, 6
	s_cbranch_scc0 .LBB54_2780
; %bb.2779:
	s_wait_loadcnt 0x0
	v_mov_b64_e32 v[2:3], 0
	s_mov_b32 s41, 0
	global_store_b64 v[0:1], v[2:3], off
.LBB54_2780:
	s_and_not1_b32 vcc_lo, exec_lo, s41
	s_cbranch_vccnz .LBB54_2782
; %bb.2781:
	s_wait_loadcnt 0x0
	v_mov_b32_e32 v2, 0
	global_store_b32 v[0:1], v2, off
.LBB54_2782:
	s_mov_b32 s41, 0
.LBB54_2783:
	s_delay_alu instid0(SALU_CYCLE_1)
	s_and_not1_b32 vcc_lo, exec_lo, s41
	s_cbranch_vccnz .LBB54_2785
; %bb.2784:
	s_wait_loadcnt 0x0
	v_mov_b32_e32 v2, 0
	global_store_b16 v[0:1], v2, off
.LBB54_2785:
	s_mov_b32 s41, 0
.LBB54_2786:
	s_delay_alu instid0(SALU_CYCLE_1)
	s_and_not1_b32 vcc_lo, exec_lo, s41
	s_cbranch_vccnz .LBB54_2802
; %bb.2787:
	s_sext_i32_i16 s42, s0
	s_mov_b32 s41, -1
	s_cmp_lt_i32 s42, 2
	s_cbranch_scc1 .LBB54_2797
; %bb.2788:
	s_cmp_lt_i32 s42, 3
	s_cbranch_scc1 .LBB54_2794
; %bb.2789:
	s_cmp_gt_i32 s42, 3
	s_cbranch_scc0 .LBB54_2791
; %bb.2790:
	s_wait_loadcnt 0x0
	v_mov_b64_e32 v[2:3], 0
	s_mov_b32 s41, 0
	global_store_b64 v[0:1], v[2:3], off
.LBB54_2791:
	s_and_not1_b32 vcc_lo, exec_lo, s41
	s_cbranch_vccnz .LBB54_2793
; %bb.2792:
	s_wait_loadcnt 0x0
	v_mov_b32_e32 v2, 0
	global_store_b32 v[0:1], v2, off
.LBB54_2793:
	s_mov_b32 s41, 0
.LBB54_2794:
	s_delay_alu instid0(SALU_CYCLE_1)
	s_and_not1_b32 vcc_lo, exec_lo, s41
	s_cbranch_vccnz .LBB54_2796
; %bb.2795:
	s_wait_loadcnt 0x0
	v_mov_b32_e32 v2, 0
	global_store_b16 v[0:1], v2, off
.LBB54_2796:
	s_mov_b32 s41, 0
.LBB54_2797:
	s_delay_alu instid0(SALU_CYCLE_1)
	s_and_not1_b32 vcc_lo, exec_lo, s41
	s_cbranch_vccnz .LBB54_2802
; %bb.2798:
	s_sext_i32_i16 s0, s0
	s_delay_alu instid0(SALU_CYCLE_1)
	s_cmp_gt_i32 s0, 0
	s_mov_b32 s0, -1
	s_cbranch_scc0 .LBB54_2800
; %bb.2799:
	s_wait_loadcnt 0x0
	v_mov_b32_e32 v2, 0
	s_mov_b32 s0, 0
	global_store_b8 v[0:1], v2, off
.LBB54_2800:
	s_and_not1_b32 vcc_lo, exec_lo, s0
	s_cbranch_vccnz .LBB54_2802
; %bb.2801:
	s_wait_loadcnt 0x0
	v_mov_b32_e32 v2, 0
	global_store_b8 v[0:1], v2, off
.LBB54_2802:
	s_wait_xcnt 0x0
	s_or_b32 exec_lo, exec_lo, s40
	s_delay_alu instid0(SALU_CYCLE_1)
	s_and_b32 s52, s1, exec_lo
                                        ; implicit-def: $vgpr22
.LBB54_2803:
	s_or_saveexec_b32 s53, s35
	s_mov_b32 s35, 0
                                        ; implicit-def: $sgpr0
                                        ; implicit-def: $vgpr14_vgpr15
	s_xor_b32 exec_lo, exec_lo, s53
	s_cbranch_execz .LBB54_3436
; %bb.2804:
	s_wait_loadcnt 0x0
	v_mul_lo_u32 v0, s17, v22
	s_and_b32 s55, s39, 0xff
	s_delay_alu instid0(SALU_CYCLE_1) | instskip(NEXT) | instid1(VALU_DEP_1)
	s_cmp_lt_i32 s55, 11
	v_ashrrev_i32_e32 v1, 31, v0
	s_delay_alu instid0(VALU_DEP_1)
	v_add_nc_u64_e32 v[2:3], s[6:7], v[0:1]
	s_cbranch_scc1 .LBB54_2811
; %bb.2805:
	s_and_b32 s0, 0xffff, s55
	s_delay_alu instid0(SALU_CYCLE_1)
	s_cmp_gt_i32 s0, 25
	s_cbranch_scc0 .LBB54_2813
; %bb.2806:
	s_cmp_gt_i32 s0, 28
	s_cbranch_scc0 .LBB54_2814
; %bb.2807:
	s_cmp_gt_i32 s0, 43
	s_cbranch_scc0 .LBB54_2815
; %bb.2808:
	s_cmp_gt_i32 s0, 45
	s_cbranch_scc0 .LBB54_2816
; %bb.2809:
	s_cmp_eq_u32 s0, 46
	s_mov_b32 s33, 0
	s_cbranch_scc0 .LBB54_2817
; %bb.2810:
	global_load_b32 v1, v[2:3], off
	s_mov_b32 s1, 0
	s_mov_b32 s39, -1
	s_wait_loadcnt 0x0
	v_lshlrev_b32_e32 v1, 16, v1
	s_delay_alu instid0(VALU_DEP_1)
	v_cvt_i32_f32_e32 v1, v1
	s_branch .LBB54_2819
.LBB54_2811:
	s_mov_b32 s39, 0
	s_mov_b32 s33, s52
                                        ; implicit-def: $vgpr1
	s_cbranch_execnz .LBB54_2877
.LBB54_2812:
	s_and_not1_b32 vcc_lo, exec_lo, s39
	s_cbranch_vccz .LBB54_2922
	s_branch .LBB54_3434
.LBB54_2813:
	s_mov_b32 s39, 0
	s_mov_b32 s1, 0
                                        ; implicit-def: $vgpr1
	s_cbranch_execnz .LBB54_2844
	s_branch .LBB54_2873
.LBB54_2814:
	s_mov_b32 s39, 0
	s_mov_b32 s1, 0
                                        ; implicit-def: $vgpr1
	s_cbranch_execz .LBB54_2843
	s_branch .LBB54_2828
.LBB54_2815:
	s_mov_b32 s39, 0
	s_mov_b32 s1, 0
                                        ; implicit-def: $vgpr1
	s_cbranch_execnz .LBB54_2824
	s_branch .LBB54_2827
.LBB54_2816:
	s_mov_b32 s33, -1
	s_mov_b32 s39, 0
	s_mov_b32 s1, 0
	s_branch .LBB54_2818
.LBB54_2817:
	s_mov_b32 s1, -1
	s_mov_b32 s39, 0
.LBB54_2818:
                                        ; implicit-def: $vgpr1
.LBB54_2819:
	s_and_b32 vcc_lo, exec_lo, s33
	s_cbranch_vccz .LBB54_2822
; %bb.2820:
	s_cmp_eq_u32 s0, 44
	s_cbranch_scc0 .LBB54_2823
; %bb.2821:
	global_load_u8 v1, v[2:3], off
	s_mov_b32 s1, 0
	s_mov_b32 s39, -1
	s_wait_loadcnt 0x0
	v_lshlrev_b32_e32 v4, 23, v1
	v_cmp_ne_u32_e32 vcc_lo, 0, v1
	s_delay_alu instid0(VALU_DEP_2) | instskip(NEXT) | instid1(VALU_DEP_1)
	v_cvt_i32_f32_e32 v4, v4
	v_cndmask_b32_e32 v1, 0, v4, vcc_lo
.LBB54_2822:
	s_branch .LBB54_2827
.LBB54_2823:
	s_mov_b32 s1, -1
                                        ; implicit-def: $vgpr1
	s_branch .LBB54_2827
.LBB54_2824:
	s_cmp_eq_u32 s0, 29
	s_cbranch_scc0 .LBB54_2826
; %bb.2825:
	global_load_b32 v1, v[2:3], off
	s_mov_b32 s1, 0
	s_mov_b32 s39, -1
	s_branch .LBB54_2827
.LBB54_2826:
	s_mov_b32 s1, -1
                                        ; implicit-def: $vgpr1
.LBB54_2827:
	s_branch .LBB54_2843
.LBB54_2828:
	s_cmp_lt_i32 s0, 27
	s_cbranch_scc1 .LBB54_2831
; %bb.2829:
	s_cmp_gt_i32 s0, 27
	s_cbranch_scc0 .LBB54_2832
; %bb.2830:
	s_wait_loadcnt 0x0
	global_load_b32 v1, v[2:3], off
	s_mov_b32 s33, 0
	s_branch .LBB54_2833
.LBB54_2831:
	s_mov_b32 s33, -1
                                        ; implicit-def: $vgpr1
	s_branch .LBB54_2836
.LBB54_2832:
	s_mov_b32 s33, -1
                                        ; implicit-def: $vgpr1
.LBB54_2833:
	s_delay_alu instid0(SALU_CYCLE_1)
	s_and_not1_b32 vcc_lo, exec_lo, s33
	s_cbranch_vccnz .LBB54_2835
; %bb.2834:
	s_wait_loadcnt 0x0
	global_load_u16 v1, v[2:3], off
.LBB54_2835:
	s_mov_b32 s33, 0
.LBB54_2836:
	s_delay_alu instid0(SALU_CYCLE_1)
	s_and_not1_b32 vcc_lo, exec_lo, s33
	s_cbranch_vccnz .LBB54_2842
; %bb.2837:
	global_load_u8 v4, v[2:3], off
	s_mov_b32 s39, 0
	s_mov_b32 s33, exec_lo
	s_wait_loadcnt 0x0
	v_cmpx_lt_i16_e32 0x7f, v4
	s_xor_b32 s33, exec_lo, s33
	s_cbranch_execz .LBB54_2853
; %bb.2838:
	v_cmp_ne_u16_e32 vcc_lo, 0x80, v4
	s_and_b32 s39, vcc_lo, exec_lo
	s_and_not1_saveexec_b32 s33, s33
	s_cbranch_execnz .LBB54_2854
.LBB54_2839:
	s_or_b32 exec_lo, exec_lo, s33
	v_mov_b32_e32 v1, 0
	s_and_saveexec_b32 s33, s39
	s_cbranch_execz .LBB54_2841
.LBB54_2840:
	v_and_b32_e32 v1, 0xffff, v4
	s_delay_alu instid0(VALU_DEP_1) | instskip(SKIP_1) | instid1(VALU_DEP_2)
	v_and_b32_e32 v5, 7, v1
	v_bfe_u32 v8, v1, 3, 4
	v_clz_i32_u32_e32 v6, v5
	s_delay_alu instid0(VALU_DEP_2) | instskip(NEXT) | instid1(VALU_DEP_2)
	v_cmp_eq_u32_e32 vcc_lo, 0, v8
	v_min_u32_e32 v6, 32, v6
	s_delay_alu instid0(VALU_DEP_1) | instskip(NEXT) | instid1(VALU_DEP_1)
	v_subrev_nc_u32_e32 v7, 28, v6
	v_dual_lshlrev_b32 v1, v7, v1 :: v_dual_sub_nc_u32 v6, 29, v6
	s_delay_alu instid0(VALU_DEP_1) | instskip(NEXT) | instid1(VALU_DEP_1)
	v_dual_lshlrev_b32 v4, 24, v4 :: v_dual_bitop2_b32 v1, 7, v1 bitop3:0x40
	v_dual_cndmask_b32 v6, v8, v6 :: v_dual_cndmask_b32 v1, v5, v1
	s_delay_alu instid0(VALU_DEP_2) | instskip(NEXT) | instid1(VALU_DEP_2)
	v_and_b32_e32 v4, 0x80000000, v4
	v_lshl_add_u32 v5, v6, 23, 0x3b800000
	s_delay_alu instid0(VALU_DEP_3) | instskip(NEXT) | instid1(VALU_DEP_1)
	v_lshlrev_b32_e32 v1, 20, v1
	v_or3_b32 v1, v4, v5, v1
	s_delay_alu instid0(VALU_DEP_1)
	v_cvt_i32_f32_e32 v1, v1
.LBB54_2841:
	s_or_b32 exec_lo, exec_lo, s33
.LBB54_2842:
	s_mov_b32 s39, -1
.LBB54_2843:
	s_branch .LBB54_2873
.LBB54_2844:
	s_cmp_gt_i32 s0, 22
	s_cbranch_scc0 .LBB54_2852
; %bb.2845:
	s_cmp_lt_i32 s0, 24
	s_cbranch_scc1 .LBB54_2855
; %bb.2846:
	s_cmp_gt_i32 s0, 24
	s_cbranch_scc0 .LBB54_2856
; %bb.2847:
	global_load_u8 v4, v[2:3], off
	s_mov_b32 s33, exec_lo
	s_wait_loadcnt 0x0
	v_cmpx_lt_i16_e32 0x7f, v4
	s_xor_b32 s33, exec_lo, s33
	s_cbranch_execz .LBB54_2867
; %bb.2848:
	v_cmp_ne_u16_e32 vcc_lo, 0x80, v4
	s_and_b32 s35, vcc_lo, exec_lo
	s_and_not1_saveexec_b32 s33, s33
	s_cbranch_execnz .LBB54_2868
.LBB54_2849:
	s_or_b32 exec_lo, exec_lo, s33
	v_mov_b32_e32 v1, 0
	s_and_saveexec_b32 s33, s35
	s_cbranch_execz .LBB54_2851
.LBB54_2850:
	v_and_b32_e32 v1, 0xffff, v4
	s_delay_alu instid0(VALU_DEP_1) | instskip(SKIP_1) | instid1(VALU_DEP_2)
	v_and_b32_e32 v5, 3, v1
	v_bfe_u32 v8, v1, 2, 5
	v_clz_i32_u32_e32 v6, v5
	s_delay_alu instid0(VALU_DEP_2) | instskip(NEXT) | instid1(VALU_DEP_2)
	v_cmp_eq_u32_e32 vcc_lo, 0, v8
	v_min_u32_e32 v6, 32, v6
	s_delay_alu instid0(VALU_DEP_1) | instskip(NEXT) | instid1(VALU_DEP_1)
	v_subrev_nc_u32_e32 v7, 29, v6
	v_dual_lshlrev_b32 v1, v7, v1 :: v_dual_sub_nc_u32 v6, 30, v6
	s_delay_alu instid0(VALU_DEP_1) | instskip(NEXT) | instid1(VALU_DEP_1)
	v_dual_lshlrev_b32 v4, 24, v4 :: v_dual_bitop2_b32 v1, 3, v1 bitop3:0x40
	v_dual_cndmask_b32 v6, v8, v6 :: v_dual_cndmask_b32 v1, v5, v1
	s_delay_alu instid0(VALU_DEP_2) | instskip(NEXT) | instid1(VALU_DEP_2)
	v_and_b32_e32 v4, 0x80000000, v4
	v_lshl_add_u32 v5, v6, 23, 0x37800000
	s_delay_alu instid0(VALU_DEP_3) | instskip(NEXT) | instid1(VALU_DEP_1)
	v_lshlrev_b32_e32 v1, 21, v1
	v_or3_b32 v1, v4, v5, v1
	s_delay_alu instid0(VALU_DEP_1)
	v_cvt_i32_f32_e32 v1, v1
.LBB54_2851:
	s_or_b32 exec_lo, exec_lo, s33
	s_mov_b32 s33, 0
	s_branch .LBB54_2857
.LBB54_2852:
                                        ; implicit-def: $vgpr1
	s_mov_b32 s35, 0
	s_branch .LBB54_2863
.LBB54_2853:
	s_and_not1_saveexec_b32 s33, s33
	s_cbranch_execz .LBB54_2839
.LBB54_2854:
	v_cmp_ne_u16_e32 vcc_lo, 0, v4
	s_and_not1_b32 s39, s39, exec_lo
	s_and_b32 s40, vcc_lo, exec_lo
	s_delay_alu instid0(SALU_CYCLE_1)
	s_or_b32 s39, s39, s40
	s_or_b32 exec_lo, exec_lo, s33
	v_mov_b32_e32 v1, 0
	s_and_saveexec_b32 s33, s39
	s_cbranch_execnz .LBB54_2840
	s_branch .LBB54_2841
.LBB54_2855:
	s_mov_b32 s33, -1
                                        ; implicit-def: $vgpr1
	s_branch .LBB54_2860
.LBB54_2856:
	s_mov_b32 s33, -1
                                        ; implicit-def: $vgpr1
.LBB54_2857:
	s_delay_alu instid0(SALU_CYCLE_1)
	s_and_b32 vcc_lo, exec_lo, s33
	s_cbranch_vccz .LBB54_2859
; %bb.2858:
	s_wait_loadcnt 0x0
	global_load_u8 v1, v[2:3], off
	s_wait_loadcnt 0x0
	v_lshlrev_b32_e32 v1, 24, v1
	s_delay_alu instid0(VALU_DEP_1) | instskip(NEXT) | instid1(VALU_DEP_1)
	v_and_b32_e32 v4, 0x7f000000, v1
	v_clz_i32_u32_e32 v5, v4
	v_cmp_ne_u32_e32 vcc_lo, 0, v4
	v_add_nc_u32_e32 v7, 0x1000000, v4
	s_delay_alu instid0(VALU_DEP_3) | instskip(NEXT) | instid1(VALU_DEP_1)
	v_min_u32_e32 v5, 32, v5
	v_sub_nc_u32_e64 v5, v5, 4 clamp
	s_delay_alu instid0(VALU_DEP_1) | instskip(NEXT) | instid1(VALU_DEP_1)
	v_dual_lshlrev_b32 v6, v5, v4 :: v_dual_lshlrev_b32 v5, 23, v5
	v_lshrrev_b32_e32 v6, 4, v6
	s_delay_alu instid0(VALU_DEP_1) | instskip(NEXT) | instid1(VALU_DEP_1)
	v_dual_sub_nc_u32 v5, v6, v5 :: v_dual_ashrrev_i32 v6, 8, v7
	v_add_nc_u32_e32 v5, 0x3c000000, v5
	s_delay_alu instid0(VALU_DEP_1) | instskip(NEXT) | instid1(VALU_DEP_1)
	v_and_or_b32 v5, 0x7f800000, v6, v5
	v_cndmask_b32_e32 v4, 0, v5, vcc_lo
	s_delay_alu instid0(VALU_DEP_1) | instskip(NEXT) | instid1(VALU_DEP_1)
	v_and_or_b32 v1, 0x80000000, v1, v4
	v_cvt_i32_f32_e32 v1, v1
.LBB54_2859:
	s_mov_b32 s33, 0
.LBB54_2860:
	s_delay_alu instid0(SALU_CYCLE_1)
	s_and_not1_b32 vcc_lo, exec_lo, s33
	s_cbranch_vccnz .LBB54_2862
; %bb.2861:
	s_wait_loadcnt 0x0
	global_load_u8 v1, v[2:3], off
	s_wait_loadcnt 0x0
	v_lshlrev_b32_e32 v4, 25, v1
	v_lshlrev_b16 v1, 8, v1
	s_delay_alu instid0(VALU_DEP_1) | instskip(SKIP_1) | instid1(VALU_DEP_2)
	v_and_or_b32 v6, 0x7f00, v1, 0.5
	v_bfe_i32 v1, v1, 0, 16
	v_dual_add_f32 v6, -0.5, v6 :: v_dual_lshrrev_b32 v5, 4, v4
	v_cmp_gt_u32_e32 vcc_lo, 0x8000000, v4
	s_delay_alu instid0(VALU_DEP_2) | instskip(NEXT) | instid1(VALU_DEP_1)
	v_or_b32_e32 v5, 0x70000000, v5
	v_mul_f32_e32 v5, 0x7800000, v5
	s_delay_alu instid0(VALU_DEP_1) | instskip(NEXT) | instid1(VALU_DEP_1)
	v_cndmask_b32_e32 v4, v5, v6, vcc_lo
	v_and_or_b32 v1, 0x80000000, v1, v4
	s_delay_alu instid0(VALU_DEP_1)
	v_cvt_i32_f32_e32 v1, v1
.LBB54_2862:
	s_mov_b32 s39, -1
	s_mov_b32 s35, 0
	s_cbranch_execnz .LBB54_2873
.LBB54_2863:
	s_cmp_gt_i32 s0, 14
	s_cbranch_scc0 .LBB54_2866
; %bb.2864:
	s_cmp_eq_u32 s0, 15
	s_cbranch_scc0 .LBB54_2869
; %bb.2865:
	s_wait_loadcnt 0x0
	global_load_u16 v1, v[2:3], off
	s_mov_b32 s1, 0
	s_mov_b32 s39, -1
	s_wait_loadcnt 0x0
	v_lshlrev_b32_e32 v1, 16, v1
	s_delay_alu instid0(VALU_DEP_1)
	v_cvt_i32_f32_e32 v1, v1
	s_branch .LBB54_2870
.LBB54_2866:
	s_mov_b32 s33, -1
                                        ; implicit-def: $vgpr1
	s_branch .LBB54_2871
.LBB54_2867:
	s_and_not1_saveexec_b32 s33, s33
	s_cbranch_execz .LBB54_2849
.LBB54_2868:
	v_cmp_ne_u16_e32 vcc_lo, 0, v4
	s_and_not1_b32 s35, s35, exec_lo
	s_and_b32 s39, vcc_lo, exec_lo
	s_delay_alu instid0(SALU_CYCLE_1)
	s_or_b32 s35, s35, s39
	s_or_b32 exec_lo, exec_lo, s33
	v_mov_b32_e32 v1, 0
	s_and_saveexec_b32 s33, s35
	s_cbranch_execnz .LBB54_2850
	s_branch .LBB54_2851
.LBB54_2869:
	s_mov_b32 s1, -1
                                        ; implicit-def: $vgpr1
.LBB54_2870:
	s_mov_b32 s33, 0
.LBB54_2871:
	s_delay_alu instid0(SALU_CYCLE_1)
	s_and_b32 vcc_lo, exec_lo, s33
	s_cbranch_vccz .LBB54_2873
; %bb.2872:
	s_cmp_lg_u32 s0, 11
	s_mov_b32 s35, -1
	s_cselect_b32 s1, -1, 0
.LBB54_2873:
	s_delay_alu instid0(SALU_CYCLE_1)
	s_and_b32 vcc_lo, exec_lo, s1
	s_mov_b32 s33, s52
	s_cbranch_vccnz .LBB54_2934
; %bb.2874:
	s_and_not1_b32 vcc_lo, exec_lo, s35
	s_cbranch_vccnz .LBB54_2876
.LBB54_2875:
	s_wait_loadcnt 0x0
	global_load_u8 v1, v[2:3], off
	s_mov_b32 s39, -1
	s_wait_loadcnt 0x0
	v_cmp_ne_u16_e32 vcc_lo, 0, v1
	v_cndmask_b32_e64 v1, 0, 1, vcc_lo
.LBB54_2876:
	s_branch .LBB54_2812
.LBB54_2877:
	s_and_b32 s0, 0xffff, s55
	s_delay_alu instid0(SALU_CYCLE_1)
	s_cmp_lt_i32 s0, 5
	s_cbranch_scc1 .LBB54_2882
; %bb.2878:
	s_cmp_lt_i32 s0, 8
	s_cbranch_scc1 .LBB54_2883
; %bb.2879:
	;; [unrolled: 3-line block ×3, first 2 shown]
	s_cmp_gt_i32 s0, 9
	s_cbranch_scc0 .LBB54_2885
; %bb.2881:
	global_load_b64 v[4:5], v[2:3], off
	s_mov_b32 s1, 0
	s_wait_loadcnt 0x0
	v_cvt_i32_f64_e32 v1, v[4:5]
	s_branch .LBB54_2886
.LBB54_2882:
                                        ; implicit-def: $vgpr1
	s_branch .LBB54_2903
.LBB54_2883:
                                        ; implicit-def: $vgpr1
	s_branch .LBB54_2892
.LBB54_2884:
	s_mov_b32 s1, -1
                                        ; implicit-def: $vgpr1
	s_branch .LBB54_2889
.LBB54_2885:
	s_mov_b32 s1, -1
                                        ; implicit-def: $vgpr1
.LBB54_2886:
	s_delay_alu instid0(SALU_CYCLE_1)
	s_and_not1_b32 vcc_lo, exec_lo, s1
	s_cbranch_vccnz .LBB54_2888
; %bb.2887:
	s_wait_loadcnt 0x0
	global_load_b32 v1, v[2:3], off
	s_wait_loadcnt 0x0
	v_cvt_i32_f32_e32 v1, v1
.LBB54_2888:
	s_mov_b32 s1, 0
.LBB54_2889:
	s_delay_alu instid0(SALU_CYCLE_1)
	s_and_not1_b32 vcc_lo, exec_lo, s1
	s_cbranch_vccnz .LBB54_2891
; %bb.2890:
	s_wait_loadcnt 0x0
	global_load_b32 v1, v[2:3], off
	s_wait_loadcnt 0x0
	v_cvt_f32_f16_e32 v1, v1
	s_delay_alu instid0(VALU_DEP_1)
	v_cvt_i32_f32_e32 v1, v1
.LBB54_2891:
	s_cbranch_execnz .LBB54_2902
.LBB54_2892:
	s_cmp_lt_i32 s0, 6
	s_cbranch_scc1 .LBB54_2895
; %bb.2893:
	s_cmp_gt_i32 s0, 6
	s_cbranch_scc0 .LBB54_2896
; %bb.2894:
	global_load_b64 v[4:5], v[2:3], off
	s_mov_b32 s1, 0
	s_wait_loadcnt 0x0
	v_cvt_i32_f64_e32 v1, v[4:5]
	s_branch .LBB54_2897
.LBB54_2895:
	s_mov_b32 s1, -1
                                        ; implicit-def: $vgpr1
	s_branch .LBB54_2900
.LBB54_2896:
	s_mov_b32 s1, -1
                                        ; implicit-def: $vgpr1
.LBB54_2897:
	s_delay_alu instid0(SALU_CYCLE_1)
	s_and_not1_b32 vcc_lo, exec_lo, s1
	s_cbranch_vccnz .LBB54_2899
; %bb.2898:
	s_wait_loadcnt 0x0
	global_load_b32 v1, v[2:3], off
	s_wait_loadcnt 0x0
	v_cvt_i32_f32_e32 v1, v1
.LBB54_2899:
	s_mov_b32 s1, 0
.LBB54_2900:
	s_delay_alu instid0(SALU_CYCLE_1)
	s_and_not1_b32 vcc_lo, exec_lo, s1
	s_cbranch_vccnz .LBB54_2902
; %bb.2901:
	s_wait_loadcnt 0x0
	global_load_u16 v1, v[2:3], off
	s_wait_loadcnt 0x0
	v_cvt_f32_f16_e32 v1, v1
	s_delay_alu instid0(VALU_DEP_1)
	v_cvt_i32_f32_e32 v1, v1
.LBB54_2902:
	s_cbranch_execnz .LBB54_2921
.LBB54_2903:
	s_cmp_lt_i32 s0, 2
	s_cbranch_scc1 .LBB54_2907
; %bb.2904:
	s_cmp_lt_i32 s0, 3
	s_cbranch_scc1 .LBB54_2908
; %bb.2905:
	s_cmp_gt_i32 s0, 3
	s_cbranch_scc0 .LBB54_2909
; %bb.2906:
	s_wait_loadcnt 0x0
	global_load_b32 v1, v[2:3], off
	s_mov_b32 s1, 0
	s_branch .LBB54_2910
.LBB54_2907:
                                        ; implicit-def: $vgpr1
	s_branch .LBB54_2916
.LBB54_2908:
	s_mov_b32 s1, -1
                                        ; implicit-def: $vgpr1
	s_branch .LBB54_2913
.LBB54_2909:
	s_mov_b32 s1, -1
                                        ; implicit-def: $vgpr1
.LBB54_2910:
	s_delay_alu instid0(SALU_CYCLE_1)
	s_and_not1_b32 vcc_lo, exec_lo, s1
	s_cbranch_vccnz .LBB54_2912
; %bb.2911:
	s_wait_loadcnt 0x0
	global_load_b32 v1, v[2:3], off
.LBB54_2912:
	s_mov_b32 s1, 0
.LBB54_2913:
	s_delay_alu instid0(SALU_CYCLE_1)
	s_and_not1_b32 vcc_lo, exec_lo, s1
	s_cbranch_vccnz .LBB54_2915
; %bb.2914:
	s_wait_loadcnt 0x0
	global_load_i16 v1, v[2:3], off
.LBB54_2915:
	s_cbranch_execnz .LBB54_2921
.LBB54_2916:
	s_cmp_gt_i32 s0, 0
	s_mov_b32 s0, 0
	s_cbranch_scc0 .LBB54_2918
; %bb.2917:
	s_wait_loadcnt 0x0
	global_load_i8 v1, v[2:3], off
	s_branch .LBB54_2919
.LBB54_2918:
	s_mov_b32 s0, -1
                                        ; implicit-def: $vgpr1
.LBB54_2919:
	s_delay_alu instid0(SALU_CYCLE_1)
	s_and_not1_b32 vcc_lo, exec_lo, s0
	s_cbranch_vccnz .LBB54_2921
; %bb.2920:
	s_wait_loadcnt 0x0
	global_load_u8 v1, v[2:3], off
.LBB54_2921:
.LBB54_2922:
	s_wait_xcnt 0x0
	v_mul_lo_u32 v2, s18, v22
	s_and_b32 s56, s25, 0xff
	s_delay_alu instid0(SALU_CYCLE_1) | instskip(NEXT) | instid1(VALU_DEP_1)
	s_cmp_lt_i32 s56, 11
	v_ashrrev_i32_e32 v3, 31, v2
	s_delay_alu instid0(VALU_DEP_1)
	v_add_nc_u64_e32 v[4:5], s[8:9], v[2:3]
	s_cbranch_scc1 .LBB54_2929
; %bb.2923:
	s_and_b32 s0, 0xffff, s56
	s_mov_b32 s25, 0
	s_cmp_gt_i32 s0, 25
	s_cbranch_scc0 .LBB54_2931
; %bb.2924:
	s_cmp_gt_i32 s0, 28
	s_cbranch_scc0 .LBB54_2932
; %bb.2925:
	;; [unrolled: 3-line block ×4, first 2 shown]
	s_cmp_eq_u32 s0, 46
	s_mov_b32 s39, 0
	s_cbranch_scc0 .LBB54_2936
; %bb.2928:
	global_load_b32 v3, v[4:5], off
	s_mov_b32 s1, 0
	s_mov_b32 s35, -1
	s_wait_loadcnt 0x0
	v_lshlrev_b32_e32 v3, 16, v3
	s_delay_alu instid0(VALU_DEP_1)
	v_cvt_i32_f32_e32 v3, v3
	s_branch .LBB54_2938
.LBB54_2929:
	s_mov_b32 s35, 0
                                        ; implicit-def: $vgpr3
	s_cbranch_execnz .LBB54_2999
.LBB54_2930:
	s_and_not1_b32 vcc_lo, exec_lo, s35
	s_cbranch_vccnz .LBB54_3434
	s_branch .LBB54_3046
.LBB54_2931:
	s_mov_b32 s35, 0
	s_mov_b32 s1, 0
                                        ; implicit-def: $vgpr3
	s_cbranch_execnz .LBB54_2965
	s_branch .LBB54_2995
.LBB54_2932:
	s_mov_b32 s39, -1
	s_mov_b32 s35, 0
	s_mov_b32 s1, 0
                                        ; implicit-def: $vgpr3
	s_branch .LBB54_2948
.LBB54_2933:
	s_mov_b32 s39, -1
	s_mov_b32 s35, 0
	s_mov_b32 s1, 0
                                        ; implicit-def: $vgpr3
	s_branch .LBB54_2943
.LBB54_2934:
	s_or_b32 s33, s52, exec_lo
	s_trap 2
	s_cbranch_execz .LBB54_2875
	s_branch .LBB54_2876
.LBB54_2935:
	s_mov_b32 s39, -1
	s_mov_b32 s35, 0
	s_mov_b32 s1, 0
	s_branch .LBB54_2937
.LBB54_2936:
	s_mov_b32 s1, -1
	s_mov_b32 s35, 0
.LBB54_2937:
                                        ; implicit-def: $vgpr3
.LBB54_2938:
	s_and_b32 vcc_lo, exec_lo, s39
	s_cbranch_vccz .LBB54_2942
; %bb.2939:
	s_cmp_eq_u32 s0, 44
	s_cbranch_scc0 .LBB54_2941
; %bb.2940:
	global_load_u8 v3, v[4:5], off
	s_mov_b32 s1, 0
	s_mov_b32 s35, -1
	s_wait_loadcnt 0x0
	v_lshlrev_b32_e32 v6, 23, v3
	v_cmp_ne_u32_e32 vcc_lo, 0, v3
	s_delay_alu instid0(VALU_DEP_2) | instskip(NEXT) | instid1(VALU_DEP_1)
	v_cvt_i32_f32_e32 v6, v6
	v_cndmask_b32_e32 v3, 0, v6, vcc_lo
	s_branch .LBB54_2942
.LBB54_2941:
	s_mov_b32 s1, -1
                                        ; implicit-def: $vgpr3
.LBB54_2942:
	s_mov_b32 s39, 0
.LBB54_2943:
	s_delay_alu instid0(SALU_CYCLE_1)
	s_and_b32 vcc_lo, exec_lo, s39
	s_cbranch_vccz .LBB54_2947
; %bb.2944:
	s_cmp_eq_u32 s0, 29
	s_cbranch_scc0 .LBB54_2946
; %bb.2945:
	global_load_b32 v3, v[4:5], off
	s_mov_b32 s1, 0
	s_mov_b32 s35, -1
	s_branch .LBB54_2947
.LBB54_2946:
	s_mov_b32 s1, -1
                                        ; implicit-def: $vgpr3
.LBB54_2947:
	s_mov_b32 s39, 0
.LBB54_2948:
	s_delay_alu instid0(SALU_CYCLE_1)
	s_and_b32 vcc_lo, exec_lo, s39
	s_cbranch_vccz .LBB54_2964
; %bb.2949:
	s_cmp_lt_i32 s0, 27
	s_cbranch_scc1 .LBB54_2952
; %bb.2950:
	s_cmp_gt_i32 s0, 27
	s_cbranch_scc0 .LBB54_2953
; %bb.2951:
	s_wait_loadcnt 0x0
	global_load_b32 v3, v[4:5], off
	s_mov_b32 s35, 0
	s_branch .LBB54_2954
.LBB54_2952:
	s_mov_b32 s35, -1
                                        ; implicit-def: $vgpr3
	s_branch .LBB54_2957
.LBB54_2953:
	s_mov_b32 s35, -1
                                        ; implicit-def: $vgpr3
.LBB54_2954:
	s_delay_alu instid0(SALU_CYCLE_1)
	s_and_not1_b32 vcc_lo, exec_lo, s35
	s_cbranch_vccnz .LBB54_2956
; %bb.2955:
	s_wait_loadcnt 0x0
	global_load_u16 v3, v[4:5], off
.LBB54_2956:
	s_mov_b32 s35, 0
.LBB54_2957:
	s_delay_alu instid0(SALU_CYCLE_1)
	s_and_not1_b32 vcc_lo, exec_lo, s35
	s_cbranch_vccnz .LBB54_2963
; %bb.2958:
	global_load_u8 v6, v[4:5], off
	s_mov_b32 s39, 0
	s_mov_b32 s35, exec_lo
	s_wait_loadcnt 0x0
	v_cmpx_lt_i16_e32 0x7f, v6
	s_xor_b32 s35, exec_lo, s35
	s_cbranch_execz .LBB54_2974
; %bb.2959:
	v_cmp_ne_u16_e32 vcc_lo, 0x80, v6
	s_and_b32 s39, vcc_lo, exec_lo
	s_and_not1_saveexec_b32 s35, s35
	s_cbranch_execnz .LBB54_2975
.LBB54_2960:
	s_or_b32 exec_lo, exec_lo, s35
	v_mov_b32_e32 v3, 0
	s_and_saveexec_b32 s35, s39
	s_cbranch_execz .LBB54_2962
.LBB54_2961:
	v_and_b32_e32 v3, 0xffff, v6
	s_delay_alu instid0(VALU_DEP_1) | instskip(SKIP_1) | instid1(VALU_DEP_2)
	v_and_b32_e32 v7, 7, v3
	v_bfe_u32 v10, v3, 3, 4
	v_clz_i32_u32_e32 v8, v7
	s_delay_alu instid0(VALU_DEP_2) | instskip(NEXT) | instid1(VALU_DEP_2)
	v_cmp_eq_u32_e32 vcc_lo, 0, v10
	v_min_u32_e32 v8, 32, v8
	s_delay_alu instid0(VALU_DEP_1) | instskip(NEXT) | instid1(VALU_DEP_1)
	v_subrev_nc_u32_e32 v9, 28, v8
	v_dual_lshlrev_b32 v3, v9, v3 :: v_dual_sub_nc_u32 v8, 29, v8
	s_delay_alu instid0(VALU_DEP_1) | instskip(NEXT) | instid1(VALU_DEP_1)
	v_dual_lshlrev_b32 v6, 24, v6 :: v_dual_bitop2_b32 v3, 7, v3 bitop3:0x40
	v_dual_cndmask_b32 v8, v10, v8 :: v_dual_cndmask_b32 v3, v7, v3
	s_delay_alu instid0(VALU_DEP_2) | instskip(NEXT) | instid1(VALU_DEP_2)
	v_and_b32_e32 v6, 0x80000000, v6
	v_lshl_add_u32 v7, v8, 23, 0x3b800000
	s_delay_alu instid0(VALU_DEP_3) | instskip(NEXT) | instid1(VALU_DEP_1)
	v_lshlrev_b32_e32 v3, 20, v3
	v_or3_b32 v3, v6, v7, v3
	s_delay_alu instid0(VALU_DEP_1)
	v_cvt_i32_f32_e32 v3, v3
.LBB54_2962:
	s_or_b32 exec_lo, exec_lo, s35
.LBB54_2963:
	s_mov_b32 s35, -1
.LBB54_2964:
	s_branch .LBB54_2995
.LBB54_2965:
	s_cmp_gt_i32 s0, 22
	s_cbranch_scc0 .LBB54_2973
; %bb.2966:
	s_cmp_lt_i32 s0, 24
	s_cbranch_scc1 .LBB54_2976
; %bb.2967:
	s_cmp_gt_i32 s0, 24
	s_cbranch_scc0 .LBB54_2977
; %bb.2968:
	global_load_u8 v6, v[4:5], off
	s_mov_b32 s35, 0
	s_mov_b32 s25, exec_lo
	s_wait_loadcnt 0x0
	v_cmpx_lt_i16_e32 0x7f, v6
	s_xor_b32 s25, exec_lo, s25
	s_cbranch_execz .LBB54_2989
; %bb.2969:
	v_cmp_ne_u16_e32 vcc_lo, 0x80, v6
	s_and_b32 s35, vcc_lo, exec_lo
	s_and_not1_saveexec_b32 s25, s25
	s_cbranch_execnz .LBB54_2990
.LBB54_2970:
	s_or_b32 exec_lo, exec_lo, s25
	v_mov_b32_e32 v3, 0
	s_and_saveexec_b32 s25, s35
	s_cbranch_execz .LBB54_2972
.LBB54_2971:
	v_and_b32_e32 v3, 0xffff, v6
	s_delay_alu instid0(VALU_DEP_1) | instskip(SKIP_1) | instid1(VALU_DEP_2)
	v_and_b32_e32 v7, 3, v3
	v_bfe_u32 v10, v3, 2, 5
	v_clz_i32_u32_e32 v8, v7
	s_delay_alu instid0(VALU_DEP_2) | instskip(NEXT) | instid1(VALU_DEP_2)
	v_cmp_eq_u32_e32 vcc_lo, 0, v10
	v_min_u32_e32 v8, 32, v8
	s_delay_alu instid0(VALU_DEP_1) | instskip(NEXT) | instid1(VALU_DEP_1)
	v_subrev_nc_u32_e32 v9, 29, v8
	v_dual_lshlrev_b32 v3, v9, v3 :: v_dual_sub_nc_u32 v8, 30, v8
	s_delay_alu instid0(VALU_DEP_1) | instskip(NEXT) | instid1(VALU_DEP_1)
	v_dual_lshlrev_b32 v6, 24, v6 :: v_dual_bitop2_b32 v3, 3, v3 bitop3:0x40
	v_dual_cndmask_b32 v8, v10, v8 :: v_dual_cndmask_b32 v3, v7, v3
	s_delay_alu instid0(VALU_DEP_2) | instskip(NEXT) | instid1(VALU_DEP_2)
	v_and_b32_e32 v6, 0x80000000, v6
	v_lshl_add_u32 v7, v8, 23, 0x37800000
	s_delay_alu instid0(VALU_DEP_3) | instskip(NEXT) | instid1(VALU_DEP_1)
	v_lshlrev_b32_e32 v3, 21, v3
	v_or3_b32 v3, v6, v7, v3
	s_delay_alu instid0(VALU_DEP_1)
	v_cvt_i32_f32_e32 v3, v3
.LBB54_2972:
	s_or_b32 exec_lo, exec_lo, s25
	s_mov_b32 s25, 0
	s_branch .LBB54_2978
.LBB54_2973:
	s_mov_b32 s25, -1
                                        ; implicit-def: $vgpr3
	s_branch .LBB54_2984
.LBB54_2974:
	s_and_not1_saveexec_b32 s35, s35
	s_cbranch_execz .LBB54_2960
.LBB54_2975:
	v_cmp_ne_u16_e32 vcc_lo, 0, v6
	s_and_not1_b32 s39, s39, exec_lo
	s_and_b32 s40, vcc_lo, exec_lo
	s_delay_alu instid0(SALU_CYCLE_1)
	s_or_b32 s39, s39, s40
	s_or_b32 exec_lo, exec_lo, s35
	v_mov_b32_e32 v3, 0
	s_and_saveexec_b32 s35, s39
	s_cbranch_execnz .LBB54_2961
	s_branch .LBB54_2962
.LBB54_2976:
	s_mov_b32 s25, -1
                                        ; implicit-def: $vgpr3
	s_branch .LBB54_2981
.LBB54_2977:
	s_mov_b32 s25, -1
                                        ; implicit-def: $vgpr3
.LBB54_2978:
	s_delay_alu instid0(SALU_CYCLE_1)
	s_and_b32 vcc_lo, exec_lo, s25
	s_cbranch_vccz .LBB54_2980
; %bb.2979:
	s_wait_loadcnt 0x0
	global_load_u8 v3, v[4:5], off
	s_wait_loadcnt 0x0
	v_lshlrev_b32_e32 v3, 24, v3
	s_delay_alu instid0(VALU_DEP_1) | instskip(NEXT) | instid1(VALU_DEP_1)
	v_and_b32_e32 v6, 0x7f000000, v3
	v_clz_i32_u32_e32 v7, v6
	v_cmp_ne_u32_e32 vcc_lo, 0, v6
	v_add_nc_u32_e32 v9, 0x1000000, v6
	s_delay_alu instid0(VALU_DEP_3) | instskip(NEXT) | instid1(VALU_DEP_1)
	v_min_u32_e32 v7, 32, v7
	v_sub_nc_u32_e64 v7, v7, 4 clamp
	s_delay_alu instid0(VALU_DEP_1) | instskip(NEXT) | instid1(VALU_DEP_1)
	v_dual_lshlrev_b32 v8, v7, v6 :: v_dual_lshlrev_b32 v7, 23, v7
	v_lshrrev_b32_e32 v8, 4, v8
	s_delay_alu instid0(VALU_DEP_1) | instskip(NEXT) | instid1(VALU_DEP_1)
	v_dual_sub_nc_u32 v7, v8, v7 :: v_dual_ashrrev_i32 v8, 8, v9
	v_add_nc_u32_e32 v7, 0x3c000000, v7
	s_delay_alu instid0(VALU_DEP_1) | instskip(NEXT) | instid1(VALU_DEP_1)
	v_and_or_b32 v7, 0x7f800000, v8, v7
	v_cndmask_b32_e32 v6, 0, v7, vcc_lo
	s_delay_alu instid0(VALU_DEP_1) | instskip(NEXT) | instid1(VALU_DEP_1)
	v_and_or_b32 v3, 0x80000000, v3, v6
	v_cvt_i32_f32_e32 v3, v3
.LBB54_2980:
	s_mov_b32 s25, 0
.LBB54_2981:
	s_delay_alu instid0(SALU_CYCLE_1)
	s_and_not1_b32 vcc_lo, exec_lo, s25
	s_cbranch_vccnz .LBB54_2983
; %bb.2982:
	s_wait_loadcnt 0x0
	global_load_u8 v3, v[4:5], off
	s_wait_loadcnt 0x0
	v_lshlrev_b32_e32 v6, 25, v3
	v_lshlrev_b16 v3, 8, v3
	s_delay_alu instid0(VALU_DEP_1) | instskip(SKIP_1) | instid1(VALU_DEP_2)
	v_and_or_b32 v8, 0x7f00, v3, 0.5
	v_bfe_i32 v3, v3, 0, 16
	v_dual_add_f32 v8, -0.5, v8 :: v_dual_lshrrev_b32 v7, 4, v6
	v_cmp_gt_u32_e32 vcc_lo, 0x8000000, v6
	s_delay_alu instid0(VALU_DEP_2) | instskip(NEXT) | instid1(VALU_DEP_1)
	v_or_b32_e32 v7, 0x70000000, v7
	v_mul_f32_e32 v7, 0x7800000, v7
	s_delay_alu instid0(VALU_DEP_1) | instskip(NEXT) | instid1(VALU_DEP_1)
	v_cndmask_b32_e32 v6, v7, v8, vcc_lo
	v_and_or_b32 v3, 0x80000000, v3, v6
	s_delay_alu instid0(VALU_DEP_1)
	v_cvt_i32_f32_e32 v3, v3
.LBB54_2983:
	s_mov_b32 s25, 0
	s_mov_b32 s35, -1
.LBB54_2984:
	s_and_not1_b32 vcc_lo, exec_lo, s25
	s_mov_b32 s25, 0
	s_cbranch_vccnz .LBB54_2995
; %bb.2985:
	s_cmp_gt_i32 s0, 14
	s_cbranch_scc0 .LBB54_2988
; %bb.2986:
	s_cmp_eq_u32 s0, 15
	s_cbranch_scc0 .LBB54_2991
; %bb.2987:
	s_wait_loadcnt 0x0
	global_load_u16 v3, v[4:5], off
	s_mov_b32 s1, 0
	s_mov_b32 s35, -1
	s_wait_loadcnt 0x0
	v_lshlrev_b32_e32 v3, 16, v3
	s_delay_alu instid0(VALU_DEP_1)
	v_cvt_i32_f32_e32 v3, v3
	s_branch .LBB54_2993
.LBB54_2988:
	s_mov_b32 s25, -1
	s_branch .LBB54_2992
.LBB54_2989:
	s_and_not1_saveexec_b32 s25, s25
	s_cbranch_execz .LBB54_2970
.LBB54_2990:
	v_cmp_ne_u16_e32 vcc_lo, 0, v6
	s_and_not1_b32 s35, s35, exec_lo
	s_and_b32 s39, vcc_lo, exec_lo
	s_delay_alu instid0(SALU_CYCLE_1)
	s_or_b32 s35, s35, s39
	s_or_b32 exec_lo, exec_lo, s25
	v_mov_b32_e32 v3, 0
	s_and_saveexec_b32 s25, s35
	s_cbranch_execnz .LBB54_2971
	s_branch .LBB54_2972
.LBB54_2991:
	s_mov_b32 s1, -1
.LBB54_2992:
                                        ; implicit-def: $vgpr3
.LBB54_2993:
	s_and_b32 vcc_lo, exec_lo, s25
	s_mov_b32 s25, 0
	s_cbranch_vccz .LBB54_2995
; %bb.2994:
	s_cmp_lg_u32 s0, 11
	s_mov_b32 s25, -1
	s_cselect_b32 s1, -1, 0
.LBB54_2995:
	s_delay_alu instid0(SALU_CYCLE_1)
	s_and_b32 vcc_lo, exec_lo, s1
	s_cbranch_vccnz .LBB54_3058
; %bb.2996:
	s_and_not1_b32 vcc_lo, exec_lo, s25
	s_cbranch_vccnz .LBB54_2998
.LBB54_2997:
	s_wait_loadcnt 0x0
	global_load_u8 v3, v[4:5], off
	s_mov_b32 s35, -1
	s_wait_loadcnt 0x0
	v_cmp_ne_u16_e32 vcc_lo, 0, v3
	v_cndmask_b32_e64 v3, 0, 1, vcc_lo
.LBB54_2998:
	s_branch .LBB54_2930
.LBB54_2999:
	s_and_b32 s0, 0xffff, s56
	s_delay_alu instid0(SALU_CYCLE_1)
	s_cmp_lt_i32 s0, 5
	s_cbranch_scc1 .LBB54_3004
; %bb.3000:
	s_cmp_lt_i32 s0, 8
	s_cbranch_scc1 .LBB54_3005
; %bb.3001:
	;; [unrolled: 3-line block ×3, first 2 shown]
	s_cmp_gt_i32 s0, 9
	s_cbranch_scc0 .LBB54_3007
; %bb.3003:
	global_load_b64 v[6:7], v[4:5], off
	s_mov_b32 s1, 0
	s_wait_loadcnt 0x0
	v_cvt_i32_f64_e32 v3, v[6:7]
	s_branch .LBB54_3008
.LBB54_3004:
                                        ; implicit-def: $vgpr3
	s_branch .LBB54_3026
.LBB54_3005:
	s_mov_b32 s1, -1
                                        ; implicit-def: $vgpr3
	s_branch .LBB54_3014
.LBB54_3006:
	s_mov_b32 s1, -1
                                        ; implicit-def: $vgpr3
	s_branch .LBB54_3011
.LBB54_3007:
	s_mov_b32 s1, -1
                                        ; implicit-def: $vgpr3
.LBB54_3008:
	s_delay_alu instid0(SALU_CYCLE_1)
	s_and_not1_b32 vcc_lo, exec_lo, s1
	s_cbranch_vccnz .LBB54_3010
; %bb.3009:
	s_wait_loadcnt 0x0
	global_load_b32 v3, v[4:5], off
	s_wait_loadcnt 0x0
	v_cvt_i32_f32_e32 v3, v3
.LBB54_3010:
	s_mov_b32 s1, 0
.LBB54_3011:
	s_delay_alu instid0(SALU_CYCLE_1)
	s_and_not1_b32 vcc_lo, exec_lo, s1
	s_cbranch_vccnz .LBB54_3013
; %bb.3012:
	s_wait_loadcnt 0x0
	global_load_b32 v3, v[4:5], off
	s_wait_loadcnt 0x0
	v_cvt_f32_f16_e32 v3, v3
	s_delay_alu instid0(VALU_DEP_1)
	v_cvt_i32_f32_e32 v3, v3
.LBB54_3013:
	s_mov_b32 s1, 0
.LBB54_3014:
	s_delay_alu instid0(SALU_CYCLE_1)
	s_and_not1_b32 vcc_lo, exec_lo, s1
	s_cbranch_vccnz .LBB54_3025
; %bb.3015:
	s_cmp_lt_i32 s0, 6
	s_cbranch_scc1 .LBB54_3018
; %bb.3016:
	s_cmp_gt_i32 s0, 6
	s_cbranch_scc0 .LBB54_3019
; %bb.3017:
	global_load_b64 v[6:7], v[4:5], off
	s_mov_b32 s1, 0
	s_wait_loadcnt 0x0
	v_cvt_i32_f64_e32 v3, v[6:7]
	s_branch .LBB54_3020
.LBB54_3018:
	s_mov_b32 s1, -1
                                        ; implicit-def: $vgpr3
	s_branch .LBB54_3023
.LBB54_3019:
	s_mov_b32 s1, -1
                                        ; implicit-def: $vgpr3
.LBB54_3020:
	s_delay_alu instid0(SALU_CYCLE_1)
	s_and_not1_b32 vcc_lo, exec_lo, s1
	s_cbranch_vccnz .LBB54_3022
; %bb.3021:
	s_wait_loadcnt 0x0
	global_load_b32 v3, v[4:5], off
	s_wait_loadcnt 0x0
	v_cvt_i32_f32_e32 v3, v3
.LBB54_3022:
	s_mov_b32 s1, 0
.LBB54_3023:
	s_delay_alu instid0(SALU_CYCLE_1)
	s_and_not1_b32 vcc_lo, exec_lo, s1
	s_cbranch_vccnz .LBB54_3025
; %bb.3024:
	s_wait_loadcnt 0x0
	global_load_u16 v3, v[4:5], off
	s_wait_loadcnt 0x0
	v_cvt_f32_f16_e32 v3, v3
	s_delay_alu instid0(VALU_DEP_1)
	v_cvt_i32_f32_e32 v3, v3
.LBB54_3025:
	s_cbranch_execnz .LBB54_3045
.LBB54_3026:
	s_cmp_lt_i32 s0, 2
	s_cbranch_scc1 .LBB54_3030
; %bb.3027:
	s_cmp_lt_i32 s0, 3
	s_cbranch_scc1 .LBB54_3031
; %bb.3028:
	s_cmp_gt_i32 s0, 3
	s_cbranch_scc0 .LBB54_3032
; %bb.3029:
	s_wait_loadcnt 0x0
	global_load_b32 v3, v[4:5], off
	s_mov_b32 s1, 0
	s_branch .LBB54_3033
.LBB54_3030:
	s_mov_b32 s1, -1
                                        ; implicit-def: $vgpr3
	s_branch .LBB54_3039
.LBB54_3031:
	s_mov_b32 s1, -1
                                        ; implicit-def: $vgpr3
	s_branch .LBB54_3036
.LBB54_3032:
	s_mov_b32 s1, -1
                                        ; implicit-def: $vgpr3
.LBB54_3033:
	s_delay_alu instid0(SALU_CYCLE_1)
	s_and_not1_b32 vcc_lo, exec_lo, s1
	s_cbranch_vccnz .LBB54_3035
; %bb.3034:
	s_wait_loadcnt 0x0
	global_load_b32 v3, v[4:5], off
.LBB54_3035:
	s_mov_b32 s1, 0
.LBB54_3036:
	s_delay_alu instid0(SALU_CYCLE_1)
	s_and_not1_b32 vcc_lo, exec_lo, s1
	s_cbranch_vccnz .LBB54_3038
; %bb.3037:
	s_wait_loadcnt 0x0
	global_load_i16 v3, v[4:5], off
.LBB54_3038:
	s_mov_b32 s1, 0
.LBB54_3039:
	s_delay_alu instid0(SALU_CYCLE_1)
	s_and_not1_b32 vcc_lo, exec_lo, s1
	s_cbranch_vccnz .LBB54_3045
; %bb.3040:
	s_cmp_gt_i32 s0, 0
	s_mov_b32 s0, 0
	s_cbranch_scc0 .LBB54_3042
; %bb.3041:
	s_wait_loadcnt 0x0
	global_load_i8 v3, v[4:5], off
	s_branch .LBB54_3043
.LBB54_3042:
	s_mov_b32 s0, -1
                                        ; implicit-def: $vgpr3
.LBB54_3043:
	s_delay_alu instid0(SALU_CYCLE_1)
	s_and_not1_b32 vcc_lo, exec_lo, s0
	s_cbranch_vccnz .LBB54_3045
; %bb.3044:
	s_wait_loadcnt 0x0
	global_load_u8 v3, v[4:5], off
.LBB54_3045:
.LBB54_3046:
	s_wait_xcnt 0x0
	v_mul_lo_u32 v4, s19, v22
	s_and_b32 s57, s34, 0xff
	s_delay_alu instid0(SALU_CYCLE_1) | instskip(NEXT) | instid1(VALU_DEP_1)
	s_cmp_lt_i32 s57, 11
	v_ashrrev_i32_e32 v5, 31, v4
	s_delay_alu instid0(VALU_DEP_1)
	v_add_nc_u64_e32 v[6:7], s[10:11], v[4:5]
	s_cbranch_scc1 .LBB54_3053
; %bb.3047:
	s_and_b32 s0, 0xffff, s57
	s_mov_b32 s25, 0
	s_cmp_gt_i32 s0, 25
	s_cbranch_scc0 .LBB54_3055
; %bb.3048:
	s_cmp_gt_i32 s0, 28
	s_cbranch_scc0 .LBB54_3056
; %bb.3049:
	;; [unrolled: 3-line block ×4, first 2 shown]
	s_cmp_eq_u32 s0, 46
	s_mov_b32 s35, 0
	s_cbranch_scc0 .LBB54_3060
; %bb.3052:
	global_load_b32 v5, v[6:7], off
	s_mov_b32 s1, 0
	s_mov_b32 s34, -1
	s_wait_loadcnt 0x0
	v_lshlrev_b32_e32 v5, 16, v5
	s_delay_alu instid0(VALU_DEP_1)
	v_cvt_i32_f32_e32 v10, v5
	s_branch .LBB54_3062
.LBB54_3053:
	s_mov_b32 s34, 0
                                        ; implicit-def: $vgpr10
	s_cbranch_execnz .LBB54_3124
.LBB54_3054:
	s_and_not1_b32 vcc_lo, exec_lo, s34
	s_cbranch_vccnz .LBB54_3434
	s_branch .LBB54_3172
.LBB54_3055:
	s_mov_b32 s35, -1
	s_mov_b32 s34, 0
	s_mov_b32 s1, 0
                                        ; implicit-def: $vgpr10
	s_branch .LBB54_3089
.LBB54_3056:
	s_mov_b32 s35, -1
	s_mov_b32 s34, 0
	s_mov_b32 s1, 0
                                        ; implicit-def: $vgpr10
	s_branch .LBB54_3072
.LBB54_3057:
	s_mov_b32 s35, -1
	s_mov_b32 s34, 0
	s_mov_b32 s1, 0
                                        ; implicit-def: $vgpr10
	s_branch .LBB54_3067
.LBB54_3058:
	s_or_b32 s33, s33, exec_lo
	s_trap 2
	s_cbranch_execz .LBB54_2997
	s_branch .LBB54_2998
.LBB54_3059:
	s_mov_b32 s35, -1
	s_mov_b32 s34, 0
	s_mov_b32 s1, 0
	s_branch .LBB54_3061
.LBB54_3060:
	s_mov_b32 s1, -1
	s_mov_b32 s34, 0
.LBB54_3061:
                                        ; implicit-def: $vgpr10
.LBB54_3062:
	s_and_b32 vcc_lo, exec_lo, s35
	s_cbranch_vccz .LBB54_3066
; %bb.3063:
	s_cmp_eq_u32 s0, 44
	s_cbranch_scc0 .LBB54_3065
; %bb.3064:
	global_load_u8 v5, v[6:7], off
	s_mov_b32 s1, 0
	s_mov_b32 s34, -1
	s_wait_loadcnt 0x0
	v_lshlrev_b32_e32 v8, 23, v5
	v_cmp_ne_u32_e32 vcc_lo, 0, v5
	s_delay_alu instid0(VALU_DEP_2) | instskip(NEXT) | instid1(VALU_DEP_1)
	v_cvt_i32_f32_e32 v8, v8
	v_cndmask_b32_e32 v10, 0, v8, vcc_lo
	s_branch .LBB54_3066
.LBB54_3065:
	s_mov_b32 s1, -1
                                        ; implicit-def: $vgpr10
.LBB54_3066:
	s_mov_b32 s35, 0
.LBB54_3067:
	s_delay_alu instid0(SALU_CYCLE_1)
	s_and_b32 vcc_lo, exec_lo, s35
	s_cbranch_vccz .LBB54_3071
; %bb.3068:
	s_cmp_eq_u32 s0, 29
	s_cbranch_scc0 .LBB54_3070
; %bb.3069:
	global_load_b32 v10, v[6:7], off
	s_mov_b32 s1, 0
	s_mov_b32 s34, -1
	s_branch .LBB54_3071
.LBB54_3070:
	s_mov_b32 s1, -1
                                        ; implicit-def: $vgpr10
.LBB54_3071:
	s_mov_b32 s35, 0
.LBB54_3072:
	s_delay_alu instid0(SALU_CYCLE_1)
	s_and_b32 vcc_lo, exec_lo, s35
	s_cbranch_vccz .LBB54_3088
; %bb.3073:
	s_cmp_lt_i32 s0, 27
	s_cbranch_scc1 .LBB54_3076
; %bb.3074:
	s_cmp_gt_i32 s0, 27
	s_cbranch_scc0 .LBB54_3077
; %bb.3075:
	s_wait_loadcnt 0x0
	global_load_b32 v10, v[6:7], off
	s_mov_b32 s34, 0
	s_branch .LBB54_3078
.LBB54_3076:
	s_mov_b32 s34, -1
                                        ; implicit-def: $vgpr10
	s_branch .LBB54_3081
.LBB54_3077:
	s_mov_b32 s34, -1
                                        ; implicit-def: $vgpr10
.LBB54_3078:
	s_delay_alu instid0(SALU_CYCLE_1)
	s_and_not1_b32 vcc_lo, exec_lo, s34
	s_cbranch_vccnz .LBB54_3080
; %bb.3079:
	s_wait_loadcnt 0x0
	global_load_u16 v10, v[6:7], off
.LBB54_3080:
	s_mov_b32 s34, 0
.LBB54_3081:
	s_delay_alu instid0(SALU_CYCLE_1)
	s_and_not1_b32 vcc_lo, exec_lo, s34
	s_cbranch_vccnz .LBB54_3087
; %bb.3082:
	global_load_u8 v5, v[6:7], off
	s_mov_b32 s35, 0
	s_mov_b32 s34, exec_lo
	s_wait_loadcnt 0x0
	v_cmpx_lt_i16_e32 0x7f, v5
	s_xor_b32 s34, exec_lo, s34
	s_cbranch_execz .LBB54_3099
; %bb.3083:
	v_cmp_ne_u16_e32 vcc_lo, 0x80, v5
	s_and_b32 s35, vcc_lo, exec_lo
	s_and_not1_saveexec_b32 s34, s34
	s_cbranch_execnz .LBB54_3100
.LBB54_3084:
	s_or_b32 exec_lo, exec_lo, s34
	v_mov_b32_e32 v10, 0
	s_and_saveexec_b32 s34, s35
	s_cbranch_execz .LBB54_3086
.LBB54_3085:
	v_and_b32_e32 v8, 0xffff, v5
	s_delay_alu instid0(VALU_DEP_1) | instskip(SKIP_1) | instid1(VALU_DEP_2)
	v_and_b32_e32 v9, 7, v8
	v_bfe_u32 v12, v8, 3, 4
	v_clz_i32_u32_e32 v10, v9
	s_delay_alu instid0(VALU_DEP_2) | instskip(NEXT) | instid1(VALU_DEP_2)
	v_cmp_eq_u32_e32 vcc_lo, 0, v12
	v_min_u32_e32 v10, 32, v10
	s_delay_alu instid0(VALU_DEP_1) | instskip(NEXT) | instid1(VALU_DEP_1)
	v_subrev_nc_u32_e32 v11, 28, v10
	v_dual_lshlrev_b32 v8, v11, v8 :: v_dual_sub_nc_u32 v10, 29, v10
	s_delay_alu instid0(VALU_DEP_1) | instskip(NEXT) | instid1(VALU_DEP_1)
	v_dual_lshlrev_b32 v5, 24, v5 :: v_dual_bitop2_b32 v8, 7, v8 bitop3:0x40
	v_dual_cndmask_b32 v10, v12, v10, vcc_lo :: v_dual_cndmask_b32 v8, v9, v8, vcc_lo
	s_delay_alu instid0(VALU_DEP_2) | instskip(NEXT) | instid1(VALU_DEP_2)
	v_and_b32_e32 v5, 0x80000000, v5
	v_lshl_add_u32 v9, v10, 23, 0x3b800000
	s_delay_alu instid0(VALU_DEP_3) | instskip(NEXT) | instid1(VALU_DEP_1)
	v_lshlrev_b32_e32 v8, 20, v8
	v_or3_b32 v5, v5, v9, v8
	s_delay_alu instid0(VALU_DEP_1)
	v_cvt_i32_f32_e32 v10, v5
.LBB54_3086:
	s_or_b32 exec_lo, exec_lo, s34
.LBB54_3087:
	s_mov_b32 s34, -1
.LBB54_3088:
	s_mov_b32 s35, 0
.LBB54_3089:
	s_delay_alu instid0(SALU_CYCLE_1)
	s_and_b32 vcc_lo, exec_lo, s35
	s_cbranch_vccz .LBB54_3120
; %bb.3090:
	s_cmp_gt_i32 s0, 22
	s_cbranch_scc0 .LBB54_3098
; %bb.3091:
	s_cmp_lt_i32 s0, 24
	s_cbranch_scc1 .LBB54_3101
; %bb.3092:
	s_cmp_gt_i32 s0, 24
	s_cbranch_scc0 .LBB54_3102
; %bb.3093:
	global_load_u8 v5, v[6:7], off
	s_mov_b32 s34, 0
	s_mov_b32 s25, exec_lo
	s_wait_loadcnt 0x0
	v_cmpx_lt_i16_e32 0x7f, v5
	s_xor_b32 s25, exec_lo, s25
	s_cbranch_execz .LBB54_3114
; %bb.3094:
	v_cmp_ne_u16_e32 vcc_lo, 0x80, v5
	s_and_b32 s34, vcc_lo, exec_lo
	s_and_not1_saveexec_b32 s25, s25
	s_cbranch_execnz .LBB54_3115
.LBB54_3095:
	s_or_b32 exec_lo, exec_lo, s25
	v_mov_b32_e32 v10, 0
	s_and_saveexec_b32 s25, s34
	s_cbranch_execz .LBB54_3097
.LBB54_3096:
	v_and_b32_e32 v8, 0xffff, v5
	s_delay_alu instid0(VALU_DEP_1) | instskip(SKIP_1) | instid1(VALU_DEP_2)
	v_and_b32_e32 v9, 3, v8
	v_bfe_u32 v12, v8, 2, 5
	v_clz_i32_u32_e32 v10, v9
	s_delay_alu instid0(VALU_DEP_2) | instskip(NEXT) | instid1(VALU_DEP_2)
	v_cmp_eq_u32_e32 vcc_lo, 0, v12
	v_min_u32_e32 v10, 32, v10
	s_delay_alu instid0(VALU_DEP_1) | instskip(NEXT) | instid1(VALU_DEP_1)
	v_subrev_nc_u32_e32 v11, 29, v10
	v_dual_lshlrev_b32 v8, v11, v8 :: v_dual_sub_nc_u32 v10, 30, v10
	s_delay_alu instid0(VALU_DEP_1) | instskip(NEXT) | instid1(VALU_DEP_1)
	v_dual_lshlrev_b32 v5, 24, v5 :: v_dual_bitop2_b32 v8, 3, v8 bitop3:0x40
	v_dual_cndmask_b32 v10, v12, v10, vcc_lo :: v_dual_cndmask_b32 v8, v9, v8, vcc_lo
	s_delay_alu instid0(VALU_DEP_2) | instskip(NEXT) | instid1(VALU_DEP_2)
	v_and_b32_e32 v5, 0x80000000, v5
	v_lshl_add_u32 v9, v10, 23, 0x37800000
	s_delay_alu instid0(VALU_DEP_3) | instskip(NEXT) | instid1(VALU_DEP_1)
	v_lshlrev_b32_e32 v8, 21, v8
	v_or3_b32 v5, v5, v9, v8
	s_delay_alu instid0(VALU_DEP_1)
	v_cvt_i32_f32_e32 v10, v5
.LBB54_3097:
	s_or_b32 exec_lo, exec_lo, s25
	s_mov_b32 s25, 0
	s_branch .LBB54_3103
.LBB54_3098:
	s_mov_b32 s25, -1
                                        ; implicit-def: $vgpr10
	s_branch .LBB54_3109
.LBB54_3099:
	s_and_not1_saveexec_b32 s34, s34
	s_cbranch_execz .LBB54_3084
.LBB54_3100:
	v_cmp_ne_u16_e32 vcc_lo, 0, v5
	s_and_not1_b32 s35, s35, exec_lo
	s_and_b32 s39, vcc_lo, exec_lo
	s_delay_alu instid0(SALU_CYCLE_1)
	s_or_b32 s35, s35, s39
	s_or_b32 exec_lo, exec_lo, s34
	v_mov_b32_e32 v10, 0
	s_and_saveexec_b32 s34, s35
	s_cbranch_execnz .LBB54_3085
	s_branch .LBB54_3086
.LBB54_3101:
	s_mov_b32 s25, -1
                                        ; implicit-def: $vgpr10
	s_branch .LBB54_3106
.LBB54_3102:
	s_mov_b32 s25, -1
                                        ; implicit-def: $vgpr10
.LBB54_3103:
	s_delay_alu instid0(SALU_CYCLE_1)
	s_and_b32 vcc_lo, exec_lo, s25
	s_cbranch_vccz .LBB54_3105
; %bb.3104:
	global_load_u8 v5, v[6:7], off
	s_wait_loadcnt 0x0
	v_lshlrev_b32_e32 v5, 24, v5
	s_delay_alu instid0(VALU_DEP_1) | instskip(NEXT) | instid1(VALU_DEP_1)
	v_and_b32_e32 v8, 0x7f000000, v5
	v_clz_i32_u32_e32 v9, v8
	v_cmp_ne_u32_e32 vcc_lo, 0, v8
	v_add_nc_u32_e32 v11, 0x1000000, v8
	s_delay_alu instid0(VALU_DEP_3) | instskip(NEXT) | instid1(VALU_DEP_1)
	v_min_u32_e32 v9, 32, v9
	v_sub_nc_u32_e64 v9, v9, 4 clamp
	s_delay_alu instid0(VALU_DEP_1) | instskip(NEXT) | instid1(VALU_DEP_1)
	v_dual_lshlrev_b32 v10, v9, v8 :: v_dual_lshlrev_b32 v9, 23, v9
	v_lshrrev_b32_e32 v10, 4, v10
	s_delay_alu instid0(VALU_DEP_1) | instskip(NEXT) | instid1(VALU_DEP_1)
	v_dual_sub_nc_u32 v9, v10, v9 :: v_dual_ashrrev_i32 v10, 8, v11
	v_add_nc_u32_e32 v9, 0x3c000000, v9
	s_delay_alu instid0(VALU_DEP_1) | instskip(NEXT) | instid1(VALU_DEP_1)
	v_and_or_b32 v9, 0x7f800000, v10, v9
	v_cndmask_b32_e32 v8, 0, v9, vcc_lo
	s_delay_alu instid0(VALU_DEP_1) | instskip(NEXT) | instid1(VALU_DEP_1)
	v_and_or_b32 v5, 0x80000000, v5, v8
	v_cvt_i32_f32_e32 v10, v5
.LBB54_3105:
	s_mov_b32 s25, 0
.LBB54_3106:
	s_delay_alu instid0(SALU_CYCLE_1)
	s_and_not1_b32 vcc_lo, exec_lo, s25
	s_cbranch_vccnz .LBB54_3108
; %bb.3107:
	global_load_u8 v5, v[6:7], off
	s_wait_loadcnt 0x0
	v_lshlrev_b32_e32 v8, 25, v5
	v_lshlrev_b16 v5, 8, v5
	s_delay_alu instid0(VALU_DEP_1) | instskip(SKIP_1) | instid1(VALU_DEP_2)
	v_and_or_b32 v10, 0x7f00, v5, 0.5
	v_bfe_i32 v5, v5, 0, 16
	v_dual_add_f32 v10, -0.5, v10 :: v_dual_lshrrev_b32 v9, 4, v8
	v_cmp_gt_u32_e32 vcc_lo, 0x8000000, v8
	s_delay_alu instid0(VALU_DEP_2) | instskip(NEXT) | instid1(VALU_DEP_1)
	v_or_b32_e32 v9, 0x70000000, v9
	v_mul_f32_e32 v9, 0x7800000, v9
	s_delay_alu instid0(VALU_DEP_1) | instskip(NEXT) | instid1(VALU_DEP_1)
	v_cndmask_b32_e32 v8, v9, v10, vcc_lo
	v_and_or_b32 v5, 0x80000000, v5, v8
	s_delay_alu instid0(VALU_DEP_1)
	v_cvt_i32_f32_e32 v10, v5
.LBB54_3108:
	s_mov_b32 s25, 0
	s_mov_b32 s34, -1
.LBB54_3109:
	s_and_not1_b32 vcc_lo, exec_lo, s25
	s_mov_b32 s25, 0
	s_cbranch_vccnz .LBB54_3120
; %bb.3110:
	s_cmp_gt_i32 s0, 14
	s_cbranch_scc0 .LBB54_3113
; %bb.3111:
	s_cmp_eq_u32 s0, 15
	s_cbranch_scc0 .LBB54_3116
; %bb.3112:
	global_load_u16 v5, v[6:7], off
	s_mov_b32 s1, 0
	s_mov_b32 s34, -1
	s_wait_loadcnt 0x0
	v_lshlrev_b32_e32 v5, 16, v5
	s_delay_alu instid0(VALU_DEP_1)
	v_cvt_i32_f32_e32 v10, v5
	s_branch .LBB54_3118
.LBB54_3113:
	s_mov_b32 s25, -1
	s_branch .LBB54_3117
.LBB54_3114:
	s_and_not1_saveexec_b32 s25, s25
	s_cbranch_execz .LBB54_3095
.LBB54_3115:
	v_cmp_ne_u16_e32 vcc_lo, 0, v5
	s_and_not1_b32 s34, s34, exec_lo
	s_and_b32 s35, vcc_lo, exec_lo
	s_delay_alu instid0(SALU_CYCLE_1)
	s_or_b32 s34, s34, s35
	s_or_b32 exec_lo, exec_lo, s25
	v_mov_b32_e32 v10, 0
	s_and_saveexec_b32 s25, s34
	s_cbranch_execnz .LBB54_3096
	s_branch .LBB54_3097
.LBB54_3116:
	s_mov_b32 s1, -1
.LBB54_3117:
                                        ; implicit-def: $vgpr10
.LBB54_3118:
	s_and_b32 vcc_lo, exec_lo, s25
	s_mov_b32 s25, 0
	s_cbranch_vccz .LBB54_3120
; %bb.3119:
	s_cmp_lg_u32 s0, 11
	s_mov_b32 s25, -1
	s_cselect_b32 s1, -1, 0
.LBB54_3120:
	s_delay_alu instid0(SALU_CYCLE_1)
	s_and_b32 vcc_lo, exec_lo, s1
	s_cbranch_vccnz .LBB54_3183
; %bb.3121:
	s_and_not1_b32 vcc_lo, exec_lo, s25
	s_cbranch_vccnz .LBB54_3123
.LBB54_3122:
	global_load_u8 v5, v[6:7], off
	s_mov_b32 s34, -1
	s_wait_loadcnt 0x0
	v_cmp_ne_u16_e32 vcc_lo, 0, v5
	v_cndmask_b32_e64 v10, 0, 1, vcc_lo
.LBB54_3123:
	s_branch .LBB54_3054
.LBB54_3124:
	s_and_b32 s0, 0xffff, s57
	s_delay_alu instid0(SALU_CYCLE_1)
	s_cmp_lt_i32 s0, 5
	s_cbranch_scc1 .LBB54_3129
; %bb.3125:
	s_cmp_lt_i32 s0, 8
	s_cbranch_scc1 .LBB54_3130
; %bb.3126:
	;; [unrolled: 3-line block ×3, first 2 shown]
	s_cmp_gt_i32 s0, 9
	s_cbranch_scc0 .LBB54_3132
; %bb.3128:
	global_load_b64 v[8:9], v[6:7], off
	s_mov_b32 s1, 0
	s_wait_loadcnt 0x0
	v_cvt_i32_f64_e32 v10, v[8:9]
	s_branch .LBB54_3133
.LBB54_3129:
	s_mov_b32 s1, -1
                                        ; implicit-def: $vgpr10
	s_branch .LBB54_3151
.LBB54_3130:
	s_mov_b32 s1, -1
                                        ; implicit-def: $vgpr10
	s_branch .LBB54_3139
.LBB54_3131:
	s_mov_b32 s1, -1
                                        ; implicit-def: $vgpr10
	s_branch .LBB54_3136
.LBB54_3132:
	s_mov_b32 s1, -1
                                        ; implicit-def: $vgpr10
.LBB54_3133:
	s_delay_alu instid0(SALU_CYCLE_1)
	s_and_not1_b32 vcc_lo, exec_lo, s1
	s_cbranch_vccnz .LBB54_3135
; %bb.3134:
	global_load_b32 v5, v[6:7], off
	s_wait_loadcnt 0x0
	v_cvt_i32_f32_e32 v10, v5
.LBB54_3135:
	s_mov_b32 s1, 0
.LBB54_3136:
	s_delay_alu instid0(SALU_CYCLE_1)
	s_and_not1_b32 vcc_lo, exec_lo, s1
	s_cbranch_vccnz .LBB54_3138
; %bb.3137:
	global_load_b32 v5, v[6:7], off
	s_wait_loadcnt 0x0
	v_cvt_f32_f16_e32 v5, v5
	s_delay_alu instid0(VALU_DEP_1)
	v_cvt_i32_f32_e32 v10, v5
.LBB54_3138:
	s_mov_b32 s1, 0
.LBB54_3139:
	s_delay_alu instid0(SALU_CYCLE_1)
	s_and_not1_b32 vcc_lo, exec_lo, s1
	s_cbranch_vccnz .LBB54_3150
; %bb.3140:
	s_cmp_lt_i32 s0, 6
	s_cbranch_scc1 .LBB54_3143
; %bb.3141:
	s_cmp_gt_i32 s0, 6
	s_cbranch_scc0 .LBB54_3144
; %bb.3142:
	global_load_b64 v[8:9], v[6:7], off
	s_mov_b32 s1, 0
	s_wait_loadcnt 0x0
	v_cvt_i32_f64_e32 v10, v[8:9]
	s_branch .LBB54_3145
.LBB54_3143:
	s_mov_b32 s1, -1
                                        ; implicit-def: $vgpr10
	s_branch .LBB54_3148
.LBB54_3144:
	s_mov_b32 s1, -1
                                        ; implicit-def: $vgpr10
.LBB54_3145:
	s_delay_alu instid0(SALU_CYCLE_1)
	s_and_not1_b32 vcc_lo, exec_lo, s1
	s_cbranch_vccnz .LBB54_3147
; %bb.3146:
	global_load_b32 v5, v[6:7], off
	s_wait_loadcnt 0x0
	v_cvt_i32_f32_e32 v10, v5
.LBB54_3147:
	s_mov_b32 s1, 0
.LBB54_3148:
	s_delay_alu instid0(SALU_CYCLE_1)
	s_and_not1_b32 vcc_lo, exec_lo, s1
	s_cbranch_vccnz .LBB54_3150
; %bb.3149:
	global_load_u16 v5, v[6:7], off
	s_wait_loadcnt 0x0
	v_cvt_f32_f16_e32 v5, v5
	s_delay_alu instid0(VALU_DEP_1)
	v_cvt_i32_f32_e32 v10, v5
.LBB54_3150:
	s_mov_b32 s1, 0
.LBB54_3151:
	s_delay_alu instid0(SALU_CYCLE_1)
	s_and_not1_b32 vcc_lo, exec_lo, s1
	s_cbranch_vccnz .LBB54_3171
; %bb.3152:
	s_cmp_lt_i32 s0, 2
	s_cbranch_scc1 .LBB54_3156
; %bb.3153:
	s_cmp_lt_i32 s0, 3
	s_cbranch_scc1 .LBB54_3157
; %bb.3154:
	s_cmp_gt_i32 s0, 3
	s_cbranch_scc0 .LBB54_3158
; %bb.3155:
	s_wait_loadcnt 0x0
	global_load_b32 v10, v[6:7], off
	s_mov_b32 s1, 0
	s_branch .LBB54_3159
.LBB54_3156:
	s_mov_b32 s1, -1
                                        ; implicit-def: $vgpr10
	s_branch .LBB54_3165
.LBB54_3157:
	s_mov_b32 s1, -1
                                        ; implicit-def: $vgpr10
	s_branch .LBB54_3162
.LBB54_3158:
	s_mov_b32 s1, -1
                                        ; implicit-def: $vgpr10
.LBB54_3159:
	s_delay_alu instid0(SALU_CYCLE_1)
	s_and_not1_b32 vcc_lo, exec_lo, s1
	s_cbranch_vccnz .LBB54_3161
; %bb.3160:
	s_wait_loadcnt 0x0
	global_load_b32 v10, v[6:7], off
.LBB54_3161:
	s_mov_b32 s1, 0
.LBB54_3162:
	s_delay_alu instid0(SALU_CYCLE_1)
	s_and_not1_b32 vcc_lo, exec_lo, s1
	s_cbranch_vccnz .LBB54_3164
; %bb.3163:
	s_wait_loadcnt 0x0
	global_load_i16 v10, v[6:7], off
.LBB54_3164:
	s_mov_b32 s1, 0
.LBB54_3165:
	s_delay_alu instid0(SALU_CYCLE_1)
	s_and_not1_b32 vcc_lo, exec_lo, s1
	s_cbranch_vccnz .LBB54_3171
; %bb.3166:
	s_cmp_gt_i32 s0, 0
	s_mov_b32 s0, 0
	s_cbranch_scc0 .LBB54_3168
; %bb.3167:
	s_wait_loadcnt 0x0
	global_load_i8 v10, v[6:7], off
	s_branch .LBB54_3169
.LBB54_3168:
	s_mov_b32 s0, -1
                                        ; implicit-def: $vgpr10
.LBB54_3169:
	s_delay_alu instid0(SALU_CYCLE_1)
	s_and_not1_b32 vcc_lo, exec_lo, s0
	s_cbranch_vccnz .LBB54_3171
; %bb.3170:
	s_wait_loadcnt 0x0
	global_load_u8 v10, v[6:7], off
.LBB54_3171:
.LBB54_3172:
	s_wait_xcnt 0x0
	v_mul_lo_u32 v6, s36, v22
	s_and_b32 s58, s3, 0xff
	s_delay_alu instid0(SALU_CYCLE_1) | instskip(NEXT) | instid1(VALU_DEP_1)
	s_cmp_lt_i32 s58, 11
	v_ashrrev_i32_e32 v7, 31, v6
	s_delay_alu instid0(VALU_DEP_1)
	v_add_nc_u64_e32 v[8:9], s[12:13], v[6:7]
	s_cbranch_scc1 .LBB54_3179
; %bb.3173:
	s_and_b32 s0, 0xffff, s58
	s_mov_b32 s3, 0
	s_cmp_gt_i32 s0, 25
	s_cbranch_scc0 .LBB54_3180
; %bb.3174:
	s_cmp_gt_i32 s0, 28
	s_cbranch_scc0 .LBB54_3181
; %bb.3175:
	;; [unrolled: 3-line block ×4, first 2 shown]
	s_cmp_eq_u32 s0, 46
	s_mov_b32 s34, 0
	s_cbranch_scc0 .LBB54_3185
; %bb.3178:
	global_load_b32 v5, v[8:9], off
	s_mov_b32 s1, 0
	s_mov_b32 s25, -1
	s_wait_loadcnt 0x0
	v_lshlrev_b32_e32 v5, 16, v5
	s_delay_alu instid0(VALU_DEP_1)
	v_cvt_i32_f32_e32 v12, v5
	s_branch .LBB54_3187
.LBB54_3179:
	s_mov_b32 s0, -1
	s_mov_b32 s25, 0
                                        ; implicit-def: $vgpr12
	s_branch .LBB54_3249
.LBB54_3180:
	s_mov_b32 s34, -1
	s_mov_b32 s25, 0
	s_mov_b32 s1, 0
                                        ; implicit-def: $vgpr12
	s_branch .LBB54_3214
.LBB54_3181:
	s_mov_b32 s34, -1
	s_mov_b32 s25, 0
	s_mov_b32 s1, 0
                                        ; implicit-def: $vgpr12
	s_branch .LBB54_3197
.LBB54_3182:
	s_mov_b32 s34, -1
	s_mov_b32 s25, 0
	s_mov_b32 s1, 0
                                        ; implicit-def: $vgpr12
	s_branch .LBB54_3192
.LBB54_3183:
	s_or_b32 s33, s33, exec_lo
	s_trap 2
	s_cbranch_execz .LBB54_3122
	s_branch .LBB54_3123
.LBB54_3184:
	s_mov_b32 s34, -1
	s_mov_b32 s25, 0
	s_mov_b32 s1, 0
	s_branch .LBB54_3186
.LBB54_3185:
	s_mov_b32 s1, -1
	s_mov_b32 s25, 0
.LBB54_3186:
                                        ; implicit-def: $vgpr12
.LBB54_3187:
	s_and_b32 vcc_lo, exec_lo, s34
	s_cbranch_vccz .LBB54_3191
; %bb.3188:
	s_cmp_eq_u32 s0, 44
	s_cbranch_scc0 .LBB54_3190
; %bb.3189:
	global_load_u8 v5, v[8:9], off
	s_mov_b32 s1, 0
	s_mov_b32 s25, -1
	s_wait_loadcnt 0x0
	v_lshlrev_b32_e32 v7, 23, v5
	v_cmp_ne_u32_e32 vcc_lo, 0, v5
	s_delay_alu instid0(VALU_DEP_2) | instskip(NEXT) | instid1(VALU_DEP_1)
	v_cvt_i32_f32_e32 v7, v7
	v_cndmask_b32_e32 v12, 0, v7, vcc_lo
	s_branch .LBB54_3191
.LBB54_3190:
	s_mov_b32 s1, -1
                                        ; implicit-def: $vgpr12
.LBB54_3191:
	s_mov_b32 s34, 0
.LBB54_3192:
	s_delay_alu instid0(SALU_CYCLE_1)
	s_and_b32 vcc_lo, exec_lo, s34
	s_cbranch_vccz .LBB54_3196
; %bb.3193:
	s_cmp_eq_u32 s0, 29
	s_cbranch_scc0 .LBB54_3195
; %bb.3194:
	global_load_b32 v12, v[8:9], off
	s_mov_b32 s1, 0
	s_mov_b32 s25, -1
	s_branch .LBB54_3196
.LBB54_3195:
	s_mov_b32 s1, -1
                                        ; implicit-def: $vgpr12
.LBB54_3196:
	s_mov_b32 s34, 0
.LBB54_3197:
	s_delay_alu instid0(SALU_CYCLE_1)
	s_and_b32 vcc_lo, exec_lo, s34
	s_cbranch_vccz .LBB54_3213
; %bb.3198:
	s_cmp_lt_i32 s0, 27
	s_cbranch_scc1 .LBB54_3201
; %bb.3199:
	s_cmp_gt_i32 s0, 27
	s_cbranch_scc0 .LBB54_3202
; %bb.3200:
	s_wait_loadcnt 0x0
	global_load_b32 v12, v[8:9], off
	s_mov_b32 s25, 0
	s_branch .LBB54_3203
.LBB54_3201:
	s_mov_b32 s25, -1
                                        ; implicit-def: $vgpr12
	s_branch .LBB54_3206
.LBB54_3202:
	s_mov_b32 s25, -1
                                        ; implicit-def: $vgpr12
.LBB54_3203:
	s_delay_alu instid0(SALU_CYCLE_1)
	s_and_not1_b32 vcc_lo, exec_lo, s25
	s_cbranch_vccnz .LBB54_3205
; %bb.3204:
	s_wait_loadcnt 0x0
	global_load_u16 v12, v[8:9], off
.LBB54_3205:
	s_mov_b32 s25, 0
.LBB54_3206:
	s_delay_alu instid0(SALU_CYCLE_1)
	s_and_not1_b32 vcc_lo, exec_lo, s25
	s_cbranch_vccnz .LBB54_3212
; %bb.3207:
	global_load_u8 v5, v[8:9], off
	s_mov_b32 s34, 0
	s_mov_b32 s25, exec_lo
	s_wait_loadcnt 0x0
	v_cmpx_lt_i16_e32 0x7f, v5
	s_xor_b32 s25, exec_lo, s25
	s_cbranch_execz .LBB54_3224
; %bb.3208:
	v_cmp_ne_u16_e32 vcc_lo, 0x80, v5
	s_and_b32 s34, vcc_lo, exec_lo
	s_and_not1_saveexec_b32 s25, s25
	s_cbranch_execnz .LBB54_3225
.LBB54_3209:
	s_or_b32 exec_lo, exec_lo, s25
	v_mov_b32_e32 v12, 0
	s_and_saveexec_b32 s25, s34
	s_cbranch_execz .LBB54_3211
.LBB54_3210:
	v_and_b32_e32 v7, 0xffff, v5
	s_delay_alu instid0(VALU_DEP_1) | instskip(SKIP_1) | instid1(VALU_DEP_2)
	v_and_b32_e32 v11, 7, v7
	v_bfe_u32 v14, v7, 3, 4
	v_clz_i32_u32_e32 v12, v11
	s_delay_alu instid0(VALU_DEP_2) | instskip(NEXT) | instid1(VALU_DEP_2)
	v_cmp_eq_u32_e32 vcc_lo, 0, v14
	v_min_u32_e32 v12, 32, v12
	s_delay_alu instid0(VALU_DEP_1) | instskip(NEXT) | instid1(VALU_DEP_1)
	v_subrev_nc_u32_e32 v13, 28, v12
	v_dual_lshlrev_b32 v7, v13, v7 :: v_dual_sub_nc_u32 v12, 29, v12
	s_delay_alu instid0(VALU_DEP_1) | instskip(NEXT) | instid1(VALU_DEP_1)
	v_dual_lshlrev_b32 v5, 24, v5 :: v_dual_bitop2_b32 v7, 7, v7 bitop3:0x40
	v_dual_cndmask_b32 v12, v14, v12 :: v_dual_cndmask_b32 v7, v11, v7
	s_delay_alu instid0(VALU_DEP_2) | instskip(NEXT) | instid1(VALU_DEP_2)
	v_and_b32_e32 v5, 0x80000000, v5
	v_lshl_add_u32 v11, v12, 23, 0x3b800000
	s_delay_alu instid0(VALU_DEP_3) | instskip(NEXT) | instid1(VALU_DEP_1)
	v_lshlrev_b32_e32 v7, 20, v7
	v_or3_b32 v5, v5, v11, v7
	s_delay_alu instid0(VALU_DEP_1)
	v_cvt_i32_f32_e32 v12, v5
.LBB54_3211:
	s_or_b32 exec_lo, exec_lo, s25
.LBB54_3212:
	s_mov_b32 s25, -1
.LBB54_3213:
	s_mov_b32 s34, 0
.LBB54_3214:
	s_delay_alu instid0(SALU_CYCLE_1)
	s_and_b32 vcc_lo, exec_lo, s34
	s_cbranch_vccz .LBB54_3245
; %bb.3215:
	s_cmp_gt_i32 s0, 22
	s_cbranch_scc0 .LBB54_3223
; %bb.3216:
	s_cmp_lt_i32 s0, 24
	s_cbranch_scc1 .LBB54_3226
; %bb.3217:
	s_cmp_gt_i32 s0, 24
	s_cbranch_scc0 .LBB54_3227
; %bb.3218:
	global_load_u8 v5, v[8:9], off
	s_mov_b32 s25, 0
	s_mov_b32 s3, exec_lo
	s_wait_loadcnt 0x0
	v_cmpx_lt_i16_e32 0x7f, v5
	s_xor_b32 s3, exec_lo, s3
	s_cbranch_execz .LBB54_3239
; %bb.3219:
	v_cmp_ne_u16_e32 vcc_lo, 0x80, v5
	s_and_b32 s25, vcc_lo, exec_lo
	s_and_not1_saveexec_b32 s3, s3
	s_cbranch_execnz .LBB54_3240
.LBB54_3220:
	s_or_b32 exec_lo, exec_lo, s3
	v_mov_b32_e32 v12, 0
	s_and_saveexec_b32 s3, s25
	s_cbranch_execz .LBB54_3222
.LBB54_3221:
	v_and_b32_e32 v7, 0xffff, v5
	s_delay_alu instid0(VALU_DEP_1) | instskip(SKIP_1) | instid1(VALU_DEP_2)
	v_and_b32_e32 v11, 3, v7
	v_bfe_u32 v14, v7, 2, 5
	v_clz_i32_u32_e32 v12, v11
	s_delay_alu instid0(VALU_DEP_2) | instskip(NEXT) | instid1(VALU_DEP_2)
	v_cmp_eq_u32_e32 vcc_lo, 0, v14
	v_min_u32_e32 v12, 32, v12
	s_delay_alu instid0(VALU_DEP_1) | instskip(NEXT) | instid1(VALU_DEP_1)
	v_subrev_nc_u32_e32 v13, 29, v12
	v_dual_lshlrev_b32 v7, v13, v7 :: v_dual_sub_nc_u32 v12, 30, v12
	s_delay_alu instid0(VALU_DEP_1) | instskip(NEXT) | instid1(VALU_DEP_1)
	v_dual_lshlrev_b32 v5, 24, v5 :: v_dual_bitop2_b32 v7, 3, v7 bitop3:0x40
	v_dual_cndmask_b32 v12, v14, v12 :: v_dual_cndmask_b32 v7, v11, v7
	s_delay_alu instid0(VALU_DEP_2) | instskip(NEXT) | instid1(VALU_DEP_2)
	v_and_b32_e32 v5, 0x80000000, v5
	v_lshl_add_u32 v11, v12, 23, 0x37800000
	s_delay_alu instid0(VALU_DEP_3) | instskip(NEXT) | instid1(VALU_DEP_1)
	v_lshlrev_b32_e32 v7, 21, v7
	v_or3_b32 v5, v5, v11, v7
	s_delay_alu instid0(VALU_DEP_1)
	v_cvt_i32_f32_e32 v12, v5
.LBB54_3222:
	s_or_b32 exec_lo, exec_lo, s3
	s_mov_b32 s3, 0
	s_branch .LBB54_3228
.LBB54_3223:
	s_mov_b32 s3, -1
                                        ; implicit-def: $vgpr12
	s_branch .LBB54_3234
.LBB54_3224:
	s_and_not1_saveexec_b32 s25, s25
	s_cbranch_execz .LBB54_3209
.LBB54_3225:
	v_cmp_ne_u16_e32 vcc_lo, 0, v5
	s_and_not1_b32 s34, s34, exec_lo
	s_and_b32 s35, vcc_lo, exec_lo
	s_delay_alu instid0(SALU_CYCLE_1)
	s_or_b32 s34, s34, s35
	s_or_b32 exec_lo, exec_lo, s25
	v_mov_b32_e32 v12, 0
	s_and_saveexec_b32 s25, s34
	s_cbranch_execnz .LBB54_3210
	s_branch .LBB54_3211
.LBB54_3226:
	s_mov_b32 s3, -1
                                        ; implicit-def: $vgpr12
	s_branch .LBB54_3231
.LBB54_3227:
	s_mov_b32 s3, -1
                                        ; implicit-def: $vgpr12
.LBB54_3228:
	s_delay_alu instid0(SALU_CYCLE_1)
	s_and_b32 vcc_lo, exec_lo, s3
	s_cbranch_vccz .LBB54_3230
; %bb.3229:
	global_load_u8 v5, v[8:9], off
	s_wait_loadcnt 0x0
	v_lshlrev_b32_e32 v5, 24, v5
	s_delay_alu instid0(VALU_DEP_1) | instskip(NEXT) | instid1(VALU_DEP_1)
	v_and_b32_e32 v7, 0x7f000000, v5
	v_clz_i32_u32_e32 v11, v7
	v_add_nc_u32_e32 v13, 0x1000000, v7
	v_cmp_ne_u32_e32 vcc_lo, 0, v7
	s_delay_alu instid0(VALU_DEP_3) | instskip(NEXT) | instid1(VALU_DEP_1)
	v_min_u32_e32 v11, 32, v11
	v_sub_nc_u32_e64 v11, v11, 4 clamp
	s_delay_alu instid0(VALU_DEP_1) | instskip(NEXT) | instid1(VALU_DEP_1)
	v_lshlrev_b32_e32 v12, v11, v7
	v_dual_lshlrev_b32 v11, 23, v11 :: v_dual_lshrrev_b32 v12, 4, v12
	s_delay_alu instid0(VALU_DEP_1) | instskip(NEXT) | instid1(VALU_DEP_1)
	v_dual_sub_nc_u32 v11, v12, v11 :: v_dual_ashrrev_i32 v12, 8, v13
	v_add_nc_u32_e32 v11, 0x3c000000, v11
	s_delay_alu instid0(VALU_DEP_1) | instskip(NEXT) | instid1(VALU_DEP_1)
	v_and_or_b32 v11, 0x7f800000, v12, v11
	v_cndmask_b32_e32 v7, 0, v11, vcc_lo
	s_delay_alu instid0(VALU_DEP_1) | instskip(NEXT) | instid1(VALU_DEP_1)
	v_and_or_b32 v5, 0x80000000, v5, v7
	v_cvt_i32_f32_e32 v12, v5
.LBB54_3230:
	s_mov_b32 s3, 0
.LBB54_3231:
	s_delay_alu instid0(SALU_CYCLE_1)
	s_and_not1_b32 vcc_lo, exec_lo, s3
	s_cbranch_vccnz .LBB54_3233
; %bb.3232:
	global_load_u8 v5, v[8:9], off
	s_wait_loadcnt 0x0
	v_lshlrev_b32_e32 v7, 25, v5
	v_lshlrev_b16 v5, 8, v5
	s_delay_alu instid0(VALU_DEP_1) | instskip(SKIP_1) | instid1(VALU_DEP_2)
	v_and_or_b32 v12, 0x7f00, v5, 0.5
	v_bfe_i32 v5, v5, 0, 16
	v_dual_add_f32 v12, -0.5, v12 :: v_dual_lshrrev_b32 v11, 4, v7
	v_cmp_gt_u32_e32 vcc_lo, 0x8000000, v7
	s_delay_alu instid0(VALU_DEP_2) | instskip(NEXT) | instid1(VALU_DEP_1)
	v_or_b32_e32 v11, 0x70000000, v11
	v_mul_f32_e32 v11, 0x7800000, v11
	s_delay_alu instid0(VALU_DEP_1) | instskip(NEXT) | instid1(VALU_DEP_1)
	v_cndmask_b32_e32 v7, v11, v12, vcc_lo
	v_and_or_b32 v5, 0x80000000, v5, v7
	s_delay_alu instid0(VALU_DEP_1)
	v_cvt_i32_f32_e32 v12, v5
.LBB54_3233:
	s_mov_b32 s3, 0
	s_mov_b32 s25, -1
.LBB54_3234:
	s_and_not1_b32 vcc_lo, exec_lo, s3
	s_mov_b32 s3, 0
	s_cbranch_vccnz .LBB54_3245
; %bb.3235:
	s_cmp_gt_i32 s0, 14
	s_cbranch_scc0 .LBB54_3238
; %bb.3236:
	s_cmp_eq_u32 s0, 15
	s_cbranch_scc0 .LBB54_3241
; %bb.3237:
	global_load_u16 v5, v[8:9], off
	s_mov_b32 s1, 0
	s_mov_b32 s25, -1
	s_wait_loadcnt 0x0
	v_lshlrev_b32_e32 v5, 16, v5
	s_delay_alu instid0(VALU_DEP_1)
	v_cvt_i32_f32_e32 v12, v5
	s_branch .LBB54_3243
.LBB54_3238:
	s_mov_b32 s3, -1
	s_branch .LBB54_3242
.LBB54_3239:
	s_and_not1_saveexec_b32 s3, s3
	s_cbranch_execz .LBB54_3220
.LBB54_3240:
	v_cmp_ne_u16_e32 vcc_lo, 0, v5
	s_and_not1_b32 s25, s25, exec_lo
	s_and_b32 s34, vcc_lo, exec_lo
	s_delay_alu instid0(SALU_CYCLE_1)
	s_or_b32 s25, s25, s34
	s_or_b32 exec_lo, exec_lo, s3
	v_mov_b32_e32 v12, 0
	s_and_saveexec_b32 s3, s25
	s_cbranch_execnz .LBB54_3221
	s_branch .LBB54_3222
.LBB54_3241:
	s_mov_b32 s1, -1
.LBB54_3242:
                                        ; implicit-def: $vgpr12
.LBB54_3243:
	s_and_b32 vcc_lo, exec_lo, s3
	s_mov_b32 s3, 0
	s_cbranch_vccz .LBB54_3245
; %bb.3244:
	s_cmp_lg_u32 s0, 11
	s_mov_b32 s3, -1
	s_cselect_b32 s1, -1, 0
.LBB54_3245:
	s_delay_alu instid0(SALU_CYCLE_1)
	s_and_b32 vcc_lo, exec_lo, s1
	s_cbranch_vccnz .LBB54_3310
; %bb.3246:
	s_and_not1_b32 vcc_lo, exec_lo, s3
	s_cbranch_vccnz .LBB54_3248
.LBB54_3247:
	global_load_u8 v5, v[8:9], off
	s_mov_b32 s25, -1
	s_wait_loadcnt 0x0
	v_cmp_ne_u16_e32 vcc_lo, 0, v5
	v_cndmask_b32_e64 v12, 0, 1, vcc_lo
.LBB54_3248:
	s_mov_b32 s0, 0
.LBB54_3249:
	s_delay_alu instid0(SALU_CYCLE_1)
	s_and_b32 vcc_lo, exec_lo, s0
	s_cbranch_vccz .LBB54_3298
; %bb.3250:
	s_and_b32 s0, 0xffff, s58
	s_delay_alu instid0(SALU_CYCLE_1)
	s_cmp_lt_i32 s0, 5
	s_cbranch_scc1 .LBB54_3255
; %bb.3251:
	s_cmp_lt_i32 s0, 8
	s_cbranch_scc1 .LBB54_3256
; %bb.3252:
	;; [unrolled: 3-line block ×3, first 2 shown]
	s_cmp_gt_i32 s0, 9
	s_cbranch_scc0 .LBB54_3258
; %bb.3254:
	s_wait_loadcnt 0x0
	global_load_b64 v[12:13], v[8:9], off
	s_mov_b32 s1, 0
	s_wait_loadcnt 0x0
	v_cvt_i32_f64_e32 v12, v[12:13]
	s_branch .LBB54_3259
.LBB54_3255:
	s_mov_b32 s1, -1
                                        ; implicit-def: $vgpr12
	s_branch .LBB54_3277
.LBB54_3256:
	s_mov_b32 s1, -1
                                        ; implicit-def: $vgpr12
	s_branch .LBB54_3265
.LBB54_3257:
	s_mov_b32 s1, -1
                                        ; implicit-def: $vgpr12
	s_branch .LBB54_3262
.LBB54_3258:
	s_mov_b32 s1, -1
                                        ; implicit-def: $vgpr12
.LBB54_3259:
	s_delay_alu instid0(SALU_CYCLE_1)
	s_and_not1_b32 vcc_lo, exec_lo, s1
	s_cbranch_vccnz .LBB54_3261
; %bb.3260:
	global_load_b32 v5, v[8:9], off
	s_wait_loadcnt 0x0
	v_cvt_i32_f32_e32 v12, v5
.LBB54_3261:
	s_mov_b32 s1, 0
.LBB54_3262:
	s_delay_alu instid0(SALU_CYCLE_1)
	s_and_not1_b32 vcc_lo, exec_lo, s1
	s_cbranch_vccnz .LBB54_3264
; %bb.3263:
	global_load_b32 v5, v[8:9], off
	s_wait_loadcnt 0x0
	v_cvt_f32_f16_e32 v5, v5
	s_delay_alu instid0(VALU_DEP_1)
	v_cvt_i32_f32_e32 v12, v5
.LBB54_3264:
	s_mov_b32 s1, 0
.LBB54_3265:
	s_delay_alu instid0(SALU_CYCLE_1)
	s_and_not1_b32 vcc_lo, exec_lo, s1
	s_cbranch_vccnz .LBB54_3276
; %bb.3266:
	s_cmp_lt_i32 s0, 6
	s_cbranch_scc1 .LBB54_3269
; %bb.3267:
	s_cmp_gt_i32 s0, 6
	s_cbranch_scc0 .LBB54_3270
; %bb.3268:
	s_wait_loadcnt 0x0
	global_load_b64 v[12:13], v[8:9], off
	s_mov_b32 s1, 0
	s_wait_loadcnt 0x0
	v_cvt_i32_f64_e32 v12, v[12:13]
	s_branch .LBB54_3271
.LBB54_3269:
	s_mov_b32 s1, -1
                                        ; implicit-def: $vgpr12
	s_branch .LBB54_3274
.LBB54_3270:
	s_mov_b32 s1, -1
                                        ; implicit-def: $vgpr12
.LBB54_3271:
	s_delay_alu instid0(SALU_CYCLE_1)
	s_and_not1_b32 vcc_lo, exec_lo, s1
	s_cbranch_vccnz .LBB54_3273
; %bb.3272:
	global_load_b32 v5, v[8:9], off
	s_wait_loadcnt 0x0
	v_cvt_i32_f32_e32 v12, v5
.LBB54_3273:
	s_mov_b32 s1, 0
.LBB54_3274:
	s_delay_alu instid0(SALU_CYCLE_1)
	s_and_not1_b32 vcc_lo, exec_lo, s1
	s_cbranch_vccnz .LBB54_3276
; %bb.3275:
	global_load_u16 v5, v[8:9], off
	s_wait_loadcnt 0x0
	v_cvt_f32_f16_e32 v5, v5
	s_delay_alu instid0(VALU_DEP_1)
	v_cvt_i32_f32_e32 v12, v5
.LBB54_3276:
	s_mov_b32 s1, 0
.LBB54_3277:
	s_delay_alu instid0(SALU_CYCLE_1)
	s_and_not1_b32 vcc_lo, exec_lo, s1
	s_cbranch_vccnz .LBB54_3297
; %bb.3278:
	s_cmp_lt_i32 s0, 2
	s_cbranch_scc1 .LBB54_3282
; %bb.3279:
	s_cmp_lt_i32 s0, 3
	s_cbranch_scc1 .LBB54_3283
; %bb.3280:
	s_cmp_gt_i32 s0, 3
	s_cbranch_scc0 .LBB54_3284
; %bb.3281:
	s_wait_loadcnt 0x0
	global_load_b32 v12, v[8:9], off
	s_mov_b32 s1, 0
	s_branch .LBB54_3285
.LBB54_3282:
	s_mov_b32 s1, -1
                                        ; implicit-def: $vgpr12
	s_branch .LBB54_3291
.LBB54_3283:
	s_mov_b32 s1, -1
                                        ; implicit-def: $vgpr12
	s_branch .LBB54_3288
.LBB54_3284:
	s_mov_b32 s1, -1
                                        ; implicit-def: $vgpr12
.LBB54_3285:
	s_delay_alu instid0(SALU_CYCLE_1)
	s_and_not1_b32 vcc_lo, exec_lo, s1
	s_cbranch_vccnz .LBB54_3287
; %bb.3286:
	s_wait_loadcnt 0x0
	global_load_b32 v12, v[8:9], off
.LBB54_3287:
	s_mov_b32 s1, 0
.LBB54_3288:
	s_delay_alu instid0(SALU_CYCLE_1)
	s_and_not1_b32 vcc_lo, exec_lo, s1
	s_cbranch_vccnz .LBB54_3290
; %bb.3289:
	s_wait_loadcnt 0x0
	global_load_i16 v12, v[8:9], off
.LBB54_3290:
	s_mov_b32 s1, 0
.LBB54_3291:
	s_delay_alu instid0(SALU_CYCLE_1)
	s_and_not1_b32 vcc_lo, exec_lo, s1
	s_cbranch_vccnz .LBB54_3297
; %bb.3292:
	s_cmp_gt_i32 s0, 0
	s_mov_b32 s0, 0
	s_cbranch_scc0 .LBB54_3294
; %bb.3293:
	s_wait_loadcnt 0x0
	global_load_i8 v12, v[8:9], off
	s_branch .LBB54_3295
.LBB54_3294:
	s_mov_b32 s0, -1
                                        ; implicit-def: $vgpr12
.LBB54_3295:
	s_delay_alu instid0(SALU_CYCLE_1)
	s_and_not1_b32 vcc_lo, exec_lo, s0
	s_cbranch_vccnz .LBB54_3297
; %bb.3296:
	s_wait_loadcnt 0x0
	global_load_u8 v12, v[8:9], off
.LBB54_3297:
	s_mov_b32 s25, -1
.LBB54_3298:
	s_delay_alu instid0(SALU_CYCLE_1)
	s_and_not1_b32 vcc_lo, exec_lo, s25
	s_cbranch_vccnz .LBB54_3434
; %bb.3299:
	s_wait_xcnt 0x0
	v_mul_lo_u32 v8, s37, v22
	s_and_b32 s59, s21, 0xff
	s_delay_alu instid0(SALU_CYCLE_1) | instskip(NEXT) | instid1(VALU_DEP_1)
	s_cmp_lt_i32 s59, 11
	v_ashrrev_i32_e32 v9, 31, v8
	s_delay_alu instid0(VALU_DEP_1)
	v_add_nc_u64_e32 v[14:15], s[14:15], v[8:9]
	s_cbranch_scc1 .LBB54_3306
; %bb.3300:
	s_and_b32 s0, 0xffff, s59
	s_mov_b32 s3, 0
	s_cmp_gt_i32 s0, 25
	s_cbranch_scc0 .LBB54_3307
; %bb.3301:
	s_cmp_gt_i32 s0, 28
	s_cbranch_scc0 .LBB54_3308
; %bb.3302:
	;; [unrolled: 3-line block ×4, first 2 shown]
	s_cmp_eq_u32 s0, 46
	s_mov_b32 s25, 0
	s_cbranch_scc0 .LBB54_3312
; %bb.3305:
	global_load_b32 v5, v[14:15], off
	s_mov_b32 s1, 0
	s_mov_b32 s21, -1
	s_wait_loadcnt 0x0
	v_lshlrev_b32_e32 v5, 16, v5
	s_delay_alu instid0(VALU_DEP_1)
	v_cvt_i32_f32_e32 v16, v5
	s_branch .LBB54_3314
.LBB54_3306:
	s_mov_b32 s0, -1
	s_mov_b32 s21, 0
                                        ; implicit-def: $vgpr16
	s_branch .LBB54_3376
.LBB54_3307:
	s_mov_b32 s25, -1
	s_mov_b32 s21, 0
	s_mov_b32 s1, 0
                                        ; implicit-def: $vgpr16
	s_branch .LBB54_3341
.LBB54_3308:
	s_mov_b32 s25, -1
	s_mov_b32 s21, 0
	s_mov_b32 s1, 0
                                        ; implicit-def: $vgpr16
	s_branch .LBB54_3324
.LBB54_3309:
	s_mov_b32 s25, -1
	s_mov_b32 s21, 0
	s_mov_b32 s1, 0
                                        ; implicit-def: $vgpr16
	s_branch .LBB54_3319
.LBB54_3310:
	s_or_b32 s33, s33, exec_lo
	s_trap 2
	s_cbranch_execz .LBB54_3247
	s_branch .LBB54_3248
.LBB54_3311:
	s_mov_b32 s25, -1
	s_mov_b32 s21, 0
	s_mov_b32 s1, 0
	s_branch .LBB54_3313
.LBB54_3312:
	s_mov_b32 s1, -1
	s_mov_b32 s21, 0
.LBB54_3313:
                                        ; implicit-def: $vgpr16
.LBB54_3314:
	s_and_b32 vcc_lo, exec_lo, s25
	s_cbranch_vccz .LBB54_3318
; %bb.3315:
	s_cmp_eq_u32 s0, 44
	s_cbranch_scc0 .LBB54_3317
; %bb.3316:
	global_load_u8 v5, v[14:15], off
	s_mov_b32 s1, 0
	s_mov_b32 s21, -1
	s_wait_loadcnt 0x0
	v_lshlrev_b32_e32 v7, 23, v5
	v_cmp_ne_u32_e32 vcc_lo, 0, v5
	s_delay_alu instid0(VALU_DEP_2) | instskip(NEXT) | instid1(VALU_DEP_1)
	v_cvt_i32_f32_e32 v7, v7
	v_cndmask_b32_e32 v16, 0, v7, vcc_lo
	s_branch .LBB54_3318
.LBB54_3317:
	s_mov_b32 s1, -1
                                        ; implicit-def: $vgpr16
.LBB54_3318:
	s_mov_b32 s25, 0
.LBB54_3319:
	s_delay_alu instid0(SALU_CYCLE_1)
	s_and_b32 vcc_lo, exec_lo, s25
	s_cbranch_vccz .LBB54_3323
; %bb.3320:
	s_cmp_eq_u32 s0, 29
	s_cbranch_scc0 .LBB54_3322
; %bb.3321:
	global_load_b32 v16, v[14:15], off
	s_mov_b32 s1, 0
	s_mov_b32 s21, -1
	s_branch .LBB54_3323
.LBB54_3322:
	s_mov_b32 s1, -1
                                        ; implicit-def: $vgpr16
.LBB54_3323:
	s_mov_b32 s25, 0
.LBB54_3324:
	s_delay_alu instid0(SALU_CYCLE_1)
	s_and_b32 vcc_lo, exec_lo, s25
	s_cbranch_vccz .LBB54_3340
; %bb.3325:
	s_cmp_lt_i32 s0, 27
	s_cbranch_scc1 .LBB54_3328
; %bb.3326:
	s_cmp_gt_i32 s0, 27
	s_cbranch_scc0 .LBB54_3329
; %bb.3327:
	s_wait_loadcnt 0x0
	global_load_b32 v16, v[14:15], off
	s_mov_b32 s21, 0
	s_branch .LBB54_3330
.LBB54_3328:
	s_mov_b32 s21, -1
                                        ; implicit-def: $vgpr16
	s_branch .LBB54_3333
.LBB54_3329:
	s_mov_b32 s21, -1
                                        ; implicit-def: $vgpr16
.LBB54_3330:
	s_delay_alu instid0(SALU_CYCLE_1)
	s_and_not1_b32 vcc_lo, exec_lo, s21
	s_cbranch_vccnz .LBB54_3332
; %bb.3331:
	s_wait_loadcnt 0x0
	global_load_u16 v16, v[14:15], off
.LBB54_3332:
	s_mov_b32 s21, 0
.LBB54_3333:
	s_delay_alu instid0(SALU_CYCLE_1)
	s_and_not1_b32 vcc_lo, exec_lo, s21
	s_cbranch_vccnz .LBB54_3339
; %bb.3334:
	global_load_u8 v5, v[14:15], off
	s_mov_b32 s25, 0
	s_mov_b32 s21, exec_lo
	s_wait_loadcnt 0x0
	v_cmpx_lt_i16_e32 0x7f, v5
	s_xor_b32 s21, exec_lo, s21
	s_cbranch_execz .LBB54_3351
; %bb.3335:
	v_cmp_ne_u16_e32 vcc_lo, 0x80, v5
	s_and_b32 s25, vcc_lo, exec_lo
	s_and_not1_saveexec_b32 s21, s21
	s_cbranch_execnz .LBB54_3352
.LBB54_3336:
	s_or_b32 exec_lo, exec_lo, s21
	v_mov_b32_e32 v16, 0
	s_and_saveexec_b32 s21, s25
	s_cbranch_execz .LBB54_3338
.LBB54_3337:
	v_and_b32_e32 v7, 0xffff, v5
	s_delay_alu instid0(VALU_DEP_1) | instskip(SKIP_1) | instid1(VALU_DEP_2)
	v_dual_lshlrev_b32 v5, 24, v5 :: v_dual_bitop2_b32 v9, 7, v7 bitop3:0x40
	v_bfe_u32 v16, v7, 3, 4
	v_and_b32_e32 v5, 0x80000000, v5
	s_delay_alu instid0(VALU_DEP_3) | instskip(NEXT) | instid1(VALU_DEP_3)
	v_clz_i32_u32_e32 v11, v9
	v_cmp_eq_u32_e32 vcc_lo, 0, v16
	s_delay_alu instid0(VALU_DEP_2) | instskip(NEXT) | instid1(VALU_DEP_1)
	v_min_u32_e32 v11, 32, v11
	v_subrev_nc_u32_e32 v13, 28, v11
	v_sub_nc_u32_e32 v11, 29, v11
	s_delay_alu instid0(VALU_DEP_2) | instskip(NEXT) | instid1(VALU_DEP_2)
	v_lshlrev_b32_e32 v7, v13, v7
	v_cndmask_b32_e32 v11, v16, v11, vcc_lo
	s_delay_alu instid0(VALU_DEP_2) | instskip(NEXT) | instid1(VALU_DEP_1)
	v_and_b32_e32 v7, 7, v7
	v_cndmask_b32_e32 v7, v9, v7, vcc_lo
	s_delay_alu instid0(VALU_DEP_3) | instskip(NEXT) | instid1(VALU_DEP_2)
	v_lshl_add_u32 v9, v11, 23, 0x3b800000
	v_lshlrev_b32_e32 v7, 20, v7
	s_delay_alu instid0(VALU_DEP_1) | instskip(NEXT) | instid1(VALU_DEP_1)
	v_or3_b32 v5, v5, v9, v7
	v_cvt_i32_f32_e32 v16, v5
.LBB54_3338:
	s_or_b32 exec_lo, exec_lo, s21
.LBB54_3339:
	s_mov_b32 s21, -1
.LBB54_3340:
	s_mov_b32 s25, 0
.LBB54_3341:
	s_delay_alu instid0(SALU_CYCLE_1)
	s_and_b32 vcc_lo, exec_lo, s25
	s_cbranch_vccz .LBB54_3372
; %bb.3342:
	s_cmp_gt_i32 s0, 22
	s_cbranch_scc0 .LBB54_3350
; %bb.3343:
	s_cmp_lt_i32 s0, 24
	s_cbranch_scc1 .LBB54_3353
; %bb.3344:
	s_cmp_gt_i32 s0, 24
	s_cbranch_scc0 .LBB54_3354
; %bb.3345:
	global_load_u8 v5, v[14:15], off
	s_mov_b32 s21, 0
	s_mov_b32 s3, exec_lo
	s_wait_loadcnt 0x0
	v_cmpx_lt_i16_e32 0x7f, v5
	s_xor_b32 s3, exec_lo, s3
	s_cbranch_execz .LBB54_3366
; %bb.3346:
	v_cmp_ne_u16_e32 vcc_lo, 0x80, v5
	s_and_b32 s21, vcc_lo, exec_lo
	s_and_not1_saveexec_b32 s3, s3
	s_cbranch_execnz .LBB54_3367
.LBB54_3347:
	s_or_b32 exec_lo, exec_lo, s3
	v_mov_b32_e32 v16, 0
	s_and_saveexec_b32 s3, s21
	s_cbranch_execz .LBB54_3349
.LBB54_3348:
	v_and_b32_e32 v7, 0xffff, v5
	s_delay_alu instid0(VALU_DEP_1) | instskip(SKIP_1) | instid1(VALU_DEP_2)
	v_dual_lshlrev_b32 v5, 24, v5 :: v_dual_bitop2_b32 v9, 3, v7 bitop3:0x40
	v_bfe_u32 v16, v7, 2, 5
	v_and_b32_e32 v5, 0x80000000, v5
	s_delay_alu instid0(VALU_DEP_3) | instskip(NEXT) | instid1(VALU_DEP_3)
	v_clz_i32_u32_e32 v11, v9
	v_cmp_eq_u32_e32 vcc_lo, 0, v16
	s_delay_alu instid0(VALU_DEP_2) | instskip(NEXT) | instid1(VALU_DEP_1)
	v_min_u32_e32 v11, 32, v11
	v_subrev_nc_u32_e32 v13, 29, v11
	v_sub_nc_u32_e32 v11, 30, v11
	s_delay_alu instid0(VALU_DEP_2) | instskip(NEXT) | instid1(VALU_DEP_2)
	v_lshlrev_b32_e32 v7, v13, v7
	v_cndmask_b32_e32 v11, v16, v11, vcc_lo
	s_delay_alu instid0(VALU_DEP_2) | instskip(NEXT) | instid1(VALU_DEP_1)
	v_and_b32_e32 v7, 3, v7
	v_cndmask_b32_e32 v7, v9, v7, vcc_lo
	s_delay_alu instid0(VALU_DEP_3) | instskip(NEXT) | instid1(VALU_DEP_2)
	v_lshl_add_u32 v9, v11, 23, 0x37800000
	v_lshlrev_b32_e32 v7, 21, v7
	s_delay_alu instid0(VALU_DEP_1) | instskip(NEXT) | instid1(VALU_DEP_1)
	v_or3_b32 v5, v5, v9, v7
	v_cvt_i32_f32_e32 v16, v5
.LBB54_3349:
	s_or_b32 exec_lo, exec_lo, s3
	s_mov_b32 s3, 0
	s_branch .LBB54_3355
.LBB54_3350:
	s_mov_b32 s3, -1
                                        ; implicit-def: $vgpr16
	s_branch .LBB54_3361
.LBB54_3351:
	s_and_not1_saveexec_b32 s21, s21
	s_cbranch_execz .LBB54_3336
.LBB54_3352:
	v_cmp_ne_u16_e32 vcc_lo, 0, v5
	s_and_not1_b32 s25, s25, exec_lo
	s_and_b32 s34, vcc_lo, exec_lo
	s_delay_alu instid0(SALU_CYCLE_1)
	s_or_b32 s25, s25, s34
	s_or_b32 exec_lo, exec_lo, s21
	v_mov_b32_e32 v16, 0
	s_and_saveexec_b32 s21, s25
	s_cbranch_execnz .LBB54_3337
	s_branch .LBB54_3338
.LBB54_3353:
	s_mov_b32 s3, -1
                                        ; implicit-def: $vgpr16
	s_branch .LBB54_3358
.LBB54_3354:
	s_mov_b32 s3, -1
                                        ; implicit-def: $vgpr16
.LBB54_3355:
	s_delay_alu instid0(SALU_CYCLE_1)
	s_and_b32 vcc_lo, exec_lo, s3
	s_cbranch_vccz .LBB54_3357
; %bb.3356:
	global_load_u8 v5, v[14:15], off
	s_wait_loadcnt 0x0
	v_lshlrev_b32_e32 v5, 24, v5
	s_delay_alu instid0(VALU_DEP_1) | instskip(NEXT) | instid1(VALU_DEP_1)
	v_and_b32_e32 v7, 0x7f000000, v5
	v_clz_i32_u32_e32 v9, v7
	v_add_nc_u32_e32 v13, 0x1000000, v7
	v_cmp_ne_u32_e32 vcc_lo, 0, v7
	s_delay_alu instid0(VALU_DEP_3) | instskip(NEXT) | instid1(VALU_DEP_1)
	v_min_u32_e32 v9, 32, v9
	v_sub_nc_u32_e64 v9, v9, 4 clamp
	s_delay_alu instid0(VALU_DEP_1) | instskip(NEXT) | instid1(VALU_DEP_1)
	v_dual_lshlrev_b32 v11, v9, v7 :: v_dual_lshlrev_b32 v9, 23, v9
	v_lshrrev_b32_e32 v11, 4, v11
	s_delay_alu instid0(VALU_DEP_1) | instskip(SKIP_1) | instid1(VALU_DEP_2)
	v_sub_nc_u32_e32 v9, v11, v9
	v_ashrrev_i32_e32 v11, 8, v13
	v_add_nc_u32_e32 v9, 0x3c000000, v9
	s_delay_alu instid0(VALU_DEP_1) | instskip(NEXT) | instid1(VALU_DEP_1)
	v_and_or_b32 v9, 0x7f800000, v11, v9
	v_cndmask_b32_e32 v7, 0, v9, vcc_lo
	s_delay_alu instid0(VALU_DEP_1) | instskip(NEXT) | instid1(VALU_DEP_1)
	v_and_or_b32 v5, 0x80000000, v5, v7
	v_cvt_i32_f32_e32 v16, v5
.LBB54_3357:
	s_mov_b32 s3, 0
.LBB54_3358:
	s_delay_alu instid0(SALU_CYCLE_1)
	s_and_not1_b32 vcc_lo, exec_lo, s3
	s_cbranch_vccnz .LBB54_3360
; %bb.3359:
	global_load_u8 v5, v[14:15], off
	s_wait_loadcnt 0x0
	v_lshlrev_b32_e32 v7, 25, v5
	v_lshlrev_b16 v5, 8, v5
	s_delay_alu instid0(VALU_DEP_1) | instskip(SKIP_1) | instid1(VALU_DEP_2)
	v_and_or_b32 v11, 0x7f00, v5, 0.5
	v_bfe_i32 v5, v5, 0, 16
	v_add_f32_e32 v11, -0.5, v11
	v_lshrrev_b32_e32 v9, 4, v7
	v_cmp_gt_u32_e32 vcc_lo, 0x8000000, v7
	s_delay_alu instid0(VALU_DEP_2) | instskip(NEXT) | instid1(VALU_DEP_1)
	v_or_b32_e32 v9, 0x70000000, v9
	v_mul_f32_e32 v9, 0x7800000, v9
	s_delay_alu instid0(VALU_DEP_1) | instskip(NEXT) | instid1(VALU_DEP_1)
	v_cndmask_b32_e32 v7, v9, v11, vcc_lo
	v_and_or_b32 v5, 0x80000000, v5, v7
	s_delay_alu instid0(VALU_DEP_1)
	v_cvt_i32_f32_e32 v16, v5
.LBB54_3360:
	s_mov_b32 s3, 0
	s_mov_b32 s21, -1
.LBB54_3361:
	s_and_not1_b32 vcc_lo, exec_lo, s3
	s_mov_b32 s3, 0
	s_cbranch_vccnz .LBB54_3372
; %bb.3362:
	s_cmp_gt_i32 s0, 14
	s_cbranch_scc0 .LBB54_3365
; %bb.3363:
	s_cmp_eq_u32 s0, 15
	s_cbranch_scc0 .LBB54_3368
; %bb.3364:
	global_load_u16 v5, v[14:15], off
	s_mov_b32 s1, 0
	s_mov_b32 s21, -1
	s_wait_loadcnt 0x0
	v_lshlrev_b32_e32 v5, 16, v5
	s_delay_alu instid0(VALU_DEP_1)
	v_cvt_i32_f32_e32 v16, v5
	s_branch .LBB54_3370
.LBB54_3365:
	s_mov_b32 s3, -1
	s_branch .LBB54_3369
.LBB54_3366:
	s_and_not1_saveexec_b32 s3, s3
	s_cbranch_execz .LBB54_3347
.LBB54_3367:
	v_cmp_ne_u16_e32 vcc_lo, 0, v5
	s_and_not1_b32 s21, s21, exec_lo
	s_and_b32 s25, vcc_lo, exec_lo
	s_delay_alu instid0(SALU_CYCLE_1)
	s_or_b32 s21, s21, s25
	s_or_b32 exec_lo, exec_lo, s3
	v_mov_b32_e32 v16, 0
	s_and_saveexec_b32 s3, s21
	s_cbranch_execnz .LBB54_3348
	s_branch .LBB54_3349
.LBB54_3368:
	s_mov_b32 s1, -1
.LBB54_3369:
                                        ; implicit-def: $vgpr16
.LBB54_3370:
	s_and_b32 vcc_lo, exec_lo, s3
	s_mov_b32 s3, 0
	s_cbranch_vccz .LBB54_3372
; %bb.3371:
	s_cmp_lg_u32 s0, 11
	s_mov_b32 s3, -1
	s_cselect_b32 s1, -1, 0
.LBB54_3372:
	s_delay_alu instid0(SALU_CYCLE_1)
	s_and_b32 vcc_lo, exec_lo, s1
	s_cbranch_vccnz .LBB54_3499
; %bb.3373:
	s_and_not1_b32 vcc_lo, exec_lo, s3
	s_cbranch_vccnz .LBB54_3375
.LBB54_3374:
	global_load_u8 v5, v[14:15], off
	s_mov_b32 s21, -1
	s_wait_loadcnt 0x0
	v_cmp_ne_u16_e32 vcc_lo, 0, v5
	v_cndmask_b32_e64 v16, 0, 1, vcc_lo
.LBB54_3375:
	s_mov_b32 s0, 0
.LBB54_3376:
	s_delay_alu instid0(SALU_CYCLE_1)
	s_and_b32 vcc_lo, exec_lo, s0
	s_cbranch_vccz .LBB54_3425
; %bb.3377:
	s_and_b32 s0, 0xffff, s59
	s_delay_alu instid0(SALU_CYCLE_1)
	s_cmp_lt_i32 s0, 5
	s_cbranch_scc1 .LBB54_3382
; %bb.3378:
	s_cmp_lt_i32 s0, 8
	s_cbranch_scc1 .LBB54_3383
; %bb.3379:
	;; [unrolled: 3-line block ×3, first 2 shown]
	s_cmp_gt_i32 s0, 9
	s_cbranch_scc0 .LBB54_3385
; %bb.3381:
	s_wait_loadcnt 0x0
	global_load_b64 v[16:17], v[14:15], off
	s_mov_b32 s1, 0
	s_wait_loadcnt 0x0
	v_cvt_i32_f64_e32 v16, v[16:17]
	s_branch .LBB54_3386
.LBB54_3382:
	s_mov_b32 s1, -1
                                        ; implicit-def: $vgpr16
	s_branch .LBB54_3404
.LBB54_3383:
	s_mov_b32 s1, -1
                                        ; implicit-def: $vgpr16
	s_branch .LBB54_3392
.LBB54_3384:
	s_mov_b32 s1, -1
                                        ; implicit-def: $vgpr16
	s_branch .LBB54_3389
.LBB54_3385:
	s_mov_b32 s1, -1
                                        ; implicit-def: $vgpr16
.LBB54_3386:
	s_delay_alu instid0(SALU_CYCLE_1)
	s_and_not1_b32 vcc_lo, exec_lo, s1
	s_cbranch_vccnz .LBB54_3388
; %bb.3387:
	global_load_b32 v5, v[14:15], off
	s_wait_loadcnt 0x0
	v_cvt_i32_f32_e32 v16, v5
.LBB54_3388:
	s_mov_b32 s1, 0
.LBB54_3389:
	s_delay_alu instid0(SALU_CYCLE_1)
	s_and_not1_b32 vcc_lo, exec_lo, s1
	s_cbranch_vccnz .LBB54_3391
; %bb.3390:
	global_load_b32 v5, v[14:15], off
	s_wait_loadcnt 0x0
	v_cvt_f32_f16_e32 v5, v5
	s_delay_alu instid0(VALU_DEP_1)
	v_cvt_i32_f32_e32 v16, v5
.LBB54_3391:
	s_mov_b32 s1, 0
.LBB54_3392:
	s_delay_alu instid0(SALU_CYCLE_1)
	s_and_not1_b32 vcc_lo, exec_lo, s1
	s_cbranch_vccnz .LBB54_3403
; %bb.3393:
	s_cmp_lt_i32 s0, 6
	s_cbranch_scc1 .LBB54_3396
; %bb.3394:
	s_cmp_gt_i32 s0, 6
	s_cbranch_scc0 .LBB54_3397
; %bb.3395:
	s_wait_loadcnt 0x0
	global_load_b64 v[16:17], v[14:15], off
	s_mov_b32 s1, 0
	s_wait_loadcnt 0x0
	v_cvt_i32_f64_e32 v16, v[16:17]
	s_branch .LBB54_3398
.LBB54_3396:
	s_mov_b32 s1, -1
                                        ; implicit-def: $vgpr16
	s_branch .LBB54_3401
.LBB54_3397:
	s_mov_b32 s1, -1
                                        ; implicit-def: $vgpr16
.LBB54_3398:
	s_delay_alu instid0(SALU_CYCLE_1)
	s_and_not1_b32 vcc_lo, exec_lo, s1
	s_cbranch_vccnz .LBB54_3400
; %bb.3399:
	global_load_b32 v5, v[14:15], off
	s_wait_loadcnt 0x0
	v_cvt_i32_f32_e32 v16, v5
.LBB54_3400:
	s_mov_b32 s1, 0
.LBB54_3401:
	s_delay_alu instid0(SALU_CYCLE_1)
	s_and_not1_b32 vcc_lo, exec_lo, s1
	s_cbranch_vccnz .LBB54_3403
; %bb.3402:
	global_load_u16 v5, v[14:15], off
	s_wait_loadcnt 0x0
	v_cvt_f32_f16_e32 v5, v5
	s_delay_alu instid0(VALU_DEP_1)
	v_cvt_i32_f32_e32 v16, v5
.LBB54_3403:
	s_mov_b32 s1, 0
.LBB54_3404:
	s_delay_alu instid0(SALU_CYCLE_1)
	s_and_not1_b32 vcc_lo, exec_lo, s1
	s_cbranch_vccnz .LBB54_3424
; %bb.3405:
	s_cmp_lt_i32 s0, 2
	s_cbranch_scc1 .LBB54_3409
; %bb.3406:
	s_cmp_lt_i32 s0, 3
	s_cbranch_scc1 .LBB54_3410
; %bb.3407:
	s_cmp_gt_i32 s0, 3
	s_cbranch_scc0 .LBB54_3411
; %bb.3408:
	s_wait_loadcnt 0x0
	global_load_b32 v16, v[14:15], off
	s_mov_b32 s1, 0
	s_branch .LBB54_3412
.LBB54_3409:
	s_mov_b32 s1, -1
                                        ; implicit-def: $vgpr16
	s_branch .LBB54_3418
.LBB54_3410:
	s_mov_b32 s1, -1
                                        ; implicit-def: $vgpr16
	s_branch .LBB54_3415
.LBB54_3411:
	s_mov_b32 s1, -1
                                        ; implicit-def: $vgpr16
.LBB54_3412:
	s_delay_alu instid0(SALU_CYCLE_1)
	s_and_not1_b32 vcc_lo, exec_lo, s1
	s_cbranch_vccnz .LBB54_3414
; %bb.3413:
	s_wait_loadcnt 0x0
	global_load_b32 v16, v[14:15], off
.LBB54_3414:
	s_mov_b32 s1, 0
.LBB54_3415:
	s_delay_alu instid0(SALU_CYCLE_1)
	s_and_not1_b32 vcc_lo, exec_lo, s1
	s_cbranch_vccnz .LBB54_3417
; %bb.3416:
	s_wait_loadcnt 0x0
	global_load_i16 v16, v[14:15], off
.LBB54_3417:
	s_mov_b32 s1, 0
.LBB54_3418:
	s_delay_alu instid0(SALU_CYCLE_1)
	s_and_not1_b32 vcc_lo, exec_lo, s1
	s_cbranch_vccnz .LBB54_3424
; %bb.3419:
	s_cmp_gt_i32 s0, 0
	s_mov_b32 s0, 0
	s_cbranch_scc0 .LBB54_3421
; %bb.3420:
	s_wait_loadcnt 0x0
	global_load_i8 v16, v[14:15], off
	s_branch .LBB54_3422
.LBB54_3421:
	s_mov_b32 s0, -1
                                        ; implicit-def: $vgpr16
.LBB54_3422:
	s_delay_alu instid0(SALU_CYCLE_1)
	s_and_not1_b32 vcc_lo, exec_lo, s0
	s_cbranch_vccnz .LBB54_3424
; %bb.3423:
	s_wait_loadcnt 0x0
	global_load_u8 v16, v[14:15], off
.LBB54_3424:
	s_mov_b32 s21, -1
.LBB54_3425:
	s_delay_alu instid0(SALU_CYCLE_1)
	s_and_not1_b32 vcc_lo, exec_lo, s21
	s_cbranch_vccnz .LBB54_3434
; %bb.3426:
	s_get_pc_i64 s[0:1]
	s_add_nc_u64 s[0:1], s[0:1], .str.1@rel64+4
	s_wait_loadcnt 0x0
	v_cmp_ne_u32_e32 vcc_lo, s38, v1
	s_cmp_eq_u64 s[0:1], 0
	s_cselect_b32 s0, -1, 0
	s_delay_alu instid0(SALU_CYCLE_1) | instskip(SKIP_2) | instid1(SALU_CYCLE_1)
	s_or_b32 s0, s0, vcc_lo
	s_wait_xcnt 0x0
	s_and_saveexec_b32 s1, s0
	s_xor_b32 s0, exec_lo, s1
	s_cbranch_execnz .LBB54_3809
.LBB54_3427:
	s_or_saveexec_b32 s3, s0
	s_mov_b32 s1, 0
	s_mov_b32 s25, 0
                                        ; implicit-def: $sgpr0
                                        ; implicit-def: $vgpr14_vgpr15
	s_xor_b32 exec_lo, exec_lo, s3
	s_cbranch_execz .LBB54_4323
; %bb.3428:
	s_get_pc_i64 s[0:1]
	s_add_nc_u64 s[0:1], s[0:1], .str.2@rel64+4
	v_cmp_ne_u32_e32 vcc_lo, s22, v3
	s_cmp_eq_u64 s[0:1], 0
	s_mov_b32 s21, s33
	s_cselect_b32 s0, -1, 0
	s_delay_alu instid0(SALU_CYCLE_1) | instskip(NEXT) | instid1(SALU_CYCLE_1)
	s_or_b32 s0, s0, vcc_lo
	s_and_saveexec_b32 s1, s0
	s_delay_alu instid0(SALU_CYCLE_1)
	s_xor_b32 s0, exec_lo, s1
	s_cbranch_execnz .LBB54_3938
.LBB54_3429:
	s_or_saveexec_b32 s25, s0
	s_mov_b32 s1, 0
	s_mov_b32 s34, 0
                                        ; implicit-def: $sgpr0
                                        ; implicit-def: $vgpr14_vgpr15
	s_xor_b32 exec_lo, exec_lo, s25
	s_cbranch_execz .LBB54_4322
; %bb.3430:
	v_sub_nc_u32_e32 v1, v12, v10
	s_get_pc_i64 s[34:35]
	s_add_nc_u64 s[34:35], s[34:35], .str.3@rel64+4
	s_mov_b32 s39, s21
	s_delay_alu instid0(VALU_DEP_1) | instskip(SKIP_4) | instid1(SALU_CYCLE_1)
	v_cmp_gt_i32_e32 vcc_lo, s38, v1
	v_cmp_lt_i32_e64 s0, s20, v1
	s_or_b32 s0, vcc_lo, s0
	s_cmp_eq_u64 s[34:35], 0
	s_cselect_b32 s1, -1, 0
	s_or_b32 s0, s1, s0
	s_delay_alu instid0(SALU_CYCLE_1) | instskip(NEXT) | instid1(SALU_CYCLE_1)
	s_and_saveexec_b32 s1, s0
	s_xor_b32 s0, exec_lo, s1
	s_cbranch_execnz .LBB54_4067
.LBB54_3431:
	s_or_saveexec_b32 s54, s0
	s_mov_b32 s1, 0
	s_mov_b32 s34, 0
                                        ; implicit-def: $sgpr0
                                        ; implicit-def: $vgpr14_vgpr15
	s_xor_b32 exec_lo, exec_lo, s54
	s_cbranch_execz .LBB54_4321
; %bb.3432:
	v_cmp_gt_i64_e64 s0, s[22:23], 0
	s_add_co_i32 s34, s24, -1
	v_mov_b64_e32 v[14:15], 0
	s_cmp_gt_i32 s34, -1
	s_cselect_b32 s1, -1, 0
	s_delay_alu instid0(SALU_CYCLE_1) | instskip(NEXT) | instid1(SALU_CYCLE_1)
	s_and_b32 s0, s0, s1
	v_cndmask_b32_e64 v23, 0, 1, s0
	s_delay_alu instid0(VALU_DEP_1)
	v_cmp_ne_u32_e32 vcc_lo, 1, v23
	s_cbranch_vccnz .LBB54_3484
; %bb.3433:
	v_ashrrev_i32_e32 v17, 31, v16
	s_mov_b32 s1, 0
	v_mov_b64_e32 v[14:15], 0
	s_mov_b32 s35, s1
	s_mov_b64 s[40:41], 0xffffffff
	v_mul_u64_e32 v[18:19], s[22:23], v[16:17]
	v_mov_b32_e32 v16, 0
	s_lshl_b64 s[44:45], s[34:35], 3
	s_mov_b32 s35, s24
	s_add_nc_u64 s[42:43], s[26:27], s[44:45]
	s_add_nc_u64 s[44:45], s[28:29], s[44:45]
	s_branch .LBB54_3480
.LBB54_3434:
	s_mov_b32 s1, 0
	s_mov_b32 s25, 0
                                        ; implicit-def: $sgpr0
                                        ; implicit-def: $vgpr14_vgpr15
.LBB54_3435:
	s_and_not1_b32 s2, s52, exec_lo
	s_and_b32 s3, s33, exec_lo
	s_and_b32 s35, s25, exec_lo
	;; [unrolled: 1-line block ×3, first 2 shown]
	s_or_b32 s52, s2, s3
.LBB54_3436:
	s_wait_xcnt 0x0
	s_or_b32 exec_lo, exec_lo, s53
	s_and_saveexec_b32 s1, s52
	s_cbranch_execz .LBB54_3439
; %bb.3437:
	; divergent unreachable
	s_or_b32 exec_lo, exec_lo, s1
	s_and_saveexec_b32 s1, s33
	s_delay_alu instid0(SALU_CYCLE_1)
	s_xor_b32 s1, exec_lo, s1
	s_cbranch_execnz .LBB54_3440
.LBB54_3438:
	s_or_b32 exec_lo, exec_lo, s1
	s_and_saveexec_b32 s1, s35
	s_cbranch_execnz .LBB54_3441
	s_branch .LBB54_3478
.LBB54_3439:
	s_or_b32 exec_lo, exec_lo, s1
	s_and_saveexec_b32 s1, s33
	s_delay_alu instid0(SALU_CYCLE_1)
	s_xor_b32 s1, exec_lo, s1
	s_cbranch_execz .LBB54_3438
.LBB54_3440:
	s_wait_loadcnt 0x0
	v_mov_b32_e32 v0, 0
	global_store_b8 v[14:15], v0, off
	s_wait_xcnt 0x0
	s_or_b32 exec_lo, exec_lo, s1
	s_and_saveexec_b32 s1, s35
	s_cbranch_execz .LBB54_3478
.LBB54_3441:
	s_sext_i32_i16 s2, s0
	s_mov_b32 s1, -1
	s_cmp_lt_i32 s2, 5
	s_cbranch_scc1 .LBB54_3462
; %bb.3442:
	s_cmp_lt_i32 s2, 8
	s_cbranch_scc1 .LBB54_3452
; %bb.3443:
	;; [unrolled: 3-line block ×3, first 2 shown]
	s_cmp_gt_i32 s2, 9
	s_cbranch_scc0 .LBB54_3446
; %bb.3445:
	s_wait_loadcnt 0x0
	v_mov_b32_e32 v0, 0
	s_mov_b32 s1, 0
	s_delay_alu instid0(VALU_DEP_1)
	v_dual_mov_b32 v1, v0 :: v_dual_mov_b32 v2, v0
	v_mov_b32_e32 v3, v0
	global_store_b128 v[14:15], v[0:3], off
.LBB54_3446:
	s_and_not1_b32 vcc_lo, exec_lo, s1
	s_cbranch_vccnz .LBB54_3448
; %bb.3447:
	s_wait_loadcnt 0x0
	v_mov_b64_e32 v[0:1], 0
	global_store_b64 v[14:15], v[0:1], off
.LBB54_3448:
	s_mov_b32 s1, 0
.LBB54_3449:
	s_delay_alu instid0(SALU_CYCLE_1)
	s_and_not1_b32 vcc_lo, exec_lo, s1
	s_cbranch_vccnz .LBB54_3451
; %bb.3450:
	s_wait_loadcnt 0x0
	v_mov_b32_e32 v0, 0
	global_store_b32 v[14:15], v0, off
.LBB54_3451:
	s_mov_b32 s1, 0
.LBB54_3452:
	s_delay_alu instid0(SALU_CYCLE_1)
	s_and_not1_b32 vcc_lo, exec_lo, s1
	s_cbranch_vccnz .LBB54_3461
; %bb.3453:
	s_sext_i32_i16 s2, s0
	s_mov_b32 s1, -1
	s_cmp_lt_i32 s2, 6
	s_cbranch_scc1 .LBB54_3459
; %bb.3454:
	s_cmp_gt_i32 s2, 6
	s_cbranch_scc0 .LBB54_3456
; %bb.3455:
	s_wait_loadcnt 0x0
	v_mov_b64_e32 v[0:1], 0
	s_mov_b32 s1, 0
	global_store_b64 v[14:15], v[0:1], off
.LBB54_3456:
	s_and_not1_b32 vcc_lo, exec_lo, s1
	s_cbranch_vccnz .LBB54_3458
; %bb.3457:
	s_wait_loadcnt 0x0
	v_mov_b32_e32 v0, 0
	global_store_b32 v[14:15], v0, off
.LBB54_3458:
	s_mov_b32 s1, 0
.LBB54_3459:
	s_delay_alu instid0(SALU_CYCLE_1)
	s_and_not1_b32 vcc_lo, exec_lo, s1
	s_cbranch_vccnz .LBB54_3461
; %bb.3460:
	s_wait_loadcnt 0x0
	v_mov_b32_e32 v0, 0
	global_store_b16 v[14:15], v0, off
.LBB54_3461:
	s_mov_b32 s1, 0
.LBB54_3462:
	s_delay_alu instid0(SALU_CYCLE_1)
	s_and_not1_b32 vcc_lo, exec_lo, s1
	s_cbranch_vccnz .LBB54_3478
; %bb.3463:
	s_sext_i32_i16 s2, s0
	s_mov_b32 s1, -1
	s_cmp_lt_i32 s2, 2
	s_cbranch_scc1 .LBB54_3473
; %bb.3464:
	s_cmp_lt_i32 s2, 3
	s_cbranch_scc1 .LBB54_3470
; %bb.3465:
	s_cmp_gt_i32 s2, 3
	s_cbranch_scc0 .LBB54_3467
; %bb.3466:
	s_wait_loadcnt 0x0
	v_mov_b64_e32 v[0:1], 0
	s_mov_b32 s1, 0
	global_store_b64 v[14:15], v[0:1], off
.LBB54_3467:
	s_and_not1_b32 vcc_lo, exec_lo, s1
	s_cbranch_vccnz .LBB54_3469
; %bb.3468:
	s_wait_loadcnt 0x0
	v_mov_b32_e32 v0, 0
	global_store_b32 v[14:15], v0, off
.LBB54_3469:
	s_mov_b32 s1, 0
.LBB54_3470:
	s_delay_alu instid0(SALU_CYCLE_1)
	s_and_not1_b32 vcc_lo, exec_lo, s1
	s_cbranch_vccnz .LBB54_3472
; %bb.3471:
	s_wait_loadcnt 0x0
	v_mov_b32_e32 v0, 0
	global_store_b16 v[14:15], v0, off
.LBB54_3472:
	s_mov_b32 s1, 0
.LBB54_3473:
	s_delay_alu instid0(SALU_CYCLE_1)
	s_and_not1_b32 vcc_lo, exec_lo, s1
	s_cbranch_vccnz .LBB54_3478
; %bb.3474:
	s_sext_i32_i16 s0, s0
	s_delay_alu instid0(SALU_CYCLE_1)
	s_cmp_gt_i32 s0, 0
	s_mov_b32 s0, -1
	s_cbranch_scc0 .LBB54_3476
; %bb.3475:
	s_wait_loadcnt 0x0
	v_mov_b32_e32 v0, 0
	s_mov_b32 s0, 0
	global_store_b8 v[14:15], v0, off
.LBB54_3476:
	s_and_not1_b32 vcc_lo, exec_lo, s0
	s_cbranch_vccnz .LBB54_3478
; %bb.3477:
	s_wait_loadcnt 0x0
	v_mov_b32_e32 v0, 0
	global_store_b8 v[14:15], v0, off
	s_endpgm
.LBB54_3478:
	s_endpgm
.LBB54_3479:                            ;   in Loop: Header=BB54_3480 Depth=1
	s_or_b32 exec_lo, exec_lo, s0
	global_load_b64 v[24:25], v16, s[44:45]
	v_mul_u64_e32 v[26:27], s[46:47], v[20:21]
	s_add_co_i32 s35, s35, -1
	s_add_nc_u64 s[42:43], s[42:43], -8
	s_cmp_eq_u32 s35, 0
	s_wait_xcnt 0x0
	s_add_nc_u64 s[44:45], s[44:45], -8
	s_delay_alu instid0(VALU_DEP_1) | instskip(SKIP_1) | instid1(VALU_DEP_1)
	v_sub_nc_u64_e32 v[18:19], v[18:19], v[26:27]
	s_wait_loadcnt 0x0
	v_mad_nc_u64_u32 v[14:15], v18, v24, v[14:15]
	s_delay_alu instid0(VALU_DEP_1) | instskip(NEXT) | instid1(VALU_DEP_1)
	v_mad_u32 v1, v19, v24, v15
	v_mad_u32 v15, v18, v25, v1
	v_mov_b64_e32 v[18:19], v[20:21]
	s_cbranch_scc1 .LBB54_3484
.LBB54_3480:                            ; =>This Inner Loop Header: Depth=1
	global_load_b64 v[20:21], v16, s[42:43]
	s_mov_b32 s0, exec_lo
	s_wait_loadcnt 0x0
	v_or_b32_e32 v17, v19, v21
	v_readfirstlane_b32 s46, v20
	v_readfirstlane_b32 s47, v21
                                        ; implicit-def: $vgpr20_vgpr21
	s_wait_xcnt 0x0
	s_delay_alu instid0(VALU_DEP_3)
	v_cmpx_ne_u64_e32 0, v[16:17]
	s_xor_b32 s60, exec_lo, s0
	s_cbranch_execz .LBB54_3482
; %bb.3481:                             ;   in Loop: Header=BB54_3480 Depth=1
	s_ashr_i32 s48, s47, 31
	v_dual_mov_b32 v27, v16 :: v_dual_ashrrev_i32 v20, 31, v19
	s_mov_b32 s49, s48
	v_mov_b32_e32 v31, v16
	s_add_nc_u64 s[50:51], s[46:47], s[48:49]
	s_delay_alu instid0(VALU_DEP_2)
	v_mov_b32_e32 v21, v20
	s_xor_b64 s[50:51], s[50:51], s[48:49]
	v_mov_b32_e32 v35, v16
	s_cvt_f32_u32 s0, s50
	s_cvt_f32_u32 s49, s51
	s_sub_nc_u64 s[64:65], 0, s[50:51]
	v_add_nc_u64_e32 v[24:25], v[18:19], v[20:21]
	s_delay_alu instid0(SALU_CYCLE_1) | instskip(NEXT) | instid1(SALU_CYCLE_3)
	s_fmamk_f32 s0, s49, 0x4f800000, s0
	v_s_rcp_f32 s0, s0
	s_delay_alu instid0(VALU_DEP_1) | instskip(NEXT) | instid1(VALU_DEP_2)
	v_xor_b32_e32 v30, v25, v20
	v_xor_b32_e32 v26, v24, v20
	s_delay_alu instid0(TRANS32_DEP_1) | instskip(NEXT) | instid1(SALU_CYCLE_3)
	s_mul_f32 s0, s0, 0x5f7ffffc
	s_mul_f32 s49, s0, 0x2f800000
	s_delay_alu instid0(SALU_CYCLE_3) | instskip(NEXT) | instid1(SALU_CYCLE_3)
	s_trunc_f32 s49, s49
	s_fmamk_f32 s0, s49, 0xcf800000, s0
	s_cvt_u32_f32 s63, s49
	s_delay_alu instid0(SALU_CYCLE_2) | instskip(NEXT) | instid1(SALU_CYCLE_3)
	s_cvt_u32_f32 s62, s0
	s_mul_u64 s[66:67], s[64:65], s[62:63]
	s_delay_alu instid0(SALU_CYCLE_1)
	s_mul_hi_u32 s69, s62, s67
	s_mul_i32 s68, s62, s67
	s_mul_hi_u32 s0, s62, s66
	s_mul_i32 s61, s63, s66
	s_add_nc_u64 s[68:69], s[0:1], s[68:69]
	s_mul_hi_u32 s49, s63, s66
	s_mul_hi_u32 s70, s63, s67
	s_add_co_u32 s0, s68, s61
	s_add_co_ci_u32 s0, s69, s49
	s_mul_i32 s66, s63, s67
	s_add_co_ci_u32 s67, s70, 0
	s_delay_alu instid0(SALU_CYCLE_1) | instskip(NEXT) | instid1(SALU_CYCLE_1)
	s_add_nc_u64 s[66:67], s[0:1], s[66:67]
	s_add_co_u32 s62, s62, s66
	s_cselect_b32 s0, -1, 0
	s_delay_alu instid0(SALU_CYCLE_1) | instskip(SKIP_1) | instid1(SALU_CYCLE_1)
	s_cmp_lg_u32 s0, 0
	s_add_co_ci_u32 s63, s63, s67
	s_mul_u64 s[64:65], s[64:65], s[62:63]
	s_delay_alu instid0(SALU_CYCLE_1)
	s_mul_hi_u32 s67, s62, s65
	s_mul_i32 s66, s62, s65
	s_mul_hi_u32 s0, s62, s64
	s_mul_i32 s61, s63, s64
	s_add_nc_u64 s[66:67], s[0:1], s[66:67]
	s_mul_hi_u32 s49, s63, s64
	s_mul_hi_u32 s68, s63, s65
	s_add_co_u32 s0, s66, s61
	s_add_co_ci_u32 s0, s67, s49
	s_mul_i32 s64, s63, s65
	s_add_co_ci_u32 s65, s68, 0
	s_delay_alu instid0(SALU_CYCLE_1) | instskip(NEXT) | instid1(SALU_CYCLE_1)
	s_add_nc_u64 s[64:65], s[0:1], s[64:65]
	s_add_co_u32 s62, s62, s64
	s_cselect_b32 s0, -1, 0
	v_mul_hi_u32 v34, v26, s62
	s_cmp_lg_u32 s0, 0
	s_add_co_ci_u32 s0, s63, s65
	s_and_b64 s[64:65], s[62:63], s[40:41]
	v_mul_u64_e32 v[28:29], s[0:1], v[26:27]
	v_mul_u64_e32 v[24:25], s[64:65], v[30:31]
	;; [unrolled: 1-line block ×3, first 2 shown]
	s_delay_alu instid0(VALU_DEP_3) | instskip(NEXT) | instid1(VALU_DEP_1)
	v_add_nc_u64_e32 v[28:29], v[34:35], v[28:29]
	v_add_co_u32 v1, vcc_lo, v28, v24
	s_delay_alu instid0(VALU_DEP_2) | instskip(NEXT) | instid1(VALU_DEP_4)
	v_add_co_ci_u32_e32 v34, vcc_lo, v29, v25, vcc_lo
	v_add_co_ci_u32_e32 v33, vcc_lo, 0, v33, vcc_lo
	s_delay_alu instid0(VALU_DEP_1) | instskip(NEXT) | instid1(VALU_DEP_1)
	v_add_nc_u64_e32 v[24:25], v[34:35], v[32:33]
	v_mul_u64_e32 v[28:29], s[50:51], v[24:25]
	s_delay_alu instid0(VALU_DEP_1) | instskip(NEXT) | instid1(VALU_DEP_2)
	v_sub_nc_u32_e32 v1, v30, v29
	v_sub_co_u32 v3, vcc_lo, v26, v28
	s_delay_alu instid0(VALU_DEP_1) | instskip(NEXT) | instid1(VALU_DEP_3)
	v_sub_co_ci_u32_e64 v7, null, v30, v29, vcc_lo
	v_subrev_co_ci_u32_e64 v1, null, s51, v1, vcc_lo
	s_delay_alu instid0(VALU_DEP_3) | instskip(SKIP_1) | instid1(VALU_DEP_3)
	v_sub_co_u32 v5, s0, v3, s50
	v_add_nc_u64_e32 v[26:27], 2, v[24:25]
	v_subrev_co_ci_u32_e64 v1, null, 0, v1, s0
	s_delay_alu instid0(VALU_DEP_3) | instskip(SKIP_2) | instid1(VALU_DEP_4)
	v_cmp_le_u32_e32 vcc_lo, s50, v5
	v_add_nc_u64_e32 v[28:29], 1, v[24:25]
	v_cndmask_b32_e64 v5, 0, -1, vcc_lo
	v_cmp_le_u32_e32 vcc_lo, s51, v1
	v_cndmask_b32_e64 v9, 0, -1, vcc_lo
	v_cmp_le_u32_e32 vcc_lo, s50, v3
	;; [unrolled: 2-line block ×3, first 2 shown]
	v_cndmask_b32_e64 v11, 0, -1, vcc_lo
	v_cmp_eq_u32_e32 vcc_lo, s51, v1
	v_cndmask_b32_e32 v1, v9, v5, vcc_lo
	v_cmp_eq_u32_e32 vcc_lo, s51, v7
	s_delay_alu instid0(VALU_DEP_4) | instskip(NEXT) | instid1(VALU_DEP_3)
	v_cndmask_b32_e32 v3, v11, v3, vcc_lo
	v_cmp_ne_u32_e32 vcc_lo, 0, v1
	s_delay_alu instid0(VALU_DEP_2) | instskip(SKIP_1) | instid1(VALU_DEP_1)
	v_cmp_ne_u32_e64 s0, 0, v3
	v_dual_cndmask_b32 v1, v29, v27, vcc_lo :: v_dual_cndmask_b32 v3, v28, v26, vcc_lo
	v_dual_cndmask_b32 v1, v25, v1, s0 :: v_dual_bitop2_b32 v20, s48, v20 bitop3:0x14
	s_delay_alu instid0(VALU_DEP_1) | instskip(NEXT) | instid1(VALU_DEP_1)
	v_dual_cndmask_b32 v3, v24, v3, s0 :: v_dual_bitop2_b32 v25, v1, v20 bitop3:0x14
	v_dual_mov_b32 v21, v20 :: v_dual_bitop2_b32 v24, v3, v20 bitop3:0x14
	s_delay_alu instid0(VALU_DEP_1)
	v_sub_nc_u64_e32 v[20:21], v[24:25], v[20:21]
.LBB54_3482:                            ;   in Loop: Header=BB54_3480 Depth=1
	s_and_not1_saveexec_b32 s0, s60
	s_cbranch_execz .LBB54_3479
; %bb.3483:                             ;   in Loop: Header=BB54_3480 Depth=1
	v_cvt_f32_u32_e32 v1, s46
	s_sub_co_i32 s48, 0, s46
	v_mov_b32_e32 v21, v16
	s_delay_alu instid0(VALU_DEP_2) | instskip(SKIP_1) | instid1(TRANS32_DEP_1)
	v_rcp_iflag_f32_e32 v1, v1
	v_nop
	v_mul_f32_e32 v1, 0x4f7ffffe, v1
	s_delay_alu instid0(VALU_DEP_1) | instskip(NEXT) | instid1(VALU_DEP_1)
	v_cvt_u32_f32_e32 v1, v1
	v_mul_lo_u32 v3, s48, v1
	s_delay_alu instid0(VALU_DEP_1) | instskip(NEXT) | instid1(VALU_DEP_1)
	v_mul_hi_u32 v3, v1, v3
	v_add_nc_u32_e32 v1, v1, v3
	s_delay_alu instid0(VALU_DEP_1) | instskip(NEXT) | instid1(VALU_DEP_1)
	v_mul_hi_u32 v1, v18, v1
	v_mul_lo_u32 v3, v1, s46
	s_delay_alu instid0(VALU_DEP_1) | instskip(NEXT) | instid1(VALU_DEP_1)
	v_sub_nc_u32_e32 v3, v18, v3
	v_subrev_nc_u32_e32 v7, s46, v3
	v_cmp_le_u32_e32 vcc_lo, s46, v3
	s_delay_alu instid0(VALU_DEP_2) | instskip(NEXT) | instid1(VALU_DEP_1)
	v_dual_add_nc_u32 v5, 1, v1 :: v_dual_cndmask_b32 v3, v3, v7, vcc_lo
	v_cndmask_b32_e32 v1, v1, v5, vcc_lo
	s_delay_alu instid0(VALU_DEP_2) | instskip(NEXT) | instid1(VALU_DEP_2)
	v_cmp_le_u32_e32 vcc_lo, s46, v3
	v_add_nc_u32_e32 v5, 1, v1
	s_delay_alu instid0(VALU_DEP_1)
	v_cndmask_b32_e32 v20, v1, v5, vcc_lo
	s_branch .LBB54_3479
.LBB54_3484:
	s_get_pc_i64 s[0:1]
	s_add_nc_u64 s[0:1], s[0:1], .str.4@rel64+4
	s_mov_b32 s40, -1
	s_cmp_lg_u64 s[0:1], 0
	s_mov_b32 s48, s39
	s_cselect_b32 s50, -1, 0
	s_mov_b32 s0, exec_lo
	v_cmpx_gt_i32_e64 v12, v10
	s_cbranch_execz .LBB54_3491
; %bb.3485:
	v_lshlrev_b64_e32 v[14:15], 2, v[14:15]
	v_dual_ashrrev_i32 v11, 31, v10 :: v_dual_ashrrev_i32 v13, 31, v12
	s_mov_b32 s35, 0
	s_xor_b32 s40, s50, -1
                                        ; implicit-def: $sgpr1
                                        ; implicit-def: $sgpr42
                                        ; implicit-def: $sgpr41
	s_delay_alu instid0(VALU_DEP_1) | instskip(SKIP_1) | instid1(VALU_DEP_2)
	v_lshl_add_u64 v[10:11], v[10:11], 2, v[14:15]
	v_add_nc_u64_e32 v[14:15], s[30:31], v[14:15]
	v_add_nc_u64_e32 v[10:11], s[30:31], v[10:11]
	s_delay_alu instid0(VALU_DEP_2) | instskip(NEXT) | instid1(VALU_DEP_2)
	v_lshl_add_u64 v[12:13], v[12:13], 2, v[14:15]
	v_add_nc_u64_e32 v[10:11], 4, v[10:11]
	s_branch .LBB54_3487
.LBB54_3486:                            ;   in Loop: Header=BB54_3487 Depth=1
	s_or_b32 exec_lo, exec_lo, s43
	s_xor_b32 s43, s41, -1
	s_and_b32 s44, exec_lo, s42
	s_delay_alu instid0(SALU_CYCLE_1) | instskip(SKIP_2) | instid1(SALU_CYCLE_1)
	s_or_b32 s35, s44, s35
	s_and_not1_b32 s1, s1, exec_lo
	s_and_b32 s43, s43, exec_lo
	s_or_b32 s1, s1, s43
	s_and_not1_b32 exec_lo, exec_lo, s35
	s_cbranch_execz .LBB54_3489
.LBB54_3487:                            ; =>This Inner Loop Header: Depth=1
	s_or_b32 s41, s41, exec_lo
	s_or_b32 s42, s42, exec_lo
	s_mov_b32 s43, exec_lo
	s_delay_alu instid0(VALU_DEP_1)
	v_cmpx_lt_u64_e64 v[10:11], v[12:13]
	s_cbranch_execz .LBB54_3486
; %bb.3488:                             ;   in Loop: Header=BB54_3487 Depth=1
	global_load_b64 v[14:15], v[10:11], off offset:-4
	s_wait_xcnt 0x0
	v_add_nc_u64_e32 v[10:11], 4, v[10:11]
	s_and_not1_b32 s42, s42, exec_lo
	s_and_not1_b32 s41, s41, exec_lo
	s_wait_loadcnt 0x0
	v_cmp_ge_i32_e32 vcc_lo, v14, v15
	s_or_b32 s44, s40, vcc_lo
	s_delay_alu instid0(SALU_CYCLE_1) | instskip(NEXT) | instid1(SALU_CYCLE_1)
	s_and_b32 s44, s44, exec_lo
	s_or_b32 s42, s42, s44
	s_branch .LBB54_3486
.LBB54_3489:
	s_or_b32 exec_lo, exec_lo, s35
	s_mov_b32 s35, -1
	s_mov_b32 s40, s39
	s_and_saveexec_b32 s41, s1
	s_delay_alu instid0(SALU_CYCLE_1)
	s_xor_b32 s1, exec_lo, s41
	s_cbranch_execnz .LBB54_3594
.LBB54_3490:
	s_or_b32 exec_lo, exec_lo, s1
	s_delay_alu instid0(SALU_CYCLE_1) | instskip(SKIP_1) | instid1(SALU_CYCLE_1)
	s_and_not1_b32 s1, s39, exec_lo
	s_and_b32 s40, s40, exec_lo
	s_or_b32 s48, s1, s40
	s_or_not1_b32 s40, s35, exec_lo
.LBB54_3491:
	s_or_b32 exec_lo, exec_lo, s0
	s_mov_b32 s1, 0
	s_mov_b32 s35, 0
                                        ; implicit-def: $sgpr0
                                        ; implicit-def: $vgpr14_vgpr15
	s_and_saveexec_b32 s49, s40
	s_cbranch_execz .LBB54_4320
; %bb.3492:
	s_lshl_b32 s67, s17, 7
	s_cmp_lt_i32 s55, 11
	v_add_nc_u32_e32 v0, s67, v0
	s_delay_alu instid0(VALU_DEP_1) | instskip(NEXT) | instid1(VALU_DEP_1)
	v_ashrrev_i32_e32 v1, 31, v0
	v_add_nc_u64_e32 v[10:11], s[6:7], v[0:1]
	s_cbranch_scc1 .LBB54_3500
; %bb.3493:
	s_and_b32 s0, 0xffff, s55
	s_delay_alu instid0(SALU_CYCLE_1)
	s_cmp_gt_i32 s0, 25
	s_cbranch_scc0 .LBB54_3502
; %bb.3494:
	s_cmp_gt_i32 s0, 28
	s_cbranch_scc0 .LBB54_3504
; %bb.3495:
	;; [unrolled: 3-line block ×4, first 2 shown]
	s_cmp_eq_u32 s0, 46
	s_mov_b32 s17, 0
	s_cbranch_scc0 .LBB54_3682
; %bb.3498:
	global_load_b32 v1, v[10:11], off
	s_mov_b32 s40, -1
	s_wait_loadcnt 0x0
	v_lshlrev_b32_e32 v1, 16, v1
	s_delay_alu instid0(VALU_DEP_1)
	v_cvt_i32_f32_e32 v1, v1
	s_branch .LBB54_3684
.LBB54_3499:
	s_or_b32 s33, s33, exec_lo
	s_trap 2
	s_cbranch_execz .LBB54_3374
	s_branch .LBB54_3375
.LBB54_3500:
	s_mov_b32 s0, -1
	s_mov_b32 s40, 0
	s_mov_b32 s17, s48
                                        ; implicit-def: $vgpr1
	s_branch .LBB54_3746
.LBB54_3501:
	s_mov_b32 s43, -1
	s_mov_b32 s44, 0
	s_mov_b32 s41, s78
	s_branch .LBB54_3636
.LBB54_3502:
	s_mov_b32 s17, -1
	s_mov_b32 s40, 0
                                        ; implicit-def: $vgpr1
	s_branch .LBB54_3711
.LBB54_3503:
	s_mov_b32 s45, -1
	s_mov_b32 s44, 0
	s_mov_b32 s41, s78
	s_branch .LBB54_3616
.LBB54_3504:
	s_mov_b32 s17, -1
	s_mov_b32 s40, 0
                                        ; implicit-def: $vgpr1
	s_branch .LBB54_3694
.LBB54_3505:
	s_mov_b32 s45, -1
	s_mov_b32 s44, 0
	s_mov_b32 s41, s78
	s_branch .LBB54_3605
.LBB54_3506:
	s_mov_b32 s17, -1
	s_mov_b32 s40, 0
                                        ; implicit-def: $vgpr1
	s_branch .LBB54_3689
.LBB54_3507:
	s_mov_b32 s45, -1
	s_mov_b32 s44, 0
	s_mov_b32 s41, s59
.LBB54_3508:
	s_and_b32 vcc_lo, exec_lo, s45
	s_cbranch_vccz .LBB54_3511
; %bb.3509:
	s_cmp_eq_u32 s43, 44
	s_mov_b32 s41, -1
	s_cbranch_scc0 .LBB54_3511
; %bb.3510:
	s_wait_xcnt 0x0
	v_mov_b32_e32 v2, 0
	s_mov_b32 s44, -1
	s_mov_b32 s41, 0
	global_store_b8 v[0:1], v2, off
.LBB54_3511:
	s_mov_b32 s45, 0
.LBB54_3512:
	s_delay_alu instid0(SALU_CYCLE_1)
	s_and_b32 vcc_lo, exec_lo, s45
	s_cbranch_vccz .LBB54_3515
; %bb.3513:
	s_cmp_eq_u32 s43, 29
	s_mov_b32 s41, -1
	s_cbranch_scc0 .LBB54_3515
; %bb.3514:
	s_wait_xcnt 0x0
	v_mov_b64_e32 v[2:3], 0
	s_mov_b32 s44, -1
	s_mov_b32 s41, 0
	s_mov_b32 s45, 0
	global_store_b64 v[0:1], v[2:3], off
	s_branch .LBB54_3516
.LBB54_3515:
	s_mov_b32 s45, 0
.LBB54_3516:
	s_delay_alu instid0(SALU_CYCLE_1)
	s_and_b32 vcc_lo, exec_lo, s45
	s_cbranch_vccz .LBB54_3526
; %bb.3517:
	s_cmp_lt_i32 s43, 27
	s_mov_b32 s44, -1
	s_cbranch_scc1 .LBB54_3523
; %bb.3518:
	s_cmp_gt_i32 s43, 27
	s_cbranch_scc0 .LBB54_3520
; %bb.3519:
	s_wait_xcnt 0x0
	v_mov_b32_e32 v2, 0
	s_mov_b32 s44, 0
	global_store_b32 v[0:1], v2, off
.LBB54_3520:
	s_and_not1_b32 vcc_lo, exec_lo, s44
	s_cbranch_vccnz .LBB54_3522
; %bb.3521:
	s_wait_xcnt 0x0
	v_mov_b32_e32 v2, 0
	global_store_b16 v[0:1], v2, off
.LBB54_3522:
	s_mov_b32 s44, 0
.LBB54_3523:
	s_delay_alu instid0(SALU_CYCLE_1)
	s_and_not1_b32 vcc_lo, exec_lo, s44
	s_cbranch_vccnz .LBB54_3525
; %bb.3524:
	s_wait_xcnt 0x0
	v_mov_b32_e32 v2, 0
	global_store_b8 v[0:1], v2, off
.LBB54_3525:
	s_mov_b32 s44, -1
.LBB54_3526:
	s_mov_b32 s45, 0
.LBB54_3527:
	s_delay_alu instid0(SALU_CYCLE_1)
	s_and_b32 vcc_lo, exec_lo, s45
	s_cbranch_vccz .LBB54_3546
; %bb.3528:
	s_cmp_gt_i32 s43, 22
	s_mov_b32 s45, -1
	s_cbranch_scc0 .LBB54_3538
; %bb.3529:
	s_cmp_lt_i32 s43, 24
	s_mov_b32 s44, -1
	s_cbranch_scc1 .LBB54_3535
; %bb.3530:
	s_cmp_gt_i32 s43, 24
	s_cbranch_scc0 .LBB54_3532
; %bb.3531:
	s_wait_xcnt 0x0
	v_mov_b32_e32 v2, 0
	s_mov_b32 s44, 0
	global_store_b8 v[0:1], v2, off
.LBB54_3532:
	s_and_not1_b32 vcc_lo, exec_lo, s44
	s_cbranch_vccnz .LBB54_3534
; %bb.3533:
	s_wait_xcnt 0x0
	v_mov_b32_e32 v2, 0
	global_store_b8 v[0:1], v2, off
.LBB54_3534:
	s_mov_b32 s44, 0
.LBB54_3535:
	s_delay_alu instid0(SALU_CYCLE_1)
	s_and_not1_b32 vcc_lo, exec_lo, s44
	s_cbranch_vccnz .LBB54_3537
; %bb.3536:
	s_wait_xcnt 0x0
	v_mov_b32_e32 v2, 0
	global_store_b8 v[0:1], v2, off
.LBB54_3537:
	s_mov_b32 s45, 0
	s_mov_b32 s44, -1
.LBB54_3538:
	s_and_not1_b32 vcc_lo, exec_lo, s45
	s_cbranch_vccnz .LBB54_3546
; %bb.3539:
	s_cmp_gt_i32 s43, 14
	s_mov_b32 s45, -1
	s_cbranch_scc0 .LBB54_3543
; %bb.3540:
	s_cmp_eq_u32 s43, 15
	s_mov_b32 s41, -1
	s_cbranch_scc0 .LBB54_3542
; %bb.3541:
	s_wait_xcnt 0x0
	v_mov_b32_e32 v2, 0
	s_mov_b32 s44, -1
	s_mov_b32 s41, 0
	global_store_b16 v[0:1], v2, off
.LBB54_3542:
	s_mov_b32 s45, 0
.LBB54_3543:
	s_delay_alu instid0(SALU_CYCLE_1)
	s_and_b32 vcc_lo, exec_lo, s45
	s_cbranch_vccz .LBB54_3546
; %bb.3544:
	s_cmp_eq_u32 s43, 11
	s_mov_b32 s41, -1
	s_cbranch_scc0 .LBB54_3546
; %bb.3545:
	s_wait_xcnt 0x0
	v_mov_b32_e32 v2, 0
	s_mov_b32 s44, -1
	s_mov_b32 s41, 0
	global_store_b8 v[0:1], v2, off
.LBB54_3546:
	s_mov_b32 s43, 0
.LBB54_3547:
	s_delay_alu instid0(SALU_CYCLE_1)
	s_and_b32 vcc_lo, exec_lo, s43
	s_cbranch_vccz .LBB54_3586
; %bb.3548:
	s_and_b32 s42, 0xffff, s42
	s_mov_b32 s43, -1
	s_cmp_lt_i32 s42, 5
	s_cbranch_scc1 .LBB54_3569
; %bb.3549:
	s_cmp_lt_i32 s42, 8
	s_cbranch_scc1 .LBB54_3559
; %bb.3550:
	;; [unrolled: 3-line block ×3, first 2 shown]
	s_cmp_gt_i32 s42, 9
	s_cbranch_scc0 .LBB54_3553
; %bb.3552:
	s_wait_xcnt 0x0
	v_mov_b32_e32 v2, 0
	s_mov_b32 s43, 0
	s_delay_alu instid0(VALU_DEP_1)
	v_dual_mov_b32 v3, v2 :: v_dual_mov_b32 v4, v2
	v_mov_b32_e32 v5, v2
	global_store_b128 v[0:1], v[2:5], off
.LBB54_3553:
	s_and_not1_b32 vcc_lo, exec_lo, s43
	s_cbranch_vccnz .LBB54_3555
; %bb.3554:
	s_wait_xcnt 0x0
	v_mov_b64_e32 v[2:3], 0
	global_store_b64 v[0:1], v[2:3], off
.LBB54_3555:
	s_mov_b32 s43, 0
.LBB54_3556:
	s_delay_alu instid0(SALU_CYCLE_1)
	s_and_not1_b32 vcc_lo, exec_lo, s43
	s_cbranch_vccnz .LBB54_3558
; %bb.3557:
	s_wait_xcnt 0x0
	v_mov_b32_e32 v2, 0
	global_store_b32 v[0:1], v2, off
.LBB54_3558:
	s_mov_b32 s43, 0
.LBB54_3559:
	s_delay_alu instid0(SALU_CYCLE_1)
	s_and_not1_b32 vcc_lo, exec_lo, s43
	s_cbranch_vccnz .LBB54_3568
; %bb.3560:
	s_cmp_lt_i32 s42, 6
	s_mov_b32 s43, -1
	s_cbranch_scc1 .LBB54_3566
; %bb.3561:
	s_cmp_gt_i32 s42, 6
	s_cbranch_scc0 .LBB54_3563
; %bb.3562:
	s_wait_xcnt 0x0
	v_mov_b64_e32 v[2:3], 0
	s_mov_b32 s43, 0
	global_store_b64 v[0:1], v[2:3], off
.LBB54_3563:
	s_and_not1_b32 vcc_lo, exec_lo, s43
	s_cbranch_vccnz .LBB54_3565
; %bb.3564:
	s_wait_xcnt 0x0
	v_mov_b32_e32 v2, 0
	global_store_b32 v[0:1], v2, off
.LBB54_3565:
	s_mov_b32 s43, 0
.LBB54_3566:
	s_delay_alu instid0(SALU_CYCLE_1)
	s_and_not1_b32 vcc_lo, exec_lo, s43
	s_cbranch_vccnz .LBB54_3568
; %bb.3567:
	s_wait_xcnt 0x0
	v_mov_b32_e32 v2, 0
	global_store_b16 v[0:1], v2, off
.LBB54_3568:
	s_mov_b32 s43, 0
.LBB54_3569:
	s_delay_alu instid0(SALU_CYCLE_1)
	s_and_not1_b32 vcc_lo, exec_lo, s43
	s_cbranch_vccnz .LBB54_3585
; %bb.3570:
	s_cmp_lt_i32 s42, 2
	s_mov_b32 s43, -1
	s_cbranch_scc1 .LBB54_3580
; %bb.3571:
	s_cmp_lt_i32 s42, 3
	s_cbranch_scc1 .LBB54_3577
; %bb.3572:
	s_cmp_gt_i32 s42, 3
	s_cbranch_scc0 .LBB54_3574
; %bb.3573:
	s_wait_xcnt 0x0
	v_mov_b64_e32 v[2:3], 0
	s_mov_b32 s43, 0
	global_store_b64 v[0:1], v[2:3], off
.LBB54_3574:
	s_and_not1_b32 vcc_lo, exec_lo, s43
	s_cbranch_vccnz .LBB54_3576
; %bb.3575:
	s_wait_xcnt 0x0
	v_mov_b32_e32 v2, 0
	global_store_b32 v[0:1], v2, off
.LBB54_3576:
	s_mov_b32 s43, 0
.LBB54_3577:
	s_delay_alu instid0(SALU_CYCLE_1)
	s_and_not1_b32 vcc_lo, exec_lo, s43
	s_cbranch_vccnz .LBB54_3579
; %bb.3578:
	s_wait_xcnt 0x0
	v_mov_b32_e32 v2, 0
	global_store_b16 v[0:1], v2, off
.LBB54_3579:
	s_mov_b32 s43, 0
.LBB54_3580:
	s_delay_alu instid0(SALU_CYCLE_1)
	s_and_not1_b32 vcc_lo, exec_lo, s43
	s_cbranch_vccnz .LBB54_3585
; %bb.3581:
	s_cmp_gt_i32 s42, 0
	s_mov_b32 s42, -1
	s_cbranch_scc0 .LBB54_3583
; %bb.3582:
	s_wait_xcnt 0x0
	v_mov_b32_e32 v2, 0
	s_mov_b32 s42, 0
	global_store_b8 v[0:1], v2, off
.LBB54_3583:
	s_and_not1_b32 vcc_lo, exec_lo, s42
	s_cbranch_vccnz .LBB54_3585
; %bb.3584:
	s_wait_xcnt 0x0
	v_mov_b32_e32 v2, 0
	global_store_b8 v[0:1], v2, off
.LBB54_3585:
	s_mov_b32 s44, -1
.LBB54_3586:
	s_delay_alu instid0(SALU_CYCLE_1)
	s_and_not1_b32 vcc_lo, exec_lo, s44
	s_cbranch_vccnz .LBB54_3588
; %bb.3587:
	v_add_nc_u32_e32 v22, 0x80, v22
	s_mov_b32 s42, -1
	s_branch .LBB54_3589
.LBB54_3588:
	s_mov_b32 s42, 0
                                        ; implicit-def: $vgpr22
.LBB54_3589:
	s_and_not1_b32 s43, s59, exec_lo
	s_and_b32 s41, s41, exec_lo
	s_and_not1_b32 s0, s0, exec_lo
	s_or_b32 s41, s43, s41
	s_and_b32 s42, s42, exec_lo
.LBB54_3590:
	s_wait_xcnt 0x0
	s_or_b32 exec_lo, exec_lo, s1
	s_delay_alu instid0(SALU_CYCLE_1)
	s_and_not1_b32 s1, s59, exec_lo
	s_and_b32 s41, s41, exec_lo
	s_and_not1_b32 s44, s61, exec_lo
	s_and_b32 s0, s0, exec_lo
	s_or_b32 s43, s1, s41
	s_or_b32 s0, s44, s0
	s_xor_b32 s41, exec_lo, -1
	s_and_b32 s1, s42, exec_lo
.LBB54_3591:
	s_or_b32 exec_lo, exec_lo, s78
	s_delay_alu instid0(SALU_CYCLE_1)
	s_and_not1_b32 s42, s59, exec_lo
	s_and_b32 s43, s43, exec_lo
	s_and_b32 s0, s0, exec_lo
	s_or_b32 s44, s42, s43
	s_and_not1_b32 s42, s61, exec_lo
	s_and_not1_b32 s43, s62, exec_lo
	s_and_b32 s45, s41, exec_lo
	s_or_b32 s41, s42, s0
	s_or_b32 s43, s43, s45
	s_xor_b32 s42, exec_lo, -1
	s_and_b32 s0, s1, exec_lo
.LBB54_3592:
	s_or_b32 exec_lo, exec_lo, s77
	s_delay_alu instid0(SALU_CYCLE_1)
	s_and_not1_b32 s1, s59, exec_lo
	s_and_b32 s44, s44, exec_lo
	s_and_not1_b32 s45, s61, exec_lo
	s_and_b32 s41, s41, exec_lo
	s_or_b32 s1, s1, s44
	s_or_b32 s41, s45, s41
	s_and_not1_b32 s44, s62, exec_lo
	s_and_b32 s43, s43, exec_lo
	s_and_not1_b32 s45, s63, exec_lo
	s_and_b32 s46, s42, exec_lo
	s_or_b32 s42, s44, s43
	s_or_b32 s44, s45, s46
	s_xor_b32 s43, exec_lo, -1
	s_and_b32 s0, s0, exec_lo
	s_or_b32 exec_lo, exec_lo, s76
	s_branch .LBB54_1298
.LBB54_3593:
	s_mov_b32 s45, -1
	s_mov_b32 s44, 0
	s_mov_b32 s41, s78
	s_branch .LBB54_3601
.LBB54_3594:
	s_or_b32 s40, s39, exec_lo
	s_xor_b32 s35, exec_lo, -1
	s_trap 2
	s_branch .LBB54_3490
.LBB54_3595:
	s_mov_b32 s17, -1
	s_branch .LBB54_3683
.LBB54_3596:
	s_mov_b32 s45, -1
	s_mov_b32 s44, 0
	s_mov_b32 s41, s78
.LBB54_3597:
	s_and_b32 vcc_lo, exec_lo, s45
	s_cbranch_vccz .LBB54_3600
; %bb.3598:
	s_cmp_eq_u32 s43, 44
	s_mov_b32 s41, -1
	s_cbranch_scc0 .LBB54_3600
; %bb.3599:
	s_wait_xcnt 0x0
	v_mov_b32_e32 v2, 0
	s_mov_b32 s44, -1
	s_mov_b32 s41, 0
	global_store_b8 v[0:1], v2, off
.LBB54_3600:
	s_mov_b32 s45, 0
.LBB54_3601:
	s_delay_alu instid0(SALU_CYCLE_1)
	s_and_b32 vcc_lo, exec_lo, s45
	s_cbranch_vccz .LBB54_3604
; %bb.3602:
	s_cmp_eq_u32 s43, 29
	s_mov_b32 s41, -1
	s_cbranch_scc0 .LBB54_3604
; %bb.3603:
	s_wait_xcnt 0x0
	v_mov_b64_e32 v[2:3], 0
	s_mov_b32 s44, -1
	s_mov_b32 s41, 0
	s_mov_b32 s45, 0
	global_store_b64 v[0:1], v[2:3], off
	s_branch .LBB54_3605
.LBB54_3604:
	s_mov_b32 s45, 0
.LBB54_3605:
	s_delay_alu instid0(SALU_CYCLE_1)
	s_and_b32 vcc_lo, exec_lo, s45
	s_cbranch_vccz .LBB54_3615
; %bb.3606:
	s_cmp_lt_i32 s43, 27
	s_mov_b32 s44, -1
	s_cbranch_scc1 .LBB54_3612
; %bb.3607:
	s_cmp_gt_i32 s43, 27
	s_cbranch_scc0 .LBB54_3609
; %bb.3608:
	s_wait_xcnt 0x0
	v_mov_b32_e32 v2, 0
	s_mov_b32 s44, 0
	global_store_b32 v[0:1], v2, off
.LBB54_3609:
	s_and_not1_b32 vcc_lo, exec_lo, s44
	s_cbranch_vccnz .LBB54_3611
; %bb.3610:
	s_wait_xcnt 0x0
	v_mov_b32_e32 v2, 0
	global_store_b16 v[0:1], v2, off
.LBB54_3611:
	s_mov_b32 s44, 0
.LBB54_3612:
	s_delay_alu instid0(SALU_CYCLE_1)
	s_and_not1_b32 vcc_lo, exec_lo, s44
	s_cbranch_vccnz .LBB54_3614
; %bb.3613:
	s_wait_xcnt 0x0
	v_mov_b32_e32 v2, 0
	global_store_b8 v[0:1], v2, off
.LBB54_3614:
	s_mov_b32 s44, -1
.LBB54_3615:
	s_mov_b32 s45, 0
.LBB54_3616:
	s_delay_alu instid0(SALU_CYCLE_1)
	s_and_b32 vcc_lo, exec_lo, s45
	s_cbranch_vccz .LBB54_3635
; %bb.3617:
	s_cmp_gt_i32 s43, 22
	s_mov_b32 s45, -1
	s_cbranch_scc0 .LBB54_3627
; %bb.3618:
	s_cmp_lt_i32 s43, 24
	s_mov_b32 s44, -1
	s_cbranch_scc1 .LBB54_3624
; %bb.3619:
	s_cmp_gt_i32 s43, 24
	s_cbranch_scc0 .LBB54_3621
; %bb.3620:
	s_wait_xcnt 0x0
	v_mov_b32_e32 v2, 0
	s_mov_b32 s44, 0
	global_store_b8 v[0:1], v2, off
.LBB54_3621:
	s_and_not1_b32 vcc_lo, exec_lo, s44
	s_cbranch_vccnz .LBB54_3623
; %bb.3622:
	s_wait_xcnt 0x0
	v_mov_b32_e32 v2, 0
	global_store_b8 v[0:1], v2, off
.LBB54_3623:
	s_mov_b32 s44, 0
.LBB54_3624:
	s_delay_alu instid0(SALU_CYCLE_1)
	s_and_not1_b32 vcc_lo, exec_lo, s44
	s_cbranch_vccnz .LBB54_3626
; %bb.3625:
	s_wait_xcnt 0x0
	v_mov_b32_e32 v2, 0
	global_store_b8 v[0:1], v2, off
.LBB54_3626:
	s_mov_b32 s45, 0
	s_mov_b32 s44, -1
.LBB54_3627:
	s_and_not1_b32 vcc_lo, exec_lo, s45
	s_cbranch_vccnz .LBB54_3635
; %bb.3628:
	s_cmp_gt_i32 s43, 14
	s_mov_b32 s45, -1
	s_cbranch_scc0 .LBB54_3632
; %bb.3629:
	s_cmp_eq_u32 s43, 15
	s_mov_b32 s41, -1
	s_cbranch_scc0 .LBB54_3631
; %bb.3630:
	s_wait_xcnt 0x0
	v_mov_b32_e32 v2, 0
	s_mov_b32 s44, -1
	s_mov_b32 s41, 0
	global_store_b16 v[0:1], v2, off
.LBB54_3631:
	s_mov_b32 s45, 0
.LBB54_3632:
	s_delay_alu instid0(SALU_CYCLE_1)
	s_and_b32 vcc_lo, exec_lo, s45
	s_cbranch_vccz .LBB54_3635
; %bb.3633:
	s_cmp_eq_u32 s43, 11
	s_mov_b32 s41, -1
	s_cbranch_scc0 .LBB54_3635
; %bb.3634:
	s_wait_xcnt 0x0
	v_mov_b32_e32 v2, 0
	s_mov_b32 s44, -1
	s_mov_b32 s41, 0
	global_store_b8 v[0:1], v2, off
.LBB54_3635:
	s_mov_b32 s43, 0
.LBB54_3636:
	s_delay_alu instid0(SALU_CYCLE_1)
	s_and_b32 vcc_lo, exec_lo, s43
	s_cbranch_vccz .LBB54_3675
; %bb.3637:
	s_and_b32 s42, 0xffff, s42
	s_mov_b32 s43, -1
	s_cmp_lt_i32 s42, 5
	s_cbranch_scc1 .LBB54_3658
; %bb.3638:
	s_cmp_lt_i32 s42, 8
	s_cbranch_scc1 .LBB54_3648
; %bb.3639:
	;; [unrolled: 3-line block ×3, first 2 shown]
	s_cmp_gt_i32 s42, 9
	s_cbranch_scc0 .LBB54_3642
; %bb.3641:
	s_wait_xcnt 0x0
	v_mov_b32_e32 v2, 0
	s_mov_b32 s43, 0
	s_delay_alu instid0(VALU_DEP_1)
	v_dual_mov_b32 v3, v2 :: v_dual_mov_b32 v4, v2
	v_mov_b32_e32 v5, v2
	global_store_b128 v[0:1], v[2:5], off
.LBB54_3642:
	s_and_not1_b32 vcc_lo, exec_lo, s43
	s_cbranch_vccnz .LBB54_3644
; %bb.3643:
	s_wait_xcnt 0x0
	v_mov_b64_e32 v[2:3], 0
	global_store_b64 v[0:1], v[2:3], off
.LBB54_3644:
	s_mov_b32 s43, 0
.LBB54_3645:
	s_delay_alu instid0(SALU_CYCLE_1)
	s_and_not1_b32 vcc_lo, exec_lo, s43
	s_cbranch_vccnz .LBB54_3647
; %bb.3646:
	s_wait_xcnt 0x0
	v_mov_b32_e32 v2, 0
	global_store_b32 v[0:1], v2, off
.LBB54_3647:
	s_mov_b32 s43, 0
.LBB54_3648:
	s_delay_alu instid0(SALU_CYCLE_1)
	s_and_not1_b32 vcc_lo, exec_lo, s43
	s_cbranch_vccnz .LBB54_3657
; %bb.3649:
	s_cmp_lt_i32 s42, 6
	s_mov_b32 s43, -1
	s_cbranch_scc1 .LBB54_3655
; %bb.3650:
	s_cmp_gt_i32 s42, 6
	s_cbranch_scc0 .LBB54_3652
; %bb.3651:
	s_wait_xcnt 0x0
	v_mov_b64_e32 v[2:3], 0
	s_mov_b32 s43, 0
	global_store_b64 v[0:1], v[2:3], off
.LBB54_3652:
	s_and_not1_b32 vcc_lo, exec_lo, s43
	s_cbranch_vccnz .LBB54_3654
; %bb.3653:
	s_wait_xcnt 0x0
	v_mov_b32_e32 v2, 0
	global_store_b32 v[0:1], v2, off
.LBB54_3654:
	s_mov_b32 s43, 0
.LBB54_3655:
	s_delay_alu instid0(SALU_CYCLE_1)
	s_and_not1_b32 vcc_lo, exec_lo, s43
	s_cbranch_vccnz .LBB54_3657
; %bb.3656:
	s_wait_xcnt 0x0
	v_mov_b32_e32 v2, 0
	global_store_b16 v[0:1], v2, off
.LBB54_3657:
	s_mov_b32 s43, 0
.LBB54_3658:
	s_delay_alu instid0(SALU_CYCLE_1)
	s_and_not1_b32 vcc_lo, exec_lo, s43
	s_cbranch_vccnz .LBB54_3674
; %bb.3659:
	s_cmp_lt_i32 s42, 2
	s_mov_b32 s43, -1
	s_cbranch_scc1 .LBB54_3669
; %bb.3660:
	s_cmp_lt_i32 s42, 3
	s_cbranch_scc1 .LBB54_3666
; %bb.3661:
	s_cmp_gt_i32 s42, 3
	s_cbranch_scc0 .LBB54_3663
; %bb.3662:
	s_wait_xcnt 0x0
	v_mov_b64_e32 v[2:3], 0
	s_mov_b32 s43, 0
	global_store_b64 v[0:1], v[2:3], off
.LBB54_3663:
	s_and_not1_b32 vcc_lo, exec_lo, s43
	s_cbranch_vccnz .LBB54_3665
; %bb.3664:
	s_wait_xcnt 0x0
	v_mov_b32_e32 v2, 0
	global_store_b32 v[0:1], v2, off
.LBB54_3665:
	s_mov_b32 s43, 0
.LBB54_3666:
	s_delay_alu instid0(SALU_CYCLE_1)
	s_and_not1_b32 vcc_lo, exec_lo, s43
	s_cbranch_vccnz .LBB54_3668
; %bb.3667:
	s_wait_xcnt 0x0
	v_mov_b32_e32 v2, 0
	global_store_b16 v[0:1], v2, off
.LBB54_3668:
	s_mov_b32 s43, 0
.LBB54_3669:
	s_delay_alu instid0(SALU_CYCLE_1)
	s_and_not1_b32 vcc_lo, exec_lo, s43
	s_cbranch_vccnz .LBB54_3674
; %bb.3670:
	s_cmp_gt_i32 s42, 0
	s_mov_b32 s42, -1
	s_cbranch_scc0 .LBB54_3672
; %bb.3671:
	s_wait_xcnt 0x0
	v_mov_b32_e32 v2, 0
	s_mov_b32 s42, 0
	global_store_b8 v[0:1], v2, off
.LBB54_3672:
	s_and_not1_b32 vcc_lo, exec_lo, s42
	s_cbranch_vccnz .LBB54_3674
; %bb.3673:
	s_wait_xcnt 0x0
	v_mov_b32_e32 v2, 0
	global_store_b8 v[0:1], v2, off
.LBB54_3674:
	s_mov_b32 s44, -1
.LBB54_3675:
	s_delay_alu instid0(SALU_CYCLE_1)
	s_and_not1_b32 vcc_lo, exec_lo, s44
	s_cbranch_vccnz .LBB54_3677
; %bb.3676:
	v_add_nc_u32_e32 v22, 0x80, v22
	s_mov_b32 s42, -1
	s_branch .LBB54_3678
.LBB54_3677:
	s_mov_b32 s42, 0
                                        ; implicit-def: $vgpr22
.LBB54_3678:
	s_and_not1_b32 s43, s78, exec_lo
	s_and_b32 s41, s41, exec_lo
	s_and_not1_b32 s0, s0, exec_lo
	s_or_b32 s41, s43, s41
	s_and_b32 s42, s42, exec_lo
.LBB54_3679:
	s_wait_xcnt 0x0
	s_or_b32 exec_lo, exec_lo, s1
	s_delay_alu instid0(SALU_CYCLE_1)
	s_and_not1_b32 s1, s78, exec_lo
	s_and_b32 s41, s41, exec_lo
	s_and_not1_b32 s44, s79, exec_lo
	s_and_b32 s0, s0, exec_lo
	s_or_b32 s43, s1, s41
	s_or_b32 s0, s44, s0
	s_xor_b32 s41, exec_lo, -1
	s_and_b32 s1, s42, exec_lo
.LBB54_3680:
	s_or_b32 exec_lo, exec_lo, s90
	s_delay_alu instid0(SALU_CYCLE_1)
	s_and_not1_b32 s42, s78, exec_lo
	s_and_b32 s43, s43, exec_lo
	s_and_b32 s0, s0, exec_lo
	s_or_b32 s44, s42, s43
	s_and_not1_b32 s42, s79, exec_lo
	s_and_not1_b32 s43, s80, exec_lo
	s_and_b32 s45, s41, exec_lo
	s_or_b32 s41, s42, s0
	s_or_b32 s43, s43, s45
	s_xor_b32 s42, exec_lo, -1
	s_and_b32 s0, s1, exec_lo
.LBB54_3681:
	s_or_b32 exec_lo, exec_lo, s89
	s_delay_alu instid0(SALU_CYCLE_1)
	s_and_not1_b32 s1, s78, exec_lo
	s_and_b32 s44, s44, exec_lo
	s_and_not1_b32 s45, s79, exec_lo
	s_and_b32 s41, s41, exec_lo
	s_or_b32 s1, s1, s44
	s_or_b32 s41, s45, s41
	s_and_not1_b32 s44, s80, exec_lo
	s_and_b32 s43, s43, exec_lo
	s_and_not1_b32 s45, s76, exec_lo
	s_and_b32 s46, s42, exec_lo
	s_or_b32 s42, s44, s43
	s_or_b32 s44, s45, s46
	s_xor_b32 s43, exec_lo, -1
	s_and_b32 s0, s0, exec_lo
	s_or_b32 exec_lo, exec_lo, s88
	s_branch .LBB54_2046
.LBB54_3682:
	s_mov_b32 s1, -1
.LBB54_3683:
	s_mov_b32 s40, 0
                                        ; implicit-def: $vgpr1
.LBB54_3684:
	s_and_b32 vcc_lo, exec_lo, s17
	s_cbranch_vccz .LBB54_3688
; %bb.3685:
	s_cmp_eq_u32 s0, 44
	s_cbranch_scc0 .LBB54_3687
; %bb.3686:
	global_load_u8 v1, v[10:11], off
	s_mov_b32 s1, 0
	s_mov_b32 s40, -1
	s_wait_loadcnt 0x0
	v_lshlrev_b32_e32 v3, 23, v1
	v_cmp_ne_u32_e32 vcc_lo, 0, v1
	s_delay_alu instid0(VALU_DEP_2) | instskip(NEXT) | instid1(VALU_DEP_1)
	v_cvt_i32_f32_e32 v3, v3
	v_cndmask_b32_e32 v1, 0, v3, vcc_lo
	s_branch .LBB54_3688
.LBB54_3687:
	s_mov_b32 s1, -1
                                        ; implicit-def: $vgpr1
.LBB54_3688:
	s_mov_b32 s17, 0
.LBB54_3689:
	s_delay_alu instid0(SALU_CYCLE_1)
	s_and_b32 vcc_lo, exec_lo, s17
	s_cbranch_vccz .LBB54_3693
; %bb.3690:
	s_cmp_eq_u32 s0, 29
	s_cbranch_scc0 .LBB54_3692
; %bb.3691:
	global_load_b32 v1, v[10:11], off
	s_mov_b32 s1, 0
	s_mov_b32 s40, -1
	s_branch .LBB54_3693
.LBB54_3692:
	s_mov_b32 s1, -1
                                        ; implicit-def: $vgpr1
.LBB54_3693:
	s_mov_b32 s17, 0
.LBB54_3694:
	s_delay_alu instid0(SALU_CYCLE_1)
	s_and_b32 vcc_lo, exec_lo, s17
	s_cbranch_vccz .LBB54_3710
; %bb.3695:
	s_cmp_lt_i32 s0, 27
	s_cbranch_scc1 .LBB54_3698
; %bb.3696:
	s_cmp_gt_i32 s0, 27
	s_cbranch_scc0 .LBB54_3699
; %bb.3697:
	s_wait_loadcnt 0x0
	global_load_b32 v1, v[10:11], off
	s_mov_b32 s17, 0
	s_branch .LBB54_3700
.LBB54_3698:
	s_mov_b32 s17, -1
                                        ; implicit-def: $vgpr1
	s_branch .LBB54_3703
.LBB54_3699:
	s_mov_b32 s17, -1
                                        ; implicit-def: $vgpr1
.LBB54_3700:
	s_delay_alu instid0(SALU_CYCLE_1)
	s_and_not1_b32 vcc_lo, exec_lo, s17
	s_cbranch_vccnz .LBB54_3702
; %bb.3701:
	s_wait_loadcnt 0x0
	global_load_u16 v1, v[10:11], off
.LBB54_3702:
	s_mov_b32 s17, 0
.LBB54_3703:
	s_delay_alu instid0(SALU_CYCLE_1)
	s_and_not1_b32 vcc_lo, exec_lo, s17
	s_cbranch_vccnz .LBB54_3709
; %bb.3704:
	global_load_u8 v3, v[10:11], off
	s_mov_b32 s40, 0
	s_mov_b32 s17, exec_lo
	s_wait_loadcnt 0x0
	v_cmpx_lt_i16_e32 0x7f, v3
	s_xor_b32 s17, exec_lo, s17
	s_cbranch_execz .LBB54_3721
; %bb.3705:
	v_cmp_ne_u16_e32 vcc_lo, 0x80, v3
	s_and_b32 s40, vcc_lo, exec_lo
	s_and_not1_saveexec_b32 s17, s17
	s_cbranch_execnz .LBB54_3722
.LBB54_3706:
	s_or_b32 exec_lo, exec_lo, s17
	v_mov_b32_e32 v1, 0
	s_and_saveexec_b32 s17, s40
	s_cbranch_execz .LBB54_3708
.LBB54_3707:
	v_and_b32_e32 v1, 0xffff, v3
	s_delay_alu instid0(VALU_DEP_1) | instskip(SKIP_1) | instid1(VALU_DEP_2)
	v_and_b32_e32 v5, 7, v1
	v_bfe_u32 v12, v1, 3, 4
	v_clz_i32_u32_e32 v7, v5
	s_delay_alu instid0(VALU_DEP_2) | instskip(NEXT) | instid1(VALU_DEP_2)
	v_cmp_eq_u32_e32 vcc_lo, 0, v12
	v_min_u32_e32 v7, 32, v7
	s_delay_alu instid0(VALU_DEP_1) | instskip(NEXT) | instid1(VALU_DEP_1)
	v_subrev_nc_u32_e32 v9, 28, v7
	v_dual_lshlrev_b32 v1, v9, v1 :: v_dual_sub_nc_u32 v7, 29, v7
	s_delay_alu instid0(VALU_DEP_1) | instskip(NEXT) | instid1(VALU_DEP_1)
	v_dual_lshlrev_b32 v3, 24, v3 :: v_dual_bitop2_b32 v1, 7, v1 bitop3:0x40
	v_dual_cndmask_b32 v1, v5, v1, vcc_lo :: v_dual_cndmask_b32 v7, v12, v7, vcc_lo
	s_delay_alu instid0(VALU_DEP_2) | instskip(NEXT) | instid1(VALU_DEP_2)
	v_and_b32_e32 v3, 0x80000000, v3
	v_lshlrev_b32_e32 v1, 20, v1
	s_delay_alu instid0(VALU_DEP_3) | instskip(NEXT) | instid1(VALU_DEP_1)
	v_lshl_add_u32 v5, v7, 23, 0x3b800000
	v_or3_b32 v1, v3, v5, v1
	s_delay_alu instid0(VALU_DEP_1)
	v_cvt_i32_f32_e32 v1, v1
.LBB54_3708:
	s_or_b32 exec_lo, exec_lo, s17
.LBB54_3709:
	s_mov_b32 s40, -1
.LBB54_3710:
	s_mov_b32 s17, 0
.LBB54_3711:
	s_delay_alu instid0(SALU_CYCLE_1)
	s_and_b32 vcc_lo, exec_lo, s17
	s_cbranch_vccz .LBB54_3742
; %bb.3712:
	s_cmp_gt_i32 s0, 22
	s_cbranch_scc0 .LBB54_3720
; %bb.3713:
	s_cmp_lt_i32 s0, 24
	s_cbranch_scc1 .LBB54_3723
; %bb.3714:
	s_cmp_gt_i32 s0, 24
	s_cbranch_scc0 .LBB54_3724
; %bb.3715:
	global_load_u8 v3, v[10:11], off
	s_mov_b32 s17, exec_lo
	s_wait_loadcnt 0x0
	v_cmpx_lt_i16_e32 0x7f, v3
	s_xor_b32 s17, exec_lo, s17
	s_cbranch_execz .LBB54_3736
; %bb.3716:
	v_cmp_ne_u16_e32 vcc_lo, 0x80, v3
	s_and_b32 s35, vcc_lo, exec_lo
	s_and_not1_saveexec_b32 s17, s17
	s_cbranch_execnz .LBB54_3737
.LBB54_3717:
	s_or_b32 exec_lo, exec_lo, s17
	v_mov_b32_e32 v1, 0
	s_and_saveexec_b32 s17, s35
	s_cbranch_execz .LBB54_3719
.LBB54_3718:
	v_and_b32_e32 v1, 0xffff, v3
	s_delay_alu instid0(VALU_DEP_1) | instskip(SKIP_1) | instid1(VALU_DEP_2)
	v_and_b32_e32 v5, 3, v1
	v_bfe_u32 v12, v1, 2, 5
	v_clz_i32_u32_e32 v7, v5
	s_delay_alu instid0(VALU_DEP_2) | instskip(NEXT) | instid1(VALU_DEP_2)
	v_cmp_eq_u32_e32 vcc_lo, 0, v12
	v_min_u32_e32 v7, 32, v7
	s_delay_alu instid0(VALU_DEP_1) | instskip(NEXT) | instid1(VALU_DEP_1)
	v_subrev_nc_u32_e32 v9, 29, v7
	v_dual_lshlrev_b32 v1, v9, v1 :: v_dual_sub_nc_u32 v7, 30, v7
	s_delay_alu instid0(VALU_DEP_1) | instskip(NEXT) | instid1(VALU_DEP_1)
	v_dual_lshlrev_b32 v3, 24, v3 :: v_dual_bitop2_b32 v1, 3, v1 bitop3:0x40
	v_dual_cndmask_b32 v1, v5, v1, vcc_lo :: v_dual_cndmask_b32 v7, v12, v7, vcc_lo
	s_delay_alu instid0(VALU_DEP_2) | instskip(NEXT) | instid1(VALU_DEP_2)
	v_and_b32_e32 v3, 0x80000000, v3
	v_lshlrev_b32_e32 v1, 21, v1
	s_delay_alu instid0(VALU_DEP_3) | instskip(NEXT) | instid1(VALU_DEP_1)
	v_lshl_add_u32 v5, v7, 23, 0x37800000
	v_or3_b32 v1, v3, v5, v1
	s_delay_alu instid0(VALU_DEP_1)
	v_cvt_i32_f32_e32 v1, v1
.LBB54_3719:
	s_or_b32 exec_lo, exec_lo, s17
	s_mov_b32 s17, 0
	s_branch .LBB54_3725
.LBB54_3720:
	s_mov_b32 s17, -1
                                        ; implicit-def: $vgpr1
	s_branch .LBB54_3731
.LBB54_3721:
	s_and_not1_saveexec_b32 s17, s17
	s_cbranch_execz .LBB54_3706
.LBB54_3722:
	v_cmp_ne_u16_e32 vcc_lo, 0, v3
	s_and_not1_b32 s40, s40, exec_lo
	s_and_b32 s41, vcc_lo, exec_lo
	s_delay_alu instid0(SALU_CYCLE_1)
	s_or_b32 s40, s40, s41
	s_or_b32 exec_lo, exec_lo, s17
	v_mov_b32_e32 v1, 0
	s_and_saveexec_b32 s17, s40
	s_cbranch_execnz .LBB54_3707
	s_branch .LBB54_3708
.LBB54_3723:
	s_mov_b32 s17, -1
                                        ; implicit-def: $vgpr1
	s_branch .LBB54_3728
.LBB54_3724:
	s_mov_b32 s17, -1
                                        ; implicit-def: $vgpr1
.LBB54_3725:
	s_delay_alu instid0(SALU_CYCLE_1)
	s_and_b32 vcc_lo, exec_lo, s17
	s_cbranch_vccz .LBB54_3727
; %bb.3726:
	s_wait_loadcnt 0x0
	global_load_u8 v1, v[10:11], off
	s_wait_loadcnt 0x0
	v_lshlrev_b32_e32 v1, 24, v1
	s_delay_alu instid0(VALU_DEP_1) | instskip(NEXT) | instid1(VALU_DEP_1)
	v_and_b32_e32 v3, 0x7f000000, v1
	v_clz_i32_u32_e32 v5, v3
	v_add_nc_u32_e32 v9, 0x1000000, v3
	v_cmp_ne_u32_e32 vcc_lo, 0, v3
	s_delay_alu instid0(VALU_DEP_3) | instskip(NEXT) | instid1(VALU_DEP_1)
	v_min_u32_e32 v5, 32, v5
	v_sub_nc_u32_e64 v5, v5, 4 clamp
	s_delay_alu instid0(VALU_DEP_1) | instskip(NEXT) | instid1(VALU_DEP_1)
	v_dual_lshlrev_b32 v7, v5, v3 :: v_dual_lshlrev_b32 v5, 23, v5
	v_lshrrev_b32_e32 v7, 4, v7
	s_delay_alu instid0(VALU_DEP_1) | instskip(SKIP_1) | instid1(VALU_DEP_2)
	v_sub_nc_u32_e32 v5, v7, v5
	v_ashrrev_i32_e32 v7, 8, v9
	v_add_nc_u32_e32 v5, 0x3c000000, v5
	s_delay_alu instid0(VALU_DEP_1) | instskip(NEXT) | instid1(VALU_DEP_1)
	v_and_or_b32 v5, 0x7f800000, v7, v5
	v_cndmask_b32_e32 v3, 0, v5, vcc_lo
	s_delay_alu instid0(VALU_DEP_1) | instskip(NEXT) | instid1(VALU_DEP_1)
	v_and_or_b32 v1, 0x80000000, v1, v3
	v_cvt_i32_f32_e32 v1, v1
.LBB54_3727:
	s_mov_b32 s17, 0
.LBB54_3728:
	s_delay_alu instid0(SALU_CYCLE_1)
	s_and_not1_b32 vcc_lo, exec_lo, s17
	s_cbranch_vccnz .LBB54_3730
; %bb.3729:
	s_wait_loadcnt 0x0
	global_load_u8 v1, v[10:11], off
	s_wait_loadcnt 0x0
	v_lshlrev_b32_e32 v3, 25, v1
	v_lshlrev_b16 v1, 8, v1
	s_delay_alu instid0(VALU_DEP_1) | instskip(SKIP_1) | instid1(VALU_DEP_2)
	v_and_or_b32 v7, 0x7f00, v1, 0.5
	v_bfe_i32 v1, v1, 0, 16
	v_add_f32_e32 v7, -0.5, v7
	v_lshrrev_b32_e32 v5, 4, v3
	v_cmp_gt_u32_e32 vcc_lo, 0x8000000, v3
	s_delay_alu instid0(VALU_DEP_2) | instskip(NEXT) | instid1(VALU_DEP_1)
	v_or_b32_e32 v5, 0x70000000, v5
	v_mul_f32_e32 v5, 0x7800000, v5
	s_delay_alu instid0(VALU_DEP_1) | instskip(NEXT) | instid1(VALU_DEP_1)
	v_cndmask_b32_e32 v3, v5, v7, vcc_lo
	v_and_or_b32 v1, 0x80000000, v1, v3
	s_delay_alu instid0(VALU_DEP_1)
	v_cvt_i32_f32_e32 v1, v1
.LBB54_3730:
	s_mov_b32 s17, 0
	s_mov_b32 s40, -1
.LBB54_3731:
	s_and_not1_b32 vcc_lo, exec_lo, s17
	s_mov_b32 s35, 0
	s_cbranch_vccnz .LBB54_3742
; %bb.3732:
	s_cmp_gt_i32 s0, 14
	s_cbranch_scc0 .LBB54_3735
; %bb.3733:
	s_cmp_eq_u32 s0, 15
	s_cbranch_scc0 .LBB54_3738
; %bb.3734:
	s_wait_loadcnt 0x0
	global_load_u16 v1, v[10:11], off
	s_mov_b32 s1, 0
	s_mov_b32 s40, -1
	s_wait_loadcnt 0x0
	v_lshlrev_b32_e32 v1, 16, v1
	s_delay_alu instid0(VALU_DEP_1)
	v_cvt_i32_f32_e32 v1, v1
	s_branch .LBB54_3739
.LBB54_3735:
	s_mov_b32 s17, -1
                                        ; implicit-def: $vgpr1
	s_branch .LBB54_3740
.LBB54_3736:
	s_and_not1_saveexec_b32 s17, s17
	s_cbranch_execz .LBB54_3717
.LBB54_3737:
	v_cmp_ne_u16_e32 vcc_lo, 0, v3
	s_and_not1_b32 s35, s35, exec_lo
	s_and_b32 s40, vcc_lo, exec_lo
	s_delay_alu instid0(SALU_CYCLE_1)
	s_or_b32 s35, s35, s40
	s_or_b32 exec_lo, exec_lo, s17
	v_mov_b32_e32 v1, 0
	s_and_saveexec_b32 s17, s35
	s_cbranch_execnz .LBB54_3718
	s_branch .LBB54_3719
.LBB54_3738:
	s_mov_b32 s1, -1
                                        ; implicit-def: $vgpr1
.LBB54_3739:
	s_mov_b32 s17, 0
.LBB54_3740:
	s_delay_alu instid0(SALU_CYCLE_1)
	s_and_b32 vcc_lo, exec_lo, s17
	s_cbranch_vccz .LBB54_3742
; %bb.3741:
	s_cmp_lg_u32 s0, 11
	s_mov_b32 s35, -1
	s_cselect_b32 s1, -1, 0
.LBB54_3742:
	s_delay_alu instid0(SALU_CYCLE_1)
	s_and_b32 vcc_lo, exec_lo, s1
	s_mov_b32 s17, s48
	s_cbranch_vccnz .LBB54_3807
; %bb.3743:
	s_and_not1_b32 vcc_lo, exec_lo, s35
	s_cbranch_vccnz .LBB54_3745
.LBB54_3744:
	s_wait_loadcnt 0x0
	global_load_u8 v1, v[10:11], off
	s_mov_b32 s40, -1
	s_wait_loadcnt 0x0
	v_cmp_ne_u16_e32 vcc_lo, 0, v1
	v_cndmask_b32_e64 v1, 0, 1, vcc_lo
.LBB54_3745:
	s_mov_b32 s0, 0
.LBB54_3746:
	s_delay_alu instid0(SALU_CYCLE_1)
	s_and_b32 vcc_lo, exec_lo, s0
	s_cbranch_vccz .LBB54_3795
; %bb.3747:
	s_and_b32 s0, 0xffff, s55
	s_delay_alu instid0(SALU_CYCLE_1)
	s_cmp_lt_i32 s0, 5
	s_cbranch_scc1 .LBB54_3752
; %bb.3748:
	s_cmp_lt_i32 s0, 8
	s_cbranch_scc1 .LBB54_3753
; %bb.3749:
	s_cmp_lt_i32 s0, 9
	s_cbranch_scc1 .LBB54_3754
; %bb.3750:
	s_cmp_gt_i32 s0, 9
	s_cbranch_scc0 .LBB54_3755
; %bb.3751:
	global_load_b64 v[12:13], v[10:11], off
	s_mov_b32 s1, 0
	s_wait_loadcnt 0x0
	v_cvt_i32_f64_e32 v1, v[12:13]
	s_branch .LBB54_3756
.LBB54_3752:
	s_mov_b32 s1, -1
                                        ; implicit-def: $vgpr1
	s_branch .LBB54_3774
.LBB54_3753:
	s_mov_b32 s1, -1
                                        ; implicit-def: $vgpr1
	s_branch .LBB54_3762
.LBB54_3754:
	s_mov_b32 s1, -1
                                        ; implicit-def: $vgpr1
	s_branch .LBB54_3759
.LBB54_3755:
	s_mov_b32 s1, -1
                                        ; implicit-def: $vgpr1
.LBB54_3756:
	s_delay_alu instid0(SALU_CYCLE_1)
	s_and_not1_b32 vcc_lo, exec_lo, s1
	s_cbranch_vccnz .LBB54_3758
; %bb.3757:
	s_wait_loadcnt 0x0
	global_load_b32 v1, v[10:11], off
	s_wait_loadcnt 0x0
	v_cvt_i32_f32_e32 v1, v1
.LBB54_3758:
	s_mov_b32 s1, 0
.LBB54_3759:
	s_delay_alu instid0(SALU_CYCLE_1)
	s_and_not1_b32 vcc_lo, exec_lo, s1
	s_cbranch_vccnz .LBB54_3761
; %bb.3760:
	s_wait_loadcnt 0x0
	global_load_b32 v1, v[10:11], off
	s_wait_loadcnt 0x0
	v_cvt_f32_f16_e32 v1, v1
	s_delay_alu instid0(VALU_DEP_1)
	v_cvt_i32_f32_e32 v1, v1
.LBB54_3761:
	s_mov_b32 s1, 0
.LBB54_3762:
	s_delay_alu instid0(SALU_CYCLE_1)
	s_and_not1_b32 vcc_lo, exec_lo, s1
	s_cbranch_vccnz .LBB54_3773
; %bb.3763:
	s_cmp_lt_i32 s0, 6
	s_cbranch_scc1 .LBB54_3766
; %bb.3764:
	s_cmp_gt_i32 s0, 6
	s_cbranch_scc0 .LBB54_3767
; %bb.3765:
	global_load_b64 v[12:13], v[10:11], off
	s_mov_b32 s1, 0
	s_wait_loadcnt 0x0
	v_cvt_i32_f64_e32 v1, v[12:13]
	s_branch .LBB54_3768
.LBB54_3766:
	s_mov_b32 s1, -1
                                        ; implicit-def: $vgpr1
	s_branch .LBB54_3771
.LBB54_3767:
	s_mov_b32 s1, -1
                                        ; implicit-def: $vgpr1
.LBB54_3768:
	s_delay_alu instid0(SALU_CYCLE_1)
	s_and_not1_b32 vcc_lo, exec_lo, s1
	s_cbranch_vccnz .LBB54_3770
; %bb.3769:
	s_wait_loadcnt 0x0
	global_load_b32 v1, v[10:11], off
	s_wait_loadcnt 0x0
	v_cvt_i32_f32_e32 v1, v1
.LBB54_3770:
	s_mov_b32 s1, 0
.LBB54_3771:
	s_delay_alu instid0(SALU_CYCLE_1)
	s_and_not1_b32 vcc_lo, exec_lo, s1
	s_cbranch_vccnz .LBB54_3773
; %bb.3772:
	s_wait_loadcnt 0x0
	global_load_u16 v1, v[10:11], off
	s_wait_loadcnt 0x0
	v_cvt_f32_f16_e32 v1, v1
	s_delay_alu instid0(VALU_DEP_1)
	v_cvt_i32_f32_e32 v1, v1
.LBB54_3773:
	s_mov_b32 s1, 0
.LBB54_3774:
	s_delay_alu instid0(SALU_CYCLE_1)
	s_and_not1_b32 vcc_lo, exec_lo, s1
	s_cbranch_vccnz .LBB54_3794
; %bb.3775:
	s_cmp_lt_i32 s0, 2
	s_cbranch_scc1 .LBB54_3779
; %bb.3776:
	s_cmp_lt_i32 s0, 3
	s_cbranch_scc1 .LBB54_3780
; %bb.3777:
	s_cmp_gt_i32 s0, 3
	s_cbranch_scc0 .LBB54_3781
; %bb.3778:
	s_wait_loadcnt 0x0
	global_load_b32 v1, v[10:11], off
	s_mov_b32 s1, 0
	s_branch .LBB54_3782
.LBB54_3779:
	s_mov_b32 s1, -1
                                        ; implicit-def: $vgpr1
	s_branch .LBB54_3788
.LBB54_3780:
	s_mov_b32 s1, -1
                                        ; implicit-def: $vgpr1
	s_branch .LBB54_3785
.LBB54_3781:
	s_mov_b32 s1, -1
                                        ; implicit-def: $vgpr1
.LBB54_3782:
	s_delay_alu instid0(SALU_CYCLE_1)
	s_and_not1_b32 vcc_lo, exec_lo, s1
	s_cbranch_vccnz .LBB54_3784
; %bb.3783:
	s_wait_loadcnt 0x0
	global_load_b32 v1, v[10:11], off
.LBB54_3784:
	s_mov_b32 s1, 0
.LBB54_3785:
	s_delay_alu instid0(SALU_CYCLE_1)
	s_and_not1_b32 vcc_lo, exec_lo, s1
	s_cbranch_vccnz .LBB54_3787
; %bb.3786:
	s_wait_loadcnt 0x0
	global_load_i16 v1, v[10:11], off
.LBB54_3787:
	s_mov_b32 s1, 0
.LBB54_3788:
	s_delay_alu instid0(SALU_CYCLE_1)
	s_and_not1_b32 vcc_lo, exec_lo, s1
	s_cbranch_vccnz .LBB54_3794
; %bb.3789:
	s_cmp_gt_i32 s0, 0
	s_mov_b32 s0, 0
	s_cbranch_scc0 .LBB54_3791
; %bb.3790:
	s_wait_loadcnt 0x0
	global_load_i8 v1, v[10:11], off
	s_branch .LBB54_3792
.LBB54_3791:
	s_mov_b32 s0, -1
                                        ; implicit-def: $vgpr1
.LBB54_3792:
	s_delay_alu instid0(SALU_CYCLE_1)
	s_and_not1_b32 vcc_lo, exec_lo, s0
	s_cbranch_vccnz .LBB54_3794
; %bb.3793:
	s_wait_loadcnt 0x0
	global_load_u8 v1, v[10:11], off
.LBB54_3794:
	s_mov_b32 s40, -1
.LBB54_3795:
	s_delay_alu instid0(SALU_CYCLE_1)
	s_and_not1_b32 vcc_lo, exec_lo, s40
	s_cbranch_vccnz .LBB54_4318
; %bb.3796:
	s_lshl_b32 s68, s18, 7
	s_cmp_lt_i32 s56, 11
	v_add_nc_u32_e32 v2, s68, v2
	s_delay_alu instid0(VALU_DEP_1) | instskip(SKIP_1) | instid1(VALU_DEP_1)
	v_ashrrev_i32_e32 v3, 31, v2
	s_wait_xcnt 0x0
	v_add_nc_u64_e32 v[10:11], s[8:9], v[2:3]
	s_cbranch_scc1 .LBB54_3803
; %bb.3797:
	s_and_b32 s0, 0xffff, s56
	s_mov_b32 s18, 0
	s_cmp_gt_i32 s0, 25
	s_cbranch_scc0 .LBB54_3804
; %bb.3798:
	s_cmp_gt_i32 s0, 28
	s_cbranch_scc0 .LBB54_3805
; %bb.3799:
	;; [unrolled: 3-line block ×4, first 2 shown]
	s_cmp_eq_u32 s0, 46
	s_mov_b32 s40, 0
	s_cbranch_scc0 .LBB54_3810
; %bb.3802:
	global_load_b32 v3, v[10:11], off
	s_mov_b32 s1, 0
	s_mov_b32 s35, -1
	s_wait_loadcnt 0x0
	v_lshlrev_b32_e32 v3, 16, v3
	s_delay_alu instid0(VALU_DEP_1)
	v_cvt_i32_f32_e32 v3, v3
	s_branch .LBB54_3812
.LBB54_3803:
	s_mov_b32 s0, -1
	s_mov_b32 s35, 0
                                        ; implicit-def: $vgpr3
	s_branch .LBB54_3874
.LBB54_3804:
	s_mov_b32 s40, -1
	s_mov_b32 s35, 0
	s_mov_b32 s1, 0
                                        ; implicit-def: $vgpr3
	s_branch .LBB54_3839
.LBB54_3805:
	s_mov_b32 s40, -1
	s_mov_b32 s35, 0
	s_mov_b32 s1, 0
                                        ; implicit-def: $vgpr3
	s_branch .LBB54_3822
.LBB54_3806:
	s_mov_b32 s40, -1
	s_mov_b32 s35, 0
	s_mov_b32 s1, 0
                                        ; implicit-def: $vgpr3
	s_branch .LBB54_3817
.LBB54_3807:
	s_or_b32 s17, s48, exec_lo
	s_trap 2
	s_cbranch_execz .LBB54_3744
	s_branch .LBB54_3745
.LBB54_3808:
	s_mov_b32 s40, -1
	s_mov_b32 s35, 0
	s_mov_b32 s1, 0
	s_branch .LBB54_3811
.LBB54_3809:
	s_or_b32 s33, s33, exec_lo
	s_trap 2
                                        ; implicit-def: $vgpr0
                                        ; implicit-def: $vgpr2
                                        ; implicit-def: $vgpr3
                                        ; implicit-def: $vgpr4
                                        ; implicit-def: $vgpr10
                                        ; implicit-def: $vgpr6
                                        ; implicit-def: $vgpr12
                                        ; implicit-def: $vgpr8
                                        ; implicit-def: $vgpr16
                                        ; implicit-def: $vgpr22
	s_branch .LBB54_3427
.LBB54_3810:
	s_mov_b32 s1, -1
	s_mov_b32 s35, 0
.LBB54_3811:
                                        ; implicit-def: $vgpr3
.LBB54_3812:
	s_and_b32 vcc_lo, exec_lo, s40
	s_cbranch_vccz .LBB54_3816
; %bb.3813:
	s_cmp_eq_u32 s0, 44
	s_cbranch_scc0 .LBB54_3815
; %bb.3814:
	global_load_u8 v3, v[10:11], off
	s_mov_b32 s1, 0
	s_mov_b32 s35, -1
	s_wait_loadcnt 0x0
	v_lshlrev_b32_e32 v5, 23, v3
	v_cmp_ne_u32_e32 vcc_lo, 0, v3
	s_delay_alu instid0(VALU_DEP_2) | instskip(NEXT) | instid1(VALU_DEP_1)
	v_cvt_i32_f32_e32 v5, v5
	v_cndmask_b32_e32 v3, 0, v5, vcc_lo
	s_branch .LBB54_3816
.LBB54_3815:
	s_mov_b32 s1, -1
                                        ; implicit-def: $vgpr3
.LBB54_3816:
	s_mov_b32 s40, 0
.LBB54_3817:
	s_delay_alu instid0(SALU_CYCLE_1)
	s_and_b32 vcc_lo, exec_lo, s40
	s_cbranch_vccz .LBB54_3821
; %bb.3818:
	s_cmp_eq_u32 s0, 29
	s_cbranch_scc0 .LBB54_3820
; %bb.3819:
	global_load_b32 v3, v[10:11], off
	s_mov_b32 s1, 0
	s_mov_b32 s35, -1
	s_branch .LBB54_3821
.LBB54_3820:
	s_mov_b32 s1, -1
                                        ; implicit-def: $vgpr3
.LBB54_3821:
	s_mov_b32 s40, 0
.LBB54_3822:
	s_delay_alu instid0(SALU_CYCLE_1)
	s_and_b32 vcc_lo, exec_lo, s40
	s_cbranch_vccz .LBB54_3838
; %bb.3823:
	s_cmp_lt_i32 s0, 27
	s_cbranch_scc1 .LBB54_3826
; %bb.3824:
	s_cmp_gt_i32 s0, 27
	s_cbranch_scc0 .LBB54_3827
; %bb.3825:
	s_wait_loadcnt 0x0
	global_load_b32 v3, v[10:11], off
	s_mov_b32 s35, 0
	s_branch .LBB54_3828
.LBB54_3826:
	s_mov_b32 s35, -1
                                        ; implicit-def: $vgpr3
	s_branch .LBB54_3831
.LBB54_3827:
	s_mov_b32 s35, -1
                                        ; implicit-def: $vgpr3
.LBB54_3828:
	s_delay_alu instid0(SALU_CYCLE_1)
	s_and_not1_b32 vcc_lo, exec_lo, s35
	s_cbranch_vccnz .LBB54_3830
; %bb.3829:
	s_wait_loadcnt 0x0
	global_load_u16 v3, v[10:11], off
.LBB54_3830:
	s_mov_b32 s35, 0
.LBB54_3831:
	s_delay_alu instid0(SALU_CYCLE_1)
	s_and_not1_b32 vcc_lo, exec_lo, s35
	s_cbranch_vccnz .LBB54_3837
; %bb.3832:
	global_load_u8 v5, v[10:11], off
	s_mov_b32 s40, 0
	s_mov_b32 s35, exec_lo
	s_wait_loadcnt 0x0
	v_cmpx_lt_i16_e32 0x7f, v5
	s_xor_b32 s35, exec_lo, s35
	s_cbranch_execz .LBB54_3849
; %bb.3833:
	v_cmp_ne_u16_e32 vcc_lo, 0x80, v5
	s_and_b32 s40, vcc_lo, exec_lo
	s_and_not1_saveexec_b32 s35, s35
	s_cbranch_execnz .LBB54_3850
.LBB54_3834:
	s_or_b32 exec_lo, exec_lo, s35
	v_mov_b32_e32 v3, 0
	s_and_saveexec_b32 s35, s40
	s_cbranch_execz .LBB54_3836
.LBB54_3835:
	v_and_b32_e32 v3, 0xffff, v5
	s_delay_alu instid0(VALU_DEP_1) | instskip(SKIP_1) | instid1(VALU_DEP_2)
	v_and_b32_e32 v7, 7, v3
	v_bfe_u32 v13, v3, 3, 4
	v_clz_i32_u32_e32 v9, v7
	s_delay_alu instid0(VALU_DEP_2) | instskip(NEXT) | instid1(VALU_DEP_2)
	v_cmp_eq_u32_e32 vcc_lo, 0, v13
	v_min_u32_e32 v9, 32, v9
	s_delay_alu instid0(VALU_DEP_1) | instskip(NEXT) | instid1(VALU_DEP_1)
	v_subrev_nc_u32_e32 v12, 28, v9
	v_dual_lshlrev_b32 v3, v12, v3 :: v_dual_sub_nc_u32 v9, 29, v9
	s_delay_alu instid0(VALU_DEP_1) | instskip(NEXT) | instid1(VALU_DEP_1)
	v_dual_lshlrev_b32 v5, 24, v5 :: v_dual_bitop2_b32 v3, 7, v3 bitop3:0x40
	v_dual_cndmask_b32 v3, v7, v3, vcc_lo :: v_dual_cndmask_b32 v9, v13, v9, vcc_lo
	s_delay_alu instid0(VALU_DEP_2) | instskip(NEXT) | instid1(VALU_DEP_2)
	v_and_b32_e32 v5, 0x80000000, v5
	v_lshlrev_b32_e32 v3, 20, v3
	s_delay_alu instid0(VALU_DEP_3) | instskip(NEXT) | instid1(VALU_DEP_1)
	v_lshl_add_u32 v7, v9, 23, 0x3b800000
	v_or3_b32 v3, v5, v7, v3
	s_delay_alu instid0(VALU_DEP_1)
	v_cvt_i32_f32_e32 v3, v3
.LBB54_3836:
	s_or_b32 exec_lo, exec_lo, s35
.LBB54_3837:
	s_mov_b32 s35, -1
.LBB54_3838:
	s_mov_b32 s40, 0
.LBB54_3839:
	s_delay_alu instid0(SALU_CYCLE_1)
	s_and_b32 vcc_lo, exec_lo, s40
	s_cbranch_vccz .LBB54_3870
; %bb.3840:
	s_cmp_gt_i32 s0, 22
	s_cbranch_scc0 .LBB54_3848
; %bb.3841:
	s_cmp_lt_i32 s0, 24
	s_cbranch_scc1 .LBB54_3851
; %bb.3842:
	s_cmp_gt_i32 s0, 24
	s_cbranch_scc0 .LBB54_3852
; %bb.3843:
	global_load_u8 v5, v[10:11], off
	s_mov_b32 s35, 0
	s_mov_b32 s18, exec_lo
	s_wait_loadcnt 0x0
	v_cmpx_lt_i16_e32 0x7f, v5
	s_xor_b32 s18, exec_lo, s18
	s_cbranch_execz .LBB54_3864
; %bb.3844:
	v_cmp_ne_u16_e32 vcc_lo, 0x80, v5
	s_and_b32 s35, vcc_lo, exec_lo
	s_and_not1_saveexec_b32 s18, s18
	s_cbranch_execnz .LBB54_3865
.LBB54_3845:
	s_or_b32 exec_lo, exec_lo, s18
	v_mov_b32_e32 v3, 0
	s_and_saveexec_b32 s18, s35
	s_cbranch_execz .LBB54_3847
.LBB54_3846:
	v_and_b32_e32 v3, 0xffff, v5
	s_delay_alu instid0(VALU_DEP_1) | instskip(SKIP_1) | instid1(VALU_DEP_2)
	v_and_b32_e32 v7, 3, v3
	v_bfe_u32 v13, v3, 2, 5
	v_clz_i32_u32_e32 v9, v7
	s_delay_alu instid0(VALU_DEP_2) | instskip(NEXT) | instid1(VALU_DEP_2)
	v_cmp_eq_u32_e32 vcc_lo, 0, v13
	v_min_u32_e32 v9, 32, v9
	s_delay_alu instid0(VALU_DEP_1) | instskip(NEXT) | instid1(VALU_DEP_1)
	v_subrev_nc_u32_e32 v12, 29, v9
	v_dual_lshlrev_b32 v3, v12, v3 :: v_dual_sub_nc_u32 v9, 30, v9
	s_delay_alu instid0(VALU_DEP_1) | instskip(NEXT) | instid1(VALU_DEP_1)
	v_dual_lshlrev_b32 v5, 24, v5 :: v_dual_bitop2_b32 v3, 3, v3 bitop3:0x40
	v_dual_cndmask_b32 v3, v7, v3, vcc_lo :: v_dual_cndmask_b32 v9, v13, v9, vcc_lo
	s_delay_alu instid0(VALU_DEP_2) | instskip(NEXT) | instid1(VALU_DEP_2)
	v_and_b32_e32 v5, 0x80000000, v5
	v_lshlrev_b32_e32 v3, 21, v3
	s_delay_alu instid0(VALU_DEP_3) | instskip(NEXT) | instid1(VALU_DEP_1)
	v_lshl_add_u32 v7, v9, 23, 0x37800000
	v_or3_b32 v3, v5, v7, v3
	s_delay_alu instid0(VALU_DEP_1)
	v_cvt_i32_f32_e32 v3, v3
.LBB54_3847:
	s_or_b32 exec_lo, exec_lo, s18
	s_mov_b32 s18, 0
	s_branch .LBB54_3853
.LBB54_3848:
	s_mov_b32 s18, -1
                                        ; implicit-def: $vgpr3
	s_branch .LBB54_3859
.LBB54_3849:
	s_and_not1_saveexec_b32 s35, s35
	s_cbranch_execz .LBB54_3834
.LBB54_3850:
	v_cmp_ne_u16_e32 vcc_lo, 0, v5
	s_and_not1_b32 s40, s40, exec_lo
	s_and_b32 s41, vcc_lo, exec_lo
	s_delay_alu instid0(SALU_CYCLE_1)
	s_or_b32 s40, s40, s41
	s_or_b32 exec_lo, exec_lo, s35
	v_mov_b32_e32 v3, 0
	s_and_saveexec_b32 s35, s40
	s_cbranch_execnz .LBB54_3835
	s_branch .LBB54_3836
.LBB54_3851:
	s_mov_b32 s18, -1
                                        ; implicit-def: $vgpr3
	s_branch .LBB54_3856
.LBB54_3852:
	s_mov_b32 s18, -1
                                        ; implicit-def: $vgpr3
.LBB54_3853:
	s_delay_alu instid0(SALU_CYCLE_1)
	s_and_b32 vcc_lo, exec_lo, s18
	s_cbranch_vccz .LBB54_3855
; %bb.3854:
	s_wait_loadcnt 0x0
	global_load_u8 v3, v[10:11], off
	s_wait_loadcnt 0x0
	v_lshlrev_b32_e32 v3, 24, v3
	s_delay_alu instid0(VALU_DEP_1) | instskip(NEXT) | instid1(VALU_DEP_1)
	v_and_b32_e32 v5, 0x7f000000, v3
	v_clz_i32_u32_e32 v7, v5
	v_cmp_ne_u32_e32 vcc_lo, 0, v5
	v_add_nc_u32_e32 v12, 0x1000000, v5
	s_delay_alu instid0(VALU_DEP_3) | instskip(NEXT) | instid1(VALU_DEP_1)
	v_min_u32_e32 v7, 32, v7
	v_sub_nc_u32_e64 v7, v7, 4 clamp
	s_delay_alu instid0(VALU_DEP_1) | instskip(NEXT) | instid1(VALU_DEP_1)
	v_dual_lshlrev_b32 v9, v7, v5 :: v_dual_lshlrev_b32 v7, 23, v7
	v_lshrrev_b32_e32 v9, 4, v9
	s_delay_alu instid0(VALU_DEP_1) | instskip(NEXT) | instid1(VALU_DEP_1)
	v_dual_sub_nc_u32 v7, v9, v7 :: v_dual_ashrrev_i32 v9, 8, v12
	v_add_nc_u32_e32 v7, 0x3c000000, v7
	s_delay_alu instid0(VALU_DEP_1) | instskip(NEXT) | instid1(VALU_DEP_1)
	v_and_or_b32 v7, 0x7f800000, v9, v7
	v_cndmask_b32_e32 v5, 0, v7, vcc_lo
	s_delay_alu instid0(VALU_DEP_1) | instskip(NEXT) | instid1(VALU_DEP_1)
	v_and_or_b32 v3, 0x80000000, v3, v5
	v_cvt_i32_f32_e32 v3, v3
.LBB54_3855:
	s_mov_b32 s18, 0
.LBB54_3856:
	s_delay_alu instid0(SALU_CYCLE_1)
	s_and_not1_b32 vcc_lo, exec_lo, s18
	s_cbranch_vccnz .LBB54_3858
; %bb.3857:
	s_wait_loadcnt 0x0
	global_load_u8 v3, v[10:11], off
	s_wait_loadcnt 0x0
	v_lshlrev_b32_e32 v5, 25, v3
	v_lshlrev_b16 v3, 8, v3
	s_delay_alu instid0(VALU_DEP_1) | instskip(SKIP_1) | instid1(VALU_DEP_2)
	v_and_or_b32 v9, 0x7f00, v3, 0.5
	v_bfe_i32 v3, v3, 0, 16
	v_add_f32_e32 v9, -0.5, v9
	v_lshrrev_b32_e32 v7, 4, v5
	v_cmp_gt_u32_e32 vcc_lo, 0x8000000, v5
	s_delay_alu instid0(VALU_DEP_2) | instskip(NEXT) | instid1(VALU_DEP_1)
	v_or_b32_e32 v7, 0x70000000, v7
	v_mul_f32_e32 v7, 0x7800000, v7
	s_delay_alu instid0(VALU_DEP_1) | instskip(NEXT) | instid1(VALU_DEP_1)
	v_cndmask_b32_e32 v5, v7, v9, vcc_lo
	v_and_or_b32 v3, 0x80000000, v3, v5
	s_delay_alu instid0(VALU_DEP_1)
	v_cvt_i32_f32_e32 v3, v3
.LBB54_3858:
	s_mov_b32 s18, 0
	s_mov_b32 s35, -1
.LBB54_3859:
	s_and_not1_b32 vcc_lo, exec_lo, s18
	s_mov_b32 s18, 0
	s_cbranch_vccnz .LBB54_3870
; %bb.3860:
	s_cmp_gt_i32 s0, 14
	s_cbranch_scc0 .LBB54_3863
; %bb.3861:
	s_cmp_eq_u32 s0, 15
	s_cbranch_scc0 .LBB54_3866
; %bb.3862:
	s_wait_loadcnt 0x0
	global_load_u16 v3, v[10:11], off
	s_mov_b32 s1, 0
	s_mov_b32 s35, -1
	s_wait_loadcnt 0x0
	v_lshlrev_b32_e32 v3, 16, v3
	s_delay_alu instid0(VALU_DEP_1)
	v_cvt_i32_f32_e32 v3, v3
	s_branch .LBB54_3868
.LBB54_3863:
	s_mov_b32 s18, -1
	s_branch .LBB54_3867
.LBB54_3864:
	s_and_not1_saveexec_b32 s18, s18
	s_cbranch_execz .LBB54_3845
.LBB54_3865:
	v_cmp_ne_u16_e32 vcc_lo, 0, v5
	s_and_not1_b32 s35, s35, exec_lo
	s_and_b32 s40, vcc_lo, exec_lo
	s_delay_alu instid0(SALU_CYCLE_1)
	s_or_b32 s35, s35, s40
	s_or_b32 exec_lo, exec_lo, s18
	v_mov_b32_e32 v3, 0
	s_and_saveexec_b32 s18, s35
	s_cbranch_execnz .LBB54_3846
	s_branch .LBB54_3847
.LBB54_3866:
	s_mov_b32 s1, -1
.LBB54_3867:
                                        ; implicit-def: $vgpr3
.LBB54_3868:
	s_and_b32 vcc_lo, exec_lo, s18
	s_mov_b32 s18, 0
	s_cbranch_vccz .LBB54_3870
; %bb.3869:
	s_cmp_lg_u32 s0, 11
	s_mov_b32 s18, -1
	s_cselect_b32 s1, -1, 0
.LBB54_3870:
	s_delay_alu instid0(SALU_CYCLE_1)
	s_and_b32 vcc_lo, exec_lo, s1
	s_cbranch_vccnz .LBB54_3935
; %bb.3871:
	s_and_not1_b32 vcc_lo, exec_lo, s18
	s_cbranch_vccnz .LBB54_3873
.LBB54_3872:
	s_wait_loadcnt 0x0
	global_load_u8 v3, v[10:11], off
	s_mov_b32 s35, -1
	s_wait_loadcnt 0x0
	v_cmp_ne_u16_e32 vcc_lo, 0, v3
	v_cndmask_b32_e64 v3, 0, 1, vcc_lo
.LBB54_3873:
	s_mov_b32 s0, 0
.LBB54_3874:
	s_delay_alu instid0(SALU_CYCLE_1)
	s_and_b32 vcc_lo, exec_lo, s0
	s_cbranch_vccz .LBB54_3923
; %bb.3875:
	s_and_b32 s0, 0xffff, s56
	s_delay_alu instid0(SALU_CYCLE_1)
	s_cmp_lt_i32 s0, 5
	s_cbranch_scc1 .LBB54_3880
; %bb.3876:
	s_cmp_lt_i32 s0, 8
	s_cbranch_scc1 .LBB54_3881
; %bb.3877:
	;; [unrolled: 3-line block ×3, first 2 shown]
	s_cmp_gt_i32 s0, 9
	s_cbranch_scc0 .LBB54_3883
; %bb.3879:
	global_load_b64 v[12:13], v[10:11], off
	s_mov_b32 s1, 0
	s_wait_loadcnt 0x0
	v_cvt_i32_f64_e32 v3, v[12:13]
	s_branch .LBB54_3884
.LBB54_3880:
	s_mov_b32 s1, -1
                                        ; implicit-def: $vgpr3
	s_branch .LBB54_3902
.LBB54_3881:
	s_mov_b32 s1, -1
                                        ; implicit-def: $vgpr3
	s_branch .LBB54_3890
.LBB54_3882:
	s_mov_b32 s1, -1
                                        ; implicit-def: $vgpr3
	s_branch .LBB54_3887
.LBB54_3883:
	s_mov_b32 s1, -1
                                        ; implicit-def: $vgpr3
.LBB54_3884:
	s_delay_alu instid0(SALU_CYCLE_1)
	s_and_not1_b32 vcc_lo, exec_lo, s1
	s_cbranch_vccnz .LBB54_3886
; %bb.3885:
	s_wait_loadcnt 0x0
	global_load_b32 v3, v[10:11], off
	s_wait_loadcnt 0x0
	v_cvt_i32_f32_e32 v3, v3
.LBB54_3886:
	s_mov_b32 s1, 0
.LBB54_3887:
	s_delay_alu instid0(SALU_CYCLE_1)
	s_and_not1_b32 vcc_lo, exec_lo, s1
	s_cbranch_vccnz .LBB54_3889
; %bb.3888:
	s_wait_loadcnt 0x0
	global_load_b32 v3, v[10:11], off
	s_wait_loadcnt 0x0
	v_cvt_f32_f16_e32 v3, v3
	s_delay_alu instid0(VALU_DEP_1)
	v_cvt_i32_f32_e32 v3, v3
.LBB54_3889:
	s_mov_b32 s1, 0
.LBB54_3890:
	s_delay_alu instid0(SALU_CYCLE_1)
	s_and_not1_b32 vcc_lo, exec_lo, s1
	s_cbranch_vccnz .LBB54_3901
; %bb.3891:
	s_cmp_lt_i32 s0, 6
	s_cbranch_scc1 .LBB54_3894
; %bb.3892:
	s_cmp_gt_i32 s0, 6
	s_cbranch_scc0 .LBB54_3895
; %bb.3893:
	global_load_b64 v[12:13], v[10:11], off
	s_mov_b32 s1, 0
	s_wait_loadcnt 0x0
	v_cvt_i32_f64_e32 v3, v[12:13]
	s_branch .LBB54_3896
.LBB54_3894:
	s_mov_b32 s1, -1
                                        ; implicit-def: $vgpr3
	s_branch .LBB54_3899
.LBB54_3895:
	s_mov_b32 s1, -1
                                        ; implicit-def: $vgpr3
.LBB54_3896:
	s_delay_alu instid0(SALU_CYCLE_1)
	s_and_not1_b32 vcc_lo, exec_lo, s1
	s_cbranch_vccnz .LBB54_3898
; %bb.3897:
	s_wait_loadcnt 0x0
	global_load_b32 v3, v[10:11], off
	s_wait_loadcnt 0x0
	v_cvt_i32_f32_e32 v3, v3
.LBB54_3898:
	s_mov_b32 s1, 0
.LBB54_3899:
	s_delay_alu instid0(SALU_CYCLE_1)
	s_and_not1_b32 vcc_lo, exec_lo, s1
	s_cbranch_vccnz .LBB54_3901
; %bb.3900:
	s_wait_loadcnt 0x0
	global_load_u16 v3, v[10:11], off
	s_wait_loadcnt 0x0
	v_cvt_f32_f16_e32 v3, v3
	s_delay_alu instid0(VALU_DEP_1)
	v_cvt_i32_f32_e32 v3, v3
.LBB54_3901:
	s_mov_b32 s1, 0
.LBB54_3902:
	s_delay_alu instid0(SALU_CYCLE_1)
	s_and_not1_b32 vcc_lo, exec_lo, s1
	s_cbranch_vccnz .LBB54_3922
; %bb.3903:
	s_cmp_lt_i32 s0, 2
	s_cbranch_scc1 .LBB54_3907
; %bb.3904:
	s_cmp_lt_i32 s0, 3
	s_cbranch_scc1 .LBB54_3908
; %bb.3905:
	s_cmp_gt_i32 s0, 3
	s_cbranch_scc0 .LBB54_3909
; %bb.3906:
	s_wait_loadcnt 0x0
	global_load_b32 v3, v[10:11], off
	s_mov_b32 s1, 0
	s_branch .LBB54_3910
.LBB54_3907:
	s_mov_b32 s1, -1
                                        ; implicit-def: $vgpr3
	s_branch .LBB54_3916
.LBB54_3908:
	s_mov_b32 s1, -1
                                        ; implicit-def: $vgpr3
	s_branch .LBB54_3913
.LBB54_3909:
	s_mov_b32 s1, -1
                                        ; implicit-def: $vgpr3
.LBB54_3910:
	s_delay_alu instid0(SALU_CYCLE_1)
	s_and_not1_b32 vcc_lo, exec_lo, s1
	s_cbranch_vccnz .LBB54_3912
; %bb.3911:
	s_wait_loadcnt 0x0
	global_load_b32 v3, v[10:11], off
.LBB54_3912:
	s_mov_b32 s1, 0
.LBB54_3913:
	s_delay_alu instid0(SALU_CYCLE_1)
	s_and_not1_b32 vcc_lo, exec_lo, s1
	s_cbranch_vccnz .LBB54_3915
; %bb.3914:
	s_wait_loadcnt 0x0
	global_load_i16 v3, v[10:11], off
.LBB54_3915:
	s_mov_b32 s1, 0
.LBB54_3916:
	s_delay_alu instid0(SALU_CYCLE_1)
	s_and_not1_b32 vcc_lo, exec_lo, s1
	s_cbranch_vccnz .LBB54_3922
; %bb.3917:
	s_cmp_gt_i32 s0, 0
	s_mov_b32 s0, 0
	s_cbranch_scc0 .LBB54_3919
; %bb.3918:
	s_wait_loadcnt 0x0
	global_load_i8 v3, v[10:11], off
	s_branch .LBB54_3920
.LBB54_3919:
	s_mov_b32 s0, -1
                                        ; implicit-def: $vgpr3
.LBB54_3920:
	s_delay_alu instid0(SALU_CYCLE_1)
	s_and_not1_b32 vcc_lo, exec_lo, s0
	s_cbranch_vccnz .LBB54_3922
; %bb.3921:
	s_wait_loadcnt 0x0
	global_load_u8 v3, v[10:11], off
.LBB54_3922:
	s_mov_b32 s35, -1
.LBB54_3923:
	s_delay_alu instid0(SALU_CYCLE_1)
	s_and_not1_b32 vcc_lo, exec_lo, s35
	s_cbranch_vccnz .LBB54_4318
; %bb.3924:
	s_lshl_b32 s69, s19, 7
	s_cmp_lt_i32 s57, 11
	v_add_nc_u32_e32 v4, s69, v4
	s_delay_alu instid0(VALU_DEP_1) | instskip(NEXT) | instid1(VALU_DEP_1)
	v_ashrrev_i32_e32 v5, 31, v4
	v_add_nc_u64_e32 v[12:13], s[10:11], v[4:5]
	s_cbranch_scc1 .LBB54_3931
; %bb.3925:
	s_and_b32 s0, 0xffff, s57
	s_mov_b32 s18, 0
	s_cmp_gt_i32 s0, 25
	s_cbranch_scc0 .LBB54_3932
; %bb.3926:
	s_cmp_gt_i32 s0, 28
	s_cbranch_scc0 .LBB54_3933
; %bb.3927:
	;; [unrolled: 3-line block ×4, first 2 shown]
	s_cmp_eq_u32 s0, 46
	s_mov_b32 s35, 0
	s_cbranch_scc0 .LBB54_3939
; %bb.3930:
	global_load_b32 v5, v[12:13], off
	s_mov_b32 s1, 0
	s_mov_b32 s19, -1
	s_wait_loadcnt 0x0
	v_lshlrev_b32_e32 v5, 16, v5
	s_wait_xcnt 0x1
	s_delay_alu instid0(VALU_DEP_1)
	v_cvt_i32_f32_e32 v10, v5
	s_branch .LBB54_3941
.LBB54_3931:
	s_mov_b32 s0, -1
	s_mov_b32 s19, 0
                                        ; implicit-def: $vgpr10
	s_branch .LBB54_4003
.LBB54_3932:
	s_mov_b32 s35, -1
	s_mov_b32 s19, 0
	s_mov_b32 s1, 0
                                        ; implicit-def: $vgpr10
	s_branch .LBB54_3968
.LBB54_3933:
	s_mov_b32 s35, -1
	s_mov_b32 s19, 0
	s_mov_b32 s1, 0
                                        ; implicit-def: $vgpr10
	s_branch .LBB54_3951
.LBB54_3934:
	s_mov_b32 s35, -1
	s_mov_b32 s19, 0
	s_mov_b32 s1, 0
                                        ; implicit-def: $vgpr10
	s_branch .LBB54_3946
.LBB54_3935:
	s_or_b32 s17, s17, exec_lo
	s_trap 2
	s_cbranch_execz .LBB54_3872
	s_branch .LBB54_3873
.LBB54_3936:
	s_mov_b32 s35, -1
	s_mov_b32 s19, 0
	s_mov_b32 s1, 0
	s_branch .LBB54_3940
.LBB54_3937:
	s_or_b32 exec_lo, exec_lo, s59
	s_branch .LBB54_629
.LBB54_3938:
	s_or_b32 s21, s33, exec_lo
	s_trap 2
                                        ; implicit-def: $vgpr0
                                        ; implicit-def: $vgpr2
                                        ; implicit-def: $vgpr4
                                        ; implicit-def: $vgpr10
                                        ; implicit-def: $vgpr6
                                        ; implicit-def: $vgpr12
                                        ; implicit-def: $vgpr8
                                        ; implicit-def: $vgpr16
                                        ; implicit-def: $vgpr22
	s_branch .LBB54_3429
.LBB54_3939:
	s_mov_b32 s1, -1
	s_mov_b32 s19, 0
.LBB54_3940:
                                        ; implicit-def: $vgpr10
.LBB54_3941:
	s_and_b32 vcc_lo, exec_lo, s35
	s_cbranch_vccz .LBB54_3945
; %bb.3942:
	s_cmp_eq_u32 s0, 44
	s_cbranch_scc0 .LBB54_3944
; %bb.3943:
	global_load_u8 v5, v[12:13], off
	s_mov_b32 s1, 0
	s_mov_b32 s19, -1
	s_wait_loadcnt 0x0
	v_lshlrev_b32_e32 v7, 23, v5
	v_cmp_ne_u32_e32 vcc_lo, 0, v5
	s_delay_alu instid0(VALU_DEP_2) | instskip(SKIP_1) | instid1(VALU_DEP_1)
	v_cvt_i32_f32_e32 v7, v7
	s_wait_xcnt 0x1
	v_cndmask_b32_e32 v10, 0, v7, vcc_lo
	s_branch .LBB54_3945
.LBB54_3944:
	s_mov_b32 s1, -1
                                        ; implicit-def: $vgpr10
.LBB54_3945:
	s_mov_b32 s35, 0
.LBB54_3946:
	s_delay_alu instid0(SALU_CYCLE_1)
	s_and_b32 vcc_lo, exec_lo, s35
	s_cbranch_vccz .LBB54_3950
; %bb.3947:
	s_cmp_eq_u32 s0, 29
	s_cbranch_scc0 .LBB54_3949
; %bb.3948:
	global_load_b32 v10, v[12:13], off
	s_mov_b32 s1, 0
	s_mov_b32 s19, -1
	s_branch .LBB54_3950
.LBB54_3949:
	s_mov_b32 s1, -1
                                        ; implicit-def: $vgpr10
.LBB54_3950:
	s_mov_b32 s35, 0
.LBB54_3951:
	s_delay_alu instid0(SALU_CYCLE_1)
	s_and_b32 vcc_lo, exec_lo, s35
	s_cbranch_vccz .LBB54_3967
; %bb.3952:
	s_cmp_lt_i32 s0, 27
	s_cbranch_scc1 .LBB54_3955
; %bb.3953:
	s_cmp_gt_i32 s0, 27
	s_cbranch_scc0 .LBB54_3956
; %bb.3954:
	s_wait_loadcnt 0x0
	global_load_b32 v10, v[12:13], off
	s_mov_b32 s19, 0
	s_branch .LBB54_3957
.LBB54_3955:
	s_mov_b32 s19, -1
                                        ; implicit-def: $vgpr10
	s_branch .LBB54_3960
.LBB54_3956:
	s_mov_b32 s19, -1
                                        ; implicit-def: $vgpr10
.LBB54_3957:
	s_delay_alu instid0(SALU_CYCLE_1)
	s_and_not1_b32 vcc_lo, exec_lo, s19
	s_cbranch_vccnz .LBB54_3959
; %bb.3958:
	s_wait_loadcnt 0x0
	global_load_u16 v10, v[12:13], off
.LBB54_3959:
	s_mov_b32 s19, 0
.LBB54_3960:
	s_delay_alu instid0(SALU_CYCLE_1)
	s_and_not1_b32 vcc_lo, exec_lo, s19
	s_cbranch_vccnz .LBB54_3966
; %bb.3961:
	global_load_u8 v5, v[12:13], off
	s_mov_b32 s35, 0
	s_mov_b32 s19, exec_lo
	s_wait_loadcnt 0x0
	v_cmpx_lt_i16_e32 0x7f, v5
	s_xor_b32 s19, exec_lo, s19
	s_cbranch_execz .LBB54_3978
; %bb.3962:
	v_cmp_ne_u16_e32 vcc_lo, 0x80, v5
	s_and_b32 s35, vcc_lo, exec_lo
	s_and_not1_saveexec_b32 s19, s19
	s_cbranch_execnz .LBB54_3979
.LBB54_3963:
	s_or_b32 exec_lo, exec_lo, s19
	v_mov_b32_e32 v10, 0
	s_and_saveexec_b32 s19, s35
	s_cbranch_execz .LBB54_3965
.LBB54_3964:
	v_and_b32_e32 v7, 0xffff, v5
	s_delay_alu instid0(VALU_DEP_1) | instskip(SKIP_1) | instid1(VALU_DEP_2)
	v_and_b32_e32 v9, 7, v7
	v_bfe_u32 v14, v7, 3, 4
	v_clz_i32_u32_e32 v10, v9
	s_delay_alu instid0(VALU_DEP_2) | instskip(NEXT) | instid1(VALU_DEP_2)
	v_cmp_eq_u32_e32 vcc_lo, 0, v14
	v_min_u32_e32 v10, 32, v10
	s_delay_alu instid0(VALU_DEP_1) | instskip(NEXT) | instid1(VALU_DEP_1)
	v_subrev_nc_u32_e32 v11, 28, v10
	v_dual_lshlrev_b32 v7, v11, v7 :: v_dual_sub_nc_u32 v10, 29, v10
	s_delay_alu instid0(VALU_DEP_1) | instskip(NEXT) | instid1(VALU_DEP_1)
	v_dual_lshlrev_b32 v5, 24, v5 :: v_dual_bitop2_b32 v7, 7, v7 bitop3:0x40
	v_dual_cndmask_b32 v10, v14, v10 :: v_dual_cndmask_b32 v7, v9, v7
	s_delay_alu instid0(VALU_DEP_2) | instskip(NEXT) | instid1(VALU_DEP_2)
	v_and_b32_e32 v5, 0x80000000, v5
	v_lshl_add_u32 v9, v10, 23, 0x3b800000
	s_delay_alu instid0(VALU_DEP_3) | instskip(NEXT) | instid1(VALU_DEP_1)
	v_lshlrev_b32_e32 v7, 20, v7
	v_or3_b32 v5, v5, v9, v7
	s_delay_alu instid0(VALU_DEP_1)
	v_cvt_i32_f32_e32 v10, v5
.LBB54_3965:
	s_or_b32 exec_lo, exec_lo, s19
.LBB54_3966:
	s_mov_b32 s19, -1
.LBB54_3967:
	s_mov_b32 s35, 0
.LBB54_3968:
	s_delay_alu instid0(SALU_CYCLE_1)
	s_and_b32 vcc_lo, exec_lo, s35
	s_cbranch_vccz .LBB54_3999
; %bb.3969:
	s_cmp_gt_i32 s0, 22
	s_cbranch_scc0 .LBB54_3977
; %bb.3970:
	s_cmp_lt_i32 s0, 24
	s_cbranch_scc1 .LBB54_3980
; %bb.3971:
	s_cmp_gt_i32 s0, 24
	s_cbranch_scc0 .LBB54_3981
; %bb.3972:
	global_load_u8 v5, v[12:13], off
	s_mov_b32 s19, 0
	s_mov_b32 s18, exec_lo
	s_wait_loadcnt 0x0
	v_cmpx_lt_i16_e32 0x7f, v5
	s_xor_b32 s18, exec_lo, s18
	s_cbranch_execz .LBB54_3993
; %bb.3973:
	v_cmp_ne_u16_e32 vcc_lo, 0x80, v5
	s_and_b32 s19, vcc_lo, exec_lo
	s_and_not1_saveexec_b32 s18, s18
	s_cbranch_execnz .LBB54_3994
.LBB54_3974:
	s_or_b32 exec_lo, exec_lo, s18
	v_mov_b32_e32 v10, 0
	s_and_saveexec_b32 s18, s19
	s_cbranch_execz .LBB54_3976
.LBB54_3975:
	v_and_b32_e32 v7, 0xffff, v5
	s_delay_alu instid0(VALU_DEP_1) | instskip(SKIP_1) | instid1(VALU_DEP_2)
	v_and_b32_e32 v9, 3, v7
	v_bfe_u32 v14, v7, 2, 5
	v_clz_i32_u32_e32 v10, v9
	s_delay_alu instid0(VALU_DEP_2) | instskip(NEXT) | instid1(VALU_DEP_2)
	v_cmp_eq_u32_e32 vcc_lo, 0, v14
	v_min_u32_e32 v10, 32, v10
	s_delay_alu instid0(VALU_DEP_1) | instskip(NEXT) | instid1(VALU_DEP_1)
	v_subrev_nc_u32_e32 v11, 29, v10
	v_dual_lshlrev_b32 v7, v11, v7 :: v_dual_sub_nc_u32 v10, 30, v10
	s_delay_alu instid0(VALU_DEP_1) | instskip(NEXT) | instid1(VALU_DEP_1)
	v_dual_lshlrev_b32 v5, 24, v5 :: v_dual_bitop2_b32 v7, 3, v7 bitop3:0x40
	v_dual_cndmask_b32 v10, v14, v10 :: v_dual_cndmask_b32 v7, v9, v7
	s_delay_alu instid0(VALU_DEP_2) | instskip(NEXT) | instid1(VALU_DEP_2)
	v_and_b32_e32 v5, 0x80000000, v5
	v_lshl_add_u32 v9, v10, 23, 0x37800000
	s_delay_alu instid0(VALU_DEP_3) | instskip(NEXT) | instid1(VALU_DEP_1)
	v_lshlrev_b32_e32 v7, 21, v7
	v_or3_b32 v5, v5, v9, v7
	s_delay_alu instid0(VALU_DEP_1)
	v_cvt_i32_f32_e32 v10, v5
.LBB54_3976:
	s_or_b32 exec_lo, exec_lo, s18
	s_mov_b32 s18, 0
	s_branch .LBB54_3982
.LBB54_3977:
	s_mov_b32 s18, -1
                                        ; implicit-def: $vgpr10
	s_branch .LBB54_3988
.LBB54_3978:
	s_and_not1_saveexec_b32 s19, s19
	s_cbranch_execz .LBB54_3963
.LBB54_3979:
	v_cmp_ne_u16_e32 vcc_lo, 0, v5
	s_and_not1_b32 s35, s35, exec_lo
	s_and_b32 s40, vcc_lo, exec_lo
	s_delay_alu instid0(SALU_CYCLE_1)
	s_or_b32 s35, s35, s40
	s_or_b32 exec_lo, exec_lo, s19
	v_mov_b32_e32 v10, 0
	s_and_saveexec_b32 s19, s35
	s_cbranch_execnz .LBB54_3964
	s_branch .LBB54_3965
.LBB54_3980:
	s_mov_b32 s18, -1
                                        ; implicit-def: $vgpr10
	s_branch .LBB54_3985
.LBB54_3981:
	s_mov_b32 s18, -1
                                        ; implicit-def: $vgpr10
.LBB54_3982:
	s_delay_alu instid0(SALU_CYCLE_1)
	s_and_b32 vcc_lo, exec_lo, s18
	s_cbranch_vccz .LBB54_3984
; %bb.3983:
	global_load_u8 v5, v[12:13], off
	s_wait_loadcnt 0x0
	v_lshlrev_b32_e32 v5, 24, v5
	s_delay_alu instid0(VALU_DEP_1) | instskip(NEXT) | instid1(VALU_DEP_1)
	v_and_b32_e32 v7, 0x7f000000, v5
	v_clz_i32_u32_e32 v9, v7
	s_wait_xcnt 0x1
	v_add_nc_u32_e32 v11, 0x1000000, v7
	v_cmp_ne_u32_e32 vcc_lo, 0, v7
	s_delay_alu instid0(VALU_DEP_3) | instskip(NEXT) | instid1(VALU_DEP_1)
	v_min_u32_e32 v9, 32, v9
	v_sub_nc_u32_e64 v9, v9, 4 clamp
	s_delay_alu instid0(VALU_DEP_1) | instskip(NEXT) | instid1(VALU_DEP_1)
	v_dual_lshlrev_b32 v10, v9, v7 :: v_dual_lshlrev_b32 v9, 23, v9
	v_lshrrev_b32_e32 v10, 4, v10
	s_delay_alu instid0(VALU_DEP_1) | instskip(NEXT) | instid1(VALU_DEP_1)
	v_dual_sub_nc_u32 v9, v10, v9 :: v_dual_ashrrev_i32 v10, 8, v11
	v_add_nc_u32_e32 v9, 0x3c000000, v9
	s_delay_alu instid0(VALU_DEP_1) | instskip(NEXT) | instid1(VALU_DEP_1)
	v_and_or_b32 v9, 0x7f800000, v10, v9
	v_cndmask_b32_e32 v7, 0, v9, vcc_lo
	s_delay_alu instid0(VALU_DEP_1) | instskip(NEXT) | instid1(VALU_DEP_1)
	v_and_or_b32 v5, 0x80000000, v5, v7
	v_cvt_i32_f32_e32 v10, v5
.LBB54_3984:
	s_mov_b32 s18, 0
.LBB54_3985:
	s_delay_alu instid0(SALU_CYCLE_1)
	s_and_not1_b32 vcc_lo, exec_lo, s18
	s_cbranch_vccnz .LBB54_3987
; %bb.3986:
	global_load_u8 v5, v[12:13], off
	s_wait_loadcnt 0x0
	v_lshlrev_b32_e32 v7, 25, v5
	v_lshlrev_b16 v5, 8, v5
	s_wait_xcnt 0x1
	s_delay_alu instid0(VALU_DEP_1) | instskip(SKIP_1) | instid1(VALU_DEP_2)
	v_and_or_b32 v10, 0x7f00, v5, 0.5
	v_bfe_i32 v5, v5, 0, 16
	v_dual_add_f32 v10, -0.5, v10 :: v_dual_lshrrev_b32 v9, 4, v7
	v_cmp_gt_u32_e32 vcc_lo, 0x8000000, v7
	s_delay_alu instid0(VALU_DEP_2) | instskip(NEXT) | instid1(VALU_DEP_1)
	v_or_b32_e32 v9, 0x70000000, v9
	v_mul_f32_e32 v9, 0x7800000, v9
	s_delay_alu instid0(VALU_DEP_1) | instskip(NEXT) | instid1(VALU_DEP_1)
	v_cndmask_b32_e32 v7, v9, v10, vcc_lo
	v_and_or_b32 v5, 0x80000000, v5, v7
	s_delay_alu instid0(VALU_DEP_1)
	v_cvt_i32_f32_e32 v10, v5
.LBB54_3987:
	s_mov_b32 s18, 0
	s_mov_b32 s19, -1
.LBB54_3988:
	s_and_not1_b32 vcc_lo, exec_lo, s18
	s_mov_b32 s18, 0
	s_cbranch_vccnz .LBB54_3999
; %bb.3989:
	s_cmp_gt_i32 s0, 14
	s_cbranch_scc0 .LBB54_3992
; %bb.3990:
	s_cmp_eq_u32 s0, 15
	s_cbranch_scc0 .LBB54_3995
; %bb.3991:
	global_load_u16 v5, v[12:13], off
	s_mov_b32 s1, 0
	s_mov_b32 s19, -1
	s_wait_loadcnt 0x0
	v_lshlrev_b32_e32 v5, 16, v5
	s_wait_xcnt 0x1
	s_delay_alu instid0(VALU_DEP_1)
	v_cvt_i32_f32_e32 v10, v5
	s_branch .LBB54_3997
.LBB54_3992:
	s_mov_b32 s18, -1
	s_branch .LBB54_3996
.LBB54_3993:
	s_and_not1_saveexec_b32 s18, s18
	s_cbranch_execz .LBB54_3974
.LBB54_3994:
	v_cmp_ne_u16_e32 vcc_lo, 0, v5
	s_and_not1_b32 s19, s19, exec_lo
	s_and_b32 s35, vcc_lo, exec_lo
	s_delay_alu instid0(SALU_CYCLE_1)
	s_or_b32 s19, s19, s35
	s_or_b32 exec_lo, exec_lo, s18
	v_mov_b32_e32 v10, 0
	s_and_saveexec_b32 s18, s19
	s_cbranch_execnz .LBB54_3975
	s_branch .LBB54_3976
.LBB54_3995:
	s_mov_b32 s1, -1
.LBB54_3996:
                                        ; implicit-def: $vgpr10
.LBB54_3997:
	s_and_b32 vcc_lo, exec_lo, s18
	s_mov_b32 s18, 0
	s_cbranch_vccz .LBB54_3999
; %bb.3998:
	s_cmp_lg_u32 s0, 11
	s_mov_b32 s18, -1
	s_cselect_b32 s1, -1, 0
.LBB54_3999:
	s_delay_alu instid0(SALU_CYCLE_1)
	s_and_b32 vcc_lo, exec_lo, s1
	s_cbranch_vccnz .LBB54_4064
; %bb.4000:
	s_and_not1_b32 vcc_lo, exec_lo, s18
	s_cbranch_vccnz .LBB54_4002
.LBB54_4001:
	global_load_u8 v5, v[12:13], off
	s_mov_b32 s19, -1
	s_wait_loadcnt 0x0
	v_cmp_ne_u16_e32 vcc_lo, 0, v5
	s_wait_xcnt 0x1
	v_cndmask_b32_e64 v10, 0, 1, vcc_lo
.LBB54_4002:
	s_mov_b32 s0, 0
.LBB54_4003:
	s_delay_alu instid0(SALU_CYCLE_1)
	s_and_b32 vcc_lo, exec_lo, s0
	s_cbranch_vccz .LBB54_4052
; %bb.4004:
	s_and_b32 s0, 0xffff, s57
	s_delay_alu instid0(SALU_CYCLE_1)
	s_cmp_lt_i32 s0, 5
	s_cbranch_scc1 .LBB54_4009
; %bb.4005:
	s_cmp_lt_i32 s0, 8
	s_cbranch_scc1 .LBB54_4010
; %bb.4006:
	;; [unrolled: 3-line block ×3, first 2 shown]
	s_cmp_gt_i32 s0, 9
	s_cbranch_scc0 .LBB54_4012
; %bb.4008:
	s_wait_loadcnt 0x0
	global_load_b64 v[10:11], v[12:13], off
	s_mov_b32 s1, 0
	s_wait_loadcnt 0x0
	v_cvt_i32_f64_e32 v10, v[10:11]
	s_branch .LBB54_4013
.LBB54_4009:
	s_mov_b32 s1, -1
                                        ; implicit-def: $vgpr10
	s_branch .LBB54_4031
.LBB54_4010:
	s_mov_b32 s1, -1
                                        ; implicit-def: $vgpr10
	s_branch .LBB54_4019
.LBB54_4011:
	s_mov_b32 s1, -1
                                        ; implicit-def: $vgpr10
	s_branch .LBB54_4016
.LBB54_4012:
	s_mov_b32 s1, -1
                                        ; implicit-def: $vgpr10
.LBB54_4013:
	s_delay_alu instid0(SALU_CYCLE_1)
	s_and_not1_b32 vcc_lo, exec_lo, s1
	s_cbranch_vccnz .LBB54_4015
; %bb.4014:
	global_load_b32 v5, v[12:13], off
	s_wait_loadcnt 0x0
	s_wait_xcnt 0x1
	v_cvt_i32_f32_e32 v10, v5
.LBB54_4015:
	s_mov_b32 s1, 0
.LBB54_4016:
	s_delay_alu instid0(SALU_CYCLE_1)
	s_and_not1_b32 vcc_lo, exec_lo, s1
	s_cbranch_vccnz .LBB54_4018
; %bb.4017:
	global_load_b32 v5, v[12:13], off
	s_wait_loadcnt 0x0
	v_cvt_f32_f16_e32 v5, v5
	s_wait_xcnt 0x1
	s_delay_alu instid0(VALU_DEP_1)
	v_cvt_i32_f32_e32 v10, v5
.LBB54_4018:
	s_mov_b32 s1, 0
.LBB54_4019:
	s_delay_alu instid0(SALU_CYCLE_1)
	s_and_not1_b32 vcc_lo, exec_lo, s1
	s_cbranch_vccnz .LBB54_4030
; %bb.4020:
	s_cmp_lt_i32 s0, 6
	s_cbranch_scc1 .LBB54_4023
; %bb.4021:
	s_cmp_gt_i32 s0, 6
	s_cbranch_scc0 .LBB54_4024
; %bb.4022:
	s_wait_loadcnt 0x0
	global_load_b64 v[10:11], v[12:13], off
	s_mov_b32 s1, 0
	s_wait_loadcnt 0x0
	v_cvt_i32_f64_e32 v10, v[10:11]
	s_branch .LBB54_4025
.LBB54_4023:
	s_mov_b32 s1, -1
                                        ; implicit-def: $vgpr10
	s_branch .LBB54_4028
.LBB54_4024:
	s_mov_b32 s1, -1
                                        ; implicit-def: $vgpr10
.LBB54_4025:
	s_delay_alu instid0(SALU_CYCLE_1)
	s_and_not1_b32 vcc_lo, exec_lo, s1
	s_cbranch_vccnz .LBB54_4027
; %bb.4026:
	global_load_b32 v5, v[12:13], off
	s_wait_loadcnt 0x0
	s_wait_xcnt 0x1
	v_cvt_i32_f32_e32 v10, v5
.LBB54_4027:
	s_mov_b32 s1, 0
.LBB54_4028:
	s_delay_alu instid0(SALU_CYCLE_1)
	s_and_not1_b32 vcc_lo, exec_lo, s1
	s_cbranch_vccnz .LBB54_4030
; %bb.4029:
	global_load_u16 v5, v[12:13], off
	s_wait_loadcnt 0x0
	v_cvt_f32_f16_e32 v5, v5
	s_wait_xcnt 0x1
	s_delay_alu instid0(VALU_DEP_1)
	v_cvt_i32_f32_e32 v10, v5
.LBB54_4030:
	s_mov_b32 s1, 0
.LBB54_4031:
	s_delay_alu instid0(SALU_CYCLE_1)
	s_and_not1_b32 vcc_lo, exec_lo, s1
	s_cbranch_vccnz .LBB54_4051
; %bb.4032:
	s_cmp_lt_i32 s0, 2
	s_cbranch_scc1 .LBB54_4036
; %bb.4033:
	s_cmp_lt_i32 s0, 3
	s_cbranch_scc1 .LBB54_4037
; %bb.4034:
	s_cmp_gt_i32 s0, 3
	s_cbranch_scc0 .LBB54_4038
; %bb.4035:
	s_wait_loadcnt 0x0
	global_load_b32 v10, v[12:13], off
	s_mov_b32 s1, 0
	s_branch .LBB54_4039
.LBB54_4036:
	s_mov_b32 s1, -1
                                        ; implicit-def: $vgpr10
	s_branch .LBB54_4045
.LBB54_4037:
	s_mov_b32 s1, -1
                                        ; implicit-def: $vgpr10
	s_branch .LBB54_4042
.LBB54_4038:
	s_mov_b32 s1, -1
                                        ; implicit-def: $vgpr10
.LBB54_4039:
	s_delay_alu instid0(SALU_CYCLE_1)
	s_and_not1_b32 vcc_lo, exec_lo, s1
	s_cbranch_vccnz .LBB54_4041
; %bb.4040:
	s_wait_loadcnt 0x0
	global_load_b32 v10, v[12:13], off
.LBB54_4041:
	s_mov_b32 s1, 0
.LBB54_4042:
	s_delay_alu instid0(SALU_CYCLE_1)
	s_and_not1_b32 vcc_lo, exec_lo, s1
	s_cbranch_vccnz .LBB54_4044
; %bb.4043:
	s_wait_loadcnt 0x0
	global_load_i16 v10, v[12:13], off
.LBB54_4044:
	s_mov_b32 s1, 0
.LBB54_4045:
	s_delay_alu instid0(SALU_CYCLE_1)
	s_and_not1_b32 vcc_lo, exec_lo, s1
	s_cbranch_vccnz .LBB54_4051
; %bb.4046:
	s_cmp_gt_i32 s0, 0
	s_mov_b32 s0, 0
	s_cbranch_scc0 .LBB54_4048
; %bb.4047:
	s_wait_loadcnt 0x0
	global_load_i8 v10, v[12:13], off
	s_branch .LBB54_4049
.LBB54_4048:
	s_mov_b32 s0, -1
                                        ; implicit-def: $vgpr10
.LBB54_4049:
	s_delay_alu instid0(SALU_CYCLE_1)
	s_and_not1_b32 vcc_lo, exec_lo, s0
	s_cbranch_vccnz .LBB54_4051
; %bb.4050:
	s_wait_loadcnt 0x0
	global_load_u8 v10, v[12:13], off
.LBB54_4051:
	s_mov_b32 s19, -1
.LBB54_4052:
	s_delay_alu instid0(SALU_CYCLE_1)
	s_and_not1_b32 vcc_lo, exec_lo, s19
	s_cbranch_vccnz .LBB54_4318
; %bb.4053:
	s_lshl_b32 s70, s36, 7
	s_cmp_lt_i32 s58, 11
	v_add_nc_u32_e32 v6, s70, v6
	s_delay_alu instid0(VALU_DEP_1) | instskip(NEXT) | instid1(VALU_DEP_1)
	v_ashrrev_i32_e32 v7, 31, v6
	v_add_nc_u64_e32 v[14:15], s[12:13], v[6:7]
	s_cbranch_scc1 .LBB54_4060
; %bb.4054:
	s_and_b32 s0, 0xffff, s58
	s_mov_b32 s18, 0
	s_cmp_gt_i32 s0, 25
	s_cbranch_scc0 .LBB54_4061
; %bb.4055:
	s_cmp_gt_i32 s0, 28
	s_cbranch_scc0 .LBB54_4062
; %bb.4056:
	;; [unrolled: 3-line block ×4, first 2 shown]
	s_cmp_eq_u32 s0, 46
	s_mov_b32 s35, 0
	s_cbranch_scc0 .LBB54_4068
; %bb.4059:
	global_load_b32 v5, v[14:15], off
	s_mov_b32 s1, 0
	s_mov_b32 s19, -1
	s_wait_loadcnt 0x0
	v_lshlrev_b32_e32 v5, 16, v5
	s_wait_xcnt 0x1
	s_delay_alu instid0(VALU_DEP_1)
	v_cvt_i32_f32_e32 v12, v5
	s_branch .LBB54_4070
.LBB54_4060:
	s_mov_b32 s0, -1
	s_mov_b32 s19, 0
                                        ; implicit-def: $vgpr12
	s_branch .LBB54_4132
.LBB54_4061:
	s_mov_b32 s35, -1
	s_mov_b32 s19, 0
	s_mov_b32 s1, 0
                                        ; implicit-def: $vgpr12
	s_branch .LBB54_4097
.LBB54_4062:
	s_mov_b32 s35, -1
	s_mov_b32 s19, 0
	s_mov_b32 s1, 0
                                        ; implicit-def: $vgpr12
	s_branch .LBB54_4080
.LBB54_4063:
	s_mov_b32 s35, -1
	s_mov_b32 s19, 0
	s_mov_b32 s1, 0
                                        ; implicit-def: $vgpr12
	s_branch .LBB54_4075
.LBB54_4064:
	s_or_b32 s17, s17, exec_lo
	s_trap 2
	s_cbranch_execz .LBB54_4001
	s_branch .LBB54_4002
.LBB54_4065:
	s_mov_b32 s35, -1
	s_mov_b32 s19, 0
	s_mov_b32 s1, 0
	s_branch .LBB54_4069
.LBB54_4066:
	s_or_b32 exec_lo, exec_lo, s76
	s_branch .LBB54_1298
.LBB54_4067:
	s_or_b32 s39, s21, exec_lo
	s_trap 2
                                        ; implicit-def: $vgpr0
                                        ; implicit-def: $vgpr2
                                        ; implicit-def: $vgpr4
                                        ; implicit-def: $vgpr10
                                        ; implicit-def: $vgpr6
                                        ; implicit-def: $vgpr12
                                        ; implicit-def: $vgpr8
                                        ; implicit-def: $vgpr16
                                        ; implicit-def: $vgpr22
	s_branch .LBB54_3431
.LBB54_4068:
	s_mov_b32 s1, -1
	s_mov_b32 s19, 0
.LBB54_4069:
                                        ; implicit-def: $vgpr12
.LBB54_4070:
	s_and_b32 vcc_lo, exec_lo, s35
	s_cbranch_vccz .LBB54_4074
; %bb.4071:
	s_cmp_eq_u32 s0, 44
	s_cbranch_scc0 .LBB54_4073
; %bb.4072:
	global_load_u8 v5, v[14:15], off
	s_mov_b32 s1, 0
	s_mov_b32 s19, -1
	s_wait_loadcnt 0x0
	v_lshlrev_b32_e32 v7, 23, v5
	v_cmp_ne_u32_e32 vcc_lo, 0, v5
	s_delay_alu instid0(VALU_DEP_2) | instskip(SKIP_1) | instid1(VALU_DEP_1)
	v_cvt_i32_f32_e32 v7, v7
	s_wait_xcnt 0x1
	v_cndmask_b32_e32 v12, 0, v7, vcc_lo
	s_branch .LBB54_4074
.LBB54_4073:
	s_mov_b32 s1, -1
                                        ; implicit-def: $vgpr12
.LBB54_4074:
	s_mov_b32 s35, 0
.LBB54_4075:
	s_delay_alu instid0(SALU_CYCLE_1)
	s_and_b32 vcc_lo, exec_lo, s35
	s_cbranch_vccz .LBB54_4079
; %bb.4076:
	s_cmp_eq_u32 s0, 29
	s_cbranch_scc0 .LBB54_4078
; %bb.4077:
	global_load_b32 v12, v[14:15], off
	s_mov_b32 s1, 0
	s_mov_b32 s19, -1
	s_branch .LBB54_4079
.LBB54_4078:
	s_mov_b32 s1, -1
                                        ; implicit-def: $vgpr12
.LBB54_4079:
	s_mov_b32 s35, 0
.LBB54_4080:
	s_delay_alu instid0(SALU_CYCLE_1)
	s_and_b32 vcc_lo, exec_lo, s35
	s_cbranch_vccz .LBB54_4096
; %bb.4081:
	s_cmp_lt_i32 s0, 27
	s_cbranch_scc1 .LBB54_4084
; %bb.4082:
	s_cmp_gt_i32 s0, 27
	s_cbranch_scc0 .LBB54_4085
; %bb.4083:
	s_wait_loadcnt 0x0
	global_load_b32 v12, v[14:15], off
	s_mov_b32 s19, 0
	s_branch .LBB54_4086
.LBB54_4084:
	s_mov_b32 s19, -1
                                        ; implicit-def: $vgpr12
	s_branch .LBB54_4089
.LBB54_4085:
	s_mov_b32 s19, -1
                                        ; implicit-def: $vgpr12
.LBB54_4086:
	s_delay_alu instid0(SALU_CYCLE_1)
	s_and_not1_b32 vcc_lo, exec_lo, s19
	s_cbranch_vccnz .LBB54_4088
; %bb.4087:
	s_wait_loadcnt 0x0
	global_load_u16 v12, v[14:15], off
.LBB54_4088:
	s_mov_b32 s19, 0
.LBB54_4089:
	s_delay_alu instid0(SALU_CYCLE_1)
	s_and_not1_b32 vcc_lo, exec_lo, s19
	s_cbranch_vccnz .LBB54_4095
; %bb.4090:
	global_load_u8 v5, v[14:15], off
	s_mov_b32 s35, 0
	s_mov_b32 s19, exec_lo
	s_wait_loadcnt 0x0
	v_cmpx_lt_i16_e32 0x7f, v5
	s_xor_b32 s19, exec_lo, s19
	s_cbranch_execz .LBB54_4107
; %bb.4091:
	v_cmp_ne_u16_e32 vcc_lo, 0x80, v5
	s_and_b32 s35, vcc_lo, exec_lo
	s_and_not1_saveexec_b32 s19, s19
	s_cbranch_execnz .LBB54_4108
.LBB54_4092:
	s_or_b32 exec_lo, exec_lo, s19
	v_mov_b32_e32 v12, 0
	s_and_saveexec_b32 s19, s35
	s_cbranch_execz .LBB54_4094
.LBB54_4093:
	v_and_b32_e32 v7, 0xffff, v5
	s_delay_alu instid0(VALU_DEP_1) | instskip(SKIP_1) | instid1(VALU_DEP_2)
	v_dual_lshlrev_b32 v5, 24, v5 :: v_dual_bitop2_b32 v9, 7, v7 bitop3:0x40
	v_bfe_u32 v13, v7, 3, 4
	v_and_b32_e32 v5, 0x80000000, v5
	s_delay_alu instid0(VALU_DEP_3) | instskip(NEXT) | instid1(VALU_DEP_3)
	v_clz_i32_u32_e32 v11, v9
	v_cmp_eq_u32_e32 vcc_lo, 0, v13
	s_delay_alu instid0(VALU_DEP_2) | instskip(NEXT) | instid1(VALU_DEP_1)
	v_min_u32_e32 v11, 32, v11
	v_subrev_nc_u32_e32 v12, 28, v11
	v_sub_nc_u32_e32 v11, 29, v11
	s_delay_alu instid0(VALU_DEP_2) | instskip(NEXT) | instid1(VALU_DEP_2)
	v_lshlrev_b32_e32 v7, v12, v7
	v_cndmask_b32_e32 v11, v13, v11, vcc_lo
	s_delay_alu instid0(VALU_DEP_2) | instskip(NEXT) | instid1(VALU_DEP_1)
	v_and_b32_e32 v7, 7, v7
	v_cndmask_b32_e32 v7, v9, v7, vcc_lo
	s_delay_alu instid0(VALU_DEP_3) | instskip(NEXT) | instid1(VALU_DEP_2)
	v_lshl_add_u32 v9, v11, 23, 0x3b800000
	v_lshlrev_b32_e32 v7, 20, v7
	s_delay_alu instid0(VALU_DEP_1) | instskip(NEXT) | instid1(VALU_DEP_1)
	v_or3_b32 v5, v5, v9, v7
	v_cvt_i32_f32_e32 v12, v5
.LBB54_4094:
	s_or_b32 exec_lo, exec_lo, s19
.LBB54_4095:
	s_mov_b32 s19, -1
.LBB54_4096:
	s_mov_b32 s35, 0
.LBB54_4097:
	s_delay_alu instid0(SALU_CYCLE_1)
	s_and_b32 vcc_lo, exec_lo, s35
	s_cbranch_vccz .LBB54_4128
; %bb.4098:
	s_cmp_gt_i32 s0, 22
	s_cbranch_scc0 .LBB54_4106
; %bb.4099:
	s_cmp_lt_i32 s0, 24
	s_cbranch_scc1 .LBB54_4109
; %bb.4100:
	s_cmp_gt_i32 s0, 24
	s_cbranch_scc0 .LBB54_4110
; %bb.4101:
	global_load_u8 v5, v[14:15], off
	s_mov_b32 s19, 0
	s_mov_b32 s18, exec_lo
	s_wait_loadcnt 0x0
	v_cmpx_lt_i16_e32 0x7f, v5
	s_xor_b32 s18, exec_lo, s18
	s_cbranch_execz .LBB54_4122
; %bb.4102:
	v_cmp_ne_u16_e32 vcc_lo, 0x80, v5
	s_and_b32 s19, vcc_lo, exec_lo
	s_and_not1_saveexec_b32 s18, s18
	s_cbranch_execnz .LBB54_4123
.LBB54_4103:
	s_or_b32 exec_lo, exec_lo, s18
	v_mov_b32_e32 v12, 0
	s_and_saveexec_b32 s18, s19
	s_cbranch_execz .LBB54_4105
.LBB54_4104:
	v_and_b32_e32 v7, 0xffff, v5
	s_delay_alu instid0(VALU_DEP_1) | instskip(SKIP_1) | instid1(VALU_DEP_2)
	v_dual_lshlrev_b32 v5, 24, v5 :: v_dual_bitop2_b32 v9, 3, v7 bitop3:0x40
	v_bfe_u32 v13, v7, 2, 5
	v_and_b32_e32 v5, 0x80000000, v5
	s_delay_alu instid0(VALU_DEP_3) | instskip(NEXT) | instid1(VALU_DEP_3)
	v_clz_i32_u32_e32 v11, v9
	v_cmp_eq_u32_e32 vcc_lo, 0, v13
	s_delay_alu instid0(VALU_DEP_2) | instskip(NEXT) | instid1(VALU_DEP_1)
	v_min_u32_e32 v11, 32, v11
	v_subrev_nc_u32_e32 v12, 29, v11
	v_sub_nc_u32_e32 v11, 30, v11
	s_delay_alu instid0(VALU_DEP_2) | instskip(NEXT) | instid1(VALU_DEP_2)
	v_lshlrev_b32_e32 v7, v12, v7
	v_cndmask_b32_e32 v11, v13, v11, vcc_lo
	s_delay_alu instid0(VALU_DEP_2) | instskip(NEXT) | instid1(VALU_DEP_1)
	v_and_b32_e32 v7, 3, v7
	v_cndmask_b32_e32 v7, v9, v7, vcc_lo
	s_delay_alu instid0(VALU_DEP_3) | instskip(NEXT) | instid1(VALU_DEP_2)
	v_lshl_add_u32 v9, v11, 23, 0x37800000
	v_lshlrev_b32_e32 v7, 21, v7
	s_delay_alu instid0(VALU_DEP_1) | instskip(NEXT) | instid1(VALU_DEP_1)
	v_or3_b32 v5, v5, v9, v7
	v_cvt_i32_f32_e32 v12, v5
.LBB54_4105:
	s_or_b32 exec_lo, exec_lo, s18
	s_mov_b32 s18, 0
	s_branch .LBB54_4111
.LBB54_4106:
	s_mov_b32 s18, -1
                                        ; implicit-def: $vgpr12
	s_branch .LBB54_4117
.LBB54_4107:
	s_and_not1_saveexec_b32 s19, s19
	s_cbranch_execz .LBB54_4092
.LBB54_4108:
	v_cmp_ne_u16_e32 vcc_lo, 0, v5
	s_and_not1_b32 s35, s35, exec_lo
	s_and_b32 s36, vcc_lo, exec_lo
	s_delay_alu instid0(SALU_CYCLE_1)
	s_or_b32 s35, s35, s36
	s_or_b32 exec_lo, exec_lo, s19
	v_mov_b32_e32 v12, 0
	s_and_saveexec_b32 s19, s35
	s_cbranch_execnz .LBB54_4093
	s_branch .LBB54_4094
.LBB54_4109:
	s_mov_b32 s18, -1
                                        ; implicit-def: $vgpr12
	s_branch .LBB54_4114
.LBB54_4110:
	s_mov_b32 s18, -1
                                        ; implicit-def: $vgpr12
.LBB54_4111:
	s_delay_alu instid0(SALU_CYCLE_1)
	s_and_b32 vcc_lo, exec_lo, s18
	s_cbranch_vccz .LBB54_4113
; %bb.4112:
	global_load_u8 v5, v[14:15], off
	s_wait_loadcnt 0x0
	v_lshlrev_b32_e32 v5, 24, v5
	s_delay_alu instid0(VALU_DEP_1) | instskip(NEXT) | instid1(VALU_DEP_1)
	v_and_b32_e32 v7, 0x7f000000, v5
	v_clz_i32_u32_e32 v9, v7
	v_cmp_ne_u32_e32 vcc_lo, 0, v7
	s_wait_xcnt 0x1
	v_add_nc_u32_e32 v12, 0x1000000, v7
	s_delay_alu instid0(VALU_DEP_3) | instskip(NEXT) | instid1(VALU_DEP_1)
	v_min_u32_e32 v9, 32, v9
	v_sub_nc_u32_e64 v9, v9, 4 clamp
	s_delay_alu instid0(VALU_DEP_1) | instskip(NEXT) | instid1(VALU_DEP_1)
	v_dual_lshlrev_b32 v11, v9, v7 :: v_dual_lshlrev_b32 v9, 23, v9
	v_lshrrev_b32_e32 v11, 4, v11
	s_delay_alu instid0(VALU_DEP_1) | instskip(NEXT) | instid1(VALU_DEP_1)
	v_dual_sub_nc_u32 v9, v11, v9 :: v_dual_ashrrev_i32 v11, 8, v12
	v_add_nc_u32_e32 v9, 0x3c000000, v9
	s_delay_alu instid0(VALU_DEP_1) | instskip(NEXT) | instid1(VALU_DEP_1)
	v_and_or_b32 v9, 0x7f800000, v11, v9
	v_cndmask_b32_e32 v7, 0, v9, vcc_lo
	s_delay_alu instid0(VALU_DEP_1) | instskip(NEXT) | instid1(VALU_DEP_1)
	v_and_or_b32 v5, 0x80000000, v5, v7
	v_cvt_i32_f32_e32 v12, v5
.LBB54_4113:
	s_mov_b32 s18, 0
.LBB54_4114:
	s_delay_alu instid0(SALU_CYCLE_1)
	s_and_not1_b32 vcc_lo, exec_lo, s18
	s_cbranch_vccnz .LBB54_4116
; %bb.4115:
	global_load_u8 v5, v[14:15], off
	s_wait_loadcnt 0x0
	v_lshlrev_b32_e32 v7, 25, v5
	v_lshlrev_b16 v5, 8, v5
	s_wait_xcnt 0x1
	s_delay_alu instid0(VALU_DEP_1) | instskip(SKIP_1) | instid1(VALU_DEP_2)
	v_and_or_b32 v11, 0x7f00, v5, 0.5
	v_bfe_i32 v5, v5, 0, 16
	v_add_f32_e32 v11, -0.5, v11
	v_lshrrev_b32_e32 v9, 4, v7
	v_cmp_gt_u32_e32 vcc_lo, 0x8000000, v7
	s_delay_alu instid0(VALU_DEP_2) | instskip(NEXT) | instid1(VALU_DEP_1)
	v_or_b32_e32 v9, 0x70000000, v9
	v_mul_f32_e32 v9, 0x7800000, v9
	s_delay_alu instid0(VALU_DEP_1) | instskip(NEXT) | instid1(VALU_DEP_1)
	v_cndmask_b32_e32 v7, v9, v11, vcc_lo
	v_and_or_b32 v5, 0x80000000, v5, v7
	s_delay_alu instid0(VALU_DEP_1)
	v_cvt_i32_f32_e32 v12, v5
.LBB54_4116:
	s_mov_b32 s18, 0
	s_mov_b32 s19, -1
.LBB54_4117:
	s_and_not1_b32 vcc_lo, exec_lo, s18
	s_mov_b32 s18, 0
	s_cbranch_vccnz .LBB54_4128
; %bb.4118:
	s_cmp_gt_i32 s0, 14
	s_cbranch_scc0 .LBB54_4121
; %bb.4119:
	s_cmp_eq_u32 s0, 15
	s_cbranch_scc0 .LBB54_4124
; %bb.4120:
	global_load_u16 v5, v[14:15], off
	s_mov_b32 s1, 0
	s_mov_b32 s19, -1
	s_wait_loadcnt 0x0
	v_lshlrev_b32_e32 v5, 16, v5
	s_wait_xcnt 0x1
	s_delay_alu instid0(VALU_DEP_1)
	v_cvt_i32_f32_e32 v12, v5
	s_branch .LBB54_4126
.LBB54_4121:
	s_mov_b32 s18, -1
	s_branch .LBB54_4125
.LBB54_4122:
	s_and_not1_saveexec_b32 s18, s18
	s_cbranch_execz .LBB54_4103
.LBB54_4123:
	v_cmp_ne_u16_e32 vcc_lo, 0, v5
	s_and_not1_b32 s19, s19, exec_lo
	s_and_b32 s35, vcc_lo, exec_lo
	s_delay_alu instid0(SALU_CYCLE_1)
	s_or_b32 s19, s19, s35
	s_or_b32 exec_lo, exec_lo, s18
	v_mov_b32_e32 v12, 0
	s_and_saveexec_b32 s18, s19
	s_cbranch_execnz .LBB54_4104
	s_branch .LBB54_4105
.LBB54_4124:
	s_mov_b32 s1, -1
.LBB54_4125:
                                        ; implicit-def: $vgpr12
.LBB54_4126:
	s_and_b32 vcc_lo, exec_lo, s18
	s_mov_b32 s18, 0
	s_cbranch_vccz .LBB54_4128
; %bb.4127:
	s_cmp_lg_u32 s0, 11
	s_mov_b32 s18, -1
	s_cselect_b32 s1, -1, 0
.LBB54_4128:
	s_delay_alu instid0(SALU_CYCLE_1)
	s_and_b32 vcc_lo, exec_lo, s1
	s_cbranch_vccnz .LBB54_4193
; %bb.4129:
	s_and_not1_b32 vcc_lo, exec_lo, s18
	s_cbranch_vccnz .LBB54_4131
.LBB54_4130:
	global_load_u8 v5, v[14:15], off
	s_mov_b32 s19, -1
	s_wait_loadcnt 0x0
	v_cmp_ne_u16_e32 vcc_lo, 0, v5
	s_wait_xcnt 0x1
	v_cndmask_b32_e64 v12, 0, 1, vcc_lo
.LBB54_4131:
	s_mov_b32 s0, 0
.LBB54_4132:
	s_delay_alu instid0(SALU_CYCLE_1)
	s_and_b32 vcc_lo, exec_lo, s0
	s_cbranch_vccz .LBB54_4181
; %bb.4133:
	s_and_b32 s0, 0xffff, s58
	s_delay_alu instid0(SALU_CYCLE_1)
	s_cmp_lt_i32 s0, 5
	s_cbranch_scc1 .LBB54_4138
; %bb.4134:
	s_cmp_lt_i32 s0, 8
	s_cbranch_scc1 .LBB54_4139
; %bb.4135:
	s_cmp_lt_i32 s0, 9
	s_cbranch_scc1 .LBB54_4140
; %bb.4136:
	s_cmp_gt_i32 s0, 9
	s_cbranch_scc0 .LBB54_4141
; %bb.4137:
	s_wait_loadcnt 0x0
	global_load_b64 v[12:13], v[14:15], off
	s_mov_b32 s1, 0
	s_wait_loadcnt 0x0
	v_cvt_i32_f64_e32 v12, v[12:13]
	s_branch .LBB54_4142
.LBB54_4138:
	s_mov_b32 s1, -1
                                        ; implicit-def: $vgpr12
	s_branch .LBB54_4160
.LBB54_4139:
	s_mov_b32 s1, -1
                                        ; implicit-def: $vgpr12
	s_branch .LBB54_4148
.LBB54_4140:
	s_mov_b32 s1, -1
                                        ; implicit-def: $vgpr12
	s_branch .LBB54_4145
.LBB54_4141:
	s_mov_b32 s1, -1
                                        ; implicit-def: $vgpr12
.LBB54_4142:
	s_delay_alu instid0(SALU_CYCLE_1)
	s_and_not1_b32 vcc_lo, exec_lo, s1
	s_cbranch_vccnz .LBB54_4144
; %bb.4143:
	global_load_b32 v5, v[14:15], off
	s_wait_loadcnt 0x0
	s_wait_xcnt 0x1
	v_cvt_i32_f32_e32 v12, v5
.LBB54_4144:
	s_mov_b32 s1, 0
.LBB54_4145:
	s_delay_alu instid0(SALU_CYCLE_1)
	s_and_not1_b32 vcc_lo, exec_lo, s1
	s_cbranch_vccnz .LBB54_4147
; %bb.4146:
	global_load_b32 v5, v[14:15], off
	s_wait_loadcnt 0x0
	v_cvt_f32_f16_e32 v5, v5
	s_wait_xcnt 0x1
	s_delay_alu instid0(VALU_DEP_1)
	v_cvt_i32_f32_e32 v12, v5
.LBB54_4147:
	s_mov_b32 s1, 0
.LBB54_4148:
	s_delay_alu instid0(SALU_CYCLE_1)
	s_and_not1_b32 vcc_lo, exec_lo, s1
	s_cbranch_vccnz .LBB54_4159
; %bb.4149:
	s_cmp_lt_i32 s0, 6
	s_cbranch_scc1 .LBB54_4152
; %bb.4150:
	s_cmp_gt_i32 s0, 6
	s_cbranch_scc0 .LBB54_4153
; %bb.4151:
	s_wait_loadcnt 0x0
	global_load_b64 v[12:13], v[14:15], off
	s_mov_b32 s1, 0
	s_wait_loadcnt 0x0
	v_cvt_i32_f64_e32 v12, v[12:13]
	s_branch .LBB54_4154
.LBB54_4152:
	s_mov_b32 s1, -1
                                        ; implicit-def: $vgpr12
	s_branch .LBB54_4157
.LBB54_4153:
	s_mov_b32 s1, -1
                                        ; implicit-def: $vgpr12
.LBB54_4154:
	s_delay_alu instid0(SALU_CYCLE_1)
	s_and_not1_b32 vcc_lo, exec_lo, s1
	s_cbranch_vccnz .LBB54_4156
; %bb.4155:
	global_load_b32 v5, v[14:15], off
	s_wait_loadcnt 0x0
	s_wait_xcnt 0x1
	v_cvt_i32_f32_e32 v12, v5
.LBB54_4156:
	s_mov_b32 s1, 0
.LBB54_4157:
	s_delay_alu instid0(SALU_CYCLE_1)
	s_and_not1_b32 vcc_lo, exec_lo, s1
	s_cbranch_vccnz .LBB54_4159
; %bb.4158:
	global_load_u16 v5, v[14:15], off
	s_wait_loadcnt 0x0
	v_cvt_f32_f16_e32 v5, v5
	s_wait_xcnt 0x1
	s_delay_alu instid0(VALU_DEP_1)
	v_cvt_i32_f32_e32 v12, v5
.LBB54_4159:
	s_mov_b32 s1, 0
.LBB54_4160:
	s_delay_alu instid0(SALU_CYCLE_1)
	s_and_not1_b32 vcc_lo, exec_lo, s1
	s_cbranch_vccnz .LBB54_4180
; %bb.4161:
	s_cmp_lt_i32 s0, 2
	s_cbranch_scc1 .LBB54_4165
; %bb.4162:
	s_cmp_lt_i32 s0, 3
	s_cbranch_scc1 .LBB54_4166
; %bb.4163:
	s_cmp_gt_i32 s0, 3
	s_cbranch_scc0 .LBB54_4167
; %bb.4164:
	s_wait_loadcnt 0x0
	global_load_b32 v12, v[14:15], off
	s_mov_b32 s1, 0
	s_branch .LBB54_4168
.LBB54_4165:
	s_mov_b32 s1, -1
                                        ; implicit-def: $vgpr12
	s_branch .LBB54_4174
.LBB54_4166:
	s_mov_b32 s1, -1
                                        ; implicit-def: $vgpr12
	s_branch .LBB54_4171
.LBB54_4167:
	s_mov_b32 s1, -1
                                        ; implicit-def: $vgpr12
.LBB54_4168:
	s_delay_alu instid0(SALU_CYCLE_1)
	s_and_not1_b32 vcc_lo, exec_lo, s1
	s_cbranch_vccnz .LBB54_4170
; %bb.4169:
	s_wait_loadcnt 0x0
	global_load_b32 v12, v[14:15], off
.LBB54_4170:
	s_mov_b32 s1, 0
.LBB54_4171:
	s_delay_alu instid0(SALU_CYCLE_1)
	s_and_not1_b32 vcc_lo, exec_lo, s1
	s_cbranch_vccnz .LBB54_4173
; %bb.4172:
	s_wait_loadcnt 0x0
	global_load_i16 v12, v[14:15], off
.LBB54_4173:
	s_mov_b32 s1, 0
.LBB54_4174:
	s_delay_alu instid0(SALU_CYCLE_1)
	s_and_not1_b32 vcc_lo, exec_lo, s1
	s_cbranch_vccnz .LBB54_4180
; %bb.4175:
	s_cmp_gt_i32 s0, 0
	s_mov_b32 s0, 0
	s_cbranch_scc0 .LBB54_4177
; %bb.4176:
	s_wait_loadcnt 0x0
	global_load_i8 v12, v[14:15], off
	s_branch .LBB54_4178
.LBB54_4177:
	s_mov_b32 s0, -1
                                        ; implicit-def: $vgpr12
.LBB54_4178:
	s_delay_alu instid0(SALU_CYCLE_1)
	s_and_not1_b32 vcc_lo, exec_lo, s0
	s_cbranch_vccnz .LBB54_4180
; %bb.4179:
	s_wait_loadcnt 0x0
	global_load_u8 v12, v[14:15], off
.LBB54_4180:
	s_mov_b32 s19, -1
.LBB54_4181:
	s_delay_alu instid0(SALU_CYCLE_1)
	s_and_not1_b32 vcc_lo, exec_lo, s19
	s_cbranch_vccnz .LBB54_4318
; %bb.4182:
	s_lshl_b32 s71, s37, 7
	s_cmp_lt_i32 s59, 11
	v_add_nc_u32_e32 v8, s71, v8
	s_delay_alu instid0(VALU_DEP_1) | instskip(SKIP_1) | instid1(VALU_DEP_1)
	v_ashrrev_i32_e32 v9, 31, v8
	s_wait_xcnt 0x0
	v_add_nc_u64_e32 v[14:15], s[14:15], v[8:9]
	s_cbranch_scc1 .LBB54_4189
; %bb.4183:
	s_and_b32 s0, 0xffff, s59
	s_mov_b32 s18, 0
	s_cmp_gt_i32 s0, 25
	s_cbranch_scc0 .LBB54_4190
; %bb.4184:
	s_cmp_gt_i32 s0, 28
	s_cbranch_scc0 .LBB54_4191
; %bb.4185:
	;; [unrolled: 3-line block ×4, first 2 shown]
	s_cmp_eq_u32 s0, 46
	s_mov_b32 s35, 0
	s_cbranch_scc0 .LBB54_4196
; %bb.4188:
	global_load_b32 v5, v[14:15], off
	s_mov_b32 s1, 0
	s_mov_b32 s19, -1
	s_wait_loadcnt 0x0
	v_lshlrev_b32_e32 v5, 16, v5
	s_delay_alu instid0(VALU_DEP_1)
	v_cvt_i32_f32_e32 v16, v5
	s_branch .LBB54_4198
.LBB54_4189:
	s_mov_b32 s0, -1
	s_mov_b32 s19, 0
                                        ; implicit-def: $vgpr16
	s_branch .LBB54_4260
.LBB54_4190:
	s_mov_b32 s35, -1
	s_mov_b32 s19, 0
	s_mov_b32 s1, 0
                                        ; implicit-def: $vgpr16
	s_branch .LBB54_4225
.LBB54_4191:
	s_mov_b32 s35, -1
	s_mov_b32 s19, 0
	s_mov_b32 s1, 0
                                        ; implicit-def: $vgpr16
	s_branch .LBB54_4208
.LBB54_4192:
	s_mov_b32 s35, -1
	s_mov_b32 s19, 0
	s_mov_b32 s1, 0
                                        ; implicit-def: $vgpr16
	s_branch .LBB54_4203
.LBB54_4193:
	s_or_b32 s17, s17, exec_lo
	s_trap 2
	s_cbranch_execz .LBB54_4130
	s_branch .LBB54_4131
.LBB54_4194:
	s_mov_b32 s35, -1
	s_mov_b32 s19, 0
	s_mov_b32 s1, 0
	s_branch .LBB54_4197
.LBB54_4195:
	s_or_b32 exec_lo, exec_lo, s88
	s_branch .LBB54_2046
.LBB54_4196:
	s_mov_b32 s1, -1
	s_mov_b32 s19, 0
.LBB54_4197:
                                        ; implicit-def: $vgpr16
.LBB54_4198:
	s_and_b32 vcc_lo, exec_lo, s35
	s_cbranch_vccz .LBB54_4202
; %bb.4199:
	s_cmp_eq_u32 s0, 44
	s_cbranch_scc0 .LBB54_4201
; %bb.4200:
	global_load_u8 v5, v[14:15], off
	s_mov_b32 s1, 0
	s_mov_b32 s19, -1
	s_wait_loadcnt 0x0
	v_lshlrev_b32_e32 v7, 23, v5
	v_cmp_ne_u32_e32 vcc_lo, 0, v5
	s_delay_alu instid0(VALU_DEP_2) | instskip(NEXT) | instid1(VALU_DEP_1)
	v_cvt_i32_f32_e32 v7, v7
	v_cndmask_b32_e32 v16, 0, v7, vcc_lo
	s_branch .LBB54_4202
.LBB54_4201:
	s_mov_b32 s1, -1
                                        ; implicit-def: $vgpr16
.LBB54_4202:
	s_mov_b32 s35, 0
.LBB54_4203:
	s_delay_alu instid0(SALU_CYCLE_1)
	s_and_b32 vcc_lo, exec_lo, s35
	s_cbranch_vccz .LBB54_4207
; %bb.4204:
	s_cmp_eq_u32 s0, 29
	s_cbranch_scc0 .LBB54_4206
; %bb.4205:
	global_load_b32 v16, v[14:15], off
	s_mov_b32 s1, 0
	s_mov_b32 s19, -1
	s_branch .LBB54_4207
.LBB54_4206:
	s_mov_b32 s1, -1
                                        ; implicit-def: $vgpr16
.LBB54_4207:
	s_mov_b32 s35, 0
.LBB54_4208:
	s_delay_alu instid0(SALU_CYCLE_1)
	s_and_b32 vcc_lo, exec_lo, s35
	s_cbranch_vccz .LBB54_4224
; %bb.4209:
	s_cmp_lt_i32 s0, 27
	s_cbranch_scc1 .LBB54_4212
; %bb.4210:
	s_cmp_gt_i32 s0, 27
	s_cbranch_scc0 .LBB54_4213
; %bb.4211:
	s_wait_loadcnt 0x0
	global_load_b32 v16, v[14:15], off
	s_mov_b32 s19, 0
	s_branch .LBB54_4214
.LBB54_4212:
	s_mov_b32 s19, -1
                                        ; implicit-def: $vgpr16
	s_branch .LBB54_4217
.LBB54_4213:
	s_mov_b32 s19, -1
                                        ; implicit-def: $vgpr16
.LBB54_4214:
	s_delay_alu instid0(SALU_CYCLE_1)
	s_and_not1_b32 vcc_lo, exec_lo, s19
	s_cbranch_vccnz .LBB54_4216
; %bb.4215:
	s_wait_loadcnt 0x0
	global_load_u16 v16, v[14:15], off
.LBB54_4216:
	s_mov_b32 s19, 0
.LBB54_4217:
	s_delay_alu instid0(SALU_CYCLE_1)
	s_and_not1_b32 vcc_lo, exec_lo, s19
	s_cbranch_vccnz .LBB54_4223
; %bb.4218:
	global_load_u8 v5, v[14:15], off
	s_mov_b32 s35, 0
	s_mov_b32 s19, exec_lo
	s_wait_loadcnt 0x0
	v_cmpx_lt_i16_e32 0x7f, v5
	s_xor_b32 s19, exec_lo, s19
	s_cbranch_execz .LBB54_4235
; %bb.4219:
	v_cmp_ne_u16_e32 vcc_lo, 0x80, v5
	s_and_b32 s35, vcc_lo, exec_lo
	s_and_not1_saveexec_b32 s19, s19
	s_cbranch_execnz .LBB54_4236
.LBB54_4220:
	s_or_b32 exec_lo, exec_lo, s19
	v_mov_b32_e32 v16, 0
	s_and_saveexec_b32 s19, s35
	s_cbranch_execz .LBB54_4222
.LBB54_4221:
	v_and_b32_e32 v7, 0xffff, v5
	s_delay_alu instid0(VALU_DEP_1) | instskip(SKIP_1) | instid1(VALU_DEP_2)
	v_dual_lshlrev_b32 v5, 24, v5 :: v_dual_bitop2_b32 v9, 7, v7 bitop3:0x40
	v_bfe_u32 v16, v7, 3, 4
	v_and_b32_e32 v5, 0x80000000, v5
	s_delay_alu instid0(VALU_DEP_3) | instskip(NEXT) | instid1(VALU_DEP_3)
	v_clz_i32_u32_e32 v11, v9
	v_cmp_eq_u32_e32 vcc_lo, 0, v16
	s_delay_alu instid0(VALU_DEP_2) | instskip(NEXT) | instid1(VALU_DEP_1)
	v_min_u32_e32 v11, 32, v11
	v_subrev_nc_u32_e32 v13, 28, v11
	v_sub_nc_u32_e32 v11, 29, v11
	s_delay_alu instid0(VALU_DEP_2) | instskip(NEXT) | instid1(VALU_DEP_2)
	v_lshlrev_b32_e32 v7, v13, v7
	v_cndmask_b32_e32 v11, v16, v11, vcc_lo
	s_delay_alu instid0(VALU_DEP_2) | instskip(NEXT) | instid1(VALU_DEP_1)
	v_and_b32_e32 v7, 7, v7
	v_cndmask_b32_e32 v7, v9, v7, vcc_lo
	s_delay_alu instid0(VALU_DEP_3) | instskip(NEXT) | instid1(VALU_DEP_2)
	v_lshl_add_u32 v9, v11, 23, 0x3b800000
	v_lshlrev_b32_e32 v7, 20, v7
	s_delay_alu instid0(VALU_DEP_1) | instskip(NEXT) | instid1(VALU_DEP_1)
	v_or3_b32 v5, v5, v9, v7
	v_cvt_i32_f32_e32 v16, v5
.LBB54_4222:
	s_or_b32 exec_lo, exec_lo, s19
.LBB54_4223:
	s_mov_b32 s19, -1
.LBB54_4224:
	s_mov_b32 s35, 0
.LBB54_4225:
	s_delay_alu instid0(SALU_CYCLE_1)
	s_and_b32 vcc_lo, exec_lo, s35
	s_cbranch_vccz .LBB54_4256
; %bb.4226:
	s_cmp_gt_i32 s0, 22
	s_cbranch_scc0 .LBB54_4234
; %bb.4227:
	s_cmp_lt_i32 s0, 24
	s_cbranch_scc1 .LBB54_4237
; %bb.4228:
	s_cmp_gt_i32 s0, 24
	s_cbranch_scc0 .LBB54_4238
; %bb.4229:
	global_load_u8 v5, v[14:15], off
	s_mov_b32 s19, 0
	s_mov_b32 s18, exec_lo
	s_wait_loadcnt 0x0
	v_cmpx_lt_i16_e32 0x7f, v5
	s_xor_b32 s18, exec_lo, s18
	s_cbranch_execz .LBB54_4250
; %bb.4230:
	v_cmp_ne_u16_e32 vcc_lo, 0x80, v5
	s_and_b32 s19, vcc_lo, exec_lo
	s_and_not1_saveexec_b32 s18, s18
	s_cbranch_execnz .LBB54_4251
.LBB54_4231:
	s_or_b32 exec_lo, exec_lo, s18
	v_mov_b32_e32 v16, 0
	s_and_saveexec_b32 s18, s19
	s_cbranch_execz .LBB54_4233
.LBB54_4232:
	v_and_b32_e32 v7, 0xffff, v5
	s_delay_alu instid0(VALU_DEP_1) | instskip(SKIP_1) | instid1(VALU_DEP_2)
	v_dual_lshlrev_b32 v5, 24, v5 :: v_dual_bitop2_b32 v9, 3, v7 bitop3:0x40
	v_bfe_u32 v16, v7, 2, 5
	v_and_b32_e32 v5, 0x80000000, v5
	s_delay_alu instid0(VALU_DEP_3) | instskip(NEXT) | instid1(VALU_DEP_3)
	v_clz_i32_u32_e32 v11, v9
	v_cmp_eq_u32_e32 vcc_lo, 0, v16
	s_delay_alu instid0(VALU_DEP_2) | instskip(NEXT) | instid1(VALU_DEP_1)
	v_min_u32_e32 v11, 32, v11
	v_subrev_nc_u32_e32 v13, 29, v11
	v_sub_nc_u32_e32 v11, 30, v11
	s_delay_alu instid0(VALU_DEP_2) | instskip(NEXT) | instid1(VALU_DEP_2)
	v_lshlrev_b32_e32 v7, v13, v7
	v_cndmask_b32_e32 v11, v16, v11, vcc_lo
	s_delay_alu instid0(VALU_DEP_2) | instskip(NEXT) | instid1(VALU_DEP_1)
	v_and_b32_e32 v7, 3, v7
	v_cndmask_b32_e32 v7, v9, v7, vcc_lo
	s_delay_alu instid0(VALU_DEP_3) | instskip(NEXT) | instid1(VALU_DEP_2)
	v_lshl_add_u32 v9, v11, 23, 0x37800000
	v_lshlrev_b32_e32 v7, 21, v7
	s_delay_alu instid0(VALU_DEP_1) | instskip(NEXT) | instid1(VALU_DEP_1)
	v_or3_b32 v5, v5, v9, v7
	v_cvt_i32_f32_e32 v16, v5
.LBB54_4233:
	s_or_b32 exec_lo, exec_lo, s18
	s_mov_b32 s18, 0
	s_branch .LBB54_4239
.LBB54_4234:
	s_mov_b32 s18, -1
                                        ; implicit-def: $vgpr16
	s_branch .LBB54_4245
.LBB54_4235:
	s_and_not1_saveexec_b32 s19, s19
	s_cbranch_execz .LBB54_4220
.LBB54_4236:
	v_cmp_ne_u16_e32 vcc_lo, 0, v5
	s_and_not1_b32 s35, s35, exec_lo
	s_and_b32 s36, vcc_lo, exec_lo
	s_delay_alu instid0(SALU_CYCLE_1)
	s_or_b32 s35, s35, s36
	s_or_b32 exec_lo, exec_lo, s19
	v_mov_b32_e32 v16, 0
	s_and_saveexec_b32 s19, s35
	s_cbranch_execnz .LBB54_4221
	s_branch .LBB54_4222
.LBB54_4237:
	s_mov_b32 s18, -1
                                        ; implicit-def: $vgpr16
	s_branch .LBB54_4242
.LBB54_4238:
	s_mov_b32 s18, -1
                                        ; implicit-def: $vgpr16
.LBB54_4239:
	s_delay_alu instid0(SALU_CYCLE_1)
	s_and_b32 vcc_lo, exec_lo, s18
	s_cbranch_vccz .LBB54_4241
; %bb.4240:
	global_load_u8 v5, v[14:15], off
	s_wait_loadcnt 0x0
	v_lshlrev_b32_e32 v5, 24, v5
	s_delay_alu instid0(VALU_DEP_1) | instskip(NEXT) | instid1(VALU_DEP_1)
	v_and_b32_e32 v7, 0x7f000000, v5
	v_clz_i32_u32_e32 v9, v7
	v_add_nc_u32_e32 v13, 0x1000000, v7
	v_cmp_ne_u32_e32 vcc_lo, 0, v7
	s_delay_alu instid0(VALU_DEP_3) | instskip(NEXT) | instid1(VALU_DEP_1)
	v_min_u32_e32 v9, 32, v9
	v_sub_nc_u32_e64 v9, v9, 4 clamp
	s_delay_alu instid0(VALU_DEP_1) | instskip(NEXT) | instid1(VALU_DEP_1)
	v_dual_lshlrev_b32 v11, v9, v7 :: v_dual_lshlrev_b32 v9, 23, v9
	v_lshrrev_b32_e32 v11, 4, v11
	s_delay_alu instid0(VALU_DEP_1) | instskip(SKIP_1) | instid1(VALU_DEP_2)
	v_sub_nc_u32_e32 v9, v11, v9
	v_ashrrev_i32_e32 v11, 8, v13
	v_add_nc_u32_e32 v9, 0x3c000000, v9
	s_delay_alu instid0(VALU_DEP_1) | instskip(NEXT) | instid1(VALU_DEP_1)
	v_and_or_b32 v9, 0x7f800000, v11, v9
	v_cndmask_b32_e32 v7, 0, v9, vcc_lo
	s_delay_alu instid0(VALU_DEP_1) | instskip(NEXT) | instid1(VALU_DEP_1)
	v_and_or_b32 v5, 0x80000000, v5, v7
	v_cvt_i32_f32_e32 v16, v5
.LBB54_4241:
	s_mov_b32 s18, 0
.LBB54_4242:
	s_delay_alu instid0(SALU_CYCLE_1)
	s_and_not1_b32 vcc_lo, exec_lo, s18
	s_cbranch_vccnz .LBB54_4244
; %bb.4243:
	global_load_u8 v5, v[14:15], off
	s_wait_loadcnt 0x0
	v_lshlrev_b32_e32 v7, 25, v5
	v_lshlrev_b16 v5, 8, v5
	s_delay_alu instid0(VALU_DEP_1) | instskip(SKIP_1) | instid1(VALU_DEP_2)
	v_and_or_b32 v11, 0x7f00, v5, 0.5
	v_bfe_i32 v5, v5, 0, 16
	v_add_f32_e32 v11, -0.5, v11
	v_lshrrev_b32_e32 v9, 4, v7
	v_cmp_gt_u32_e32 vcc_lo, 0x8000000, v7
	s_delay_alu instid0(VALU_DEP_2) | instskip(NEXT) | instid1(VALU_DEP_1)
	v_or_b32_e32 v9, 0x70000000, v9
	v_mul_f32_e32 v9, 0x7800000, v9
	s_delay_alu instid0(VALU_DEP_1) | instskip(NEXT) | instid1(VALU_DEP_1)
	v_cndmask_b32_e32 v7, v9, v11, vcc_lo
	v_and_or_b32 v5, 0x80000000, v5, v7
	s_delay_alu instid0(VALU_DEP_1)
	v_cvt_i32_f32_e32 v16, v5
.LBB54_4244:
	s_mov_b32 s18, 0
	s_mov_b32 s19, -1
.LBB54_4245:
	s_and_not1_b32 vcc_lo, exec_lo, s18
	s_mov_b32 s18, 0
	s_cbranch_vccnz .LBB54_4256
; %bb.4246:
	s_cmp_gt_i32 s0, 14
	s_cbranch_scc0 .LBB54_4249
; %bb.4247:
	s_cmp_eq_u32 s0, 15
	s_cbranch_scc0 .LBB54_4252
; %bb.4248:
	global_load_u16 v5, v[14:15], off
	s_mov_b32 s1, 0
	s_mov_b32 s19, -1
	s_wait_loadcnt 0x0
	v_lshlrev_b32_e32 v5, 16, v5
	s_delay_alu instid0(VALU_DEP_1)
	v_cvt_i32_f32_e32 v16, v5
	s_branch .LBB54_4254
.LBB54_4249:
	s_mov_b32 s18, -1
	s_branch .LBB54_4253
.LBB54_4250:
	s_and_not1_saveexec_b32 s18, s18
	s_cbranch_execz .LBB54_4231
.LBB54_4251:
	v_cmp_ne_u16_e32 vcc_lo, 0, v5
	s_and_not1_b32 s19, s19, exec_lo
	s_and_b32 s35, vcc_lo, exec_lo
	s_delay_alu instid0(SALU_CYCLE_1)
	s_or_b32 s19, s19, s35
	s_or_b32 exec_lo, exec_lo, s18
	v_mov_b32_e32 v16, 0
	s_and_saveexec_b32 s18, s19
	s_cbranch_execnz .LBB54_4232
	s_branch .LBB54_4233
.LBB54_4252:
	s_mov_b32 s1, -1
.LBB54_4253:
                                        ; implicit-def: $vgpr16
.LBB54_4254:
	s_and_b32 vcc_lo, exec_lo, s18
	s_mov_b32 s18, 0
	s_cbranch_vccz .LBB54_4256
; %bb.4255:
	s_cmp_lg_u32 s0, 11
	s_mov_b32 s18, -1
	s_cselect_b32 s1, -1, 0
.LBB54_4256:
	s_delay_alu instid0(SALU_CYCLE_1)
	s_and_b32 vcc_lo, exec_lo, s1
	s_cbranch_vccnz .LBB54_4344
; %bb.4257:
	s_and_not1_b32 vcc_lo, exec_lo, s18
	s_cbranch_vccnz .LBB54_4259
.LBB54_4258:
	global_load_u8 v5, v[14:15], off
	s_mov_b32 s19, -1
	s_wait_loadcnt 0x0
	v_cmp_ne_u16_e32 vcc_lo, 0, v5
	v_cndmask_b32_e64 v16, 0, 1, vcc_lo
.LBB54_4259:
	s_mov_b32 s0, 0
.LBB54_4260:
	s_delay_alu instid0(SALU_CYCLE_1)
	s_and_b32 vcc_lo, exec_lo, s0
	s_cbranch_vccz .LBB54_4309
; %bb.4261:
	s_and_b32 s0, 0xffff, s59
	s_delay_alu instid0(SALU_CYCLE_1)
	s_cmp_lt_i32 s0, 5
	s_cbranch_scc1 .LBB54_4266
; %bb.4262:
	s_cmp_lt_i32 s0, 8
	s_cbranch_scc1 .LBB54_4267
; %bb.4263:
	;; [unrolled: 3-line block ×3, first 2 shown]
	s_cmp_gt_i32 s0, 9
	s_cbranch_scc0 .LBB54_4269
; %bb.4265:
	s_wait_loadcnt 0x0
	global_load_b64 v[16:17], v[14:15], off
	s_mov_b32 s1, 0
	s_wait_loadcnt 0x0
	v_cvt_i32_f64_e32 v16, v[16:17]
	s_branch .LBB54_4270
.LBB54_4266:
	s_mov_b32 s1, -1
                                        ; implicit-def: $vgpr16
	s_branch .LBB54_4288
.LBB54_4267:
	s_mov_b32 s1, -1
                                        ; implicit-def: $vgpr16
	s_branch .LBB54_4276
.LBB54_4268:
	s_mov_b32 s1, -1
                                        ; implicit-def: $vgpr16
	s_branch .LBB54_4273
.LBB54_4269:
	s_mov_b32 s1, -1
                                        ; implicit-def: $vgpr16
.LBB54_4270:
	s_delay_alu instid0(SALU_CYCLE_1)
	s_and_not1_b32 vcc_lo, exec_lo, s1
	s_cbranch_vccnz .LBB54_4272
; %bb.4271:
	global_load_b32 v5, v[14:15], off
	s_wait_loadcnt 0x0
	v_cvt_i32_f32_e32 v16, v5
.LBB54_4272:
	s_mov_b32 s1, 0
.LBB54_4273:
	s_delay_alu instid0(SALU_CYCLE_1)
	s_and_not1_b32 vcc_lo, exec_lo, s1
	s_cbranch_vccnz .LBB54_4275
; %bb.4274:
	global_load_b32 v5, v[14:15], off
	s_wait_loadcnt 0x0
	v_cvt_f32_f16_e32 v5, v5
	s_delay_alu instid0(VALU_DEP_1)
	v_cvt_i32_f32_e32 v16, v5
.LBB54_4275:
	s_mov_b32 s1, 0
.LBB54_4276:
	s_delay_alu instid0(SALU_CYCLE_1)
	s_and_not1_b32 vcc_lo, exec_lo, s1
	s_cbranch_vccnz .LBB54_4287
; %bb.4277:
	s_cmp_lt_i32 s0, 6
	s_cbranch_scc1 .LBB54_4280
; %bb.4278:
	s_cmp_gt_i32 s0, 6
	s_cbranch_scc0 .LBB54_4281
; %bb.4279:
	s_wait_loadcnt 0x0
	global_load_b64 v[16:17], v[14:15], off
	s_mov_b32 s1, 0
	s_wait_loadcnt 0x0
	v_cvt_i32_f64_e32 v16, v[16:17]
	s_branch .LBB54_4282
.LBB54_4280:
	s_mov_b32 s1, -1
                                        ; implicit-def: $vgpr16
	s_branch .LBB54_4285
.LBB54_4281:
	s_mov_b32 s1, -1
                                        ; implicit-def: $vgpr16
.LBB54_4282:
	s_delay_alu instid0(SALU_CYCLE_1)
	s_and_not1_b32 vcc_lo, exec_lo, s1
	s_cbranch_vccnz .LBB54_4284
; %bb.4283:
	global_load_b32 v5, v[14:15], off
	s_wait_loadcnt 0x0
	v_cvt_i32_f32_e32 v16, v5
.LBB54_4284:
	s_mov_b32 s1, 0
.LBB54_4285:
	s_delay_alu instid0(SALU_CYCLE_1)
	s_and_not1_b32 vcc_lo, exec_lo, s1
	s_cbranch_vccnz .LBB54_4287
; %bb.4286:
	global_load_u16 v5, v[14:15], off
	s_wait_loadcnt 0x0
	v_cvt_f32_f16_e32 v5, v5
	s_delay_alu instid0(VALU_DEP_1)
	v_cvt_i32_f32_e32 v16, v5
.LBB54_4287:
	s_mov_b32 s1, 0
.LBB54_4288:
	s_delay_alu instid0(SALU_CYCLE_1)
	s_and_not1_b32 vcc_lo, exec_lo, s1
	s_cbranch_vccnz .LBB54_4308
; %bb.4289:
	s_cmp_lt_i32 s0, 2
	s_cbranch_scc1 .LBB54_4293
; %bb.4290:
	s_cmp_lt_i32 s0, 3
	s_cbranch_scc1 .LBB54_4294
; %bb.4291:
	s_cmp_gt_i32 s0, 3
	s_cbranch_scc0 .LBB54_4295
; %bb.4292:
	s_wait_loadcnt 0x0
	global_load_b32 v16, v[14:15], off
	s_mov_b32 s1, 0
	s_branch .LBB54_4296
.LBB54_4293:
	s_mov_b32 s1, -1
                                        ; implicit-def: $vgpr16
	s_branch .LBB54_4302
.LBB54_4294:
	s_mov_b32 s1, -1
                                        ; implicit-def: $vgpr16
	s_branch .LBB54_4299
.LBB54_4295:
	s_mov_b32 s1, -1
                                        ; implicit-def: $vgpr16
.LBB54_4296:
	s_delay_alu instid0(SALU_CYCLE_1)
	s_and_not1_b32 vcc_lo, exec_lo, s1
	s_cbranch_vccnz .LBB54_4298
; %bb.4297:
	s_wait_loadcnt 0x0
	global_load_b32 v16, v[14:15], off
.LBB54_4298:
	s_mov_b32 s1, 0
.LBB54_4299:
	s_delay_alu instid0(SALU_CYCLE_1)
	s_and_not1_b32 vcc_lo, exec_lo, s1
	s_cbranch_vccnz .LBB54_4301
; %bb.4300:
	s_wait_loadcnt 0x0
	global_load_i16 v16, v[14:15], off
.LBB54_4301:
	s_mov_b32 s1, 0
.LBB54_4302:
	s_delay_alu instid0(SALU_CYCLE_1)
	s_and_not1_b32 vcc_lo, exec_lo, s1
	s_cbranch_vccnz .LBB54_4308
; %bb.4303:
	s_cmp_gt_i32 s0, 0
	s_mov_b32 s0, 0
	s_cbranch_scc0 .LBB54_4305
; %bb.4304:
	s_wait_loadcnt 0x0
	global_load_i8 v16, v[14:15], off
	s_branch .LBB54_4306
.LBB54_4305:
	s_mov_b32 s0, -1
                                        ; implicit-def: $vgpr16
.LBB54_4306:
	s_delay_alu instid0(SALU_CYCLE_1)
	s_and_not1_b32 vcc_lo, exec_lo, s0
	s_cbranch_vccnz .LBB54_4308
; %bb.4307:
	s_wait_loadcnt 0x0
	global_load_u8 v16, v[14:15], off
.LBB54_4308:
	s_mov_b32 s19, -1
.LBB54_4309:
	s_delay_alu instid0(SALU_CYCLE_1)
	s_and_not1_b32 vcc_lo, exec_lo, s19
	s_cbranch_vccnz .LBB54_4318
; %bb.4310:
	s_mov_b32 s0, exec_lo
	s_wait_loadcnt 0x0
	v_cmpx_ne_u32_e64 s38, v1
	s_xor_b32 s0, exec_lo, s0
	s_cbranch_execnz .LBB54_4478
.LBB54_4311:
	s_or_saveexec_b32 s51, s0
	s_mov_b32 s1, 0
	s_mov_b32 s18, 0
                                        ; implicit-def: $sgpr0
                                        ; implicit-def: $vgpr14_vgpr15
	s_xor_b32 exec_lo, exec_lo, s51
	s_cbranch_execz .LBB54_4989
; %bb.4312:
	s_mov_b32 s60, s17
	s_mov_b32 s0, exec_lo
	v_cmpx_ne_u32_e64 s22, v3
	s_xor_b32 s0, exec_lo, s0
	s_cbranch_execnz .LBB54_4606
; %bb.4313:
	s_or_saveexec_b32 s61, s0
                                        ; implicit-def: $sgpr0
                                        ; implicit-def: $vgpr14_vgpr15
	s_delay_alu instid0(SALU_CYCLE_1)
	s_xor_b32 exec_lo, exec_lo, s61
	s_cbranch_execz .LBB54_4988
.LBB54_4314:
	v_sub_nc_u32_e32 v1, v12, v10
	s_mov_b32 s62, s60
	s_delay_alu instid0(VALU_DEP_1) | instskip(SKIP_2) | instid1(SALU_CYCLE_1)
	v_cmp_gt_i32_e32 vcc_lo, s38, v1
	v_cmp_lt_i32_e64 s0, s20, v1
	s_or_b32 s0, vcc_lo, s0
	s_and_saveexec_b32 s1, s0
	s_delay_alu instid0(SALU_CYCLE_1)
	s_xor_b32 s0, exec_lo, s1
	s_cbranch_execnz .LBB54_4734
; %bb.4315:
	s_or_saveexec_b32 s63, s0
	s_mov_b32 s1, 0
                                        ; implicit-def: $sgpr0
                                        ; implicit-def: $vgpr14_vgpr15
	s_xor_b32 exec_lo, exec_lo, s63
	s_cbranch_execz .LBB54_4987
.LBB54_4316:
	v_cmp_ne_u32_e32 vcc_lo, 1, v23
	v_mov_b64_e32 v[14:15], 0
	s_cbranch_vccnz .LBB54_4329
; %bb.4317:
	v_ashrrev_i32_e32 v17, 31, v16
	v_mov_b64_e32 v[14:15], 0
	s_mov_b32 s35, s1
	s_mov_b64 s[18:19], 0xffffffff
	s_lshl_b64 s[40:41], s[34:35], 3
	v_mul_u64_e32 v[18:19], s[22:23], v[16:17]
	v_mov_b32_e32 v16, 0
	s_add_nc_u64 s[36:37], s[26:27], s[40:41]
	s_add_nc_u64 s[40:41], s[28:29], s[40:41]
	s_mov_b32 s35, s24
	s_branch .LBB54_4325
.LBB54_4318:
	s_mov_b32 s1, 0
	s_mov_b32 s18, 0
                                        ; implicit-def: $sgpr0
                                        ; implicit-def: $vgpr14_vgpr15
.LBB54_4319:
	s_and_not1_b32 s2, s48, exec_lo
	s_and_b32 s4, s17, exec_lo
	s_and_b32 s35, s18, exec_lo
	;; [unrolled: 1-line block ×3, first 2 shown]
	s_or_b32 s48, s2, s4
.LBB54_4320:
	s_wait_xcnt 0x0
	s_or_b32 exec_lo, exec_lo, s49
	s_delay_alu instid0(SALU_CYCLE_1)
	s_and_not1_b32 s2, s39, exec_lo
	s_and_b32 s4, s48, exec_lo
	s_and_b32 s34, s35, exec_lo
	;; [unrolled: 1-line block ×3, first 2 shown]
	s_or_b32 s39, s2, s4
.LBB54_4321:
	s_or_b32 exec_lo, exec_lo, s54
	s_delay_alu instid0(SALU_CYCLE_1)
	s_and_not1_b32 s2, s21, exec_lo
	s_and_b32 s4, s39, exec_lo
	s_and_b32 s34, s34, exec_lo
	;; [unrolled: 1-line block ×3, first 2 shown]
	s_or_b32 s21, s2, s4
.LBB54_4322:
	s_or_b32 exec_lo, exec_lo, s25
	s_delay_alu instid0(SALU_CYCLE_1)
	s_and_not1_b32 s2, s33, exec_lo
	s_and_b32 s4, s21, exec_lo
	s_and_b32 s25, s34, exec_lo
	;; [unrolled: 1-line block ×3, first 2 shown]
	s_or_b32 s33, s2, s4
.LBB54_4323:
	s_or_b32 exec_lo, exec_lo, s3
	s_branch .LBB54_3435
.LBB54_4324:                            ;   in Loop: Header=BB54_4325 Depth=1
	s_or_b32 exec_lo, exec_lo, s0
	global_load_b64 v[24:25], v16, s[40:41]
	v_mul_u64_e32 v[26:27], s[42:43], v[20:21]
	s_add_co_i32 s35, s35, -1
	s_add_nc_u64 s[36:37], s[36:37], -8
	s_cmp_eq_u32 s35, 0
	s_wait_xcnt 0x0
	s_add_nc_u64 s[40:41], s[40:41], -8
	s_delay_alu instid0(VALU_DEP_1) | instskip(SKIP_1) | instid1(VALU_DEP_1)
	v_sub_nc_u64_e32 v[18:19], v[18:19], v[26:27]
	s_wait_loadcnt 0x0
	v_mad_nc_u64_u32 v[14:15], v18, v24, v[14:15]
	s_delay_alu instid0(VALU_DEP_1) | instskip(NEXT) | instid1(VALU_DEP_1)
	v_mad_u32 v1, v19, v24, v15
	v_mad_u32 v15, v18, v25, v1
	v_mov_b64_e32 v[18:19], v[20:21]
	s_cbranch_scc1 .LBB54_4329
.LBB54_4325:                            ; =>This Inner Loop Header: Depth=1
	global_load_b64 v[20:21], v16, s[36:37]
	s_mov_b32 s0, exec_lo
	s_wait_loadcnt 0x0
	v_or_b32_e32 v17, v19, v21
	v_readfirstlane_b32 s42, v20
	v_readfirstlane_b32 s43, v21
                                        ; implicit-def: $vgpr20_vgpr21
	s_wait_xcnt 0x0
	s_delay_alu instid0(VALU_DEP_3)
	v_cmpx_ne_u64_e32 0, v[16:17]
	s_xor_b32 s64, exec_lo, s0
	s_cbranch_execz .LBB54_4327
; %bb.4326:                             ;   in Loop: Header=BB54_4325 Depth=1
	s_ashr_i32 s44, s43, 31
	v_dual_mov_b32 v27, v16 :: v_dual_ashrrev_i32 v20, 31, v19
	s_mov_b32 s45, s44
	v_mov_b32_e32 v31, v16
	s_add_nc_u64 s[46:47], s[42:43], s[44:45]
	s_delay_alu instid0(VALU_DEP_2)
	v_mov_b32_e32 v21, v20
	s_xor_b64 s[46:47], s[46:47], s[44:45]
	v_mov_b32_e32 v35, v16
	s_cvt_f32_u32 s0, s46
	s_cvt_f32_u32 s45, s47
	s_sub_nc_u64 s[74:75], 0, s[46:47]
	v_add_nc_u64_e32 v[24:25], v[18:19], v[20:21]
	s_delay_alu instid0(SALU_CYCLE_1) | instskip(NEXT) | instid1(SALU_CYCLE_3)
	s_fmamk_f32 s0, s45, 0x4f800000, s0
	v_s_rcp_f32 s0, s0
	s_delay_alu instid0(VALU_DEP_1) | instskip(NEXT) | instid1(VALU_DEP_2)
	v_xor_b32_e32 v30, v25, v20
	v_xor_b32_e32 v26, v24, v20
	s_delay_alu instid0(TRANS32_DEP_1) | instskip(NEXT) | instid1(SALU_CYCLE_3)
	s_mul_f32 s0, s0, 0x5f7ffffc
	s_mul_f32 s45, s0, 0x2f800000
	s_delay_alu instid0(SALU_CYCLE_3) | instskip(NEXT) | instid1(SALU_CYCLE_3)
	s_trunc_f32 s45, s45
	s_fmamk_f32 s0, s45, 0xcf800000, s0
	s_cvt_u32_f32 s73, s45
	s_delay_alu instid0(SALU_CYCLE_2) | instskip(NEXT) | instid1(SALU_CYCLE_3)
	s_cvt_u32_f32 s72, s0
	s_mul_u64 s[76:77], s[74:75], s[72:73]
	s_delay_alu instid0(SALU_CYCLE_1)
	s_mul_hi_u32 s79, s72, s77
	s_mul_i32 s78, s72, s77
	s_mul_hi_u32 s0, s72, s76
	s_mul_i32 s65, s73, s76
	s_add_nc_u64 s[78:79], s[0:1], s[78:79]
	s_mul_hi_u32 s45, s73, s76
	s_mul_hi_u32 s66, s73, s77
	s_add_co_u32 s0, s78, s65
	s_add_co_ci_u32 s0, s79, s45
	s_mul_i32 s76, s73, s77
	s_add_co_ci_u32 s77, s66, 0
	s_delay_alu instid0(SALU_CYCLE_1) | instskip(NEXT) | instid1(SALU_CYCLE_1)
	s_add_nc_u64 s[76:77], s[0:1], s[76:77]
	s_add_co_u32 s72, s72, s76
	s_cselect_b32 s0, -1, 0
	s_delay_alu instid0(SALU_CYCLE_1) | instskip(SKIP_1) | instid1(SALU_CYCLE_1)
	s_cmp_lg_u32 s0, 0
	s_add_co_ci_u32 s73, s73, s77
	s_mul_u64 s[74:75], s[74:75], s[72:73]
	s_delay_alu instid0(SALU_CYCLE_1)
	s_mul_hi_u32 s77, s72, s75
	s_mul_i32 s76, s72, s75
	s_mul_hi_u32 s0, s72, s74
	s_mul_i32 s65, s73, s74
	s_add_nc_u64 s[76:77], s[0:1], s[76:77]
	s_mul_hi_u32 s45, s73, s74
	s_mul_hi_u32 s66, s73, s75
	s_add_co_u32 s0, s76, s65
	s_add_co_ci_u32 s0, s77, s45
	s_mul_i32 s74, s73, s75
	s_add_co_ci_u32 s75, s66, 0
	s_delay_alu instid0(SALU_CYCLE_1) | instskip(NEXT) | instid1(SALU_CYCLE_1)
	s_add_nc_u64 s[74:75], s[0:1], s[74:75]
	s_add_co_u32 s66, s72, s74
	s_cselect_b32 s0, -1, 0
	v_mul_hi_u32 v34, v26, s66
	s_cmp_lg_u32 s0, 0
	s_add_co_ci_u32 s0, s73, s75
	s_and_b64 s[72:73], s[66:67], s[18:19]
	v_mul_u64_e32 v[28:29], s[0:1], v[26:27]
	v_mul_u64_e32 v[24:25], s[72:73], v[30:31]
	;; [unrolled: 1-line block ×3, first 2 shown]
	s_delay_alu instid0(VALU_DEP_3) | instskip(NEXT) | instid1(VALU_DEP_1)
	v_add_nc_u64_e32 v[28:29], v[34:35], v[28:29]
	v_add_co_u32 v1, vcc_lo, v28, v24
	s_delay_alu instid0(VALU_DEP_2) | instskip(NEXT) | instid1(VALU_DEP_4)
	v_add_co_ci_u32_e32 v34, vcc_lo, v29, v25, vcc_lo
	v_add_co_ci_u32_e32 v33, vcc_lo, 0, v33, vcc_lo
	s_delay_alu instid0(VALU_DEP_1) | instskip(NEXT) | instid1(VALU_DEP_1)
	v_add_nc_u64_e32 v[24:25], v[34:35], v[32:33]
	v_mul_u64_e32 v[28:29], s[46:47], v[24:25]
	s_delay_alu instid0(VALU_DEP_1) | instskip(NEXT) | instid1(VALU_DEP_2)
	v_sub_nc_u32_e32 v1, v30, v29
	v_sub_co_u32 v3, vcc_lo, v26, v28
	s_delay_alu instid0(VALU_DEP_1) | instskip(NEXT) | instid1(VALU_DEP_3)
	v_sub_co_ci_u32_e64 v7, null, v30, v29, vcc_lo
	v_subrev_co_ci_u32_e64 v1, null, s47, v1, vcc_lo
	s_delay_alu instid0(VALU_DEP_3) | instskip(SKIP_1) | instid1(VALU_DEP_3)
	v_sub_co_u32 v5, s0, v3, s46
	v_add_nc_u64_e32 v[26:27], 2, v[24:25]
	v_subrev_co_ci_u32_e64 v1, null, 0, v1, s0
	s_delay_alu instid0(VALU_DEP_3) | instskip(SKIP_2) | instid1(VALU_DEP_4)
	v_cmp_le_u32_e32 vcc_lo, s46, v5
	v_add_nc_u64_e32 v[28:29], 1, v[24:25]
	v_cndmask_b32_e64 v5, 0, -1, vcc_lo
	v_cmp_le_u32_e32 vcc_lo, s47, v1
	v_cndmask_b32_e64 v9, 0, -1, vcc_lo
	v_cmp_le_u32_e32 vcc_lo, s46, v3
	;; [unrolled: 2-line block ×3, first 2 shown]
	v_cndmask_b32_e64 v11, 0, -1, vcc_lo
	v_cmp_eq_u32_e32 vcc_lo, s47, v1
	v_cndmask_b32_e32 v1, v9, v5, vcc_lo
	v_cmp_eq_u32_e32 vcc_lo, s47, v7
	s_delay_alu instid0(VALU_DEP_4) | instskip(NEXT) | instid1(VALU_DEP_3)
	v_cndmask_b32_e32 v3, v11, v3, vcc_lo
	v_cmp_ne_u32_e32 vcc_lo, 0, v1
	s_delay_alu instid0(VALU_DEP_2) | instskip(SKIP_1) | instid1(VALU_DEP_1)
	v_cmp_ne_u32_e64 s0, 0, v3
	v_dual_cndmask_b32 v1, v29, v27, vcc_lo :: v_dual_cndmask_b32 v3, v28, v26, vcc_lo
	v_dual_cndmask_b32 v1, v25, v1, s0 :: v_dual_bitop2_b32 v20, s44, v20 bitop3:0x14
	s_delay_alu instid0(VALU_DEP_1) | instskip(NEXT) | instid1(VALU_DEP_1)
	v_dual_cndmask_b32 v3, v24, v3, s0 :: v_dual_bitop2_b32 v25, v1, v20 bitop3:0x14
	v_dual_mov_b32 v21, v20 :: v_dual_bitop2_b32 v24, v3, v20 bitop3:0x14
	s_delay_alu instid0(VALU_DEP_1)
	v_sub_nc_u64_e32 v[20:21], v[24:25], v[20:21]
.LBB54_4327:                            ;   in Loop: Header=BB54_4325 Depth=1
	s_and_not1_saveexec_b32 s0, s64
	s_cbranch_execz .LBB54_4324
; %bb.4328:                             ;   in Loop: Header=BB54_4325 Depth=1
	v_cvt_f32_u32_e32 v1, s42
	s_sub_co_i32 s44, 0, s42
	v_mov_b32_e32 v21, v16
	s_delay_alu instid0(VALU_DEP_2) | instskip(SKIP_1) | instid1(TRANS32_DEP_1)
	v_rcp_iflag_f32_e32 v1, v1
	v_nop
	v_mul_f32_e32 v1, 0x4f7ffffe, v1
	s_delay_alu instid0(VALU_DEP_1) | instskip(NEXT) | instid1(VALU_DEP_1)
	v_cvt_u32_f32_e32 v1, v1
	v_mul_lo_u32 v3, s44, v1
	s_delay_alu instid0(VALU_DEP_1) | instskip(NEXT) | instid1(VALU_DEP_1)
	v_mul_hi_u32 v3, v1, v3
	v_add_nc_u32_e32 v1, v1, v3
	s_delay_alu instid0(VALU_DEP_1) | instskip(NEXT) | instid1(VALU_DEP_1)
	v_mul_hi_u32 v1, v18, v1
	v_mul_lo_u32 v3, v1, s42
	s_delay_alu instid0(VALU_DEP_1) | instskip(NEXT) | instid1(VALU_DEP_1)
	v_sub_nc_u32_e32 v3, v18, v3
	v_subrev_nc_u32_e32 v7, s42, v3
	v_cmp_le_u32_e32 vcc_lo, s42, v3
	s_delay_alu instid0(VALU_DEP_2) | instskip(NEXT) | instid1(VALU_DEP_1)
	v_dual_add_nc_u32 v5, 1, v1 :: v_dual_cndmask_b32 v3, v3, v7, vcc_lo
	v_cndmask_b32_e32 v1, v1, v5, vcc_lo
	s_delay_alu instid0(VALU_DEP_2) | instskip(NEXT) | instid1(VALU_DEP_2)
	v_cmp_le_u32_e32 vcc_lo, s42, v3
	v_add_nc_u32_e32 v5, 1, v1
	s_delay_alu instid0(VALU_DEP_1)
	v_cndmask_b32_e32 v20, v1, v5, vcc_lo
	s_branch .LBB54_4324
.LBB54_4329:
	s_mov_b32 s19, -1
	s_mov_b32 s64, s62
	s_mov_b32 s0, exec_lo
	v_cmpx_gt_i32_e64 v12, v10
	s_cbranch_execz .LBB54_4336
; %bb.4330:
	s_delay_alu instid0(VALU_DEP_2) | instskip(SKIP_3) | instid1(VALU_DEP_1)
	v_lshlrev_b64_e32 v[14:15], 2, v[14:15]
	v_dual_ashrrev_i32 v11, 31, v10 :: v_dual_ashrrev_i32 v13, 31, v12
	s_mov_b32 s18, 0
	s_xor_b32 s19, s50, -1
                                        ; implicit-def: $sgpr1
                                        ; implicit-def: $sgpr36
                                        ; implicit-def: $sgpr35
	v_lshl_add_u64 v[10:11], v[10:11], 2, v[14:15]
	v_add_nc_u64_e32 v[14:15], s[30:31], v[14:15]
	s_delay_alu instid0(VALU_DEP_2) | instskip(NEXT) | instid1(VALU_DEP_2)
	v_add_nc_u64_e32 v[10:11], s[30:31], v[10:11]
	v_lshl_add_u64 v[12:13], v[12:13], 2, v[14:15]
	s_delay_alu instid0(VALU_DEP_2)
	v_add_nc_u64_e32 v[10:11], 4, v[10:11]
	s_branch .LBB54_4332
.LBB54_4331:                            ;   in Loop: Header=BB54_4332 Depth=1
	s_or_b32 exec_lo, exec_lo, s37
	s_xor_b32 s37, s35, -1
	s_and_b32 s40, exec_lo, s36
	s_delay_alu instid0(SALU_CYCLE_1) | instskip(SKIP_2) | instid1(SALU_CYCLE_1)
	s_or_b32 s18, s40, s18
	s_and_not1_b32 s1, s1, exec_lo
	s_and_b32 s37, s37, exec_lo
	s_or_b32 s1, s1, s37
	s_and_not1_b32 exec_lo, exec_lo, s18
	s_cbranch_execz .LBB54_4334
.LBB54_4332:                            ; =>This Inner Loop Header: Depth=1
	s_or_b32 s35, s35, exec_lo
	s_or_b32 s36, s36, exec_lo
	s_mov_b32 s37, exec_lo
	s_delay_alu instid0(VALU_DEP_1)
	v_cmpx_lt_u64_e64 v[10:11], v[12:13]
	s_cbranch_execz .LBB54_4331
; %bb.4333:                             ;   in Loop: Header=BB54_4332 Depth=1
	global_load_b64 v[14:15], v[10:11], off offset:-4
	s_wait_xcnt 0x0
	v_add_nc_u64_e32 v[10:11], 4, v[10:11]
	s_and_not1_b32 s36, s36, exec_lo
	s_and_not1_b32 s35, s35, exec_lo
	s_wait_loadcnt 0x0
	v_cmp_ge_i32_e32 vcc_lo, v14, v15
	s_or_b32 s40, s19, vcc_lo
	s_delay_alu instid0(SALU_CYCLE_1) | instskip(NEXT) | instid1(SALU_CYCLE_1)
	s_and_b32 s40, s40, exec_lo
	s_or_b32 s36, s36, s40
	s_branch .LBB54_4331
.LBB54_4334:
	s_or_b32 exec_lo, exec_lo, s18
	s_mov_b32 s18, -1
	s_mov_b32 s19, s62
	s_and_saveexec_b32 s35, s1
	s_delay_alu instid0(SALU_CYCLE_1)
	s_xor_b32 s1, exec_lo, s35
	s_cbranch_execnz .LBB54_4349
.LBB54_4335:
	s_or_b32 exec_lo, exec_lo, s1
	s_delay_alu instid0(SALU_CYCLE_1) | instskip(SKIP_1) | instid1(SALU_CYCLE_1)
	s_and_not1_b32 s1, s62, exec_lo
	s_and_b32 s19, s19, exec_lo
	s_or_b32 s64, s1, s19
	s_or_not1_b32 s19, s18, exec_lo
.LBB54_4336:
	s_or_b32 exec_lo, exec_lo, s0
	s_mov_b32 s1, 0
	s_mov_b32 s18, 0
                                        ; implicit-def: $sgpr0
                                        ; implicit-def: $vgpr14_vgpr15
	s_and_saveexec_b32 s65, s19
	s_cbranch_execz .LBB54_4986
; %bb.4337:
	v_add_nc_u32_e32 v0, s67, v0
	s_cmp_lt_i32 s55, 11
	s_delay_alu instid0(VALU_DEP_1) | instskip(NEXT) | instid1(VALU_DEP_1)
	v_ashrrev_i32_e32 v1, 31, v0
	v_add_nc_u64_e32 v[10:11], s[6:7], v[0:1]
	s_cbranch_scc1 .LBB54_4345
; %bb.4338:
	s_and_b32 s0, 0xffff, s55
	s_delay_alu instid0(SALU_CYCLE_1)
	s_cmp_gt_i32 s0, 25
	s_cbranch_scc0 .LBB54_4346
; %bb.4339:
	s_cmp_gt_i32 s0, 28
	s_cbranch_scc0 .LBB54_4347
; %bb.4340:
	;; [unrolled: 3-line block ×4, first 2 shown]
	s_cmp_eq_u32 s0, 46
	s_mov_b32 s35, 0
	s_cbranch_scc0 .LBB54_4351
; %bb.4343:
	global_load_b32 v1, v[10:11], off
	s_mov_b32 s19, -1
	s_wait_loadcnt 0x0
	v_lshlrev_b32_e32 v1, 16, v1
	s_delay_alu instid0(VALU_DEP_1)
	v_cvt_i32_f32_e32 v1, v1
	s_branch .LBB54_4353
.LBB54_4344:
	s_or_b32 s17, s17, exec_lo
	s_trap 2
	s_cbranch_execz .LBB54_4258
	s_branch .LBB54_4259
.LBB54_4345:
	s_mov_b32 s0, -1
	s_mov_b32 s19, 0
	s_mov_b32 s66, s64
                                        ; implicit-def: $vgpr1
	s_branch .LBB54_4415
.LBB54_4346:
	s_mov_b32 s35, -1
	s_mov_b32 s19, 0
                                        ; implicit-def: $vgpr1
	s_branch .LBB54_4380
.LBB54_4347:
	s_mov_b32 s35, -1
	s_mov_b32 s19, 0
                                        ; implicit-def: $vgpr1
	s_branch .LBB54_4363
.LBB54_4348:
	s_mov_b32 s35, -1
	s_mov_b32 s19, 0
                                        ; implicit-def: $vgpr1
	s_branch .LBB54_4358
.LBB54_4349:
	s_or_b32 s19, s62, exec_lo
	s_xor_b32 s18, exec_lo, -1
	s_trap 2
	s_branch .LBB54_4335
.LBB54_4350:
	s_mov_b32 s35, -1
	s_branch .LBB54_4352
.LBB54_4351:
	s_mov_b32 s1, -1
.LBB54_4352:
	s_mov_b32 s19, 0
                                        ; implicit-def: $vgpr1
.LBB54_4353:
	s_and_b32 vcc_lo, exec_lo, s35
	s_cbranch_vccz .LBB54_4357
; %bb.4354:
	s_cmp_eq_u32 s0, 44
	s_cbranch_scc0 .LBB54_4356
; %bb.4355:
	global_load_u8 v1, v[10:11], off
	s_mov_b32 s1, 0
	s_mov_b32 s19, -1
	s_wait_loadcnt 0x0
	v_lshlrev_b32_e32 v3, 23, v1
	v_cmp_ne_u32_e32 vcc_lo, 0, v1
	s_delay_alu instid0(VALU_DEP_2) | instskip(NEXT) | instid1(VALU_DEP_1)
	v_cvt_i32_f32_e32 v3, v3
	v_cndmask_b32_e32 v1, 0, v3, vcc_lo
	s_branch .LBB54_4357
.LBB54_4356:
	s_mov_b32 s1, -1
                                        ; implicit-def: $vgpr1
.LBB54_4357:
	s_mov_b32 s35, 0
.LBB54_4358:
	s_delay_alu instid0(SALU_CYCLE_1)
	s_and_b32 vcc_lo, exec_lo, s35
	s_cbranch_vccz .LBB54_4362
; %bb.4359:
	s_cmp_eq_u32 s0, 29
	s_cbranch_scc0 .LBB54_4361
; %bb.4360:
	global_load_b32 v1, v[10:11], off
	s_mov_b32 s1, 0
	s_mov_b32 s19, -1
	s_branch .LBB54_4362
.LBB54_4361:
	s_mov_b32 s1, -1
                                        ; implicit-def: $vgpr1
.LBB54_4362:
	s_mov_b32 s35, 0
.LBB54_4363:
	s_delay_alu instid0(SALU_CYCLE_1)
	s_and_b32 vcc_lo, exec_lo, s35
	s_cbranch_vccz .LBB54_4379
; %bb.4364:
	s_cmp_lt_i32 s0, 27
	s_cbranch_scc1 .LBB54_4367
; %bb.4365:
	s_cmp_gt_i32 s0, 27
	s_cbranch_scc0 .LBB54_4368
; %bb.4366:
	s_wait_loadcnt 0x0
	global_load_b32 v1, v[10:11], off
	s_mov_b32 s19, 0
	s_branch .LBB54_4369
.LBB54_4367:
	s_mov_b32 s19, -1
                                        ; implicit-def: $vgpr1
	s_branch .LBB54_4372
.LBB54_4368:
	s_mov_b32 s19, -1
                                        ; implicit-def: $vgpr1
.LBB54_4369:
	s_delay_alu instid0(SALU_CYCLE_1)
	s_and_not1_b32 vcc_lo, exec_lo, s19
	s_cbranch_vccnz .LBB54_4371
; %bb.4370:
	s_wait_loadcnt 0x0
	global_load_u16 v1, v[10:11], off
.LBB54_4371:
	s_mov_b32 s19, 0
.LBB54_4372:
	s_delay_alu instid0(SALU_CYCLE_1)
	s_and_not1_b32 vcc_lo, exec_lo, s19
	s_cbranch_vccnz .LBB54_4378
; %bb.4373:
	global_load_u8 v3, v[10:11], off
	s_mov_b32 s35, 0
	s_mov_b32 s19, exec_lo
	s_wait_loadcnt 0x0
	v_cmpx_lt_i16_e32 0x7f, v3
	s_xor_b32 s19, exec_lo, s19
	s_cbranch_execz .LBB54_4390
; %bb.4374:
	v_cmp_ne_u16_e32 vcc_lo, 0x80, v3
	s_and_b32 s35, vcc_lo, exec_lo
	s_and_not1_saveexec_b32 s19, s19
	s_cbranch_execnz .LBB54_4391
.LBB54_4375:
	s_or_b32 exec_lo, exec_lo, s19
	v_mov_b32_e32 v1, 0
	s_and_saveexec_b32 s19, s35
	s_cbranch_execz .LBB54_4377
.LBB54_4376:
	v_and_b32_e32 v1, 0xffff, v3
	s_delay_alu instid0(VALU_DEP_1) | instskip(SKIP_1) | instid1(VALU_DEP_2)
	v_and_b32_e32 v5, 7, v1
	v_bfe_u32 v12, v1, 3, 4
	v_clz_i32_u32_e32 v7, v5
	s_delay_alu instid0(VALU_DEP_2) | instskip(NEXT) | instid1(VALU_DEP_2)
	v_cmp_eq_u32_e32 vcc_lo, 0, v12
	v_min_u32_e32 v7, 32, v7
	s_delay_alu instid0(VALU_DEP_1) | instskip(NEXT) | instid1(VALU_DEP_1)
	v_subrev_nc_u32_e32 v9, 28, v7
	v_dual_lshlrev_b32 v1, v9, v1 :: v_dual_sub_nc_u32 v7, 29, v7
	s_delay_alu instid0(VALU_DEP_1) | instskip(NEXT) | instid1(VALU_DEP_1)
	v_dual_lshlrev_b32 v3, 24, v3 :: v_dual_bitop2_b32 v1, 7, v1 bitop3:0x40
	v_dual_cndmask_b32 v1, v5, v1, vcc_lo :: v_dual_cndmask_b32 v7, v12, v7, vcc_lo
	s_delay_alu instid0(VALU_DEP_2) | instskip(NEXT) | instid1(VALU_DEP_2)
	v_and_b32_e32 v3, 0x80000000, v3
	v_lshlrev_b32_e32 v1, 20, v1
	s_delay_alu instid0(VALU_DEP_3) | instskip(NEXT) | instid1(VALU_DEP_1)
	v_lshl_add_u32 v5, v7, 23, 0x3b800000
	v_or3_b32 v1, v3, v5, v1
	s_delay_alu instid0(VALU_DEP_1)
	v_cvt_i32_f32_e32 v1, v1
.LBB54_4377:
	s_or_b32 exec_lo, exec_lo, s19
.LBB54_4378:
	s_mov_b32 s19, -1
.LBB54_4379:
	s_mov_b32 s35, 0
.LBB54_4380:
	s_delay_alu instid0(SALU_CYCLE_1)
	s_and_b32 vcc_lo, exec_lo, s35
	s_cbranch_vccz .LBB54_4411
; %bb.4381:
	s_cmp_gt_i32 s0, 22
	s_cbranch_scc0 .LBB54_4389
; %bb.4382:
	s_cmp_lt_i32 s0, 24
	s_cbranch_scc1 .LBB54_4392
; %bb.4383:
	s_cmp_gt_i32 s0, 24
	s_cbranch_scc0 .LBB54_4393
; %bb.4384:
	global_load_u8 v3, v[10:11], off
	s_mov_b32 s19, 0
	s_mov_b32 s18, exec_lo
	s_wait_loadcnt 0x0
	v_cmpx_lt_i16_e32 0x7f, v3
	s_xor_b32 s18, exec_lo, s18
	s_cbranch_execz .LBB54_4405
; %bb.4385:
	v_cmp_ne_u16_e32 vcc_lo, 0x80, v3
	s_and_b32 s19, vcc_lo, exec_lo
	s_and_not1_saveexec_b32 s18, s18
	s_cbranch_execnz .LBB54_4406
.LBB54_4386:
	s_or_b32 exec_lo, exec_lo, s18
	v_mov_b32_e32 v1, 0
	s_and_saveexec_b32 s18, s19
	s_cbranch_execz .LBB54_4388
.LBB54_4387:
	v_and_b32_e32 v1, 0xffff, v3
	s_delay_alu instid0(VALU_DEP_1) | instskip(SKIP_1) | instid1(VALU_DEP_2)
	v_and_b32_e32 v5, 3, v1
	v_bfe_u32 v12, v1, 2, 5
	v_clz_i32_u32_e32 v7, v5
	s_delay_alu instid0(VALU_DEP_2) | instskip(NEXT) | instid1(VALU_DEP_2)
	v_cmp_eq_u32_e32 vcc_lo, 0, v12
	v_min_u32_e32 v7, 32, v7
	s_delay_alu instid0(VALU_DEP_1) | instskip(NEXT) | instid1(VALU_DEP_1)
	v_subrev_nc_u32_e32 v9, 29, v7
	v_dual_lshlrev_b32 v1, v9, v1 :: v_dual_sub_nc_u32 v7, 30, v7
	s_delay_alu instid0(VALU_DEP_1) | instskip(NEXT) | instid1(VALU_DEP_1)
	v_dual_lshlrev_b32 v3, 24, v3 :: v_dual_bitop2_b32 v1, 3, v1 bitop3:0x40
	v_dual_cndmask_b32 v1, v5, v1, vcc_lo :: v_dual_cndmask_b32 v7, v12, v7, vcc_lo
	s_delay_alu instid0(VALU_DEP_2) | instskip(NEXT) | instid1(VALU_DEP_2)
	v_and_b32_e32 v3, 0x80000000, v3
	v_lshlrev_b32_e32 v1, 21, v1
	s_delay_alu instid0(VALU_DEP_3) | instskip(NEXT) | instid1(VALU_DEP_1)
	v_lshl_add_u32 v5, v7, 23, 0x37800000
	v_or3_b32 v1, v3, v5, v1
	s_delay_alu instid0(VALU_DEP_1)
	v_cvt_i32_f32_e32 v1, v1
.LBB54_4388:
	s_or_b32 exec_lo, exec_lo, s18
	s_mov_b32 s18, 0
	s_branch .LBB54_4394
.LBB54_4389:
	s_mov_b32 s18, -1
                                        ; implicit-def: $vgpr1
	s_branch .LBB54_4400
.LBB54_4390:
	s_and_not1_saveexec_b32 s19, s19
	s_cbranch_execz .LBB54_4375
.LBB54_4391:
	v_cmp_ne_u16_e32 vcc_lo, 0, v3
	s_and_not1_b32 s35, s35, exec_lo
	s_and_b32 s36, vcc_lo, exec_lo
	s_delay_alu instid0(SALU_CYCLE_1)
	s_or_b32 s35, s35, s36
	s_or_b32 exec_lo, exec_lo, s19
	v_mov_b32_e32 v1, 0
	s_and_saveexec_b32 s19, s35
	s_cbranch_execnz .LBB54_4376
	s_branch .LBB54_4377
.LBB54_4392:
	s_mov_b32 s18, -1
                                        ; implicit-def: $vgpr1
	s_branch .LBB54_4397
.LBB54_4393:
	s_mov_b32 s18, -1
                                        ; implicit-def: $vgpr1
.LBB54_4394:
	s_delay_alu instid0(SALU_CYCLE_1)
	s_and_b32 vcc_lo, exec_lo, s18
	s_cbranch_vccz .LBB54_4396
; %bb.4395:
	s_wait_loadcnt 0x0
	global_load_u8 v1, v[10:11], off
	s_wait_loadcnt 0x0
	v_lshlrev_b32_e32 v1, 24, v1
	s_delay_alu instid0(VALU_DEP_1) | instskip(NEXT) | instid1(VALU_DEP_1)
	v_and_b32_e32 v3, 0x7f000000, v1
	v_clz_i32_u32_e32 v5, v3
	v_add_nc_u32_e32 v9, 0x1000000, v3
	v_cmp_ne_u32_e32 vcc_lo, 0, v3
	s_delay_alu instid0(VALU_DEP_3) | instskip(NEXT) | instid1(VALU_DEP_1)
	v_min_u32_e32 v5, 32, v5
	v_sub_nc_u32_e64 v5, v5, 4 clamp
	s_delay_alu instid0(VALU_DEP_1) | instskip(NEXT) | instid1(VALU_DEP_1)
	v_dual_lshlrev_b32 v7, v5, v3 :: v_dual_lshlrev_b32 v5, 23, v5
	v_lshrrev_b32_e32 v7, 4, v7
	s_delay_alu instid0(VALU_DEP_1) | instskip(SKIP_1) | instid1(VALU_DEP_2)
	v_sub_nc_u32_e32 v5, v7, v5
	v_ashrrev_i32_e32 v7, 8, v9
	v_add_nc_u32_e32 v5, 0x3c000000, v5
	s_delay_alu instid0(VALU_DEP_1) | instskip(NEXT) | instid1(VALU_DEP_1)
	v_and_or_b32 v5, 0x7f800000, v7, v5
	v_cndmask_b32_e32 v3, 0, v5, vcc_lo
	s_delay_alu instid0(VALU_DEP_1) | instskip(NEXT) | instid1(VALU_DEP_1)
	v_and_or_b32 v1, 0x80000000, v1, v3
	v_cvt_i32_f32_e32 v1, v1
.LBB54_4396:
	s_mov_b32 s18, 0
.LBB54_4397:
	s_delay_alu instid0(SALU_CYCLE_1)
	s_and_not1_b32 vcc_lo, exec_lo, s18
	s_cbranch_vccnz .LBB54_4399
; %bb.4398:
	s_wait_loadcnt 0x0
	global_load_u8 v1, v[10:11], off
	s_wait_loadcnt 0x0
	v_lshlrev_b32_e32 v3, 25, v1
	v_lshlrev_b16 v1, 8, v1
	s_delay_alu instid0(VALU_DEP_1) | instskip(SKIP_1) | instid1(VALU_DEP_2)
	v_and_or_b32 v7, 0x7f00, v1, 0.5
	v_bfe_i32 v1, v1, 0, 16
	v_add_f32_e32 v7, -0.5, v7
	v_lshrrev_b32_e32 v5, 4, v3
	v_cmp_gt_u32_e32 vcc_lo, 0x8000000, v3
	s_delay_alu instid0(VALU_DEP_2) | instskip(NEXT) | instid1(VALU_DEP_1)
	v_or_b32_e32 v5, 0x70000000, v5
	v_mul_f32_e32 v5, 0x7800000, v5
	s_delay_alu instid0(VALU_DEP_1) | instskip(NEXT) | instid1(VALU_DEP_1)
	v_cndmask_b32_e32 v3, v5, v7, vcc_lo
	v_and_or_b32 v1, 0x80000000, v1, v3
	s_delay_alu instid0(VALU_DEP_1)
	v_cvt_i32_f32_e32 v1, v1
.LBB54_4399:
	s_mov_b32 s18, 0
	s_mov_b32 s19, -1
.LBB54_4400:
	s_and_not1_b32 vcc_lo, exec_lo, s18
	s_mov_b32 s18, 0
	s_cbranch_vccnz .LBB54_4411
; %bb.4401:
	s_cmp_gt_i32 s0, 14
	s_cbranch_scc0 .LBB54_4404
; %bb.4402:
	s_cmp_eq_u32 s0, 15
	s_cbranch_scc0 .LBB54_4407
; %bb.4403:
	s_wait_loadcnt 0x0
	global_load_u16 v1, v[10:11], off
	s_mov_b32 s1, 0
	s_mov_b32 s19, -1
	s_wait_loadcnt 0x0
	v_lshlrev_b32_e32 v1, 16, v1
	s_delay_alu instid0(VALU_DEP_1)
	v_cvt_i32_f32_e32 v1, v1
	s_branch .LBB54_4409
.LBB54_4404:
	s_mov_b32 s18, -1
	s_branch .LBB54_4408
.LBB54_4405:
	s_and_not1_saveexec_b32 s18, s18
	s_cbranch_execz .LBB54_4386
.LBB54_4406:
	v_cmp_ne_u16_e32 vcc_lo, 0, v3
	s_and_not1_b32 s19, s19, exec_lo
	s_and_b32 s35, vcc_lo, exec_lo
	s_delay_alu instid0(SALU_CYCLE_1)
	s_or_b32 s19, s19, s35
	s_or_b32 exec_lo, exec_lo, s18
	v_mov_b32_e32 v1, 0
	s_and_saveexec_b32 s18, s19
	s_cbranch_execnz .LBB54_4387
	s_branch .LBB54_4388
.LBB54_4407:
	s_mov_b32 s1, -1
.LBB54_4408:
                                        ; implicit-def: $vgpr1
.LBB54_4409:
	s_and_b32 vcc_lo, exec_lo, s18
	s_mov_b32 s18, 0
	s_cbranch_vccz .LBB54_4411
; %bb.4410:
	s_cmp_lg_u32 s0, 11
	s_mov_b32 s18, -1
	s_cselect_b32 s1, -1, 0
.LBB54_4411:
	s_delay_alu instid0(SALU_CYCLE_1)
	s_and_b32 vcc_lo, exec_lo, s1
	s_mov_b32 s66, s64
	s_cbranch_vccnz .LBB54_4476
; %bb.4412:
	s_and_not1_b32 vcc_lo, exec_lo, s18
	s_cbranch_vccnz .LBB54_4414
.LBB54_4413:
	s_wait_loadcnt 0x0
	global_load_u8 v1, v[10:11], off
	s_mov_b32 s19, -1
	s_wait_loadcnt 0x0
	v_cmp_ne_u16_e32 vcc_lo, 0, v1
	v_cndmask_b32_e64 v1, 0, 1, vcc_lo
.LBB54_4414:
	s_mov_b32 s0, 0
.LBB54_4415:
	s_delay_alu instid0(SALU_CYCLE_1)
	s_and_b32 vcc_lo, exec_lo, s0
	s_cbranch_vccz .LBB54_4464
; %bb.4416:
	s_and_b32 s0, 0xffff, s55
	s_delay_alu instid0(SALU_CYCLE_1)
	s_cmp_lt_i32 s0, 5
	s_cbranch_scc1 .LBB54_4421
; %bb.4417:
	s_cmp_lt_i32 s0, 8
	s_cbranch_scc1 .LBB54_4422
; %bb.4418:
	s_cmp_lt_i32 s0, 9
	s_cbranch_scc1 .LBB54_4423
; %bb.4419:
	s_cmp_gt_i32 s0, 9
	s_cbranch_scc0 .LBB54_4424
; %bb.4420:
	global_load_b64 v[12:13], v[10:11], off
	s_mov_b32 s1, 0
	s_wait_loadcnt 0x0
	v_cvt_i32_f64_e32 v1, v[12:13]
	s_branch .LBB54_4425
.LBB54_4421:
	s_mov_b32 s1, -1
                                        ; implicit-def: $vgpr1
	s_branch .LBB54_4443
.LBB54_4422:
	s_mov_b32 s1, -1
                                        ; implicit-def: $vgpr1
	s_branch .LBB54_4431
.LBB54_4423:
	s_mov_b32 s1, -1
                                        ; implicit-def: $vgpr1
	s_branch .LBB54_4428
.LBB54_4424:
	s_mov_b32 s1, -1
                                        ; implicit-def: $vgpr1
.LBB54_4425:
	s_delay_alu instid0(SALU_CYCLE_1)
	s_and_not1_b32 vcc_lo, exec_lo, s1
	s_cbranch_vccnz .LBB54_4427
; %bb.4426:
	s_wait_loadcnt 0x0
	global_load_b32 v1, v[10:11], off
	s_wait_loadcnt 0x0
	v_cvt_i32_f32_e32 v1, v1
.LBB54_4427:
	s_mov_b32 s1, 0
.LBB54_4428:
	s_delay_alu instid0(SALU_CYCLE_1)
	s_and_not1_b32 vcc_lo, exec_lo, s1
	s_cbranch_vccnz .LBB54_4430
; %bb.4429:
	s_wait_loadcnt 0x0
	global_load_b32 v1, v[10:11], off
	s_wait_loadcnt 0x0
	v_cvt_f32_f16_e32 v1, v1
	s_delay_alu instid0(VALU_DEP_1)
	v_cvt_i32_f32_e32 v1, v1
.LBB54_4430:
	s_mov_b32 s1, 0
.LBB54_4431:
	s_delay_alu instid0(SALU_CYCLE_1)
	s_and_not1_b32 vcc_lo, exec_lo, s1
	s_cbranch_vccnz .LBB54_4442
; %bb.4432:
	s_cmp_lt_i32 s0, 6
	s_cbranch_scc1 .LBB54_4435
; %bb.4433:
	s_cmp_gt_i32 s0, 6
	s_cbranch_scc0 .LBB54_4436
; %bb.4434:
	global_load_b64 v[12:13], v[10:11], off
	s_mov_b32 s1, 0
	s_wait_loadcnt 0x0
	v_cvt_i32_f64_e32 v1, v[12:13]
	s_branch .LBB54_4437
.LBB54_4435:
	s_mov_b32 s1, -1
                                        ; implicit-def: $vgpr1
	s_branch .LBB54_4440
.LBB54_4436:
	s_mov_b32 s1, -1
                                        ; implicit-def: $vgpr1
.LBB54_4437:
	s_delay_alu instid0(SALU_CYCLE_1)
	s_and_not1_b32 vcc_lo, exec_lo, s1
	s_cbranch_vccnz .LBB54_4439
; %bb.4438:
	s_wait_loadcnt 0x0
	global_load_b32 v1, v[10:11], off
	s_wait_loadcnt 0x0
	v_cvt_i32_f32_e32 v1, v1
.LBB54_4439:
	s_mov_b32 s1, 0
.LBB54_4440:
	s_delay_alu instid0(SALU_CYCLE_1)
	s_and_not1_b32 vcc_lo, exec_lo, s1
	s_cbranch_vccnz .LBB54_4442
; %bb.4441:
	s_wait_loadcnt 0x0
	global_load_u16 v1, v[10:11], off
	s_wait_loadcnt 0x0
	v_cvt_f32_f16_e32 v1, v1
	s_delay_alu instid0(VALU_DEP_1)
	v_cvt_i32_f32_e32 v1, v1
.LBB54_4442:
	s_mov_b32 s1, 0
.LBB54_4443:
	s_delay_alu instid0(SALU_CYCLE_1)
	s_and_not1_b32 vcc_lo, exec_lo, s1
	s_cbranch_vccnz .LBB54_4463
; %bb.4444:
	s_cmp_lt_i32 s0, 2
	s_cbranch_scc1 .LBB54_4448
; %bb.4445:
	s_cmp_lt_i32 s0, 3
	s_cbranch_scc1 .LBB54_4449
; %bb.4446:
	s_cmp_gt_i32 s0, 3
	s_cbranch_scc0 .LBB54_4450
; %bb.4447:
	s_wait_loadcnt 0x0
	global_load_b32 v1, v[10:11], off
	s_mov_b32 s1, 0
	s_branch .LBB54_4451
.LBB54_4448:
	s_mov_b32 s1, -1
                                        ; implicit-def: $vgpr1
	s_branch .LBB54_4457
.LBB54_4449:
	s_mov_b32 s1, -1
                                        ; implicit-def: $vgpr1
	s_branch .LBB54_4454
.LBB54_4450:
	s_mov_b32 s1, -1
                                        ; implicit-def: $vgpr1
.LBB54_4451:
	s_delay_alu instid0(SALU_CYCLE_1)
	s_and_not1_b32 vcc_lo, exec_lo, s1
	s_cbranch_vccnz .LBB54_4453
; %bb.4452:
	s_wait_loadcnt 0x0
	global_load_b32 v1, v[10:11], off
.LBB54_4453:
	s_mov_b32 s1, 0
.LBB54_4454:
	s_delay_alu instid0(SALU_CYCLE_1)
	s_and_not1_b32 vcc_lo, exec_lo, s1
	s_cbranch_vccnz .LBB54_4456
; %bb.4455:
	s_wait_loadcnt 0x0
	global_load_i16 v1, v[10:11], off
.LBB54_4456:
	s_mov_b32 s1, 0
.LBB54_4457:
	s_delay_alu instid0(SALU_CYCLE_1)
	s_and_not1_b32 vcc_lo, exec_lo, s1
	s_cbranch_vccnz .LBB54_4463
; %bb.4458:
	s_cmp_gt_i32 s0, 0
	s_mov_b32 s0, 0
	s_cbranch_scc0 .LBB54_4460
; %bb.4459:
	s_wait_loadcnt 0x0
	global_load_i8 v1, v[10:11], off
	s_branch .LBB54_4461
.LBB54_4460:
	s_mov_b32 s0, -1
                                        ; implicit-def: $vgpr1
.LBB54_4461:
	s_delay_alu instid0(SALU_CYCLE_1)
	s_and_not1_b32 vcc_lo, exec_lo, s0
	s_cbranch_vccnz .LBB54_4463
; %bb.4462:
	s_wait_loadcnt 0x0
	global_load_u8 v1, v[10:11], off
.LBB54_4463:
	s_mov_b32 s19, -1
.LBB54_4464:
	s_delay_alu instid0(SALU_CYCLE_1)
	s_and_not1_b32 vcc_lo, exec_lo, s19
	s_cbranch_vccnz .LBB54_4984
; %bb.4465:
	v_add_nc_u32_e32 v2, s68, v2
	s_cmp_lt_i32 s56, 11
	s_delay_alu instid0(VALU_DEP_1) | instskip(SKIP_1) | instid1(VALU_DEP_1)
	v_ashrrev_i32_e32 v3, 31, v2
	s_wait_xcnt 0x0
	v_add_nc_u64_e32 v[10:11], s[8:9], v[2:3]
	s_cbranch_scc1 .LBB54_4472
; %bb.4466:
	s_and_b32 s0, 0xffff, s56
	s_mov_b32 s18, 0
	s_cmp_gt_i32 s0, 25
	s_cbranch_scc0 .LBB54_4473
; %bb.4467:
	s_cmp_gt_i32 s0, 28
	s_cbranch_scc0 .LBB54_4474
; %bb.4468:
	;; [unrolled: 3-line block ×4, first 2 shown]
	s_cmp_eq_u32 s0, 46
	s_mov_b32 s35, 0
	s_cbranch_scc0 .LBB54_4479
; %bb.4471:
	global_load_b32 v3, v[10:11], off
	s_mov_b32 s1, 0
	s_mov_b32 s19, -1
	s_wait_loadcnt 0x0
	v_lshlrev_b32_e32 v3, 16, v3
	s_delay_alu instid0(VALU_DEP_1)
	v_cvt_i32_f32_e32 v3, v3
	s_branch .LBB54_4481
.LBB54_4472:
	s_mov_b32 s0, -1
	s_mov_b32 s19, 0
                                        ; implicit-def: $vgpr3
	s_branch .LBB54_4543
.LBB54_4473:
	s_mov_b32 s35, -1
	s_mov_b32 s19, 0
	s_mov_b32 s1, 0
                                        ; implicit-def: $vgpr3
	s_branch .LBB54_4508
.LBB54_4474:
	s_mov_b32 s35, -1
	s_mov_b32 s19, 0
	s_mov_b32 s1, 0
                                        ; implicit-def: $vgpr3
	s_branch .LBB54_4491
.LBB54_4475:
	s_mov_b32 s35, -1
	s_mov_b32 s19, 0
	s_mov_b32 s1, 0
                                        ; implicit-def: $vgpr3
	s_branch .LBB54_4486
.LBB54_4476:
	s_or_b32 s66, s64, exec_lo
	s_trap 2
	s_cbranch_execz .LBB54_4413
	s_branch .LBB54_4414
.LBB54_4477:
	s_mov_b32 s35, -1
	s_mov_b32 s19, 0
	s_mov_b32 s1, 0
	s_branch .LBB54_4480
.LBB54_4478:
	s_or_b32 s17, s17, exec_lo
	s_trap 2
                                        ; implicit-def: $vgpr0
                                        ; implicit-def: $vgpr2
                                        ; implicit-def: $vgpr3
                                        ; implicit-def: $vgpr4
                                        ; implicit-def: $vgpr10
                                        ; implicit-def: $vgpr6
                                        ; implicit-def: $vgpr12
                                        ; implicit-def: $vgpr8
                                        ; implicit-def: $vgpr16
                                        ; implicit-def: $vgpr23
                                        ; implicit-def: $vgpr22
	s_branch .LBB54_4311
.LBB54_4479:
	s_mov_b32 s1, -1
	s_mov_b32 s19, 0
.LBB54_4480:
                                        ; implicit-def: $vgpr3
.LBB54_4481:
	s_and_b32 vcc_lo, exec_lo, s35
	s_cbranch_vccz .LBB54_4485
; %bb.4482:
	s_cmp_eq_u32 s0, 44
	s_cbranch_scc0 .LBB54_4484
; %bb.4483:
	global_load_u8 v3, v[10:11], off
	s_mov_b32 s1, 0
	s_mov_b32 s19, -1
	s_wait_loadcnt 0x0
	v_lshlrev_b32_e32 v5, 23, v3
	v_cmp_ne_u32_e32 vcc_lo, 0, v3
	s_delay_alu instid0(VALU_DEP_2) | instskip(NEXT) | instid1(VALU_DEP_1)
	v_cvt_i32_f32_e32 v5, v5
	v_cndmask_b32_e32 v3, 0, v5, vcc_lo
	s_branch .LBB54_4485
.LBB54_4484:
	s_mov_b32 s1, -1
                                        ; implicit-def: $vgpr3
.LBB54_4485:
	s_mov_b32 s35, 0
.LBB54_4486:
	s_delay_alu instid0(SALU_CYCLE_1)
	s_and_b32 vcc_lo, exec_lo, s35
	s_cbranch_vccz .LBB54_4490
; %bb.4487:
	s_cmp_eq_u32 s0, 29
	s_cbranch_scc0 .LBB54_4489
; %bb.4488:
	global_load_b32 v3, v[10:11], off
	s_mov_b32 s1, 0
	s_mov_b32 s19, -1
	s_branch .LBB54_4490
.LBB54_4489:
	s_mov_b32 s1, -1
                                        ; implicit-def: $vgpr3
.LBB54_4490:
	s_mov_b32 s35, 0
.LBB54_4491:
	s_delay_alu instid0(SALU_CYCLE_1)
	s_and_b32 vcc_lo, exec_lo, s35
	s_cbranch_vccz .LBB54_4507
; %bb.4492:
	s_cmp_lt_i32 s0, 27
	s_cbranch_scc1 .LBB54_4495
; %bb.4493:
	s_cmp_gt_i32 s0, 27
	s_cbranch_scc0 .LBB54_4496
; %bb.4494:
	s_wait_loadcnt 0x0
	global_load_b32 v3, v[10:11], off
	s_mov_b32 s19, 0
	s_branch .LBB54_4497
.LBB54_4495:
	s_mov_b32 s19, -1
                                        ; implicit-def: $vgpr3
	s_branch .LBB54_4500
.LBB54_4496:
	s_mov_b32 s19, -1
                                        ; implicit-def: $vgpr3
.LBB54_4497:
	s_delay_alu instid0(SALU_CYCLE_1)
	s_and_not1_b32 vcc_lo, exec_lo, s19
	s_cbranch_vccnz .LBB54_4499
; %bb.4498:
	s_wait_loadcnt 0x0
	global_load_u16 v3, v[10:11], off
.LBB54_4499:
	s_mov_b32 s19, 0
.LBB54_4500:
	s_delay_alu instid0(SALU_CYCLE_1)
	s_and_not1_b32 vcc_lo, exec_lo, s19
	s_cbranch_vccnz .LBB54_4506
; %bb.4501:
	global_load_u8 v5, v[10:11], off
	s_mov_b32 s35, 0
	s_mov_b32 s19, exec_lo
	s_wait_loadcnt 0x0
	v_cmpx_lt_i16_e32 0x7f, v5
	s_xor_b32 s19, exec_lo, s19
	s_cbranch_execz .LBB54_4518
; %bb.4502:
	v_cmp_ne_u16_e32 vcc_lo, 0x80, v5
	s_and_b32 s35, vcc_lo, exec_lo
	s_and_not1_saveexec_b32 s19, s19
	s_cbranch_execnz .LBB54_4519
.LBB54_4503:
	s_or_b32 exec_lo, exec_lo, s19
	v_mov_b32_e32 v3, 0
	s_and_saveexec_b32 s19, s35
	s_cbranch_execz .LBB54_4505
.LBB54_4504:
	v_and_b32_e32 v3, 0xffff, v5
	s_delay_alu instid0(VALU_DEP_1) | instskip(SKIP_1) | instid1(VALU_DEP_2)
	v_and_b32_e32 v7, 7, v3
	v_bfe_u32 v13, v3, 3, 4
	v_clz_i32_u32_e32 v9, v7
	s_delay_alu instid0(VALU_DEP_2) | instskip(NEXT) | instid1(VALU_DEP_2)
	v_cmp_eq_u32_e32 vcc_lo, 0, v13
	v_min_u32_e32 v9, 32, v9
	s_delay_alu instid0(VALU_DEP_1) | instskip(NEXT) | instid1(VALU_DEP_1)
	v_subrev_nc_u32_e32 v12, 28, v9
	v_dual_lshlrev_b32 v3, v12, v3 :: v_dual_sub_nc_u32 v9, 29, v9
	s_delay_alu instid0(VALU_DEP_1) | instskip(NEXT) | instid1(VALU_DEP_1)
	v_dual_lshlrev_b32 v5, 24, v5 :: v_dual_bitop2_b32 v3, 7, v3 bitop3:0x40
	v_dual_cndmask_b32 v3, v7, v3, vcc_lo :: v_dual_cndmask_b32 v9, v13, v9, vcc_lo
	s_delay_alu instid0(VALU_DEP_2) | instskip(NEXT) | instid1(VALU_DEP_2)
	v_and_b32_e32 v5, 0x80000000, v5
	v_lshlrev_b32_e32 v3, 20, v3
	s_delay_alu instid0(VALU_DEP_3) | instskip(NEXT) | instid1(VALU_DEP_1)
	v_lshl_add_u32 v7, v9, 23, 0x3b800000
	v_or3_b32 v3, v5, v7, v3
	s_delay_alu instid0(VALU_DEP_1)
	v_cvt_i32_f32_e32 v3, v3
.LBB54_4505:
	s_or_b32 exec_lo, exec_lo, s19
.LBB54_4506:
	s_mov_b32 s19, -1
.LBB54_4507:
	s_mov_b32 s35, 0
.LBB54_4508:
	s_delay_alu instid0(SALU_CYCLE_1)
	s_and_b32 vcc_lo, exec_lo, s35
	s_cbranch_vccz .LBB54_4539
; %bb.4509:
	s_cmp_gt_i32 s0, 22
	s_cbranch_scc0 .LBB54_4517
; %bb.4510:
	s_cmp_lt_i32 s0, 24
	s_cbranch_scc1 .LBB54_4520
; %bb.4511:
	s_cmp_gt_i32 s0, 24
	s_cbranch_scc0 .LBB54_4521
; %bb.4512:
	global_load_u8 v5, v[10:11], off
	s_mov_b32 s19, 0
	s_mov_b32 s18, exec_lo
	s_wait_loadcnt 0x0
	v_cmpx_lt_i16_e32 0x7f, v5
	s_xor_b32 s18, exec_lo, s18
	s_cbranch_execz .LBB54_4533
; %bb.4513:
	v_cmp_ne_u16_e32 vcc_lo, 0x80, v5
	s_and_b32 s19, vcc_lo, exec_lo
	s_and_not1_saveexec_b32 s18, s18
	s_cbranch_execnz .LBB54_4534
.LBB54_4514:
	s_or_b32 exec_lo, exec_lo, s18
	v_mov_b32_e32 v3, 0
	s_and_saveexec_b32 s18, s19
	s_cbranch_execz .LBB54_4516
.LBB54_4515:
	v_and_b32_e32 v3, 0xffff, v5
	s_delay_alu instid0(VALU_DEP_1) | instskip(SKIP_1) | instid1(VALU_DEP_2)
	v_and_b32_e32 v7, 3, v3
	v_bfe_u32 v13, v3, 2, 5
	v_clz_i32_u32_e32 v9, v7
	s_delay_alu instid0(VALU_DEP_2) | instskip(NEXT) | instid1(VALU_DEP_2)
	v_cmp_eq_u32_e32 vcc_lo, 0, v13
	v_min_u32_e32 v9, 32, v9
	s_delay_alu instid0(VALU_DEP_1) | instskip(NEXT) | instid1(VALU_DEP_1)
	v_subrev_nc_u32_e32 v12, 29, v9
	v_dual_lshlrev_b32 v3, v12, v3 :: v_dual_sub_nc_u32 v9, 30, v9
	s_delay_alu instid0(VALU_DEP_1) | instskip(NEXT) | instid1(VALU_DEP_1)
	v_dual_lshlrev_b32 v5, 24, v5 :: v_dual_bitop2_b32 v3, 3, v3 bitop3:0x40
	v_dual_cndmask_b32 v3, v7, v3, vcc_lo :: v_dual_cndmask_b32 v9, v13, v9, vcc_lo
	s_delay_alu instid0(VALU_DEP_2) | instskip(NEXT) | instid1(VALU_DEP_2)
	v_and_b32_e32 v5, 0x80000000, v5
	v_lshlrev_b32_e32 v3, 21, v3
	s_delay_alu instid0(VALU_DEP_3) | instskip(NEXT) | instid1(VALU_DEP_1)
	v_lshl_add_u32 v7, v9, 23, 0x37800000
	v_or3_b32 v3, v5, v7, v3
	s_delay_alu instid0(VALU_DEP_1)
	v_cvt_i32_f32_e32 v3, v3
.LBB54_4516:
	s_or_b32 exec_lo, exec_lo, s18
	s_mov_b32 s18, 0
	s_branch .LBB54_4522
.LBB54_4517:
	s_mov_b32 s18, -1
                                        ; implicit-def: $vgpr3
	s_branch .LBB54_4528
.LBB54_4518:
	s_and_not1_saveexec_b32 s19, s19
	s_cbranch_execz .LBB54_4503
.LBB54_4519:
	v_cmp_ne_u16_e32 vcc_lo, 0, v5
	s_and_not1_b32 s35, s35, exec_lo
	s_and_b32 s36, vcc_lo, exec_lo
	s_delay_alu instid0(SALU_CYCLE_1)
	s_or_b32 s35, s35, s36
	s_or_b32 exec_lo, exec_lo, s19
	v_mov_b32_e32 v3, 0
	s_and_saveexec_b32 s19, s35
	s_cbranch_execnz .LBB54_4504
	s_branch .LBB54_4505
.LBB54_4520:
	s_mov_b32 s18, -1
                                        ; implicit-def: $vgpr3
	s_branch .LBB54_4525
.LBB54_4521:
	s_mov_b32 s18, -1
                                        ; implicit-def: $vgpr3
.LBB54_4522:
	s_delay_alu instid0(SALU_CYCLE_1)
	s_and_b32 vcc_lo, exec_lo, s18
	s_cbranch_vccz .LBB54_4524
; %bb.4523:
	s_wait_loadcnt 0x0
	global_load_u8 v3, v[10:11], off
	s_wait_loadcnt 0x0
	v_lshlrev_b32_e32 v3, 24, v3
	s_delay_alu instid0(VALU_DEP_1) | instskip(NEXT) | instid1(VALU_DEP_1)
	v_and_b32_e32 v5, 0x7f000000, v3
	v_clz_i32_u32_e32 v7, v5
	v_cmp_ne_u32_e32 vcc_lo, 0, v5
	v_add_nc_u32_e32 v12, 0x1000000, v5
	s_delay_alu instid0(VALU_DEP_3) | instskip(NEXT) | instid1(VALU_DEP_1)
	v_min_u32_e32 v7, 32, v7
	v_sub_nc_u32_e64 v7, v7, 4 clamp
	s_delay_alu instid0(VALU_DEP_1) | instskip(NEXT) | instid1(VALU_DEP_1)
	v_dual_lshlrev_b32 v9, v7, v5 :: v_dual_lshlrev_b32 v7, 23, v7
	v_lshrrev_b32_e32 v9, 4, v9
	s_delay_alu instid0(VALU_DEP_1) | instskip(NEXT) | instid1(VALU_DEP_1)
	v_dual_sub_nc_u32 v7, v9, v7 :: v_dual_ashrrev_i32 v9, 8, v12
	v_add_nc_u32_e32 v7, 0x3c000000, v7
	s_delay_alu instid0(VALU_DEP_1) | instskip(NEXT) | instid1(VALU_DEP_1)
	v_and_or_b32 v7, 0x7f800000, v9, v7
	v_cndmask_b32_e32 v5, 0, v7, vcc_lo
	s_delay_alu instid0(VALU_DEP_1) | instskip(NEXT) | instid1(VALU_DEP_1)
	v_and_or_b32 v3, 0x80000000, v3, v5
	v_cvt_i32_f32_e32 v3, v3
.LBB54_4524:
	s_mov_b32 s18, 0
.LBB54_4525:
	s_delay_alu instid0(SALU_CYCLE_1)
	s_and_not1_b32 vcc_lo, exec_lo, s18
	s_cbranch_vccnz .LBB54_4527
; %bb.4526:
	s_wait_loadcnt 0x0
	global_load_u8 v3, v[10:11], off
	s_wait_loadcnt 0x0
	v_lshlrev_b32_e32 v5, 25, v3
	v_lshlrev_b16 v3, 8, v3
	s_delay_alu instid0(VALU_DEP_1) | instskip(SKIP_1) | instid1(VALU_DEP_2)
	v_and_or_b32 v9, 0x7f00, v3, 0.5
	v_bfe_i32 v3, v3, 0, 16
	v_add_f32_e32 v9, -0.5, v9
	v_lshrrev_b32_e32 v7, 4, v5
	v_cmp_gt_u32_e32 vcc_lo, 0x8000000, v5
	s_delay_alu instid0(VALU_DEP_2) | instskip(NEXT) | instid1(VALU_DEP_1)
	v_or_b32_e32 v7, 0x70000000, v7
	v_mul_f32_e32 v7, 0x7800000, v7
	s_delay_alu instid0(VALU_DEP_1) | instskip(NEXT) | instid1(VALU_DEP_1)
	v_cndmask_b32_e32 v5, v7, v9, vcc_lo
	v_and_or_b32 v3, 0x80000000, v3, v5
	s_delay_alu instid0(VALU_DEP_1)
	v_cvt_i32_f32_e32 v3, v3
.LBB54_4527:
	s_mov_b32 s18, 0
	s_mov_b32 s19, -1
.LBB54_4528:
	s_and_not1_b32 vcc_lo, exec_lo, s18
	s_mov_b32 s18, 0
	s_cbranch_vccnz .LBB54_4539
; %bb.4529:
	s_cmp_gt_i32 s0, 14
	s_cbranch_scc0 .LBB54_4532
; %bb.4530:
	s_cmp_eq_u32 s0, 15
	s_cbranch_scc0 .LBB54_4535
; %bb.4531:
	s_wait_loadcnt 0x0
	global_load_u16 v3, v[10:11], off
	s_mov_b32 s1, 0
	s_mov_b32 s19, -1
	s_wait_loadcnt 0x0
	v_lshlrev_b32_e32 v3, 16, v3
	s_delay_alu instid0(VALU_DEP_1)
	v_cvt_i32_f32_e32 v3, v3
	s_branch .LBB54_4537
.LBB54_4532:
	s_mov_b32 s18, -1
	s_branch .LBB54_4536
.LBB54_4533:
	s_and_not1_saveexec_b32 s18, s18
	s_cbranch_execz .LBB54_4514
.LBB54_4534:
	v_cmp_ne_u16_e32 vcc_lo, 0, v5
	s_and_not1_b32 s19, s19, exec_lo
	s_and_b32 s35, vcc_lo, exec_lo
	s_delay_alu instid0(SALU_CYCLE_1)
	s_or_b32 s19, s19, s35
	s_or_b32 exec_lo, exec_lo, s18
	v_mov_b32_e32 v3, 0
	s_and_saveexec_b32 s18, s19
	s_cbranch_execnz .LBB54_4515
	s_branch .LBB54_4516
.LBB54_4535:
	s_mov_b32 s1, -1
.LBB54_4536:
                                        ; implicit-def: $vgpr3
.LBB54_4537:
	s_and_b32 vcc_lo, exec_lo, s18
	s_mov_b32 s18, 0
	s_cbranch_vccz .LBB54_4539
; %bb.4538:
	s_cmp_lg_u32 s0, 11
	s_mov_b32 s18, -1
	s_cselect_b32 s1, -1, 0
.LBB54_4539:
	s_delay_alu instid0(SALU_CYCLE_1)
	s_and_b32 vcc_lo, exec_lo, s1
	s_cbranch_vccnz .LBB54_4604
; %bb.4540:
	s_and_not1_b32 vcc_lo, exec_lo, s18
	s_cbranch_vccnz .LBB54_4542
.LBB54_4541:
	s_wait_loadcnt 0x0
	global_load_u8 v3, v[10:11], off
	s_mov_b32 s19, -1
	s_wait_loadcnt 0x0
	v_cmp_ne_u16_e32 vcc_lo, 0, v3
	v_cndmask_b32_e64 v3, 0, 1, vcc_lo
.LBB54_4542:
	s_mov_b32 s0, 0
.LBB54_4543:
	s_delay_alu instid0(SALU_CYCLE_1)
	s_and_b32 vcc_lo, exec_lo, s0
	s_cbranch_vccz .LBB54_4592
; %bb.4544:
	s_and_b32 s0, 0xffff, s56
	s_delay_alu instid0(SALU_CYCLE_1)
	s_cmp_lt_i32 s0, 5
	s_cbranch_scc1 .LBB54_4549
; %bb.4545:
	s_cmp_lt_i32 s0, 8
	s_cbranch_scc1 .LBB54_4550
; %bb.4546:
	;; [unrolled: 3-line block ×3, first 2 shown]
	s_cmp_gt_i32 s0, 9
	s_cbranch_scc0 .LBB54_4552
; %bb.4548:
	global_load_b64 v[12:13], v[10:11], off
	s_mov_b32 s1, 0
	s_wait_loadcnt 0x0
	v_cvt_i32_f64_e32 v3, v[12:13]
	s_branch .LBB54_4553
.LBB54_4549:
	s_mov_b32 s1, -1
                                        ; implicit-def: $vgpr3
	s_branch .LBB54_4571
.LBB54_4550:
	s_mov_b32 s1, -1
                                        ; implicit-def: $vgpr3
	s_branch .LBB54_4559
.LBB54_4551:
	s_mov_b32 s1, -1
                                        ; implicit-def: $vgpr3
	s_branch .LBB54_4556
.LBB54_4552:
	s_mov_b32 s1, -1
                                        ; implicit-def: $vgpr3
.LBB54_4553:
	s_delay_alu instid0(SALU_CYCLE_1)
	s_and_not1_b32 vcc_lo, exec_lo, s1
	s_cbranch_vccnz .LBB54_4555
; %bb.4554:
	s_wait_loadcnt 0x0
	global_load_b32 v3, v[10:11], off
	s_wait_loadcnt 0x0
	v_cvt_i32_f32_e32 v3, v3
.LBB54_4555:
	s_mov_b32 s1, 0
.LBB54_4556:
	s_delay_alu instid0(SALU_CYCLE_1)
	s_and_not1_b32 vcc_lo, exec_lo, s1
	s_cbranch_vccnz .LBB54_4558
; %bb.4557:
	s_wait_loadcnt 0x0
	global_load_b32 v3, v[10:11], off
	s_wait_loadcnt 0x0
	v_cvt_f32_f16_e32 v3, v3
	s_delay_alu instid0(VALU_DEP_1)
	v_cvt_i32_f32_e32 v3, v3
.LBB54_4558:
	s_mov_b32 s1, 0
.LBB54_4559:
	s_delay_alu instid0(SALU_CYCLE_1)
	s_and_not1_b32 vcc_lo, exec_lo, s1
	s_cbranch_vccnz .LBB54_4570
; %bb.4560:
	s_cmp_lt_i32 s0, 6
	s_cbranch_scc1 .LBB54_4563
; %bb.4561:
	s_cmp_gt_i32 s0, 6
	s_cbranch_scc0 .LBB54_4564
; %bb.4562:
	global_load_b64 v[12:13], v[10:11], off
	s_mov_b32 s1, 0
	s_wait_loadcnt 0x0
	v_cvt_i32_f64_e32 v3, v[12:13]
	s_branch .LBB54_4565
.LBB54_4563:
	s_mov_b32 s1, -1
                                        ; implicit-def: $vgpr3
	s_branch .LBB54_4568
.LBB54_4564:
	s_mov_b32 s1, -1
                                        ; implicit-def: $vgpr3
.LBB54_4565:
	s_delay_alu instid0(SALU_CYCLE_1)
	s_and_not1_b32 vcc_lo, exec_lo, s1
	s_cbranch_vccnz .LBB54_4567
; %bb.4566:
	s_wait_loadcnt 0x0
	global_load_b32 v3, v[10:11], off
	s_wait_loadcnt 0x0
	v_cvt_i32_f32_e32 v3, v3
.LBB54_4567:
	s_mov_b32 s1, 0
.LBB54_4568:
	s_delay_alu instid0(SALU_CYCLE_1)
	s_and_not1_b32 vcc_lo, exec_lo, s1
	s_cbranch_vccnz .LBB54_4570
; %bb.4569:
	s_wait_loadcnt 0x0
	global_load_u16 v3, v[10:11], off
	s_wait_loadcnt 0x0
	v_cvt_f32_f16_e32 v3, v3
	s_delay_alu instid0(VALU_DEP_1)
	v_cvt_i32_f32_e32 v3, v3
.LBB54_4570:
	s_mov_b32 s1, 0
.LBB54_4571:
	s_delay_alu instid0(SALU_CYCLE_1)
	s_and_not1_b32 vcc_lo, exec_lo, s1
	s_cbranch_vccnz .LBB54_4591
; %bb.4572:
	s_cmp_lt_i32 s0, 2
	s_cbranch_scc1 .LBB54_4576
; %bb.4573:
	s_cmp_lt_i32 s0, 3
	s_cbranch_scc1 .LBB54_4577
; %bb.4574:
	s_cmp_gt_i32 s0, 3
	s_cbranch_scc0 .LBB54_4578
; %bb.4575:
	s_wait_loadcnt 0x0
	global_load_b32 v3, v[10:11], off
	s_mov_b32 s1, 0
	s_branch .LBB54_4579
.LBB54_4576:
	s_mov_b32 s1, -1
                                        ; implicit-def: $vgpr3
	s_branch .LBB54_4585
.LBB54_4577:
	s_mov_b32 s1, -1
                                        ; implicit-def: $vgpr3
	s_branch .LBB54_4582
.LBB54_4578:
	s_mov_b32 s1, -1
                                        ; implicit-def: $vgpr3
.LBB54_4579:
	s_delay_alu instid0(SALU_CYCLE_1)
	s_and_not1_b32 vcc_lo, exec_lo, s1
	s_cbranch_vccnz .LBB54_4581
; %bb.4580:
	s_wait_loadcnt 0x0
	global_load_b32 v3, v[10:11], off
.LBB54_4581:
	s_mov_b32 s1, 0
.LBB54_4582:
	s_delay_alu instid0(SALU_CYCLE_1)
	s_and_not1_b32 vcc_lo, exec_lo, s1
	s_cbranch_vccnz .LBB54_4584
; %bb.4583:
	s_wait_loadcnt 0x0
	global_load_i16 v3, v[10:11], off
.LBB54_4584:
	s_mov_b32 s1, 0
.LBB54_4585:
	s_delay_alu instid0(SALU_CYCLE_1)
	s_and_not1_b32 vcc_lo, exec_lo, s1
	s_cbranch_vccnz .LBB54_4591
; %bb.4586:
	s_cmp_gt_i32 s0, 0
	s_mov_b32 s0, 0
	s_cbranch_scc0 .LBB54_4588
; %bb.4587:
	s_wait_loadcnt 0x0
	global_load_i8 v3, v[10:11], off
	s_branch .LBB54_4589
.LBB54_4588:
	s_mov_b32 s0, -1
                                        ; implicit-def: $vgpr3
.LBB54_4589:
	s_delay_alu instid0(SALU_CYCLE_1)
	s_and_not1_b32 vcc_lo, exec_lo, s0
	s_cbranch_vccnz .LBB54_4591
; %bb.4590:
	s_wait_loadcnt 0x0
	global_load_u8 v3, v[10:11], off
.LBB54_4591:
	s_mov_b32 s19, -1
.LBB54_4592:
	s_delay_alu instid0(SALU_CYCLE_1)
	s_and_not1_b32 vcc_lo, exec_lo, s19
	s_cbranch_vccnz .LBB54_4984
; %bb.4593:
	v_add_nc_u32_e32 v4, s69, v4
	s_cmp_lt_i32 s57, 11
	s_delay_alu instid0(VALU_DEP_1) | instskip(NEXT) | instid1(VALU_DEP_1)
	v_ashrrev_i32_e32 v5, 31, v4
	v_add_nc_u64_e32 v[12:13], s[10:11], v[4:5]
	s_cbranch_scc1 .LBB54_4600
; %bb.4594:
	s_and_b32 s0, 0xffff, s57
	s_mov_b32 s18, 0
	s_cmp_gt_i32 s0, 25
	s_cbranch_scc0 .LBB54_4601
; %bb.4595:
	s_cmp_gt_i32 s0, 28
	s_cbranch_scc0 .LBB54_4602
; %bb.4596:
	s_cmp_gt_i32 s0, 43
	s_cbranch_scc0 .LBB54_4603
; %bb.4597:
	s_cmp_gt_i32 s0, 45
	s_cbranch_scc0 .LBB54_4605
; %bb.4598:
	s_cmp_eq_u32 s0, 46
	s_mov_b32 s35, 0
	s_cbranch_scc0 .LBB54_4607
; %bb.4599:
	global_load_b32 v5, v[12:13], off
	s_mov_b32 s1, 0
	s_mov_b32 s19, -1
	s_wait_loadcnt 0x0
	v_lshlrev_b32_e32 v5, 16, v5
	s_wait_xcnt 0x1
	s_delay_alu instid0(VALU_DEP_1)
	v_cvt_i32_f32_e32 v10, v5
	s_branch .LBB54_4609
.LBB54_4600:
	s_mov_b32 s0, -1
	s_mov_b32 s19, 0
                                        ; implicit-def: $vgpr10
	s_branch .LBB54_4671
.LBB54_4601:
	s_mov_b32 s35, -1
	s_mov_b32 s19, 0
	s_mov_b32 s1, 0
                                        ; implicit-def: $vgpr10
	s_branch .LBB54_4636
.LBB54_4602:
	s_mov_b32 s35, -1
	s_mov_b32 s19, 0
	s_mov_b32 s1, 0
                                        ; implicit-def: $vgpr10
	s_branch .LBB54_4619
.LBB54_4603:
	s_mov_b32 s35, -1
	s_mov_b32 s19, 0
	s_mov_b32 s1, 0
                                        ; implicit-def: $vgpr10
	s_branch .LBB54_4614
.LBB54_4604:
	s_or_b32 s66, s66, exec_lo
	s_trap 2
	s_cbranch_execz .LBB54_4541
	s_branch .LBB54_4542
.LBB54_4605:
	s_mov_b32 s35, -1
	s_mov_b32 s19, 0
	s_mov_b32 s1, 0
	s_branch .LBB54_4608
.LBB54_4606:
	s_or_b32 s60, s17, exec_lo
	s_trap 2
                                        ; implicit-def: $vgpr0
                                        ; implicit-def: $vgpr2
                                        ; implicit-def: $vgpr4
                                        ; implicit-def: $vgpr10
                                        ; implicit-def: $vgpr6
                                        ; implicit-def: $vgpr12
                                        ; implicit-def: $vgpr8
                                        ; implicit-def: $vgpr16
                                        ; implicit-def: $vgpr23
                                        ; implicit-def: $vgpr22
	s_or_saveexec_b32 s61, s0
                                        ; implicit-def: $sgpr0
                                        ; implicit-def: $vgpr14_vgpr15
	s_delay_alu instid0(SALU_CYCLE_1)
	s_xor_b32 exec_lo, exec_lo, s61
	s_cbranch_execz .LBB54_4988
	s_branch .LBB54_4314
.LBB54_4607:
	s_mov_b32 s1, -1
	s_mov_b32 s19, 0
.LBB54_4608:
                                        ; implicit-def: $vgpr10
.LBB54_4609:
	s_and_b32 vcc_lo, exec_lo, s35
	s_cbranch_vccz .LBB54_4613
; %bb.4610:
	s_cmp_eq_u32 s0, 44
	s_cbranch_scc0 .LBB54_4612
; %bb.4611:
	global_load_u8 v5, v[12:13], off
	s_mov_b32 s1, 0
	s_mov_b32 s19, -1
	s_wait_loadcnt 0x0
	v_lshlrev_b32_e32 v7, 23, v5
	v_cmp_ne_u32_e32 vcc_lo, 0, v5
	s_delay_alu instid0(VALU_DEP_2) | instskip(SKIP_1) | instid1(VALU_DEP_1)
	v_cvt_i32_f32_e32 v7, v7
	s_wait_xcnt 0x1
	v_cndmask_b32_e32 v10, 0, v7, vcc_lo
	s_branch .LBB54_4613
.LBB54_4612:
	s_mov_b32 s1, -1
                                        ; implicit-def: $vgpr10
.LBB54_4613:
	s_mov_b32 s35, 0
.LBB54_4614:
	s_delay_alu instid0(SALU_CYCLE_1)
	s_and_b32 vcc_lo, exec_lo, s35
	s_cbranch_vccz .LBB54_4618
; %bb.4615:
	s_cmp_eq_u32 s0, 29
	s_cbranch_scc0 .LBB54_4617
; %bb.4616:
	global_load_b32 v10, v[12:13], off
	s_mov_b32 s1, 0
	s_mov_b32 s19, -1
	s_branch .LBB54_4618
.LBB54_4617:
	s_mov_b32 s1, -1
                                        ; implicit-def: $vgpr10
.LBB54_4618:
	s_mov_b32 s35, 0
.LBB54_4619:
	s_delay_alu instid0(SALU_CYCLE_1)
	s_and_b32 vcc_lo, exec_lo, s35
	s_cbranch_vccz .LBB54_4635
; %bb.4620:
	s_cmp_lt_i32 s0, 27
	s_cbranch_scc1 .LBB54_4623
; %bb.4621:
	s_cmp_gt_i32 s0, 27
	s_cbranch_scc0 .LBB54_4624
; %bb.4622:
	s_wait_loadcnt 0x0
	global_load_b32 v10, v[12:13], off
	s_mov_b32 s19, 0
	s_branch .LBB54_4625
.LBB54_4623:
	s_mov_b32 s19, -1
                                        ; implicit-def: $vgpr10
	s_branch .LBB54_4628
.LBB54_4624:
	s_mov_b32 s19, -1
                                        ; implicit-def: $vgpr10
.LBB54_4625:
	s_delay_alu instid0(SALU_CYCLE_1)
	s_and_not1_b32 vcc_lo, exec_lo, s19
	s_cbranch_vccnz .LBB54_4627
; %bb.4626:
	s_wait_loadcnt 0x0
	global_load_u16 v10, v[12:13], off
.LBB54_4627:
	s_mov_b32 s19, 0
.LBB54_4628:
	s_delay_alu instid0(SALU_CYCLE_1)
	s_and_not1_b32 vcc_lo, exec_lo, s19
	s_cbranch_vccnz .LBB54_4634
; %bb.4629:
	global_load_u8 v5, v[12:13], off
	s_mov_b32 s35, 0
	s_mov_b32 s19, exec_lo
	s_wait_loadcnt 0x0
	v_cmpx_lt_i16_e32 0x7f, v5
	s_xor_b32 s19, exec_lo, s19
	s_cbranch_execz .LBB54_4646
; %bb.4630:
	v_cmp_ne_u16_e32 vcc_lo, 0x80, v5
	s_and_b32 s35, vcc_lo, exec_lo
	s_and_not1_saveexec_b32 s19, s19
	s_cbranch_execnz .LBB54_4647
.LBB54_4631:
	s_or_b32 exec_lo, exec_lo, s19
	v_mov_b32_e32 v10, 0
	s_and_saveexec_b32 s19, s35
	s_cbranch_execz .LBB54_4633
.LBB54_4632:
	v_and_b32_e32 v7, 0xffff, v5
	s_delay_alu instid0(VALU_DEP_1) | instskip(SKIP_1) | instid1(VALU_DEP_2)
	v_and_b32_e32 v9, 7, v7
	v_bfe_u32 v14, v7, 3, 4
	v_clz_i32_u32_e32 v10, v9
	s_delay_alu instid0(VALU_DEP_2) | instskip(NEXT) | instid1(VALU_DEP_2)
	v_cmp_eq_u32_e32 vcc_lo, 0, v14
	v_min_u32_e32 v10, 32, v10
	s_delay_alu instid0(VALU_DEP_1) | instskip(NEXT) | instid1(VALU_DEP_1)
	v_subrev_nc_u32_e32 v11, 28, v10
	v_dual_lshlrev_b32 v7, v11, v7 :: v_dual_sub_nc_u32 v10, 29, v10
	s_delay_alu instid0(VALU_DEP_1) | instskip(NEXT) | instid1(VALU_DEP_1)
	v_dual_lshlrev_b32 v5, 24, v5 :: v_dual_bitop2_b32 v7, 7, v7 bitop3:0x40
	v_dual_cndmask_b32 v10, v14, v10 :: v_dual_cndmask_b32 v7, v9, v7
	s_delay_alu instid0(VALU_DEP_2) | instskip(NEXT) | instid1(VALU_DEP_2)
	v_and_b32_e32 v5, 0x80000000, v5
	v_lshl_add_u32 v9, v10, 23, 0x3b800000
	s_delay_alu instid0(VALU_DEP_3) | instskip(NEXT) | instid1(VALU_DEP_1)
	v_lshlrev_b32_e32 v7, 20, v7
	v_or3_b32 v5, v5, v9, v7
	s_delay_alu instid0(VALU_DEP_1)
	v_cvt_i32_f32_e32 v10, v5
.LBB54_4633:
	s_or_b32 exec_lo, exec_lo, s19
.LBB54_4634:
	s_mov_b32 s19, -1
.LBB54_4635:
	s_mov_b32 s35, 0
.LBB54_4636:
	s_delay_alu instid0(SALU_CYCLE_1)
	s_and_b32 vcc_lo, exec_lo, s35
	s_cbranch_vccz .LBB54_4667
; %bb.4637:
	s_cmp_gt_i32 s0, 22
	s_cbranch_scc0 .LBB54_4645
; %bb.4638:
	s_cmp_lt_i32 s0, 24
	s_cbranch_scc1 .LBB54_4648
; %bb.4639:
	s_cmp_gt_i32 s0, 24
	s_cbranch_scc0 .LBB54_4649
; %bb.4640:
	global_load_u8 v5, v[12:13], off
	s_mov_b32 s19, 0
	s_mov_b32 s18, exec_lo
	s_wait_loadcnt 0x0
	v_cmpx_lt_i16_e32 0x7f, v5
	s_xor_b32 s18, exec_lo, s18
	s_cbranch_execz .LBB54_4661
; %bb.4641:
	v_cmp_ne_u16_e32 vcc_lo, 0x80, v5
	s_and_b32 s19, vcc_lo, exec_lo
	s_and_not1_saveexec_b32 s18, s18
	s_cbranch_execnz .LBB54_4662
.LBB54_4642:
	s_or_b32 exec_lo, exec_lo, s18
	v_mov_b32_e32 v10, 0
	s_and_saveexec_b32 s18, s19
	s_cbranch_execz .LBB54_4644
.LBB54_4643:
	v_and_b32_e32 v7, 0xffff, v5
	s_delay_alu instid0(VALU_DEP_1) | instskip(SKIP_1) | instid1(VALU_DEP_2)
	v_and_b32_e32 v9, 3, v7
	v_bfe_u32 v14, v7, 2, 5
	v_clz_i32_u32_e32 v10, v9
	s_delay_alu instid0(VALU_DEP_2) | instskip(NEXT) | instid1(VALU_DEP_2)
	v_cmp_eq_u32_e32 vcc_lo, 0, v14
	v_min_u32_e32 v10, 32, v10
	s_delay_alu instid0(VALU_DEP_1) | instskip(NEXT) | instid1(VALU_DEP_1)
	v_subrev_nc_u32_e32 v11, 29, v10
	v_dual_lshlrev_b32 v7, v11, v7 :: v_dual_sub_nc_u32 v10, 30, v10
	s_delay_alu instid0(VALU_DEP_1) | instskip(NEXT) | instid1(VALU_DEP_1)
	v_dual_lshlrev_b32 v5, 24, v5 :: v_dual_bitop2_b32 v7, 3, v7 bitop3:0x40
	v_dual_cndmask_b32 v10, v14, v10 :: v_dual_cndmask_b32 v7, v9, v7
	s_delay_alu instid0(VALU_DEP_2) | instskip(NEXT) | instid1(VALU_DEP_2)
	v_and_b32_e32 v5, 0x80000000, v5
	v_lshl_add_u32 v9, v10, 23, 0x37800000
	s_delay_alu instid0(VALU_DEP_3) | instskip(NEXT) | instid1(VALU_DEP_1)
	v_lshlrev_b32_e32 v7, 21, v7
	v_or3_b32 v5, v5, v9, v7
	s_delay_alu instid0(VALU_DEP_1)
	v_cvt_i32_f32_e32 v10, v5
.LBB54_4644:
	s_or_b32 exec_lo, exec_lo, s18
	s_mov_b32 s18, 0
	s_branch .LBB54_4650
.LBB54_4645:
	s_mov_b32 s18, -1
                                        ; implicit-def: $vgpr10
	s_branch .LBB54_4656
.LBB54_4646:
	s_and_not1_saveexec_b32 s19, s19
	s_cbranch_execz .LBB54_4631
.LBB54_4647:
	v_cmp_ne_u16_e32 vcc_lo, 0, v5
	s_and_not1_b32 s35, s35, exec_lo
	s_and_b32 s36, vcc_lo, exec_lo
	s_delay_alu instid0(SALU_CYCLE_1)
	s_or_b32 s35, s35, s36
	s_or_b32 exec_lo, exec_lo, s19
	v_mov_b32_e32 v10, 0
	s_and_saveexec_b32 s19, s35
	s_cbranch_execnz .LBB54_4632
	s_branch .LBB54_4633
.LBB54_4648:
	s_mov_b32 s18, -1
                                        ; implicit-def: $vgpr10
	s_branch .LBB54_4653
.LBB54_4649:
	s_mov_b32 s18, -1
                                        ; implicit-def: $vgpr10
.LBB54_4650:
	s_delay_alu instid0(SALU_CYCLE_1)
	s_and_b32 vcc_lo, exec_lo, s18
	s_cbranch_vccz .LBB54_4652
; %bb.4651:
	global_load_u8 v5, v[12:13], off
	s_wait_loadcnt 0x0
	v_lshlrev_b32_e32 v5, 24, v5
	s_delay_alu instid0(VALU_DEP_1) | instskip(NEXT) | instid1(VALU_DEP_1)
	v_and_b32_e32 v7, 0x7f000000, v5
	v_clz_i32_u32_e32 v9, v7
	s_wait_xcnt 0x1
	v_add_nc_u32_e32 v11, 0x1000000, v7
	v_cmp_ne_u32_e32 vcc_lo, 0, v7
	s_delay_alu instid0(VALU_DEP_3) | instskip(NEXT) | instid1(VALU_DEP_1)
	v_min_u32_e32 v9, 32, v9
	v_sub_nc_u32_e64 v9, v9, 4 clamp
	s_delay_alu instid0(VALU_DEP_1) | instskip(NEXT) | instid1(VALU_DEP_1)
	v_dual_lshlrev_b32 v10, v9, v7 :: v_dual_lshlrev_b32 v9, 23, v9
	v_lshrrev_b32_e32 v10, 4, v10
	s_delay_alu instid0(VALU_DEP_1) | instskip(NEXT) | instid1(VALU_DEP_1)
	v_dual_sub_nc_u32 v9, v10, v9 :: v_dual_ashrrev_i32 v10, 8, v11
	v_add_nc_u32_e32 v9, 0x3c000000, v9
	s_delay_alu instid0(VALU_DEP_1) | instskip(NEXT) | instid1(VALU_DEP_1)
	v_and_or_b32 v9, 0x7f800000, v10, v9
	v_cndmask_b32_e32 v7, 0, v9, vcc_lo
	s_delay_alu instid0(VALU_DEP_1) | instskip(NEXT) | instid1(VALU_DEP_1)
	v_and_or_b32 v5, 0x80000000, v5, v7
	v_cvt_i32_f32_e32 v10, v5
.LBB54_4652:
	s_mov_b32 s18, 0
.LBB54_4653:
	s_delay_alu instid0(SALU_CYCLE_1)
	s_and_not1_b32 vcc_lo, exec_lo, s18
	s_cbranch_vccnz .LBB54_4655
; %bb.4654:
	global_load_u8 v5, v[12:13], off
	s_wait_loadcnt 0x0
	v_lshlrev_b32_e32 v7, 25, v5
	v_lshlrev_b16 v5, 8, v5
	s_wait_xcnt 0x1
	s_delay_alu instid0(VALU_DEP_1) | instskip(SKIP_1) | instid1(VALU_DEP_2)
	v_and_or_b32 v10, 0x7f00, v5, 0.5
	v_bfe_i32 v5, v5, 0, 16
	v_dual_add_f32 v10, -0.5, v10 :: v_dual_lshrrev_b32 v9, 4, v7
	v_cmp_gt_u32_e32 vcc_lo, 0x8000000, v7
	s_delay_alu instid0(VALU_DEP_2) | instskip(NEXT) | instid1(VALU_DEP_1)
	v_or_b32_e32 v9, 0x70000000, v9
	v_mul_f32_e32 v9, 0x7800000, v9
	s_delay_alu instid0(VALU_DEP_1) | instskip(NEXT) | instid1(VALU_DEP_1)
	v_cndmask_b32_e32 v7, v9, v10, vcc_lo
	v_and_or_b32 v5, 0x80000000, v5, v7
	s_delay_alu instid0(VALU_DEP_1)
	v_cvt_i32_f32_e32 v10, v5
.LBB54_4655:
	s_mov_b32 s18, 0
	s_mov_b32 s19, -1
.LBB54_4656:
	s_and_not1_b32 vcc_lo, exec_lo, s18
	s_mov_b32 s18, 0
	s_cbranch_vccnz .LBB54_4667
; %bb.4657:
	s_cmp_gt_i32 s0, 14
	s_cbranch_scc0 .LBB54_4660
; %bb.4658:
	s_cmp_eq_u32 s0, 15
	s_cbranch_scc0 .LBB54_4663
; %bb.4659:
	global_load_u16 v5, v[12:13], off
	s_mov_b32 s1, 0
	s_mov_b32 s19, -1
	s_wait_loadcnt 0x0
	v_lshlrev_b32_e32 v5, 16, v5
	s_wait_xcnt 0x1
	s_delay_alu instid0(VALU_DEP_1)
	v_cvt_i32_f32_e32 v10, v5
	s_branch .LBB54_4665
.LBB54_4660:
	s_mov_b32 s18, -1
	s_branch .LBB54_4664
.LBB54_4661:
	s_and_not1_saveexec_b32 s18, s18
	s_cbranch_execz .LBB54_4642
.LBB54_4662:
	v_cmp_ne_u16_e32 vcc_lo, 0, v5
	s_and_not1_b32 s19, s19, exec_lo
	s_and_b32 s35, vcc_lo, exec_lo
	s_delay_alu instid0(SALU_CYCLE_1)
	s_or_b32 s19, s19, s35
	s_or_b32 exec_lo, exec_lo, s18
	v_mov_b32_e32 v10, 0
	s_and_saveexec_b32 s18, s19
	s_cbranch_execnz .LBB54_4643
	s_branch .LBB54_4644
.LBB54_4663:
	s_mov_b32 s1, -1
.LBB54_4664:
                                        ; implicit-def: $vgpr10
.LBB54_4665:
	s_and_b32 vcc_lo, exec_lo, s18
	s_mov_b32 s18, 0
	s_cbranch_vccz .LBB54_4667
; %bb.4666:
	s_cmp_lg_u32 s0, 11
	s_mov_b32 s18, -1
	s_cselect_b32 s1, -1, 0
.LBB54_4667:
	s_delay_alu instid0(SALU_CYCLE_1)
	s_and_b32 vcc_lo, exec_lo, s1
	s_cbranch_vccnz .LBB54_4732
; %bb.4668:
	s_and_not1_b32 vcc_lo, exec_lo, s18
	s_cbranch_vccnz .LBB54_4670
.LBB54_4669:
	global_load_u8 v5, v[12:13], off
	s_mov_b32 s19, -1
	s_wait_loadcnt 0x0
	v_cmp_ne_u16_e32 vcc_lo, 0, v5
	s_wait_xcnt 0x1
	v_cndmask_b32_e64 v10, 0, 1, vcc_lo
.LBB54_4670:
	s_mov_b32 s0, 0
.LBB54_4671:
	s_delay_alu instid0(SALU_CYCLE_1)
	s_and_b32 vcc_lo, exec_lo, s0
	s_cbranch_vccz .LBB54_4720
; %bb.4672:
	s_and_b32 s0, 0xffff, s57
	s_delay_alu instid0(SALU_CYCLE_1)
	s_cmp_lt_i32 s0, 5
	s_cbranch_scc1 .LBB54_4677
; %bb.4673:
	s_cmp_lt_i32 s0, 8
	s_cbranch_scc1 .LBB54_4678
; %bb.4674:
	;; [unrolled: 3-line block ×3, first 2 shown]
	s_cmp_gt_i32 s0, 9
	s_cbranch_scc0 .LBB54_4680
; %bb.4676:
	s_wait_loadcnt 0x0
	global_load_b64 v[10:11], v[12:13], off
	s_mov_b32 s1, 0
	s_wait_loadcnt 0x0
	v_cvt_i32_f64_e32 v10, v[10:11]
	s_branch .LBB54_4681
.LBB54_4677:
	s_mov_b32 s1, -1
                                        ; implicit-def: $vgpr10
	s_branch .LBB54_4699
.LBB54_4678:
	s_mov_b32 s1, -1
                                        ; implicit-def: $vgpr10
	s_branch .LBB54_4687
.LBB54_4679:
	s_mov_b32 s1, -1
                                        ; implicit-def: $vgpr10
	s_branch .LBB54_4684
.LBB54_4680:
	s_mov_b32 s1, -1
                                        ; implicit-def: $vgpr10
.LBB54_4681:
	s_delay_alu instid0(SALU_CYCLE_1)
	s_and_not1_b32 vcc_lo, exec_lo, s1
	s_cbranch_vccnz .LBB54_4683
; %bb.4682:
	global_load_b32 v5, v[12:13], off
	s_wait_loadcnt 0x0
	s_wait_xcnt 0x1
	v_cvt_i32_f32_e32 v10, v5
.LBB54_4683:
	s_mov_b32 s1, 0
.LBB54_4684:
	s_delay_alu instid0(SALU_CYCLE_1)
	s_and_not1_b32 vcc_lo, exec_lo, s1
	s_cbranch_vccnz .LBB54_4686
; %bb.4685:
	global_load_b32 v5, v[12:13], off
	s_wait_loadcnt 0x0
	v_cvt_f32_f16_e32 v5, v5
	s_wait_xcnt 0x1
	s_delay_alu instid0(VALU_DEP_1)
	v_cvt_i32_f32_e32 v10, v5
.LBB54_4686:
	s_mov_b32 s1, 0
.LBB54_4687:
	s_delay_alu instid0(SALU_CYCLE_1)
	s_and_not1_b32 vcc_lo, exec_lo, s1
	s_cbranch_vccnz .LBB54_4698
; %bb.4688:
	s_cmp_lt_i32 s0, 6
	s_cbranch_scc1 .LBB54_4691
; %bb.4689:
	s_cmp_gt_i32 s0, 6
	s_cbranch_scc0 .LBB54_4692
; %bb.4690:
	s_wait_loadcnt 0x0
	global_load_b64 v[10:11], v[12:13], off
	s_mov_b32 s1, 0
	s_wait_loadcnt 0x0
	v_cvt_i32_f64_e32 v10, v[10:11]
	s_branch .LBB54_4693
.LBB54_4691:
	s_mov_b32 s1, -1
                                        ; implicit-def: $vgpr10
	s_branch .LBB54_4696
.LBB54_4692:
	s_mov_b32 s1, -1
                                        ; implicit-def: $vgpr10
.LBB54_4693:
	s_delay_alu instid0(SALU_CYCLE_1)
	s_and_not1_b32 vcc_lo, exec_lo, s1
	s_cbranch_vccnz .LBB54_4695
; %bb.4694:
	global_load_b32 v5, v[12:13], off
	s_wait_loadcnt 0x0
	s_wait_xcnt 0x1
	v_cvt_i32_f32_e32 v10, v5
.LBB54_4695:
	s_mov_b32 s1, 0
.LBB54_4696:
	s_delay_alu instid0(SALU_CYCLE_1)
	s_and_not1_b32 vcc_lo, exec_lo, s1
	s_cbranch_vccnz .LBB54_4698
; %bb.4697:
	global_load_u16 v5, v[12:13], off
	s_wait_loadcnt 0x0
	v_cvt_f32_f16_e32 v5, v5
	s_wait_xcnt 0x1
	s_delay_alu instid0(VALU_DEP_1)
	v_cvt_i32_f32_e32 v10, v5
.LBB54_4698:
	s_mov_b32 s1, 0
.LBB54_4699:
	s_delay_alu instid0(SALU_CYCLE_1)
	s_and_not1_b32 vcc_lo, exec_lo, s1
	s_cbranch_vccnz .LBB54_4719
; %bb.4700:
	s_cmp_lt_i32 s0, 2
	s_cbranch_scc1 .LBB54_4704
; %bb.4701:
	s_cmp_lt_i32 s0, 3
	s_cbranch_scc1 .LBB54_4705
; %bb.4702:
	s_cmp_gt_i32 s0, 3
	s_cbranch_scc0 .LBB54_4706
; %bb.4703:
	s_wait_loadcnt 0x0
	global_load_b32 v10, v[12:13], off
	s_mov_b32 s1, 0
	s_branch .LBB54_4707
.LBB54_4704:
	s_mov_b32 s1, -1
                                        ; implicit-def: $vgpr10
	s_branch .LBB54_4713
.LBB54_4705:
	s_mov_b32 s1, -1
                                        ; implicit-def: $vgpr10
	s_branch .LBB54_4710
.LBB54_4706:
	s_mov_b32 s1, -1
                                        ; implicit-def: $vgpr10
.LBB54_4707:
	s_delay_alu instid0(SALU_CYCLE_1)
	s_and_not1_b32 vcc_lo, exec_lo, s1
	s_cbranch_vccnz .LBB54_4709
; %bb.4708:
	s_wait_loadcnt 0x0
	global_load_b32 v10, v[12:13], off
.LBB54_4709:
	s_mov_b32 s1, 0
.LBB54_4710:
	s_delay_alu instid0(SALU_CYCLE_1)
	s_and_not1_b32 vcc_lo, exec_lo, s1
	s_cbranch_vccnz .LBB54_4712
; %bb.4711:
	s_wait_loadcnt 0x0
	global_load_i16 v10, v[12:13], off
.LBB54_4712:
	s_mov_b32 s1, 0
.LBB54_4713:
	s_delay_alu instid0(SALU_CYCLE_1)
	s_and_not1_b32 vcc_lo, exec_lo, s1
	s_cbranch_vccnz .LBB54_4719
; %bb.4714:
	s_cmp_gt_i32 s0, 0
	s_mov_b32 s0, 0
	s_cbranch_scc0 .LBB54_4716
; %bb.4715:
	s_wait_loadcnt 0x0
	global_load_i8 v10, v[12:13], off
	s_branch .LBB54_4717
.LBB54_4716:
	s_mov_b32 s0, -1
                                        ; implicit-def: $vgpr10
.LBB54_4717:
	s_delay_alu instid0(SALU_CYCLE_1)
	s_and_not1_b32 vcc_lo, exec_lo, s0
	s_cbranch_vccnz .LBB54_4719
; %bb.4718:
	s_wait_loadcnt 0x0
	global_load_u8 v10, v[12:13], off
.LBB54_4719:
	s_mov_b32 s19, -1
.LBB54_4720:
	s_delay_alu instid0(SALU_CYCLE_1)
	s_and_not1_b32 vcc_lo, exec_lo, s19
	s_cbranch_vccnz .LBB54_4984
; %bb.4721:
	v_add_nc_u32_e32 v6, s70, v6
	s_cmp_lt_i32 s58, 11
	s_delay_alu instid0(VALU_DEP_1) | instskip(NEXT) | instid1(VALU_DEP_1)
	v_ashrrev_i32_e32 v7, 31, v6
	v_add_nc_u64_e32 v[14:15], s[12:13], v[6:7]
	s_cbranch_scc1 .LBB54_4728
; %bb.4722:
	s_and_b32 s0, 0xffff, s58
	s_mov_b32 s18, 0
	s_cmp_gt_i32 s0, 25
	s_cbranch_scc0 .LBB54_4729
; %bb.4723:
	s_cmp_gt_i32 s0, 28
	s_cbranch_scc0 .LBB54_4730
; %bb.4724:
	;; [unrolled: 3-line block ×4, first 2 shown]
	s_cmp_eq_u32 s0, 46
	s_mov_b32 s35, 0
	s_cbranch_scc0 .LBB54_4735
; %bb.4727:
	global_load_b32 v5, v[14:15], off
	s_mov_b32 s1, 0
	s_mov_b32 s19, -1
	s_wait_loadcnt 0x0
	v_lshlrev_b32_e32 v5, 16, v5
	s_wait_xcnt 0x1
	s_delay_alu instid0(VALU_DEP_1)
	v_cvt_i32_f32_e32 v12, v5
	s_branch .LBB54_4737
.LBB54_4728:
	s_mov_b32 s0, -1
	s_mov_b32 s19, 0
                                        ; implicit-def: $vgpr12
	s_branch .LBB54_4799
.LBB54_4729:
	s_mov_b32 s35, -1
	s_mov_b32 s19, 0
	s_mov_b32 s1, 0
                                        ; implicit-def: $vgpr12
	s_branch .LBB54_4764
.LBB54_4730:
	s_mov_b32 s35, -1
	s_mov_b32 s19, 0
	s_mov_b32 s1, 0
                                        ; implicit-def: $vgpr12
	s_branch .LBB54_4747
.LBB54_4731:
	s_mov_b32 s35, -1
	s_mov_b32 s19, 0
	s_mov_b32 s1, 0
                                        ; implicit-def: $vgpr12
	s_branch .LBB54_4742
.LBB54_4732:
	s_or_b32 s66, s66, exec_lo
	s_trap 2
	s_cbranch_execz .LBB54_4669
	s_branch .LBB54_4670
.LBB54_4733:
	s_mov_b32 s35, -1
	s_mov_b32 s19, 0
	s_mov_b32 s1, 0
	s_branch .LBB54_4736
.LBB54_4734:
	s_or_b32 s62, s60, exec_lo
	s_trap 2
                                        ; implicit-def: $vgpr0
                                        ; implicit-def: $vgpr2
                                        ; implicit-def: $vgpr4
                                        ; implicit-def: $vgpr10
                                        ; implicit-def: $vgpr6
                                        ; implicit-def: $vgpr12
                                        ; implicit-def: $vgpr8
                                        ; implicit-def: $vgpr16
                                        ; implicit-def: $vgpr23
                                        ; implicit-def: $vgpr22
	s_or_saveexec_b32 s63, s0
	s_mov_b32 s1, 0
                                        ; implicit-def: $sgpr0
                                        ; implicit-def: $vgpr14_vgpr15
	s_xor_b32 exec_lo, exec_lo, s63
	s_cbranch_execz .LBB54_4987
	s_branch .LBB54_4316
.LBB54_4735:
	s_mov_b32 s1, -1
	s_mov_b32 s19, 0
.LBB54_4736:
                                        ; implicit-def: $vgpr12
.LBB54_4737:
	s_and_b32 vcc_lo, exec_lo, s35
	s_cbranch_vccz .LBB54_4741
; %bb.4738:
	s_cmp_eq_u32 s0, 44
	s_cbranch_scc0 .LBB54_4740
; %bb.4739:
	global_load_u8 v5, v[14:15], off
	s_mov_b32 s1, 0
	s_mov_b32 s19, -1
	s_wait_loadcnt 0x0
	v_lshlrev_b32_e32 v7, 23, v5
	v_cmp_ne_u32_e32 vcc_lo, 0, v5
	s_delay_alu instid0(VALU_DEP_2) | instskip(SKIP_1) | instid1(VALU_DEP_1)
	v_cvt_i32_f32_e32 v7, v7
	s_wait_xcnt 0x1
	v_cndmask_b32_e32 v12, 0, v7, vcc_lo
	s_branch .LBB54_4741
.LBB54_4740:
	s_mov_b32 s1, -1
                                        ; implicit-def: $vgpr12
.LBB54_4741:
	s_mov_b32 s35, 0
.LBB54_4742:
	s_delay_alu instid0(SALU_CYCLE_1)
	s_and_b32 vcc_lo, exec_lo, s35
	s_cbranch_vccz .LBB54_4746
; %bb.4743:
	s_cmp_eq_u32 s0, 29
	s_cbranch_scc0 .LBB54_4745
; %bb.4744:
	global_load_b32 v12, v[14:15], off
	s_mov_b32 s1, 0
	s_mov_b32 s19, -1
	s_branch .LBB54_4746
.LBB54_4745:
	s_mov_b32 s1, -1
                                        ; implicit-def: $vgpr12
.LBB54_4746:
	s_mov_b32 s35, 0
.LBB54_4747:
	s_delay_alu instid0(SALU_CYCLE_1)
	s_and_b32 vcc_lo, exec_lo, s35
	s_cbranch_vccz .LBB54_4763
; %bb.4748:
	s_cmp_lt_i32 s0, 27
	s_cbranch_scc1 .LBB54_4751
; %bb.4749:
	s_cmp_gt_i32 s0, 27
	s_cbranch_scc0 .LBB54_4752
; %bb.4750:
	s_wait_loadcnt 0x0
	global_load_b32 v12, v[14:15], off
	s_mov_b32 s19, 0
	s_branch .LBB54_4753
.LBB54_4751:
	s_mov_b32 s19, -1
                                        ; implicit-def: $vgpr12
	s_branch .LBB54_4756
.LBB54_4752:
	s_mov_b32 s19, -1
                                        ; implicit-def: $vgpr12
.LBB54_4753:
	s_delay_alu instid0(SALU_CYCLE_1)
	s_and_not1_b32 vcc_lo, exec_lo, s19
	s_cbranch_vccnz .LBB54_4755
; %bb.4754:
	s_wait_loadcnt 0x0
	global_load_u16 v12, v[14:15], off
.LBB54_4755:
	s_mov_b32 s19, 0
.LBB54_4756:
	s_delay_alu instid0(SALU_CYCLE_1)
	s_and_not1_b32 vcc_lo, exec_lo, s19
	s_cbranch_vccnz .LBB54_4762
; %bb.4757:
	global_load_u8 v5, v[14:15], off
	s_mov_b32 s35, 0
	s_mov_b32 s19, exec_lo
	s_wait_loadcnt 0x0
	v_cmpx_lt_i16_e32 0x7f, v5
	s_xor_b32 s19, exec_lo, s19
	s_cbranch_execz .LBB54_4774
; %bb.4758:
	v_cmp_ne_u16_e32 vcc_lo, 0x80, v5
	s_and_b32 s35, vcc_lo, exec_lo
	s_and_not1_saveexec_b32 s19, s19
	s_cbranch_execnz .LBB54_4775
.LBB54_4759:
	s_or_b32 exec_lo, exec_lo, s19
	v_mov_b32_e32 v12, 0
	s_and_saveexec_b32 s19, s35
	s_cbranch_execz .LBB54_4761
.LBB54_4760:
	v_and_b32_e32 v7, 0xffff, v5
	s_delay_alu instid0(VALU_DEP_1) | instskip(SKIP_1) | instid1(VALU_DEP_2)
	v_dual_lshlrev_b32 v5, 24, v5 :: v_dual_bitop2_b32 v9, 7, v7 bitop3:0x40
	v_bfe_u32 v13, v7, 3, 4
	v_and_b32_e32 v5, 0x80000000, v5
	s_delay_alu instid0(VALU_DEP_3) | instskip(NEXT) | instid1(VALU_DEP_3)
	v_clz_i32_u32_e32 v11, v9
	v_cmp_eq_u32_e32 vcc_lo, 0, v13
	s_delay_alu instid0(VALU_DEP_2) | instskip(NEXT) | instid1(VALU_DEP_1)
	v_min_u32_e32 v11, 32, v11
	v_subrev_nc_u32_e32 v12, 28, v11
	v_sub_nc_u32_e32 v11, 29, v11
	s_delay_alu instid0(VALU_DEP_2) | instskip(NEXT) | instid1(VALU_DEP_2)
	v_lshlrev_b32_e32 v7, v12, v7
	v_cndmask_b32_e32 v11, v13, v11, vcc_lo
	s_delay_alu instid0(VALU_DEP_2) | instskip(NEXT) | instid1(VALU_DEP_1)
	v_and_b32_e32 v7, 7, v7
	v_cndmask_b32_e32 v7, v9, v7, vcc_lo
	s_delay_alu instid0(VALU_DEP_3) | instskip(NEXT) | instid1(VALU_DEP_2)
	v_lshl_add_u32 v9, v11, 23, 0x3b800000
	v_lshlrev_b32_e32 v7, 20, v7
	s_delay_alu instid0(VALU_DEP_1) | instskip(NEXT) | instid1(VALU_DEP_1)
	v_or3_b32 v5, v5, v9, v7
	v_cvt_i32_f32_e32 v12, v5
.LBB54_4761:
	s_or_b32 exec_lo, exec_lo, s19
.LBB54_4762:
	s_mov_b32 s19, -1
.LBB54_4763:
	s_mov_b32 s35, 0
.LBB54_4764:
	s_delay_alu instid0(SALU_CYCLE_1)
	s_and_b32 vcc_lo, exec_lo, s35
	s_cbranch_vccz .LBB54_4795
; %bb.4765:
	s_cmp_gt_i32 s0, 22
	s_cbranch_scc0 .LBB54_4773
; %bb.4766:
	s_cmp_lt_i32 s0, 24
	s_cbranch_scc1 .LBB54_4776
; %bb.4767:
	s_cmp_gt_i32 s0, 24
	s_cbranch_scc0 .LBB54_4777
; %bb.4768:
	global_load_u8 v5, v[14:15], off
	s_mov_b32 s19, 0
	s_mov_b32 s18, exec_lo
	s_wait_loadcnt 0x0
	v_cmpx_lt_i16_e32 0x7f, v5
	s_xor_b32 s18, exec_lo, s18
	s_cbranch_execz .LBB54_4789
; %bb.4769:
	v_cmp_ne_u16_e32 vcc_lo, 0x80, v5
	s_and_b32 s19, vcc_lo, exec_lo
	s_and_not1_saveexec_b32 s18, s18
	s_cbranch_execnz .LBB54_4790
.LBB54_4770:
	s_or_b32 exec_lo, exec_lo, s18
	v_mov_b32_e32 v12, 0
	s_and_saveexec_b32 s18, s19
	s_cbranch_execz .LBB54_4772
.LBB54_4771:
	v_and_b32_e32 v7, 0xffff, v5
	s_delay_alu instid0(VALU_DEP_1) | instskip(SKIP_1) | instid1(VALU_DEP_2)
	v_dual_lshlrev_b32 v5, 24, v5 :: v_dual_bitop2_b32 v9, 3, v7 bitop3:0x40
	v_bfe_u32 v13, v7, 2, 5
	v_and_b32_e32 v5, 0x80000000, v5
	s_delay_alu instid0(VALU_DEP_3) | instskip(NEXT) | instid1(VALU_DEP_3)
	v_clz_i32_u32_e32 v11, v9
	v_cmp_eq_u32_e32 vcc_lo, 0, v13
	s_delay_alu instid0(VALU_DEP_2) | instskip(NEXT) | instid1(VALU_DEP_1)
	v_min_u32_e32 v11, 32, v11
	v_subrev_nc_u32_e32 v12, 29, v11
	v_sub_nc_u32_e32 v11, 30, v11
	s_delay_alu instid0(VALU_DEP_2) | instskip(NEXT) | instid1(VALU_DEP_2)
	v_lshlrev_b32_e32 v7, v12, v7
	v_cndmask_b32_e32 v11, v13, v11, vcc_lo
	s_delay_alu instid0(VALU_DEP_2) | instskip(NEXT) | instid1(VALU_DEP_1)
	v_and_b32_e32 v7, 3, v7
	v_cndmask_b32_e32 v7, v9, v7, vcc_lo
	s_delay_alu instid0(VALU_DEP_3) | instskip(NEXT) | instid1(VALU_DEP_2)
	v_lshl_add_u32 v9, v11, 23, 0x37800000
	v_lshlrev_b32_e32 v7, 21, v7
	s_delay_alu instid0(VALU_DEP_1) | instskip(NEXT) | instid1(VALU_DEP_1)
	v_or3_b32 v5, v5, v9, v7
	v_cvt_i32_f32_e32 v12, v5
.LBB54_4772:
	s_or_b32 exec_lo, exec_lo, s18
	s_mov_b32 s18, 0
	s_branch .LBB54_4778
.LBB54_4773:
	s_mov_b32 s18, -1
                                        ; implicit-def: $vgpr12
	s_branch .LBB54_4784
.LBB54_4774:
	s_and_not1_saveexec_b32 s19, s19
	s_cbranch_execz .LBB54_4759
.LBB54_4775:
	v_cmp_ne_u16_e32 vcc_lo, 0, v5
	s_and_not1_b32 s35, s35, exec_lo
	s_and_b32 s36, vcc_lo, exec_lo
	s_delay_alu instid0(SALU_CYCLE_1)
	s_or_b32 s35, s35, s36
	s_or_b32 exec_lo, exec_lo, s19
	v_mov_b32_e32 v12, 0
	s_and_saveexec_b32 s19, s35
	s_cbranch_execnz .LBB54_4760
	s_branch .LBB54_4761
.LBB54_4776:
	s_mov_b32 s18, -1
                                        ; implicit-def: $vgpr12
	s_branch .LBB54_4781
.LBB54_4777:
	s_mov_b32 s18, -1
                                        ; implicit-def: $vgpr12
.LBB54_4778:
	s_delay_alu instid0(SALU_CYCLE_1)
	s_and_b32 vcc_lo, exec_lo, s18
	s_cbranch_vccz .LBB54_4780
; %bb.4779:
	global_load_u8 v5, v[14:15], off
	s_wait_loadcnt 0x0
	v_lshlrev_b32_e32 v5, 24, v5
	s_delay_alu instid0(VALU_DEP_1) | instskip(NEXT) | instid1(VALU_DEP_1)
	v_and_b32_e32 v7, 0x7f000000, v5
	v_clz_i32_u32_e32 v9, v7
	v_cmp_ne_u32_e32 vcc_lo, 0, v7
	s_wait_xcnt 0x1
	v_add_nc_u32_e32 v12, 0x1000000, v7
	s_delay_alu instid0(VALU_DEP_3) | instskip(NEXT) | instid1(VALU_DEP_1)
	v_min_u32_e32 v9, 32, v9
	v_sub_nc_u32_e64 v9, v9, 4 clamp
	s_delay_alu instid0(VALU_DEP_1) | instskip(NEXT) | instid1(VALU_DEP_1)
	v_dual_lshlrev_b32 v11, v9, v7 :: v_dual_lshlrev_b32 v9, 23, v9
	v_lshrrev_b32_e32 v11, 4, v11
	s_delay_alu instid0(VALU_DEP_1) | instskip(NEXT) | instid1(VALU_DEP_1)
	v_dual_sub_nc_u32 v9, v11, v9 :: v_dual_ashrrev_i32 v11, 8, v12
	v_add_nc_u32_e32 v9, 0x3c000000, v9
	s_delay_alu instid0(VALU_DEP_1) | instskip(NEXT) | instid1(VALU_DEP_1)
	v_and_or_b32 v9, 0x7f800000, v11, v9
	v_cndmask_b32_e32 v7, 0, v9, vcc_lo
	s_delay_alu instid0(VALU_DEP_1) | instskip(NEXT) | instid1(VALU_DEP_1)
	v_and_or_b32 v5, 0x80000000, v5, v7
	v_cvt_i32_f32_e32 v12, v5
.LBB54_4780:
	s_mov_b32 s18, 0
.LBB54_4781:
	s_delay_alu instid0(SALU_CYCLE_1)
	s_and_not1_b32 vcc_lo, exec_lo, s18
	s_cbranch_vccnz .LBB54_4783
; %bb.4782:
	global_load_u8 v5, v[14:15], off
	s_wait_loadcnt 0x0
	v_lshlrev_b32_e32 v7, 25, v5
	v_lshlrev_b16 v5, 8, v5
	s_wait_xcnt 0x1
	s_delay_alu instid0(VALU_DEP_1) | instskip(SKIP_1) | instid1(VALU_DEP_2)
	v_and_or_b32 v11, 0x7f00, v5, 0.5
	v_bfe_i32 v5, v5, 0, 16
	v_add_f32_e32 v11, -0.5, v11
	v_lshrrev_b32_e32 v9, 4, v7
	v_cmp_gt_u32_e32 vcc_lo, 0x8000000, v7
	s_delay_alu instid0(VALU_DEP_2) | instskip(NEXT) | instid1(VALU_DEP_1)
	v_or_b32_e32 v9, 0x70000000, v9
	v_mul_f32_e32 v9, 0x7800000, v9
	s_delay_alu instid0(VALU_DEP_1) | instskip(NEXT) | instid1(VALU_DEP_1)
	v_cndmask_b32_e32 v7, v9, v11, vcc_lo
	v_and_or_b32 v5, 0x80000000, v5, v7
	s_delay_alu instid0(VALU_DEP_1)
	v_cvt_i32_f32_e32 v12, v5
.LBB54_4783:
	s_mov_b32 s18, 0
	s_mov_b32 s19, -1
.LBB54_4784:
	s_and_not1_b32 vcc_lo, exec_lo, s18
	s_mov_b32 s18, 0
	s_cbranch_vccnz .LBB54_4795
; %bb.4785:
	s_cmp_gt_i32 s0, 14
	s_cbranch_scc0 .LBB54_4788
; %bb.4786:
	s_cmp_eq_u32 s0, 15
	s_cbranch_scc0 .LBB54_4791
; %bb.4787:
	global_load_u16 v5, v[14:15], off
	s_mov_b32 s1, 0
	s_mov_b32 s19, -1
	s_wait_loadcnt 0x0
	v_lshlrev_b32_e32 v5, 16, v5
	s_wait_xcnt 0x1
	s_delay_alu instid0(VALU_DEP_1)
	v_cvt_i32_f32_e32 v12, v5
	s_branch .LBB54_4793
.LBB54_4788:
	s_mov_b32 s18, -1
	s_branch .LBB54_4792
.LBB54_4789:
	s_and_not1_saveexec_b32 s18, s18
	s_cbranch_execz .LBB54_4770
.LBB54_4790:
	v_cmp_ne_u16_e32 vcc_lo, 0, v5
	s_and_not1_b32 s19, s19, exec_lo
	s_and_b32 s35, vcc_lo, exec_lo
	s_delay_alu instid0(SALU_CYCLE_1)
	s_or_b32 s19, s19, s35
	s_or_b32 exec_lo, exec_lo, s18
	v_mov_b32_e32 v12, 0
	s_and_saveexec_b32 s18, s19
	s_cbranch_execnz .LBB54_4771
	s_branch .LBB54_4772
.LBB54_4791:
	s_mov_b32 s1, -1
.LBB54_4792:
                                        ; implicit-def: $vgpr12
.LBB54_4793:
	s_and_b32 vcc_lo, exec_lo, s18
	s_mov_b32 s18, 0
	s_cbranch_vccz .LBB54_4795
; %bb.4794:
	s_cmp_lg_u32 s0, 11
	s_mov_b32 s18, -1
	s_cselect_b32 s1, -1, 0
.LBB54_4795:
	s_delay_alu instid0(SALU_CYCLE_1)
	s_and_b32 vcc_lo, exec_lo, s1
	s_cbranch_vccnz .LBB54_4860
; %bb.4796:
	s_and_not1_b32 vcc_lo, exec_lo, s18
	s_cbranch_vccnz .LBB54_4798
.LBB54_4797:
	global_load_u8 v5, v[14:15], off
	s_mov_b32 s19, -1
	s_wait_loadcnt 0x0
	v_cmp_ne_u16_e32 vcc_lo, 0, v5
	s_wait_xcnt 0x1
	v_cndmask_b32_e64 v12, 0, 1, vcc_lo
.LBB54_4798:
	s_mov_b32 s0, 0
.LBB54_4799:
	s_delay_alu instid0(SALU_CYCLE_1)
	s_and_b32 vcc_lo, exec_lo, s0
	s_cbranch_vccz .LBB54_4848
; %bb.4800:
	s_and_b32 s0, 0xffff, s58
	s_delay_alu instid0(SALU_CYCLE_1)
	s_cmp_lt_i32 s0, 5
	s_cbranch_scc1 .LBB54_4805
; %bb.4801:
	s_cmp_lt_i32 s0, 8
	s_cbranch_scc1 .LBB54_4806
; %bb.4802:
	;; [unrolled: 3-line block ×3, first 2 shown]
	s_cmp_gt_i32 s0, 9
	s_cbranch_scc0 .LBB54_4808
; %bb.4804:
	s_wait_loadcnt 0x0
	global_load_b64 v[12:13], v[14:15], off
	s_mov_b32 s1, 0
	s_wait_loadcnt 0x0
	v_cvt_i32_f64_e32 v12, v[12:13]
	s_branch .LBB54_4809
.LBB54_4805:
	s_mov_b32 s1, -1
                                        ; implicit-def: $vgpr12
	s_branch .LBB54_4827
.LBB54_4806:
	s_mov_b32 s1, -1
                                        ; implicit-def: $vgpr12
	s_branch .LBB54_4815
.LBB54_4807:
	s_mov_b32 s1, -1
                                        ; implicit-def: $vgpr12
	s_branch .LBB54_4812
.LBB54_4808:
	s_mov_b32 s1, -1
                                        ; implicit-def: $vgpr12
.LBB54_4809:
	s_delay_alu instid0(SALU_CYCLE_1)
	s_and_not1_b32 vcc_lo, exec_lo, s1
	s_cbranch_vccnz .LBB54_4811
; %bb.4810:
	global_load_b32 v5, v[14:15], off
	s_wait_loadcnt 0x0
	s_wait_xcnt 0x1
	v_cvt_i32_f32_e32 v12, v5
.LBB54_4811:
	s_mov_b32 s1, 0
.LBB54_4812:
	s_delay_alu instid0(SALU_CYCLE_1)
	s_and_not1_b32 vcc_lo, exec_lo, s1
	s_cbranch_vccnz .LBB54_4814
; %bb.4813:
	global_load_b32 v5, v[14:15], off
	s_wait_loadcnt 0x0
	v_cvt_f32_f16_e32 v5, v5
	s_wait_xcnt 0x1
	s_delay_alu instid0(VALU_DEP_1)
	v_cvt_i32_f32_e32 v12, v5
.LBB54_4814:
	s_mov_b32 s1, 0
.LBB54_4815:
	s_delay_alu instid0(SALU_CYCLE_1)
	s_and_not1_b32 vcc_lo, exec_lo, s1
	s_cbranch_vccnz .LBB54_4826
; %bb.4816:
	s_cmp_lt_i32 s0, 6
	s_cbranch_scc1 .LBB54_4819
; %bb.4817:
	s_cmp_gt_i32 s0, 6
	s_cbranch_scc0 .LBB54_4820
; %bb.4818:
	s_wait_loadcnt 0x0
	global_load_b64 v[12:13], v[14:15], off
	s_mov_b32 s1, 0
	s_wait_loadcnt 0x0
	v_cvt_i32_f64_e32 v12, v[12:13]
	s_branch .LBB54_4821
.LBB54_4819:
	s_mov_b32 s1, -1
                                        ; implicit-def: $vgpr12
	s_branch .LBB54_4824
.LBB54_4820:
	s_mov_b32 s1, -1
                                        ; implicit-def: $vgpr12
.LBB54_4821:
	s_delay_alu instid0(SALU_CYCLE_1)
	s_and_not1_b32 vcc_lo, exec_lo, s1
	s_cbranch_vccnz .LBB54_4823
; %bb.4822:
	global_load_b32 v5, v[14:15], off
	s_wait_loadcnt 0x0
	s_wait_xcnt 0x1
	v_cvt_i32_f32_e32 v12, v5
.LBB54_4823:
	s_mov_b32 s1, 0
.LBB54_4824:
	s_delay_alu instid0(SALU_CYCLE_1)
	s_and_not1_b32 vcc_lo, exec_lo, s1
	s_cbranch_vccnz .LBB54_4826
; %bb.4825:
	global_load_u16 v5, v[14:15], off
	s_wait_loadcnt 0x0
	v_cvt_f32_f16_e32 v5, v5
	s_wait_xcnt 0x1
	s_delay_alu instid0(VALU_DEP_1)
	v_cvt_i32_f32_e32 v12, v5
.LBB54_4826:
	s_mov_b32 s1, 0
.LBB54_4827:
	s_delay_alu instid0(SALU_CYCLE_1)
	s_and_not1_b32 vcc_lo, exec_lo, s1
	s_cbranch_vccnz .LBB54_4847
; %bb.4828:
	s_cmp_lt_i32 s0, 2
	s_cbranch_scc1 .LBB54_4832
; %bb.4829:
	s_cmp_lt_i32 s0, 3
	s_cbranch_scc1 .LBB54_4833
; %bb.4830:
	s_cmp_gt_i32 s0, 3
	s_cbranch_scc0 .LBB54_4834
; %bb.4831:
	s_wait_loadcnt 0x0
	global_load_b32 v12, v[14:15], off
	s_mov_b32 s1, 0
	s_branch .LBB54_4835
.LBB54_4832:
	s_mov_b32 s1, -1
                                        ; implicit-def: $vgpr12
	s_branch .LBB54_4841
.LBB54_4833:
	s_mov_b32 s1, -1
                                        ; implicit-def: $vgpr12
	s_branch .LBB54_4838
.LBB54_4834:
	s_mov_b32 s1, -1
                                        ; implicit-def: $vgpr12
.LBB54_4835:
	s_delay_alu instid0(SALU_CYCLE_1)
	s_and_not1_b32 vcc_lo, exec_lo, s1
	s_cbranch_vccnz .LBB54_4837
; %bb.4836:
	s_wait_loadcnt 0x0
	global_load_b32 v12, v[14:15], off
.LBB54_4837:
	s_mov_b32 s1, 0
.LBB54_4838:
	s_delay_alu instid0(SALU_CYCLE_1)
	s_and_not1_b32 vcc_lo, exec_lo, s1
	s_cbranch_vccnz .LBB54_4840
; %bb.4839:
	s_wait_loadcnt 0x0
	global_load_i16 v12, v[14:15], off
.LBB54_4840:
	s_mov_b32 s1, 0
.LBB54_4841:
	s_delay_alu instid0(SALU_CYCLE_1)
	s_and_not1_b32 vcc_lo, exec_lo, s1
	s_cbranch_vccnz .LBB54_4847
; %bb.4842:
	s_cmp_gt_i32 s0, 0
	s_mov_b32 s0, 0
	s_cbranch_scc0 .LBB54_4844
; %bb.4843:
	s_wait_loadcnt 0x0
	global_load_i8 v12, v[14:15], off
	s_branch .LBB54_4845
.LBB54_4844:
	s_mov_b32 s0, -1
                                        ; implicit-def: $vgpr12
.LBB54_4845:
	s_delay_alu instid0(SALU_CYCLE_1)
	s_and_not1_b32 vcc_lo, exec_lo, s0
	s_cbranch_vccnz .LBB54_4847
; %bb.4846:
	s_wait_loadcnt 0x0
	global_load_u8 v12, v[14:15], off
.LBB54_4847:
	s_mov_b32 s19, -1
.LBB54_4848:
	s_delay_alu instid0(SALU_CYCLE_1)
	s_and_not1_b32 vcc_lo, exec_lo, s19
	s_cbranch_vccnz .LBB54_4984
; %bb.4849:
	v_add_nc_u32_e32 v8, s71, v8
	s_cmp_lt_i32 s59, 11
	s_delay_alu instid0(VALU_DEP_1) | instskip(SKIP_1) | instid1(VALU_DEP_1)
	v_ashrrev_i32_e32 v9, 31, v8
	s_wait_xcnt 0x0
	v_add_nc_u64_e32 v[14:15], s[14:15], v[8:9]
	s_cbranch_scc1 .LBB54_4856
; %bb.4850:
	s_and_b32 s0, 0xffff, s59
	s_mov_b32 s18, 0
	s_cmp_gt_i32 s0, 25
	s_cbranch_scc0 .LBB54_4857
; %bb.4851:
	s_cmp_gt_i32 s0, 28
	s_cbranch_scc0 .LBB54_4858
; %bb.4852:
	;; [unrolled: 3-line block ×4, first 2 shown]
	s_cmp_eq_u32 s0, 46
	s_mov_b32 s35, 0
	s_cbranch_scc0 .LBB54_4862
; %bb.4855:
	global_load_b32 v5, v[14:15], off
	s_mov_b32 s1, 0
	s_mov_b32 s19, -1
	s_wait_loadcnt 0x0
	v_lshlrev_b32_e32 v5, 16, v5
	s_delay_alu instid0(VALU_DEP_1)
	v_cvt_i32_f32_e32 v16, v5
	s_branch .LBB54_4864
.LBB54_4856:
	s_mov_b32 s0, -1
	s_mov_b32 s19, 0
                                        ; implicit-def: $vgpr16
	s_branch .LBB54_4926
.LBB54_4857:
	s_mov_b32 s35, -1
	s_mov_b32 s19, 0
	s_mov_b32 s1, 0
                                        ; implicit-def: $vgpr16
	s_branch .LBB54_4891
.LBB54_4858:
	s_mov_b32 s35, -1
	s_mov_b32 s19, 0
	s_mov_b32 s1, 0
                                        ; implicit-def: $vgpr16
	s_branch .LBB54_4874
.LBB54_4859:
	s_mov_b32 s35, -1
	s_mov_b32 s19, 0
	s_mov_b32 s1, 0
                                        ; implicit-def: $vgpr16
	s_branch .LBB54_4869
.LBB54_4860:
	s_or_b32 s66, s66, exec_lo
	s_trap 2
	s_cbranch_execz .LBB54_4797
	s_branch .LBB54_4798
.LBB54_4861:
	s_mov_b32 s35, -1
	s_mov_b32 s19, 0
	s_mov_b32 s1, 0
	s_branch .LBB54_4863
.LBB54_4862:
	s_mov_b32 s1, -1
	s_mov_b32 s19, 0
.LBB54_4863:
                                        ; implicit-def: $vgpr16
.LBB54_4864:
	s_and_b32 vcc_lo, exec_lo, s35
	s_cbranch_vccz .LBB54_4868
; %bb.4865:
	s_cmp_eq_u32 s0, 44
	s_cbranch_scc0 .LBB54_4867
; %bb.4866:
	global_load_u8 v5, v[14:15], off
	s_mov_b32 s1, 0
	s_mov_b32 s19, -1
	s_wait_loadcnt 0x0
	v_lshlrev_b32_e32 v7, 23, v5
	v_cmp_ne_u32_e32 vcc_lo, 0, v5
	s_delay_alu instid0(VALU_DEP_2) | instskip(NEXT) | instid1(VALU_DEP_1)
	v_cvt_i32_f32_e32 v7, v7
	v_cndmask_b32_e32 v16, 0, v7, vcc_lo
	s_branch .LBB54_4868
.LBB54_4867:
	s_mov_b32 s1, -1
                                        ; implicit-def: $vgpr16
.LBB54_4868:
	s_mov_b32 s35, 0
.LBB54_4869:
	s_delay_alu instid0(SALU_CYCLE_1)
	s_and_b32 vcc_lo, exec_lo, s35
	s_cbranch_vccz .LBB54_4873
; %bb.4870:
	s_cmp_eq_u32 s0, 29
	s_cbranch_scc0 .LBB54_4872
; %bb.4871:
	global_load_b32 v16, v[14:15], off
	s_mov_b32 s1, 0
	s_mov_b32 s19, -1
	s_branch .LBB54_4873
.LBB54_4872:
	s_mov_b32 s1, -1
                                        ; implicit-def: $vgpr16
.LBB54_4873:
	s_mov_b32 s35, 0
.LBB54_4874:
	s_delay_alu instid0(SALU_CYCLE_1)
	s_and_b32 vcc_lo, exec_lo, s35
	s_cbranch_vccz .LBB54_4890
; %bb.4875:
	s_cmp_lt_i32 s0, 27
	s_cbranch_scc1 .LBB54_4878
; %bb.4876:
	s_cmp_gt_i32 s0, 27
	s_cbranch_scc0 .LBB54_4879
; %bb.4877:
	s_wait_loadcnt 0x0
	global_load_b32 v16, v[14:15], off
	s_mov_b32 s19, 0
	s_branch .LBB54_4880
.LBB54_4878:
	s_mov_b32 s19, -1
                                        ; implicit-def: $vgpr16
	s_branch .LBB54_4883
.LBB54_4879:
	s_mov_b32 s19, -1
                                        ; implicit-def: $vgpr16
.LBB54_4880:
	s_delay_alu instid0(SALU_CYCLE_1)
	s_and_not1_b32 vcc_lo, exec_lo, s19
	s_cbranch_vccnz .LBB54_4882
; %bb.4881:
	s_wait_loadcnt 0x0
	global_load_u16 v16, v[14:15], off
.LBB54_4882:
	s_mov_b32 s19, 0
.LBB54_4883:
	s_delay_alu instid0(SALU_CYCLE_1)
	s_and_not1_b32 vcc_lo, exec_lo, s19
	s_cbranch_vccnz .LBB54_4889
; %bb.4884:
	global_load_u8 v5, v[14:15], off
	s_mov_b32 s35, 0
	s_mov_b32 s19, exec_lo
	s_wait_loadcnt 0x0
	v_cmpx_lt_i16_e32 0x7f, v5
	s_xor_b32 s19, exec_lo, s19
	s_cbranch_execz .LBB54_4901
; %bb.4885:
	v_cmp_ne_u16_e32 vcc_lo, 0x80, v5
	s_and_b32 s35, vcc_lo, exec_lo
	s_and_not1_saveexec_b32 s19, s19
	s_cbranch_execnz .LBB54_4902
.LBB54_4886:
	s_or_b32 exec_lo, exec_lo, s19
	v_mov_b32_e32 v16, 0
	s_and_saveexec_b32 s19, s35
	s_cbranch_execz .LBB54_4888
.LBB54_4887:
	v_and_b32_e32 v7, 0xffff, v5
	s_delay_alu instid0(VALU_DEP_1) | instskip(SKIP_1) | instid1(VALU_DEP_2)
	v_dual_lshlrev_b32 v5, 24, v5 :: v_dual_bitop2_b32 v9, 7, v7 bitop3:0x40
	v_bfe_u32 v16, v7, 3, 4
	v_and_b32_e32 v5, 0x80000000, v5
	s_delay_alu instid0(VALU_DEP_3) | instskip(NEXT) | instid1(VALU_DEP_3)
	v_clz_i32_u32_e32 v11, v9
	v_cmp_eq_u32_e32 vcc_lo, 0, v16
	s_delay_alu instid0(VALU_DEP_2) | instskip(NEXT) | instid1(VALU_DEP_1)
	v_min_u32_e32 v11, 32, v11
	v_subrev_nc_u32_e32 v13, 28, v11
	v_sub_nc_u32_e32 v11, 29, v11
	s_delay_alu instid0(VALU_DEP_2) | instskip(NEXT) | instid1(VALU_DEP_2)
	v_lshlrev_b32_e32 v7, v13, v7
	v_cndmask_b32_e32 v11, v16, v11, vcc_lo
	s_delay_alu instid0(VALU_DEP_2) | instskip(NEXT) | instid1(VALU_DEP_1)
	v_and_b32_e32 v7, 7, v7
	v_cndmask_b32_e32 v7, v9, v7, vcc_lo
	s_delay_alu instid0(VALU_DEP_3) | instskip(NEXT) | instid1(VALU_DEP_2)
	v_lshl_add_u32 v9, v11, 23, 0x3b800000
	v_lshlrev_b32_e32 v7, 20, v7
	s_delay_alu instid0(VALU_DEP_1) | instskip(NEXT) | instid1(VALU_DEP_1)
	v_or3_b32 v5, v5, v9, v7
	v_cvt_i32_f32_e32 v16, v5
.LBB54_4888:
	s_or_b32 exec_lo, exec_lo, s19
.LBB54_4889:
	s_mov_b32 s19, -1
.LBB54_4890:
	s_mov_b32 s35, 0
.LBB54_4891:
	s_delay_alu instid0(SALU_CYCLE_1)
	s_and_b32 vcc_lo, exec_lo, s35
	s_cbranch_vccz .LBB54_4922
; %bb.4892:
	s_cmp_gt_i32 s0, 22
	s_cbranch_scc0 .LBB54_4900
; %bb.4893:
	s_cmp_lt_i32 s0, 24
	s_cbranch_scc1 .LBB54_4903
; %bb.4894:
	s_cmp_gt_i32 s0, 24
	s_cbranch_scc0 .LBB54_4904
; %bb.4895:
	global_load_u8 v5, v[14:15], off
	s_mov_b32 s19, 0
	s_mov_b32 s18, exec_lo
	s_wait_loadcnt 0x0
	v_cmpx_lt_i16_e32 0x7f, v5
	s_xor_b32 s18, exec_lo, s18
	s_cbranch_execz .LBB54_4916
; %bb.4896:
	v_cmp_ne_u16_e32 vcc_lo, 0x80, v5
	s_and_b32 s19, vcc_lo, exec_lo
	s_and_not1_saveexec_b32 s18, s18
	s_cbranch_execnz .LBB54_4917
.LBB54_4897:
	s_or_b32 exec_lo, exec_lo, s18
	v_mov_b32_e32 v16, 0
	s_and_saveexec_b32 s18, s19
	s_cbranch_execz .LBB54_4899
.LBB54_4898:
	v_and_b32_e32 v7, 0xffff, v5
	s_delay_alu instid0(VALU_DEP_1) | instskip(SKIP_1) | instid1(VALU_DEP_2)
	v_dual_lshlrev_b32 v5, 24, v5 :: v_dual_bitop2_b32 v9, 3, v7 bitop3:0x40
	v_bfe_u32 v16, v7, 2, 5
	v_and_b32_e32 v5, 0x80000000, v5
	s_delay_alu instid0(VALU_DEP_3) | instskip(NEXT) | instid1(VALU_DEP_3)
	v_clz_i32_u32_e32 v11, v9
	v_cmp_eq_u32_e32 vcc_lo, 0, v16
	s_delay_alu instid0(VALU_DEP_2) | instskip(NEXT) | instid1(VALU_DEP_1)
	v_min_u32_e32 v11, 32, v11
	v_subrev_nc_u32_e32 v13, 29, v11
	v_sub_nc_u32_e32 v11, 30, v11
	s_delay_alu instid0(VALU_DEP_2) | instskip(NEXT) | instid1(VALU_DEP_2)
	v_lshlrev_b32_e32 v7, v13, v7
	v_cndmask_b32_e32 v11, v16, v11, vcc_lo
	s_delay_alu instid0(VALU_DEP_2) | instskip(NEXT) | instid1(VALU_DEP_1)
	v_and_b32_e32 v7, 3, v7
	v_cndmask_b32_e32 v7, v9, v7, vcc_lo
	s_delay_alu instid0(VALU_DEP_3) | instskip(NEXT) | instid1(VALU_DEP_2)
	v_lshl_add_u32 v9, v11, 23, 0x37800000
	v_lshlrev_b32_e32 v7, 21, v7
	s_delay_alu instid0(VALU_DEP_1) | instskip(NEXT) | instid1(VALU_DEP_1)
	v_or3_b32 v5, v5, v9, v7
	v_cvt_i32_f32_e32 v16, v5
.LBB54_4899:
	s_or_b32 exec_lo, exec_lo, s18
	s_mov_b32 s18, 0
	s_branch .LBB54_4905
.LBB54_4900:
	s_mov_b32 s18, -1
                                        ; implicit-def: $vgpr16
	s_branch .LBB54_4911
.LBB54_4901:
	s_and_not1_saveexec_b32 s19, s19
	s_cbranch_execz .LBB54_4886
.LBB54_4902:
	v_cmp_ne_u16_e32 vcc_lo, 0, v5
	s_and_not1_b32 s35, s35, exec_lo
	s_and_b32 s36, vcc_lo, exec_lo
	s_delay_alu instid0(SALU_CYCLE_1)
	s_or_b32 s35, s35, s36
	s_or_b32 exec_lo, exec_lo, s19
	v_mov_b32_e32 v16, 0
	s_and_saveexec_b32 s19, s35
	s_cbranch_execnz .LBB54_4887
	s_branch .LBB54_4888
.LBB54_4903:
	s_mov_b32 s18, -1
                                        ; implicit-def: $vgpr16
	s_branch .LBB54_4908
.LBB54_4904:
	s_mov_b32 s18, -1
                                        ; implicit-def: $vgpr16
.LBB54_4905:
	s_delay_alu instid0(SALU_CYCLE_1)
	s_and_b32 vcc_lo, exec_lo, s18
	s_cbranch_vccz .LBB54_4907
; %bb.4906:
	global_load_u8 v5, v[14:15], off
	s_wait_loadcnt 0x0
	v_lshlrev_b32_e32 v5, 24, v5
	s_delay_alu instid0(VALU_DEP_1) | instskip(NEXT) | instid1(VALU_DEP_1)
	v_and_b32_e32 v7, 0x7f000000, v5
	v_clz_i32_u32_e32 v9, v7
	v_add_nc_u32_e32 v13, 0x1000000, v7
	v_cmp_ne_u32_e32 vcc_lo, 0, v7
	s_delay_alu instid0(VALU_DEP_3) | instskip(NEXT) | instid1(VALU_DEP_1)
	v_min_u32_e32 v9, 32, v9
	v_sub_nc_u32_e64 v9, v9, 4 clamp
	s_delay_alu instid0(VALU_DEP_1) | instskip(NEXT) | instid1(VALU_DEP_1)
	v_dual_lshlrev_b32 v11, v9, v7 :: v_dual_lshlrev_b32 v9, 23, v9
	v_lshrrev_b32_e32 v11, 4, v11
	s_delay_alu instid0(VALU_DEP_1) | instskip(SKIP_1) | instid1(VALU_DEP_2)
	v_sub_nc_u32_e32 v9, v11, v9
	v_ashrrev_i32_e32 v11, 8, v13
	v_add_nc_u32_e32 v9, 0x3c000000, v9
	s_delay_alu instid0(VALU_DEP_1) | instskip(NEXT) | instid1(VALU_DEP_1)
	v_and_or_b32 v9, 0x7f800000, v11, v9
	v_cndmask_b32_e32 v7, 0, v9, vcc_lo
	s_delay_alu instid0(VALU_DEP_1) | instskip(NEXT) | instid1(VALU_DEP_1)
	v_and_or_b32 v5, 0x80000000, v5, v7
	v_cvt_i32_f32_e32 v16, v5
.LBB54_4907:
	s_mov_b32 s18, 0
.LBB54_4908:
	s_delay_alu instid0(SALU_CYCLE_1)
	s_and_not1_b32 vcc_lo, exec_lo, s18
	s_cbranch_vccnz .LBB54_4910
; %bb.4909:
	global_load_u8 v5, v[14:15], off
	s_wait_loadcnt 0x0
	v_lshlrev_b32_e32 v7, 25, v5
	v_lshlrev_b16 v5, 8, v5
	s_delay_alu instid0(VALU_DEP_1) | instskip(SKIP_1) | instid1(VALU_DEP_2)
	v_and_or_b32 v11, 0x7f00, v5, 0.5
	v_bfe_i32 v5, v5, 0, 16
	v_add_f32_e32 v11, -0.5, v11
	v_lshrrev_b32_e32 v9, 4, v7
	v_cmp_gt_u32_e32 vcc_lo, 0x8000000, v7
	s_delay_alu instid0(VALU_DEP_2) | instskip(NEXT) | instid1(VALU_DEP_1)
	v_or_b32_e32 v9, 0x70000000, v9
	v_mul_f32_e32 v9, 0x7800000, v9
	s_delay_alu instid0(VALU_DEP_1) | instskip(NEXT) | instid1(VALU_DEP_1)
	v_cndmask_b32_e32 v7, v9, v11, vcc_lo
	v_and_or_b32 v5, 0x80000000, v5, v7
	s_delay_alu instid0(VALU_DEP_1)
	v_cvt_i32_f32_e32 v16, v5
.LBB54_4910:
	s_mov_b32 s18, 0
	s_mov_b32 s19, -1
.LBB54_4911:
	s_and_not1_b32 vcc_lo, exec_lo, s18
	s_mov_b32 s18, 0
	s_cbranch_vccnz .LBB54_4922
; %bb.4912:
	s_cmp_gt_i32 s0, 14
	s_cbranch_scc0 .LBB54_4915
; %bb.4913:
	s_cmp_eq_u32 s0, 15
	s_cbranch_scc0 .LBB54_4918
; %bb.4914:
	global_load_u16 v5, v[14:15], off
	s_mov_b32 s1, 0
	s_mov_b32 s19, -1
	s_wait_loadcnt 0x0
	v_lshlrev_b32_e32 v5, 16, v5
	s_delay_alu instid0(VALU_DEP_1)
	v_cvt_i32_f32_e32 v16, v5
	s_branch .LBB54_4920
.LBB54_4915:
	s_mov_b32 s18, -1
	s_branch .LBB54_4919
.LBB54_4916:
	s_and_not1_saveexec_b32 s18, s18
	s_cbranch_execz .LBB54_4897
.LBB54_4917:
	v_cmp_ne_u16_e32 vcc_lo, 0, v5
	s_and_not1_b32 s19, s19, exec_lo
	s_and_b32 s35, vcc_lo, exec_lo
	s_delay_alu instid0(SALU_CYCLE_1)
	s_or_b32 s19, s19, s35
	s_or_b32 exec_lo, exec_lo, s18
	v_mov_b32_e32 v16, 0
	s_and_saveexec_b32 s18, s19
	s_cbranch_execnz .LBB54_4898
	s_branch .LBB54_4899
.LBB54_4918:
	s_mov_b32 s1, -1
.LBB54_4919:
                                        ; implicit-def: $vgpr16
.LBB54_4920:
	s_and_b32 vcc_lo, exec_lo, s18
	s_mov_b32 s18, 0
	s_cbranch_vccz .LBB54_4922
; %bb.4921:
	s_cmp_lg_u32 s0, 11
	s_mov_b32 s18, -1
	s_cselect_b32 s1, -1, 0
.LBB54_4922:
	s_delay_alu instid0(SALU_CYCLE_1)
	s_and_b32 vcc_lo, exec_lo, s1
	s_cbranch_vccnz .LBB54_5010
; %bb.4923:
	s_and_not1_b32 vcc_lo, exec_lo, s18
	s_cbranch_vccnz .LBB54_4925
.LBB54_4924:
	global_load_u8 v5, v[14:15], off
	s_mov_b32 s19, -1
	s_wait_loadcnt 0x0
	v_cmp_ne_u16_e32 vcc_lo, 0, v5
	v_cndmask_b32_e64 v16, 0, 1, vcc_lo
.LBB54_4925:
	s_mov_b32 s0, 0
.LBB54_4926:
	s_delay_alu instid0(SALU_CYCLE_1)
	s_and_b32 vcc_lo, exec_lo, s0
	s_cbranch_vccz .LBB54_4975
; %bb.4927:
	s_and_b32 s0, 0xffff, s59
	s_delay_alu instid0(SALU_CYCLE_1)
	s_cmp_lt_i32 s0, 5
	s_cbranch_scc1 .LBB54_4932
; %bb.4928:
	s_cmp_lt_i32 s0, 8
	s_cbranch_scc1 .LBB54_4933
; %bb.4929:
	;; [unrolled: 3-line block ×3, first 2 shown]
	s_cmp_gt_i32 s0, 9
	s_cbranch_scc0 .LBB54_4935
; %bb.4931:
	s_wait_loadcnt 0x0
	global_load_b64 v[16:17], v[14:15], off
	s_mov_b32 s1, 0
	s_wait_loadcnt 0x0
	v_cvt_i32_f64_e32 v16, v[16:17]
	s_branch .LBB54_4936
.LBB54_4932:
	s_mov_b32 s1, -1
                                        ; implicit-def: $vgpr16
	s_branch .LBB54_4954
.LBB54_4933:
	s_mov_b32 s1, -1
                                        ; implicit-def: $vgpr16
	s_branch .LBB54_4942
.LBB54_4934:
	s_mov_b32 s1, -1
                                        ; implicit-def: $vgpr16
	s_branch .LBB54_4939
.LBB54_4935:
	s_mov_b32 s1, -1
                                        ; implicit-def: $vgpr16
.LBB54_4936:
	s_delay_alu instid0(SALU_CYCLE_1)
	s_and_not1_b32 vcc_lo, exec_lo, s1
	s_cbranch_vccnz .LBB54_4938
; %bb.4937:
	global_load_b32 v5, v[14:15], off
	s_wait_loadcnt 0x0
	v_cvt_i32_f32_e32 v16, v5
.LBB54_4938:
	s_mov_b32 s1, 0
.LBB54_4939:
	s_delay_alu instid0(SALU_CYCLE_1)
	s_and_not1_b32 vcc_lo, exec_lo, s1
	s_cbranch_vccnz .LBB54_4941
; %bb.4940:
	global_load_b32 v5, v[14:15], off
	s_wait_loadcnt 0x0
	v_cvt_f32_f16_e32 v5, v5
	s_delay_alu instid0(VALU_DEP_1)
	v_cvt_i32_f32_e32 v16, v5
.LBB54_4941:
	s_mov_b32 s1, 0
.LBB54_4942:
	s_delay_alu instid0(SALU_CYCLE_1)
	s_and_not1_b32 vcc_lo, exec_lo, s1
	s_cbranch_vccnz .LBB54_4953
; %bb.4943:
	s_cmp_lt_i32 s0, 6
	s_cbranch_scc1 .LBB54_4946
; %bb.4944:
	s_cmp_gt_i32 s0, 6
	s_cbranch_scc0 .LBB54_4947
; %bb.4945:
	s_wait_loadcnt 0x0
	global_load_b64 v[16:17], v[14:15], off
	s_mov_b32 s1, 0
	s_wait_loadcnt 0x0
	v_cvt_i32_f64_e32 v16, v[16:17]
	s_branch .LBB54_4948
.LBB54_4946:
	s_mov_b32 s1, -1
                                        ; implicit-def: $vgpr16
	s_branch .LBB54_4951
.LBB54_4947:
	s_mov_b32 s1, -1
                                        ; implicit-def: $vgpr16
.LBB54_4948:
	s_delay_alu instid0(SALU_CYCLE_1)
	s_and_not1_b32 vcc_lo, exec_lo, s1
	s_cbranch_vccnz .LBB54_4950
; %bb.4949:
	global_load_b32 v5, v[14:15], off
	s_wait_loadcnt 0x0
	v_cvt_i32_f32_e32 v16, v5
.LBB54_4950:
	s_mov_b32 s1, 0
.LBB54_4951:
	s_delay_alu instid0(SALU_CYCLE_1)
	s_and_not1_b32 vcc_lo, exec_lo, s1
	s_cbranch_vccnz .LBB54_4953
; %bb.4952:
	global_load_u16 v5, v[14:15], off
	s_wait_loadcnt 0x0
	v_cvt_f32_f16_e32 v5, v5
	s_delay_alu instid0(VALU_DEP_1)
	v_cvt_i32_f32_e32 v16, v5
.LBB54_4953:
	s_mov_b32 s1, 0
.LBB54_4954:
	s_delay_alu instid0(SALU_CYCLE_1)
	s_and_not1_b32 vcc_lo, exec_lo, s1
	s_cbranch_vccnz .LBB54_4974
; %bb.4955:
	s_cmp_lt_i32 s0, 2
	s_cbranch_scc1 .LBB54_4959
; %bb.4956:
	s_cmp_lt_i32 s0, 3
	s_cbranch_scc1 .LBB54_4960
; %bb.4957:
	s_cmp_gt_i32 s0, 3
	s_cbranch_scc0 .LBB54_4961
; %bb.4958:
	s_wait_loadcnt 0x0
	global_load_b32 v16, v[14:15], off
	s_mov_b32 s1, 0
	s_branch .LBB54_4962
.LBB54_4959:
	s_mov_b32 s1, -1
                                        ; implicit-def: $vgpr16
	s_branch .LBB54_4968
.LBB54_4960:
	s_mov_b32 s1, -1
                                        ; implicit-def: $vgpr16
	s_branch .LBB54_4965
.LBB54_4961:
	s_mov_b32 s1, -1
                                        ; implicit-def: $vgpr16
.LBB54_4962:
	s_delay_alu instid0(SALU_CYCLE_1)
	s_and_not1_b32 vcc_lo, exec_lo, s1
	s_cbranch_vccnz .LBB54_4964
; %bb.4963:
	s_wait_loadcnt 0x0
	global_load_b32 v16, v[14:15], off
.LBB54_4964:
	s_mov_b32 s1, 0
.LBB54_4965:
	s_delay_alu instid0(SALU_CYCLE_1)
	s_and_not1_b32 vcc_lo, exec_lo, s1
	s_cbranch_vccnz .LBB54_4967
; %bb.4966:
	s_wait_loadcnt 0x0
	global_load_i16 v16, v[14:15], off
.LBB54_4967:
	s_mov_b32 s1, 0
.LBB54_4968:
	s_delay_alu instid0(SALU_CYCLE_1)
	s_and_not1_b32 vcc_lo, exec_lo, s1
	s_cbranch_vccnz .LBB54_4974
; %bb.4969:
	s_cmp_gt_i32 s0, 0
	s_mov_b32 s0, 0
	s_cbranch_scc0 .LBB54_4971
; %bb.4970:
	s_wait_loadcnt 0x0
	global_load_i8 v16, v[14:15], off
	s_branch .LBB54_4972
.LBB54_4971:
	s_mov_b32 s0, -1
                                        ; implicit-def: $vgpr16
.LBB54_4972:
	s_delay_alu instid0(SALU_CYCLE_1)
	s_and_not1_b32 vcc_lo, exec_lo, s0
	s_cbranch_vccnz .LBB54_4974
; %bb.4973:
	s_wait_loadcnt 0x0
	global_load_u8 v16, v[14:15], off
.LBB54_4974:
	s_mov_b32 s19, -1
.LBB54_4975:
	s_delay_alu instid0(SALU_CYCLE_1)
	s_and_not1_b32 vcc_lo, exec_lo, s19
	s_cbranch_vccnz .LBB54_4984
; %bb.4976:
	s_mov_b32 s0, exec_lo
	s_wait_loadcnt 0x0
	v_cmpx_ne_u32_e64 s38, v1
	s_xor_b32 s0, exec_lo, s0
	s_cbranch_execnz .LBB54_5144
.LBB54_4977:
	s_or_saveexec_b32 s72, s0
	s_mov_b32 s1, 0
	s_mov_b32 s18, 0
                                        ; implicit-def: $sgpr0
                                        ; implicit-def: $vgpr14_vgpr15
	s_xor_b32 exec_lo, exec_lo, s72
	s_cbranch_execz .LBB54_5655
; %bb.4978:
	s_mov_b32 s73, s66
	s_mov_b32 s0, exec_lo
	v_cmpx_ne_u32_e64 s22, v3
	s_xor_b32 s0, exec_lo, s0
	s_cbranch_execnz .LBB54_5272
; %bb.4979:
	s_or_saveexec_b32 s74, s0
                                        ; implicit-def: $sgpr0
                                        ; implicit-def: $vgpr14_vgpr15
	s_delay_alu instid0(SALU_CYCLE_1)
	s_xor_b32 exec_lo, exec_lo, s74
	s_cbranch_execz .LBB54_5654
.LBB54_4980:
	v_sub_nc_u32_e32 v1, v12, v10
	s_mov_b32 s75, s73
	s_delay_alu instid0(VALU_DEP_1) | instskip(SKIP_2) | instid1(SALU_CYCLE_1)
	v_cmp_gt_i32_e32 vcc_lo, s38, v1
	v_cmp_lt_i32_e64 s0, s20, v1
	s_or_b32 s0, vcc_lo, s0
	s_and_saveexec_b32 s1, s0
	s_delay_alu instid0(SALU_CYCLE_1)
	s_xor_b32 s0, exec_lo, s1
	s_cbranch_execnz .LBB54_5400
.LBB54_4981:
	s_or_saveexec_b32 s76, s0
	s_mov_b32 s1, 0
	s_mov_b32 s19, 0
                                        ; implicit-def: $sgpr0
                                        ; implicit-def: $vgpr14_vgpr15
	s_xor_b32 exec_lo, exec_lo, s76
	s_cbranch_execz .LBB54_5653
; %bb.4982:
	v_cmp_ne_u32_e32 vcc_lo, 1, v23
	v_mov_b64_e32 v[14:15], 0
	s_cbranch_vccnz .LBB54_4995
; %bb.4983:
	v_ashrrev_i32_e32 v17, 31, v16
	v_mov_b64_e32 v[14:15], 0
	s_mov_b32 s35, s1
	s_mov_b64 s[18:19], 0xffffffff
	s_lshl_b64 s[40:41], s[34:35], 3
	v_mul_u64_e32 v[18:19], s[22:23], v[16:17]
	v_mov_b32_e32 v16, 0
	s_add_nc_u64 s[36:37], s[26:27], s[40:41]
	s_add_nc_u64 s[40:41], s[28:29], s[40:41]
	s_mov_b32 s35, s24
	s_branch .LBB54_4991
.LBB54_4984:
	s_mov_b32 s1, 0
	s_mov_b32 s18, 0
                                        ; implicit-def: $sgpr0
                                        ; implicit-def: $vgpr14_vgpr15
.LBB54_4985:
	s_and_not1_b32 s2, s64, exec_lo
	s_and_b32 s4, s66, exec_lo
	s_and_b32 s18, s18, exec_lo
	;; [unrolled: 1-line block ×3, first 2 shown]
	s_or_b32 s64, s2, s4
.LBB54_4986:
	s_wait_xcnt 0x0
	s_or_b32 exec_lo, exec_lo, s65
	s_delay_alu instid0(SALU_CYCLE_1)
	s_and_not1_b32 s2, s62, exec_lo
	s_and_b32 s4, s64, exec_lo
	s_and_b32 s18, s18, exec_lo
	s_and_b32 s1, s1, exec_lo
	s_or_b32 s62, s2, s4
.LBB54_4987:
	s_or_b32 exec_lo, exec_lo, s63
	s_delay_alu instid0(SALU_CYCLE_1)
	s_and_not1_b32 s2, s60, exec_lo
	s_and_b32 s4, s62, exec_lo
	s_and_b32 s18, s18, exec_lo
	;; [unrolled: 1-line block ×3, first 2 shown]
	s_or_b32 s60, s2, s4
.LBB54_4988:
	s_or_b32 exec_lo, exec_lo, s61
	s_delay_alu instid0(SALU_CYCLE_1)
	s_and_not1_b32 s2, s17, exec_lo
	s_and_b32 s4, s60, exec_lo
	s_and_b32 s18, s18, exec_lo
	;; [unrolled: 1-line block ×3, first 2 shown]
	s_or_b32 s17, s2, s4
.LBB54_4989:
	s_or_b32 exec_lo, exec_lo, s51
	s_branch .LBB54_4319
.LBB54_4990:                            ;   in Loop: Header=BB54_4991 Depth=1
	s_or_b32 exec_lo, exec_lo, s0
	global_load_b64 v[24:25], v16, s[40:41]
	v_mul_u64_e32 v[26:27], s[42:43], v[20:21]
	s_add_co_i32 s35, s35, -1
	s_add_nc_u64 s[36:37], s[36:37], -8
	s_cmp_eq_u32 s35, 0
	s_wait_xcnt 0x0
	s_add_nc_u64 s[40:41], s[40:41], -8
	s_delay_alu instid0(VALU_DEP_1) | instskip(SKIP_1) | instid1(VALU_DEP_1)
	v_sub_nc_u64_e32 v[18:19], v[18:19], v[26:27]
	s_wait_loadcnt 0x0
	v_mad_nc_u64_u32 v[14:15], v18, v24, v[14:15]
	s_delay_alu instid0(VALU_DEP_1) | instskip(NEXT) | instid1(VALU_DEP_1)
	v_mad_u32 v1, v19, v24, v15
	v_mad_u32 v15, v18, v25, v1
	v_mov_b64_e32 v[18:19], v[20:21]
	s_cbranch_scc1 .LBB54_4995
.LBB54_4991:                            ; =>This Inner Loop Header: Depth=1
	global_load_b64 v[20:21], v16, s[36:37]
	s_mov_b32 s0, exec_lo
	s_wait_loadcnt 0x0
	v_or_b32_e32 v17, v19, v21
	v_readfirstlane_b32 s42, v20
	v_readfirstlane_b32 s43, v21
                                        ; implicit-def: $vgpr20_vgpr21
	s_wait_xcnt 0x0
	s_delay_alu instid0(VALU_DEP_3)
	v_cmpx_ne_u64_e32 0, v[16:17]
	s_xor_b32 s77, exec_lo, s0
	s_cbranch_execz .LBB54_4993
; %bb.4992:                             ;   in Loop: Header=BB54_4991 Depth=1
	s_ashr_i32 s44, s43, 31
	v_dual_mov_b32 v27, v16 :: v_dual_ashrrev_i32 v20, 31, v19
	s_mov_b32 s45, s44
	v_mov_b32_e32 v31, v16
	s_add_nc_u64 s[46:47], s[42:43], s[44:45]
	s_delay_alu instid0(VALU_DEP_2)
	v_mov_b32_e32 v21, v20
	s_xor_b64 s[46:47], s[46:47], s[44:45]
	v_mov_b32_e32 v35, v16
	s_cvt_f32_u32 s0, s46
	s_cvt_f32_u32 s45, s47
	s_sub_nc_u64 s[80:81], 0, s[46:47]
	v_add_nc_u64_e32 v[24:25], v[18:19], v[20:21]
	s_delay_alu instid0(SALU_CYCLE_1) | instskip(NEXT) | instid1(SALU_CYCLE_3)
	s_fmamk_f32 s0, s45, 0x4f800000, s0
	v_s_rcp_f32 s0, s0
	s_delay_alu instid0(VALU_DEP_1) | instskip(NEXT) | instid1(VALU_DEP_2)
	v_xor_b32_e32 v30, v25, v20
	v_xor_b32_e32 v26, v24, v20
	s_delay_alu instid0(TRANS32_DEP_1) | instskip(NEXT) | instid1(SALU_CYCLE_3)
	s_mul_f32 s0, s0, 0x5f7ffffc
	s_mul_f32 s45, s0, 0x2f800000
	s_delay_alu instid0(SALU_CYCLE_3) | instskip(NEXT) | instid1(SALU_CYCLE_3)
	s_trunc_f32 s45, s45
	s_fmamk_f32 s0, s45, 0xcf800000, s0
	s_cvt_u32_f32 s79, s45
	s_delay_alu instid0(SALU_CYCLE_2) | instskip(NEXT) | instid1(SALU_CYCLE_3)
	s_cvt_u32_f32 s78, s0
	s_mul_u64 s[82:83], s[80:81], s[78:79]
	s_delay_alu instid0(SALU_CYCLE_1)
	s_mul_hi_u32 s85, s78, s83
	s_mul_i32 s84, s78, s83
	s_mul_hi_u32 s0, s78, s82
	s_mul_i32 s86, s79, s82
	s_add_nc_u64 s[84:85], s[0:1], s[84:85]
	s_mul_hi_u32 s45, s79, s82
	s_mul_hi_u32 s87, s79, s83
	s_add_co_u32 s0, s84, s86
	s_add_co_ci_u32 s0, s85, s45
	s_mul_i32 s82, s79, s83
	s_add_co_ci_u32 s83, s87, 0
	s_delay_alu instid0(SALU_CYCLE_1) | instskip(NEXT) | instid1(SALU_CYCLE_1)
	s_add_nc_u64 s[82:83], s[0:1], s[82:83]
	s_add_co_u32 s78, s78, s82
	s_cselect_b32 s0, -1, 0
	s_delay_alu instid0(SALU_CYCLE_1) | instskip(SKIP_1) | instid1(SALU_CYCLE_1)
	s_cmp_lg_u32 s0, 0
	s_add_co_ci_u32 s79, s79, s83
	s_mul_u64 s[80:81], s[80:81], s[78:79]
	s_delay_alu instid0(SALU_CYCLE_1)
	s_mul_hi_u32 s83, s78, s81
	s_mul_i32 s82, s78, s81
	s_mul_hi_u32 s0, s78, s80
	s_mul_i32 s84, s79, s80
	s_add_nc_u64 s[82:83], s[0:1], s[82:83]
	s_mul_hi_u32 s45, s79, s80
	s_mul_hi_u32 s85, s79, s81
	s_add_co_u32 s0, s82, s84
	s_add_co_ci_u32 s0, s83, s45
	s_mul_i32 s80, s79, s81
	s_add_co_ci_u32 s81, s85, 0
	s_delay_alu instid0(SALU_CYCLE_1) | instskip(NEXT) | instid1(SALU_CYCLE_1)
	s_add_nc_u64 s[80:81], s[0:1], s[80:81]
	s_add_co_u32 s78, s78, s80
	s_cselect_b32 s0, -1, 0
	v_mul_hi_u32 v34, v26, s78
	s_cmp_lg_u32 s0, 0
	s_add_co_ci_u32 s0, s79, s81
	s_and_b64 s[80:81], s[78:79], s[18:19]
	v_mul_u64_e32 v[28:29], s[0:1], v[26:27]
	v_mul_u64_e32 v[24:25], s[80:81], v[30:31]
	v_mul_u64_e32 v[32:33], s[0:1], v[30:31]
	s_delay_alu instid0(VALU_DEP_3) | instskip(NEXT) | instid1(VALU_DEP_1)
	v_add_nc_u64_e32 v[28:29], v[34:35], v[28:29]
	v_add_co_u32 v1, vcc_lo, v28, v24
	s_delay_alu instid0(VALU_DEP_2) | instskip(NEXT) | instid1(VALU_DEP_4)
	v_add_co_ci_u32_e32 v34, vcc_lo, v29, v25, vcc_lo
	v_add_co_ci_u32_e32 v33, vcc_lo, 0, v33, vcc_lo
	s_delay_alu instid0(VALU_DEP_1) | instskip(NEXT) | instid1(VALU_DEP_1)
	v_add_nc_u64_e32 v[24:25], v[34:35], v[32:33]
	v_mul_u64_e32 v[28:29], s[46:47], v[24:25]
	s_delay_alu instid0(VALU_DEP_1) | instskip(NEXT) | instid1(VALU_DEP_2)
	v_sub_nc_u32_e32 v1, v30, v29
	v_sub_co_u32 v3, vcc_lo, v26, v28
	s_delay_alu instid0(VALU_DEP_1) | instskip(NEXT) | instid1(VALU_DEP_3)
	v_sub_co_ci_u32_e64 v7, null, v30, v29, vcc_lo
	v_subrev_co_ci_u32_e64 v1, null, s47, v1, vcc_lo
	s_delay_alu instid0(VALU_DEP_3) | instskip(SKIP_1) | instid1(VALU_DEP_3)
	v_sub_co_u32 v5, s0, v3, s46
	v_add_nc_u64_e32 v[26:27], 2, v[24:25]
	v_subrev_co_ci_u32_e64 v1, null, 0, v1, s0
	s_delay_alu instid0(VALU_DEP_3) | instskip(SKIP_2) | instid1(VALU_DEP_4)
	v_cmp_le_u32_e32 vcc_lo, s46, v5
	v_add_nc_u64_e32 v[28:29], 1, v[24:25]
	v_cndmask_b32_e64 v5, 0, -1, vcc_lo
	v_cmp_le_u32_e32 vcc_lo, s47, v1
	v_cndmask_b32_e64 v9, 0, -1, vcc_lo
	v_cmp_le_u32_e32 vcc_lo, s46, v3
	;; [unrolled: 2-line block ×3, first 2 shown]
	v_cndmask_b32_e64 v11, 0, -1, vcc_lo
	v_cmp_eq_u32_e32 vcc_lo, s47, v1
	v_cndmask_b32_e32 v1, v9, v5, vcc_lo
	v_cmp_eq_u32_e32 vcc_lo, s47, v7
	s_delay_alu instid0(VALU_DEP_4) | instskip(NEXT) | instid1(VALU_DEP_3)
	v_cndmask_b32_e32 v3, v11, v3, vcc_lo
	v_cmp_ne_u32_e32 vcc_lo, 0, v1
	s_delay_alu instid0(VALU_DEP_2) | instskip(SKIP_1) | instid1(VALU_DEP_1)
	v_cmp_ne_u32_e64 s0, 0, v3
	v_dual_cndmask_b32 v1, v29, v27, vcc_lo :: v_dual_cndmask_b32 v3, v28, v26, vcc_lo
	v_dual_cndmask_b32 v1, v25, v1, s0 :: v_dual_bitop2_b32 v20, s44, v20 bitop3:0x14
	s_delay_alu instid0(VALU_DEP_1) | instskip(NEXT) | instid1(VALU_DEP_1)
	v_dual_cndmask_b32 v3, v24, v3, s0 :: v_dual_bitop2_b32 v25, v1, v20 bitop3:0x14
	v_dual_mov_b32 v21, v20 :: v_dual_bitop2_b32 v24, v3, v20 bitop3:0x14
	s_delay_alu instid0(VALU_DEP_1)
	v_sub_nc_u64_e32 v[20:21], v[24:25], v[20:21]
.LBB54_4993:                            ;   in Loop: Header=BB54_4991 Depth=1
	s_and_not1_saveexec_b32 s0, s77
	s_cbranch_execz .LBB54_4990
; %bb.4994:                             ;   in Loop: Header=BB54_4991 Depth=1
	v_cvt_f32_u32_e32 v1, s42
	s_sub_co_i32 s44, 0, s42
	v_mov_b32_e32 v21, v16
	s_delay_alu instid0(VALU_DEP_2) | instskip(SKIP_1) | instid1(TRANS32_DEP_1)
	v_rcp_iflag_f32_e32 v1, v1
	v_nop
	v_mul_f32_e32 v1, 0x4f7ffffe, v1
	s_delay_alu instid0(VALU_DEP_1) | instskip(NEXT) | instid1(VALU_DEP_1)
	v_cvt_u32_f32_e32 v1, v1
	v_mul_lo_u32 v3, s44, v1
	s_delay_alu instid0(VALU_DEP_1) | instskip(NEXT) | instid1(VALU_DEP_1)
	v_mul_hi_u32 v3, v1, v3
	v_add_nc_u32_e32 v1, v1, v3
	s_delay_alu instid0(VALU_DEP_1) | instskip(NEXT) | instid1(VALU_DEP_1)
	v_mul_hi_u32 v1, v18, v1
	v_mul_lo_u32 v3, v1, s42
	s_delay_alu instid0(VALU_DEP_1) | instskip(NEXT) | instid1(VALU_DEP_1)
	v_sub_nc_u32_e32 v3, v18, v3
	v_subrev_nc_u32_e32 v7, s42, v3
	v_cmp_le_u32_e32 vcc_lo, s42, v3
	s_delay_alu instid0(VALU_DEP_2) | instskip(NEXT) | instid1(VALU_DEP_1)
	v_dual_add_nc_u32 v5, 1, v1 :: v_dual_cndmask_b32 v3, v3, v7, vcc_lo
	v_cndmask_b32_e32 v1, v1, v5, vcc_lo
	s_delay_alu instid0(VALU_DEP_2) | instskip(NEXT) | instid1(VALU_DEP_2)
	v_cmp_le_u32_e32 vcc_lo, s42, v3
	v_add_nc_u32_e32 v5, 1, v1
	s_delay_alu instid0(VALU_DEP_1)
	v_cndmask_b32_e32 v20, v1, v5, vcc_lo
	s_branch .LBB54_4990
.LBB54_4995:
	s_mov_b32 s35, -1
	s_mov_b32 s1, s75
	s_mov_b32 s0, exec_lo
	v_cmpx_gt_i32_e64 v12, v10
	s_cbranch_execz .LBB54_5002
; %bb.4996:
	s_delay_alu instid0(VALU_DEP_2) | instskip(SKIP_3) | instid1(VALU_DEP_1)
	v_lshlrev_b64_e32 v[14:15], 2, v[14:15]
	v_dual_ashrrev_i32 v11, 31, v10 :: v_dual_ashrrev_i32 v13, 31, v12
	s_mov_b32 s18, 0
	s_xor_b32 s19, s50, -1
                                        ; implicit-def: $sgpr1
                                        ; implicit-def: $sgpr36
                                        ; implicit-def: $sgpr35
	v_lshl_add_u64 v[10:11], v[10:11], 2, v[14:15]
	v_add_nc_u64_e32 v[14:15], s[30:31], v[14:15]
	s_delay_alu instid0(VALU_DEP_2) | instskip(NEXT) | instid1(VALU_DEP_2)
	v_add_nc_u64_e32 v[10:11], s[30:31], v[10:11]
	v_lshl_add_u64 v[12:13], v[12:13], 2, v[14:15]
	s_delay_alu instid0(VALU_DEP_2)
	v_add_nc_u64_e32 v[10:11], 4, v[10:11]
	s_branch .LBB54_4998
.LBB54_4997:                            ;   in Loop: Header=BB54_4998 Depth=1
	s_or_b32 exec_lo, exec_lo, s37
	s_xor_b32 s37, s35, -1
	s_and_b32 s40, exec_lo, s36
	s_delay_alu instid0(SALU_CYCLE_1) | instskip(SKIP_2) | instid1(SALU_CYCLE_1)
	s_or_b32 s18, s40, s18
	s_and_not1_b32 s1, s1, exec_lo
	s_and_b32 s37, s37, exec_lo
	s_or_b32 s1, s1, s37
	s_and_not1_b32 exec_lo, exec_lo, s18
	s_cbranch_execz .LBB54_5000
.LBB54_4998:                            ; =>This Inner Loop Header: Depth=1
	s_or_b32 s35, s35, exec_lo
	s_or_b32 s36, s36, exec_lo
	s_mov_b32 s37, exec_lo
	s_delay_alu instid0(VALU_DEP_1)
	v_cmpx_lt_u64_e64 v[10:11], v[12:13]
	s_cbranch_execz .LBB54_4997
; %bb.4999:                             ;   in Loop: Header=BB54_4998 Depth=1
	global_load_b64 v[14:15], v[10:11], off offset:-4
	s_wait_xcnt 0x0
	v_add_nc_u64_e32 v[10:11], 4, v[10:11]
	s_and_not1_b32 s36, s36, exec_lo
	s_and_not1_b32 s35, s35, exec_lo
	s_wait_loadcnt 0x0
	v_cmp_ge_i32_e32 vcc_lo, v14, v15
	s_or_b32 s40, s19, vcc_lo
	s_delay_alu instid0(SALU_CYCLE_1) | instskip(NEXT) | instid1(SALU_CYCLE_1)
	s_and_b32 s40, s40, exec_lo
	s_or_b32 s36, s36, s40
	s_branch .LBB54_4997
.LBB54_5000:
	s_or_b32 exec_lo, exec_lo, s18
	s_mov_b32 s18, -1
	s_mov_b32 s19, s75
	s_and_saveexec_b32 s35, s1
	s_delay_alu instid0(SALU_CYCLE_1)
	s_xor_b32 s1, exec_lo, s35
	s_cbranch_execnz .LBB54_5015
.LBB54_5001:
	s_or_b32 exec_lo, exec_lo, s1
	s_delay_alu instid0(SALU_CYCLE_1)
	s_and_not1_b32 s1, s75, exec_lo
	s_and_b32 s19, s19, exec_lo
	s_or_not1_b32 s35, s18, exec_lo
	s_or_b32 s1, s1, s19
.LBB54_5002:
	s_or_b32 exec_lo, exec_lo, s0
	s_mov_b32 s18, 0
	s_mov_b32 s19, 0
                                        ; implicit-def: $sgpr0
                                        ; implicit-def: $vgpr14_vgpr15
	s_and_saveexec_b32 s36, s35
	s_cbranch_execz .LBB54_5652
; %bb.5003:
	v_add_nc_u32_e32 v0, s67, v0
	s_cmp_lt_i32 s55, 11
	s_delay_alu instid0(VALU_DEP_1) | instskip(NEXT) | instid1(VALU_DEP_1)
	v_ashrrev_i32_e32 v1, 31, v0
	v_add_nc_u64_e32 v[0:1], s[6:7], v[0:1]
	s_cbranch_scc1 .LBB54_5011
; %bb.5004:
	s_and_b32 s0, 0xffff, s55
	s_mov_b32 s7, 0
	s_cmp_gt_i32 s0, 25
	s_cbranch_scc0 .LBB54_5012
; %bb.5005:
	s_cmp_gt_i32 s0, 28
	s_cbranch_scc0 .LBB54_5013
; %bb.5006:
	;; [unrolled: 3-line block ×4, first 2 shown]
	s_cmp_eq_u32 s0, 46
	s_cbranch_scc0 .LBB54_5017
; %bb.5009:
	global_load_b32 v3, v[0:1], off
	s_mov_b32 s6, 0
	s_mov_b32 s18, -1
	s_wait_loadcnt 0x0
	v_lshlrev_b32_e32 v3, 16, v3
	s_delay_alu instid0(VALU_DEP_1)
	v_cvt_i32_f32_e32 v7, v3
	s_branch .LBB54_5019
.LBB54_5010:
	s_or_b32 s66, s66, exec_lo
	s_trap 2
	s_cbranch_execz .LBB54_4924
	s_branch .LBB54_4925
.LBB54_5011:
	s_mov_b32 s0, -1
	s_mov_b32 s37, s1
                                        ; implicit-def: $vgpr7
	s_branch .LBB54_5081
.LBB54_5012:
	s_mov_b32 s19, -1
	s_mov_b32 s6, 0
                                        ; implicit-def: $vgpr7
	s_branch .LBB54_5046
.LBB54_5013:
	s_mov_b32 s19, -1
	s_mov_b32 s6, 0
                                        ; implicit-def: $vgpr7
	s_branch .LBB54_5029
.LBB54_5014:
	s_mov_b32 s19, -1
	s_mov_b32 s6, 0
                                        ; implicit-def: $vgpr7
	s_branch .LBB54_5024
.LBB54_5015:
	s_or_b32 s19, s75, exec_lo
	s_xor_b32 s18, exec_lo, -1
	s_trap 2
	s_branch .LBB54_5001
.LBB54_5016:
	s_mov_b32 s19, -1
	s_mov_b32 s6, 0
	s_branch .LBB54_5018
.LBB54_5017:
	s_mov_b32 s6, -1
.LBB54_5018:
                                        ; implicit-def: $vgpr7
.LBB54_5019:
	s_and_b32 vcc_lo, exec_lo, s19
	s_cbranch_vccz .LBB54_5023
; %bb.5020:
	s_cmp_eq_u32 s0, 44
	s_cbranch_scc0 .LBB54_5022
; %bb.5021:
	global_load_u8 v3, v[0:1], off
	s_mov_b32 s6, 0
	s_mov_b32 s18, -1
	s_wait_loadcnt 0x0
	v_lshlrev_b32_e32 v5, 23, v3
	v_cmp_ne_u32_e32 vcc_lo, 0, v3
	s_delay_alu instid0(VALU_DEP_2) | instskip(NEXT) | instid1(VALU_DEP_1)
	v_cvt_i32_f32_e32 v5, v5
	v_cndmask_b32_e32 v7, 0, v5, vcc_lo
	s_branch .LBB54_5023
.LBB54_5022:
	s_mov_b32 s6, -1
                                        ; implicit-def: $vgpr7
.LBB54_5023:
	s_mov_b32 s19, 0
.LBB54_5024:
	s_delay_alu instid0(SALU_CYCLE_1)
	s_and_b32 vcc_lo, exec_lo, s19
	s_cbranch_vccz .LBB54_5028
; %bb.5025:
	s_cmp_eq_u32 s0, 29
	s_cbranch_scc0 .LBB54_5027
; %bb.5026:
	global_load_b32 v7, v[0:1], off
	s_mov_b32 s6, 0
	s_mov_b32 s18, -1
	s_branch .LBB54_5028
.LBB54_5027:
	s_mov_b32 s6, -1
                                        ; implicit-def: $vgpr7
.LBB54_5028:
	s_mov_b32 s19, 0
.LBB54_5029:
	s_delay_alu instid0(SALU_CYCLE_1)
	s_and_b32 vcc_lo, exec_lo, s19
	s_cbranch_vccz .LBB54_5045
; %bb.5030:
	s_cmp_lt_i32 s0, 27
	s_cbranch_scc1 .LBB54_5033
; %bb.5031:
	s_cmp_gt_i32 s0, 27
	s_cbranch_scc0 .LBB54_5034
; %bb.5032:
	s_wait_loadcnt 0x0
	global_load_b32 v7, v[0:1], off
	s_mov_b32 s18, 0
	s_branch .LBB54_5035
.LBB54_5033:
	s_mov_b32 s18, -1
                                        ; implicit-def: $vgpr7
	s_branch .LBB54_5038
.LBB54_5034:
	s_mov_b32 s18, -1
                                        ; implicit-def: $vgpr7
.LBB54_5035:
	s_delay_alu instid0(SALU_CYCLE_1)
	s_and_not1_b32 vcc_lo, exec_lo, s18
	s_cbranch_vccnz .LBB54_5037
; %bb.5036:
	s_wait_loadcnt 0x0
	global_load_u16 v7, v[0:1], off
.LBB54_5037:
	s_mov_b32 s18, 0
.LBB54_5038:
	s_delay_alu instid0(SALU_CYCLE_1)
	s_and_not1_b32 vcc_lo, exec_lo, s18
	s_cbranch_vccnz .LBB54_5044
; %bb.5039:
	global_load_u8 v3, v[0:1], off
	s_mov_b32 s19, 0
	s_mov_b32 s18, exec_lo
	s_wait_loadcnt 0x0
	v_cmpx_lt_i16_e32 0x7f, v3
	s_xor_b32 s18, exec_lo, s18
	s_cbranch_execz .LBB54_5056
; %bb.5040:
	v_cmp_ne_u16_e32 vcc_lo, 0x80, v3
	s_and_b32 s19, vcc_lo, exec_lo
	s_and_not1_saveexec_b32 s18, s18
	s_cbranch_execnz .LBB54_5057
.LBB54_5041:
	s_or_b32 exec_lo, exec_lo, s18
	v_mov_b32_e32 v7, 0
	s_and_saveexec_b32 s18, s19
	s_cbranch_execz .LBB54_5043
.LBB54_5042:
	v_and_b32_e32 v5, 0xffff, v3
	s_delay_alu instid0(VALU_DEP_1) | instskip(SKIP_1) | instid1(VALU_DEP_2)
	v_dual_lshlrev_b32 v3, 24, v3 :: v_dual_bitop2_b32 v7, 7, v5 bitop3:0x40
	v_bfe_u32 v11, v5, 3, 4
	v_and_b32_e32 v3, 0x80000000, v3
	s_delay_alu instid0(VALU_DEP_3) | instskip(NEXT) | instid1(VALU_DEP_3)
	v_clz_i32_u32_e32 v9, v7
	v_cmp_eq_u32_e32 vcc_lo, 0, v11
	s_delay_alu instid0(VALU_DEP_2) | instskip(NEXT) | instid1(VALU_DEP_1)
	v_min_u32_e32 v9, 32, v9
	v_subrev_nc_u32_e32 v10, 28, v9
	v_sub_nc_u32_e32 v9, 29, v9
	s_delay_alu instid0(VALU_DEP_2) | instskip(NEXT) | instid1(VALU_DEP_2)
	v_lshlrev_b32_e32 v5, v10, v5
	v_cndmask_b32_e32 v9, v11, v9, vcc_lo
	s_delay_alu instid0(VALU_DEP_2) | instskip(NEXT) | instid1(VALU_DEP_1)
	v_and_b32_e32 v5, 7, v5
	v_cndmask_b32_e32 v5, v7, v5, vcc_lo
	s_delay_alu instid0(VALU_DEP_3) | instskip(NEXT) | instid1(VALU_DEP_2)
	v_lshl_add_u32 v7, v9, 23, 0x3b800000
	v_lshlrev_b32_e32 v5, 20, v5
	s_delay_alu instid0(VALU_DEP_1) | instskip(NEXT) | instid1(VALU_DEP_1)
	v_or3_b32 v3, v3, v7, v5
	v_cvt_i32_f32_e32 v7, v3
.LBB54_5043:
	s_or_b32 exec_lo, exec_lo, s18
.LBB54_5044:
	s_mov_b32 s18, -1
.LBB54_5045:
	s_mov_b32 s19, 0
.LBB54_5046:
	s_delay_alu instid0(SALU_CYCLE_1)
	s_and_b32 vcc_lo, exec_lo, s19
	s_cbranch_vccz .LBB54_5077
; %bb.5047:
	s_cmp_gt_i32 s0, 22
	s_cbranch_scc0 .LBB54_5055
; %bb.5048:
	s_cmp_lt_i32 s0, 24
	s_cbranch_scc1 .LBB54_5058
; %bb.5049:
	s_cmp_gt_i32 s0, 24
	s_cbranch_scc0 .LBB54_5059
; %bb.5050:
	global_load_u8 v3, v[0:1], off
	s_mov_b32 s18, 0
	s_mov_b32 s7, exec_lo
	s_wait_loadcnt 0x0
	v_cmpx_lt_i16_e32 0x7f, v3
	s_xor_b32 s7, exec_lo, s7
	s_cbranch_execz .LBB54_5071
; %bb.5051:
	v_cmp_ne_u16_e32 vcc_lo, 0x80, v3
	s_and_b32 s18, vcc_lo, exec_lo
	s_and_not1_saveexec_b32 s7, s7
	s_cbranch_execnz .LBB54_5072
.LBB54_5052:
	s_or_b32 exec_lo, exec_lo, s7
	v_mov_b32_e32 v7, 0
	s_and_saveexec_b32 s7, s18
	s_cbranch_execz .LBB54_5054
.LBB54_5053:
	v_and_b32_e32 v5, 0xffff, v3
	s_delay_alu instid0(VALU_DEP_1) | instskip(SKIP_1) | instid1(VALU_DEP_2)
	v_dual_lshlrev_b32 v3, 24, v3 :: v_dual_bitop2_b32 v7, 3, v5 bitop3:0x40
	v_bfe_u32 v11, v5, 2, 5
	v_and_b32_e32 v3, 0x80000000, v3
	s_delay_alu instid0(VALU_DEP_3) | instskip(NEXT) | instid1(VALU_DEP_3)
	v_clz_i32_u32_e32 v9, v7
	v_cmp_eq_u32_e32 vcc_lo, 0, v11
	s_delay_alu instid0(VALU_DEP_2) | instskip(NEXT) | instid1(VALU_DEP_1)
	v_min_u32_e32 v9, 32, v9
	v_subrev_nc_u32_e32 v10, 29, v9
	v_sub_nc_u32_e32 v9, 30, v9
	s_delay_alu instid0(VALU_DEP_2) | instskip(NEXT) | instid1(VALU_DEP_2)
	v_lshlrev_b32_e32 v5, v10, v5
	v_cndmask_b32_e32 v9, v11, v9, vcc_lo
	s_delay_alu instid0(VALU_DEP_2) | instskip(NEXT) | instid1(VALU_DEP_1)
	v_and_b32_e32 v5, 3, v5
	v_cndmask_b32_e32 v5, v7, v5, vcc_lo
	s_delay_alu instid0(VALU_DEP_3) | instskip(NEXT) | instid1(VALU_DEP_2)
	v_lshl_add_u32 v7, v9, 23, 0x37800000
	v_lshlrev_b32_e32 v5, 21, v5
	s_delay_alu instid0(VALU_DEP_1) | instskip(NEXT) | instid1(VALU_DEP_1)
	v_or3_b32 v3, v3, v7, v5
	v_cvt_i32_f32_e32 v7, v3
.LBB54_5054:
	s_or_b32 exec_lo, exec_lo, s7
	s_mov_b32 s7, 0
	s_branch .LBB54_5060
.LBB54_5055:
	s_mov_b32 s7, -1
                                        ; implicit-def: $vgpr7
	s_branch .LBB54_5066
.LBB54_5056:
	s_and_not1_saveexec_b32 s18, s18
	s_cbranch_execz .LBB54_5041
.LBB54_5057:
	v_cmp_ne_u16_e32 vcc_lo, 0, v3
	s_and_not1_b32 s19, s19, exec_lo
	s_and_b32 s35, vcc_lo, exec_lo
	s_delay_alu instid0(SALU_CYCLE_1)
	s_or_b32 s19, s19, s35
	s_or_b32 exec_lo, exec_lo, s18
	v_mov_b32_e32 v7, 0
	s_and_saveexec_b32 s18, s19
	s_cbranch_execnz .LBB54_5042
	s_branch .LBB54_5043
.LBB54_5058:
	s_mov_b32 s7, -1
                                        ; implicit-def: $vgpr7
	s_branch .LBB54_5063
.LBB54_5059:
	s_mov_b32 s7, -1
                                        ; implicit-def: $vgpr7
.LBB54_5060:
	s_delay_alu instid0(SALU_CYCLE_1)
	s_and_b32 vcc_lo, exec_lo, s7
	s_cbranch_vccz .LBB54_5062
; %bb.5061:
	global_load_u8 v3, v[0:1], off
	s_wait_loadcnt 0x0
	v_lshlrev_b32_e32 v3, 24, v3
	s_delay_alu instid0(VALU_DEP_1) | instskip(NEXT) | instid1(VALU_DEP_1)
	v_and_b32_e32 v5, 0x7f000000, v3
	v_clz_i32_u32_e32 v7, v5
	v_cmp_ne_u32_e32 vcc_lo, 0, v5
	v_add_nc_u32_e32 v10, 0x1000000, v5
	s_delay_alu instid0(VALU_DEP_3) | instskip(NEXT) | instid1(VALU_DEP_1)
	v_min_u32_e32 v7, 32, v7
	v_sub_nc_u32_e64 v7, v7, 4 clamp
	s_delay_alu instid0(VALU_DEP_1) | instskip(NEXT) | instid1(VALU_DEP_1)
	v_dual_lshlrev_b32 v9, v7, v5 :: v_dual_lshlrev_b32 v7, 23, v7
	v_lshrrev_b32_e32 v9, 4, v9
	s_delay_alu instid0(VALU_DEP_1) | instskip(NEXT) | instid1(VALU_DEP_1)
	v_dual_sub_nc_u32 v7, v9, v7 :: v_dual_ashrrev_i32 v9, 8, v10
	v_add_nc_u32_e32 v7, 0x3c000000, v7
	s_delay_alu instid0(VALU_DEP_1) | instskip(NEXT) | instid1(VALU_DEP_1)
	v_and_or_b32 v7, 0x7f800000, v9, v7
	v_cndmask_b32_e32 v5, 0, v7, vcc_lo
	s_delay_alu instid0(VALU_DEP_1) | instskip(NEXT) | instid1(VALU_DEP_1)
	v_and_or_b32 v3, 0x80000000, v3, v5
	v_cvt_i32_f32_e32 v7, v3
.LBB54_5062:
	s_mov_b32 s7, 0
.LBB54_5063:
	s_delay_alu instid0(SALU_CYCLE_1)
	s_and_not1_b32 vcc_lo, exec_lo, s7
	s_cbranch_vccnz .LBB54_5065
; %bb.5064:
	global_load_u8 v3, v[0:1], off
	s_wait_loadcnt 0x0
	v_lshlrev_b32_e32 v5, 25, v3
	v_lshlrev_b16 v3, 8, v3
	s_delay_alu instid0(VALU_DEP_1) | instskip(SKIP_1) | instid1(VALU_DEP_2)
	v_and_or_b32 v9, 0x7f00, v3, 0.5
	v_bfe_i32 v3, v3, 0, 16
	v_add_f32_e32 v9, -0.5, v9
	v_lshrrev_b32_e32 v7, 4, v5
	v_cmp_gt_u32_e32 vcc_lo, 0x8000000, v5
	s_delay_alu instid0(VALU_DEP_2) | instskip(NEXT) | instid1(VALU_DEP_1)
	v_or_b32_e32 v7, 0x70000000, v7
	v_mul_f32_e32 v7, 0x7800000, v7
	s_delay_alu instid0(VALU_DEP_1) | instskip(NEXT) | instid1(VALU_DEP_1)
	v_cndmask_b32_e32 v5, v7, v9, vcc_lo
	v_and_or_b32 v3, 0x80000000, v3, v5
	s_delay_alu instid0(VALU_DEP_1)
	v_cvt_i32_f32_e32 v7, v3
.LBB54_5065:
	s_mov_b32 s7, 0
	s_mov_b32 s18, -1
.LBB54_5066:
	s_and_not1_b32 vcc_lo, exec_lo, s7
	s_mov_b32 s7, 0
	s_cbranch_vccnz .LBB54_5077
; %bb.5067:
	s_cmp_gt_i32 s0, 14
	s_cbranch_scc0 .LBB54_5070
; %bb.5068:
	s_cmp_eq_u32 s0, 15
	s_cbranch_scc0 .LBB54_5073
; %bb.5069:
	global_load_u16 v3, v[0:1], off
	s_mov_b32 s6, 0
	s_mov_b32 s18, -1
	s_wait_loadcnt 0x0
	v_lshlrev_b32_e32 v3, 16, v3
	s_delay_alu instid0(VALU_DEP_1)
	v_cvt_i32_f32_e32 v7, v3
	s_branch .LBB54_5075
.LBB54_5070:
	s_mov_b32 s7, -1
	s_branch .LBB54_5074
.LBB54_5071:
	s_and_not1_saveexec_b32 s7, s7
	s_cbranch_execz .LBB54_5052
.LBB54_5072:
	v_cmp_ne_u16_e32 vcc_lo, 0, v3
	s_and_not1_b32 s18, s18, exec_lo
	s_and_b32 s19, vcc_lo, exec_lo
	s_delay_alu instid0(SALU_CYCLE_1)
	s_or_b32 s18, s18, s19
	s_or_b32 exec_lo, exec_lo, s7
	v_mov_b32_e32 v7, 0
	s_and_saveexec_b32 s7, s18
	s_cbranch_execnz .LBB54_5053
	s_branch .LBB54_5054
.LBB54_5073:
	s_mov_b32 s6, -1
.LBB54_5074:
                                        ; implicit-def: $vgpr7
.LBB54_5075:
	s_and_b32 vcc_lo, exec_lo, s7
	s_mov_b32 s7, 0
	s_cbranch_vccz .LBB54_5077
; %bb.5076:
	s_cmp_lg_u32 s0, 11
	s_mov_b32 s7, -1
	s_cselect_b32 s6, -1, 0
.LBB54_5077:
	s_delay_alu instid0(SALU_CYCLE_1)
	s_and_b32 vcc_lo, exec_lo, s6
	s_mov_b32 s37, s1
	s_cbranch_vccnz .LBB54_5142
; %bb.5078:
	s_and_not1_b32 vcc_lo, exec_lo, s7
	s_cbranch_vccnz .LBB54_5080
.LBB54_5079:
	global_load_u8 v3, v[0:1], off
	s_mov_b32 s18, -1
	s_wait_loadcnt 0x0
	v_cmp_ne_u16_e32 vcc_lo, 0, v3
	v_cndmask_b32_e64 v7, 0, 1, vcc_lo
.LBB54_5080:
	s_mov_b32 s0, 0
.LBB54_5081:
	s_delay_alu instid0(SALU_CYCLE_1)
	s_and_b32 vcc_lo, exec_lo, s0
	s_cbranch_vccz .LBB54_5130
; %bb.5082:
	s_and_b32 s0, 0xffff, s55
	s_delay_alu instid0(SALU_CYCLE_1)
	s_cmp_lt_i32 s0, 5
	s_cbranch_scc1 .LBB54_5087
; %bb.5083:
	s_cmp_lt_i32 s0, 8
	s_cbranch_scc1 .LBB54_5088
; %bb.5084:
	;; [unrolled: 3-line block ×3, first 2 shown]
	s_cmp_gt_i32 s0, 9
	s_cbranch_scc0 .LBB54_5090
; %bb.5086:
	global_load_b64 v[10:11], v[0:1], off
	s_mov_b32 s6, 0
	s_wait_loadcnt 0x0
	v_cvt_i32_f64_e32 v7, v[10:11]
	s_branch .LBB54_5091
.LBB54_5087:
	s_mov_b32 s6, -1
                                        ; implicit-def: $vgpr7
	s_branch .LBB54_5109
.LBB54_5088:
	s_mov_b32 s6, -1
                                        ; implicit-def: $vgpr7
	s_branch .LBB54_5097
.LBB54_5089:
	s_mov_b32 s6, -1
                                        ; implicit-def: $vgpr7
	s_branch .LBB54_5094
.LBB54_5090:
	s_mov_b32 s6, -1
                                        ; implicit-def: $vgpr7
.LBB54_5091:
	s_delay_alu instid0(SALU_CYCLE_1)
	s_and_not1_b32 vcc_lo, exec_lo, s6
	s_cbranch_vccnz .LBB54_5093
; %bb.5092:
	global_load_b32 v3, v[0:1], off
	s_wait_loadcnt 0x0
	v_cvt_i32_f32_e32 v7, v3
.LBB54_5093:
	s_mov_b32 s6, 0
.LBB54_5094:
	s_delay_alu instid0(SALU_CYCLE_1)
	s_and_not1_b32 vcc_lo, exec_lo, s6
	s_cbranch_vccnz .LBB54_5096
; %bb.5095:
	global_load_b32 v3, v[0:1], off
	s_wait_loadcnt 0x0
	v_cvt_f32_f16_e32 v3, v3
	s_delay_alu instid0(VALU_DEP_1)
	v_cvt_i32_f32_e32 v7, v3
.LBB54_5096:
	s_mov_b32 s6, 0
.LBB54_5097:
	s_delay_alu instid0(SALU_CYCLE_1)
	s_and_not1_b32 vcc_lo, exec_lo, s6
	s_cbranch_vccnz .LBB54_5108
; %bb.5098:
	s_cmp_lt_i32 s0, 6
	s_cbranch_scc1 .LBB54_5101
; %bb.5099:
	s_cmp_gt_i32 s0, 6
	s_cbranch_scc0 .LBB54_5102
; %bb.5100:
	global_load_b64 v[10:11], v[0:1], off
	s_mov_b32 s6, 0
	s_wait_loadcnt 0x0
	v_cvt_i32_f64_e32 v7, v[10:11]
	s_branch .LBB54_5103
.LBB54_5101:
	s_mov_b32 s6, -1
                                        ; implicit-def: $vgpr7
	s_branch .LBB54_5106
.LBB54_5102:
	s_mov_b32 s6, -1
                                        ; implicit-def: $vgpr7
.LBB54_5103:
	s_delay_alu instid0(SALU_CYCLE_1)
	s_and_not1_b32 vcc_lo, exec_lo, s6
	s_cbranch_vccnz .LBB54_5105
; %bb.5104:
	global_load_b32 v3, v[0:1], off
	s_wait_loadcnt 0x0
	v_cvt_i32_f32_e32 v7, v3
.LBB54_5105:
	s_mov_b32 s6, 0
.LBB54_5106:
	s_delay_alu instid0(SALU_CYCLE_1)
	s_and_not1_b32 vcc_lo, exec_lo, s6
	s_cbranch_vccnz .LBB54_5108
; %bb.5107:
	global_load_u16 v3, v[0:1], off
	s_wait_loadcnt 0x0
	v_cvt_f32_f16_e32 v3, v3
	s_delay_alu instid0(VALU_DEP_1)
	v_cvt_i32_f32_e32 v7, v3
.LBB54_5108:
	s_mov_b32 s6, 0
.LBB54_5109:
	s_delay_alu instid0(SALU_CYCLE_1)
	s_and_not1_b32 vcc_lo, exec_lo, s6
	s_cbranch_vccnz .LBB54_5129
; %bb.5110:
	s_cmp_lt_i32 s0, 2
	s_cbranch_scc1 .LBB54_5114
; %bb.5111:
	s_cmp_lt_i32 s0, 3
	s_cbranch_scc1 .LBB54_5115
; %bb.5112:
	s_cmp_gt_i32 s0, 3
	s_cbranch_scc0 .LBB54_5116
; %bb.5113:
	s_wait_loadcnt 0x0
	global_load_b32 v7, v[0:1], off
	s_mov_b32 s6, 0
	s_branch .LBB54_5117
.LBB54_5114:
	s_mov_b32 s6, -1
                                        ; implicit-def: $vgpr7
	s_branch .LBB54_5123
.LBB54_5115:
	s_mov_b32 s6, -1
                                        ; implicit-def: $vgpr7
	s_branch .LBB54_5120
.LBB54_5116:
	s_mov_b32 s6, -1
                                        ; implicit-def: $vgpr7
.LBB54_5117:
	s_delay_alu instid0(SALU_CYCLE_1)
	s_and_not1_b32 vcc_lo, exec_lo, s6
	s_cbranch_vccnz .LBB54_5119
; %bb.5118:
	s_wait_loadcnt 0x0
	global_load_b32 v7, v[0:1], off
.LBB54_5119:
	s_mov_b32 s6, 0
.LBB54_5120:
	s_delay_alu instid0(SALU_CYCLE_1)
	s_and_not1_b32 vcc_lo, exec_lo, s6
	s_cbranch_vccnz .LBB54_5122
; %bb.5121:
	s_wait_loadcnt 0x0
	global_load_i16 v7, v[0:1], off
.LBB54_5122:
	s_mov_b32 s6, 0
.LBB54_5123:
	s_delay_alu instid0(SALU_CYCLE_1)
	s_and_not1_b32 vcc_lo, exec_lo, s6
	s_cbranch_vccnz .LBB54_5129
; %bb.5124:
	s_cmp_gt_i32 s0, 0
	s_mov_b32 s0, 0
	s_cbranch_scc0 .LBB54_5126
; %bb.5125:
	s_wait_loadcnt 0x0
	global_load_i8 v7, v[0:1], off
	s_branch .LBB54_5127
.LBB54_5126:
	s_mov_b32 s0, -1
                                        ; implicit-def: $vgpr7
.LBB54_5127:
	s_delay_alu instid0(SALU_CYCLE_1)
	s_and_not1_b32 vcc_lo, exec_lo, s0
	s_cbranch_vccnz .LBB54_5129
; %bb.5128:
	s_wait_loadcnt 0x0
	global_load_u8 v7, v[0:1], off
.LBB54_5129:
	s_mov_b32 s18, -1
.LBB54_5130:
	s_delay_alu instid0(SALU_CYCLE_1)
	s_and_not1_b32 vcc_lo, exec_lo, s18
	s_cbranch_vccnz .LBB54_5650
; %bb.5131:
	s_wait_xcnt 0x0
	v_add_nc_u32_e32 v0, s68, v2
	s_cmp_lt_i32 s56, 11
	s_delay_alu instid0(VALU_DEP_1) | instskip(NEXT) | instid1(VALU_DEP_1)
	v_ashrrev_i32_e32 v1, 31, v0
	v_add_nc_u64_e32 v[0:1], s[8:9], v[0:1]
	s_cbranch_scc1 .LBB54_5138
; %bb.5132:
	s_and_b32 s0, 0xffff, s56
	s_mov_b32 s7, 0
	s_cmp_gt_i32 s0, 25
	s_cbranch_scc0 .LBB54_5139
; %bb.5133:
	s_cmp_gt_i32 s0, 28
	s_cbranch_scc0 .LBB54_5140
; %bb.5134:
	;; [unrolled: 3-line block ×4, first 2 shown]
	s_cmp_eq_u32 s0, 46
	s_mov_b32 s9, 0
	s_cbranch_scc0 .LBB54_5145
; %bb.5137:
	global_load_b32 v2, v[0:1], off
	s_mov_b32 s6, 0
	s_mov_b32 s8, -1
	s_wait_loadcnt 0x0
	v_lshlrev_b32_e32 v2, 16, v2
	s_delay_alu instid0(VALU_DEP_1)
	v_cvt_i32_f32_e32 v9, v2
	s_branch .LBB54_5147
.LBB54_5138:
	s_mov_b32 s0, -1
	s_mov_b32 s8, 0
                                        ; implicit-def: $vgpr9
	s_branch .LBB54_5209
.LBB54_5139:
	s_mov_b32 s9, -1
	s_mov_b32 s8, 0
	s_mov_b32 s6, 0
                                        ; implicit-def: $vgpr9
	s_branch .LBB54_5174
.LBB54_5140:
	s_mov_b32 s9, -1
	s_mov_b32 s8, 0
	s_mov_b32 s6, 0
                                        ; implicit-def: $vgpr9
	s_branch .LBB54_5157
.LBB54_5141:
	s_mov_b32 s9, -1
	s_mov_b32 s8, 0
	s_mov_b32 s6, 0
                                        ; implicit-def: $vgpr9
	s_branch .LBB54_5152
.LBB54_5142:
	s_or_b32 s37, s1, exec_lo
	s_trap 2
	s_cbranch_execz .LBB54_5079
	s_branch .LBB54_5080
.LBB54_5143:
	s_mov_b32 s9, -1
	s_mov_b32 s8, 0
	s_mov_b32 s6, 0
	s_branch .LBB54_5146
.LBB54_5144:
	s_or_b32 s66, s66, exec_lo
	s_trap 2
                                        ; implicit-def: $vgpr0
                                        ; implicit-def: $vgpr2
                                        ; implicit-def: $vgpr3
                                        ; implicit-def: $vgpr4
                                        ; implicit-def: $vgpr10
                                        ; implicit-def: $vgpr6
                                        ; implicit-def: $vgpr12
                                        ; implicit-def: $vgpr8
                                        ; implicit-def: $vgpr16
                                        ; implicit-def: $vgpr23
                                        ; implicit-def: $vgpr22
	s_branch .LBB54_4977
.LBB54_5145:
	s_mov_b32 s6, -1
	s_mov_b32 s8, 0
.LBB54_5146:
                                        ; implicit-def: $vgpr9
.LBB54_5147:
	s_and_b32 vcc_lo, exec_lo, s9
	s_cbranch_vccz .LBB54_5151
; %bb.5148:
	s_cmp_eq_u32 s0, 44
	s_cbranch_scc0 .LBB54_5150
; %bb.5149:
	global_load_u8 v2, v[0:1], off
	s_mov_b32 s6, 0
	s_mov_b32 s8, -1
	s_wait_loadcnt 0x0
	v_lshlrev_b32_e32 v3, 23, v2
	v_cmp_ne_u32_e32 vcc_lo, 0, v2
	s_delay_alu instid0(VALU_DEP_2) | instskip(NEXT) | instid1(VALU_DEP_1)
	v_cvt_i32_f32_e32 v3, v3
	v_cndmask_b32_e32 v9, 0, v3, vcc_lo
	s_branch .LBB54_5151
.LBB54_5150:
	s_mov_b32 s6, -1
                                        ; implicit-def: $vgpr9
.LBB54_5151:
	s_mov_b32 s9, 0
.LBB54_5152:
	s_delay_alu instid0(SALU_CYCLE_1)
	s_and_b32 vcc_lo, exec_lo, s9
	s_cbranch_vccz .LBB54_5156
; %bb.5153:
	s_cmp_eq_u32 s0, 29
	s_cbranch_scc0 .LBB54_5155
; %bb.5154:
	global_load_b32 v9, v[0:1], off
	s_mov_b32 s6, 0
	s_mov_b32 s8, -1
	s_branch .LBB54_5156
.LBB54_5155:
	s_mov_b32 s6, -1
                                        ; implicit-def: $vgpr9
.LBB54_5156:
	s_mov_b32 s9, 0
.LBB54_5157:
	s_delay_alu instid0(SALU_CYCLE_1)
	s_and_b32 vcc_lo, exec_lo, s9
	s_cbranch_vccz .LBB54_5173
; %bb.5158:
	s_cmp_lt_i32 s0, 27
	s_cbranch_scc1 .LBB54_5161
; %bb.5159:
	s_cmp_gt_i32 s0, 27
	s_cbranch_scc0 .LBB54_5162
; %bb.5160:
	s_wait_loadcnt 0x0
	global_load_b32 v9, v[0:1], off
	s_mov_b32 s8, 0
	s_branch .LBB54_5163
.LBB54_5161:
	s_mov_b32 s8, -1
                                        ; implicit-def: $vgpr9
	s_branch .LBB54_5166
.LBB54_5162:
	s_mov_b32 s8, -1
                                        ; implicit-def: $vgpr9
.LBB54_5163:
	s_delay_alu instid0(SALU_CYCLE_1)
	s_and_not1_b32 vcc_lo, exec_lo, s8
	s_cbranch_vccnz .LBB54_5165
; %bb.5164:
	s_wait_loadcnt 0x0
	global_load_u16 v9, v[0:1], off
.LBB54_5165:
	s_mov_b32 s8, 0
.LBB54_5166:
	s_delay_alu instid0(SALU_CYCLE_1)
	s_and_not1_b32 vcc_lo, exec_lo, s8
	s_cbranch_vccnz .LBB54_5172
; %bb.5167:
	global_load_u8 v2, v[0:1], off
	s_mov_b32 s9, 0
	s_mov_b32 s8, exec_lo
	s_wait_loadcnt 0x0
	v_cmpx_lt_i16_e32 0x7f, v2
	s_xor_b32 s8, exec_lo, s8
	s_cbranch_execz .LBB54_5184
; %bb.5168:
	v_cmp_ne_u16_e32 vcc_lo, 0x80, v2
	s_and_b32 s9, vcc_lo, exec_lo
	s_and_not1_saveexec_b32 s8, s8
	s_cbranch_execnz .LBB54_5185
.LBB54_5169:
	s_or_b32 exec_lo, exec_lo, s8
	v_mov_b32_e32 v9, 0
	s_and_saveexec_b32 s8, s9
	s_cbranch_execz .LBB54_5171
.LBB54_5170:
	v_and_b32_e32 v3, 0xffff, v2
	s_delay_alu instid0(VALU_DEP_1) | instskip(SKIP_1) | instid1(VALU_DEP_2)
	v_and_b32_e32 v5, 7, v3
	v_bfe_u32 v11, v3, 3, 4
	v_clz_i32_u32_e32 v9, v5
	s_delay_alu instid0(VALU_DEP_2) | instskip(NEXT) | instid1(VALU_DEP_2)
	v_cmp_eq_u32_e32 vcc_lo, 0, v11
	v_min_u32_e32 v9, 32, v9
	s_delay_alu instid0(VALU_DEP_1) | instskip(NEXT) | instid1(VALU_DEP_1)
	v_subrev_nc_u32_e32 v10, 28, v9
	v_dual_lshlrev_b32 v3, v10, v3 :: v_dual_sub_nc_u32 v9, 29, v9
	s_delay_alu instid0(VALU_DEP_1) | instskip(NEXT) | instid1(VALU_DEP_1)
	v_dual_lshlrev_b32 v2, 24, v2 :: v_dual_bitop2_b32 v3, 7, v3 bitop3:0x40
	v_dual_cndmask_b32 v9, v11, v9, vcc_lo :: v_dual_cndmask_b32 v3, v5, v3, vcc_lo
	s_delay_alu instid0(VALU_DEP_2) | instskip(NEXT) | instid1(VALU_DEP_2)
	v_and_b32_e32 v2, 0x80000000, v2
	v_lshl_add_u32 v5, v9, 23, 0x3b800000
	s_delay_alu instid0(VALU_DEP_3) | instskip(NEXT) | instid1(VALU_DEP_1)
	v_lshlrev_b32_e32 v3, 20, v3
	v_or3_b32 v2, v2, v5, v3
	s_delay_alu instid0(VALU_DEP_1)
	v_cvt_i32_f32_e32 v9, v2
.LBB54_5171:
	s_or_b32 exec_lo, exec_lo, s8
.LBB54_5172:
	s_mov_b32 s8, -1
.LBB54_5173:
	s_mov_b32 s9, 0
.LBB54_5174:
	s_delay_alu instid0(SALU_CYCLE_1)
	s_and_b32 vcc_lo, exec_lo, s9
	s_cbranch_vccz .LBB54_5205
; %bb.5175:
	s_cmp_gt_i32 s0, 22
	s_cbranch_scc0 .LBB54_5183
; %bb.5176:
	s_cmp_lt_i32 s0, 24
	s_cbranch_scc1 .LBB54_5186
; %bb.5177:
	s_cmp_gt_i32 s0, 24
	s_cbranch_scc0 .LBB54_5187
; %bb.5178:
	global_load_u8 v2, v[0:1], off
	s_mov_b32 s8, 0
	s_mov_b32 s7, exec_lo
	s_wait_loadcnt 0x0
	v_cmpx_lt_i16_e32 0x7f, v2
	s_xor_b32 s7, exec_lo, s7
	s_cbranch_execz .LBB54_5199
; %bb.5179:
	v_cmp_ne_u16_e32 vcc_lo, 0x80, v2
	s_and_b32 s8, vcc_lo, exec_lo
	s_and_not1_saveexec_b32 s7, s7
	s_cbranch_execnz .LBB54_5200
.LBB54_5180:
	s_or_b32 exec_lo, exec_lo, s7
	v_mov_b32_e32 v9, 0
	s_and_saveexec_b32 s7, s8
	s_cbranch_execz .LBB54_5182
.LBB54_5181:
	v_and_b32_e32 v3, 0xffff, v2
	s_delay_alu instid0(VALU_DEP_1) | instskip(SKIP_1) | instid1(VALU_DEP_2)
	v_and_b32_e32 v5, 3, v3
	v_bfe_u32 v11, v3, 2, 5
	v_clz_i32_u32_e32 v9, v5
	s_delay_alu instid0(VALU_DEP_2) | instskip(NEXT) | instid1(VALU_DEP_2)
	v_cmp_eq_u32_e32 vcc_lo, 0, v11
	v_min_u32_e32 v9, 32, v9
	s_delay_alu instid0(VALU_DEP_1) | instskip(NEXT) | instid1(VALU_DEP_1)
	v_subrev_nc_u32_e32 v10, 29, v9
	v_dual_lshlrev_b32 v3, v10, v3 :: v_dual_sub_nc_u32 v9, 30, v9
	s_delay_alu instid0(VALU_DEP_1) | instskip(NEXT) | instid1(VALU_DEP_1)
	v_dual_lshlrev_b32 v2, 24, v2 :: v_dual_bitop2_b32 v3, 3, v3 bitop3:0x40
	v_dual_cndmask_b32 v9, v11, v9, vcc_lo :: v_dual_cndmask_b32 v3, v5, v3, vcc_lo
	s_delay_alu instid0(VALU_DEP_2) | instskip(NEXT) | instid1(VALU_DEP_2)
	v_and_b32_e32 v2, 0x80000000, v2
	v_lshl_add_u32 v5, v9, 23, 0x37800000
	s_delay_alu instid0(VALU_DEP_3) | instskip(NEXT) | instid1(VALU_DEP_1)
	v_lshlrev_b32_e32 v3, 21, v3
	v_or3_b32 v2, v2, v5, v3
	s_delay_alu instid0(VALU_DEP_1)
	v_cvt_i32_f32_e32 v9, v2
.LBB54_5182:
	s_or_b32 exec_lo, exec_lo, s7
	s_mov_b32 s7, 0
	s_branch .LBB54_5188
.LBB54_5183:
	s_mov_b32 s7, -1
                                        ; implicit-def: $vgpr9
	s_branch .LBB54_5194
.LBB54_5184:
	s_and_not1_saveexec_b32 s8, s8
	s_cbranch_execz .LBB54_5169
.LBB54_5185:
	v_cmp_ne_u16_e32 vcc_lo, 0, v2
	s_and_not1_b32 s9, s9, exec_lo
	s_and_b32 s18, vcc_lo, exec_lo
	s_delay_alu instid0(SALU_CYCLE_1)
	s_or_b32 s9, s9, s18
	s_or_b32 exec_lo, exec_lo, s8
	v_mov_b32_e32 v9, 0
	s_and_saveexec_b32 s8, s9
	s_cbranch_execnz .LBB54_5170
	s_branch .LBB54_5171
.LBB54_5186:
	s_mov_b32 s7, -1
                                        ; implicit-def: $vgpr9
	s_branch .LBB54_5191
.LBB54_5187:
	s_mov_b32 s7, -1
                                        ; implicit-def: $vgpr9
.LBB54_5188:
	s_delay_alu instid0(SALU_CYCLE_1)
	s_and_b32 vcc_lo, exec_lo, s7
	s_cbranch_vccz .LBB54_5190
; %bb.5189:
	global_load_u8 v2, v[0:1], off
	s_wait_loadcnt 0x0
	v_lshlrev_b32_e32 v2, 24, v2
	s_delay_alu instid0(VALU_DEP_1) | instskip(NEXT) | instid1(VALU_DEP_1)
	v_and_b32_e32 v3, 0x7f000000, v2
	v_clz_i32_u32_e32 v5, v3
	v_cmp_ne_u32_e32 vcc_lo, 0, v3
	v_add_nc_u32_e32 v10, 0x1000000, v3
	s_delay_alu instid0(VALU_DEP_3) | instskip(NEXT) | instid1(VALU_DEP_1)
	v_min_u32_e32 v5, 32, v5
	v_sub_nc_u32_e64 v5, v5, 4 clamp
	s_delay_alu instid0(VALU_DEP_1) | instskip(NEXT) | instid1(VALU_DEP_1)
	v_dual_lshlrev_b32 v9, v5, v3 :: v_dual_lshlrev_b32 v5, 23, v5
	v_lshrrev_b32_e32 v9, 4, v9
	s_delay_alu instid0(VALU_DEP_1) | instskip(NEXT) | instid1(VALU_DEP_1)
	v_dual_sub_nc_u32 v5, v9, v5 :: v_dual_ashrrev_i32 v9, 8, v10
	v_add_nc_u32_e32 v5, 0x3c000000, v5
	s_delay_alu instid0(VALU_DEP_1) | instskip(NEXT) | instid1(VALU_DEP_1)
	v_and_or_b32 v5, 0x7f800000, v9, v5
	v_cndmask_b32_e32 v3, 0, v5, vcc_lo
	s_delay_alu instid0(VALU_DEP_1) | instskip(NEXT) | instid1(VALU_DEP_1)
	v_and_or_b32 v2, 0x80000000, v2, v3
	v_cvt_i32_f32_e32 v9, v2
.LBB54_5190:
	s_mov_b32 s7, 0
.LBB54_5191:
	s_delay_alu instid0(SALU_CYCLE_1)
	s_and_not1_b32 vcc_lo, exec_lo, s7
	s_cbranch_vccnz .LBB54_5193
; %bb.5192:
	global_load_u8 v2, v[0:1], off
	s_wait_loadcnt 0x0
	v_lshlrev_b32_e32 v3, 25, v2
	v_lshlrev_b16 v2, 8, v2
	s_delay_alu instid0(VALU_DEP_1) | instskip(SKIP_1) | instid1(VALU_DEP_2)
	v_and_or_b32 v9, 0x7f00, v2, 0.5
	v_bfe_i32 v2, v2, 0, 16
	v_dual_add_f32 v9, -0.5, v9 :: v_dual_lshrrev_b32 v5, 4, v3
	v_cmp_gt_u32_e32 vcc_lo, 0x8000000, v3
	s_delay_alu instid0(VALU_DEP_2) | instskip(NEXT) | instid1(VALU_DEP_1)
	v_or_b32_e32 v5, 0x70000000, v5
	v_mul_f32_e32 v5, 0x7800000, v5
	s_delay_alu instid0(VALU_DEP_1) | instskip(NEXT) | instid1(VALU_DEP_1)
	v_cndmask_b32_e32 v3, v5, v9, vcc_lo
	v_and_or_b32 v2, 0x80000000, v2, v3
	s_delay_alu instid0(VALU_DEP_1)
	v_cvt_i32_f32_e32 v9, v2
.LBB54_5193:
	s_mov_b32 s7, 0
	s_mov_b32 s8, -1
.LBB54_5194:
	s_and_not1_b32 vcc_lo, exec_lo, s7
	s_mov_b32 s7, 0
	s_cbranch_vccnz .LBB54_5205
; %bb.5195:
	s_cmp_gt_i32 s0, 14
	s_cbranch_scc0 .LBB54_5198
; %bb.5196:
	s_cmp_eq_u32 s0, 15
	s_cbranch_scc0 .LBB54_5201
; %bb.5197:
	global_load_u16 v2, v[0:1], off
	s_mov_b32 s6, 0
	s_mov_b32 s8, -1
	s_wait_loadcnt 0x0
	v_lshlrev_b32_e32 v2, 16, v2
	s_delay_alu instid0(VALU_DEP_1)
	v_cvt_i32_f32_e32 v9, v2
	s_branch .LBB54_5203
.LBB54_5198:
	s_mov_b32 s7, -1
	s_branch .LBB54_5202
.LBB54_5199:
	s_and_not1_saveexec_b32 s7, s7
	s_cbranch_execz .LBB54_5180
.LBB54_5200:
	v_cmp_ne_u16_e32 vcc_lo, 0, v2
	s_and_not1_b32 s8, s8, exec_lo
	s_and_b32 s9, vcc_lo, exec_lo
	s_delay_alu instid0(SALU_CYCLE_1)
	s_or_b32 s8, s8, s9
	s_or_b32 exec_lo, exec_lo, s7
	v_mov_b32_e32 v9, 0
	s_and_saveexec_b32 s7, s8
	s_cbranch_execnz .LBB54_5181
	s_branch .LBB54_5182
.LBB54_5201:
	s_mov_b32 s6, -1
.LBB54_5202:
                                        ; implicit-def: $vgpr9
.LBB54_5203:
	s_and_b32 vcc_lo, exec_lo, s7
	s_mov_b32 s7, 0
	s_cbranch_vccz .LBB54_5205
; %bb.5204:
	s_cmp_lg_u32 s0, 11
	s_mov_b32 s7, -1
	s_cselect_b32 s6, -1, 0
.LBB54_5205:
	s_delay_alu instid0(SALU_CYCLE_1)
	s_and_b32 vcc_lo, exec_lo, s6
	s_cbranch_vccnz .LBB54_5270
; %bb.5206:
	s_and_not1_b32 vcc_lo, exec_lo, s7
	s_cbranch_vccnz .LBB54_5208
.LBB54_5207:
	global_load_u8 v2, v[0:1], off
	s_mov_b32 s8, -1
	s_wait_loadcnt 0x0
	v_cmp_ne_u16_e32 vcc_lo, 0, v2
	v_cndmask_b32_e64 v9, 0, 1, vcc_lo
.LBB54_5208:
	s_mov_b32 s0, 0
.LBB54_5209:
	s_delay_alu instid0(SALU_CYCLE_1)
	s_and_b32 vcc_lo, exec_lo, s0
	s_cbranch_vccz .LBB54_5258
; %bb.5210:
	s_and_b32 s0, 0xffff, s56
	s_delay_alu instid0(SALU_CYCLE_1)
	s_cmp_lt_i32 s0, 5
	s_cbranch_scc1 .LBB54_5215
; %bb.5211:
	s_cmp_lt_i32 s0, 8
	s_cbranch_scc1 .LBB54_5216
; %bb.5212:
	;; [unrolled: 3-line block ×3, first 2 shown]
	s_cmp_gt_i32 s0, 9
	s_cbranch_scc0 .LBB54_5218
; %bb.5214:
	global_load_b64 v[2:3], v[0:1], off
	s_mov_b32 s6, 0
	s_wait_loadcnt 0x0
	v_cvt_i32_f64_e32 v9, v[2:3]
	s_branch .LBB54_5219
.LBB54_5215:
	s_mov_b32 s6, -1
                                        ; implicit-def: $vgpr9
	s_branch .LBB54_5237
.LBB54_5216:
	s_mov_b32 s6, -1
                                        ; implicit-def: $vgpr9
	s_branch .LBB54_5225
.LBB54_5217:
	s_mov_b32 s6, -1
                                        ; implicit-def: $vgpr9
	s_branch .LBB54_5222
.LBB54_5218:
	s_mov_b32 s6, -1
                                        ; implicit-def: $vgpr9
.LBB54_5219:
	s_delay_alu instid0(SALU_CYCLE_1)
	s_and_not1_b32 vcc_lo, exec_lo, s6
	s_cbranch_vccnz .LBB54_5221
; %bb.5220:
	global_load_b32 v2, v[0:1], off
	s_wait_loadcnt 0x0
	v_cvt_i32_f32_e32 v9, v2
.LBB54_5221:
	s_mov_b32 s6, 0
.LBB54_5222:
	s_delay_alu instid0(SALU_CYCLE_1)
	s_and_not1_b32 vcc_lo, exec_lo, s6
	s_cbranch_vccnz .LBB54_5224
; %bb.5223:
	global_load_b32 v2, v[0:1], off
	s_wait_loadcnt 0x0
	v_cvt_f32_f16_e32 v2, v2
	s_delay_alu instid0(VALU_DEP_1)
	v_cvt_i32_f32_e32 v9, v2
.LBB54_5224:
	s_mov_b32 s6, 0
.LBB54_5225:
	s_delay_alu instid0(SALU_CYCLE_1)
	s_and_not1_b32 vcc_lo, exec_lo, s6
	s_cbranch_vccnz .LBB54_5236
; %bb.5226:
	s_cmp_lt_i32 s0, 6
	s_cbranch_scc1 .LBB54_5229
; %bb.5227:
	s_cmp_gt_i32 s0, 6
	s_cbranch_scc0 .LBB54_5230
; %bb.5228:
	global_load_b64 v[2:3], v[0:1], off
	s_mov_b32 s6, 0
	s_wait_loadcnt 0x0
	v_cvt_i32_f64_e32 v9, v[2:3]
	s_branch .LBB54_5231
.LBB54_5229:
	s_mov_b32 s6, -1
                                        ; implicit-def: $vgpr9
	s_branch .LBB54_5234
.LBB54_5230:
	s_mov_b32 s6, -1
                                        ; implicit-def: $vgpr9
.LBB54_5231:
	s_delay_alu instid0(SALU_CYCLE_1)
	s_and_not1_b32 vcc_lo, exec_lo, s6
	s_cbranch_vccnz .LBB54_5233
; %bb.5232:
	global_load_b32 v2, v[0:1], off
	s_wait_loadcnt 0x0
	v_cvt_i32_f32_e32 v9, v2
.LBB54_5233:
	s_mov_b32 s6, 0
.LBB54_5234:
	s_delay_alu instid0(SALU_CYCLE_1)
	s_and_not1_b32 vcc_lo, exec_lo, s6
	s_cbranch_vccnz .LBB54_5236
; %bb.5235:
	global_load_u16 v2, v[0:1], off
	s_wait_loadcnt 0x0
	v_cvt_f32_f16_e32 v2, v2
	s_delay_alu instid0(VALU_DEP_1)
	v_cvt_i32_f32_e32 v9, v2
.LBB54_5236:
	s_mov_b32 s6, 0
.LBB54_5237:
	s_delay_alu instid0(SALU_CYCLE_1)
	s_and_not1_b32 vcc_lo, exec_lo, s6
	s_cbranch_vccnz .LBB54_5257
; %bb.5238:
	s_cmp_lt_i32 s0, 2
	s_cbranch_scc1 .LBB54_5242
; %bb.5239:
	s_cmp_lt_i32 s0, 3
	s_cbranch_scc1 .LBB54_5243
; %bb.5240:
	s_cmp_gt_i32 s0, 3
	s_cbranch_scc0 .LBB54_5244
; %bb.5241:
	s_wait_loadcnt 0x0
	global_load_b32 v9, v[0:1], off
	s_mov_b32 s6, 0
	s_branch .LBB54_5245
.LBB54_5242:
	s_mov_b32 s6, -1
                                        ; implicit-def: $vgpr9
	s_branch .LBB54_5251
.LBB54_5243:
	s_mov_b32 s6, -1
                                        ; implicit-def: $vgpr9
	s_branch .LBB54_5248
.LBB54_5244:
	s_mov_b32 s6, -1
                                        ; implicit-def: $vgpr9
.LBB54_5245:
	s_delay_alu instid0(SALU_CYCLE_1)
	s_and_not1_b32 vcc_lo, exec_lo, s6
	s_cbranch_vccnz .LBB54_5247
; %bb.5246:
	s_wait_loadcnt 0x0
	global_load_b32 v9, v[0:1], off
.LBB54_5247:
	s_mov_b32 s6, 0
.LBB54_5248:
	s_delay_alu instid0(SALU_CYCLE_1)
	s_and_not1_b32 vcc_lo, exec_lo, s6
	s_cbranch_vccnz .LBB54_5250
; %bb.5249:
	s_wait_loadcnt 0x0
	global_load_i16 v9, v[0:1], off
.LBB54_5250:
	s_mov_b32 s6, 0
.LBB54_5251:
	s_delay_alu instid0(SALU_CYCLE_1)
	s_and_not1_b32 vcc_lo, exec_lo, s6
	s_cbranch_vccnz .LBB54_5257
; %bb.5252:
	s_cmp_gt_i32 s0, 0
	s_mov_b32 s0, 0
	s_cbranch_scc0 .LBB54_5254
; %bb.5253:
	s_wait_loadcnt 0x0
	global_load_i8 v9, v[0:1], off
	s_branch .LBB54_5255
.LBB54_5254:
	s_mov_b32 s0, -1
                                        ; implicit-def: $vgpr9
.LBB54_5255:
	s_delay_alu instid0(SALU_CYCLE_1)
	s_and_not1_b32 vcc_lo, exec_lo, s0
	s_cbranch_vccnz .LBB54_5257
; %bb.5256:
	s_wait_loadcnt 0x0
	global_load_u8 v9, v[0:1], off
.LBB54_5257:
	s_mov_b32 s8, -1
.LBB54_5258:
	s_delay_alu instid0(SALU_CYCLE_1)
	s_and_not1_b32 vcc_lo, exec_lo, s8
	s_cbranch_vccnz .LBB54_5650
; %bb.5259:
	s_wait_xcnt 0x0
	v_add_nc_u32_e32 v0, s69, v4
	s_cmp_lt_i32 s57, 11
	s_delay_alu instid0(VALU_DEP_1) | instskip(NEXT) | instid1(VALU_DEP_1)
	v_ashrrev_i32_e32 v1, 31, v0
	v_add_nc_u64_e32 v[2:3], s[10:11], v[0:1]
	s_cbranch_scc1 .LBB54_5266
; %bb.5260:
	s_and_b32 s0, 0xffff, s57
	s_mov_b32 s7, 0
	s_cmp_gt_i32 s0, 25
	s_cbranch_scc0 .LBB54_5267
; %bb.5261:
	s_cmp_gt_i32 s0, 28
	s_cbranch_scc0 .LBB54_5268
; %bb.5262:
	;; [unrolled: 3-line block ×4, first 2 shown]
	s_cmp_eq_u32 s0, 46
	s_mov_b32 s9, 0
	s_cbranch_scc0 .LBB54_5273
; %bb.5265:
	global_load_b32 v0, v[2:3], off
	s_mov_b32 s6, 0
	s_mov_b32 s8, -1
	s_wait_loadcnt 0x0
	v_lshlrev_b32_e32 v0, 16, v0
	s_delay_alu instid0(VALU_DEP_1)
	v_cvt_i32_f32_e32 v0, v0
	s_branch .LBB54_5275
.LBB54_5266:
	s_mov_b32 s0, -1
	s_mov_b32 s8, 0
                                        ; implicit-def: $vgpr0
	s_branch .LBB54_5337
.LBB54_5267:
	s_mov_b32 s9, -1
	s_mov_b32 s8, 0
	s_mov_b32 s6, 0
                                        ; implicit-def: $vgpr0
	s_branch .LBB54_5302
.LBB54_5268:
	s_mov_b32 s9, -1
	s_mov_b32 s8, 0
	s_mov_b32 s6, 0
                                        ; implicit-def: $vgpr0
	s_branch .LBB54_5285
.LBB54_5269:
	s_mov_b32 s9, -1
	s_mov_b32 s8, 0
	s_mov_b32 s6, 0
                                        ; implicit-def: $vgpr0
	s_branch .LBB54_5280
.LBB54_5270:
	s_or_b32 s37, s37, exec_lo
	s_trap 2
	s_cbranch_execz .LBB54_5207
	s_branch .LBB54_5208
.LBB54_5271:
	s_mov_b32 s9, -1
	s_mov_b32 s8, 0
	s_mov_b32 s6, 0
	s_branch .LBB54_5274
.LBB54_5272:
	s_or_b32 s73, s66, exec_lo
	s_trap 2
                                        ; implicit-def: $vgpr0
                                        ; implicit-def: $vgpr2
                                        ; implicit-def: $vgpr4
                                        ; implicit-def: $vgpr10
                                        ; implicit-def: $vgpr6
                                        ; implicit-def: $vgpr12
                                        ; implicit-def: $vgpr8
                                        ; implicit-def: $vgpr16
                                        ; implicit-def: $vgpr23
                                        ; implicit-def: $vgpr22
	s_or_saveexec_b32 s74, s0
                                        ; implicit-def: $sgpr0
                                        ; implicit-def: $vgpr14_vgpr15
	s_delay_alu instid0(SALU_CYCLE_1)
	s_xor_b32 exec_lo, exec_lo, s74
	s_cbranch_execz .LBB54_5654
	s_branch .LBB54_4980
.LBB54_5273:
	s_mov_b32 s6, -1
	s_mov_b32 s8, 0
.LBB54_5274:
                                        ; implicit-def: $vgpr0
.LBB54_5275:
	s_and_b32 vcc_lo, exec_lo, s9
	s_cbranch_vccz .LBB54_5279
; %bb.5276:
	s_cmp_eq_u32 s0, 44
	s_cbranch_scc0 .LBB54_5278
; %bb.5277:
	global_load_u8 v0, v[2:3], off
	s_mov_b32 s6, 0
	s_mov_b32 s8, -1
	s_wait_loadcnt 0x0
	v_lshlrev_b32_e32 v1, 23, v0
	v_cmp_ne_u32_e32 vcc_lo, 0, v0
	s_delay_alu instid0(VALU_DEP_2) | instskip(NEXT) | instid1(VALU_DEP_1)
	v_cvt_i32_f32_e32 v1, v1
	v_cndmask_b32_e32 v0, 0, v1, vcc_lo
	s_branch .LBB54_5279
.LBB54_5278:
	s_mov_b32 s6, -1
                                        ; implicit-def: $vgpr0
.LBB54_5279:
	s_mov_b32 s9, 0
.LBB54_5280:
	s_delay_alu instid0(SALU_CYCLE_1)
	s_and_b32 vcc_lo, exec_lo, s9
	s_cbranch_vccz .LBB54_5284
; %bb.5281:
	s_cmp_eq_u32 s0, 29
	s_cbranch_scc0 .LBB54_5283
; %bb.5282:
	global_load_b32 v0, v[2:3], off
	s_mov_b32 s6, 0
	s_mov_b32 s8, -1
	s_branch .LBB54_5284
.LBB54_5283:
	s_mov_b32 s6, -1
                                        ; implicit-def: $vgpr0
.LBB54_5284:
	s_mov_b32 s9, 0
.LBB54_5285:
	s_delay_alu instid0(SALU_CYCLE_1)
	s_and_b32 vcc_lo, exec_lo, s9
	s_cbranch_vccz .LBB54_5301
; %bb.5286:
	s_cmp_lt_i32 s0, 27
	s_cbranch_scc1 .LBB54_5289
; %bb.5287:
	s_cmp_gt_i32 s0, 27
	s_cbranch_scc0 .LBB54_5290
; %bb.5288:
	s_wait_loadcnt 0x0
	global_load_b32 v0, v[2:3], off
	s_mov_b32 s8, 0
	s_branch .LBB54_5291
.LBB54_5289:
	s_mov_b32 s8, -1
                                        ; implicit-def: $vgpr0
	s_branch .LBB54_5294
.LBB54_5290:
	s_mov_b32 s8, -1
                                        ; implicit-def: $vgpr0
.LBB54_5291:
	s_delay_alu instid0(SALU_CYCLE_1)
	s_and_not1_b32 vcc_lo, exec_lo, s8
	s_cbranch_vccnz .LBB54_5293
; %bb.5292:
	s_wait_loadcnt 0x0
	global_load_u16 v0, v[2:3], off
.LBB54_5293:
	s_mov_b32 s8, 0
.LBB54_5294:
	s_delay_alu instid0(SALU_CYCLE_1)
	s_and_not1_b32 vcc_lo, exec_lo, s8
	s_cbranch_vccnz .LBB54_5300
; %bb.5295:
	global_load_u8 v1, v[2:3], off
	s_mov_b32 s9, 0
	s_mov_b32 s8, exec_lo
	s_wait_loadcnt 0x0
	v_cmpx_lt_i16_e32 0x7f, v1
	s_xor_b32 s8, exec_lo, s8
	s_cbranch_execz .LBB54_5312
; %bb.5296:
	v_cmp_ne_u16_e32 vcc_lo, 0x80, v1
	s_and_b32 s9, vcc_lo, exec_lo
	s_and_not1_saveexec_b32 s8, s8
	s_cbranch_execnz .LBB54_5313
.LBB54_5297:
	s_or_b32 exec_lo, exec_lo, s8
	v_mov_b32_e32 v0, 0
	s_and_saveexec_b32 s8, s9
	s_cbranch_execz .LBB54_5299
.LBB54_5298:
	v_and_b32_e32 v0, 0xffff, v1
	s_delay_alu instid0(VALU_DEP_1) | instskip(SKIP_1) | instid1(VALU_DEP_2)
	v_and_b32_e32 v4, 7, v0
	v_bfe_u32 v11, v0, 3, 4
	v_clz_i32_u32_e32 v5, v4
	s_delay_alu instid0(VALU_DEP_2) | instskip(NEXT) | instid1(VALU_DEP_2)
	v_cmp_eq_u32_e32 vcc_lo, 0, v11
	v_min_u32_e32 v5, 32, v5
	s_delay_alu instid0(VALU_DEP_1) | instskip(NEXT) | instid1(VALU_DEP_1)
	v_subrev_nc_u32_e32 v10, 28, v5
	v_dual_lshlrev_b32 v0, v10, v0 :: v_dual_sub_nc_u32 v5, 29, v5
	s_delay_alu instid0(VALU_DEP_1) | instskip(NEXT) | instid1(VALU_DEP_1)
	v_dual_lshlrev_b32 v1, 24, v1 :: v_dual_bitop2_b32 v0, 7, v0 bitop3:0x40
	v_dual_cndmask_b32 v0, v4, v0 :: v_dual_cndmask_b32 v5, v11, v5
	s_delay_alu instid0(VALU_DEP_2) | instskip(NEXT) | instid1(VALU_DEP_2)
	v_and_b32_e32 v1, 0x80000000, v1
	v_lshlrev_b32_e32 v0, 20, v0
	s_delay_alu instid0(VALU_DEP_3) | instskip(NEXT) | instid1(VALU_DEP_1)
	v_lshl_add_u32 v4, v5, 23, 0x3b800000
	v_or3_b32 v0, v1, v4, v0
	s_delay_alu instid0(VALU_DEP_1)
	v_cvt_i32_f32_e32 v0, v0
.LBB54_5299:
	s_or_b32 exec_lo, exec_lo, s8
.LBB54_5300:
	s_mov_b32 s8, -1
.LBB54_5301:
	s_mov_b32 s9, 0
.LBB54_5302:
	s_delay_alu instid0(SALU_CYCLE_1)
	s_and_b32 vcc_lo, exec_lo, s9
	s_cbranch_vccz .LBB54_5333
; %bb.5303:
	s_cmp_gt_i32 s0, 22
	s_cbranch_scc0 .LBB54_5311
; %bb.5304:
	s_cmp_lt_i32 s0, 24
	s_cbranch_scc1 .LBB54_5314
; %bb.5305:
	s_cmp_gt_i32 s0, 24
	s_cbranch_scc0 .LBB54_5315
; %bb.5306:
	global_load_u8 v1, v[2:3], off
	s_mov_b32 s8, 0
	s_mov_b32 s7, exec_lo
	s_wait_loadcnt 0x0
	v_cmpx_lt_i16_e32 0x7f, v1
	s_xor_b32 s7, exec_lo, s7
	s_cbranch_execz .LBB54_5327
; %bb.5307:
	v_cmp_ne_u16_e32 vcc_lo, 0x80, v1
	s_and_b32 s8, vcc_lo, exec_lo
	s_and_not1_saveexec_b32 s7, s7
	s_cbranch_execnz .LBB54_5328
.LBB54_5308:
	s_or_b32 exec_lo, exec_lo, s7
	v_mov_b32_e32 v0, 0
	s_and_saveexec_b32 s7, s8
	s_cbranch_execz .LBB54_5310
.LBB54_5309:
	v_and_b32_e32 v0, 0xffff, v1
	s_delay_alu instid0(VALU_DEP_1) | instskip(SKIP_1) | instid1(VALU_DEP_2)
	v_and_b32_e32 v4, 3, v0
	v_bfe_u32 v11, v0, 2, 5
	v_clz_i32_u32_e32 v5, v4
	s_delay_alu instid0(VALU_DEP_2) | instskip(NEXT) | instid1(VALU_DEP_2)
	v_cmp_eq_u32_e32 vcc_lo, 0, v11
	v_min_u32_e32 v5, 32, v5
	s_delay_alu instid0(VALU_DEP_1) | instskip(NEXT) | instid1(VALU_DEP_1)
	v_subrev_nc_u32_e32 v10, 29, v5
	v_dual_lshlrev_b32 v0, v10, v0 :: v_dual_sub_nc_u32 v5, 30, v5
	s_delay_alu instid0(VALU_DEP_1) | instskip(NEXT) | instid1(VALU_DEP_1)
	v_dual_lshlrev_b32 v1, 24, v1 :: v_dual_bitop2_b32 v0, 3, v0 bitop3:0x40
	v_dual_cndmask_b32 v0, v4, v0 :: v_dual_cndmask_b32 v5, v11, v5
	s_delay_alu instid0(VALU_DEP_2) | instskip(NEXT) | instid1(VALU_DEP_2)
	v_and_b32_e32 v1, 0x80000000, v1
	v_lshlrev_b32_e32 v0, 21, v0
	s_delay_alu instid0(VALU_DEP_3) | instskip(NEXT) | instid1(VALU_DEP_1)
	v_lshl_add_u32 v4, v5, 23, 0x37800000
	v_or3_b32 v0, v1, v4, v0
	s_delay_alu instid0(VALU_DEP_1)
	v_cvt_i32_f32_e32 v0, v0
.LBB54_5310:
	s_or_b32 exec_lo, exec_lo, s7
	s_mov_b32 s7, 0
	s_branch .LBB54_5316
.LBB54_5311:
	s_mov_b32 s7, -1
                                        ; implicit-def: $vgpr0
	s_branch .LBB54_5322
.LBB54_5312:
	s_and_not1_saveexec_b32 s8, s8
	s_cbranch_execz .LBB54_5297
.LBB54_5313:
	v_cmp_ne_u16_e32 vcc_lo, 0, v1
	s_and_not1_b32 s9, s9, exec_lo
	s_and_b32 s10, vcc_lo, exec_lo
	s_delay_alu instid0(SALU_CYCLE_1)
	s_or_b32 s9, s9, s10
	s_or_b32 exec_lo, exec_lo, s8
	v_mov_b32_e32 v0, 0
	s_and_saveexec_b32 s8, s9
	s_cbranch_execnz .LBB54_5298
	s_branch .LBB54_5299
.LBB54_5314:
	s_mov_b32 s7, -1
                                        ; implicit-def: $vgpr0
	s_branch .LBB54_5319
.LBB54_5315:
	s_mov_b32 s7, -1
                                        ; implicit-def: $vgpr0
.LBB54_5316:
	s_delay_alu instid0(SALU_CYCLE_1)
	s_and_b32 vcc_lo, exec_lo, s7
	s_cbranch_vccz .LBB54_5318
; %bb.5317:
	s_wait_loadcnt 0x0
	global_load_u8 v0, v[2:3], off
	s_wait_loadcnt 0x0
	v_lshlrev_b32_e32 v0, 24, v0
	s_delay_alu instid0(VALU_DEP_1) | instskip(NEXT) | instid1(VALU_DEP_1)
	v_and_b32_e32 v1, 0x7f000000, v0
	v_clz_i32_u32_e32 v4, v1
	v_cmp_ne_u32_e32 vcc_lo, 0, v1
	v_add_nc_u32_e32 v10, 0x1000000, v1
	s_delay_alu instid0(VALU_DEP_3) | instskip(NEXT) | instid1(VALU_DEP_1)
	v_min_u32_e32 v4, 32, v4
	v_sub_nc_u32_e64 v4, v4, 4 clamp
	s_delay_alu instid0(VALU_DEP_1) | instskip(NEXT) | instid1(VALU_DEP_1)
	v_dual_lshlrev_b32 v5, v4, v1 :: v_dual_lshlrev_b32 v4, 23, v4
	v_lshrrev_b32_e32 v5, 4, v5
	s_delay_alu instid0(VALU_DEP_1) | instskip(NEXT) | instid1(VALU_DEP_1)
	v_dual_sub_nc_u32 v4, v5, v4 :: v_dual_ashrrev_i32 v5, 8, v10
	v_add_nc_u32_e32 v4, 0x3c000000, v4
	s_delay_alu instid0(VALU_DEP_1) | instskip(NEXT) | instid1(VALU_DEP_1)
	v_and_or_b32 v4, 0x7f800000, v5, v4
	v_cndmask_b32_e32 v1, 0, v4, vcc_lo
	s_delay_alu instid0(VALU_DEP_1) | instskip(NEXT) | instid1(VALU_DEP_1)
	v_and_or_b32 v0, 0x80000000, v0, v1
	v_cvt_i32_f32_e32 v0, v0
.LBB54_5318:
	s_mov_b32 s7, 0
.LBB54_5319:
	s_delay_alu instid0(SALU_CYCLE_1)
	s_and_not1_b32 vcc_lo, exec_lo, s7
	s_cbranch_vccnz .LBB54_5321
; %bb.5320:
	s_wait_loadcnt 0x0
	global_load_u8 v0, v[2:3], off
	s_wait_loadcnt 0x0
	v_lshlrev_b32_e32 v1, 25, v0
	v_lshlrev_b16 v0, 8, v0
	s_delay_alu instid0(VALU_DEP_1) | instskip(SKIP_1) | instid1(VALU_DEP_2)
	v_and_or_b32 v5, 0x7f00, v0, 0.5
	v_bfe_i32 v0, v0, 0, 16
	v_add_f32_e32 v5, -0.5, v5
	v_lshrrev_b32_e32 v4, 4, v1
	v_cmp_gt_u32_e32 vcc_lo, 0x8000000, v1
	s_delay_alu instid0(VALU_DEP_2) | instskip(NEXT) | instid1(VALU_DEP_1)
	v_or_b32_e32 v4, 0x70000000, v4
	v_mul_f32_e32 v4, 0x7800000, v4
	s_delay_alu instid0(VALU_DEP_1) | instskip(NEXT) | instid1(VALU_DEP_1)
	v_cndmask_b32_e32 v1, v4, v5, vcc_lo
	v_and_or_b32 v0, 0x80000000, v0, v1
	s_delay_alu instid0(VALU_DEP_1)
	v_cvt_i32_f32_e32 v0, v0
.LBB54_5321:
	s_mov_b32 s7, 0
	s_mov_b32 s8, -1
.LBB54_5322:
	s_and_not1_b32 vcc_lo, exec_lo, s7
	s_mov_b32 s7, 0
	s_cbranch_vccnz .LBB54_5333
; %bb.5323:
	s_cmp_gt_i32 s0, 14
	s_cbranch_scc0 .LBB54_5326
; %bb.5324:
	s_cmp_eq_u32 s0, 15
	s_cbranch_scc0 .LBB54_5329
; %bb.5325:
	s_wait_loadcnt 0x0
	global_load_u16 v0, v[2:3], off
	s_mov_b32 s6, 0
	s_mov_b32 s8, -1
	s_wait_loadcnt 0x0
	v_lshlrev_b32_e32 v0, 16, v0
	s_delay_alu instid0(VALU_DEP_1)
	v_cvt_i32_f32_e32 v0, v0
	s_branch .LBB54_5331
.LBB54_5326:
	s_mov_b32 s7, -1
	s_branch .LBB54_5330
.LBB54_5327:
	s_and_not1_saveexec_b32 s7, s7
	s_cbranch_execz .LBB54_5308
.LBB54_5328:
	v_cmp_ne_u16_e32 vcc_lo, 0, v1
	s_and_not1_b32 s8, s8, exec_lo
	s_and_b32 s9, vcc_lo, exec_lo
	s_delay_alu instid0(SALU_CYCLE_1)
	s_or_b32 s8, s8, s9
	s_or_b32 exec_lo, exec_lo, s7
	v_mov_b32_e32 v0, 0
	s_and_saveexec_b32 s7, s8
	s_cbranch_execnz .LBB54_5309
	s_branch .LBB54_5310
.LBB54_5329:
	s_mov_b32 s6, -1
.LBB54_5330:
                                        ; implicit-def: $vgpr0
.LBB54_5331:
	s_and_b32 vcc_lo, exec_lo, s7
	s_mov_b32 s7, 0
	s_cbranch_vccz .LBB54_5333
; %bb.5332:
	s_cmp_lg_u32 s0, 11
	s_mov_b32 s7, -1
	s_cselect_b32 s6, -1, 0
.LBB54_5333:
	s_delay_alu instid0(SALU_CYCLE_1)
	s_and_b32 vcc_lo, exec_lo, s6
	s_cbranch_vccnz .LBB54_5398
; %bb.5334:
	s_and_not1_b32 vcc_lo, exec_lo, s7
	s_cbranch_vccnz .LBB54_5336
.LBB54_5335:
	s_wait_loadcnt 0x0
	global_load_u8 v0, v[2:3], off
	s_mov_b32 s8, -1
	s_wait_loadcnt 0x0
	v_cmp_ne_u16_e32 vcc_lo, 0, v0
	v_cndmask_b32_e64 v0, 0, 1, vcc_lo
.LBB54_5336:
	s_mov_b32 s0, 0
.LBB54_5337:
	s_delay_alu instid0(SALU_CYCLE_1)
	s_and_b32 vcc_lo, exec_lo, s0
	s_cbranch_vccz .LBB54_5386
; %bb.5338:
	s_and_b32 s0, 0xffff, s57
	s_delay_alu instid0(SALU_CYCLE_1)
	s_cmp_lt_i32 s0, 5
	s_cbranch_scc1 .LBB54_5343
; %bb.5339:
	s_cmp_lt_i32 s0, 8
	s_cbranch_scc1 .LBB54_5344
; %bb.5340:
	;; [unrolled: 3-line block ×3, first 2 shown]
	s_cmp_gt_i32 s0, 9
	s_cbranch_scc0 .LBB54_5346
; %bb.5342:
	s_wait_loadcnt 0x0
	global_load_b64 v[0:1], v[2:3], off
	s_mov_b32 s6, 0
	s_wait_loadcnt 0x0
	v_cvt_i32_f64_e32 v0, v[0:1]
	s_branch .LBB54_5347
.LBB54_5343:
	s_mov_b32 s6, -1
                                        ; implicit-def: $vgpr0
	s_branch .LBB54_5365
.LBB54_5344:
	s_mov_b32 s6, -1
                                        ; implicit-def: $vgpr0
	s_branch .LBB54_5353
.LBB54_5345:
	s_mov_b32 s6, -1
                                        ; implicit-def: $vgpr0
	s_branch .LBB54_5350
.LBB54_5346:
	s_mov_b32 s6, -1
                                        ; implicit-def: $vgpr0
.LBB54_5347:
	s_delay_alu instid0(SALU_CYCLE_1)
	s_and_not1_b32 vcc_lo, exec_lo, s6
	s_cbranch_vccnz .LBB54_5349
; %bb.5348:
	s_wait_loadcnt 0x0
	global_load_b32 v0, v[2:3], off
	s_wait_loadcnt 0x0
	v_cvt_i32_f32_e32 v0, v0
.LBB54_5349:
	s_mov_b32 s6, 0
.LBB54_5350:
	s_delay_alu instid0(SALU_CYCLE_1)
	s_and_not1_b32 vcc_lo, exec_lo, s6
	s_cbranch_vccnz .LBB54_5352
; %bb.5351:
	s_wait_loadcnt 0x0
	global_load_b32 v0, v[2:3], off
	s_wait_loadcnt 0x0
	v_cvt_f32_f16_e32 v0, v0
	s_delay_alu instid0(VALU_DEP_1)
	v_cvt_i32_f32_e32 v0, v0
.LBB54_5352:
	s_mov_b32 s6, 0
.LBB54_5353:
	s_delay_alu instid0(SALU_CYCLE_1)
	s_and_not1_b32 vcc_lo, exec_lo, s6
	s_cbranch_vccnz .LBB54_5364
; %bb.5354:
	s_cmp_lt_i32 s0, 6
	s_cbranch_scc1 .LBB54_5357
; %bb.5355:
	s_cmp_gt_i32 s0, 6
	s_cbranch_scc0 .LBB54_5358
; %bb.5356:
	s_wait_loadcnt 0x0
	global_load_b64 v[0:1], v[2:3], off
	s_mov_b32 s6, 0
	s_wait_loadcnt 0x0
	v_cvt_i32_f64_e32 v0, v[0:1]
	s_branch .LBB54_5359
.LBB54_5357:
	s_mov_b32 s6, -1
                                        ; implicit-def: $vgpr0
	s_branch .LBB54_5362
.LBB54_5358:
	s_mov_b32 s6, -1
                                        ; implicit-def: $vgpr0
.LBB54_5359:
	s_delay_alu instid0(SALU_CYCLE_1)
	s_and_not1_b32 vcc_lo, exec_lo, s6
	s_cbranch_vccnz .LBB54_5361
; %bb.5360:
	s_wait_loadcnt 0x0
	global_load_b32 v0, v[2:3], off
	s_wait_loadcnt 0x0
	v_cvt_i32_f32_e32 v0, v0
.LBB54_5361:
	s_mov_b32 s6, 0
.LBB54_5362:
	s_delay_alu instid0(SALU_CYCLE_1)
	s_and_not1_b32 vcc_lo, exec_lo, s6
	s_cbranch_vccnz .LBB54_5364
; %bb.5363:
	s_wait_loadcnt 0x0
	global_load_u16 v0, v[2:3], off
	s_wait_loadcnt 0x0
	v_cvt_f32_f16_e32 v0, v0
	s_delay_alu instid0(VALU_DEP_1)
	v_cvt_i32_f32_e32 v0, v0
.LBB54_5364:
	s_mov_b32 s6, 0
.LBB54_5365:
	s_delay_alu instid0(SALU_CYCLE_1)
	s_and_not1_b32 vcc_lo, exec_lo, s6
	s_cbranch_vccnz .LBB54_5385
; %bb.5366:
	s_cmp_lt_i32 s0, 2
	s_cbranch_scc1 .LBB54_5370
; %bb.5367:
	s_cmp_lt_i32 s0, 3
	s_cbranch_scc1 .LBB54_5371
; %bb.5368:
	s_cmp_gt_i32 s0, 3
	s_cbranch_scc0 .LBB54_5372
; %bb.5369:
	s_wait_loadcnt 0x0
	global_load_b32 v0, v[2:3], off
	s_mov_b32 s6, 0
	s_branch .LBB54_5373
.LBB54_5370:
	s_mov_b32 s6, -1
                                        ; implicit-def: $vgpr0
	s_branch .LBB54_5379
.LBB54_5371:
	s_mov_b32 s6, -1
                                        ; implicit-def: $vgpr0
	s_branch .LBB54_5376
.LBB54_5372:
	s_mov_b32 s6, -1
                                        ; implicit-def: $vgpr0
.LBB54_5373:
	s_delay_alu instid0(SALU_CYCLE_1)
	s_and_not1_b32 vcc_lo, exec_lo, s6
	s_cbranch_vccnz .LBB54_5375
; %bb.5374:
	s_wait_loadcnt 0x0
	global_load_b32 v0, v[2:3], off
.LBB54_5375:
	s_mov_b32 s6, 0
.LBB54_5376:
	s_delay_alu instid0(SALU_CYCLE_1)
	s_and_not1_b32 vcc_lo, exec_lo, s6
	s_cbranch_vccnz .LBB54_5378
; %bb.5377:
	s_wait_loadcnt 0x0
	global_load_i16 v0, v[2:3], off
.LBB54_5378:
	s_mov_b32 s6, 0
.LBB54_5379:
	s_delay_alu instid0(SALU_CYCLE_1)
	s_and_not1_b32 vcc_lo, exec_lo, s6
	s_cbranch_vccnz .LBB54_5385
; %bb.5380:
	s_cmp_gt_i32 s0, 0
	s_mov_b32 s0, 0
	s_cbranch_scc0 .LBB54_5382
; %bb.5381:
	s_wait_loadcnt 0x0
	global_load_i8 v0, v[2:3], off
	s_branch .LBB54_5383
.LBB54_5382:
	s_mov_b32 s0, -1
                                        ; implicit-def: $vgpr0
.LBB54_5383:
	s_delay_alu instid0(SALU_CYCLE_1)
	s_and_not1_b32 vcc_lo, exec_lo, s0
	s_cbranch_vccnz .LBB54_5385
; %bb.5384:
	s_wait_loadcnt 0x0
	global_load_u8 v0, v[2:3], off
.LBB54_5385:
	s_mov_b32 s8, -1
.LBB54_5386:
	s_delay_alu instid0(SALU_CYCLE_1)
	s_and_not1_b32 vcc_lo, exec_lo, s8
	s_cbranch_vccnz .LBB54_5650
; %bb.5387:
	s_wait_xcnt 0x0
	v_add_nc_u32_e32 v2, s70, v6
	s_cmp_lt_i32 s58, 11
	s_delay_alu instid0(VALU_DEP_1) | instskip(NEXT) | instid1(VALU_DEP_1)
	v_ashrrev_i32_e32 v3, 31, v2
	v_add_nc_u64_e32 v[4:5], s[12:13], v[2:3]
	s_cbranch_scc1 .LBB54_5394
; %bb.5388:
	s_and_b32 s0, 0xffff, s58
	s_mov_b32 s7, 0
	s_cmp_gt_i32 s0, 25
	s_cbranch_scc0 .LBB54_5395
; %bb.5389:
	s_cmp_gt_i32 s0, 28
	s_cbranch_scc0 .LBB54_5396
; %bb.5390:
	;; [unrolled: 3-line block ×4, first 2 shown]
	s_cmp_eq_u32 s0, 46
	s_mov_b32 s9, 0
	s_cbranch_scc0 .LBB54_5401
; %bb.5393:
	global_load_b32 v1, v[4:5], off
	s_mov_b32 s6, 0
	s_mov_b32 s8, -1
	s_wait_loadcnt 0x0
	v_lshlrev_b32_e32 v1, 16, v1
	s_delay_alu instid0(VALU_DEP_1)
	v_cvt_i32_f32_e32 v2, v1
	s_branch .LBB54_5403
.LBB54_5394:
	s_mov_b32 s0, -1
	s_mov_b32 s8, 0
                                        ; implicit-def: $vgpr2
	s_branch .LBB54_5465
.LBB54_5395:
	s_mov_b32 s9, -1
	s_mov_b32 s8, 0
	s_mov_b32 s6, 0
                                        ; implicit-def: $vgpr2
	s_branch .LBB54_5430
.LBB54_5396:
	s_mov_b32 s9, -1
	s_mov_b32 s8, 0
	s_mov_b32 s6, 0
                                        ; implicit-def: $vgpr2
	s_branch .LBB54_5413
.LBB54_5397:
	s_mov_b32 s9, -1
	s_mov_b32 s8, 0
	s_mov_b32 s6, 0
                                        ; implicit-def: $vgpr2
	s_branch .LBB54_5408
.LBB54_5398:
	s_or_b32 s37, s37, exec_lo
	s_trap 2
	s_cbranch_execz .LBB54_5335
	s_branch .LBB54_5336
.LBB54_5399:
	s_mov_b32 s9, -1
	s_mov_b32 s8, 0
	s_mov_b32 s6, 0
	s_branch .LBB54_5402
.LBB54_5400:
	s_or_b32 s75, s73, exec_lo
	s_trap 2
                                        ; implicit-def: $vgpr0
                                        ; implicit-def: $vgpr2
                                        ; implicit-def: $vgpr4
                                        ; implicit-def: $vgpr10
                                        ; implicit-def: $vgpr6
                                        ; implicit-def: $vgpr12
                                        ; implicit-def: $vgpr8
                                        ; implicit-def: $vgpr16
                                        ; implicit-def: $vgpr23
                                        ; implicit-def: $vgpr22
	s_branch .LBB54_4981
.LBB54_5401:
	s_mov_b32 s6, -1
	s_mov_b32 s8, 0
.LBB54_5402:
                                        ; implicit-def: $vgpr2
.LBB54_5403:
	s_and_b32 vcc_lo, exec_lo, s9
	s_cbranch_vccz .LBB54_5407
; %bb.5404:
	s_cmp_eq_u32 s0, 44
	s_cbranch_scc0 .LBB54_5406
; %bb.5405:
	global_load_u8 v1, v[4:5], off
	s_mov_b32 s6, 0
	s_mov_b32 s8, -1
	s_wait_loadcnt 0x0
	v_lshlrev_b32_e32 v2, 23, v1
	v_cmp_ne_u32_e32 vcc_lo, 0, v1
	s_delay_alu instid0(VALU_DEP_2) | instskip(NEXT) | instid1(VALU_DEP_1)
	v_cvt_i32_f32_e32 v2, v2
	v_cndmask_b32_e32 v2, 0, v2, vcc_lo
	s_branch .LBB54_5407
.LBB54_5406:
	s_mov_b32 s6, -1
                                        ; implicit-def: $vgpr2
.LBB54_5407:
	s_mov_b32 s9, 0
.LBB54_5408:
	s_delay_alu instid0(SALU_CYCLE_1)
	s_and_b32 vcc_lo, exec_lo, s9
	s_cbranch_vccz .LBB54_5412
; %bb.5409:
	s_cmp_eq_u32 s0, 29
	s_cbranch_scc0 .LBB54_5411
; %bb.5410:
	global_load_b32 v2, v[4:5], off
	s_mov_b32 s6, 0
	s_mov_b32 s8, -1
	s_branch .LBB54_5412
.LBB54_5411:
	s_mov_b32 s6, -1
                                        ; implicit-def: $vgpr2
.LBB54_5412:
	s_mov_b32 s9, 0
.LBB54_5413:
	s_delay_alu instid0(SALU_CYCLE_1)
	s_and_b32 vcc_lo, exec_lo, s9
	s_cbranch_vccz .LBB54_5429
; %bb.5414:
	s_cmp_lt_i32 s0, 27
	s_cbranch_scc1 .LBB54_5417
; %bb.5415:
	s_cmp_gt_i32 s0, 27
	s_cbranch_scc0 .LBB54_5418
; %bb.5416:
	s_wait_loadcnt 0x0
	global_load_b32 v2, v[4:5], off
	s_mov_b32 s8, 0
	s_branch .LBB54_5419
.LBB54_5417:
	s_mov_b32 s8, -1
                                        ; implicit-def: $vgpr2
	s_branch .LBB54_5422
.LBB54_5418:
	s_mov_b32 s8, -1
                                        ; implicit-def: $vgpr2
.LBB54_5419:
	s_delay_alu instid0(SALU_CYCLE_1)
	s_and_not1_b32 vcc_lo, exec_lo, s8
	s_cbranch_vccnz .LBB54_5421
; %bb.5420:
	s_wait_loadcnt 0x0
	global_load_u16 v2, v[4:5], off
.LBB54_5421:
	s_mov_b32 s8, 0
.LBB54_5422:
	s_delay_alu instid0(SALU_CYCLE_1)
	s_and_not1_b32 vcc_lo, exec_lo, s8
	s_cbranch_vccnz .LBB54_5428
; %bb.5423:
	global_load_u8 v1, v[4:5], off
	s_mov_b32 s9, 0
	s_mov_b32 s8, exec_lo
	s_wait_loadcnt 0x0
	v_cmpx_lt_i16_e32 0x7f, v1
	s_xor_b32 s8, exec_lo, s8
	s_cbranch_execz .LBB54_5440
; %bb.5424:
	v_cmp_ne_u16_e32 vcc_lo, 0x80, v1
	s_and_b32 s9, vcc_lo, exec_lo
	s_and_not1_saveexec_b32 s8, s8
	s_cbranch_execnz .LBB54_5441
.LBB54_5425:
	s_or_b32 exec_lo, exec_lo, s8
	v_mov_b32_e32 v2, 0
	s_and_saveexec_b32 s8, s9
	s_cbranch_execz .LBB54_5427
.LBB54_5426:
	v_and_b32_e32 v2, 0xffff, v1
	s_delay_alu instid0(VALU_DEP_1) | instskip(SKIP_1) | instid1(VALU_DEP_2)
	v_dual_lshlrev_b32 v1, 24, v1 :: v_dual_bitop2_b32 v3, 7, v2 bitop3:0x40
	v_bfe_u32 v11, v2, 3, 4
	v_and_b32_e32 v1, 0x80000000, v1
	s_delay_alu instid0(VALU_DEP_3) | instskip(NEXT) | instid1(VALU_DEP_3)
	v_clz_i32_u32_e32 v6, v3
	v_cmp_eq_u32_e32 vcc_lo, 0, v11
	s_delay_alu instid0(VALU_DEP_2) | instskip(NEXT) | instid1(VALU_DEP_1)
	v_min_u32_e32 v6, 32, v6
	v_subrev_nc_u32_e32 v10, 28, v6
	v_sub_nc_u32_e32 v6, 29, v6
	s_delay_alu instid0(VALU_DEP_2) | instskip(NEXT) | instid1(VALU_DEP_2)
	v_lshlrev_b32_e32 v2, v10, v2
	v_cndmask_b32_e32 v6, v11, v6, vcc_lo
	s_delay_alu instid0(VALU_DEP_2) | instskip(NEXT) | instid1(VALU_DEP_1)
	v_and_b32_e32 v2, 7, v2
	v_cndmask_b32_e32 v2, v3, v2, vcc_lo
	s_delay_alu instid0(VALU_DEP_3) | instskip(NEXT) | instid1(VALU_DEP_2)
	v_lshl_add_u32 v3, v6, 23, 0x3b800000
	v_lshlrev_b32_e32 v2, 20, v2
	s_delay_alu instid0(VALU_DEP_1) | instskip(NEXT) | instid1(VALU_DEP_1)
	v_or3_b32 v1, v1, v3, v2
	v_cvt_i32_f32_e32 v2, v1
.LBB54_5427:
	s_or_b32 exec_lo, exec_lo, s8
.LBB54_5428:
	s_mov_b32 s8, -1
.LBB54_5429:
	s_mov_b32 s9, 0
.LBB54_5430:
	s_delay_alu instid0(SALU_CYCLE_1)
	s_and_b32 vcc_lo, exec_lo, s9
	s_cbranch_vccz .LBB54_5461
; %bb.5431:
	s_cmp_gt_i32 s0, 22
	s_cbranch_scc0 .LBB54_5439
; %bb.5432:
	s_cmp_lt_i32 s0, 24
	s_cbranch_scc1 .LBB54_5442
; %bb.5433:
	s_cmp_gt_i32 s0, 24
	s_cbranch_scc0 .LBB54_5443
; %bb.5434:
	global_load_u8 v1, v[4:5], off
	s_mov_b32 s8, 0
	s_mov_b32 s7, exec_lo
	s_wait_loadcnt 0x0
	v_cmpx_lt_i16_e32 0x7f, v1
	s_xor_b32 s7, exec_lo, s7
	s_cbranch_execz .LBB54_5455
; %bb.5435:
	v_cmp_ne_u16_e32 vcc_lo, 0x80, v1
	s_and_b32 s8, vcc_lo, exec_lo
	s_and_not1_saveexec_b32 s7, s7
	s_cbranch_execnz .LBB54_5456
.LBB54_5436:
	s_or_b32 exec_lo, exec_lo, s7
	v_mov_b32_e32 v2, 0
	s_and_saveexec_b32 s7, s8
	s_cbranch_execz .LBB54_5438
.LBB54_5437:
	v_and_b32_e32 v2, 0xffff, v1
	s_delay_alu instid0(VALU_DEP_1) | instskip(SKIP_1) | instid1(VALU_DEP_2)
	v_dual_lshlrev_b32 v1, 24, v1 :: v_dual_bitop2_b32 v3, 3, v2 bitop3:0x40
	v_bfe_u32 v11, v2, 2, 5
	v_and_b32_e32 v1, 0x80000000, v1
	s_delay_alu instid0(VALU_DEP_3) | instskip(NEXT) | instid1(VALU_DEP_3)
	v_clz_i32_u32_e32 v6, v3
	v_cmp_eq_u32_e32 vcc_lo, 0, v11
	s_delay_alu instid0(VALU_DEP_2) | instskip(NEXT) | instid1(VALU_DEP_1)
	v_min_u32_e32 v6, 32, v6
	v_subrev_nc_u32_e32 v10, 29, v6
	v_sub_nc_u32_e32 v6, 30, v6
	s_delay_alu instid0(VALU_DEP_2) | instskip(NEXT) | instid1(VALU_DEP_2)
	v_lshlrev_b32_e32 v2, v10, v2
	v_cndmask_b32_e32 v6, v11, v6, vcc_lo
	s_delay_alu instid0(VALU_DEP_2) | instskip(NEXT) | instid1(VALU_DEP_1)
	v_and_b32_e32 v2, 3, v2
	v_cndmask_b32_e32 v2, v3, v2, vcc_lo
	s_delay_alu instid0(VALU_DEP_3) | instskip(NEXT) | instid1(VALU_DEP_2)
	v_lshl_add_u32 v3, v6, 23, 0x37800000
	v_lshlrev_b32_e32 v2, 21, v2
	s_delay_alu instid0(VALU_DEP_1) | instskip(NEXT) | instid1(VALU_DEP_1)
	v_or3_b32 v1, v1, v3, v2
	v_cvt_i32_f32_e32 v2, v1
.LBB54_5438:
	s_or_b32 exec_lo, exec_lo, s7
	s_mov_b32 s7, 0
	s_branch .LBB54_5444
.LBB54_5439:
	s_mov_b32 s7, -1
                                        ; implicit-def: $vgpr2
	s_branch .LBB54_5450
.LBB54_5440:
	s_and_not1_saveexec_b32 s8, s8
	s_cbranch_execz .LBB54_5425
.LBB54_5441:
	v_cmp_ne_u16_e32 vcc_lo, 0, v1
	s_and_not1_b32 s9, s9, exec_lo
	s_and_b32 s10, vcc_lo, exec_lo
	s_delay_alu instid0(SALU_CYCLE_1)
	s_or_b32 s9, s9, s10
	s_or_b32 exec_lo, exec_lo, s8
	v_mov_b32_e32 v2, 0
	s_and_saveexec_b32 s8, s9
	s_cbranch_execnz .LBB54_5426
	s_branch .LBB54_5427
.LBB54_5442:
	s_mov_b32 s7, -1
                                        ; implicit-def: $vgpr2
	s_branch .LBB54_5447
.LBB54_5443:
	s_mov_b32 s7, -1
                                        ; implicit-def: $vgpr2
.LBB54_5444:
	s_delay_alu instid0(SALU_CYCLE_1)
	s_and_b32 vcc_lo, exec_lo, s7
	s_cbranch_vccz .LBB54_5446
; %bb.5445:
	global_load_u8 v1, v[4:5], off
	s_wait_loadcnt 0x0
	v_lshlrev_b32_e32 v1, 24, v1
	s_delay_alu instid0(VALU_DEP_1) | instskip(NEXT) | instid1(VALU_DEP_1)
	v_and_b32_e32 v2, 0x7f000000, v1
	v_clz_i32_u32_e32 v3, v2
	v_add_nc_u32_e32 v10, 0x1000000, v2
	v_cmp_ne_u32_e32 vcc_lo, 0, v2
	s_delay_alu instid0(VALU_DEP_3) | instskip(NEXT) | instid1(VALU_DEP_1)
	v_min_u32_e32 v3, 32, v3
	v_sub_nc_u32_e64 v3, v3, 4 clamp
	s_delay_alu instid0(VALU_DEP_1) | instskip(NEXT) | instid1(VALU_DEP_1)
	v_dual_lshlrev_b32 v6, v3, v2 :: v_dual_lshlrev_b32 v3, 23, v3
	v_lshrrev_b32_e32 v6, 4, v6
	s_delay_alu instid0(VALU_DEP_1) | instskip(NEXT) | instid1(VALU_DEP_1)
	v_dual_sub_nc_u32 v3, v6, v3 :: v_dual_ashrrev_i32 v6, 8, v10
	v_add_nc_u32_e32 v3, 0x3c000000, v3
	s_delay_alu instid0(VALU_DEP_1) | instskip(NEXT) | instid1(VALU_DEP_1)
	v_and_or_b32 v3, 0x7f800000, v6, v3
	v_cndmask_b32_e32 v2, 0, v3, vcc_lo
	s_delay_alu instid0(VALU_DEP_1) | instskip(NEXT) | instid1(VALU_DEP_1)
	v_and_or_b32 v1, 0x80000000, v1, v2
	v_cvt_i32_f32_e32 v2, v1
.LBB54_5446:
	s_mov_b32 s7, 0
.LBB54_5447:
	s_delay_alu instid0(SALU_CYCLE_1)
	s_and_not1_b32 vcc_lo, exec_lo, s7
	s_cbranch_vccnz .LBB54_5449
; %bb.5448:
	global_load_u8 v1, v[4:5], off
	s_wait_loadcnt 0x0
	v_lshlrev_b32_e32 v2, 25, v1
	v_lshlrev_b16 v1, 8, v1
	s_delay_alu instid0(VALU_DEP_1) | instskip(SKIP_1) | instid1(VALU_DEP_2)
	v_and_or_b32 v6, 0x7f00, v1, 0.5
	v_bfe_i32 v1, v1, 0, 16
	v_add_f32_e32 v6, -0.5, v6
	v_lshrrev_b32_e32 v3, 4, v2
	v_cmp_gt_u32_e32 vcc_lo, 0x8000000, v2
	s_delay_alu instid0(VALU_DEP_2) | instskip(NEXT) | instid1(VALU_DEP_1)
	v_or_b32_e32 v3, 0x70000000, v3
	v_mul_f32_e32 v3, 0x7800000, v3
	s_delay_alu instid0(VALU_DEP_1) | instskip(NEXT) | instid1(VALU_DEP_1)
	v_cndmask_b32_e32 v2, v3, v6, vcc_lo
	v_and_or_b32 v1, 0x80000000, v1, v2
	s_delay_alu instid0(VALU_DEP_1)
	v_cvt_i32_f32_e32 v2, v1
.LBB54_5449:
	s_mov_b32 s7, 0
	s_mov_b32 s8, -1
.LBB54_5450:
	s_and_not1_b32 vcc_lo, exec_lo, s7
	s_mov_b32 s7, 0
	s_cbranch_vccnz .LBB54_5461
; %bb.5451:
	s_cmp_gt_i32 s0, 14
	s_cbranch_scc0 .LBB54_5454
; %bb.5452:
	s_cmp_eq_u32 s0, 15
	s_cbranch_scc0 .LBB54_5457
; %bb.5453:
	global_load_u16 v1, v[4:5], off
	s_mov_b32 s6, 0
	s_mov_b32 s8, -1
	s_wait_loadcnt 0x0
	v_lshlrev_b32_e32 v1, 16, v1
	s_delay_alu instid0(VALU_DEP_1)
	v_cvt_i32_f32_e32 v2, v1
	s_branch .LBB54_5459
.LBB54_5454:
	s_mov_b32 s7, -1
	s_branch .LBB54_5458
.LBB54_5455:
	s_and_not1_saveexec_b32 s7, s7
	s_cbranch_execz .LBB54_5436
.LBB54_5456:
	v_cmp_ne_u16_e32 vcc_lo, 0, v1
	s_and_not1_b32 s8, s8, exec_lo
	s_and_b32 s9, vcc_lo, exec_lo
	s_delay_alu instid0(SALU_CYCLE_1)
	s_or_b32 s8, s8, s9
	s_or_b32 exec_lo, exec_lo, s7
	v_mov_b32_e32 v2, 0
	s_and_saveexec_b32 s7, s8
	s_cbranch_execnz .LBB54_5437
	s_branch .LBB54_5438
.LBB54_5457:
	s_mov_b32 s6, -1
.LBB54_5458:
                                        ; implicit-def: $vgpr2
.LBB54_5459:
	s_and_b32 vcc_lo, exec_lo, s7
	s_mov_b32 s7, 0
	s_cbranch_vccz .LBB54_5461
; %bb.5460:
	s_cmp_lg_u32 s0, 11
	s_mov_b32 s7, -1
	s_cselect_b32 s6, -1, 0
.LBB54_5461:
	s_delay_alu instid0(SALU_CYCLE_1)
	s_and_b32 vcc_lo, exec_lo, s6
	s_cbranch_vccnz .LBB54_5526
; %bb.5462:
	s_and_not1_b32 vcc_lo, exec_lo, s7
	s_cbranch_vccnz .LBB54_5464
.LBB54_5463:
	global_load_u8 v1, v[4:5], off
	s_mov_b32 s8, -1
	s_wait_loadcnt 0x0
	v_cmp_ne_u16_e32 vcc_lo, 0, v1
	v_cndmask_b32_e64 v2, 0, 1, vcc_lo
.LBB54_5464:
	s_mov_b32 s0, 0
.LBB54_5465:
	s_delay_alu instid0(SALU_CYCLE_1)
	s_and_b32 vcc_lo, exec_lo, s0
	s_cbranch_vccz .LBB54_5514
; %bb.5466:
	s_and_b32 s0, 0xffff, s58
	s_delay_alu instid0(SALU_CYCLE_1)
	s_cmp_lt_i32 s0, 5
	s_cbranch_scc1 .LBB54_5471
; %bb.5467:
	s_cmp_lt_i32 s0, 8
	s_cbranch_scc1 .LBB54_5472
; %bb.5468:
	;; [unrolled: 3-line block ×3, first 2 shown]
	s_cmp_gt_i32 s0, 9
	s_cbranch_scc0 .LBB54_5474
; %bb.5470:
	s_wait_loadcnt 0x0
	global_load_b64 v[2:3], v[4:5], off
	s_mov_b32 s6, 0
	s_wait_loadcnt 0x0
	v_cvt_i32_f64_e32 v2, v[2:3]
	s_branch .LBB54_5475
.LBB54_5471:
	s_mov_b32 s6, -1
                                        ; implicit-def: $vgpr2
	s_branch .LBB54_5493
.LBB54_5472:
	s_mov_b32 s6, -1
                                        ; implicit-def: $vgpr2
	s_branch .LBB54_5481
.LBB54_5473:
	s_mov_b32 s6, -1
                                        ; implicit-def: $vgpr2
	s_branch .LBB54_5478
.LBB54_5474:
	s_mov_b32 s6, -1
                                        ; implicit-def: $vgpr2
.LBB54_5475:
	s_delay_alu instid0(SALU_CYCLE_1)
	s_and_not1_b32 vcc_lo, exec_lo, s6
	s_cbranch_vccnz .LBB54_5477
; %bb.5476:
	global_load_b32 v1, v[4:5], off
	s_wait_loadcnt 0x0
	v_cvt_i32_f32_e32 v2, v1
.LBB54_5477:
	s_mov_b32 s6, 0
.LBB54_5478:
	s_delay_alu instid0(SALU_CYCLE_1)
	s_and_not1_b32 vcc_lo, exec_lo, s6
	s_cbranch_vccnz .LBB54_5480
; %bb.5479:
	global_load_b32 v1, v[4:5], off
	s_wait_loadcnt 0x0
	v_cvt_f32_f16_e32 v1, v1
	s_delay_alu instid0(VALU_DEP_1)
	v_cvt_i32_f32_e32 v2, v1
.LBB54_5480:
	s_mov_b32 s6, 0
.LBB54_5481:
	s_delay_alu instid0(SALU_CYCLE_1)
	s_and_not1_b32 vcc_lo, exec_lo, s6
	s_cbranch_vccnz .LBB54_5492
; %bb.5482:
	s_cmp_lt_i32 s0, 6
	s_cbranch_scc1 .LBB54_5485
; %bb.5483:
	s_cmp_gt_i32 s0, 6
	s_cbranch_scc0 .LBB54_5486
; %bb.5484:
	s_wait_loadcnt 0x0
	global_load_b64 v[2:3], v[4:5], off
	s_mov_b32 s6, 0
	s_wait_loadcnt 0x0
	v_cvt_i32_f64_e32 v2, v[2:3]
	s_branch .LBB54_5487
.LBB54_5485:
	s_mov_b32 s6, -1
                                        ; implicit-def: $vgpr2
	s_branch .LBB54_5490
.LBB54_5486:
	s_mov_b32 s6, -1
                                        ; implicit-def: $vgpr2
.LBB54_5487:
	s_delay_alu instid0(SALU_CYCLE_1)
	s_and_not1_b32 vcc_lo, exec_lo, s6
	s_cbranch_vccnz .LBB54_5489
; %bb.5488:
	global_load_b32 v1, v[4:5], off
	s_wait_loadcnt 0x0
	v_cvt_i32_f32_e32 v2, v1
.LBB54_5489:
	s_mov_b32 s6, 0
.LBB54_5490:
	s_delay_alu instid0(SALU_CYCLE_1)
	s_and_not1_b32 vcc_lo, exec_lo, s6
	s_cbranch_vccnz .LBB54_5492
; %bb.5491:
	global_load_u16 v1, v[4:5], off
	s_wait_loadcnt 0x0
	v_cvt_f32_f16_e32 v1, v1
	s_delay_alu instid0(VALU_DEP_1)
	v_cvt_i32_f32_e32 v2, v1
.LBB54_5492:
	s_mov_b32 s6, 0
.LBB54_5493:
	s_delay_alu instid0(SALU_CYCLE_1)
	s_and_not1_b32 vcc_lo, exec_lo, s6
	s_cbranch_vccnz .LBB54_5513
; %bb.5494:
	s_cmp_lt_i32 s0, 2
	s_cbranch_scc1 .LBB54_5498
; %bb.5495:
	s_cmp_lt_i32 s0, 3
	s_cbranch_scc1 .LBB54_5499
; %bb.5496:
	s_cmp_gt_i32 s0, 3
	s_cbranch_scc0 .LBB54_5500
; %bb.5497:
	s_wait_loadcnt 0x0
	global_load_b32 v2, v[4:5], off
	s_mov_b32 s6, 0
	s_branch .LBB54_5501
.LBB54_5498:
	s_mov_b32 s6, -1
                                        ; implicit-def: $vgpr2
	s_branch .LBB54_5507
.LBB54_5499:
	s_mov_b32 s6, -1
                                        ; implicit-def: $vgpr2
	s_branch .LBB54_5504
.LBB54_5500:
	s_mov_b32 s6, -1
                                        ; implicit-def: $vgpr2
.LBB54_5501:
	s_delay_alu instid0(SALU_CYCLE_1)
	s_and_not1_b32 vcc_lo, exec_lo, s6
	s_cbranch_vccnz .LBB54_5503
; %bb.5502:
	s_wait_loadcnt 0x0
	global_load_b32 v2, v[4:5], off
.LBB54_5503:
	s_mov_b32 s6, 0
.LBB54_5504:
	s_delay_alu instid0(SALU_CYCLE_1)
	s_and_not1_b32 vcc_lo, exec_lo, s6
	s_cbranch_vccnz .LBB54_5506
; %bb.5505:
	s_wait_loadcnt 0x0
	global_load_i16 v2, v[4:5], off
.LBB54_5506:
	s_mov_b32 s6, 0
.LBB54_5507:
	s_delay_alu instid0(SALU_CYCLE_1)
	s_and_not1_b32 vcc_lo, exec_lo, s6
	s_cbranch_vccnz .LBB54_5513
; %bb.5508:
	s_cmp_gt_i32 s0, 0
	s_mov_b32 s0, 0
	s_cbranch_scc0 .LBB54_5510
; %bb.5509:
	s_wait_loadcnt 0x0
	global_load_i8 v2, v[4:5], off
	s_branch .LBB54_5511
.LBB54_5510:
	s_mov_b32 s0, -1
                                        ; implicit-def: $vgpr2
.LBB54_5511:
	s_delay_alu instid0(SALU_CYCLE_1)
	s_and_not1_b32 vcc_lo, exec_lo, s0
	s_cbranch_vccnz .LBB54_5513
; %bb.5512:
	s_wait_loadcnt 0x0
	global_load_u8 v2, v[4:5], off
.LBB54_5513:
	s_mov_b32 s8, -1
.LBB54_5514:
	s_delay_alu instid0(SALU_CYCLE_1)
	s_and_not1_b32 vcc_lo, exec_lo, s8
	s_cbranch_vccnz .LBB54_5650
; %bb.5515:
	s_wait_xcnt 0x0
	v_add_nc_u32_e32 v4, s71, v8
	s_cmp_lt_i32 s59, 11
	s_delay_alu instid0(VALU_DEP_1) | instskip(NEXT) | instid1(VALU_DEP_1)
	v_ashrrev_i32_e32 v5, 31, v4
	v_add_nc_u64_e32 v[4:5], s[14:15], v[4:5]
	s_cbranch_scc1 .LBB54_5522
; %bb.5516:
	s_and_b32 s0, 0xffff, s59
	s_mov_b32 s7, 0
	s_cmp_gt_i32 s0, 25
	s_cbranch_scc0 .LBB54_5523
; %bb.5517:
	s_cmp_gt_i32 s0, 28
	s_cbranch_scc0 .LBB54_5524
; %bb.5518:
	;; [unrolled: 3-line block ×4, first 2 shown]
	s_cmp_eq_u32 s0, 46
	s_mov_b32 s9, 0
	s_cbranch_scc0 .LBB54_5528
; %bb.5521:
	global_load_b32 v1, v[4:5], off
	s_mov_b32 s6, 0
	s_mov_b32 s8, -1
	s_wait_loadcnt 0x0
	v_lshlrev_b32_e32 v1, 16, v1
	s_delay_alu instid0(VALU_DEP_1)
	v_cvt_i32_f32_e32 v6, v1
	s_branch .LBB54_5530
.LBB54_5522:
	s_mov_b32 s0, -1
	s_mov_b32 s8, 0
                                        ; implicit-def: $vgpr6
	s_branch .LBB54_5592
.LBB54_5523:
	s_mov_b32 s9, -1
	s_mov_b32 s8, 0
	s_mov_b32 s6, 0
                                        ; implicit-def: $vgpr6
	s_branch .LBB54_5557
.LBB54_5524:
	s_mov_b32 s9, -1
	s_mov_b32 s8, 0
	s_mov_b32 s6, 0
                                        ; implicit-def: $vgpr6
	s_branch .LBB54_5540
.LBB54_5525:
	s_mov_b32 s9, -1
	s_mov_b32 s8, 0
	s_mov_b32 s6, 0
                                        ; implicit-def: $vgpr6
	s_branch .LBB54_5535
.LBB54_5526:
	s_or_b32 s37, s37, exec_lo
	s_trap 2
	s_cbranch_execz .LBB54_5463
	s_branch .LBB54_5464
.LBB54_5527:
	s_mov_b32 s9, -1
	s_mov_b32 s8, 0
	s_mov_b32 s6, 0
	s_branch .LBB54_5529
.LBB54_5528:
	s_mov_b32 s6, -1
	s_mov_b32 s8, 0
.LBB54_5529:
                                        ; implicit-def: $vgpr6
.LBB54_5530:
	s_and_b32 vcc_lo, exec_lo, s9
	s_cbranch_vccz .LBB54_5534
; %bb.5531:
	s_cmp_eq_u32 s0, 44
	s_cbranch_scc0 .LBB54_5533
; %bb.5532:
	global_load_u8 v1, v[4:5], off
	s_mov_b32 s6, 0
	s_mov_b32 s8, -1
	s_wait_loadcnt 0x0
	v_lshlrev_b32_e32 v3, 23, v1
	v_cmp_ne_u32_e32 vcc_lo, 0, v1
	s_delay_alu instid0(VALU_DEP_2) | instskip(NEXT) | instid1(VALU_DEP_1)
	v_cvt_i32_f32_e32 v3, v3
	v_cndmask_b32_e32 v6, 0, v3, vcc_lo
	s_branch .LBB54_5534
.LBB54_5533:
	s_mov_b32 s6, -1
                                        ; implicit-def: $vgpr6
.LBB54_5534:
	s_mov_b32 s9, 0
.LBB54_5535:
	s_delay_alu instid0(SALU_CYCLE_1)
	s_and_b32 vcc_lo, exec_lo, s9
	s_cbranch_vccz .LBB54_5539
; %bb.5536:
	s_cmp_eq_u32 s0, 29
	s_cbranch_scc0 .LBB54_5538
; %bb.5537:
	global_load_b32 v6, v[4:5], off
	s_mov_b32 s6, 0
	s_mov_b32 s8, -1
	s_branch .LBB54_5539
.LBB54_5538:
	s_mov_b32 s6, -1
                                        ; implicit-def: $vgpr6
.LBB54_5539:
	s_mov_b32 s9, 0
.LBB54_5540:
	s_delay_alu instid0(SALU_CYCLE_1)
	s_and_b32 vcc_lo, exec_lo, s9
	s_cbranch_vccz .LBB54_5556
; %bb.5541:
	s_cmp_lt_i32 s0, 27
	s_cbranch_scc1 .LBB54_5544
; %bb.5542:
	s_cmp_gt_i32 s0, 27
	s_cbranch_scc0 .LBB54_5545
; %bb.5543:
	s_wait_loadcnt 0x0
	global_load_b32 v6, v[4:5], off
	s_mov_b32 s8, 0
	s_branch .LBB54_5546
.LBB54_5544:
	s_mov_b32 s8, -1
                                        ; implicit-def: $vgpr6
	s_branch .LBB54_5549
.LBB54_5545:
	s_mov_b32 s8, -1
                                        ; implicit-def: $vgpr6
.LBB54_5546:
	s_delay_alu instid0(SALU_CYCLE_1)
	s_and_not1_b32 vcc_lo, exec_lo, s8
	s_cbranch_vccnz .LBB54_5548
; %bb.5547:
	s_wait_loadcnt 0x0
	global_load_u16 v6, v[4:5], off
.LBB54_5548:
	s_mov_b32 s8, 0
.LBB54_5549:
	s_delay_alu instid0(SALU_CYCLE_1)
	s_and_not1_b32 vcc_lo, exec_lo, s8
	s_cbranch_vccnz .LBB54_5555
; %bb.5550:
	global_load_u8 v1, v[4:5], off
	s_mov_b32 s9, 0
	s_mov_b32 s8, exec_lo
	s_wait_loadcnt 0x0
	v_cmpx_lt_i16_e32 0x7f, v1
	s_xor_b32 s8, exec_lo, s8
	s_cbranch_execz .LBB54_5567
; %bb.5551:
	v_cmp_ne_u16_e32 vcc_lo, 0x80, v1
	s_and_b32 s9, vcc_lo, exec_lo
	s_and_not1_saveexec_b32 s8, s8
	s_cbranch_execnz .LBB54_5568
.LBB54_5552:
	s_or_b32 exec_lo, exec_lo, s8
	v_mov_b32_e32 v6, 0
	s_and_saveexec_b32 s8, s9
	s_cbranch_execz .LBB54_5554
.LBB54_5553:
	v_and_b32_e32 v3, 0xffff, v1
	s_delay_alu instid0(VALU_DEP_1) | instskip(SKIP_1) | instid1(VALU_DEP_2)
	v_and_b32_e32 v6, 7, v3
	v_bfe_u32 v11, v3, 3, 4
	v_clz_i32_u32_e32 v8, v6
	s_delay_alu instid0(VALU_DEP_2) | instskip(NEXT) | instid1(VALU_DEP_2)
	v_cmp_eq_u32_e32 vcc_lo, 0, v11
	v_min_u32_e32 v8, 32, v8
	s_delay_alu instid0(VALU_DEP_1) | instskip(NEXT) | instid1(VALU_DEP_1)
	v_subrev_nc_u32_e32 v10, 28, v8
	v_dual_lshlrev_b32 v3, v10, v3 :: v_dual_sub_nc_u32 v8, 29, v8
	s_delay_alu instid0(VALU_DEP_1) | instskip(NEXT) | instid1(VALU_DEP_1)
	v_dual_lshlrev_b32 v1, 24, v1 :: v_dual_bitop2_b32 v3, 7, v3 bitop3:0x40
	v_dual_cndmask_b32 v8, v11, v8 :: v_dual_cndmask_b32 v3, v6, v3
	s_delay_alu instid0(VALU_DEP_2) | instskip(NEXT) | instid1(VALU_DEP_2)
	v_and_b32_e32 v1, 0x80000000, v1
	v_lshl_add_u32 v6, v8, 23, 0x3b800000
	s_delay_alu instid0(VALU_DEP_3) | instskip(NEXT) | instid1(VALU_DEP_1)
	v_lshlrev_b32_e32 v3, 20, v3
	v_or3_b32 v1, v1, v6, v3
	s_delay_alu instid0(VALU_DEP_1)
	v_cvt_i32_f32_e32 v6, v1
.LBB54_5554:
	s_or_b32 exec_lo, exec_lo, s8
.LBB54_5555:
	s_mov_b32 s8, -1
.LBB54_5556:
	s_mov_b32 s9, 0
.LBB54_5557:
	s_delay_alu instid0(SALU_CYCLE_1)
	s_and_b32 vcc_lo, exec_lo, s9
	s_cbranch_vccz .LBB54_5588
; %bb.5558:
	s_cmp_gt_i32 s0, 22
	s_cbranch_scc0 .LBB54_5566
; %bb.5559:
	s_cmp_lt_i32 s0, 24
	s_cbranch_scc1 .LBB54_5569
; %bb.5560:
	s_cmp_gt_i32 s0, 24
	s_cbranch_scc0 .LBB54_5570
; %bb.5561:
	global_load_u8 v1, v[4:5], off
	s_mov_b32 s8, 0
	s_mov_b32 s7, exec_lo
	s_wait_loadcnt 0x0
	v_cmpx_lt_i16_e32 0x7f, v1
	s_xor_b32 s7, exec_lo, s7
	s_cbranch_execz .LBB54_5582
; %bb.5562:
	v_cmp_ne_u16_e32 vcc_lo, 0x80, v1
	s_and_b32 s8, vcc_lo, exec_lo
	s_and_not1_saveexec_b32 s7, s7
	s_cbranch_execnz .LBB54_5583
.LBB54_5563:
	s_or_b32 exec_lo, exec_lo, s7
	v_mov_b32_e32 v6, 0
	s_and_saveexec_b32 s7, s8
	s_cbranch_execz .LBB54_5565
.LBB54_5564:
	v_and_b32_e32 v3, 0xffff, v1
	s_delay_alu instid0(VALU_DEP_1) | instskip(SKIP_1) | instid1(VALU_DEP_2)
	v_and_b32_e32 v6, 3, v3
	v_bfe_u32 v11, v3, 2, 5
	v_clz_i32_u32_e32 v8, v6
	s_delay_alu instid0(VALU_DEP_2) | instskip(NEXT) | instid1(VALU_DEP_2)
	v_cmp_eq_u32_e32 vcc_lo, 0, v11
	v_min_u32_e32 v8, 32, v8
	s_delay_alu instid0(VALU_DEP_1) | instskip(NEXT) | instid1(VALU_DEP_1)
	v_subrev_nc_u32_e32 v10, 29, v8
	v_dual_lshlrev_b32 v3, v10, v3 :: v_dual_sub_nc_u32 v8, 30, v8
	s_delay_alu instid0(VALU_DEP_1) | instskip(NEXT) | instid1(VALU_DEP_1)
	v_dual_lshlrev_b32 v1, 24, v1 :: v_dual_bitop2_b32 v3, 3, v3 bitop3:0x40
	v_dual_cndmask_b32 v8, v11, v8 :: v_dual_cndmask_b32 v3, v6, v3
	s_delay_alu instid0(VALU_DEP_2) | instskip(NEXT) | instid1(VALU_DEP_2)
	v_and_b32_e32 v1, 0x80000000, v1
	v_lshl_add_u32 v6, v8, 23, 0x37800000
	s_delay_alu instid0(VALU_DEP_3) | instskip(NEXT) | instid1(VALU_DEP_1)
	v_lshlrev_b32_e32 v3, 21, v3
	v_or3_b32 v1, v1, v6, v3
	s_delay_alu instid0(VALU_DEP_1)
	v_cvt_i32_f32_e32 v6, v1
.LBB54_5565:
	s_or_b32 exec_lo, exec_lo, s7
	s_mov_b32 s7, 0
	s_branch .LBB54_5571
.LBB54_5566:
	s_mov_b32 s7, -1
                                        ; implicit-def: $vgpr6
	s_branch .LBB54_5577
.LBB54_5567:
	s_and_not1_saveexec_b32 s8, s8
	s_cbranch_execz .LBB54_5552
.LBB54_5568:
	v_cmp_ne_u16_e32 vcc_lo, 0, v1
	s_and_not1_b32 s9, s9, exec_lo
	s_and_b32 s10, vcc_lo, exec_lo
	s_delay_alu instid0(SALU_CYCLE_1)
	s_or_b32 s9, s9, s10
	s_or_b32 exec_lo, exec_lo, s8
	v_mov_b32_e32 v6, 0
	s_and_saveexec_b32 s8, s9
	s_cbranch_execnz .LBB54_5553
	s_branch .LBB54_5554
.LBB54_5569:
	s_mov_b32 s7, -1
                                        ; implicit-def: $vgpr6
	s_branch .LBB54_5574
.LBB54_5570:
	s_mov_b32 s7, -1
                                        ; implicit-def: $vgpr6
.LBB54_5571:
	s_delay_alu instid0(SALU_CYCLE_1)
	s_and_b32 vcc_lo, exec_lo, s7
	s_cbranch_vccz .LBB54_5573
; %bb.5572:
	global_load_u8 v1, v[4:5], off
	s_wait_loadcnt 0x0
	v_lshlrev_b32_e32 v1, 24, v1
	s_delay_alu instid0(VALU_DEP_1) | instskip(NEXT) | instid1(VALU_DEP_1)
	v_and_b32_e32 v3, 0x7f000000, v1
	v_clz_i32_u32_e32 v6, v3
	v_cmp_ne_u32_e32 vcc_lo, 0, v3
	v_add_nc_u32_e32 v10, 0x1000000, v3
	s_delay_alu instid0(VALU_DEP_3) | instskip(NEXT) | instid1(VALU_DEP_1)
	v_min_u32_e32 v6, 32, v6
	v_sub_nc_u32_e64 v6, v6, 4 clamp
	s_delay_alu instid0(VALU_DEP_1) | instskip(NEXT) | instid1(VALU_DEP_1)
	v_dual_lshlrev_b32 v8, v6, v3 :: v_dual_lshlrev_b32 v6, 23, v6
	v_lshrrev_b32_e32 v8, 4, v8
	s_delay_alu instid0(VALU_DEP_1) | instskip(SKIP_1) | instid1(VALU_DEP_2)
	v_sub_nc_u32_e32 v6, v8, v6
	v_ashrrev_i32_e32 v8, 8, v10
	v_add_nc_u32_e32 v6, 0x3c000000, v6
	s_delay_alu instid0(VALU_DEP_1) | instskip(NEXT) | instid1(VALU_DEP_1)
	v_and_or_b32 v6, 0x7f800000, v8, v6
	v_cndmask_b32_e32 v3, 0, v6, vcc_lo
	s_delay_alu instid0(VALU_DEP_1) | instskip(NEXT) | instid1(VALU_DEP_1)
	v_and_or_b32 v1, 0x80000000, v1, v3
	v_cvt_i32_f32_e32 v6, v1
.LBB54_5573:
	s_mov_b32 s7, 0
.LBB54_5574:
	s_delay_alu instid0(SALU_CYCLE_1)
	s_and_not1_b32 vcc_lo, exec_lo, s7
	s_cbranch_vccnz .LBB54_5576
; %bb.5575:
	global_load_u8 v1, v[4:5], off
	s_wait_loadcnt 0x0
	v_lshlrev_b32_e32 v3, 25, v1
	v_lshlrev_b16 v1, 8, v1
	s_delay_alu instid0(VALU_DEP_1) | instskip(SKIP_1) | instid1(VALU_DEP_2)
	v_and_or_b32 v8, 0x7f00, v1, 0.5
	v_bfe_i32 v1, v1, 0, 16
	v_dual_add_f32 v8, -0.5, v8 :: v_dual_lshrrev_b32 v6, 4, v3
	v_cmp_gt_u32_e32 vcc_lo, 0x8000000, v3
	s_delay_alu instid0(VALU_DEP_2) | instskip(NEXT) | instid1(VALU_DEP_1)
	v_or_b32_e32 v6, 0x70000000, v6
	v_mul_f32_e32 v6, 0x7800000, v6
	s_delay_alu instid0(VALU_DEP_1) | instskip(NEXT) | instid1(VALU_DEP_1)
	v_cndmask_b32_e32 v3, v6, v8, vcc_lo
	v_and_or_b32 v1, 0x80000000, v1, v3
	s_delay_alu instid0(VALU_DEP_1)
	v_cvt_i32_f32_e32 v6, v1
.LBB54_5576:
	s_mov_b32 s7, 0
	s_mov_b32 s8, -1
.LBB54_5577:
	s_and_not1_b32 vcc_lo, exec_lo, s7
	s_mov_b32 s7, 0
	s_cbranch_vccnz .LBB54_5588
; %bb.5578:
	s_cmp_gt_i32 s0, 14
	s_cbranch_scc0 .LBB54_5581
; %bb.5579:
	s_cmp_eq_u32 s0, 15
	s_cbranch_scc0 .LBB54_5584
; %bb.5580:
	global_load_u16 v1, v[4:5], off
	s_mov_b32 s6, 0
	s_mov_b32 s8, -1
	s_wait_loadcnt 0x0
	v_lshlrev_b32_e32 v1, 16, v1
	s_delay_alu instid0(VALU_DEP_1)
	v_cvt_i32_f32_e32 v6, v1
	s_branch .LBB54_5586
.LBB54_5581:
	s_mov_b32 s7, -1
	s_branch .LBB54_5585
.LBB54_5582:
	s_and_not1_saveexec_b32 s7, s7
	s_cbranch_execz .LBB54_5563
.LBB54_5583:
	v_cmp_ne_u16_e32 vcc_lo, 0, v1
	s_and_not1_b32 s8, s8, exec_lo
	s_and_b32 s9, vcc_lo, exec_lo
	s_delay_alu instid0(SALU_CYCLE_1)
	s_or_b32 s8, s8, s9
	s_or_b32 exec_lo, exec_lo, s7
	v_mov_b32_e32 v6, 0
	s_and_saveexec_b32 s7, s8
	s_cbranch_execnz .LBB54_5564
	s_branch .LBB54_5565
.LBB54_5584:
	s_mov_b32 s6, -1
.LBB54_5585:
                                        ; implicit-def: $vgpr6
.LBB54_5586:
	s_and_b32 vcc_lo, exec_lo, s7
	s_mov_b32 s7, 0
	s_cbranch_vccz .LBB54_5588
; %bb.5587:
	s_cmp_lg_u32 s0, 11
	s_mov_b32 s7, -1
	s_cselect_b32 s6, -1, 0
.LBB54_5588:
	s_delay_alu instid0(SALU_CYCLE_1)
	s_and_b32 vcc_lo, exec_lo, s6
	s_cbranch_vccnz .LBB54_5717
; %bb.5589:
	s_and_not1_b32 vcc_lo, exec_lo, s7
	s_cbranch_vccnz .LBB54_5591
.LBB54_5590:
	global_load_u8 v1, v[4:5], off
	s_mov_b32 s8, -1
	s_wait_loadcnt 0x0
	v_cmp_ne_u16_e32 vcc_lo, 0, v1
	v_cndmask_b32_e64 v6, 0, 1, vcc_lo
.LBB54_5591:
	s_mov_b32 s0, 0
.LBB54_5592:
	s_delay_alu instid0(SALU_CYCLE_1)
	s_and_b32 vcc_lo, exec_lo, s0
	s_cbranch_vccz .LBB54_5641
; %bb.5593:
	s_and_b32 s0, 0xffff, s59
	s_delay_alu instid0(SALU_CYCLE_1)
	s_cmp_lt_i32 s0, 5
	s_cbranch_scc1 .LBB54_5598
; %bb.5594:
	s_cmp_lt_i32 s0, 8
	s_cbranch_scc1 .LBB54_5599
; %bb.5595:
	;; [unrolled: 3-line block ×3, first 2 shown]
	s_cmp_gt_i32 s0, 9
	s_cbranch_scc0 .LBB54_5601
; %bb.5597:
	global_load_b64 v[10:11], v[4:5], off
	s_mov_b32 s6, 0
	s_wait_loadcnt 0x0
	v_cvt_i32_f64_e32 v6, v[10:11]
	s_branch .LBB54_5602
.LBB54_5598:
	s_mov_b32 s6, -1
                                        ; implicit-def: $vgpr6
	s_branch .LBB54_5620
.LBB54_5599:
	s_mov_b32 s6, -1
                                        ; implicit-def: $vgpr6
	s_branch .LBB54_5608
.LBB54_5600:
	s_mov_b32 s6, -1
                                        ; implicit-def: $vgpr6
	s_branch .LBB54_5605
.LBB54_5601:
	s_mov_b32 s6, -1
                                        ; implicit-def: $vgpr6
.LBB54_5602:
	s_delay_alu instid0(SALU_CYCLE_1)
	s_and_not1_b32 vcc_lo, exec_lo, s6
	s_cbranch_vccnz .LBB54_5604
; %bb.5603:
	global_load_b32 v1, v[4:5], off
	s_wait_loadcnt 0x0
	v_cvt_i32_f32_e32 v6, v1
.LBB54_5604:
	s_mov_b32 s6, 0
.LBB54_5605:
	s_delay_alu instid0(SALU_CYCLE_1)
	s_and_not1_b32 vcc_lo, exec_lo, s6
	s_cbranch_vccnz .LBB54_5607
; %bb.5606:
	global_load_b32 v1, v[4:5], off
	s_wait_loadcnt 0x0
	v_cvt_f32_f16_e32 v1, v1
	s_delay_alu instid0(VALU_DEP_1)
	v_cvt_i32_f32_e32 v6, v1
.LBB54_5607:
	s_mov_b32 s6, 0
.LBB54_5608:
	s_delay_alu instid0(SALU_CYCLE_1)
	s_and_not1_b32 vcc_lo, exec_lo, s6
	s_cbranch_vccnz .LBB54_5619
; %bb.5609:
	s_cmp_lt_i32 s0, 6
	s_cbranch_scc1 .LBB54_5612
; %bb.5610:
	s_cmp_gt_i32 s0, 6
	s_cbranch_scc0 .LBB54_5613
; %bb.5611:
	global_load_b64 v[10:11], v[4:5], off
	s_mov_b32 s6, 0
	s_wait_loadcnt 0x0
	v_cvt_i32_f64_e32 v6, v[10:11]
	s_branch .LBB54_5614
.LBB54_5612:
	s_mov_b32 s6, -1
                                        ; implicit-def: $vgpr6
	s_branch .LBB54_5617
.LBB54_5613:
	s_mov_b32 s6, -1
                                        ; implicit-def: $vgpr6
.LBB54_5614:
	s_delay_alu instid0(SALU_CYCLE_1)
	s_and_not1_b32 vcc_lo, exec_lo, s6
	s_cbranch_vccnz .LBB54_5616
; %bb.5615:
	global_load_b32 v1, v[4:5], off
	s_wait_loadcnt 0x0
	v_cvt_i32_f32_e32 v6, v1
.LBB54_5616:
	s_mov_b32 s6, 0
.LBB54_5617:
	s_delay_alu instid0(SALU_CYCLE_1)
	s_and_not1_b32 vcc_lo, exec_lo, s6
	s_cbranch_vccnz .LBB54_5619
; %bb.5618:
	global_load_u16 v1, v[4:5], off
	s_wait_loadcnt 0x0
	v_cvt_f32_f16_e32 v1, v1
	s_delay_alu instid0(VALU_DEP_1)
	v_cvt_i32_f32_e32 v6, v1
.LBB54_5619:
	s_mov_b32 s6, 0
.LBB54_5620:
	s_delay_alu instid0(SALU_CYCLE_1)
	s_and_not1_b32 vcc_lo, exec_lo, s6
	s_cbranch_vccnz .LBB54_5640
; %bb.5621:
	s_cmp_lt_i32 s0, 2
	s_cbranch_scc1 .LBB54_5625
; %bb.5622:
	s_cmp_lt_i32 s0, 3
	s_cbranch_scc1 .LBB54_5626
; %bb.5623:
	s_cmp_gt_i32 s0, 3
	s_cbranch_scc0 .LBB54_5627
; %bb.5624:
	s_wait_loadcnt 0x0
	global_load_b32 v6, v[4:5], off
	s_mov_b32 s6, 0
	s_branch .LBB54_5628
.LBB54_5625:
	s_mov_b32 s6, -1
                                        ; implicit-def: $vgpr6
	s_branch .LBB54_5634
.LBB54_5626:
	s_mov_b32 s6, -1
                                        ; implicit-def: $vgpr6
	s_branch .LBB54_5631
.LBB54_5627:
	s_mov_b32 s6, -1
                                        ; implicit-def: $vgpr6
.LBB54_5628:
	s_delay_alu instid0(SALU_CYCLE_1)
	s_and_not1_b32 vcc_lo, exec_lo, s6
	s_cbranch_vccnz .LBB54_5630
; %bb.5629:
	s_wait_loadcnt 0x0
	global_load_b32 v6, v[4:5], off
.LBB54_5630:
	s_mov_b32 s6, 0
.LBB54_5631:
	s_delay_alu instid0(SALU_CYCLE_1)
	s_and_not1_b32 vcc_lo, exec_lo, s6
	s_cbranch_vccnz .LBB54_5633
; %bb.5632:
	s_wait_loadcnt 0x0
	global_load_i16 v6, v[4:5], off
.LBB54_5633:
	s_mov_b32 s6, 0
.LBB54_5634:
	s_delay_alu instid0(SALU_CYCLE_1)
	s_and_not1_b32 vcc_lo, exec_lo, s6
	s_cbranch_vccnz .LBB54_5640
; %bb.5635:
	s_cmp_gt_i32 s0, 0
	s_mov_b32 s0, 0
	s_cbranch_scc0 .LBB54_5637
; %bb.5636:
	s_wait_loadcnt 0x0
	global_load_i8 v6, v[4:5], off
	s_branch .LBB54_5638
.LBB54_5637:
	s_mov_b32 s0, -1
                                        ; implicit-def: $vgpr6
.LBB54_5638:
	s_delay_alu instid0(SALU_CYCLE_1)
	s_and_not1_b32 vcc_lo, exec_lo, s0
	s_cbranch_vccnz .LBB54_5640
; %bb.5639:
	s_wait_loadcnt 0x0
	global_load_u8 v6, v[4:5], off
.LBB54_5640:
	s_mov_b32 s8, -1
.LBB54_5641:
	s_delay_alu instid0(SALU_CYCLE_1)
	s_and_not1_b32 vcc_lo, exec_lo, s8
	s_cbranch_vccnz .LBB54_5650
; %bb.5642:
	s_mov_b32 s0, exec_lo
	s_wait_loadcnt 0x0
	v_cmpx_ne_u32_e64 s38, v7
	s_xor_b32 s0, exec_lo, s0
	s_cbranch_execnz .LBB54_5993
.LBB54_5643:
	s_or_saveexec_b32 s40, s0
	s_mov_b32 s6, 0
	s_mov_b32 s7, 0
                                        ; implicit-def: $sgpr0
                                        ; implicit-def: $vgpr14_vgpr15
	s_xor_b32 exec_lo, exec_lo, s40
	s_cbranch_execz .LBB54_5988
; %bb.5644:
	s_mov_b32 s41, s37
	s_mov_b32 s0, exec_lo
	v_cmpx_ne_u32_e64 s22, v9
	s_xor_b32 s0, exec_lo, s0
	s_cbranch_execnz .LBB54_5995
; %bb.5645:
	s_or_saveexec_b32 s42, s0
                                        ; implicit-def: $sgpr0
                                        ; implicit-def: $vgpr14_vgpr15
	s_delay_alu instid0(SALU_CYCLE_1)
	s_xor_b32 exec_lo, exec_lo, s42
	s_cbranch_execz .LBB54_5987
.LBB54_5646:
	v_sub_nc_u32_e32 v1, v2, v0
	s_delay_alu instid0(VALU_DEP_1) | instskip(SKIP_3) | instid1(SALU_CYCLE_1)
	v_cmp_gt_i32_e32 vcc_lo, s38, v1
	v_cmp_lt_i32_e64 s0, s20, v1
	s_mov_b32 s20, s41
	s_or_b32 s0, vcc_lo, s0
	s_and_saveexec_b32 s6, s0
	s_delay_alu instid0(SALU_CYCLE_1)
	s_xor_b32 s0, exec_lo, s6
	s_cbranch_execnz .LBB54_5997
; %bb.5647:
	s_or_saveexec_b32 s38, s0
	s_mov_b32 s6, 0
                                        ; implicit-def: $sgpr0
                                        ; implicit-def: $vgpr14_vgpr15
	s_xor_b32 exec_lo, exec_lo, s38
	s_cbranch_execz .LBB54_5986
.LBB54_5648:
	v_cmp_ne_u32_e32 vcc_lo, 1, v23
	v_mov_b64_e32 v[4:5], 0
	s_cbranch_vccnz .LBB54_5661
; %bb.5649:
	v_ashrrev_i32_e32 v7, 31, v6
	v_mov_b64_e32 v[4:5], 0
	s_mov_b32 s35, 0
	s_mov_b64 s[6:7], 0xffffffff
	s_lshl_b64 s[10:11], s[34:35], 3
	v_mul_u64_e32 v[8:9], s[22:23], v[6:7]
	v_mov_b32_e32 v6, 0
	s_add_nc_u64 s[8:9], s[26:27], s[10:11]
	s_add_nc_u64 s[10:11], s[28:29], s[10:11]
	s_branch .LBB54_5657
.LBB54_5650:
	s_mov_b32 s6, 0
	s_mov_b32 s7, 0
                                        ; implicit-def: $sgpr0
                                        ; implicit-def: $vgpr14_vgpr15
.LBB54_5651:
	s_and_not1_b32 s1, s1, exec_lo
	s_and_b32 s2, s37, exec_lo
	s_and_b32 s19, s7, exec_lo
	;; [unrolled: 1-line block ×3, first 2 shown]
	s_or_b32 s1, s1, s2
.LBB54_5652:
	s_wait_xcnt 0x0
	s_or_b32 exec_lo, exec_lo, s36
	s_delay_alu instid0(SALU_CYCLE_1)
	s_and_not1_b32 s2, s75, exec_lo
	s_and_b32 s4, s1, exec_lo
	s_and_b32 s19, s19, exec_lo
	;; [unrolled: 1-line block ×3, first 2 shown]
	s_or_b32 s75, s2, s4
.LBB54_5653:
	s_or_b32 exec_lo, exec_lo, s76
	s_delay_alu instid0(SALU_CYCLE_1)
	s_and_not1_b32 s2, s73, exec_lo
	s_and_b32 s4, s75, exec_lo
	s_and_b32 s18, s19, exec_lo
	;; [unrolled: 1-line block ×3, first 2 shown]
	s_or_b32 s73, s2, s4
.LBB54_5654:
	s_or_b32 exec_lo, exec_lo, s74
	s_delay_alu instid0(SALU_CYCLE_1)
	s_and_not1_b32 s2, s66, exec_lo
	s_and_b32 s4, s73, exec_lo
	s_and_b32 s18, s18, exec_lo
	;; [unrolled: 1-line block ×3, first 2 shown]
	s_or_b32 s66, s2, s4
.LBB54_5655:
	s_or_b32 exec_lo, exec_lo, s72
	s_branch .LBB54_4985
.LBB54_5656:                            ;   in Loop: Header=BB54_5657 Depth=1
	s_or_b32 exec_lo, exec_lo, s0
	global_load_b64 v[12:13], v6, s[10:11]
	v_mul_u64_e32 v[14:15], s[12:13], v[10:11]
	s_add_co_i32 s24, s24, -1
	s_add_nc_u64 s[8:9], s[8:9], -8
	s_cmp_eq_u32 s24, 0
	s_wait_xcnt 0x0
	s_add_nc_u64 s[10:11], s[10:11], -8
	s_delay_alu instid0(VALU_DEP_1) | instskip(SKIP_1) | instid1(VALU_DEP_1)
	v_sub_nc_u64_e32 v[8:9], v[8:9], v[14:15]
	s_wait_loadcnt 0x0
	v_mad_nc_u64_u32 v[4:5], v8, v12, v[4:5]
	s_delay_alu instid0(VALU_DEP_1) | instskip(NEXT) | instid1(VALU_DEP_1)
	v_mad_u32 v1, v9, v12, v5
	v_mad_u32 v5, v8, v13, v1
	v_mov_b64_e32 v[8:9], v[10:11]
	s_cbranch_scc1 .LBB54_5661
.LBB54_5657:                            ; =>This Inner Loop Header: Depth=1
	global_load_b64 v[10:11], v6, s[8:9]
	s_mov_b32 s0, exec_lo
	s_wait_loadcnt 0x0
	v_or_b32_e32 v7, v9, v11
	v_readfirstlane_b32 s12, v10
	v_readfirstlane_b32 s13, v11
                                        ; implicit-def: $vgpr10_vgpr11
	s_wait_xcnt 0x0
	s_delay_alu instid0(VALU_DEP_3)
	v_cmpx_ne_u64_e32 0, v[6:7]
	s_xor_b32 s22, exec_lo, s0
	s_cbranch_execz .LBB54_5659
; %bb.5658:                             ;   in Loop: Header=BB54_5657 Depth=1
	s_ashr_i32 s14, s13, 31
	v_dual_mov_b32 v15, v6 :: v_dual_ashrrev_i32 v10, 31, v9
	s_mov_b32 s15, s14
	v_mov_b32_e32 v25, v6
	s_add_nc_u64 s[18:19], s[12:13], s[14:15]
	s_delay_alu instid0(VALU_DEP_2) | instskip(SKIP_1) | instid1(SALU_CYCLE_1)
	v_mov_b32_e32 v11, v10
	s_xor_b64 s[18:19], s[18:19], s[14:15]
	s_cvt_f32_u32 s0, s18
	s_cvt_f32_u32 s15, s19
	s_sub_nc_u64 s[28:29], 0, s[18:19]
	v_add_nc_u64_e32 v[12:13], v[8:9], v[10:11]
	v_mov_b32_e32 v19, v6
	s_fmamk_f32 s0, s15, 0x4f800000, s0
	s_delay_alu instid0(SALU_CYCLE_3) | instskip(NEXT) | instid1(VALU_DEP_2)
	v_s_rcp_f32 s0, s0
	v_xor_b32_e32 v14, v12, v10
	s_delay_alu instid0(VALU_DEP_3) | instskip(NEXT) | instid1(TRANS32_DEP_1)
	v_xor_b32_e32 v18, v13, v10
	s_mul_f32 s0, s0, 0x5f7ffffc
	s_delay_alu instid0(SALU_CYCLE_3) | instskip(NEXT) | instid1(SALU_CYCLE_3)
	s_mul_f32 s15, s0, 0x2f800000
	s_trunc_f32 s15, s15
	s_delay_alu instid0(SALU_CYCLE_3) | instskip(SKIP_1) | instid1(SALU_CYCLE_2)
	s_fmamk_f32 s0, s15, 0xcf800000, s0
	s_cvt_u32_f32 s27, s15
	s_cvt_u32_f32 s26, s0
	s_delay_alu instid0(SALU_CYCLE_3) | instskip(NEXT) | instid1(SALU_CYCLE_1)
	s_mul_u64 s[44:45], s[28:29], s[26:27]
	s_mul_hi_u32 s47, s26, s45
	s_mul_i32 s46, s26, s45
	s_mul_hi_u32 s34, s26, s44
	s_mul_i32 s15, s27, s44
	s_add_nc_u64 s[46:47], s[34:35], s[46:47]
	s_mul_hi_u32 s0, s27, s44
	s_mul_hi_u32 s23, s27, s45
	s_add_co_u32 s15, s46, s15
	s_add_co_ci_u32 s34, s47, s0
	s_mul_i32 s44, s27, s45
	s_add_co_ci_u32 s45, s23, 0
	s_delay_alu instid0(SALU_CYCLE_1) | instskip(NEXT) | instid1(SALU_CYCLE_1)
	s_add_nc_u64 s[44:45], s[34:35], s[44:45]
	s_add_co_u32 s26, s26, s44
	s_cselect_b32 s0, -1, 0
	s_delay_alu instid0(SALU_CYCLE_1) | instskip(SKIP_1) | instid1(SALU_CYCLE_1)
	s_cmp_lg_u32 s0, 0
	s_add_co_ci_u32 s27, s27, s45
	s_mul_u64 s[28:29], s[28:29], s[26:27]
	s_delay_alu instid0(SALU_CYCLE_1)
	s_mul_hi_u32 s45, s26, s29
	s_mul_i32 s44, s26, s29
	s_mul_hi_u32 s34, s26, s28
	s_mul_i32 s15, s27, s28
	s_add_nc_u64 s[44:45], s[34:35], s[44:45]
	s_mul_hi_u32 s0, s27, s28
	s_mul_hi_u32 s23, s27, s29
	s_add_co_u32 s15, s44, s15
	s_add_co_ci_u32 s34, s45, s0
	s_mul_i32 s28, s27, s29
	s_add_co_ci_u32 s29, s23, 0
	s_delay_alu instid0(SALU_CYCLE_1) | instskip(NEXT) | instid1(SALU_CYCLE_1)
	s_add_nc_u64 s[28:29], s[34:35], s[28:29]
	s_add_co_u32 s0, s26, s28
	s_cselect_b32 s15, -1, 0
	v_mul_hi_u32 v24, v14, s0
	s_cmp_lg_u32 s15, 0
	s_add_co_ci_u32 s34, s27, s29
	s_and_b64 s[26:27], s[0:1], s[6:7]
	v_mul_u64_e32 v[16:17], s[34:35], v[14:15]
	v_mul_u64_e32 v[12:13], s[26:27], v[18:19]
	;; [unrolled: 1-line block ×3, first 2 shown]
	s_delay_alu instid0(VALU_DEP_3) | instskip(NEXT) | instid1(VALU_DEP_1)
	v_add_nc_u64_e32 v[16:17], v[24:25], v[16:17]
	v_add_co_u32 v1, vcc_lo, v16, v12
	s_delay_alu instid0(VALU_DEP_2) | instskip(NEXT) | instid1(VALU_DEP_4)
	v_add_co_ci_u32_e32 v24, vcc_lo, v17, v13, vcc_lo
	v_add_co_ci_u32_e32 v21, vcc_lo, 0, v21, vcc_lo
	s_delay_alu instid0(VALU_DEP_1) | instskip(NEXT) | instid1(VALU_DEP_1)
	v_add_nc_u64_e32 v[12:13], v[24:25], v[20:21]
	v_mul_u64_e32 v[16:17], s[18:19], v[12:13]
	s_delay_alu instid0(VALU_DEP_1) | instskip(NEXT) | instid1(VALU_DEP_2)
	v_sub_nc_u32_e32 v1, v18, v17
	v_sub_co_u32 v3, vcc_lo, v14, v16
	s_delay_alu instid0(VALU_DEP_1) | instskip(NEXT) | instid1(VALU_DEP_3)
	v_sub_co_ci_u32_e64 v11, null, v18, v17, vcc_lo
	v_subrev_co_ci_u32_e64 v1, null, s19, v1, vcc_lo
	s_delay_alu instid0(VALU_DEP_3) | instskip(SKIP_1) | instid1(VALU_DEP_3)
	v_sub_co_u32 v7, s0, v3, s18
	v_add_nc_u64_e32 v[16:17], 1, v[12:13]
	v_subrev_co_ci_u32_e64 v1, null, 0, v1, s0
	s_delay_alu instid0(VALU_DEP_3) | instskip(SKIP_1) | instid1(VALU_DEP_3)
	v_cmp_le_u32_e32 vcc_lo, s18, v7
	v_cndmask_b32_e64 v7, 0, -1, vcc_lo
	v_cmp_le_u32_e32 vcc_lo, s19, v1
	v_cndmask_b32_e64 v14, 0, -1, vcc_lo
	;; [unrolled: 2-line block ×4, first 2 shown]
	v_cmp_eq_u32_e32 vcc_lo, s19, v1
	v_cndmask_b32_e32 v1, v14, v7, vcc_lo
	v_cmp_eq_u32_e32 vcc_lo, s19, v11
	v_add_nc_u64_e32 v[14:15], 2, v[12:13]
	v_cndmask_b32_e32 v3, v18, v3, vcc_lo
	s_delay_alu instid0(VALU_DEP_4) | instskip(NEXT) | instid1(VALU_DEP_2)
	v_cmp_ne_u32_e32 vcc_lo, 0, v1
	v_cmp_ne_u32_e64 s0, 0, v3
	s_delay_alu instid0(VALU_DEP_4) | instskip(NEXT) | instid1(VALU_DEP_1)
	v_dual_cndmask_b32 v1, v17, v15, vcc_lo :: v_dual_cndmask_b32 v3, v16, v14, vcc_lo
	v_dual_cndmask_b32 v1, v13, v1, s0 :: v_dual_bitop2_b32 v10, s14, v10 bitop3:0x14
	s_delay_alu instid0(VALU_DEP_1) | instskip(NEXT) | instid1(VALU_DEP_2)
	v_dual_cndmask_b32 v3, v12, v3, s0 :: v_dual_mov_b32 v11, v10
	v_xor_b32_e32 v13, v1, v10
	s_delay_alu instid0(VALU_DEP_2) | instskip(NEXT) | instid1(VALU_DEP_1)
	v_xor_b32_e32 v12, v3, v10
	v_sub_nc_u64_e32 v[10:11], v[12:13], v[10:11]
.LBB54_5659:                            ;   in Loop: Header=BB54_5657 Depth=1
	s_and_not1_saveexec_b32 s0, s22
	s_cbranch_execz .LBB54_5656
; %bb.5660:                             ;   in Loop: Header=BB54_5657 Depth=1
	v_cvt_f32_u32_e32 v1, s12
	s_sub_co_i32 s14, 0, s12
	v_mov_b32_e32 v11, v6
	s_delay_alu instid0(VALU_DEP_2) | instskip(SKIP_1) | instid1(TRANS32_DEP_1)
	v_rcp_iflag_f32_e32 v1, v1
	v_nop
	v_mul_f32_e32 v1, 0x4f7ffffe, v1
	s_delay_alu instid0(VALU_DEP_1) | instskip(NEXT) | instid1(VALU_DEP_1)
	v_cvt_u32_f32_e32 v1, v1
	v_mul_lo_u32 v3, s14, v1
	s_delay_alu instid0(VALU_DEP_1) | instskip(NEXT) | instid1(VALU_DEP_1)
	v_mul_hi_u32 v3, v1, v3
	v_add_nc_u32_e32 v1, v1, v3
	s_delay_alu instid0(VALU_DEP_1) | instskip(NEXT) | instid1(VALU_DEP_1)
	v_mul_hi_u32 v1, v8, v1
	v_mul_lo_u32 v3, v1, s12
	s_delay_alu instid0(VALU_DEP_1) | instskip(NEXT) | instid1(VALU_DEP_1)
	v_sub_nc_u32_e32 v3, v8, v3
	v_subrev_nc_u32_e32 v10, s12, v3
	v_cmp_le_u32_e32 vcc_lo, s12, v3
	s_delay_alu instid0(VALU_DEP_2) | instskip(NEXT) | instid1(VALU_DEP_1)
	v_dual_add_nc_u32 v7, 1, v1 :: v_dual_cndmask_b32 v3, v3, v10, vcc_lo
	v_cndmask_b32_e32 v1, v1, v7, vcc_lo
	s_delay_alu instid0(VALU_DEP_2) | instskip(NEXT) | instid1(VALU_DEP_2)
	v_cmp_le_u32_e32 vcc_lo, s12, v3
	v_add_nc_u32_e32 v7, 1, v1
	s_delay_alu instid0(VALU_DEP_1)
	v_cndmask_b32_e32 v10, v1, v7, vcc_lo
	s_branch .LBB54_5656
.LBB54_5661:
	s_mov_b32 s10, -1
	s_mov_b32 s6, s20
	s_mov_b32 s0, exec_lo
	v_cmpx_gt_i32_e64 v2, v0
	s_cbranch_execz .LBB54_5668
; %bb.5662:
	s_delay_alu instid0(VALU_DEP_2) | instskip(SKIP_3) | instid1(VALU_DEP_1)
	v_lshlrev_b64_e32 v[4:5], 2, v[4:5]
	v_dual_ashrrev_i32 v1, 31, v0 :: v_dual_ashrrev_i32 v3, 31, v2
	s_mov_b32 s7, 0
	s_xor_b32 s8, s50, -1
                                        ; implicit-def: $sgpr6
                                        ; implicit-def: $sgpr10
                                        ; implicit-def: $sgpr9
	v_lshl_add_u64 v[0:1], v[0:1], 2, v[4:5]
	v_add_nc_u64_e32 v[4:5], s[30:31], v[4:5]
	s_delay_alu instid0(VALU_DEP_2) | instskip(NEXT) | instid1(VALU_DEP_2)
	v_add_nc_u64_e32 v[0:1], s[30:31], v[0:1]
	v_lshl_add_u64 v[2:3], v[2:3], 2, v[4:5]
	s_delay_alu instid0(VALU_DEP_2)
	v_add_nc_u64_e32 v[0:1], 4, v[0:1]
	s_branch .LBB54_5664
.LBB54_5663:                            ;   in Loop: Header=BB54_5664 Depth=1
	s_or_b32 exec_lo, exec_lo, s11
	s_xor_b32 s11, s9, -1
	s_and_b32 s12, exec_lo, s10
	s_delay_alu instid0(SALU_CYCLE_1) | instskip(SKIP_2) | instid1(SALU_CYCLE_1)
	s_or_b32 s7, s12, s7
	s_and_not1_b32 s6, s6, exec_lo
	s_and_b32 s11, s11, exec_lo
	s_or_b32 s6, s6, s11
	s_and_not1_b32 exec_lo, exec_lo, s7
	s_cbranch_execz .LBB54_5666
.LBB54_5664:                            ; =>This Inner Loop Header: Depth=1
	s_or_b32 s9, s9, exec_lo
	s_or_b32 s10, s10, exec_lo
	s_mov_b32 s11, exec_lo
	s_delay_alu instid0(VALU_DEP_1)
	v_cmpx_lt_u64_e64 v[0:1], v[2:3]
	s_cbranch_execz .LBB54_5663
; %bb.5665:                             ;   in Loop: Header=BB54_5664 Depth=1
	global_load_b64 v[4:5], v[0:1], off offset:-4
	s_wait_xcnt 0x0
	v_add_nc_u64_e32 v[0:1], 4, v[0:1]
	s_and_not1_b32 s10, s10, exec_lo
	s_and_not1_b32 s9, s9, exec_lo
	s_wait_loadcnt 0x0
	v_cmp_ge_i32_e32 vcc_lo, v4, v5
	s_or_b32 s12, s8, vcc_lo
	s_delay_alu instid0(SALU_CYCLE_1) | instskip(NEXT) | instid1(SALU_CYCLE_1)
	s_and_b32 s12, s12, exec_lo
	s_or_b32 s10, s10, s12
	s_branch .LBB54_5663
.LBB54_5666:
	s_or_b32 exec_lo, exec_lo, s7
	s_mov_b32 s7, -1
	s_mov_b32 s8, s20
	s_and_saveexec_b32 s9, s6
	s_delay_alu instid0(SALU_CYCLE_1)
	s_xor_b32 s6, exec_lo, s9
	s_cbranch_execnz .LBB54_5990
.LBB54_5667:
	s_or_b32 exec_lo, exec_lo, s6
	s_delay_alu instid0(SALU_CYCLE_1)
	s_and_not1_b32 s6, s20, exec_lo
	s_and_b32 s8, s8, exec_lo
	s_or_not1_b32 s10, s7, exec_lo
	s_or_b32 s6, s6, s8
.LBB54_5668:
	s_or_b32 exec_lo, exec_lo, s0
	s_mov_b32 s8, 0
	s_mov_b32 s9, 0
                                        ; implicit-def: $sgpr0
                                        ; implicit-def: $vgpr14_vgpr15
	s_and_saveexec_b32 s7, s10
	s_cbranch_execz .LBB54_5985
; %bb.5669:
	v_mul_lo_u32 v0, s16, v22
	s_and_b32 s0, s2, 0xff
	s_delay_alu instid0(SALU_CYCLE_1) | instskip(NEXT) | instid1(VALU_DEP_1)
	s_cmp_lt_i32 s0, 11
	v_ashrrev_i32_e32 v1, 31, v0
	s_delay_alu instid0(VALU_DEP_1)
	v_add_nc_u64_e32 v[2:3], s[4:5], v[0:1]
	s_cbranch_scc1 .LBB54_5718
; %bb.5670:
	s_and_b32 s2, 0xffff, s0
	s_mov_b32 s11, -1
	s_mov_b32 s10, 0
	s_cmp_gt_i32 s2, 25
	s_cbranch_scc0 .LBB54_5695
; %bb.5671:
	s_cmp_gt_i32 s2, 28
	s_cbranch_scc0 .LBB54_5684
; %bb.5672:
	;; [unrolled: 3-line block ×4, first 2 shown]
	s_mov_b32 s8, -1
	s_mov_b32 s11, 0
	s_cmp_eq_u32 s2, 46
	s_cbranch_scc0 .LBB54_5676
; %bb.5675:
	v_mov_b32_e32 v1, 0
	s_mov_b32 s8, 0
	s_mov_b32 s9, -1
	global_store_b32 v[2:3], v1, off
.LBB54_5676:
	s_and_b32 vcc_lo, exec_lo, s11
	s_cbranch_vccz .LBB54_5679
; %bb.5677:
	s_cmp_eq_u32 s2, 44
	s_mov_b32 s8, -1
	s_cbranch_scc0 .LBB54_5679
; %bb.5678:
	s_wait_xcnt 0x0
	v_mov_b32_e32 v1, 0
	s_mov_b32 s8, 0
	s_mov_b32 s9, -1
	global_store_b8 v[2:3], v1, off
.LBB54_5679:
	s_mov_b32 s11, 0
.LBB54_5680:
	s_delay_alu instid0(SALU_CYCLE_1)
	s_and_b32 vcc_lo, exec_lo, s11
	s_cbranch_vccz .LBB54_5683
; %bb.5681:
	s_cmp_eq_u32 s2, 29
	s_mov_b32 s8, -1
	s_cbranch_scc0 .LBB54_5683
; %bb.5682:
	v_mov_b64_e32 v[4:5], 0
	s_mov_b32 s8, 0
	s_mov_b32 s9, -1
	global_store_b64 v[2:3], v[4:5], off
.LBB54_5683:
	s_mov_b32 s11, 0
.LBB54_5684:
	s_delay_alu instid0(SALU_CYCLE_1)
	s_and_b32 vcc_lo, exec_lo, s11
	s_cbranch_vccz .LBB54_5694
; %bb.5685:
	s_cmp_lt_i32 s2, 27
	s_mov_b32 s9, -1
	s_cbranch_scc1 .LBB54_5691
; %bb.5686:
	s_cmp_gt_i32 s2, 27
	s_cbranch_scc0 .LBB54_5688
; %bb.5687:
	s_wait_xcnt 0x0
	v_mov_b32_e32 v1, 0
	s_mov_b32 s9, 0
	global_store_b32 v[2:3], v1, off
.LBB54_5688:
	s_and_not1_b32 vcc_lo, exec_lo, s9
	s_cbranch_vccnz .LBB54_5690
; %bb.5689:
	s_wait_xcnt 0x0
	v_mov_b32_e32 v1, 0
	global_store_b16 v[2:3], v1, off
.LBB54_5690:
	s_mov_b32 s9, 0
.LBB54_5691:
	s_delay_alu instid0(SALU_CYCLE_1)
	s_and_not1_b32 vcc_lo, exec_lo, s9
	s_cbranch_vccnz .LBB54_5693
; %bb.5692:
	s_wait_xcnt 0x0
	v_mov_b32_e32 v1, 0
	global_store_b8 v[2:3], v1, off
.LBB54_5693:
	s_mov_b32 s9, -1
.LBB54_5694:
	s_mov_b32 s11, 0
.LBB54_5695:
	s_delay_alu instid0(SALU_CYCLE_1)
	s_and_b32 vcc_lo, exec_lo, s11
	s_cbranch_vccz .LBB54_5713
; %bb.5696:
	s_cmp_gt_i32 s2, 22
	s_mov_b32 s10, -1
	s_cbranch_scc0 .LBB54_5706
; %bb.5697:
	s_cmp_lt_i32 s2, 24
	s_mov_b32 s9, -1
	s_cbranch_scc1 .LBB54_5703
; %bb.5698:
	s_cmp_gt_i32 s2, 24
	s_cbranch_scc0 .LBB54_5700
; %bb.5699:
	s_wait_xcnt 0x0
	v_mov_b32_e32 v1, 0
	s_mov_b32 s9, 0
	global_store_b8 v[2:3], v1, off
.LBB54_5700:
	s_and_not1_b32 vcc_lo, exec_lo, s9
	s_cbranch_vccnz .LBB54_5702
; %bb.5701:
	s_wait_xcnt 0x0
	v_mov_b32_e32 v1, 0
	global_store_b8 v[2:3], v1, off
.LBB54_5702:
	s_mov_b32 s9, 0
.LBB54_5703:
	s_delay_alu instid0(SALU_CYCLE_1)
	s_and_not1_b32 vcc_lo, exec_lo, s9
	s_cbranch_vccnz .LBB54_5705
; %bb.5704:
	s_wait_xcnt 0x0
	v_mov_b32_e32 v1, 0
	global_store_b8 v[2:3], v1, off
.LBB54_5705:
	s_mov_b32 s10, 0
	s_mov_b32 s9, -1
.LBB54_5706:
	s_and_not1_b32 vcc_lo, exec_lo, s10
	s_mov_b32 s10, 0
	s_cbranch_vccnz .LBB54_5713
; %bb.5707:
	s_cmp_gt_i32 s2, 14
	s_mov_b32 s10, -1
	s_cbranch_scc0 .LBB54_5711
; %bb.5708:
	s_cmp_eq_u32 s2, 15
	s_mov_b32 s8, -1
	s_cbranch_scc0 .LBB54_5710
; %bb.5709:
	s_wait_xcnt 0x0
	v_mov_b32_e32 v1, 0
	s_mov_b32 s8, 0
	s_mov_b32 s9, -1
	global_store_b16 v[2:3], v1, off
.LBB54_5710:
	s_mov_b32 s10, 0
.LBB54_5711:
	s_delay_alu instid0(SALU_CYCLE_1)
	s_and_b32 vcc_lo, exec_lo, s10
	s_mov_b32 s10, 0
	s_cbranch_vccz .LBB54_5713
; %bb.5712:
	s_cmp_lg_u32 s2, 11
	s_mov_b32 s10, -1
	s_cselect_b32 s8, -1, 0
.LBB54_5713:
	s_delay_alu instid0(SALU_CYCLE_1)
	s_and_b32 vcc_lo, exec_lo, s8
	s_mov_b32 s2, s6
	s_cbranch_vccnz .LBB54_5991
; %bb.5714:
	s_and_not1_b32 vcc_lo, exec_lo, s10
	s_cbranch_vccnz .LBB54_5716
.LBB54_5715:
	s_wait_xcnt 0x0
	v_mov_b32_e32 v1, 0
	s_mov_b32 s9, -1
	global_store_b8 v[2:3], v1, off
.LBB54_5716:
	s_mov_b32 s8, 0
	s_branch .LBB54_5719
.LBB54_5717:
	s_or_b32 s37, s37, exec_lo
	s_trap 2
	s_cbranch_execz .LBB54_5590
	s_branch .LBB54_5591
.LBB54_5718:
	s_mov_b32 s8, -1
	s_mov_b32 s2, s6
.LBB54_5719:
	s_and_b32 vcc_lo, exec_lo, s8
	s_cbranch_vccz .LBB54_5758
; %bb.5720:
	s_and_b32 s8, 0xffff, s0
	s_mov_b32 s9, -1
	s_cmp_lt_i32 s8, 5
	s_cbranch_scc1 .LBB54_5741
; %bb.5721:
	s_cmp_lt_i32 s8, 8
	s_cbranch_scc1 .LBB54_5731
; %bb.5722:
	s_cmp_lt_i32 s8, 9
	s_cbranch_scc1 .LBB54_5728
; %bb.5723:
	s_cmp_gt_i32 s8, 9
	s_cbranch_scc0 .LBB54_5725
; %bb.5724:
	s_wait_xcnt 0x0
	v_mov_b32_e32 v4, 0
	s_mov_b32 s9, 0
	s_delay_alu instid0(VALU_DEP_1)
	v_dual_mov_b32 v5, v4 :: v_dual_mov_b32 v6, v4
	v_mov_b32_e32 v7, v4
	global_store_b128 v[2:3], v[4:7], off
.LBB54_5725:
	s_and_not1_b32 vcc_lo, exec_lo, s9
	s_cbranch_vccnz .LBB54_5727
; %bb.5726:
	s_wait_xcnt 0x0
	v_mov_b64_e32 v[4:5], 0
	global_store_b64 v[2:3], v[4:5], off
.LBB54_5727:
	s_mov_b32 s9, 0
.LBB54_5728:
	s_delay_alu instid0(SALU_CYCLE_1)
	s_and_not1_b32 vcc_lo, exec_lo, s9
	s_cbranch_vccnz .LBB54_5730
; %bb.5729:
	s_wait_xcnt 0x0
	v_mov_b32_e32 v1, 0
	global_store_b32 v[2:3], v1, off
.LBB54_5730:
	s_mov_b32 s9, 0
.LBB54_5731:
	s_delay_alu instid0(SALU_CYCLE_1)
	s_and_not1_b32 vcc_lo, exec_lo, s9
	s_cbranch_vccnz .LBB54_5740
; %bb.5732:
	s_cmp_lt_i32 s8, 6
	s_mov_b32 s9, -1
	s_cbranch_scc1 .LBB54_5738
; %bb.5733:
	s_cmp_gt_i32 s8, 6
	s_cbranch_scc0 .LBB54_5735
; %bb.5734:
	s_wait_xcnt 0x0
	v_mov_b64_e32 v[4:5], 0
	s_mov_b32 s9, 0
	global_store_b64 v[2:3], v[4:5], off
.LBB54_5735:
	s_and_not1_b32 vcc_lo, exec_lo, s9
	s_cbranch_vccnz .LBB54_5737
; %bb.5736:
	s_wait_xcnt 0x0
	v_mov_b32_e32 v1, 0
	global_store_b32 v[2:3], v1, off
.LBB54_5737:
	s_mov_b32 s9, 0
.LBB54_5738:
	s_delay_alu instid0(SALU_CYCLE_1)
	s_and_not1_b32 vcc_lo, exec_lo, s9
	s_cbranch_vccnz .LBB54_5740
; %bb.5739:
	s_wait_xcnt 0x0
	v_mov_b32_e32 v1, 0
	global_store_b16 v[2:3], v1, off
.LBB54_5740:
	s_mov_b32 s9, 0
.LBB54_5741:
	s_delay_alu instid0(SALU_CYCLE_1)
	s_and_not1_b32 vcc_lo, exec_lo, s9
	s_cbranch_vccnz .LBB54_5757
; %bb.5742:
	s_cmp_lt_i32 s8, 2
	s_mov_b32 s9, -1
	s_cbranch_scc1 .LBB54_5752
; %bb.5743:
	s_cmp_lt_i32 s8, 3
	s_cbranch_scc1 .LBB54_5749
; %bb.5744:
	s_cmp_gt_i32 s8, 3
	s_cbranch_scc0 .LBB54_5746
; %bb.5745:
	s_wait_xcnt 0x0
	v_mov_b64_e32 v[4:5], 0
	s_mov_b32 s9, 0
	global_store_b64 v[2:3], v[4:5], off
.LBB54_5746:
	s_and_not1_b32 vcc_lo, exec_lo, s9
	s_cbranch_vccnz .LBB54_5748
; %bb.5747:
	s_wait_xcnt 0x0
	v_mov_b32_e32 v1, 0
	global_store_b32 v[2:3], v1, off
.LBB54_5748:
	s_mov_b32 s9, 0
.LBB54_5749:
	s_delay_alu instid0(SALU_CYCLE_1)
	s_and_not1_b32 vcc_lo, exec_lo, s9
	s_cbranch_vccnz .LBB54_5751
; %bb.5750:
	s_wait_xcnt 0x0
	v_mov_b32_e32 v1, 0
	global_store_b16 v[2:3], v1, off
.LBB54_5751:
	s_mov_b32 s9, 0
.LBB54_5752:
	s_delay_alu instid0(SALU_CYCLE_1)
	s_and_not1_b32 vcc_lo, exec_lo, s9
	s_cbranch_vccnz .LBB54_5757
; %bb.5753:
	s_cmp_gt_i32 s8, 0
	s_mov_b32 s8, -1
	s_cbranch_scc0 .LBB54_5755
; %bb.5754:
	s_wait_xcnt 0x0
	v_mov_b32_e32 v1, 0
	s_mov_b32 s8, 0
	global_store_b8 v[2:3], v1, off
.LBB54_5755:
	s_and_not1_b32 vcc_lo, exec_lo, s8
	s_cbranch_vccnz .LBB54_5757
; %bb.5756:
	s_wait_xcnt 0x0
	v_mov_b32_e32 v1, 0
	global_store_b8 v[2:3], v1, off
.LBB54_5757:
	s_mov_b32 s9, -1
.LBB54_5758:
	s_delay_alu instid0(SALU_CYCLE_1)
	s_and_not1_b32 vcc_lo, exec_lo, s9
	s_cbranch_vccnz .LBB54_5983
; %bb.5759:
	s_lshl_b32 s8, s16, 7
	s_cmp_lt_i32 s0, 11
	v_add_nc_u32_e32 v0, s8, v0
	s_wait_xcnt 0x0
	s_delay_alu instid0(VALU_DEP_1) | instskip(NEXT) | instid1(VALU_DEP_1)
	v_ashrrev_i32_e32 v1, 31, v0
	v_add_nc_u64_e32 v[2:3], s[4:5], v[0:1]
	s_cbranch_scc1 .LBB54_5807
; %bb.5760:
	s_and_b32 s9, 0xffff, s0
	s_mov_b32 s13, -1
	s_mov_b32 s12, 0
	s_cmp_gt_i32 s9, 25
	s_mov_b32 s11, 0
	s_mov_b32 s10, 0
	s_cbranch_scc0 .LBB54_5785
; %bb.5761:
	s_cmp_gt_i32 s9, 28
	s_cbranch_scc0 .LBB54_5774
; %bb.5762:
	s_cmp_gt_i32 s9, 43
	;; [unrolled: 3-line block ×3, first 2 shown]
	s_cbranch_scc0 .LBB54_5766
; %bb.5764:
	s_mov_b32 s10, -1
	s_mov_b32 s13, 0
	s_cmp_eq_u32 s9, 46
	s_cbranch_scc0 .LBB54_5766
; %bb.5765:
	v_mov_b32_e32 v1, 0
	s_mov_b32 s10, 0
	s_mov_b32 s11, -1
	global_store_b32 v[2:3], v1, off
.LBB54_5766:
	s_and_b32 vcc_lo, exec_lo, s13
	s_cbranch_vccz .LBB54_5769
; %bb.5767:
	s_cmp_eq_u32 s9, 44
	s_mov_b32 s10, -1
	s_cbranch_scc0 .LBB54_5769
; %bb.5768:
	s_wait_xcnt 0x0
	v_mov_b32_e32 v1, 0
	s_mov_b32 s10, 0
	s_mov_b32 s11, -1
	global_store_b8 v[2:3], v1, off
.LBB54_5769:
	s_mov_b32 s13, 0
.LBB54_5770:
	s_delay_alu instid0(SALU_CYCLE_1)
	s_and_b32 vcc_lo, exec_lo, s13
	s_cbranch_vccz .LBB54_5773
; %bb.5771:
	s_cmp_eq_u32 s9, 29
	s_mov_b32 s10, -1
	s_cbranch_scc0 .LBB54_5773
; %bb.5772:
	v_mov_b64_e32 v[4:5], 0
	s_mov_b32 s10, 0
	s_mov_b32 s11, -1
	global_store_b64 v[2:3], v[4:5], off
.LBB54_5773:
	s_mov_b32 s13, 0
.LBB54_5774:
	s_delay_alu instid0(SALU_CYCLE_1)
	s_and_b32 vcc_lo, exec_lo, s13
	s_cbranch_vccz .LBB54_5784
; %bb.5775:
	s_cmp_lt_i32 s9, 27
	s_mov_b32 s11, -1
	s_cbranch_scc1 .LBB54_5781
; %bb.5776:
	s_cmp_gt_i32 s9, 27
	s_cbranch_scc0 .LBB54_5778
; %bb.5777:
	s_wait_xcnt 0x0
	v_mov_b32_e32 v1, 0
	s_mov_b32 s11, 0
	global_store_b32 v[2:3], v1, off
.LBB54_5778:
	s_and_not1_b32 vcc_lo, exec_lo, s11
	s_cbranch_vccnz .LBB54_5780
; %bb.5779:
	s_wait_xcnt 0x0
	v_mov_b32_e32 v1, 0
	global_store_b16 v[2:3], v1, off
.LBB54_5780:
	s_mov_b32 s11, 0
.LBB54_5781:
	s_delay_alu instid0(SALU_CYCLE_1)
	s_and_not1_b32 vcc_lo, exec_lo, s11
	s_cbranch_vccnz .LBB54_5783
; %bb.5782:
	s_wait_xcnt 0x0
	v_mov_b32_e32 v1, 0
	global_store_b8 v[2:3], v1, off
.LBB54_5783:
	s_mov_b32 s11, -1
.LBB54_5784:
	s_mov_b32 s13, 0
.LBB54_5785:
	s_delay_alu instid0(SALU_CYCLE_1)
	s_and_b32 vcc_lo, exec_lo, s13
	s_cbranch_vccz .LBB54_5803
; %bb.5786:
	s_cmp_gt_i32 s9, 22
	s_mov_b32 s12, -1
	s_cbranch_scc0 .LBB54_5796
; %bb.5787:
	s_cmp_lt_i32 s9, 24
	s_mov_b32 s11, -1
	s_cbranch_scc1 .LBB54_5793
; %bb.5788:
	s_cmp_gt_i32 s9, 24
	s_cbranch_scc0 .LBB54_5790
; %bb.5789:
	s_wait_xcnt 0x0
	v_mov_b32_e32 v1, 0
	s_mov_b32 s11, 0
	global_store_b8 v[2:3], v1, off
.LBB54_5790:
	s_and_not1_b32 vcc_lo, exec_lo, s11
	s_cbranch_vccnz .LBB54_5792
; %bb.5791:
	s_wait_xcnt 0x0
	v_mov_b32_e32 v1, 0
	global_store_b8 v[2:3], v1, off
.LBB54_5792:
	s_mov_b32 s11, 0
.LBB54_5793:
	s_delay_alu instid0(SALU_CYCLE_1)
	s_and_not1_b32 vcc_lo, exec_lo, s11
	s_cbranch_vccnz .LBB54_5795
; %bb.5794:
	s_wait_xcnt 0x0
	v_mov_b32_e32 v1, 0
	global_store_b8 v[2:3], v1, off
.LBB54_5795:
	s_mov_b32 s12, 0
	s_mov_b32 s11, -1
.LBB54_5796:
	s_and_not1_b32 vcc_lo, exec_lo, s12
	s_mov_b32 s12, 0
	s_cbranch_vccnz .LBB54_5803
; %bb.5797:
	s_cmp_gt_i32 s9, 14
	s_mov_b32 s12, -1
	s_cbranch_scc0 .LBB54_5801
; %bb.5798:
	s_cmp_eq_u32 s9, 15
	s_mov_b32 s10, -1
	s_cbranch_scc0 .LBB54_5800
; %bb.5799:
	s_wait_xcnt 0x0
	v_mov_b32_e32 v1, 0
	s_mov_b32 s10, 0
	s_mov_b32 s11, -1
	global_store_b16 v[2:3], v1, off
.LBB54_5800:
	s_mov_b32 s12, 0
.LBB54_5801:
	s_delay_alu instid0(SALU_CYCLE_1)
	s_and_b32 vcc_lo, exec_lo, s12
	s_mov_b32 s12, 0
	s_cbranch_vccz .LBB54_5803
; %bb.5802:
	s_cmp_lg_u32 s9, 11
	s_mov_b32 s12, -1
	s_cselect_b32 s10, -1, 0
.LBB54_5803:
	s_delay_alu instid0(SALU_CYCLE_1)
	s_and_b32 vcc_lo, exec_lo, s10
	s_cbranch_vccnz .LBB54_5992
; %bb.5804:
	s_and_not1_b32 vcc_lo, exec_lo, s12
	s_cbranch_vccnz .LBB54_5806
.LBB54_5805:
	s_wait_xcnt 0x0
	v_mov_b32_e32 v1, 0
	s_mov_b32 s11, -1
	global_store_b8 v[2:3], v1, off
.LBB54_5806:
	s_mov_b32 s9, 0
	s_branch .LBB54_5808
.LBB54_5807:
	s_mov_b32 s9, -1
	s_mov_b32 s11, 0
.LBB54_5808:
	s_and_b32 vcc_lo, exec_lo, s9
	s_cbranch_vccz .LBB54_5847
; %bb.5809:
	s_and_b32 s9, 0xffff, s0
	s_mov_b32 s10, -1
	s_cmp_lt_i32 s9, 5
	s_cbranch_scc1 .LBB54_5830
; %bb.5810:
	s_cmp_lt_i32 s9, 8
	s_cbranch_scc1 .LBB54_5820
; %bb.5811:
	;; [unrolled: 3-line block ×3, first 2 shown]
	s_cmp_gt_i32 s9, 9
	s_cbranch_scc0 .LBB54_5814
; %bb.5813:
	s_wait_xcnt 0x0
	v_mov_b32_e32 v4, 0
	s_mov_b32 s10, 0
	s_delay_alu instid0(VALU_DEP_1)
	v_dual_mov_b32 v5, v4 :: v_dual_mov_b32 v6, v4
	v_mov_b32_e32 v7, v4
	global_store_b128 v[2:3], v[4:7], off
.LBB54_5814:
	s_and_not1_b32 vcc_lo, exec_lo, s10
	s_cbranch_vccnz .LBB54_5816
; %bb.5815:
	s_wait_xcnt 0x0
	v_mov_b64_e32 v[4:5], 0
	global_store_b64 v[2:3], v[4:5], off
.LBB54_5816:
	s_mov_b32 s10, 0
.LBB54_5817:
	s_delay_alu instid0(SALU_CYCLE_1)
	s_and_not1_b32 vcc_lo, exec_lo, s10
	s_cbranch_vccnz .LBB54_5819
; %bb.5818:
	s_wait_xcnt 0x0
	v_mov_b32_e32 v1, 0
	global_store_b32 v[2:3], v1, off
.LBB54_5819:
	s_mov_b32 s10, 0
.LBB54_5820:
	s_delay_alu instid0(SALU_CYCLE_1)
	s_and_not1_b32 vcc_lo, exec_lo, s10
	s_cbranch_vccnz .LBB54_5829
; %bb.5821:
	s_cmp_lt_i32 s9, 6
	s_mov_b32 s10, -1
	s_cbranch_scc1 .LBB54_5827
; %bb.5822:
	s_cmp_gt_i32 s9, 6
	s_cbranch_scc0 .LBB54_5824
; %bb.5823:
	s_wait_xcnt 0x0
	v_mov_b64_e32 v[4:5], 0
	s_mov_b32 s10, 0
	global_store_b64 v[2:3], v[4:5], off
.LBB54_5824:
	s_and_not1_b32 vcc_lo, exec_lo, s10
	s_cbranch_vccnz .LBB54_5826
; %bb.5825:
	s_wait_xcnt 0x0
	v_mov_b32_e32 v1, 0
	global_store_b32 v[2:3], v1, off
.LBB54_5826:
	s_mov_b32 s10, 0
.LBB54_5827:
	s_delay_alu instid0(SALU_CYCLE_1)
	s_and_not1_b32 vcc_lo, exec_lo, s10
	s_cbranch_vccnz .LBB54_5829
; %bb.5828:
	s_wait_xcnt 0x0
	v_mov_b32_e32 v1, 0
	global_store_b16 v[2:3], v1, off
.LBB54_5829:
	s_mov_b32 s10, 0
.LBB54_5830:
	s_delay_alu instid0(SALU_CYCLE_1)
	s_and_not1_b32 vcc_lo, exec_lo, s10
	s_cbranch_vccnz .LBB54_5846
; %bb.5831:
	s_cmp_lt_i32 s9, 2
	s_mov_b32 s10, -1
	s_cbranch_scc1 .LBB54_5841
; %bb.5832:
	s_cmp_lt_i32 s9, 3
	s_cbranch_scc1 .LBB54_5838
; %bb.5833:
	s_cmp_gt_i32 s9, 3
	s_cbranch_scc0 .LBB54_5835
; %bb.5834:
	s_wait_xcnt 0x0
	v_mov_b64_e32 v[4:5], 0
	s_mov_b32 s10, 0
	global_store_b64 v[2:3], v[4:5], off
.LBB54_5835:
	s_and_not1_b32 vcc_lo, exec_lo, s10
	s_cbranch_vccnz .LBB54_5837
; %bb.5836:
	s_wait_xcnt 0x0
	v_mov_b32_e32 v1, 0
	global_store_b32 v[2:3], v1, off
.LBB54_5837:
	s_mov_b32 s10, 0
.LBB54_5838:
	s_delay_alu instid0(SALU_CYCLE_1)
	s_and_not1_b32 vcc_lo, exec_lo, s10
	s_cbranch_vccnz .LBB54_5840
; %bb.5839:
	s_wait_xcnt 0x0
	v_mov_b32_e32 v1, 0
	global_store_b16 v[2:3], v1, off
.LBB54_5840:
	s_mov_b32 s10, 0
.LBB54_5841:
	s_delay_alu instid0(SALU_CYCLE_1)
	s_and_not1_b32 vcc_lo, exec_lo, s10
	s_cbranch_vccnz .LBB54_5846
; %bb.5842:
	s_cmp_gt_i32 s9, 0
	s_mov_b32 s9, -1
	s_cbranch_scc0 .LBB54_5844
; %bb.5843:
	s_wait_xcnt 0x0
	v_mov_b32_e32 v1, 0
	s_mov_b32 s9, 0
	global_store_b8 v[2:3], v1, off
.LBB54_5844:
	s_and_not1_b32 vcc_lo, exec_lo, s9
	s_cbranch_vccnz .LBB54_5846
; %bb.5845:
	s_wait_xcnt 0x0
	v_mov_b32_e32 v1, 0
	global_store_b8 v[2:3], v1, off
.LBB54_5846:
	s_mov_b32 s11, -1
.LBB54_5847:
	s_delay_alu instid0(SALU_CYCLE_1)
	s_and_not1_b32 vcc_lo, exec_lo, s11
	s_cbranch_vccnz .LBB54_5983
; %bb.5848:
	v_add_nc_u32_e32 v0, s8, v0
	s_cmp_lt_i32 s0, 11
	s_wait_xcnt 0x0
	s_delay_alu instid0(VALU_DEP_1) | instskip(NEXT) | instid1(VALU_DEP_1)
	v_ashrrev_i32_e32 v1, 31, v0
	v_add_nc_u64_e32 v[2:3], s[4:5], v[0:1]
	s_cbranch_scc1 .LBB54_5896
; %bb.5849:
	s_and_b32 s9, 0xffff, s0
	s_mov_b32 s13, -1
	s_mov_b32 s12, 0
	s_cmp_gt_i32 s9, 25
	s_mov_b32 s11, 0
	s_mov_b32 s10, 0
	s_cbranch_scc0 .LBB54_5874
; %bb.5850:
	s_cmp_gt_i32 s9, 28
	s_cbranch_scc0 .LBB54_5863
; %bb.5851:
	s_cmp_gt_i32 s9, 43
	;; [unrolled: 3-line block ×3, first 2 shown]
	s_cbranch_scc0 .LBB54_5855
; %bb.5853:
	s_mov_b32 s10, -1
	s_mov_b32 s13, 0
	s_cmp_eq_u32 s9, 46
	s_cbranch_scc0 .LBB54_5855
; %bb.5854:
	v_mov_b32_e32 v1, 0
	s_mov_b32 s10, 0
	s_mov_b32 s11, -1
	global_store_b32 v[2:3], v1, off
.LBB54_5855:
	s_and_b32 vcc_lo, exec_lo, s13
	s_cbranch_vccz .LBB54_5858
; %bb.5856:
	s_cmp_eq_u32 s9, 44
	s_mov_b32 s10, -1
	s_cbranch_scc0 .LBB54_5858
; %bb.5857:
	s_wait_xcnt 0x0
	v_mov_b32_e32 v1, 0
	s_mov_b32 s10, 0
	s_mov_b32 s11, -1
	global_store_b8 v[2:3], v1, off
.LBB54_5858:
	s_mov_b32 s13, 0
.LBB54_5859:
	s_delay_alu instid0(SALU_CYCLE_1)
	s_and_b32 vcc_lo, exec_lo, s13
	s_cbranch_vccz .LBB54_5862
; %bb.5860:
	s_cmp_eq_u32 s9, 29
	s_mov_b32 s10, -1
	s_cbranch_scc0 .LBB54_5862
; %bb.5861:
	v_mov_b64_e32 v[4:5], 0
	s_mov_b32 s10, 0
	s_mov_b32 s11, -1
	global_store_b64 v[2:3], v[4:5], off
.LBB54_5862:
	s_mov_b32 s13, 0
.LBB54_5863:
	s_delay_alu instid0(SALU_CYCLE_1)
	s_and_b32 vcc_lo, exec_lo, s13
	s_cbranch_vccz .LBB54_5873
; %bb.5864:
	s_cmp_lt_i32 s9, 27
	s_mov_b32 s11, -1
	s_cbranch_scc1 .LBB54_5870
; %bb.5865:
	s_cmp_gt_i32 s9, 27
	s_cbranch_scc0 .LBB54_5867
; %bb.5866:
	s_wait_xcnt 0x0
	v_mov_b32_e32 v1, 0
	s_mov_b32 s11, 0
	global_store_b32 v[2:3], v1, off
.LBB54_5867:
	s_and_not1_b32 vcc_lo, exec_lo, s11
	s_cbranch_vccnz .LBB54_5869
; %bb.5868:
	s_wait_xcnt 0x0
	v_mov_b32_e32 v1, 0
	global_store_b16 v[2:3], v1, off
.LBB54_5869:
	s_mov_b32 s11, 0
.LBB54_5870:
	s_delay_alu instid0(SALU_CYCLE_1)
	s_and_not1_b32 vcc_lo, exec_lo, s11
	s_cbranch_vccnz .LBB54_5872
; %bb.5871:
	s_wait_xcnt 0x0
	v_mov_b32_e32 v1, 0
	global_store_b8 v[2:3], v1, off
.LBB54_5872:
	s_mov_b32 s11, -1
.LBB54_5873:
	s_mov_b32 s13, 0
.LBB54_5874:
	s_delay_alu instid0(SALU_CYCLE_1)
	s_and_b32 vcc_lo, exec_lo, s13
	s_cbranch_vccz .LBB54_5892
; %bb.5875:
	s_cmp_gt_i32 s9, 22
	s_mov_b32 s12, -1
	s_cbranch_scc0 .LBB54_5885
; %bb.5876:
	s_cmp_lt_i32 s9, 24
	s_mov_b32 s11, -1
	s_cbranch_scc1 .LBB54_5882
; %bb.5877:
	s_cmp_gt_i32 s9, 24
	s_cbranch_scc0 .LBB54_5879
; %bb.5878:
	s_wait_xcnt 0x0
	v_mov_b32_e32 v1, 0
	s_mov_b32 s11, 0
	global_store_b8 v[2:3], v1, off
.LBB54_5879:
	s_and_not1_b32 vcc_lo, exec_lo, s11
	s_cbranch_vccnz .LBB54_5881
; %bb.5880:
	s_wait_xcnt 0x0
	v_mov_b32_e32 v1, 0
	global_store_b8 v[2:3], v1, off
.LBB54_5881:
	s_mov_b32 s11, 0
.LBB54_5882:
	s_delay_alu instid0(SALU_CYCLE_1)
	s_and_not1_b32 vcc_lo, exec_lo, s11
	s_cbranch_vccnz .LBB54_5884
; %bb.5883:
	s_wait_xcnt 0x0
	v_mov_b32_e32 v1, 0
	global_store_b8 v[2:3], v1, off
.LBB54_5884:
	s_mov_b32 s12, 0
	s_mov_b32 s11, -1
.LBB54_5885:
	s_and_not1_b32 vcc_lo, exec_lo, s12
	s_mov_b32 s12, 0
	s_cbranch_vccnz .LBB54_5892
; %bb.5886:
	s_cmp_gt_i32 s9, 14
	s_mov_b32 s12, -1
	s_cbranch_scc0 .LBB54_5890
; %bb.5887:
	s_cmp_eq_u32 s9, 15
	s_mov_b32 s10, -1
	s_cbranch_scc0 .LBB54_5889
; %bb.5888:
	s_wait_xcnt 0x0
	v_mov_b32_e32 v1, 0
	s_mov_b32 s10, 0
	s_mov_b32 s11, -1
	global_store_b16 v[2:3], v1, off
.LBB54_5889:
	s_mov_b32 s12, 0
.LBB54_5890:
	s_delay_alu instid0(SALU_CYCLE_1)
	s_and_b32 vcc_lo, exec_lo, s12
	s_mov_b32 s12, 0
	s_cbranch_vccz .LBB54_5892
; %bb.5891:
	s_cmp_lg_u32 s9, 11
	s_mov_b32 s12, -1
	s_cselect_b32 s10, -1, 0
.LBB54_5892:
	s_delay_alu instid0(SALU_CYCLE_1)
	s_and_b32 vcc_lo, exec_lo, s10
	s_cbranch_vccnz .LBB54_5994
; %bb.5893:
	s_and_not1_b32 vcc_lo, exec_lo, s12
	s_cbranch_vccnz .LBB54_5895
.LBB54_5894:
	s_wait_xcnt 0x0
	v_mov_b32_e32 v1, 0
	s_mov_b32 s11, -1
	global_store_b8 v[2:3], v1, off
.LBB54_5895:
	s_mov_b32 s9, 0
	s_branch .LBB54_5897
.LBB54_5896:
	s_mov_b32 s9, -1
	s_mov_b32 s11, 0
.LBB54_5897:
	s_and_b32 vcc_lo, exec_lo, s9
	s_cbranch_vccz .LBB54_5936
; %bb.5898:
	s_and_b32 s9, 0xffff, s0
	s_mov_b32 s10, -1
	s_cmp_lt_i32 s9, 5
	s_cbranch_scc1 .LBB54_5919
; %bb.5899:
	s_cmp_lt_i32 s9, 8
	s_cbranch_scc1 .LBB54_5909
; %bb.5900:
	;; [unrolled: 3-line block ×3, first 2 shown]
	s_cmp_gt_i32 s9, 9
	s_cbranch_scc0 .LBB54_5903
; %bb.5902:
	s_wait_xcnt 0x0
	v_mov_b32_e32 v4, 0
	s_mov_b32 s10, 0
	s_delay_alu instid0(VALU_DEP_1)
	v_dual_mov_b32 v5, v4 :: v_dual_mov_b32 v6, v4
	v_mov_b32_e32 v7, v4
	global_store_b128 v[2:3], v[4:7], off
.LBB54_5903:
	s_and_not1_b32 vcc_lo, exec_lo, s10
	s_cbranch_vccnz .LBB54_5905
; %bb.5904:
	s_wait_xcnt 0x0
	v_mov_b64_e32 v[4:5], 0
	global_store_b64 v[2:3], v[4:5], off
.LBB54_5905:
	s_mov_b32 s10, 0
.LBB54_5906:
	s_delay_alu instid0(SALU_CYCLE_1)
	s_and_not1_b32 vcc_lo, exec_lo, s10
	s_cbranch_vccnz .LBB54_5908
; %bb.5907:
	s_wait_xcnt 0x0
	v_mov_b32_e32 v1, 0
	global_store_b32 v[2:3], v1, off
.LBB54_5908:
	s_mov_b32 s10, 0
.LBB54_5909:
	s_delay_alu instid0(SALU_CYCLE_1)
	s_and_not1_b32 vcc_lo, exec_lo, s10
	s_cbranch_vccnz .LBB54_5918
; %bb.5910:
	s_cmp_lt_i32 s9, 6
	s_mov_b32 s10, -1
	s_cbranch_scc1 .LBB54_5916
; %bb.5911:
	s_cmp_gt_i32 s9, 6
	s_cbranch_scc0 .LBB54_5913
; %bb.5912:
	s_wait_xcnt 0x0
	v_mov_b64_e32 v[4:5], 0
	s_mov_b32 s10, 0
	global_store_b64 v[2:3], v[4:5], off
.LBB54_5913:
	s_and_not1_b32 vcc_lo, exec_lo, s10
	s_cbranch_vccnz .LBB54_5915
; %bb.5914:
	s_wait_xcnt 0x0
	v_mov_b32_e32 v1, 0
	global_store_b32 v[2:3], v1, off
.LBB54_5915:
	s_mov_b32 s10, 0
.LBB54_5916:
	s_delay_alu instid0(SALU_CYCLE_1)
	s_and_not1_b32 vcc_lo, exec_lo, s10
	s_cbranch_vccnz .LBB54_5918
; %bb.5917:
	s_wait_xcnt 0x0
	v_mov_b32_e32 v1, 0
	global_store_b16 v[2:3], v1, off
.LBB54_5918:
	s_mov_b32 s10, 0
.LBB54_5919:
	s_delay_alu instid0(SALU_CYCLE_1)
	s_and_not1_b32 vcc_lo, exec_lo, s10
	s_cbranch_vccnz .LBB54_5935
; %bb.5920:
	s_cmp_lt_i32 s9, 2
	s_mov_b32 s10, -1
	s_cbranch_scc1 .LBB54_5930
; %bb.5921:
	s_cmp_lt_i32 s9, 3
	s_cbranch_scc1 .LBB54_5927
; %bb.5922:
	s_cmp_gt_i32 s9, 3
	s_cbranch_scc0 .LBB54_5924
; %bb.5923:
	s_wait_xcnt 0x0
	v_mov_b64_e32 v[4:5], 0
	s_mov_b32 s10, 0
	global_store_b64 v[2:3], v[4:5], off
.LBB54_5924:
	s_and_not1_b32 vcc_lo, exec_lo, s10
	s_cbranch_vccnz .LBB54_5926
; %bb.5925:
	s_wait_xcnt 0x0
	v_mov_b32_e32 v1, 0
	global_store_b32 v[2:3], v1, off
.LBB54_5926:
	s_mov_b32 s10, 0
.LBB54_5927:
	s_delay_alu instid0(SALU_CYCLE_1)
	s_and_not1_b32 vcc_lo, exec_lo, s10
	s_cbranch_vccnz .LBB54_5929
; %bb.5928:
	s_wait_xcnt 0x0
	v_mov_b32_e32 v1, 0
	global_store_b16 v[2:3], v1, off
.LBB54_5929:
	s_mov_b32 s10, 0
.LBB54_5930:
	s_delay_alu instid0(SALU_CYCLE_1)
	s_and_not1_b32 vcc_lo, exec_lo, s10
	s_cbranch_vccnz .LBB54_5935
; %bb.5931:
	s_cmp_gt_i32 s9, 0
	s_mov_b32 s9, -1
	s_cbranch_scc0 .LBB54_5933
; %bb.5932:
	s_wait_xcnt 0x0
	v_mov_b32_e32 v1, 0
	s_mov_b32 s9, 0
	global_store_b8 v[2:3], v1, off
.LBB54_5933:
	s_and_not1_b32 vcc_lo, exec_lo, s9
	s_cbranch_vccnz .LBB54_5935
; %bb.5934:
	s_wait_xcnt 0x0
	v_mov_b32_e32 v1, 0
	global_store_b8 v[2:3], v1, off
.LBB54_5935:
	s_mov_b32 s11, -1
.LBB54_5936:
	s_delay_alu instid0(SALU_CYCLE_1)
	s_and_not1_b32 vcc_lo, exec_lo, s11
	s_cbranch_vccnz .LBB54_5983
; %bb.5937:
	v_add_nc_u32_e32 v0, s8, v0
	s_cmp_lt_i32 s0, 11
	s_wait_xcnt 0x0
	s_delay_alu instid0(VALU_DEP_1) | instskip(NEXT) | instid1(VALU_DEP_1)
	v_ashrrev_i32_e32 v1, 31, v0
	v_add_nc_u64_e32 v[14:15], s[4:5], v[0:1]
	s_cbranch_scc1 .LBB54_5989
; %bb.5938:
	s_and_b32 s5, 0xffff, s0
	s_mov_b32 s9, -1
	s_mov_b32 s4, 0
	s_cmp_gt_i32 s5, 25
	s_mov_b32 s8, 0
	s_cbranch_scc0 .LBB54_5963
; %bb.5939:
	s_cmp_gt_i32 s5, 28
	s_cbranch_scc0 .LBB54_5953
; %bb.5940:
	s_cmp_gt_i32 s5, 43
	s_cbranch_scc0 .LBB54_5949
; %bb.5941:
	s_cmp_gt_i32 s5, 45
	s_cbranch_scc0 .LBB54_5945
; %bb.5942:
	s_cmp_eq_u32 s5, 46
	s_mov_b32 s8, -1
	s_cbranch_scc0 .LBB54_5944
; %bb.5943:
	v_mov_b32_e32 v0, 0
	s_mov_b32 s8, 0
	global_store_b32 v[14:15], v0, off
.LBB54_5944:
	s_mov_b32 s9, 0
.LBB54_5945:
	s_delay_alu instid0(SALU_CYCLE_1)
	s_and_b32 vcc_lo, exec_lo, s9
	s_cbranch_vccz .LBB54_5948
; %bb.5946:
	s_cmp_eq_u32 s5, 44
	s_mov_b32 s8, -1
	s_cbranch_scc0 .LBB54_5948
; %bb.5947:
	s_wait_xcnt 0x0
	v_mov_b32_e32 v0, 0
	s_mov_b32 s8, 0
	global_store_b8 v[14:15], v0, off
.LBB54_5948:
	s_mov_b32 s9, 0
.LBB54_5949:
	s_delay_alu instid0(SALU_CYCLE_1)
	s_and_b32 vcc_lo, exec_lo, s9
	s_cbranch_vccz .LBB54_5952
; %bb.5950:
	s_cmp_eq_u32 s5, 29
	s_mov_b32 s8, -1
	s_cbranch_scc0 .LBB54_5952
; %bb.5951:
	s_wait_xcnt 0x0
	v_mov_b64_e32 v[0:1], 0
	s_mov_b32 s8, 0
	global_store_b64 v[14:15], v[0:1], off
.LBB54_5952:
	s_mov_b32 s9, 0
.LBB54_5953:
	s_delay_alu instid0(SALU_CYCLE_1)
	s_and_b32 vcc_lo, exec_lo, s9
	s_cbranch_vccz .LBB54_5962
; %bb.5954:
	s_cmp_lt_i32 s5, 27
	s_mov_b32 s9, -1
	s_cbranch_scc1 .LBB54_5960
; %bb.5955:
	s_cmp_gt_i32 s5, 27
	s_cbranch_scc0 .LBB54_5957
; %bb.5956:
	s_wait_xcnt 0x0
	v_mov_b32_e32 v0, 0
	s_mov_b32 s9, 0
	global_store_b32 v[14:15], v0, off
.LBB54_5957:
	s_and_not1_b32 vcc_lo, exec_lo, s9
	s_cbranch_vccnz .LBB54_5959
; %bb.5958:
	s_wait_xcnt 0x0
	v_mov_b32_e32 v0, 0
	global_store_b16 v[14:15], v0, off
.LBB54_5959:
	s_mov_b32 s9, 0
.LBB54_5960:
	s_delay_alu instid0(SALU_CYCLE_1)
	s_and_not1_b32 vcc_lo, exec_lo, s9
	s_cbranch_vccnz .LBB54_5962
; %bb.5961:
	s_wait_xcnt 0x0
	v_mov_b32_e32 v0, 0
	global_store_b8 v[14:15], v0, off
.LBB54_5962:
	s_mov_b32 s9, 0
.LBB54_5963:
	s_delay_alu instid0(SALU_CYCLE_1)
	s_and_b32 vcc_lo, exec_lo, s9
	s_cbranch_vccz .LBB54_5981
; %bb.5964:
	s_cmp_gt_i32 s5, 22
	s_mov_b32 s4, -1
	s_cbranch_scc0 .LBB54_5974
; %bb.5965:
	s_cmp_lt_i32 s5, 24
	s_cbranch_scc1 .LBB54_5971
; %bb.5966:
	s_cmp_gt_i32 s5, 24
	s_cbranch_scc0 .LBB54_5968
; %bb.5967:
	s_wait_xcnt 0x0
	v_mov_b32_e32 v0, 0
	s_mov_b32 s4, 0
	global_store_b8 v[14:15], v0, off
.LBB54_5968:
	s_and_not1_b32 vcc_lo, exec_lo, s4
	s_cbranch_vccnz .LBB54_5970
; %bb.5969:
	s_wait_xcnt 0x0
	v_mov_b32_e32 v0, 0
	global_store_b8 v[14:15], v0, off
.LBB54_5970:
	s_mov_b32 s4, 0
.LBB54_5971:
	s_delay_alu instid0(SALU_CYCLE_1)
	s_and_not1_b32 vcc_lo, exec_lo, s4
	s_cbranch_vccnz .LBB54_5973
; %bb.5972:
	s_wait_xcnt 0x0
	v_mov_b32_e32 v0, 0
	global_store_b8 v[14:15], v0, off
.LBB54_5973:
	s_mov_b32 s4, 0
.LBB54_5974:
	s_delay_alu instid0(SALU_CYCLE_1)
	s_and_not1_b32 vcc_lo, exec_lo, s4
	s_mov_b32 s4, 0
	s_cbranch_vccnz .LBB54_5981
; %bb.5975:
	s_cmp_gt_i32 s5, 14
	s_mov_b32 s4, -1
	s_cbranch_scc0 .LBB54_5979
; %bb.5976:
	s_cmp_eq_u32 s5, 15
	s_mov_b32 s8, -1
	s_cbranch_scc0 .LBB54_5978
; %bb.5977:
	s_wait_xcnt 0x0
	v_mov_b32_e32 v0, 0
	s_mov_b32 s8, 0
	global_store_b16 v[14:15], v0, off
.LBB54_5978:
	s_mov_b32 s4, 0
.LBB54_5979:
	s_delay_alu instid0(SALU_CYCLE_1)
	s_and_b32 vcc_lo, exec_lo, s4
	s_mov_b32 s4, 0
	s_cbranch_vccz .LBB54_5981
; %bb.5980:
	s_cmp_lg_u32 s5, 11
	s_mov_b32 s4, -1
	s_cselect_b32 s8, -1, 0
.LBB54_5981:
	s_delay_alu instid0(SALU_CYCLE_1)
	s_and_b32 vcc_lo, exec_lo, s8
	s_cbranch_vccnz .LBB54_5996
.LBB54_5982:
	s_mov_b32 s5, 0
	s_branch .LBB54_5984
.LBB54_5983:
	s_mov_b32 s5, 0
	s_mov_b32 s4, 0
                                        ; implicit-def: $sgpr0
                                        ; implicit-def: $vgpr14_vgpr15
.LBB54_5984:
	s_and_b32 s9, s5, exec_lo
	s_and_not1_b32 s5, s6, exec_lo
	s_and_b32 s2, s2, exec_lo
	s_and_b32 s8, s4, exec_lo
	s_or_b32 s6, s5, s2
.LBB54_5985:
	s_wait_xcnt 0x0
	s_or_b32 exec_lo, exec_lo, s7
	s_delay_alu instid0(SALU_CYCLE_1)
	s_and_not1_b32 s2, s20, exec_lo
	s_and_b32 s4, s6, exec_lo
	s_and_b32 s7, s9, exec_lo
	;; [unrolled: 1-line block ×3, first 2 shown]
	s_or_b32 s20, s2, s4
.LBB54_5986:
	s_or_b32 exec_lo, exec_lo, s38
	s_delay_alu instid0(SALU_CYCLE_1)
	s_and_not1_b32 s2, s41, exec_lo
	s_and_b32 s4, s20, exec_lo
	s_and_b32 s7, s7, exec_lo
	;; [unrolled: 1-line block ×3, first 2 shown]
	s_or_b32 s41, s2, s4
.LBB54_5987:
	s_or_b32 exec_lo, exec_lo, s42
	s_delay_alu instid0(SALU_CYCLE_1)
	s_and_not1_b32 s2, s37, exec_lo
	s_and_b32 s4, s41, exec_lo
	s_and_b32 s7, s7, exec_lo
	;; [unrolled: 1-line block ×3, first 2 shown]
	s_or_b32 s37, s2, s4
.LBB54_5988:
	s_or_b32 exec_lo, exec_lo, s40
	s_branch .LBB54_5651
.LBB54_5989:
	s_mov_b32 s4, 0
	s_mov_b32 s5, -1
	s_branch .LBB54_5984
.LBB54_5990:
	s_or_b32 s8, s20, exec_lo
	s_xor_b32 s7, exec_lo, -1
	s_trap 2
	s_branch .LBB54_5667
.LBB54_5991:
	s_or_b32 s2, s6, exec_lo
	s_trap 2
	s_cbranch_execz .LBB54_5715
	s_branch .LBB54_5716
.LBB54_5992:
	s_or_b32 s2, s2, exec_lo
	s_trap 2
	s_cbranch_execz .LBB54_5805
	s_branch .LBB54_5806
.LBB54_5993:
	s_or_b32 s37, s37, exec_lo
	s_trap 2
                                        ; implicit-def: $vgpr9
                                        ; implicit-def: $vgpr2
                                        ; implicit-def: $vgpr0
                                        ; implicit-def: $vgpr23
                                        ; implicit-def: $vgpr22
                                        ; implicit-def: $vgpr6
	s_branch .LBB54_5643
.LBB54_5994:
	s_or_b32 s2, s2, exec_lo
	s_trap 2
	s_cbranch_execz .LBB54_5894
	s_branch .LBB54_5895
.LBB54_5995:
	s_or_b32 s41, s37, exec_lo
	s_trap 2
                                        ; implicit-def: $vgpr2
                                        ; implicit-def: $vgpr0
                                        ; implicit-def: $vgpr23
                                        ; implicit-def: $vgpr22
                                        ; implicit-def: $vgpr6
	s_or_saveexec_b32 s42, s0
                                        ; implicit-def: $sgpr0
                                        ; implicit-def: $vgpr14_vgpr15
	s_delay_alu instid0(SALU_CYCLE_1)
	s_xor_b32 exec_lo, exec_lo, s42
	s_cbranch_execz .LBB54_5987
	s_branch .LBB54_5646
.LBB54_5996:
	s_mov_b32 s4, 0
	s_or_b32 s2, s2, exec_lo
	s_trap 2
	s_branch .LBB54_5982
.LBB54_5997:
	s_or_b32 s20, s41, exec_lo
	s_trap 2
                                        ; implicit-def: $vgpr2
                                        ; implicit-def: $vgpr0
                                        ; implicit-def: $vgpr23
                                        ; implicit-def: $vgpr22
                                        ; implicit-def: $vgpr6
	s_or_saveexec_b32 s38, s0
	s_mov_b32 s6, 0
                                        ; implicit-def: $sgpr0
                                        ; implicit-def: $vgpr14_vgpr15
	s_xor_b32 exec_lo, exec_lo, s38
	s_cbranch_execz .LBB54_5986
	s_branch .LBB54_5648
	.section	.rodata,"a",@progbits
	.p2align	6, 0x0
	.amdhsa_kernel _ZN2at6native32elementwise_kernel_manual_unrollILi128ELi4EZNS0_15gpu_kernel_implIZZZNS0_12_GLOBAL__N_142_validate_compressed_sparse_indices_kernelILNS3_8CDimNameE0ENS3_18CUDAKernelLauncherENS3_14EmptyVecKernelENS3_8DummyVecELm0EEEvRKNS_6TensorESB_lllENKUlvE1_clEvENKUlvE_clEvEUliiiiiE_EEvRNS_18TensorIteratorBaseERKT_EUlibE_EEviT1_
		.amdhsa_group_segment_fixed_size 0
		.amdhsa_private_segment_fixed_size 0
		.amdhsa_kernarg_size 144
		.amdhsa_user_sgpr_count 2
		.amdhsa_user_sgpr_dispatch_ptr 0
		.amdhsa_user_sgpr_queue_ptr 0
		.amdhsa_user_sgpr_kernarg_segment_ptr 1
		.amdhsa_user_sgpr_dispatch_id 0
		.amdhsa_user_sgpr_kernarg_preload_length 0
		.amdhsa_user_sgpr_kernarg_preload_offset 0
		.amdhsa_user_sgpr_private_segment_size 0
		.amdhsa_wavefront_size32 1
		.amdhsa_uses_dynamic_stack 0
		.amdhsa_enable_private_segment 0
		.amdhsa_system_sgpr_workgroup_id_x 1
		.amdhsa_system_sgpr_workgroup_id_y 0
		.amdhsa_system_sgpr_workgroup_id_z 0
		.amdhsa_system_sgpr_workgroup_info 0
		.amdhsa_system_vgpr_workitem_id 0
		.amdhsa_next_free_vgpr 36
		.amdhsa_next_free_sgpr 102
		.amdhsa_named_barrier_count 0
		.amdhsa_reserve_vcc 1
		.amdhsa_float_round_mode_32 0
		.amdhsa_float_round_mode_16_64 0
		.amdhsa_float_denorm_mode_32 3
		.amdhsa_float_denorm_mode_16_64 3
		.amdhsa_fp16_overflow 0
		.amdhsa_memory_ordered 1
		.amdhsa_forward_progress 1
		.amdhsa_inst_pref_size 255
		.amdhsa_round_robin_scheduling 0
		.amdhsa_exception_fp_ieee_invalid_op 0
		.amdhsa_exception_fp_denorm_src 0
		.amdhsa_exception_fp_ieee_div_zero 0
		.amdhsa_exception_fp_ieee_overflow 0
		.amdhsa_exception_fp_ieee_underflow 0
		.amdhsa_exception_fp_ieee_inexact 0
		.amdhsa_exception_int_div_zero 0
	.end_amdhsa_kernel
	.section	.text._ZN2at6native32elementwise_kernel_manual_unrollILi128ELi4EZNS0_15gpu_kernel_implIZZZNS0_12_GLOBAL__N_142_validate_compressed_sparse_indices_kernelILNS3_8CDimNameE0ENS3_18CUDAKernelLauncherENS3_14EmptyVecKernelENS3_8DummyVecELm0EEEvRKNS_6TensorESB_lllENKUlvE1_clEvENKUlvE_clEvEUliiiiiE_EEvRNS_18TensorIteratorBaseERKT_EUlibE_EEviT1_,"axG",@progbits,_ZN2at6native32elementwise_kernel_manual_unrollILi128ELi4EZNS0_15gpu_kernel_implIZZZNS0_12_GLOBAL__N_142_validate_compressed_sparse_indices_kernelILNS3_8CDimNameE0ENS3_18CUDAKernelLauncherENS3_14EmptyVecKernelENS3_8DummyVecELm0EEEvRKNS_6TensorESB_lllENKUlvE1_clEvENKUlvE_clEvEUliiiiiE_EEvRNS_18TensorIteratorBaseERKT_EUlibE_EEviT1_,comdat
.Lfunc_end54:
	.size	_ZN2at6native32elementwise_kernel_manual_unrollILi128ELi4EZNS0_15gpu_kernel_implIZZZNS0_12_GLOBAL__N_142_validate_compressed_sparse_indices_kernelILNS3_8CDimNameE0ENS3_18CUDAKernelLauncherENS3_14EmptyVecKernelENS3_8DummyVecELm0EEEvRKNS_6TensorESB_lllENKUlvE1_clEvENKUlvE_clEvEUliiiiiE_EEvRNS_18TensorIteratorBaseERKT_EUlibE_EEviT1_, .Lfunc_end54-_ZN2at6native32elementwise_kernel_manual_unrollILi128ELi4EZNS0_15gpu_kernel_implIZZZNS0_12_GLOBAL__N_142_validate_compressed_sparse_indices_kernelILNS3_8CDimNameE0ENS3_18CUDAKernelLauncherENS3_14EmptyVecKernelENS3_8DummyVecELm0EEEvRKNS_6TensorESB_lllENKUlvE1_clEvENKUlvE_clEvEUliiiiiE_EEvRNS_18TensorIteratorBaseERKT_EUlibE_EEviT1_
                                        ; -- End function
	.set _ZN2at6native32elementwise_kernel_manual_unrollILi128ELi4EZNS0_15gpu_kernel_implIZZZNS0_12_GLOBAL__N_142_validate_compressed_sparse_indices_kernelILNS3_8CDimNameE0ENS3_18CUDAKernelLauncherENS3_14EmptyVecKernelENS3_8DummyVecELm0EEEvRKNS_6TensorESB_lllENKUlvE1_clEvENKUlvE_clEvEUliiiiiE_EEvRNS_18TensorIteratorBaseERKT_EUlibE_EEviT1_.num_vgpr, 36
	.set _ZN2at6native32elementwise_kernel_manual_unrollILi128ELi4EZNS0_15gpu_kernel_implIZZZNS0_12_GLOBAL__N_142_validate_compressed_sparse_indices_kernelILNS3_8CDimNameE0ENS3_18CUDAKernelLauncherENS3_14EmptyVecKernelENS3_8DummyVecELm0EEEvRKNS_6TensorESB_lllENKUlvE1_clEvENKUlvE_clEvEUliiiiiE_EEvRNS_18TensorIteratorBaseERKT_EUlibE_EEviT1_.num_agpr, 0
	.set _ZN2at6native32elementwise_kernel_manual_unrollILi128ELi4EZNS0_15gpu_kernel_implIZZZNS0_12_GLOBAL__N_142_validate_compressed_sparse_indices_kernelILNS3_8CDimNameE0ENS3_18CUDAKernelLauncherENS3_14EmptyVecKernelENS3_8DummyVecELm0EEEvRKNS_6TensorESB_lllENKUlvE1_clEvENKUlvE_clEvEUliiiiiE_EEvRNS_18TensorIteratorBaseERKT_EUlibE_EEviT1_.numbered_sgpr, 102
	.set _ZN2at6native32elementwise_kernel_manual_unrollILi128ELi4EZNS0_15gpu_kernel_implIZZZNS0_12_GLOBAL__N_142_validate_compressed_sparse_indices_kernelILNS3_8CDimNameE0ENS3_18CUDAKernelLauncherENS3_14EmptyVecKernelENS3_8DummyVecELm0EEEvRKNS_6TensorESB_lllENKUlvE1_clEvENKUlvE_clEvEUliiiiiE_EEvRNS_18TensorIteratorBaseERKT_EUlibE_EEviT1_.num_named_barrier, 0
	.set _ZN2at6native32elementwise_kernel_manual_unrollILi128ELi4EZNS0_15gpu_kernel_implIZZZNS0_12_GLOBAL__N_142_validate_compressed_sparse_indices_kernelILNS3_8CDimNameE0ENS3_18CUDAKernelLauncherENS3_14EmptyVecKernelENS3_8DummyVecELm0EEEvRKNS_6TensorESB_lllENKUlvE1_clEvENKUlvE_clEvEUliiiiiE_EEvRNS_18TensorIteratorBaseERKT_EUlibE_EEviT1_.private_seg_size, 0
	.set _ZN2at6native32elementwise_kernel_manual_unrollILi128ELi4EZNS0_15gpu_kernel_implIZZZNS0_12_GLOBAL__N_142_validate_compressed_sparse_indices_kernelILNS3_8CDimNameE0ENS3_18CUDAKernelLauncherENS3_14EmptyVecKernelENS3_8DummyVecELm0EEEvRKNS_6TensorESB_lllENKUlvE1_clEvENKUlvE_clEvEUliiiiiE_EEvRNS_18TensorIteratorBaseERKT_EUlibE_EEviT1_.uses_vcc, 1
	.set _ZN2at6native32elementwise_kernel_manual_unrollILi128ELi4EZNS0_15gpu_kernel_implIZZZNS0_12_GLOBAL__N_142_validate_compressed_sparse_indices_kernelILNS3_8CDimNameE0ENS3_18CUDAKernelLauncherENS3_14EmptyVecKernelENS3_8DummyVecELm0EEEvRKNS_6TensorESB_lllENKUlvE1_clEvENKUlvE_clEvEUliiiiiE_EEvRNS_18TensorIteratorBaseERKT_EUlibE_EEviT1_.uses_flat_scratch, 0
	.set _ZN2at6native32elementwise_kernel_manual_unrollILi128ELi4EZNS0_15gpu_kernel_implIZZZNS0_12_GLOBAL__N_142_validate_compressed_sparse_indices_kernelILNS3_8CDimNameE0ENS3_18CUDAKernelLauncherENS3_14EmptyVecKernelENS3_8DummyVecELm0EEEvRKNS_6TensorESB_lllENKUlvE1_clEvENKUlvE_clEvEUliiiiiE_EEvRNS_18TensorIteratorBaseERKT_EUlibE_EEviT1_.has_dyn_sized_stack, 0
	.set _ZN2at6native32elementwise_kernel_manual_unrollILi128ELi4EZNS0_15gpu_kernel_implIZZZNS0_12_GLOBAL__N_142_validate_compressed_sparse_indices_kernelILNS3_8CDimNameE0ENS3_18CUDAKernelLauncherENS3_14EmptyVecKernelENS3_8DummyVecELm0EEEvRKNS_6TensorESB_lllENKUlvE1_clEvENKUlvE_clEvEUliiiiiE_EEvRNS_18TensorIteratorBaseERKT_EUlibE_EEviT1_.has_recursion, 0
	.set _ZN2at6native32elementwise_kernel_manual_unrollILi128ELi4EZNS0_15gpu_kernel_implIZZZNS0_12_GLOBAL__N_142_validate_compressed_sparse_indices_kernelILNS3_8CDimNameE0ENS3_18CUDAKernelLauncherENS3_14EmptyVecKernelENS3_8DummyVecELm0EEEvRKNS_6TensorESB_lllENKUlvE1_clEvENKUlvE_clEvEUliiiiiE_EEvRNS_18TensorIteratorBaseERKT_EUlibE_EEviT1_.has_indirect_call, 0
	.section	.AMDGPU.csdata,"",@progbits
; Kernel info:
; codeLenInByte = 107664
; TotalNumSgprs: 104
; NumVgprs: 36
; ScratchSize: 0
; MemoryBound: 1
; FloatMode: 240
; IeeeMode: 1
; LDSByteSize: 0 bytes/workgroup (compile time only)
; SGPRBlocks: 0
; VGPRBlocks: 2
; NumSGPRsForWavesPerEU: 104
; NumVGPRsForWavesPerEU: 36
; NamedBarCnt: 0
; Occupancy: 16
; WaveLimiterHint : 0
; COMPUTE_PGM_RSRC2:SCRATCH_EN: 0
; COMPUTE_PGM_RSRC2:USER_SGPR: 2
; COMPUTE_PGM_RSRC2:TRAP_HANDLER: 0
; COMPUTE_PGM_RSRC2:TGID_X_EN: 1
; COMPUTE_PGM_RSRC2:TGID_Y_EN: 0
; COMPUTE_PGM_RSRC2:TGID_Z_EN: 0
; COMPUTE_PGM_RSRC2:TIDIG_COMP_CNT: 0
	.section	.text._ZN2at6native32elementwise_kernel_manual_unrollILi128ELi4EZNS0_15gpu_kernel_implIZZZNS0_12_GLOBAL__N_142_validate_compressed_sparse_indices_kernelILNS3_8CDimNameE0ENS3_18CUDAKernelLauncherENS3_14EmptyVecKernelENS3_8DummyVecELm0EEEvRKNS_6TensorESB_lllENKUlvE1_clEvENKUlvE_clEvEUliiiiiE_EEvRNS_18TensorIteratorBaseERKT_EUlibE0_EEviT1_,"axG",@progbits,_ZN2at6native32elementwise_kernel_manual_unrollILi128ELi4EZNS0_15gpu_kernel_implIZZZNS0_12_GLOBAL__N_142_validate_compressed_sparse_indices_kernelILNS3_8CDimNameE0ENS3_18CUDAKernelLauncherENS3_14EmptyVecKernelENS3_8DummyVecELm0EEEvRKNS_6TensorESB_lllENKUlvE1_clEvENKUlvE_clEvEUliiiiiE_EEvRNS_18TensorIteratorBaseERKT_EUlibE0_EEviT1_,comdat
	.globl	_ZN2at6native32elementwise_kernel_manual_unrollILi128ELi4EZNS0_15gpu_kernel_implIZZZNS0_12_GLOBAL__N_142_validate_compressed_sparse_indices_kernelILNS3_8CDimNameE0ENS3_18CUDAKernelLauncherENS3_14EmptyVecKernelENS3_8DummyVecELm0EEEvRKNS_6TensorESB_lllENKUlvE1_clEvENKUlvE_clEvEUliiiiiE_EEvRNS_18TensorIteratorBaseERKT_EUlibE0_EEviT1_ ; -- Begin function _ZN2at6native32elementwise_kernel_manual_unrollILi128ELi4EZNS0_15gpu_kernel_implIZZZNS0_12_GLOBAL__N_142_validate_compressed_sparse_indices_kernelILNS3_8CDimNameE0ENS3_18CUDAKernelLauncherENS3_14EmptyVecKernelENS3_8DummyVecELm0EEEvRKNS_6TensorESB_lllENKUlvE1_clEvENKUlvE_clEvEUliiiiiE_EEvRNS_18TensorIteratorBaseERKT_EUlibE0_EEviT1_
	.p2align	8
	.type	_ZN2at6native32elementwise_kernel_manual_unrollILi128ELi4EZNS0_15gpu_kernel_implIZZZNS0_12_GLOBAL__N_142_validate_compressed_sparse_indices_kernelILNS3_8CDimNameE0ENS3_18CUDAKernelLauncherENS3_14EmptyVecKernelENS3_8DummyVecELm0EEEvRKNS_6TensorESB_lllENKUlvE1_clEvENKUlvE_clEvEUliiiiiE_EEvRNS_18TensorIteratorBaseERKT_EUlibE0_EEviT1_,@function
_ZN2at6native32elementwise_kernel_manual_unrollILi128ELi4EZNS0_15gpu_kernel_implIZZZNS0_12_GLOBAL__N_142_validate_compressed_sparse_indices_kernelILNS3_8CDimNameE0ENS3_18CUDAKernelLauncherENS3_14EmptyVecKernelENS3_8DummyVecELm0EEEvRKNS_6TensorESB_lllENKUlvE1_clEvENKUlvE_clEvEUliiiiiE_EEvRNS_18TensorIteratorBaseERKT_EUlibE0_EEviT1_: ; @_ZN2at6native32elementwise_kernel_manual_unrollILi128ELi4EZNS0_15gpu_kernel_implIZZZNS0_12_GLOBAL__N_142_validate_compressed_sparse_indices_kernelILNS3_8CDimNameE0ENS3_18CUDAKernelLauncherENS3_14EmptyVecKernelENS3_8DummyVecELm0EEEvRKNS_6TensorESB_lllENKUlvE1_clEvENKUlvE_clEvEUliiiiiE_EEvRNS_18TensorIteratorBaseERKT_EUlibE0_EEviT1_
; %bb.0:
	s_clause 0x1
	s_load_b32 s33, s[0:1], 0x8
	s_load_b32 s82, s[0:1], 0x0
	s_bfe_u32 s2, ttmp6, 0x4000c
	s_and_b32 s3, ttmp6, 15
	s_add_co_i32 s2, s2, 1
	s_getreg_b32 s4, hwreg(HW_REG_IB_STS2, 6, 4)
	s_mul_i32 s2, ttmp9, s2
	s_mov_b32 s71, 0
	s_add_co_i32 s3, s3, s2
	s_cmp_eq_u32 s4, 0
	s_mov_b32 s29, -1
	s_cselect_b32 s2, ttmp9, s3
	s_mov_b32 s38, 0
	v_lshl_or_b32 v0, s2, 9, v0
	s_add_nc_u64 s[2:3], s[0:1], 8
	s_wait_xcnt 0x0
	s_mov_b32 s0, exec_lo
	s_delay_alu instid0(VALU_DEP_1) | instskip(SKIP_2) | instid1(SALU_CYCLE_1)
	v_or_b32_e32 v1, 0x180, v0
	s_wait_kmcnt 0x0
	s_add_co_i32 s70, s33, -1
	s_cmp_gt_u32 s70, 1
	s_cselect_b32 s72, -1, 0
	v_cmpx_le_i32_e64 s82, v1
	s_xor_b32 s73, exec_lo, s0
	s_cbranch_execz .LBB55_2855
; %bb.1:
	s_clause 0x4
	s_load_b64 s[34:35], s[2:3], 0x2b0
	s_load_b128 s[20:23], s[2:3], 0x4
	s_load_b64 s[46:47], s[2:3], 0x14
	s_load_b128 s[8:11], s[2:3], 0xe4
	s_load_b256 s[12:19], s[2:3], 0x280
	s_cmp_lg_u32 s33, 0
	s_clause 0x1
	s_load_b128 s[40:43], s[2:3], 0x2a0
	s_load_b32 s79, s[2:3], 0x278
	s_cselect_b32 s83, -1, 0
	s_min_u32 s81, s70, 15
	s_cmp_gt_u32 s33, 1
	s_get_pc_i64 s[4:5]
	s_add_nc_u64 s[4:5], s[4:5], .str.1@rel64+4
	s_cselect_b32 s44, -1, 0
	s_get_pc_i64 s[6:7]
	s_add_nc_u64 s[6:7], s[6:7], .str.2@rel64+4
	s_mov_b32 s53, 0
	s_mov_b32 s91, exec_lo
	s_mov_b32 s55, s53
	s_mov_b32 s90, s53
	;; [unrolled: 1-line block ×5, first 2 shown]
	s_wait_kmcnt 0x0
	s_mov_b32 s52, s21
	s_mov_b32 s54, s46
	s_lshr_b32 s1, s34, 8
	s_lshr_b32 s75, s34, 16
	s_lshr_b64 s[50:51], s[34:35], 24
	s_lshr_b32 s80, s35, 8
	s_cmp_lg_u64 s[4:5], 0
	s_get_pc_i64 s[4:5]
	s_add_nc_u64 s[4:5], s[4:5], .str.3@rel64+4
	s_cselect_b32 s17, -1, 0
	s_cmp_lg_u64 s[6:7], 0
	v_cmp_gt_i64_e64 s6, s[14:15], 0
	s_cselect_b32 s51, -1, 0
	s_cmp_lg_u64 s[4:5], 0
	s_get_pc_i64 s[4:5]
	s_add_nc_u64 s[4:5], s[4:5], .str.4@rel64+4
	s_cselect_b32 s78, -1, 0
	s_add_co_i32 s48, s16, -1
	s_mov_b32 s86, s53
	s_cmp_gt_i32 s48, -1
	s_mov_b32 s85, s53
	s_cselect_b32 s7, -1, 0
	s_mov_b32 s84, s53
	s_and_b32 s77, s6, s7
	s_cmp_lg_u64 s[4:5], 0
	s_mov_b32 s69, s53
	s_cselect_b32 s76, -1, 0
	s_mov_b32 s68, s53
	s_mov_b32 s45, s53
	v_cmpx_gt_i32_e64 s82, v0
	s_cbranch_execz .LBB55_651
; %bb.2:
	s_and_not1_b32 vcc_lo, exec_lo, s72
	s_cbranch_vccnz .LBB55_8
; %bb.3:
	s_and_not1_b32 vcc_lo, exec_lo, s83
	s_cbranch_vccnz .LBB55_9
; %bb.4:
	v_dual_mov_b32 v6, 0 :: v_dual_mov_b32 v1, v0
	v_dual_mov_b32 v4, 0 :: v_dual_mov_b32 v10, 0
	;; [unrolled: 1-line block ×3, first 2 shown]
	v_mov_b32_e32 v12, 0
	s_add_co_i32 s0, s81, 1
	s_mov_b64 s[4:5], 0xffffffffffffffd0
	s_and_b32 s0, s0, 30
	s_add_nc_u64 s[56:57], s[2:3], s[4:5]
	s_mov_b64 s[58:59], s[2:3]
.LBB55_5:                               ; =>This Inner Loop Header: Depth=1
	s_clause 0x1
	s_load_b128 s[28:31], s[58:59], 0x4
	s_load_b64 s[4:5], s[58:59], 0x14
	s_clause 0x1
	s_load_b256 s[60:67], s[56:57], 0xf4
	s_load_b128 s[36:39], s[56:57], 0x114
	s_add_co_i32 s0, s0, -2
	s_wait_xcnt 0x0
	s_add_nc_u64 s[58:59], s[58:59], 24
	s_cmp_lg_u32 s0, 0
	s_add_nc_u64 s[56:57], s[56:57], 48
	s_wait_kmcnt 0x0
	v_mul_hi_u32 v3, s29, v1
	s_delay_alu instid0(VALU_DEP_1) | instskip(NEXT) | instid1(VALU_DEP_1)
	v_add_nc_u32_e32 v3, v1, v3
	v_lshrrev_b32_e32 v3, s30, v3
	s_delay_alu instid0(VALU_DEP_1) | instskip(SKIP_1) | instid1(VALU_DEP_1)
	v_mul_hi_u32 v5, s4, v3
	v_mul_lo_u32 v7, v3, s28
	v_dual_add_nc_u32 v5, v3, v5 :: v_dual_sub_nc_u32 v7, v1, v7
	s_delay_alu instid0(VALU_DEP_1) | instskip(NEXT) | instid1(VALU_DEP_2)
	v_lshrrev_b32_e32 v1, s5, v5
	v_mad_u32 v5, v7, s61, v12
	v_mad_u32 v2, v7, s60, v2
	;; [unrolled: 1-line block ×4, first 2 shown]
	v_mul_lo_u32 v9, v1, s31
	v_mad_u32 v4, s65, v7, v4
	v_mad_u32 v6, s64, v7, v6
	s_delay_alu instid0(VALU_DEP_3) | instskip(NEXT) | instid1(VALU_DEP_1)
	v_sub_nc_u32_e32 v3, v3, v9
	v_mad_u32 v12, v3, s67, v5
	v_mad_u32 v2, v3, s66, v2
	;; [unrolled: 1-line block ×6, first 2 shown]
	s_cbranch_scc1 .LBB55_5
; %bb.6:
	s_bitcmp1_b32 s81, 0
	s_cselect_b32 s0, -1, 0
	s_delay_alu instid0(SALU_CYCLE_1)
	s_and_b32 vcc_lo, exec_lo, s0
	s_cbranch_vccnz .LBB55_10
; %bb.7:
	s_load_b96 s[4:6], s[58:59], 0x4
	s_wait_kmcnt 0x0
	v_mul_hi_u32 v3, s5, v1
	s_delay_alu instid0(VALU_DEP_1) | instskip(NEXT) | instid1(VALU_DEP_1)
	v_add_nc_u32_e32 v3, v1, v3
	v_lshrrev_b32_e32 v3, s6, v3
	s_clause 0x1
	s_load_b128 s[28:31], s[56:57], 0xf4
	s_load_b64 s[6:7], s[56:57], 0x104
	s_delay_alu instid0(VALU_DEP_1) | instskip(NEXT) | instid1(VALU_DEP_1)
	v_mul_lo_u32 v3, v3, s4
	v_sub_nc_u32_e32 v1, v1, v3
	s_wait_kmcnt 0x0
	s_delay_alu instid0(VALU_DEP_1)
	v_mad_u32 v2, v1, s28, v2
	v_mad_u32 v12, v1, s29, v12
	;; [unrolled: 1-line block ×6, first 2 shown]
	s_cbranch_execz .LBB55_11
	s_branch .LBB55_13
.LBB55_8:
                                        ; implicit-def: $vgpr12
                                        ; implicit-def: $vgpr2
                                        ; implicit-def: $vgpr8
                                        ; implicit-def: $vgpr10
                                        ; implicit-def: $vgpr4
                                        ; implicit-def: $vgpr6
	s_branch .LBB55_11
.LBB55_9:
	v_dual_mov_b32 v12, 0 :: v_dual_mov_b32 v2, 0
	v_dual_mov_b32 v8, 0 :: v_dual_mov_b32 v10, 0
	;; [unrolled: 1-line block ×3, first 2 shown]
.LBB55_10:
	s_cbranch_execnz .LBB55_13
.LBB55_11:
	v_mov_b32_e32 v1, 0
	s_load_b256 s[24:31], s[2:3], 0xc4
	s_and_not1_b32 vcc_lo, exec_lo, s44
	s_delay_alu instid0(VALU_DEP_1) | instskip(NEXT) | instid1(VALU_DEP_1)
	v_mul_u64_e32 v[2:3], s[52:53], v[0:1]
	v_add_nc_u32_e32 v2, v0, v3
	s_delay_alu instid0(VALU_DEP_1) | instskip(NEXT) | instid1(VALU_DEP_1)
	v_lshrrev_b32_e32 v14, s22, v2
	v_mul_lo_u32 v2, v14, s20
	s_delay_alu instid0(VALU_DEP_1) | instskip(SKIP_1) | instid1(VALU_DEP_1)
	v_sub_nc_u32_e32 v3, v0, v2
	s_wait_kmcnt 0x0
	v_mul_lo_u32 v12, v3, s25
	v_mul_lo_u32 v2, v3, s24
	;; [unrolled: 1-line block ×6, first 2 shown]
	s_cbranch_vccnz .LBB55_13
; %bb.12:
	v_mov_b32_e32 v15, v1
	s_delay_alu instid0(VALU_DEP_1) | instskip(NEXT) | instid1(VALU_DEP_1)
	v_mul_u64_e32 v[16:17], s[54:55], v[14:15]
	v_add_nc_u32_e32 v1, v14, v17
	s_delay_alu instid0(VALU_DEP_1) | instskip(NEXT) | instid1(VALU_DEP_1)
	v_lshrrev_b32_e32 v1, s47, v1
	v_mul_lo_u32 v1, v1, s23
	s_delay_alu instid0(VALU_DEP_1) | instskip(NEXT) | instid1(VALU_DEP_1)
	v_sub_nc_u32_e32 v1, v14, v1
	v_mad_u32 v2, v1, s30, v2
	v_mad_u32 v12, v1, s31, v12
	v_mad_u32 v10, v1, s8, v10
	v_mad_u32 v8, v1, s9, v8
	v_mad_u32 v6, s10, v1, v6
	v_mad_u32 v4, s11, v1, v4
.LBB55_13:
	s_load_b256 s[4:11], s[2:3], 0x248
	v_mov_b32_e32 v13, 0
	s_and_b32 s0, s1, 0xff
	s_delay_alu instid0(SALU_CYCLE_1) | instskip(SKIP_1) | instid1(VALU_DEP_1)
	s_cmp_lt_i32 s0, 11
	s_wait_kmcnt 0x0
	v_add_nc_u64_e32 v[12:13], s[6:7], v[12:13]
	s_cbranch_scc1 .LBB55_20
; %bb.14:
	s_and_b32 s29, 0xffff, s0
	s_delay_alu instid0(SALU_CYCLE_1)
	s_cmp_gt_i32 s29, 25
	s_cbranch_scc0 .LBB55_29
; %bb.15:
	s_cmp_gt_i32 s29, 28
	s_cbranch_scc0 .LBB55_39
; %bb.16:
	;; [unrolled: 3-line block ×4, first 2 shown]
	s_cmp_eq_u32 s29, 46
	s_mov_b32 s31, 0
	s_cbranch_scc0 .LBB55_48
; %bb.19:
	global_load_b32 v1, v[12:13], off
	s_mov_b32 s30, -1
	s_mov_b32 s28, 0
	s_wait_loadcnt 0x0
	v_lshlrev_b32_e32 v1, 16, v1
	s_delay_alu instid0(VALU_DEP_1)
	v_cvt_i32_f32_e32 v1, v1
	s_branch .LBB55_50
.LBB55_20:
	s_mov_b32 s28, 0
	s_mov_b32 s30, 0
                                        ; implicit-def: $vgpr1
	s_cbranch_execnz .LBB55_112
.LBB55_21:
	s_and_not1_b32 vcc_lo, exec_lo, s30
	s_cbranch_vccnz .LBB55_159
.LBB55_22:
	s_load_b256 s[4:11], s[2:3], 0x248
	v_mov_b32_e32 v11, 0
	s_and_b32 s0, s75, 0xff
	s_delay_alu instid0(SALU_CYCLE_1) | instskip(SKIP_1) | instid1(VALU_DEP_1)
	s_cmp_lt_i32 s0, 11
	s_wait_kmcnt 0x0
	v_add_nc_u64_e32 v[10:11], s[8:9], v[10:11]
	s_cbranch_scc1 .LBB55_30
; %bb.23:
	s_and_b32 s30, 0xffff, s0
	s_delay_alu instid0(SALU_CYCLE_1)
	s_cmp_gt_i32 s30, 25
	s_cbranch_scc0 .LBB55_40
; %bb.24:
	s_cmp_gt_i32 s30, 28
	s_cbranch_scc0 .LBB55_43
; %bb.25:
	;; [unrolled: 3-line block ×4, first 2 shown]
	s_cmp_eq_u32 s30, 46
	s_mov_b32 s36, 0
	s_cbranch_scc0 .LBB55_160
; %bb.28:
	global_load_b32 v3, v[10:11], off
	s_mov_b32 s31, -1
	s_mov_b32 s29, 0
	s_wait_loadcnt 0x0
	v_lshlrev_b32_e32 v3, 16, v3
	s_delay_alu instid0(VALU_DEP_1)
	v_cvt_i32_f32_e32 v3, v3
	s_branch .LBB55_162
.LBB55_29:
	s_mov_b32 s28, 0
	s_mov_b32 s30, 0
                                        ; implicit-def: $vgpr1
	s_cbranch_execnz .LBB55_79
	s_branch .LBB55_111
.LBB55_30:
	s_mov_b32 s29, 0
	s_mov_b32 s31, 0
                                        ; implicit-def: $vgpr3
	s_cbranch_execnz .LBB55_224
.LBB55_31:
	s_and_not1_b32 vcc_lo, exec_lo, s31
	s_cbranch_vccnz .LBB55_272
.LBB55_32:
	s_load_b256 s[4:11], s[2:3], 0x248
	v_mov_b32_e32 v9, 0
	s_and_b32 s0, s50, 0xff
	s_delay_alu instid0(SALU_CYCLE_1) | instskip(SKIP_1) | instid1(VALU_DEP_1)
	s_cmp_lt_i32 s0, 11
	s_wait_kmcnt 0x0
	v_add_nc_u64_e32 v[10:11], s[10:11], v[8:9]
	s_cbranch_scc1 .LBB55_41
; %bb.33:
	s_and_b32 s31, 0xffff, s0
	s_delay_alu instid0(SALU_CYCLE_1)
	s_cmp_gt_i32 s31, 25
	s_cbranch_scc0 .LBB55_44
; %bb.34:
	s_cmp_gt_i32 s31, 28
	s_cbranch_scc0 .LBB55_47
; %bb.35:
	s_cmp_gt_i32 s31, 43
	s_cbranch_scc0 .LBB55_54
; %bb.36:
	s_cmp_gt_i32 s31, 45
	s_cbranch_scc0 .LBB55_165
; %bb.37:
	s_cmp_eq_u32 s31, 46
	s_mov_b32 s36, 0
	s_cbranch_scc0 .LBB55_273
; %bb.38:
	global_load_b32 v5, v[10:11], off
	s_mov_b32 s45, -1
	s_mov_b32 s30, 0
	s_wait_loadcnt 0x0
	v_lshlrev_b32_e32 v5, 16, v5
	s_delay_alu instid0(VALU_DEP_1)
	v_cvt_i32_f32_e32 v8, v5
	s_branch .LBB55_275
.LBB55_39:
	s_mov_b32 s31, -1
	s_mov_b32 s28, 0
	s_mov_b32 s30, 0
                                        ; implicit-def: $vgpr1
	s_branch .LBB55_62
.LBB55_40:
	s_mov_b32 s36, -1
	s_mov_b32 s29, 0
	s_mov_b32 s31, 0
                                        ; implicit-def: $vgpr3
	s_branch .LBB55_190
.LBB55_41:
	s_mov_b32 s31, -1
	s_mov_b32 s30, 0
	s_mov_b32 s45, 0
                                        ; implicit-def: $vgpr8
	s_branch .LBB55_336
.LBB55_42:
	s_mov_b32 s31, -1
	s_mov_b32 s28, 0
	s_mov_b32 s30, 0
                                        ; implicit-def: $vgpr1
	s_branch .LBB55_57
.LBB55_43:
	s_mov_b32 s36, -1
	s_mov_b32 s29, 0
	s_mov_b32 s31, 0
                                        ; implicit-def: $vgpr3
	s_branch .LBB55_173
.LBB55_44:
	s_mov_b32 s36, -1
	s_mov_b32 s30, 0
	s_mov_b32 s45, 0
                                        ; implicit-def: $vgpr8
	s_branch .LBB55_302
.LBB55_45:
	s_mov_b32 s31, -1
	s_mov_b32 s28, 0
	s_branch .LBB55_49
.LBB55_46:
	s_mov_b32 s36, -1
	s_mov_b32 s29, 0
	s_mov_b32 s31, 0
                                        ; implicit-def: $vgpr3
	s_branch .LBB55_168
.LBB55_47:
	s_mov_b32 s36, -1
	s_mov_b32 s30, 0
	s_mov_b32 s45, 0
                                        ; implicit-def: $vgpr8
	s_branch .LBB55_285
.LBB55_48:
	s_mov_b32 s28, -1
.LBB55_49:
	s_mov_b32 s30, 0
                                        ; implicit-def: $vgpr1
.LBB55_50:
	s_and_b32 vcc_lo, exec_lo, s31
	s_cbranch_vccz .LBB55_56
; %bb.51:
	s_cmp_eq_u32 s29, 44
	s_cbranch_scc0 .LBB55_55
; %bb.52:
	global_load_u8 v1, v[12:13], off
	s_mov_b32 s28, 0
	s_mov_b32 s30, -1
	s_wait_loadcnt 0x0
	v_lshlrev_b32_e32 v3, 23, v1
	v_cmp_ne_u32_e32 vcc_lo, 0, v1
	s_delay_alu instid0(VALU_DEP_2) | instskip(NEXT) | instid1(VALU_DEP_1)
	v_cvt_i32_f32_e32 v3, v3
	v_cndmask_b32_e32 v1, 0, v3, vcc_lo
	s_branch .LBB55_56
.LBB55_53:
	s_mov_b32 s36, -1
	s_mov_b32 s29, 0
	s_branch .LBB55_161
.LBB55_54:
	s_mov_b32 s36, -1
	s_mov_b32 s30, 0
	s_mov_b32 s45, 0
                                        ; implicit-def: $vgpr8
	s_branch .LBB55_280
.LBB55_55:
	s_mov_b32 s28, -1
                                        ; implicit-def: $vgpr1
.LBB55_56:
	s_mov_b32 s31, 0
.LBB55_57:
	s_delay_alu instid0(SALU_CYCLE_1)
	s_and_b32 vcc_lo, exec_lo, s31
	s_cbranch_vccz .LBB55_61
; %bb.58:
	s_cmp_eq_u32 s29, 29
	s_cbranch_scc0 .LBB55_60
; %bb.59:
	global_load_b32 v1, v[12:13], off
	s_mov_b32 s30, -1
	s_mov_b32 s28, 0
	s_branch .LBB55_61
.LBB55_60:
	s_mov_b32 s28, -1
                                        ; implicit-def: $vgpr1
.LBB55_61:
	s_mov_b32 s31, 0
.LBB55_62:
	s_delay_alu instid0(SALU_CYCLE_1)
	s_and_b32 vcc_lo, exec_lo, s31
	s_cbranch_vccz .LBB55_78
; %bb.63:
	s_cmp_lt_i32 s29, 27
	s_cbranch_scc1 .LBB55_66
; %bb.64:
	s_cmp_gt_i32 s29, 27
	s_cbranch_scc0 .LBB55_67
; %bb.65:
	s_wait_loadcnt 0x0
	global_load_b32 v1, v[12:13], off
	s_mov_b32 s30, 0
	s_branch .LBB55_68
.LBB55_66:
	s_mov_b32 s30, -1
                                        ; implicit-def: $vgpr1
	s_branch .LBB55_71
.LBB55_67:
	s_mov_b32 s30, -1
                                        ; implicit-def: $vgpr1
.LBB55_68:
	s_delay_alu instid0(SALU_CYCLE_1)
	s_and_not1_b32 vcc_lo, exec_lo, s30
	s_cbranch_vccnz .LBB55_70
; %bb.69:
	s_wait_loadcnt 0x0
	global_load_u16 v1, v[12:13], off
.LBB55_70:
	s_mov_b32 s30, 0
.LBB55_71:
	s_delay_alu instid0(SALU_CYCLE_1)
	s_and_not1_b32 vcc_lo, exec_lo, s30
	s_cbranch_vccnz .LBB55_77
; %bb.72:
	global_load_u8 v3, v[12:13], off
	s_mov_b32 s31, 0
	s_mov_b32 s4, exec_lo
	s_wait_loadcnt 0x0
	v_cmpx_lt_i16_e32 0x7f, v3
	s_xor_b32 s30, exec_lo, s4
	s_cbranch_execz .LBB55_88
; %bb.73:
	v_cmp_ne_u16_e32 vcc_lo, 0x80, v3
	s_and_b32 s31, vcc_lo, exec_lo
	s_and_not1_saveexec_b32 s30, s30
	s_cbranch_execnz .LBB55_89
.LBB55_74:
	s_or_b32 exec_lo, exec_lo, s30
	v_mov_b32_e32 v1, 0
	s_and_saveexec_b32 s30, s31
	s_cbranch_execz .LBB55_76
.LBB55_75:
	v_and_b32_e32 v1, 0xffff, v3
	s_delay_alu instid0(VALU_DEP_1) | instskip(SKIP_1) | instid1(VALU_DEP_2)
	v_and_b32_e32 v5, 7, v1
	v_bfe_u32 v11, v1, 3, 4
	v_clz_i32_u32_e32 v7, v5
	s_delay_alu instid0(VALU_DEP_2) | instskip(NEXT) | instid1(VALU_DEP_2)
	v_cmp_eq_u32_e32 vcc_lo, 0, v11
	v_min_u32_e32 v7, 32, v7
	s_delay_alu instid0(VALU_DEP_1) | instskip(NEXT) | instid1(VALU_DEP_1)
	v_subrev_nc_u32_e32 v9, 28, v7
	v_dual_lshlrev_b32 v1, v9, v1 :: v_dual_sub_nc_u32 v7, 29, v7
	s_delay_alu instid0(VALU_DEP_1) | instskip(NEXT) | instid1(VALU_DEP_1)
	v_dual_lshlrev_b32 v3, 24, v3 :: v_dual_bitop2_b32 v1, 7, v1 bitop3:0x40
	v_dual_cndmask_b32 v1, v5, v1, vcc_lo :: v_dual_cndmask_b32 v7, v11, v7, vcc_lo
	s_delay_alu instid0(VALU_DEP_2) | instskip(NEXT) | instid1(VALU_DEP_2)
	v_and_b32_e32 v3, 0x80000000, v3
	v_lshlrev_b32_e32 v1, 20, v1
	s_delay_alu instid0(VALU_DEP_3) | instskip(NEXT) | instid1(VALU_DEP_1)
	v_lshl_add_u32 v5, v7, 23, 0x3b800000
	v_or3_b32 v1, v3, v5, v1
	s_delay_alu instid0(VALU_DEP_1)
	v_cvt_i32_f32_e32 v1, v1
.LBB55_76:
	s_or_b32 exec_lo, exec_lo, s30
.LBB55_77:
	s_mov_b32 s30, -1
.LBB55_78:
	s_branch .LBB55_111
.LBB55_79:
	s_cmp_gt_i32 s29, 22
	s_cbranch_scc0 .LBB55_87
; %bb.80:
	s_cmp_lt_i32 s29, 24
	s_cbranch_scc1 .LBB55_90
; %bb.81:
	s_cmp_gt_i32 s29, 24
	s_cbranch_scc0 .LBB55_91
; %bb.82:
	global_load_u8 v3, v[12:13], off
	s_mov_b32 s31, 0
	s_mov_b32 s4, exec_lo
	s_wait_loadcnt 0x0
	v_cmpx_lt_i16_e32 0x7f, v3
	s_xor_b32 s30, exec_lo, s4
	s_cbranch_execz .LBB55_103
; %bb.83:
	v_cmp_ne_u16_e32 vcc_lo, 0x80, v3
	s_and_b32 s31, vcc_lo, exec_lo
	s_and_not1_saveexec_b32 s30, s30
	s_cbranch_execnz .LBB55_104
.LBB55_84:
	s_or_b32 exec_lo, exec_lo, s30
	v_mov_b32_e32 v1, 0
	s_and_saveexec_b32 s30, s31
	s_cbranch_execz .LBB55_86
.LBB55_85:
	v_and_b32_e32 v1, 0xffff, v3
	s_delay_alu instid0(VALU_DEP_1) | instskip(SKIP_1) | instid1(VALU_DEP_2)
	v_and_b32_e32 v5, 3, v1
	v_bfe_u32 v11, v1, 2, 5
	v_clz_i32_u32_e32 v7, v5
	s_delay_alu instid0(VALU_DEP_2) | instskip(NEXT) | instid1(VALU_DEP_2)
	v_cmp_eq_u32_e32 vcc_lo, 0, v11
	v_min_u32_e32 v7, 32, v7
	s_delay_alu instid0(VALU_DEP_1) | instskip(NEXT) | instid1(VALU_DEP_1)
	v_subrev_nc_u32_e32 v9, 29, v7
	v_dual_lshlrev_b32 v1, v9, v1 :: v_dual_sub_nc_u32 v7, 30, v7
	s_delay_alu instid0(VALU_DEP_1) | instskip(NEXT) | instid1(VALU_DEP_1)
	v_dual_lshlrev_b32 v3, 24, v3 :: v_dual_bitop2_b32 v1, 3, v1 bitop3:0x40
	v_dual_cndmask_b32 v1, v5, v1, vcc_lo :: v_dual_cndmask_b32 v7, v11, v7, vcc_lo
	s_delay_alu instid0(VALU_DEP_2) | instskip(NEXT) | instid1(VALU_DEP_2)
	v_and_b32_e32 v3, 0x80000000, v3
	v_lshlrev_b32_e32 v1, 21, v1
	s_delay_alu instid0(VALU_DEP_3) | instskip(NEXT) | instid1(VALU_DEP_1)
	v_lshl_add_u32 v5, v7, 23, 0x37800000
	v_or3_b32 v1, v3, v5, v1
	s_delay_alu instid0(VALU_DEP_1)
	v_cvt_i32_f32_e32 v1, v1
.LBB55_86:
	s_or_b32 exec_lo, exec_lo, s30
	s_mov_b32 s30, 0
	s_branch .LBB55_92
.LBB55_87:
	s_mov_b32 s31, -1
                                        ; implicit-def: $vgpr1
	s_branch .LBB55_98
.LBB55_88:
	s_and_not1_saveexec_b32 s30, s30
	s_cbranch_execz .LBB55_74
.LBB55_89:
	v_cmp_ne_u16_e32 vcc_lo, 0, v3
	s_and_not1_b32 s4, s31, exec_lo
	s_and_b32 s5, vcc_lo, exec_lo
	s_delay_alu instid0(SALU_CYCLE_1)
	s_or_b32 s31, s4, s5
	s_or_b32 exec_lo, exec_lo, s30
	v_mov_b32_e32 v1, 0
	s_and_saveexec_b32 s30, s31
	s_cbranch_execnz .LBB55_75
	s_branch .LBB55_76
.LBB55_90:
	s_mov_b32 s30, -1
                                        ; implicit-def: $vgpr1
	s_branch .LBB55_95
.LBB55_91:
	s_mov_b32 s30, -1
                                        ; implicit-def: $vgpr1
.LBB55_92:
	s_delay_alu instid0(SALU_CYCLE_1)
	s_and_b32 vcc_lo, exec_lo, s30
	s_cbranch_vccz .LBB55_94
; %bb.93:
	s_wait_loadcnt 0x0
	global_load_u8 v1, v[12:13], off
	s_wait_loadcnt 0x0
	v_lshlrev_b32_e32 v1, 24, v1
	s_delay_alu instid0(VALU_DEP_1) | instskip(NEXT) | instid1(VALU_DEP_1)
	v_and_b32_e32 v3, 0x7f000000, v1
	v_clz_i32_u32_e32 v5, v3
	v_add_nc_u32_e32 v9, 0x1000000, v3
	v_cmp_ne_u32_e32 vcc_lo, 0, v3
	s_delay_alu instid0(VALU_DEP_3) | instskip(NEXT) | instid1(VALU_DEP_1)
	v_min_u32_e32 v5, 32, v5
	v_sub_nc_u32_e64 v5, v5, 4 clamp
	s_delay_alu instid0(VALU_DEP_1) | instskip(NEXT) | instid1(VALU_DEP_1)
	v_dual_lshlrev_b32 v7, v5, v3 :: v_dual_lshlrev_b32 v5, 23, v5
	v_lshrrev_b32_e32 v7, 4, v7
	s_delay_alu instid0(VALU_DEP_1) | instskip(SKIP_1) | instid1(VALU_DEP_2)
	v_sub_nc_u32_e32 v5, v7, v5
	v_ashrrev_i32_e32 v7, 8, v9
	v_add_nc_u32_e32 v5, 0x3c000000, v5
	s_delay_alu instid0(VALU_DEP_1) | instskip(NEXT) | instid1(VALU_DEP_1)
	v_and_or_b32 v5, 0x7f800000, v7, v5
	v_cndmask_b32_e32 v3, 0, v5, vcc_lo
	s_delay_alu instid0(VALU_DEP_1) | instskip(NEXT) | instid1(VALU_DEP_1)
	v_and_or_b32 v1, 0x80000000, v1, v3
	v_cvt_i32_f32_e32 v1, v1
.LBB55_94:
	s_mov_b32 s30, 0
.LBB55_95:
	s_delay_alu instid0(SALU_CYCLE_1)
	s_and_not1_b32 vcc_lo, exec_lo, s30
	s_cbranch_vccnz .LBB55_97
; %bb.96:
	s_wait_loadcnt 0x0
	global_load_u8 v1, v[12:13], off
	s_wait_loadcnt 0x0
	v_lshlrev_b32_e32 v3, 25, v1
	v_lshlrev_b16 v1, 8, v1
	s_delay_alu instid0(VALU_DEP_1) | instskip(SKIP_1) | instid1(VALU_DEP_2)
	v_and_or_b32 v7, 0x7f00, v1, 0.5
	v_bfe_i32 v1, v1, 0, 16
	v_add_f32_e32 v7, -0.5, v7
	v_lshrrev_b32_e32 v5, 4, v3
	v_cmp_gt_u32_e32 vcc_lo, 0x8000000, v3
	s_delay_alu instid0(VALU_DEP_2) | instskip(NEXT) | instid1(VALU_DEP_1)
	v_or_b32_e32 v5, 0x70000000, v5
	v_mul_f32_e32 v5, 0x7800000, v5
	s_delay_alu instid0(VALU_DEP_1) | instskip(NEXT) | instid1(VALU_DEP_1)
	v_cndmask_b32_e32 v3, v5, v7, vcc_lo
	v_and_or_b32 v1, 0x80000000, v1, v3
	s_delay_alu instid0(VALU_DEP_1)
	v_cvt_i32_f32_e32 v1, v1
.LBB55_97:
	s_mov_b32 s31, 0
	s_mov_b32 s30, -1
.LBB55_98:
	s_and_not1_b32 vcc_lo, exec_lo, s31
	s_cbranch_vccnz .LBB55_111
; %bb.99:
	s_cmp_gt_i32 s29, 14
	s_cbranch_scc0 .LBB55_102
; %bb.100:
	s_cmp_eq_u32 s29, 15
	s_cbranch_scc0 .LBB55_105
; %bb.101:
	s_wait_loadcnt 0x0
	global_load_u16 v1, v[12:13], off
	s_mov_b32 s30, -1
	s_mov_b32 s28, 0
	s_wait_loadcnt 0x0
	v_lshlrev_b32_e32 v1, 16, v1
	s_delay_alu instid0(VALU_DEP_1)
	v_cvt_i32_f32_e32 v1, v1
	s_branch .LBB55_106
.LBB55_102:
	s_mov_b32 s31, -1
                                        ; implicit-def: $vgpr1
	s_branch .LBB55_107
.LBB55_103:
	s_and_not1_saveexec_b32 s30, s30
	s_cbranch_execz .LBB55_84
.LBB55_104:
	v_cmp_ne_u16_e32 vcc_lo, 0, v3
	s_and_not1_b32 s4, s31, exec_lo
	s_and_b32 s5, vcc_lo, exec_lo
	s_delay_alu instid0(SALU_CYCLE_1)
	s_or_b32 s31, s4, s5
	s_or_b32 exec_lo, exec_lo, s30
	v_mov_b32_e32 v1, 0
	s_and_saveexec_b32 s30, s31
	s_cbranch_execnz .LBB55_85
	s_branch .LBB55_86
.LBB55_105:
	s_mov_b32 s28, -1
                                        ; implicit-def: $vgpr1
.LBB55_106:
	s_mov_b32 s31, 0
.LBB55_107:
	s_delay_alu instid0(SALU_CYCLE_1)
	s_and_b32 vcc_lo, exec_lo, s31
	s_cbranch_vccz .LBB55_111
; %bb.108:
	s_cmp_eq_u32 s29, 11
	s_cbranch_scc0 .LBB55_110
; %bb.109:
	s_wait_loadcnt 0x0
	global_load_u8 v1, v[12:13], off
	s_mov_b32 s28, 0
	s_mov_b32 s30, -1
	s_wait_loadcnt 0x0
	v_cmp_ne_u16_e32 vcc_lo, 0, v1
	v_cndmask_b32_e64 v1, 0, 1, vcc_lo
	s_branch .LBB55_111
.LBB55_110:
	s_mov_b32 s28, -1
                                        ; implicit-def: $vgpr1
.LBB55_111:
	s_branch .LBB55_21
.LBB55_112:
	s_and_b32 s0, 0xffff, s0
	s_delay_alu instid0(SALU_CYCLE_1)
	s_cmp_lt_i32 s0, 5
	s_cbranch_scc1 .LBB55_117
; %bb.113:
	s_cmp_lt_i32 s0, 8
	s_cbranch_scc1 .LBB55_118
; %bb.114:
	;; [unrolled: 3-line block ×3, first 2 shown]
	s_cmp_gt_i32 s0, 9
	s_cbranch_scc0 .LBB55_120
; %bb.116:
	global_load_b64 v[14:15], v[12:13], off
	s_mov_b32 s29, 0
	s_wait_loadcnt 0x0
	v_cvt_i32_f64_e32 v1, v[14:15]
	s_branch .LBB55_121
.LBB55_117:
                                        ; implicit-def: $vgpr1
	s_branch .LBB55_139
.LBB55_118:
	s_mov_b32 s29, -1
                                        ; implicit-def: $vgpr1
	s_branch .LBB55_127
.LBB55_119:
	s_mov_b32 s29, -1
                                        ; implicit-def: $vgpr1
	s_branch .LBB55_124
.LBB55_120:
	s_mov_b32 s29, -1
                                        ; implicit-def: $vgpr1
.LBB55_121:
	s_delay_alu instid0(SALU_CYCLE_1)
	s_and_not1_b32 vcc_lo, exec_lo, s29
	s_cbranch_vccnz .LBB55_123
; %bb.122:
	s_wait_loadcnt 0x0
	global_load_b32 v1, v[12:13], off
	s_wait_loadcnt 0x0
	v_cvt_i32_f32_e32 v1, v1
.LBB55_123:
	s_mov_b32 s29, 0
.LBB55_124:
	s_delay_alu instid0(SALU_CYCLE_1)
	s_and_not1_b32 vcc_lo, exec_lo, s29
	s_cbranch_vccnz .LBB55_126
; %bb.125:
	s_wait_loadcnt 0x0
	global_load_b32 v1, v[12:13], off
	s_wait_loadcnt 0x0
	v_cvt_f32_f16_e32 v1, v1
	s_delay_alu instid0(VALU_DEP_1)
	v_cvt_i32_f32_e32 v1, v1
.LBB55_126:
	s_mov_b32 s29, 0
.LBB55_127:
	s_delay_alu instid0(SALU_CYCLE_1)
	s_and_not1_b32 vcc_lo, exec_lo, s29
	s_cbranch_vccnz .LBB55_138
; %bb.128:
	s_cmp_lt_i32 s0, 6
	s_cbranch_scc1 .LBB55_131
; %bb.129:
	s_cmp_gt_i32 s0, 6
	s_cbranch_scc0 .LBB55_132
; %bb.130:
	global_load_b64 v[14:15], v[12:13], off
	s_mov_b32 s29, 0
	s_wait_loadcnt 0x0
	v_cvt_i32_f64_e32 v1, v[14:15]
	s_branch .LBB55_133
.LBB55_131:
	s_mov_b32 s29, -1
                                        ; implicit-def: $vgpr1
	s_branch .LBB55_136
.LBB55_132:
	s_mov_b32 s29, -1
                                        ; implicit-def: $vgpr1
.LBB55_133:
	s_delay_alu instid0(SALU_CYCLE_1)
	s_and_not1_b32 vcc_lo, exec_lo, s29
	s_cbranch_vccnz .LBB55_135
; %bb.134:
	s_wait_loadcnt 0x0
	global_load_b32 v1, v[12:13], off
	s_wait_loadcnt 0x0
	v_cvt_i32_f32_e32 v1, v1
.LBB55_135:
	s_mov_b32 s29, 0
.LBB55_136:
	s_delay_alu instid0(SALU_CYCLE_1)
	s_and_not1_b32 vcc_lo, exec_lo, s29
	s_cbranch_vccnz .LBB55_138
; %bb.137:
	s_wait_loadcnt 0x0
	global_load_u16 v1, v[12:13], off
	s_wait_loadcnt 0x0
	v_cvt_f32_f16_e32 v1, v1
	s_delay_alu instid0(VALU_DEP_1)
	v_cvt_i32_f32_e32 v1, v1
.LBB55_138:
	s_cbranch_execnz .LBB55_158
.LBB55_139:
	s_cmp_lt_i32 s0, 2
	s_cbranch_scc1 .LBB55_143
; %bb.140:
	s_cmp_lt_i32 s0, 3
	s_cbranch_scc1 .LBB55_144
; %bb.141:
	s_cmp_gt_i32 s0, 3
	s_cbranch_scc0 .LBB55_145
; %bb.142:
	s_wait_loadcnt 0x0
	global_load_b32 v1, v[12:13], off
	s_mov_b32 s29, 0
	s_branch .LBB55_146
.LBB55_143:
	s_mov_b32 s29, -1
                                        ; implicit-def: $vgpr1
	s_branch .LBB55_152
.LBB55_144:
	s_mov_b32 s29, -1
                                        ; implicit-def: $vgpr1
	s_branch .LBB55_149
.LBB55_145:
	s_mov_b32 s29, -1
                                        ; implicit-def: $vgpr1
.LBB55_146:
	s_delay_alu instid0(SALU_CYCLE_1)
	s_and_not1_b32 vcc_lo, exec_lo, s29
	s_cbranch_vccnz .LBB55_148
; %bb.147:
	s_wait_loadcnt 0x0
	global_load_b32 v1, v[12:13], off
.LBB55_148:
	s_mov_b32 s29, 0
.LBB55_149:
	s_delay_alu instid0(SALU_CYCLE_1)
	s_and_not1_b32 vcc_lo, exec_lo, s29
	s_cbranch_vccnz .LBB55_151
; %bb.150:
	s_wait_loadcnt 0x0
	global_load_i16 v1, v[12:13], off
.LBB55_151:
	s_mov_b32 s29, 0
.LBB55_152:
	s_delay_alu instid0(SALU_CYCLE_1)
	s_and_not1_b32 vcc_lo, exec_lo, s29
	s_cbranch_vccnz .LBB55_158
; %bb.153:
	s_cmp_gt_i32 s0, 0
	s_mov_b32 s0, 0
	s_cbranch_scc0 .LBB55_155
; %bb.154:
	s_wait_loadcnt 0x0
	global_load_i8 v1, v[12:13], off
	s_branch .LBB55_156
.LBB55_155:
	s_mov_b32 s0, -1
                                        ; implicit-def: $vgpr1
.LBB55_156:
	s_delay_alu instid0(SALU_CYCLE_1)
	s_and_not1_b32 vcc_lo, exec_lo, s0
	s_cbranch_vccnz .LBB55_158
; %bb.157:
	s_wait_loadcnt 0x0
	global_load_u8 v1, v[12:13], off
.LBB55_158:
	s_branch .LBB55_22
.LBB55_159:
	s_mov_b32 s0, 0
	s_mov_b32 s36, 0
	;; [unrolled: 1-line block ×10, first 2 shown]
	s_branch .LBB55_649
.LBB55_160:
	s_mov_b32 s29, -1
.LBB55_161:
	s_mov_b32 s31, 0
                                        ; implicit-def: $vgpr3
.LBB55_162:
	s_and_b32 vcc_lo, exec_lo, s36
	s_cbranch_vccz .LBB55_167
; %bb.163:
	s_cmp_eq_u32 s30, 44
	s_cbranch_scc0 .LBB55_166
; %bb.164:
	global_load_u8 v3, v[10:11], off
	s_mov_b32 s29, 0
	s_mov_b32 s31, -1
	s_wait_loadcnt 0x0
	v_lshlrev_b32_e32 v5, 23, v3
	v_cmp_ne_u32_e32 vcc_lo, 0, v3
	s_delay_alu instid0(VALU_DEP_2) | instskip(NEXT) | instid1(VALU_DEP_1)
	v_cvt_i32_f32_e32 v5, v5
	v_cndmask_b32_e32 v3, 0, v5, vcc_lo
	s_branch .LBB55_167
.LBB55_165:
	s_mov_b32 s36, -1
	s_mov_b32 s30, 0
	s_branch .LBB55_274
.LBB55_166:
	s_mov_b32 s29, -1
                                        ; implicit-def: $vgpr3
.LBB55_167:
	s_mov_b32 s36, 0
.LBB55_168:
	s_delay_alu instid0(SALU_CYCLE_1)
	s_and_b32 vcc_lo, exec_lo, s36
	s_cbranch_vccz .LBB55_172
; %bb.169:
	s_cmp_eq_u32 s30, 29
	s_cbranch_scc0 .LBB55_171
; %bb.170:
	global_load_b32 v3, v[10:11], off
	s_mov_b32 s31, -1
	s_mov_b32 s29, 0
	s_branch .LBB55_172
.LBB55_171:
	s_mov_b32 s29, -1
                                        ; implicit-def: $vgpr3
.LBB55_172:
	s_mov_b32 s36, 0
.LBB55_173:
	s_delay_alu instid0(SALU_CYCLE_1)
	s_and_b32 vcc_lo, exec_lo, s36
	s_cbranch_vccz .LBB55_189
; %bb.174:
	s_cmp_lt_i32 s30, 27
	s_cbranch_scc1 .LBB55_177
; %bb.175:
	s_cmp_gt_i32 s30, 27
	s_cbranch_scc0 .LBB55_178
; %bb.176:
	s_wait_loadcnt 0x0
	global_load_b32 v3, v[10:11], off
	s_mov_b32 s31, 0
	s_branch .LBB55_179
.LBB55_177:
	s_mov_b32 s31, -1
                                        ; implicit-def: $vgpr3
	s_branch .LBB55_182
.LBB55_178:
	s_mov_b32 s31, -1
                                        ; implicit-def: $vgpr3
.LBB55_179:
	s_delay_alu instid0(SALU_CYCLE_1)
	s_and_not1_b32 vcc_lo, exec_lo, s31
	s_cbranch_vccnz .LBB55_181
; %bb.180:
	s_wait_loadcnt 0x0
	global_load_u16 v3, v[10:11], off
.LBB55_181:
	s_mov_b32 s31, 0
.LBB55_182:
	s_delay_alu instid0(SALU_CYCLE_1)
	s_and_not1_b32 vcc_lo, exec_lo, s31
	s_cbranch_vccnz .LBB55_188
; %bb.183:
	global_load_u8 v5, v[10:11], off
	s_mov_b32 s36, 0
	s_mov_b32 s4, exec_lo
	s_wait_loadcnt 0x0
	v_cmpx_lt_i16_e32 0x7f, v5
	s_xor_b32 s31, exec_lo, s4
	s_cbranch_execz .LBB55_200
; %bb.184:
	v_cmp_ne_u16_e32 vcc_lo, 0x80, v5
	s_and_b32 s36, vcc_lo, exec_lo
	s_and_not1_saveexec_b32 s31, s31
	s_cbranch_execnz .LBB55_201
.LBB55_185:
	s_or_b32 exec_lo, exec_lo, s31
	v_mov_b32_e32 v3, 0
	s_and_saveexec_b32 s31, s36
	s_cbranch_execz .LBB55_187
.LBB55_186:
	v_and_b32_e32 v3, 0xffff, v5
	s_delay_alu instid0(VALU_DEP_1) | instskip(SKIP_1) | instid1(VALU_DEP_2)
	v_and_b32_e32 v7, 7, v3
	v_bfe_u32 v13, v3, 3, 4
	v_clz_i32_u32_e32 v9, v7
	s_delay_alu instid0(VALU_DEP_2) | instskip(NEXT) | instid1(VALU_DEP_2)
	v_cmp_eq_u32_e32 vcc_lo, 0, v13
	v_min_u32_e32 v9, 32, v9
	s_delay_alu instid0(VALU_DEP_1) | instskip(NEXT) | instid1(VALU_DEP_1)
	v_subrev_nc_u32_e32 v12, 28, v9
	v_dual_lshlrev_b32 v3, v12, v3 :: v_dual_sub_nc_u32 v9, 29, v9
	s_delay_alu instid0(VALU_DEP_1) | instskip(NEXT) | instid1(VALU_DEP_1)
	v_dual_lshlrev_b32 v5, 24, v5 :: v_dual_bitop2_b32 v3, 7, v3 bitop3:0x40
	v_dual_cndmask_b32 v3, v7, v3, vcc_lo :: v_dual_cndmask_b32 v9, v13, v9, vcc_lo
	s_delay_alu instid0(VALU_DEP_2) | instskip(NEXT) | instid1(VALU_DEP_2)
	v_and_b32_e32 v5, 0x80000000, v5
	v_lshlrev_b32_e32 v3, 20, v3
	s_delay_alu instid0(VALU_DEP_3) | instskip(NEXT) | instid1(VALU_DEP_1)
	v_lshl_add_u32 v7, v9, 23, 0x3b800000
	v_or3_b32 v3, v5, v7, v3
	s_delay_alu instid0(VALU_DEP_1)
	v_cvt_i32_f32_e32 v3, v3
.LBB55_187:
	s_or_b32 exec_lo, exec_lo, s31
.LBB55_188:
	s_mov_b32 s31, -1
.LBB55_189:
	s_mov_b32 s36, 0
.LBB55_190:
	s_delay_alu instid0(SALU_CYCLE_1)
	s_and_b32 vcc_lo, exec_lo, s36
	s_cbranch_vccz .LBB55_223
; %bb.191:
	s_cmp_gt_i32 s30, 22
	s_cbranch_scc0 .LBB55_199
; %bb.192:
	s_cmp_lt_i32 s30, 24
	s_cbranch_scc1 .LBB55_202
; %bb.193:
	s_cmp_gt_i32 s30, 24
	s_cbranch_scc0 .LBB55_203
; %bb.194:
	global_load_u8 v5, v[10:11], off
	s_mov_b32 s36, 0
	s_mov_b32 s4, exec_lo
	s_wait_loadcnt 0x0
	v_cmpx_lt_i16_e32 0x7f, v5
	s_xor_b32 s31, exec_lo, s4
	s_cbranch_execz .LBB55_215
; %bb.195:
	v_cmp_ne_u16_e32 vcc_lo, 0x80, v5
	s_and_b32 s36, vcc_lo, exec_lo
	s_and_not1_saveexec_b32 s31, s31
	s_cbranch_execnz .LBB55_216
.LBB55_196:
	s_or_b32 exec_lo, exec_lo, s31
	v_mov_b32_e32 v3, 0
	s_and_saveexec_b32 s31, s36
	s_cbranch_execz .LBB55_198
.LBB55_197:
	v_and_b32_e32 v3, 0xffff, v5
	s_delay_alu instid0(VALU_DEP_1) | instskip(SKIP_1) | instid1(VALU_DEP_2)
	v_and_b32_e32 v7, 3, v3
	v_bfe_u32 v13, v3, 2, 5
	v_clz_i32_u32_e32 v9, v7
	s_delay_alu instid0(VALU_DEP_2) | instskip(NEXT) | instid1(VALU_DEP_2)
	v_cmp_eq_u32_e32 vcc_lo, 0, v13
	v_min_u32_e32 v9, 32, v9
	s_delay_alu instid0(VALU_DEP_1) | instskip(NEXT) | instid1(VALU_DEP_1)
	v_subrev_nc_u32_e32 v12, 29, v9
	v_dual_lshlrev_b32 v3, v12, v3 :: v_dual_sub_nc_u32 v9, 30, v9
	s_delay_alu instid0(VALU_DEP_1) | instskip(NEXT) | instid1(VALU_DEP_1)
	v_dual_lshlrev_b32 v5, 24, v5 :: v_dual_bitop2_b32 v3, 3, v3 bitop3:0x40
	v_dual_cndmask_b32 v3, v7, v3, vcc_lo :: v_dual_cndmask_b32 v9, v13, v9, vcc_lo
	s_delay_alu instid0(VALU_DEP_2) | instskip(NEXT) | instid1(VALU_DEP_2)
	v_and_b32_e32 v5, 0x80000000, v5
	v_lshlrev_b32_e32 v3, 21, v3
	s_delay_alu instid0(VALU_DEP_3) | instskip(NEXT) | instid1(VALU_DEP_1)
	v_lshl_add_u32 v7, v9, 23, 0x37800000
	v_or3_b32 v3, v5, v7, v3
	s_delay_alu instid0(VALU_DEP_1)
	v_cvt_i32_f32_e32 v3, v3
.LBB55_198:
	s_or_b32 exec_lo, exec_lo, s31
	s_mov_b32 s31, 0
	s_branch .LBB55_204
.LBB55_199:
	s_mov_b32 s36, -1
                                        ; implicit-def: $vgpr3
	s_branch .LBB55_210
.LBB55_200:
	s_and_not1_saveexec_b32 s31, s31
	s_cbranch_execz .LBB55_185
.LBB55_201:
	v_cmp_ne_u16_e32 vcc_lo, 0, v5
	s_and_not1_b32 s4, s36, exec_lo
	s_and_b32 s5, vcc_lo, exec_lo
	s_delay_alu instid0(SALU_CYCLE_1)
	s_or_b32 s36, s4, s5
	s_or_b32 exec_lo, exec_lo, s31
	v_mov_b32_e32 v3, 0
	s_and_saveexec_b32 s31, s36
	s_cbranch_execnz .LBB55_186
	s_branch .LBB55_187
.LBB55_202:
	s_mov_b32 s31, -1
                                        ; implicit-def: $vgpr3
	s_branch .LBB55_207
.LBB55_203:
	s_mov_b32 s31, -1
                                        ; implicit-def: $vgpr3
.LBB55_204:
	s_delay_alu instid0(SALU_CYCLE_1)
	s_and_b32 vcc_lo, exec_lo, s31
	s_cbranch_vccz .LBB55_206
; %bb.205:
	s_wait_loadcnt 0x0
	global_load_u8 v3, v[10:11], off
	s_wait_loadcnt 0x0
	v_lshlrev_b32_e32 v3, 24, v3
	s_delay_alu instid0(VALU_DEP_1) | instskip(NEXT) | instid1(VALU_DEP_1)
	v_and_b32_e32 v5, 0x7f000000, v3
	v_clz_i32_u32_e32 v7, v5
	v_cmp_ne_u32_e32 vcc_lo, 0, v5
	v_add_nc_u32_e32 v12, 0x1000000, v5
	s_delay_alu instid0(VALU_DEP_3) | instskip(NEXT) | instid1(VALU_DEP_1)
	v_min_u32_e32 v7, 32, v7
	v_sub_nc_u32_e64 v7, v7, 4 clamp
	s_delay_alu instid0(VALU_DEP_1) | instskip(NEXT) | instid1(VALU_DEP_1)
	v_dual_lshlrev_b32 v9, v7, v5 :: v_dual_lshlrev_b32 v7, 23, v7
	v_lshrrev_b32_e32 v9, 4, v9
	s_delay_alu instid0(VALU_DEP_1) | instskip(NEXT) | instid1(VALU_DEP_1)
	v_dual_sub_nc_u32 v7, v9, v7 :: v_dual_ashrrev_i32 v9, 8, v12
	v_add_nc_u32_e32 v7, 0x3c000000, v7
	s_delay_alu instid0(VALU_DEP_1) | instskip(NEXT) | instid1(VALU_DEP_1)
	v_and_or_b32 v7, 0x7f800000, v9, v7
	v_cndmask_b32_e32 v5, 0, v7, vcc_lo
	s_delay_alu instid0(VALU_DEP_1) | instskip(NEXT) | instid1(VALU_DEP_1)
	v_and_or_b32 v3, 0x80000000, v3, v5
	v_cvt_i32_f32_e32 v3, v3
.LBB55_206:
	s_mov_b32 s31, 0
.LBB55_207:
	s_delay_alu instid0(SALU_CYCLE_1)
	s_and_not1_b32 vcc_lo, exec_lo, s31
	s_cbranch_vccnz .LBB55_209
; %bb.208:
	s_wait_loadcnt 0x0
	global_load_u8 v3, v[10:11], off
	s_wait_loadcnt 0x0
	v_lshlrev_b32_e32 v5, 25, v3
	v_lshlrev_b16 v3, 8, v3
	s_delay_alu instid0(VALU_DEP_1) | instskip(SKIP_1) | instid1(VALU_DEP_2)
	v_and_or_b32 v9, 0x7f00, v3, 0.5
	v_bfe_i32 v3, v3, 0, 16
	v_add_f32_e32 v9, -0.5, v9
	v_lshrrev_b32_e32 v7, 4, v5
	v_cmp_gt_u32_e32 vcc_lo, 0x8000000, v5
	s_delay_alu instid0(VALU_DEP_2) | instskip(NEXT) | instid1(VALU_DEP_1)
	v_or_b32_e32 v7, 0x70000000, v7
	v_mul_f32_e32 v7, 0x7800000, v7
	s_delay_alu instid0(VALU_DEP_1) | instskip(NEXT) | instid1(VALU_DEP_1)
	v_cndmask_b32_e32 v5, v7, v9, vcc_lo
	v_and_or_b32 v3, 0x80000000, v3, v5
	s_delay_alu instid0(VALU_DEP_1)
	v_cvt_i32_f32_e32 v3, v3
.LBB55_209:
	s_mov_b32 s36, 0
	s_mov_b32 s31, -1
.LBB55_210:
	s_and_not1_b32 vcc_lo, exec_lo, s36
	s_cbranch_vccnz .LBB55_223
; %bb.211:
	s_cmp_gt_i32 s30, 14
	s_cbranch_scc0 .LBB55_214
; %bb.212:
	s_cmp_eq_u32 s30, 15
	s_cbranch_scc0 .LBB55_217
; %bb.213:
	s_wait_loadcnt 0x0
	global_load_u16 v3, v[10:11], off
	s_mov_b32 s31, -1
	s_mov_b32 s29, 0
	s_wait_loadcnt 0x0
	v_lshlrev_b32_e32 v3, 16, v3
	s_delay_alu instid0(VALU_DEP_1)
	v_cvt_i32_f32_e32 v3, v3
	s_branch .LBB55_218
.LBB55_214:
	s_mov_b32 s36, -1
                                        ; implicit-def: $vgpr3
	s_branch .LBB55_219
.LBB55_215:
	s_and_not1_saveexec_b32 s31, s31
	s_cbranch_execz .LBB55_196
.LBB55_216:
	v_cmp_ne_u16_e32 vcc_lo, 0, v5
	s_and_not1_b32 s4, s36, exec_lo
	s_and_b32 s5, vcc_lo, exec_lo
	s_delay_alu instid0(SALU_CYCLE_1)
	s_or_b32 s36, s4, s5
	s_or_b32 exec_lo, exec_lo, s31
	v_mov_b32_e32 v3, 0
	s_and_saveexec_b32 s31, s36
	s_cbranch_execnz .LBB55_197
	s_branch .LBB55_198
.LBB55_217:
	s_mov_b32 s29, -1
                                        ; implicit-def: $vgpr3
.LBB55_218:
	s_mov_b32 s36, 0
.LBB55_219:
	s_delay_alu instid0(SALU_CYCLE_1)
	s_and_b32 vcc_lo, exec_lo, s36
	s_cbranch_vccz .LBB55_223
; %bb.220:
	s_cmp_eq_u32 s30, 11
	s_cbranch_scc0 .LBB55_222
; %bb.221:
	s_wait_loadcnt 0x0
	global_load_u8 v3, v[10:11], off
	s_mov_b32 s29, 0
	s_mov_b32 s31, -1
	s_wait_loadcnt 0x0
	v_cmp_ne_u16_e32 vcc_lo, 0, v3
	v_cndmask_b32_e64 v3, 0, 1, vcc_lo
	s_branch .LBB55_223
.LBB55_222:
	s_mov_b32 s29, -1
                                        ; implicit-def: $vgpr3
.LBB55_223:
	s_branch .LBB55_31
.LBB55_224:
	s_and_b32 s0, 0xffff, s0
	s_delay_alu instid0(SALU_CYCLE_1)
	s_cmp_lt_i32 s0, 5
	s_cbranch_scc1 .LBB55_229
; %bb.225:
	s_cmp_lt_i32 s0, 8
	s_cbranch_scc1 .LBB55_230
; %bb.226:
	s_cmp_lt_i32 s0, 9
	s_cbranch_scc1 .LBB55_231
; %bb.227:
	s_cmp_gt_i32 s0, 9
	s_cbranch_scc0 .LBB55_232
; %bb.228:
	global_load_b64 v[12:13], v[10:11], off
	s_mov_b32 s30, 0
	s_wait_loadcnt 0x0
	v_cvt_i32_f64_e32 v3, v[12:13]
	s_branch .LBB55_233
.LBB55_229:
	s_mov_b32 s30, -1
                                        ; implicit-def: $vgpr3
	s_branch .LBB55_251
.LBB55_230:
	s_mov_b32 s30, -1
                                        ; implicit-def: $vgpr3
	s_branch .LBB55_239
.LBB55_231:
	s_mov_b32 s30, -1
                                        ; implicit-def: $vgpr3
	s_branch .LBB55_236
.LBB55_232:
	s_mov_b32 s30, -1
                                        ; implicit-def: $vgpr3
.LBB55_233:
	s_delay_alu instid0(SALU_CYCLE_1)
	s_and_not1_b32 vcc_lo, exec_lo, s30
	s_cbranch_vccnz .LBB55_235
; %bb.234:
	s_wait_loadcnt 0x0
	global_load_b32 v3, v[10:11], off
	s_wait_loadcnt 0x0
	v_cvt_i32_f32_e32 v3, v3
.LBB55_235:
	s_mov_b32 s30, 0
.LBB55_236:
	s_delay_alu instid0(SALU_CYCLE_1)
	s_and_not1_b32 vcc_lo, exec_lo, s30
	s_cbranch_vccnz .LBB55_238
; %bb.237:
	s_wait_loadcnt 0x0
	global_load_b32 v3, v[10:11], off
	s_wait_loadcnt 0x0
	v_cvt_f32_f16_e32 v3, v3
	s_delay_alu instid0(VALU_DEP_1)
	v_cvt_i32_f32_e32 v3, v3
.LBB55_238:
	s_mov_b32 s30, 0
.LBB55_239:
	s_delay_alu instid0(SALU_CYCLE_1)
	s_and_not1_b32 vcc_lo, exec_lo, s30
	s_cbranch_vccnz .LBB55_250
; %bb.240:
	s_cmp_lt_i32 s0, 6
	s_cbranch_scc1 .LBB55_243
; %bb.241:
	s_cmp_gt_i32 s0, 6
	s_cbranch_scc0 .LBB55_244
; %bb.242:
	global_load_b64 v[12:13], v[10:11], off
	s_mov_b32 s30, 0
	s_wait_loadcnt 0x0
	v_cvt_i32_f64_e32 v3, v[12:13]
	s_branch .LBB55_245
.LBB55_243:
	s_mov_b32 s30, -1
                                        ; implicit-def: $vgpr3
	s_branch .LBB55_248
.LBB55_244:
	s_mov_b32 s30, -1
                                        ; implicit-def: $vgpr3
.LBB55_245:
	s_delay_alu instid0(SALU_CYCLE_1)
	s_and_not1_b32 vcc_lo, exec_lo, s30
	s_cbranch_vccnz .LBB55_247
; %bb.246:
	s_wait_loadcnt 0x0
	global_load_b32 v3, v[10:11], off
	s_wait_loadcnt 0x0
	v_cvt_i32_f32_e32 v3, v3
.LBB55_247:
	s_mov_b32 s30, 0
.LBB55_248:
	s_delay_alu instid0(SALU_CYCLE_1)
	s_and_not1_b32 vcc_lo, exec_lo, s30
	s_cbranch_vccnz .LBB55_250
; %bb.249:
	s_wait_loadcnt 0x0
	global_load_u16 v3, v[10:11], off
	s_wait_loadcnt 0x0
	v_cvt_f32_f16_e32 v3, v3
	s_delay_alu instid0(VALU_DEP_1)
	v_cvt_i32_f32_e32 v3, v3
.LBB55_250:
	s_mov_b32 s30, 0
.LBB55_251:
	s_delay_alu instid0(SALU_CYCLE_1)
	s_and_not1_b32 vcc_lo, exec_lo, s30
	s_cbranch_vccnz .LBB55_271
; %bb.252:
	s_cmp_lt_i32 s0, 2
	s_cbranch_scc1 .LBB55_256
; %bb.253:
	s_cmp_lt_i32 s0, 3
	s_cbranch_scc1 .LBB55_257
; %bb.254:
	s_cmp_gt_i32 s0, 3
	s_cbranch_scc0 .LBB55_258
; %bb.255:
	s_wait_loadcnt 0x0
	global_load_b32 v3, v[10:11], off
	s_mov_b32 s30, 0
	s_branch .LBB55_259
.LBB55_256:
	s_mov_b32 s30, -1
                                        ; implicit-def: $vgpr3
	s_branch .LBB55_265
.LBB55_257:
	s_mov_b32 s30, -1
                                        ; implicit-def: $vgpr3
	s_branch .LBB55_262
.LBB55_258:
	s_mov_b32 s30, -1
                                        ; implicit-def: $vgpr3
.LBB55_259:
	s_delay_alu instid0(SALU_CYCLE_1)
	s_and_not1_b32 vcc_lo, exec_lo, s30
	s_cbranch_vccnz .LBB55_261
; %bb.260:
	s_wait_loadcnt 0x0
	global_load_b32 v3, v[10:11], off
.LBB55_261:
	s_mov_b32 s30, 0
.LBB55_262:
	s_delay_alu instid0(SALU_CYCLE_1)
	s_and_not1_b32 vcc_lo, exec_lo, s30
	s_cbranch_vccnz .LBB55_264
; %bb.263:
	s_wait_loadcnt 0x0
	global_load_i16 v3, v[10:11], off
.LBB55_264:
	s_mov_b32 s30, 0
.LBB55_265:
	s_delay_alu instid0(SALU_CYCLE_1)
	s_and_not1_b32 vcc_lo, exec_lo, s30
	s_cbranch_vccnz .LBB55_271
; %bb.266:
	s_cmp_gt_i32 s0, 0
	s_mov_b32 s0, 0
	s_cbranch_scc0 .LBB55_268
; %bb.267:
	s_wait_loadcnt 0x0
	global_load_i8 v3, v[10:11], off
	s_branch .LBB55_269
.LBB55_268:
	s_mov_b32 s0, -1
                                        ; implicit-def: $vgpr3
.LBB55_269:
	s_delay_alu instid0(SALU_CYCLE_1)
	s_and_not1_b32 vcc_lo, exec_lo, s0
	s_cbranch_vccnz .LBB55_271
; %bb.270:
	s_wait_loadcnt 0x0
	global_load_u8 v3, v[10:11], off
.LBB55_271:
	s_branch .LBB55_32
.LBB55_272:
	s_mov_b32 s0, 0
	s_mov_b32 s36, 0
	;; [unrolled: 1-line block ×9, first 2 shown]
	s_branch .LBB55_649
.LBB55_273:
	s_mov_b32 s30, -1
.LBB55_274:
	s_mov_b32 s45, 0
                                        ; implicit-def: $vgpr8
.LBB55_275:
	s_and_b32 vcc_lo, exec_lo, s36
	s_cbranch_vccz .LBB55_279
; %bb.276:
	s_cmp_eq_u32 s31, 44
	s_cbranch_scc0 .LBB55_278
; %bb.277:
	global_load_u8 v5, v[10:11], off
	s_mov_b32 s30, 0
	s_mov_b32 s45, -1
	s_wait_loadcnt 0x0
	v_lshlrev_b32_e32 v7, 23, v5
	v_cmp_ne_u32_e32 vcc_lo, 0, v5
	s_delay_alu instid0(VALU_DEP_2) | instskip(NEXT) | instid1(VALU_DEP_1)
	v_cvt_i32_f32_e32 v7, v7
	v_cndmask_b32_e32 v8, 0, v7, vcc_lo
	s_branch .LBB55_279
.LBB55_278:
	s_mov_b32 s30, -1
                                        ; implicit-def: $vgpr8
.LBB55_279:
	s_mov_b32 s36, 0
.LBB55_280:
	s_delay_alu instid0(SALU_CYCLE_1)
	s_and_b32 vcc_lo, exec_lo, s36
	s_cbranch_vccz .LBB55_284
; %bb.281:
	s_cmp_eq_u32 s31, 29
	s_cbranch_scc0 .LBB55_283
; %bb.282:
	global_load_b32 v8, v[10:11], off
	s_mov_b32 s45, -1
	s_mov_b32 s30, 0
	s_branch .LBB55_284
.LBB55_283:
	s_mov_b32 s30, -1
                                        ; implicit-def: $vgpr8
.LBB55_284:
	s_mov_b32 s36, 0
.LBB55_285:
	s_delay_alu instid0(SALU_CYCLE_1)
	s_and_b32 vcc_lo, exec_lo, s36
	s_cbranch_vccz .LBB55_301
; %bb.286:
	s_cmp_lt_i32 s31, 27
	s_cbranch_scc1 .LBB55_289
; %bb.287:
	s_cmp_gt_i32 s31, 27
	s_cbranch_scc0 .LBB55_290
; %bb.288:
	s_wait_loadcnt 0x0
	global_load_b32 v8, v[10:11], off
	s_mov_b32 s36, 0
	s_branch .LBB55_291
.LBB55_289:
	s_mov_b32 s36, -1
                                        ; implicit-def: $vgpr8
	s_branch .LBB55_294
.LBB55_290:
	s_mov_b32 s36, -1
                                        ; implicit-def: $vgpr8
.LBB55_291:
	s_delay_alu instid0(SALU_CYCLE_1)
	s_and_not1_b32 vcc_lo, exec_lo, s36
	s_cbranch_vccnz .LBB55_293
; %bb.292:
	s_wait_loadcnt 0x0
	global_load_u16 v8, v[10:11], off
.LBB55_293:
	s_mov_b32 s36, 0
.LBB55_294:
	s_delay_alu instid0(SALU_CYCLE_1)
	s_and_not1_b32 vcc_lo, exec_lo, s36
	s_cbranch_vccnz .LBB55_300
; %bb.295:
	global_load_u8 v5, v[10:11], off
	s_mov_b32 s37, 0
	s_mov_b32 s4, exec_lo
	s_wait_loadcnt 0x0
	v_cmpx_lt_i16_e32 0x7f, v5
	s_xor_b32 s36, exec_lo, s4
	s_cbranch_execz .LBB55_312
; %bb.296:
	v_cmp_ne_u16_e32 vcc_lo, 0x80, v5
	s_and_b32 s37, vcc_lo, exec_lo
	s_and_not1_saveexec_b32 s36, s36
	s_cbranch_execnz .LBB55_313
.LBB55_297:
	s_or_b32 exec_lo, exec_lo, s36
	v_mov_b32_e32 v8, 0
	s_and_saveexec_b32 s36, s37
	s_cbranch_execz .LBB55_299
.LBB55_298:
	v_and_b32_e32 v7, 0xffff, v5
	s_delay_alu instid0(VALU_DEP_1) | instskip(SKIP_1) | instid1(VALU_DEP_2)
	v_and_b32_e32 v8, 7, v7
	v_bfe_u32 v13, v7, 3, 4
	v_clz_i32_u32_e32 v9, v8
	s_delay_alu instid0(VALU_DEP_2) | instskip(NEXT) | instid1(VALU_DEP_2)
	v_cmp_eq_u32_e32 vcc_lo, 0, v13
	v_min_u32_e32 v9, 32, v9
	s_delay_alu instid0(VALU_DEP_1) | instskip(NEXT) | instid1(VALU_DEP_1)
	v_subrev_nc_u32_e32 v12, 28, v9
	v_dual_lshlrev_b32 v7, v12, v7 :: v_dual_sub_nc_u32 v9, 29, v9
	s_delay_alu instid0(VALU_DEP_1) | instskip(NEXT) | instid1(VALU_DEP_1)
	v_dual_lshlrev_b32 v5, 24, v5 :: v_dual_bitop2_b32 v7, 7, v7 bitop3:0x40
	v_dual_cndmask_b32 v7, v8, v7, vcc_lo :: v_dual_cndmask_b32 v9, v13, v9, vcc_lo
	s_delay_alu instid0(VALU_DEP_2) | instskip(NEXT) | instid1(VALU_DEP_2)
	v_and_b32_e32 v5, 0x80000000, v5
	v_lshlrev_b32_e32 v7, 20, v7
	s_delay_alu instid0(VALU_DEP_3) | instskip(NEXT) | instid1(VALU_DEP_1)
	v_lshl_add_u32 v8, v9, 23, 0x3b800000
	v_or3_b32 v5, v5, v8, v7
	s_delay_alu instid0(VALU_DEP_1)
	v_cvt_i32_f32_e32 v8, v5
.LBB55_299:
	s_or_b32 exec_lo, exec_lo, s36
.LBB55_300:
	s_mov_b32 s45, -1
.LBB55_301:
	s_mov_b32 s36, 0
.LBB55_302:
	s_delay_alu instid0(SALU_CYCLE_1)
	s_and_b32 vcc_lo, exec_lo, s36
	s_cbranch_vccz .LBB55_335
; %bb.303:
	s_cmp_gt_i32 s31, 22
	s_cbranch_scc0 .LBB55_311
; %bb.304:
	s_cmp_lt_i32 s31, 24
	s_cbranch_scc1 .LBB55_314
; %bb.305:
	s_cmp_gt_i32 s31, 24
	s_cbranch_scc0 .LBB55_315
; %bb.306:
	global_load_u8 v5, v[10:11], off
	s_mov_b32 s37, 0
	s_mov_b32 s4, exec_lo
	s_wait_loadcnt 0x0
	v_cmpx_lt_i16_e32 0x7f, v5
	s_xor_b32 s36, exec_lo, s4
	s_cbranch_execz .LBB55_327
; %bb.307:
	v_cmp_ne_u16_e32 vcc_lo, 0x80, v5
	s_and_b32 s37, vcc_lo, exec_lo
	s_and_not1_saveexec_b32 s36, s36
	s_cbranch_execnz .LBB55_328
.LBB55_308:
	s_or_b32 exec_lo, exec_lo, s36
	v_mov_b32_e32 v8, 0
	s_and_saveexec_b32 s36, s37
	s_cbranch_execz .LBB55_310
.LBB55_309:
	v_and_b32_e32 v7, 0xffff, v5
	s_delay_alu instid0(VALU_DEP_1) | instskip(SKIP_1) | instid1(VALU_DEP_2)
	v_and_b32_e32 v8, 3, v7
	v_bfe_u32 v13, v7, 2, 5
	v_clz_i32_u32_e32 v9, v8
	s_delay_alu instid0(VALU_DEP_2) | instskip(NEXT) | instid1(VALU_DEP_2)
	v_cmp_eq_u32_e32 vcc_lo, 0, v13
	v_min_u32_e32 v9, 32, v9
	s_delay_alu instid0(VALU_DEP_1) | instskip(NEXT) | instid1(VALU_DEP_1)
	v_subrev_nc_u32_e32 v12, 29, v9
	v_dual_lshlrev_b32 v7, v12, v7 :: v_dual_sub_nc_u32 v9, 30, v9
	s_delay_alu instid0(VALU_DEP_1) | instskip(NEXT) | instid1(VALU_DEP_1)
	v_dual_lshlrev_b32 v5, 24, v5 :: v_dual_bitop2_b32 v7, 3, v7 bitop3:0x40
	v_dual_cndmask_b32 v7, v8, v7, vcc_lo :: v_dual_cndmask_b32 v9, v13, v9, vcc_lo
	s_delay_alu instid0(VALU_DEP_2) | instskip(NEXT) | instid1(VALU_DEP_2)
	v_and_b32_e32 v5, 0x80000000, v5
	v_lshlrev_b32_e32 v7, 21, v7
	s_delay_alu instid0(VALU_DEP_3) | instskip(NEXT) | instid1(VALU_DEP_1)
	v_lshl_add_u32 v8, v9, 23, 0x37800000
	v_or3_b32 v5, v5, v8, v7
	s_delay_alu instid0(VALU_DEP_1)
	v_cvt_i32_f32_e32 v8, v5
.LBB55_310:
	s_or_b32 exec_lo, exec_lo, s36
	s_mov_b32 s36, 0
	s_branch .LBB55_316
.LBB55_311:
	s_mov_b32 s36, -1
                                        ; implicit-def: $vgpr8
	s_branch .LBB55_322
.LBB55_312:
	s_and_not1_saveexec_b32 s36, s36
	s_cbranch_execz .LBB55_297
.LBB55_313:
	v_cmp_ne_u16_e32 vcc_lo, 0, v5
	s_and_not1_b32 s4, s37, exec_lo
	s_and_b32 s5, vcc_lo, exec_lo
	s_delay_alu instid0(SALU_CYCLE_1)
	s_or_b32 s37, s4, s5
	s_or_b32 exec_lo, exec_lo, s36
	v_mov_b32_e32 v8, 0
	s_and_saveexec_b32 s36, s37
	s_cbranch_execnz .LBB55_298
	s_branch .LBB55_299
.LBB55_314:
	s_mov_b32 s36, -1
                                        ; implicit-def: $vgpr8
	s_branch .LBB55_319
.LBB55_315:
	s_mov_b32 s36, -1
                                        ; implicit-def: $vgpr8
.LBB55_316:
	s_delay_alu instid0(SALU_CYCLE_1)
	s_and_b32 vcc_lo, exec_lo, s36
	s_cbranch_vccz .LBB55_318
; %bb.317:
	global_load_u8 v5, v[10:11], off
	s_wait_loadcnt 0x0
	v_lshlrev_b32_e32 v5, 24, v5
	s_delay_alu instid0(VALU_DEP_1) | instskip(NEXT) | instid1(VALU_DEP_1)
	v_and_b32_e32 v7, 0x7f000000, v5
	v_clz_i32_u32_e32 v8, v7
	v_cmp_ne_u32_e32 vcc_lo, 0, v7
	v_add_nc_u32_e32 v12, 0x1000000, v7
	s_delay_alu instid0(VALU_DEP_3) | instskip(NEXT) | instid1(VALU_DEP_1)
	v_min_u32_e32 v8, 32, v8
	v_sub_nc_u32_e64 v8, v8, 4 clamp
	s_delay_alu instid0(VALU_DEP_1) | instskip(NEXT) | instid1(VALU_DEP_1)
	v_dual_lshlrev_b32 v9, v8, v7 :: v_dual_lshlrev_b32 v8, 23, v8
	v_lshrrev_b32_e32 v9, 4, v9
	s_delay_alu instid0(VALU_DEP_1) | instskip(SKIP_1) | instid1(VALU_DEP_2)
	v_sub_nc_u32_e32 v8, v9, v8
	v_ashrrev_i32_e32 v9, 8, v12
	v_add_nc_u32_e32 v8, 0x3c000000, v8
	s_delay_alu instid0(VALU_DEP_1) | instskip(NEXT) | instid1(VALU_DEP_1)
	v_and_or_b32 v8, 0x7f800000, v9, v8
	v_cndmask_b32_e32 v7, 0, v8, vcc_lo
	s_delay_alu instid0(VALU_DEP_1) | instskip(NEXT) | instid1(VALU_DEP_1)
	v_and_or_b32 v5, 0x80000000, v5, v7
	v_cvt_i32_f32_e32 v8, v5
.LBB55_318:
	s_mov_b32 s36, 0
.LBB55_319:
	s_delay_alu instid0(SALU_CYCLE_1)
	s_and_not1_b32 vcc_lo, exec_lo, s36
	s_cbranch_vccnz .LBB55_321
; %bb.320:
	global_load_u8 v5, v[10:11], off
	s_wait_loadcnt 0x0
	v_lshlrev_b32_e32 v7, 25, v5
	v_lshlrev_b16 v5, 8, v5
	s_delay_alu instid0(VALU_DEP_1) | instskip(NEXT) | instid1(VALU_DEP_3)
	v_and_or_b32 v9, 0x7f00, v5, 0.5
	v_lshrrev_b32_e32 v8, 4, v7
	v_bfe_i32 v5, v5, 0, 16
	s_delay_alu instid0(VALU_DEP_3) | instskip(NEXT) | instid1(VALU_DEP_3)
	v_add_f32_e32 v9, -0.5, v9
	v_or_b32_e32 v8, 0x70000000, v8
	s_delay_alu instid0(VALU_DEP_1) | instskip(SKIP_1) | instid1(VALU_DEP_2)
	v_mul_f32_e32 v8, 0x7800000, v8
	v_cmp_gt_u32_e32 vcc_lo, 0x8000000, v7
	v_cndmask_b32_e32 v7, v8, v9, vcc_lo
	s_delay_alu instid0(VALU_DEP_1) | instskip(NEXT) | instid1(VALU_DEP_1)
	v_and_or_b32 v5, 0x80000000, v5, v7
	v_cvt_i32_f32_e32 v8, v5
.LBB55_321:
	s_mov_b32 s36, 0
	s_mov_b32 s45, -1
.LBB55_322:
	s_and_not1_b32 vcc_lo, exec_lo, s36
	s_cbranch_vccnz .LBB55_335
; %bb.323:
	s_cmp_gt_i32 s31, 14
	s_cbranch_scc0 .LBB55_326
; %bb.324:
	s_cmp_eq_u32 s31, 15
	s_cbranch_scc0 .LBB55_329
; %bb.325:
	global_load_u16 v5, v[10:11], off
	s_mov_b32 s45, -1
	s_mov_b32 s30, 0
	s_wait_loadcnt 0x0
	v_lshlrev_b32_e32 v5, 16, v5
	s_delay_alu instid0(VALU_DEP_1)
	v_cvt_i32_f32_e32 v8, v5
	s_branch .LBB55_330
.LBB55_326:
	s_mov_b32 s36, -1
                                        ; implicit-def: $vgpr8
	s_branch .LBB55_331
.LBB55_327:
	s_and_not1_saveexec_b32 s36, s36
	s_cbranch_execz .LBB55_308
.LBB55_328:
	v_cmp_ne_u16_e32 vcc_lo, 0, v5
	s_and_not1_b32 s4, s37, exec_lo
	s_and_b32 s5, vcc_lo, exec_lo
	s_delay_alu instid0(SALU_CYCLE_1)
	s_or_b32 s37, s4, s5
	s_or_b32 exec_lo, exec_lo, s36
	v_mov_b32_e32 v8, 0
	s_and_saveexec_b32 s36, s37
	s_cbranch_execnz .LBB55_309
	s_branch .LBB55_310
.LBB55_329:
	s_mov_b32 s30, -1
                                        ; implicit-def: $vgpr8
.LBB55_330:
	s_mov_b32 s36, 0
.LBB55_331:
	s_delay_alu instid0(SALU_CYCLE_1)
	s_and_b32 vcc_lo, exec_lo, s36
	s_cbranch_vccz .LBB55_335
; %bb.332:
	s_cmp_eq_u32 s31, 11
	s_cbranch_scc0 .LBB55_334
; %bb.333:
	global_load_u8 v5, v[10:11], off
	s_mov_b32 s30, 0
	s_mov_b32 s45, -1
	s_wait_loadcnt 0x0
	v_cmp_ne_u16_e32 vcc_lo, 0, v5
	v_cndmask_b32_e64 v8, 0, 1, vcc_lo
	s_branch .LBB55_335
.LBB55_334:
	s_mov_b32 s30, -1
                                        ; implicit-def: $vgpr8
.LBB55_335:
	s_mov_b32 s31, 0
.LBB55_336:
	s_delay_alu instid0(SALU_CYCLE_1)
	s_and_b32 vcc_lo, exec_lo, s31
	s_cbranch_vccz .LBB55_385
; %bb.337:
	s_and_b32 s0, 0xffff, s0
	s_delay_alu instid0(SALU_CYCLE_1)
	s_cmp_lt_i32 s0, 5
	s_cbranch_scc1 .LBB55_342
; %bb.338:
	s_cmp_lt_i32 s0, 8
	s_cbranch_scc1 .LBB55_343
; %bb.339:
	;; [unrolled: 3-line block ×3, first 2 shown]
	s_cmp_gt_i32 s0, 9
	s_cbranch_scc0 .LBB55_345
; %bb.341:
	s_wait_loadcnt 0x0
	global_load_b64 v[8:9], v[10:11], off
	s_mov_b32 s31, 0
	s_wait_loadcnt 0x0
	v_cvt_i32_f64_e32 v8, v[8:9]
	s_branch .LBB55_346
.LBB55_342:
	s_mov_b32 s31, -1
                                        ; implicit-def: $vgpr8
	s_branch .LBB55_364
.LBB55_343:
	s_mov_b32 s31, -1
                                        ; implicit-def: $vgpr8
	s_branch .LBB55_352
.LBB55_344:
	s_mov_b32 s31, -1
                                        ; implicit-def: $vgpr8
	s_branch .LBB55_349
.LBB55_345:
	s_mov_b32 s31, -1
                                        ; implicit-def: $vgpr8
.LBB55_346:
	s_delay_alu instid0(SALU_CYCLE_1)
	s_and_not1_b32 vcc_lo, exec_lo, s31
	s_cbranch_vccnz .LBB55_348
; %bb.347:
	global_load_b32 v5, v[10:11], off
	s_wait_loadcnt 0x0
	v_cvt_i32_f32_e32 v8, v5
.LBB55_348:
	s_mov_b32 s31, 0
.LBB55_349:
	s_delay_alu instid0(SALU_CYCLE_1)
	s_and_not1_b32 vcc_lo, exec_lo, s31
	s_cbranch_vccnz .LBB55_351
; %bb.350:
	global_load_b32 v5, v[10:11], off
	s_wait_loadcnt 0x0
	v_cvt_f32_f16_e32 v5, v5
	s_delay_alu instid0(VALU_DEP_1)
	v_cvt_i32_f32_e32 v8, v5
.LBB55_351:
	s_mov_b32 s31, 0
.LBB55_352:
	s_delay_alu instid0(SALU_CYCLE_1)
	s_and_not1_b32 vcc_lo, exec_lo, s31
	s_cbranch_vccnz .LBB55_363
; %bb.353:
	s_cmp_lt_i32 s0, 6
	s_cbranch_scc1 .LBB55_356
; %bb.354:
	s_cmp_gt_i32 s0, 6
	s_cbranch_scc0 .LBB55_357
; %bb.355:
	s_wait_loadcnt 0x0
	global_load_b64 v[8:9], v[10:11], off
	s_mov_b32 s31, 0
	s_wait_loadcnt 0x0
	v_cvt_i32_f64_e32 v8, v[8:9]
	s_branch .LBB55_358
.LBB55_356:
	s_mov_b32 s31, -1
                                        ; implicit-def: $vgpr8
	s_branch .LBB55_361
.LBB55_357:
	s_mov_b32 s31, -1
                                        ; implicit-def: $vgpr8
.LBB55_358:
	s_delay_alu instid0(SALU_CYCLE_1)
	s_and_not1_b32 vcc_lo, exec_lo, s31
	s_cbranch_vccnz .LBB55_360
; %bb.359:
	global_load_b32 v5, v[10:11], off
	s_wait_loadcnt 0x0
	v_cvt_i32_f32_e32 v8, v5
.LBB55_360:
	s_mov_b32 s31, 0
.LBB55_361:
	s_delay_alu instid0(SALU_CYCLE_1)
	s_and_not1_b32 vcc_lo, exec_lo, s31
	s_cbranch_vccnz .LBB55_363
; %bb.362:
	global_load_u16 v5, v[10:11], off
	s_wait_loadcnt 0x0
	v_cvt_f32_f16_e32 v5, v5
	s_delay_alu instid0(VALU_DEP_1)
	v_cvt_i32_f32_e32 v8, v5
.LBB55_363:
	s_mov_b32 s31, 0
.LBB55_364:
	s_delay_alu instid0(SALU_CYCLE_1)
	s_and_not1_b32 vcc_lo, exec_lo, s31
	s_cbranch_vccnz .LBB55_384
; %bb.365:
	s_cmp_lt_i32 s0, 2
	s_cbranch_scc1 .LBB55_369
; %bb.366:
	s_cmp_lt_i32 s0, 3
	s_cbranch_scc1 .LBB55_370
; %bb.367:
	s_cmp_gt_i32 s0, 3
	s_cbranch_scc0 .LBB55_371
; %bb.368:
	s_wait_loadcnt 0x0
	global_load_b32 v8, v[10:11], off
	s_mov_b32 s31, 0
	s_branch .LBB55_372
.LBB55_369:
	s_mov_b32 s31, -1
                                        ; implicit-def: $vgpr8
	s_branch .LBB55_378
.LBB55_370:
	s_mov_b32 s31, -1
                                        ; implicit-def: $vgpr8
	s_branch .LBB55_375
.LBB55_371:
	s_mov_b32 s31, -1
                                        ; implicit-def: $vgpr8
.LBB55_372:
	s_delay_alu instid0(SALU_CYCLE_1)
	s_and_not1_b32 vcc_lo, exec_lo, s31
	s_cbranch_vccnz .LBB55_374
; %bb.373:
	s_wait_loadcnt 0x0
	global_load_b32 v8, v[10:11], off
.LBB55_374:
	s_mov_b32 s31, 0
.LBB55_375:
	s_delay_alu instid0(SALU_CYCLE_1)
	s_and_not1_b32 vcc_lo, exec_lo, s31
	s_cbranch_vccnz .LBB55_377
; %bb.376:
	s_wait_loadcnt 0x0
	global_load_i16 v8, v[10:11], off
.LBB55_377:
	s_mov_b32 s31, 0
.LBB55_378:
	s_delay_alu instid0(SALU_CYCLE_1)
	s_and_not1_b32 vcc_lo, exec_lo, s31
	s_cbranch_vccnz .LBB55_384
; %bb.379:
	s_cmp_gt_i32 s0, 0
	s_mov_b32 s0, 0
	s_cbranch_scc0 .LBB55_381
; %bb.380:
	s_wait_loadcnt 0x0
	global_load_i8 v8, v[10:11], off
	s_branch .LBB55_382
.LBB55_381:
	s_mov_b32 s0, -1
                                        ; implicit-def: $vgpr8
.LBB55_382:
	s_delay_alu instid0(SALU_CYCLE_1)
	s_and_not1_b32 vcc_lo, exec_lo, s0
	s_cbranch_vccnz .LBB55_384
; %bb.383:
	s_wait_loadcnt 0x0
	global_load_u8 v8, v[10:11], off
.LBB55_384:
	s_mov_b32 s45, -1
.LBB55_385:
	s_delay_alu instid0(SALU_CYCLE_1)
	s_and_not1_b32 vcc_lo, exec_lo, s45
	s_cbranch_vccnz .LBB55_393
; %bb.386:
	s_load_b128 s[4:7], s[2:3], 0x268
	v_mov_b32_e32 v7, 0
	s_and_b32 s0, s35, 0xff
	s_delay_alu instid0(SALU_CYCLE_1) | instskip(SKIP_1) | instid1(VALU_DEP_1)
	s_cmp_lt_i32 s0, 11
	s_wait_kmcnt 0x0
	v_add_nc_u64_e32 v[10:11], s[4:5], v[6:7]
	s_cbranch_scc1 .LBB55_394
; %bb.387:
	s_and_b32 s45, 0xffff, s0
	s_delay_alu instid0(SALU_CYCLE_1)
	s_cmp_gt_i32 s45, 25
	s_cbranch_scc0 .LBB55_395
; %bb.388:
	s_cmp_gt_i32 s45, 28
	s_cbranch_scc0 .LBB55_396
; %bb.389:
	;; [unrolled: 3-line block ×4, first 2 shown]
	s_cmp_eq_u32 s45, 46
	s_mov_b32 s36, 0
	s_cbranch_scc0 .LBB55_399
; %bb.392:
	global_load_b32 v5, v[10:11], off
	s_mov_b32 s49, -1
	s_mov_b32 s31, 0
	s_wait_loadcnt 0x0
	v_lshlrev_b32_e32 v5, 16, v5
	s_delay_alu instid0(VALU_DEP_1)
	v_cvt_i32_f32_e32 v6, v5
	s_branch .LBB55_401
.LBB55_393:
	s_mov_b32 s0, 0
	s_mov_b32 s36, 0
	;; [unrolled: 1-line block ×8, first 2 shown]
	s_branch .LBB55_649
.LBB55_394:
	s_mov_b32 s36, -1
	s_mov_b32 s31, 0
	s_mov_b32 s49, 0
                                        ; implicit-def: $vgpr6
	s_branch .LBB55_462
.LBB55_395:
	s_mov_b32 s36, -1
	s_mov_b32 s31, 0
	s_mov_b32 s49, 0
                                        ; implicit-def: $vgpr6
	s_branch .LBB55_428
.LBB55_396:
	s_mov_b32 s36, -1
	s_mov_b32 s31, 0
	s_mov_b32 s49, 0
                                        ; implicit-def: $vgpr6
	s_branch .LBB55_411
.LBB55_397:
	s_mov_b32 s36, -1
	s_mov_b32 s31, 0
	s_mov_b32 s49, 0
                                        ; implicit-def: $vgpr6
	s_branch .LBB55_406
.LBB55_398:
	s_mov_b32 s36, -1
	s_mov_b32 s31, 0
	s_branch .LBB55_400
.LBB55_399:
	s_mov_b32 s31, -1
.LBB55_400:
	s_mov_b32 s49, 0
                                        ; implicit-def: $vgpr6
.LBB55_401:
	s_and_b32 vcc_lo, exec_lo, s36
	s_cbranch_vccz .LBB55_405
; %bb.402:
	s_cmp_eq_u32 s45, 44
	s_cbranch_scc0 .LBB55_404
; %bb.403:
	global_load_u8 v5, v[10:11], off
	s_mov_b32 s31, 0
	s_mov_b32 s49, -1
	s_wait_loadcnt 0x0
	v_lshlrev_b32_e32 v6, 23, v5
	v_cmp_ne_u32_e32 vcc_lo, 0, v5
	s_delay_alu instid0(VALU_DEP_2) | instskip(NEXT) | instid1(VALU_DEP_1)
	v_cvt_i32_f32_e32 v6, v6
	v_cndmask_b32_e32 v6, 0, v6, vcc_lo
	s_branch .LBB55_405
.LBB55_404:
	s_mov_b32 s31, -1
                                        ; implicit-def: $vgpr6
.LBB55_405:
	s_mov_b32 s36, 0
.LBB55_406:
	s_delay_alu instid0(SALU_CYCLE_1)
	s_and_b32 vcc_lo, exec_lo, s36
	s_cbranch_vccz .LBB55_410
; %bb.407:
	s_cmp_eq_u32 s45, 29
	s_cbranch_scc0 .LBB55_409
; %bb.408:
	global_load_b32 v6, v[10:11], off
	s_mov_b32 s49, -1
	s_mov_b32 s31, 0
	s_branch .LBB55_410
.LBB55_409:
	s_mov_b32 s31, -1
                                        ; implicit-def: $vgpr6
.LBB55_410:
	s_mov_b32 s36, 0
.LBB55_411:
	s_delay_alu instid0(SALU_CYCLE_1)
	s_and_b32 vcc_lo, exec_lo, s36
	s_cbranch_vccz .LBB55_427
; %bb.412:
	s_cmp_lt_i32 s45, 27
	s_cbranch_scc1 .LBB55_415
; %bb.413:
	s_cmp_gt_i32 s45, 27
	s_cbranch_scc0 .LBB55_416
; %bb.414:
	s_wait_loadcnt 0x0
	global_load_b32 v6, v[10:11], off
	s_mov_b32 s36, 0
	s_branch .LBB55_417
.LBB55_415:
	s_mov_b32 s36, -1
                                        ; implicit-def: $vgpr6
	s_branch .LBB55_420
.LBB55_416:
	s_mov_b32 s36, -1
                                        ; implicit-def: $vgpr6
.LBB55_417:
	s_delay_alu instid0(SALU_CYCLE_1)
	s_and_not1_b32 vcc_lo, exec_lo, s36
	s_cbranch_vccnz .LBB55_419
; %bb.418:
	s_wait_loadcnt 0x0
	global_load_u16 v6, v[10:11], off
.LBB55_419:
	s_mov_b32 s36, 0
.LBB55_420:
	s_delay_alu instid0(SALU_CYCLE_1)
	s_and_not1_b32 vcc_lo, exec_lo, s36
	s_cbranch_vccnz .LBB55_426
; %bb.421:
	global_load_u8 v5, v[10:11], off
	s_mov_b32 s37, 0
	s_mov_b32 s4, exec_lo
	s_wait_loadcnt 0x0
	v_cmpx_lt_i16_e32 0x7f, v5
	s_xor_b32 s36, exec_lo, s4
	s_cbranch_execz .LBB55_438
; %bb.422:
	v_cmp_ne_u16_e32 vcc_lo, 0x80, v5
	s_and_b32 s37, vcc_lo, exec_lo
	s_and_not1_saveexec_b32 s36, s36
	s_cbranch_execnz .LBB55_439
.LBB55_423:
	s_or_b32 exec_lo, exec_lo, s36
	v_mov_b32_e32 v6, 0
	s_and_saveexec_b32 s36, s37
	s_cbranch_execz .LBB55_425
.LBB55_424:
	v_and_b32_e32 v6, 0xffff, v5
	s_delay_alu instid0(VALU_DEP_1) | instskip(SKIP_1) | instid1(VALU_DEP_2)
	v_and_b32_e32 v7, 7, v6
	v_bfe_u32 v13, v6, 3, 4
	v_clz_i32_u32_e32 v9, v7
	s_delay_alu instid0(VALU_DEP_2) | instskip(NEXT) | instid1(VALU_DEP_2)
	v_cmp_eq_u32_e32 vcc_lo, 0, v13
	v_min_u32_e32 v9, 32, v9
	s_delay_alu instid0(VALU_DEP_1) | instskip(NEXT) | instid1(VALU_DEP_1)
	v_subrev_nc_u32_e32 v12, 28, v9
	v_dual_lshlrev_b32 v6, v12, v6 :: v_dual_sub_nc_u32 v9, 29, v9
	s_delay_alu instid0(VALU_DEP_1) | instskip(NEXT) | instid1(VALU_DEP_1)
	v_dual_lshlrev_b32 v5, 24, v5 :: v_dual_bitop2_b32 v6, 7, v6 bitop3:0x40
	v_dual_cndmask_b32 v6, v7, v6 :: v_dual_cndmask_b32 v9, v13, v9
	s_delay_alu instid0(VALU_DEP_2) | instskip(NEXT) | instid1(VALU_DEP_2)
	v_and_b32_e32 v5, 0x80000000, v5
	v_lshlrev_b32_e32 v6, 20, v6
	s_delay_alu instid0(VALU_DEP_3) | instskip(NEXT) | instid1(VALU_DEP_1)
	v_lshl_add_u32 v7, v9, 23, 0x3b800000
	v_or3_b32 v5, v5, v7, v6
	s_delay_alu instid0(VALU_DEP_1)
	v_cvt_i32_f32_e32 v6, v5
.LBB55_425:
	s_or_b32 exec_lo, exec_lo, s36
.LBB55_426:
	s_mov_b32 s49, -1
.LBB55_427:
	s_mov_b32 s36, 0
.LBB55_428:
	s_delay_alu instid0(SALU_CYCLE_1)
	s_and_b32 vcc_lo, exec_lo, s36
	s_cbranch_vccz .LBB55_461
; %bb.429:
	s_cmp_gt_i32 s45, 22
	s_cbranch_scc0 .LBB55_437
; %bb.430:
	s_cmp_lt_i32 s45, 24
	s_cbranch_scc1 .LBB55_440
; %bb.431:
	s_cmp_gt_i32 s45, 24
	s_cbranch_scc0 .LBB55_441
; %bb.432:
	global_load_u8 v5, v[10:11], off
	s_mov_b32 s37, 0
	s_mov_b32 s4, exec_lo
	s_wait_loadcnt 0x0
	v_cmpx_lt_i16_e32 0x7f, v5
	s_xor_b32 s36, exec_lo, s4
	s_cbranch_execz .LBB55_453
; %bb.433:
	v_cmp_ne_u16_e32 vcc_lo, 0x80, v5
	s_and_b32 s37, vcc_lo, exec_lo
	s_and_not1_saveexec_b32 s36, s36
	s_cbranch_execnz .LBB55_454
.LBB55_434:
	s_or_b32 exec_lo, exec_lo, s36
	v_mov_b32_e32 v6, 0
	s_and_saveexec_b32 s36, s37
	s_cbranch_execz .LBB55_436
.LBB55_435:
	v_and_b32_e32 v6, 0xffff, v5
	s_delay_alu instid0(VALU_DEP_1) | instskip(SKIP_1) | instid1(VALU_DEP_2)
	v_and_b32_e32 v7, 3, v6
	v_bfe_u32 v13, v6, 2, 5
	v_clz_i32_u32_e32 v9, v7
	s_delay_alu instid0(VALU_DEP_2) | instskip(NEXT) | instid1(VALU_DEP_2)
	v_cmp_eq_u32_e32 vcc_lo, 0, v13
	v_min_u32_e32 v9, 32, v9
	s_delay_alu instid0(VALU_DEP_1) | instskip(NEXT) | instid1(VALU_DEP_1)
	v_subrev_nc_u32_e32 v12, 29, v9
	v_dual_lshlrev_b32 v6, v12, v6 :: v_dual_sub_nc_u32 v9, 30, v9
	s_delay_alu instid0(VALU_DEP_1) | instskip(NEXT) | instid1(VALU_DEP_1)
	v_dual_lshlrev_b32 v5, 24, v5 :: v_dual_bitop2_b32 v6, 3, v6 bitop3:0x40
	v_dual_cndmask_b32 v6, v7, v6 :: v_dual_cndmask_b32 v9, v13, v9
	s_delay_alu instid0(VALU_DEP_2) | instskip(NEXT) | instid1(VALU_DEP_2)
	v_and_b32_e32 v5, 0x80000000, v5
	v_lshlrev_b32_e32 v6, 21, v6
	s_delay_alu instid0(VALU_DEP_3) | instskip(NEXT) | instid1(VALU_DEP_1)
	v_lshl_add_u32 v7, v9, 23, 0x37800000
	v_or3_b32 v5, v5, v7, v6
	s_delay_alu instid0(VALU_DEP_1)
	v_cvt_i32_f32_e32 v6, v5
.LBB55_436:
	s_or_b32 exec_lo, exec_lo, s36
	s_mov_b32 s36, 0
	s_branch .LBB55_442
.LBB55_437:
	s_mov_b32 s36, -1
                                        ; implicit-def: $vgpr6
	s_branch .LBB55_448
.LBB55_438:
	s_and_not1_saveexec_b32 s36, s36
	s_cbranch_execz .LBB55_423
.LBB55_439:
	v_cmp_ne_u16_e32 vcc_lo, 0, v5
	s_and_not1_b32 s4, s37, exec_lo
	s_and_b32 s5, vcc_lo, exec_lo
	s_delay_alu instid0(SALU_CYCLE_1)
	s_or_b32 s37, s4, s5
	s_or_b32 exec_lo, exec_lo, s36
	v_mov_b32_e32 v6, 0
	s_and_saveexec_b32 s36, s37
	s_cbranch_execnz .LBB55_424
	s_branch .LBB55_425
.LBB55_440:
	s_mov_b32 s36, -1
                                        ; implicit-def: $vgpr6
	s_branch .LBB55_445
.LBB55_441:
	s_mov_b32 s36, -1
                                        ; implicit-def: $vgpr6
.LBB55_442:
	s_delay_alu instid0(SALU_CYCLE_1)
	s_and_b32 vcc_lo, exec_lo, s36
	s_cbranch_vccz .LBB55_444
; %bb.443:
	global_load_u8 v5, v[10:11], off
	s_wait_loadcnt 0x0
	v_lshlrev_b32_e32 v5, 24, v5
	s_delay_alu instid0(VALU_DEP_1) | instskip(NEXT) | instid1(VALU_DEP_1)
	v_and_b32_e32 v6, 0x7f000000, v5
	v_clz_i32_u32_e32 v7, v6
	v_add_nc_u32_e32 v12, 0x1000000, v6
	v_cmp_ne_u32_e32 vcc_lo, 0, v6
	s_delay_alu instid0(VALU_DEP_3) | instskip(NEXT) | instid1(VALU_DEP_1)
	v_min_u32_e32 v7, 32, v7
	v_sub_nc_u32_e64 v7, v7, 4 clamp
	s_delay_alu instid0(VALU_DEP_1) | instskip(NEXT) | instid1(VALU_DEP_1)
	v_dual_lshlrev_b32 v9, v7, v6 :: v_dual_lshlrev_b32 v7, 23, v7
	v_lshrrev_b32_e32 v9, 4, v9
	s_delay_alu instid0(VALU_DEP_1) | instskip(NEXT) | instid1(VALU_DEP_1)
	v_dual_sub_nc_u32 v7, v9, v7 :: v_dual_ashrrev_i32 v9, 8, v12
	v_add_nc_u32_e32 v7, 0x3c000000, v7
	s_delay_alu instid0(VALU_DEP_1) | instskip(NEXT) | instid1(VALU_DEP_1)
	v_and_or_b32 v7, 0x7f800000, v9, v7
	v_cndmask_b32_e32 v6, 0, v7, vcc_lo
	s_delay_alu instid0(VALU_DEP_1) | instskip(NEXT) | instid1(VALU_DEP_1)
	v_and_or_b32 v5, 0x80000000, v5, v6
	v_cvt_i32_f32_e32 v6, v5
.LBB55_444:
	s_mov_b32 s36, 0
.LBB55_445:
	s_delay_alu instid0(SALU_CYCLE_1)
	s_and_not1_b32 vcc_lo, exec_lo, s36
	s_cbranch_vccnz .LBB55_447
; %bb.446:
	global_load_u8 v5, v[10:11], off
	s_wait_loadcnt 0x0
	v_lshlrev_b32_e32 v6, 25, v5
	v_lshlrev_b16 v5, 8, v5
	s_delay_alu instid0(VALU_DEP_1) | instskip(NEXT) | instid1(VALU_DEP_3)
	v_and_or_b32 v9, 0x7f00, v5, 0.5
	v_lshrrev_b32_e32 v7, 4, v6
	v_bfe_i32 v5, v5, 0, 16
	s_delay_alu instid0(VALU_DEP_3) | instskip(NEXT) | instid1(VALU_DEP_3)
	v_add_f32_e32 v9, -0.5, v9
	v_or_b32_e32 v7, 0x70000000, v7
	s_delay_alu instid0(VALU_DEP_1) | instskip(SKIP_1) | instid1(VALU_DEP_2)
	v_mul_f32_e32 v7, 0x7800000, v7
	v_cmp_gt_u32_e32 vcc_lo, 0x8000000, v6
	v_cndmask_b32_e32 v6, v7, v9, vcc_lo
	s_delay_alu instid0(VALU_DEP_1) | instskip(NEXT) | instid1(VALU_DEP_1)
	v_and_or_b32 v5, 0x80000000, v5, v6
	v_cvt_i32_f32_e32 v6, v5
.LBB55_447:
	s_mov_b32 s36, 0
	s_mov_b32 s49, -1
.LBB55_448:
	s_and_not1_b32 vcc_lo, exec_lo, s36
	s_cbranch_vccnz .LBB55_461
; %bb.449:
	s_cmp_gt_i32 s45, 14
	s_cbranch_scc0 .LBB55_452
; %bb.450:
	s_cmp_eq_u32 s45, 15
	s_cbranch_scc0 .LBB55_455
; %bb.451:
	global_load_u16 v5, v[10:11], off
	s_mov_b32 s49, -1
	s_mov_b32 s31, 0
	s_wait_loadcnt 0x0
	v_lshlrev_b32_e32 v5, 16, v5
	s_delay_alu instid0(VALU_DEP_1)
	v_cvt_i32_f32_e32 v6, v5
	s_branch .LBB55_456
.LBB55_452:
	s_mov_b32 s36, -1
                                        ; implicit-def: $vgpr6
	s_branch .LBB55_457
.LBB55_453:
	s_and_not1_saveexec_b32 s36, s36
	s_cbranch_execz .LBB55_434
.LBB55_454:
	v_cmp_ne_u16_e32 vcc_lo, 0, v5
	s_and_not1_b32 s4, s37, exec_lo
	s_and_b32 s5, vcc_lo, exec_lo
	s_delay_alu instid0(SALU_CYCLE_1)
	s_or_b32 s37, s4, s5
	s_or_b32 exec_lo, exec_lo, s36
	v_mov_b32_e32 v6, 0
	s_and_saveexec_b32 s36, s37
	s_cbranch_execnz .LBB55_435
	s_branch .LBB55_436
.LBB55_455:
	s_mov_b32 s31, -1
                                        ; implicit-def: $vgpr6
.LBB55_456:
	s_mov_b32 s36, 0
.LBB55_457:
	s_delay_alu instid0(SALU_CYCLE_1)
	s_and_b32 vcc_lo, exec_lo, s36
	s_cbranch_vccz .LBB55_461
; %bb.458:
	s_cmp_eq_u32 s45, 11
	s_cbranch_scc0 .LBB55_460
; %bb.459:
	global_load_u8 v5, v[10:11], off
	s_mov_b32 s31, 0
	s_mov_b32 s49, -1
	s_wait_loadcnt 0x0
	v_cmp_ne_u16_e32 vcc_lo, 0, v5
	v_cndmask_b32_e64 v6, 0, 1, vcc_lo
	s_branch .LBB55_461
.LBB55_460:
	s_mov_b32 s31, -1
                                        ; implicit-def: $vgpr6
.LBB55_461:
	s_mov_b32 s36, 0
.LBB55_462:
	s_delay_alu instid0(SALU_CYCLE_1)
	s_and_b32 vcc_lo, exec_lo, s36
	s_cbranch_vccz .LBB55_511
; %bb.463:
	s_and_b32 s0, 0xffff, s0
	s_delay_alu instid0(SALU_CYCLE_1)
	s_cmp_lt_i32 s0, 5
	s_cbranch_scc1 .LBB55_468
; %bb.464:
	s_cmp_lt_i32 s0, 8
	s_cbranch_scc1 .LBB55_469
; %bb.465:
	;; [unrolled: 3-line block ×3, first 2 shown]
	s_cmp_gt_i32 s0, 9
	s_cbranch_scc0 .LBB55_471
; %bb.467:
	s_wait_loadcnt 0x0
	global_load_b64 v[6:7], v[10:11], off
	s_mov_b32 s36, 0
	s_wait_loadcnt 0x0
	v_cvt_i32_f64_e32 v6, v[6:7]
	s_branch .LBB55_472
.LBB55_468:
	s_mov_b32 s36, -1
                                        ; implicit-def: $vgpr6
	s_branch .LBB55_490
.LBB55_469:
	s_mov_b32 s36, -1
                                        ; implicit-def: $vgpr6
	s_branch .LBB55_478
.LBB55_470:
	s_mov_b32 s36, -1
                                        ; implicit-def: $vgpr6
	s_branch .LBB55_475
.LBB55_471:
	s_mov_b32 s36, -1
                                        ; implicit-def: $vgpr6
.LBB55_472:
	s_delay_alu instid0(SALU_CYCLE_1)
	s_and_not1_b32 vcc_lo, exec_lo, s36
	s_cbranch_vccnz .LBB55_474
; %bb.473:
	global_load_b32 v5, v[10:11], off
	s_wait_loadcnt 0x0
	v_cvt_i32_f32_e32 v6, v5
.LBB55_474:
	s_mov_b32 s36, 0
.LBB55_475:
	s_delay_alu instid0(SALU_CYCLE_1)
	s_and_not1_b32 vcc_lo, exec_lo, s36
	s_cbranch_vccnz .LBB55_477
; %bb.476:
	global_load_b32 v5, v[10:11], off
	s_wait_loadcnt 0x0
	v_cvt_f32_f16_e32 v5, v5
	s_delay_alu instid0(VALU_DEP_1)
	v_cvt_i32_f32_e32 v6, v5
.LBB55_477:
	s_mov_b32 s36, 0
.LBB55_478:
	s_delay_alu instid0(SALU_CYCLE_1)
	s_and_not1_b32 vcc_lo, exec_lo, s36
	s_cbranch_vccnz .LBB55_489
; %bb.479:
	s_cmp_lt_i32 s0, 6
	s_cbranch_scc1 .LBB55_482
; %bb.480:
	s_cmp_gt_i32 s0, 6
	s_cbranch_scc0 .LBB55_483
; %bb.481:
	s_wait_loadcnt 0x0
	global_load_b64 v[6:7], v[10:11], off
	s_mov_b32 s36, 0
	s_wait_loadcnt 0x0
	v_cvt_i32_f64_e32 v6, v[6:7]
	s_branch .LBB55_484
.LBB55_482:
	s_mov_b32 s36, -1
                                        ; implicit-def: $vgpr6
	s_branch .LBB55_487
.LBB55_483:
	s_mov_b32 s36, -1
                                        ; implicit-def: $vgpr6
.LBB55_484:
	s_delay_alu instid0(SALU_CYCLE_1)
	s_and_not1_b32 vcc_lo, exec_lo, s36
	s_cbranch_vccnz .LBB55_486
; %bb.485:
	global_load_b32 v5, v[10:11], off
	s_wait_loadcnt 0x0
	v_cvt_i32_f32_e32 v6, v5
.LBB55_486:
	s_mov_b32 s36, 0
.LBB55_487:
	s_delay_alu instid0(SALU_CYCLE_1)
	s_and_not1_b32 vcc_lo, exec_lo, s36
	s_cbranch_vccnz .LBB55_489
; %bb.488:
	global_load_u16 v5, v[10:11], off
	s_wait_loadcnt 0x0
	v_cvt_f32_f16_e32 v5, v5
	s_delay_alu instid0(VALU_DEP_1)
	v_cvt_i32_f32_e32 v6, v5
.LBB55_489:
	s_mov_b32 s36, 0
.LBB55_490:
	s_delay_alu instid0(SALU_CYCLE_1)
	s_and_not1_b32 vcc_lo, exec_lo, s36
	s_cbranch_vccnz .LBB55_510
; %bb.491:
	s_cmp_lt_i32 s0, 2
	s_cbranch_scc1 .LBB55_495
; %bb.492:
	s_cmp_lt_i32 s0, 3
	s_cbranch_scc1 .LBB55_496
; %bb.493:
	s_cmp_gt_i32 s0, 3
	s_cbranch_scc0 .LBB55_497
; %bb.494:
	s_wait_loadcnt 0x0
	global_load_b32 v6, v[10:11], off
	s_mov_b32 s36, 0
	s_branch .LBB55_498
.LBB55_495:
	s_mov_b32 s36, -1
                                        ; implicit-def: $vgpr6
	s_branch .LBB55_504
.LBB55_496:
	s_mov_b32 s36, -1
                                        ; implicit-def: $vgpr6
	s_branch .LBB55_501
.LBB55_497:
	s_mov_b32 s36, -1
                                        ; implicit-def: $vgpr6
.LBB55_498:
	s_delay_alu instid0(SALU_CYCLE_1)
	s_and_not1_b32 vcc_lo, exec_lo, s36
	s_cbranch_vccnz .LBB55_500
; %bb.499:
	s_wait_loadcnt 0x0
	global_load_b32 v6, v[10:11], off
.LBB55_500:
	s_mov_b32 s36, 0
.LBB55_501:
	s_delay_alu instid0(SALU_CYCLE_1)
	s_and_not1_b32 vcc_lo, exec_lo, s36
	s_cbranch_vccnz .LBB55_503
; %bb.502:
	s_wait_loadcnt 0x0
	global_load_i16 v6, v[10:11], off
.LBB55_503:
	s_mov_b32 s36, 0
.LBB55_504:
	s_delay_alu instid0(SALU_CYCLE_1)
	s_and_not1_b32 vcc_lo, exec_lo, s36
	s_cbranch_vccnz .LBB55_510
; %bb.505:
	s_cmp_gt_i32 s0, 0
	s_mov_b32 s0, 0
	s_cbranch_scc0 .LBB55_507
; %bb.506:
	s_wait_loadcnt 0x0
	global_load_i8 v6, v[10:11], off
	s_branch .LBB55_508
.LBB55_507:
	s_mov_b32 s0, -1
                                        ; implicit-def: $vgpr6
.LBB55_508:
	s_delay_alu instid0(SALU_CYCLE_1)
	s_and_not1_b32 vcc_lo, exec_lo, s0
	s_cbranch_vccnz .LBB55_510
; %bb.509:
	s_wait_loadcnt 0x0
	global_load_u8 v6, v[10:11], off
.LBB55_510:
	s_mov_b32 s49, -1
.LBB55_511:
	s_delay_alu instid0(SALU_CYCLE_1)
	s_and_not1_b32 vcc_lo, exec_lo, s49
	s_cbranch_vccnz .LBB55_519
; %bb.512:
	s_load_b128 s[4:7], s[2:3], 0x268
	v_mov_b32_e32 v5, 0
	s_and_b32 s0, s80, 0xff
	s_delay_alu instid0(SALU_CYCLE_1) | instskip(SKIP_1) | instid1(VALU_DEP_1)
	s_cmp_lt_i32 s0, 11
	s_wait_kmcnt 0x0
	v_add_nc_u64_e32 v[4:5], s[6:7], v[4:5]
	s_cbranch_scc1 .LBB55_520
; %bb.513:
	s_and_b32 s45, 0xffff, s0
	s_delay_alu instid0(SALU_CYCLE_1)
	s_cmp_gt_i32 s45, 25
	s_cbranch_scc0 .LBB55_521
; %bb.514:
	s_cmp_gt_i32 s45, 28
	s_cbranch_scc0 .LBB55_522
; %bb.515:
	;; [unrolled: 3-line block ×4, first 2 shown]
	s_cmp_eq_u32 s45, 46
	s_mov_b32 s36, 0
	s_cbranch_scc0 .LBB55_525
; %bb.518:
	global_load_b32 v7, v[4:5], off
	s_mov_b32 s49, -1
	s_mov_b32 s74, 0
	s_wait_loadcnt 0x0
	v_lshlrev_b32_e32 v7, 16, v7
	s_delay_alu instid0(VALU_DEP_1)
	v_cvt_i32_f32_e32 v10, v7
	s_branch .LBB55_527
.LBB55_519:
	s_mov_b32 s0, 0
	s_mov_b32 s36, 0
	s_mov_b32 s37, 0
	s_mov_b32 s38, 0
	s_mov_b32 s39, 0
	s_mov_b32 s49, 0
	s_mov_b32 s74, 0
	s_branch .LBB55_649
.LBB55_520:
	s_mov_b32 s36, -1
	s_mov_b32 s74, 0
	s_mov_b32 s49, 0
                                        ; implicit-def: $vgpr10
	s_branch .LBB55_588
.LBB55_521:
	s_mov_b32 s36, -1
	s_mov_b32 s74, 0
	s_mov_b32 s49, 0
                                        ; implicit-def: $vgpr10
	s_branch .LBB55_554
.LBB55_522:
	s_mov_b32 s36, -1
	s_mov_b32 s74, 0
	s_mov_b32 s49, 0
                                        ; implicit-def: $vgpr10
	s_branch .LBB55_537
.LBB55_523:
	s_mov_b32 s36, -1
	s_mov_b32 s74, 0
	s_mov_b32 s49, 0
                                        ; implicit-def: $vgpr10
	s_branch .LBB55_532
.LBB55_524:
	s_mov_b32 s36, -1
	s_mov_b32 s74, 0
	s_branch .LBB55_526
.LBB55_525:
	s_mov_b32 s74, -1
.LBB55_526:
	s_mov_b32 s49, 0
                                        ; implicit-def: $vgpr10
.LBB55_527:
	s_and_b32 vcc_lo, exec_lo, s36
	s_cbranch_vccz .LBB55_531
; %bb.528:
	s_cmp_eq_u32 s45, 44
	s_cbranch_scc0 .LBB55_530
; %bb.529:
	global_load_u8 v7, v[4:5], off
	s_mov_b32 s74, 0
	s_mov_b32 s49, -1
	s_wait_loadcnt 0x0
	v_lshlrev_b32_e32 v9, 23, v7
	v_cmp_ne_u32_e32 vcc_lo, 0, v7
	s_delay_alu instid0(VALU_DEP_2) | instskip(NEXT) | instid1(VALU_DEP_1)
	v_cvt_i32_f32_e32 v9, v9
	v_cndmask_b32_e32 v10, 0, v9, vcc_lo
	s_branch .LBB55_531
.LBB55_530:
	s_mov_b32 s74, -1
                                        ; implicit-def: $vgpr10
.LBB55_531:
	s_mov_b32 s36, 0
.LBB55_532:
	s_delay_alu instid0(SALU_CYCLE_1)
	s_and_b32 vcc_lo, exec_lo, s36
	s_cbranch_vccz .LBB55_536
; %bb.533:
	s_cmp_eq_u32 s45, 29
	s_cbranch_scc0 .LBB55_535
; %bb.534:
	global_load_b32 v10, v[4:5], off
	s_mov_b32 s49, -1
	s_mov_b32 s74, 0
	s_branch .LBB55_536
.LBB55_535:
	s_mov_b32 s74, -1
                                        ; implicit-def: $vgpr10
.LBB55_536:
	s_mov_b32 s36, 0
.LBB55_537:
	s_delay_alu instid0(SALU_CYCLE_1)
	s_and_b32 vcc_lo, exec_lo, s36
	s_cbranch_vccz .LBB55_553
; %bb.538:
	s_cmp_lt_i32 s45, 27
	s_cbranch_scc1 .LBB55_541
; %bb.539:
	s_cmp_gt_i32 s45, 27
	s_cbranch_scc0 .LBB55_542
; %bb.540:
	s_wait_loadcnt 0x0
	global_load_b32 v10, v[4:5], off
	s_mov_b32 s36, 0
	s_branch .LBB55_543
.LBB55_541:
	s_mov_b32 s36, -1
                                        ; implicit-def: $vgpr10
	s_branch .LBB55_546
.LBB55_542:
	s_mov_b32 s36, -1
                                        ; implicit-def: $vgpr10
.LBB55_543:
	s_delay_alu instid0(SALU_CYCLE_1)
	s_and_not1_b32 vcc_lo, exec_lo, s36
	s_cbranch_vccnz .LBB55_545
; %bb.544:
	s_wait_loadcnt 0x0
	global_load_u16 v10, v[4:5], off
.LBB55_545:
	s_mov_b32 s36, 0
.LBB55_546:
	s_delay_alu instid0(SALU_CYCLE_1)
	s_and_not1_b32 vcc_lo, exec_lo, s36
	s_cbranch_vccnz .LBB55_552
; %bb.547:
	global_load_u8 v7, v[4:5], off
	s_mov_b32 s37, 0
	s_mov_b32 s4, exec_lo
	s_wait_loadcnt 0x0
	v_cmpx_lt_i16_e32 0x7f, v7
	s_xor_b32 s36, exec_lo, s4
	s_cbranch_execz .LBB55_564
; %bb.548:
	v_cmp_ne_u16_e32 vcc_lo, 0x80, v7
	s_and_b32 s37, vcc_lo, exec_lo
	s_and_not1_saveexec_b32 s36, s36
	s_cbranch_execnz .LBB55_565
.LBB55_549:
	s_or_b32 exec_lo, exec_lo, s36
	v_mov_b32_e32 v10, 0
	s_and_saveexec_b32 s36, s37
	s_cbranch_execz .LBB55_551
.LBB55_550:
	v_and_b32_e32 v9, 0xffff, v7
	s_delay_alu instid0(VALU_DEP_1) | instskip(SKIP_1) | instid1(VALU_DEP_2)
	v_and_b32_e32 v10, 7, v9
	v_bfe_u32 v13, v9, 3, 4
	v_clz_i32_u32_e32 v11, v10
	s_delay_alu instid0(VALU_DEP_2) | instskip(NEXT) | instid1(VALU_DEP_2)
	v_cmp_eq_u32_e32 vcc_lo, 0, v13
	v_min_u32_e32 v11, 32, v11
	s_delay_alu instid0(VALU_DEP_1) | instskip(NEXT) | instid1(VALU_DEP_1)
	v_subrev_nc_u32_e32 v12, 28, v11
	v_dual_lshlrev_b32 v9, v12, v9 :: v_dual_sub_nc_u32 v11, 29, v11
	s_delay_alu instid0(VALU_DEP_1) | instskip(NEXT) | instid1(VALU_DEP_1)
	v_dual_lshlrev_b32 v7, 24, v7 :: v_dual_bitop2_b32 v9, 7, v9 bitop3:0x40
	v_dual_cndmask_b32 v9, v10, v9, vcc_lo :: v_dual_cndmask_b32 v11, v13, v11, vcc_lo
	s_delay_alu instid0(VALU_DEP_2) | instskip(NEXT) | instid1(VALU_DEP_2)
	v_and_b32_e32 v7, 0x80000000, v7
	v_lshlrev_b32_e32 v9, 20, v9
	s_delay_alu instid0(VALU_DEP_3) | instskip(NEXT) | instid1(VALU_DEP_1)
	v_lshl_add_u32 v10, v11, 23, 0x3b800000
	v_or3_b32 v7, v7, v10, v9
	s_delay_alu instid0(VALU_DEP_1)
	v_cvt_i32_f32_e32 v10, v7
.LBB55_551:
	s_or_b32 exec_lo, exec_lo, s36
.LBB55_552:
	s_mov_b32 s49, -1
.LBB55_553:
	s_mov_b32 s36, 0
.LBB55_554:
	s_delay_alu instid0(SALU_CYCLE_1)
	s_and_b32 vcc_lo, exec_lo, s36
	s_cbranch_vccz .LBB55_587
; %bb.555:
	s_cmp_gt_i32 s45, 22
	s_cbranch_scc0 .LBB55_563
; %bb.556:
	s_cmp_lt_i32 s45, 24
	s_cbranch_scc1 .LBB55_566
; %bb.557:
	s_cmp_gt_i32 s45, 24
	s_cbranch_scc0 .LBB55_567
; %bb.558:
	global_load_u8 v7, v[4:5], off
	s_mov_b32 s37, 0
	s_mov_b32 s4, exec_lo
	s_wait_loadcnt 0x0
	v_cmpx_lt_i16_e32 0x7f, v7
	s_xor_b32 s36, exec_lo, s4
	s_cbranch_execz .LBB55_579
; %bb.559:
	v_cmp_ne_u16_e32 vcc_lo, 0x80, v7
	s_and_b32 s37, vcc_lo, exec_lo
	s_and_not1_saveexec_b32 s36, s36
	s_cbranch_execnz .LBB55_580
.LBB55_560:
	s_or_b32 exec_lo, exec_lo, s36
	v_mov_b32_e32 v10, 0
	s_and_saveexec_b32 s36, s37
	s_cbranch_execz .LBB55_562
.LBB55_561:
	v_and_b32_e32 v9, 0xffff, v7
	s_delay_alu instid0(VALU_DEP_1) | instskip(SKIP_1) | instid1(VALU_DEP_2)
	v_and_b32_e32 v10, 3, v9
	v_bfe_u32 v13, v9, 2, 5
	v_clz_i32_u32_e32 v11, v10
	s_delay_alu instid0(VALU_DEP_2) | instskip(NEXT) | instid1(VALU_DEP_2)
	v_cmp_eq_u32_e32 vcc_lo, 0, v13
	v_min_u32_e32 v11, 32, v11
	s_delay_alu instid0(VALU_DEP_1) | instskip(NEXT) | instid1(VALU_DEP_1)
	v_subrev_nc_u32_e32 v12, 29, v11
	v_dual_lshlrev_b32 v9, v12, v9 :: v_dual_sub_nc_u32 v11, 30, v11
	s_delay_alu instid0(VALU_DEP_1) | instskip(NEXT) | instid1(VALU_DEP_1)
	v_dual_lshlrev_b32 v7, 24, v7 :: v_dual_bitop2_b32 v9, 3, v9 bitop3:0x40
	v_dual_cndmask_b32 v9, v10, v9, vcc_lo :: v_dual_cndmask_b32 v11, v13, v11, vcc_lo
	s_delay_alu instid0(VALU_DEP_2) | instskip(NEXT) | instid1(VALU_DEP_2)
	v_and_b32_e32 v7, 0x80000000, v7
	v_lshlrev_b32_e32 v9, 21, v9
	s_delay_alu instid0(VALU_DEP_3) | instskip(NEXT) | instid1(VALU_DEP_1)
	v_lshl_add_u32 v10, v11, 23, 0x37800000
	v_or3_b32 v7, v7, v10, v9
	s_delay_alu instid0(VALU_DEP_1)
	v_cvt_i32_f32_e32 v10, v7
.LBB55_562:
	s_or_b32 exec_lo, exec_lo, s36
	s_mov_b32 s36, 0
	s_branch .LBB55_568
.LBB55_563:
	s_mov_b32 s36, -1
                                        ; implicit-def: $vgpr10
	s_branch .LBB55_574
.LBB55_564:
	s_and_not1_saveexec_b32 s36, s36
	s_cbranch_execz .LBB55_549
.LBB55_565:
	v_cmp_ne_u16_e32 vcc_lo, 0, v7
	s_and_not1_b32 s4, s37, exec_lo
	s_and_b32 s5, vcc_lo, exec_lo
	s_delay_alu instid0(SALU_CYCLE_1)
	s_or_b32 s37, s4, s5
	s_or_b32 exec_lo, exec_lo, s36
	v_mov_b32_e32 v10, 0
	s_and_saveexec_b32 s36, s37
	s_cbranch_execnz .LBB55_550
	s_branch .LBB55_551
.LBB55_566:
	s_mov_b32 s36, -1
                                        ; implicit-def: $vgpr10
	s_branch .LBB55_571
.LBB55_567:
	s_mov_b32 s36, -1
                                        ; implicit-def: $vgpr10
.LBB55_568:
	s_delay_alu instid0(SALU_CYCLE_1)
	s_and_b32 vcc_lo, exec_lo, s36
	s_cbranch_vccz .LBB55_570
; %bb.569:
	global_load_u8 v7, v[4:5], off
	s_wait_loadcnt 0x0
	v_lshlrev_b32_e32 v7, 24, v7
	s_delay_alu instid0(VALU_DEP_1) | instskip(NEXT) | instid1(VALU_DEP_1)
	v_and_b32_e32 v9, 0x7f000000, v7
	v_clz_i32_u32_e32 v10, v9
	v_cmp_ne_u32_e32 vcc_lo, 0, v9
	v_add_nc_u32_e32 v12, 0x1000000, v9
	s_delay_alu instid0(VALU_DEP_3) | instskip(NEXT) | instid1(VALU_DEP_1)
	v_min_u32_e32 v10, 32, v10
	v_sub_nc_u32_e64 v10, v10, 4 clamp
	s_delay_alu instid0(VALU_DEP_1) | instskip(NEXT) | instid1(VALU_DEP_1)
	v_dual_lshlrev_b32 v11, v10, v9 :: v_dual_lshlrev_b32 v10, 23, v10
	v_lshrrev_b32_e32 v11, 4, v11
	s_delay_alu instid0(VALU_DEP_1) | instskip(NEXT) | instid1(VALU_DEP_1)
	v_dual_sub_nc_u32 v10, v11, v10 :: v_dual_ashrrev_i32 v11, 8, v12
	v_add_nc_u32_e32 v10, 0x3c000000, v10
	s_delay_alu instid0(VALU_DEP_1) | instskip(NEXT) | instid1(VALU_DEP_1)
	v_and_or_b32 v10, 0x7f800000, v11, v10
	v_cndmask_b32_e32 v9, 0, v10, vcc_lo
	s_delay_alu instid0(VALU_DEP_1) | instskip(NEXT) | instid1(VALU_DEP_1)
	v_and_or_b32 v7, 0x80000000, v7, v9
	v_cvt_i32_f32_e32 v10, v7
.LBB55_570:
	s_mov_b32 s36, 0
.LBB55_571:
	s_delay_alu instid0(SALU_CYCLE_1)
	s_and_not1_b32 vcc_lo, exec_lo, s36
	s_cbranch_vccnz .LBB55_573
; %bb.572:
	global_load_u8 v7, v[4:5], off
	s_wait_loadcnt 0x0
	v_lshlrev_b32_e32 v9, 25, v7
	v_lshlrev_b16 v7, 8, v7
	s_delay_alu instid0(VALU_DEP_1) | instskip(NEXT) | instid1(VALU_DEP_3)
	v_and_or_b32 v11, 0x7f00, v7, 0.5
	v_lshrrev_b32_e32 v10, 4, v9
	v_bfe_i32 v7, v7, 0, 16
	s_delay_alu instid0(VALU_DEP_3) | instskip(NEXT) | instid1(VALU_DEP_3)
	v_add_f32_e32 v11, -0.5, v11
	v_or_b32_e32 v10, 0x70000000, v10
	s_delay_alu instid0(VALU_DEP_1) | instskip(SKIP_1) | instid1(VALU_DEP_2)
	v_mul_f32_e32 v10, 0x7800000, v10
	v_cmp_gt_u32_e32 vcc_lo, 0x8000000, v9
	v_cndmask_b32_e32 v9, v10, v11, vcc_lo
	s_delay_alu instid0(VALU_DEP_1) | instskip(NEXT) | instid1(VALU_DEP_1)
	v_and_or_b32 v7, 0x80000000, v7, v9
	v_cvt_i32_f32_e32 v10, v7
.LBB55_573:
	s_mov_b32 s36, 0
	s_mov_b32 s49, -1
.LBB55_574:
	s_and_not1_b32 vcc_lo, exec_lo, s36
	s_cbranch_vccnz .LBB55_587
; %bb.575:
	s_cmp_gt_i32 s45, 14
	s_cbranch_scc0 .LBB55_578
; %bb.576:
	s_cmp_eq_u32 s45, 15
	s_cbranch_scc0 .LBB55_581
; %bb.577:
	global_load_u16 v7, v[4:5], off
	s_mov_b32 s49, -1
	s_mov_b32 s74, 0
	s_wait_loadcnt 0x0
	v_lshlrev_b32_e32 v7, 16, v7
	s_delay_alu instid0(VALU_DEP_1)
	v_cvt_i32_f32_e32 v10, v7
	s_branch .LBB55_582
.LBB55_578:
	s_mov_b32 s36, -1
                                        ; implicit-def: $vgpr10
	s_branch .LBB55_583
.LBB55_579:
	s_and_not1_saveexec_b32 s36, s36
	s_cbranch_execz .LBB55_560
.LBB55_580:
	v_cmp_ne_u16_e32 vcc_lo, 0, v7
	s_and_not1_b32 s4, s37, exec_lo
	s_and_b32 s5, vcc_lo, exec_lo
	s_delay_alu instid0(SALU_CYCLE_1)
	s_or_b32 s37, s4, s5
	s_or_b32 exec_lo, exec_lo, s36
	v_mov_b32_e32 v10, 0
	s_and_saveexec_b32 s36, s37
	s_cbranch_execnz .LBB55_561
	s_branch .LBB55_562
.LBB55_581:
	s_mov_b32 s74, -1
                                        ; implicit-def: $vgpr10
.LBB55_582:
	s_mov_b32 s36, 0
.LBB55_583:
	s_delay_alu instid0(SALU_CYCLE_1)
	s_and_b32 vcc_lo, exec_lo, s36
	s_cbranch_vccz .LBB55_587
; %bb.584:
	s_cmp_eq_u32 s45, 11
	s_cbranch_scc0 .LBB55_586
; %bb.585:
	global_load_u8 v7, v[4:5], off
	s_mov_b32 s74, 0
	s_mov_b32 s49, -1
	s_wait_loadcnt 0x0
	v_cmp_ne_u16_e32 vcc_lo, 0, v7
	v_cndmask_b32_e64 v10, 0, 1, vcc_lo
	s_branch .LBB55_587
.LBB55_586:
	s_mov_b32 s74, -1
                                        ; implicit-def: $vgpr10
.LBB55_587:
	s_mov_b32 s36, 0
.LBB55_588:
	s_delay_alu instid0(SALU_CYCLE_1)
	s_and_b32 vcc_lo, exec_lo, s36
	s_cbranch_vccz .LBB55_637
; %bb.589:
	s_and_b32 s0, 0xffff, s0
	s_delay_alu instid0(SALU_CYCLE_1)
	s_cmp_lt_i32 s0, 5
	s_cbranch_scc1 .LBB55_594
; %bb.590:
	s_cmp_lt_i32 s0, 8
	s_cbranch_scc1 .LBB55_595
; %bb.591:
	;; [unrolled: 3-line block ×3, first 2 shown]
	s_cmp_gt_i32 s0, 9
	s_cbranch_scc0 .LBB55_597
; %bb.593:
	s_wait_loadcnt 0x0
	global_load_b64 v[10:11], v[4:5], off
	s_mov_b32 s36, 0
	s_wait_loadcnt 0x0
	v_cvt_i32_f64_e32 v10, v[10:11]
	s_branch .LBB55_598
.LBB55_594:
	s_mov_b32 s36, -1
                                        ; implicit-def: $vgpr10
	s_branch .LBB55_616
.LBB55_595:
	s_mov_b32 s36, -1
                                        ; implicit-def: $vgpr10
	s_branch .LBB55_604
.LBB55_596:
	s_mov_b32 s36, -1
                                        ; implicit-def: $vgpr10
	s_branch .LBB55_601
.LBB55_597:
	s_mov_b32 s36, -1
                                        ; implicit-def: $vgpr10
.LBB55_598:
	s_delay_alu instid0(SALU_CYCLE_1)
	s_and_not1_b32 vcc_lo, exec_lo, s36
	s_cbranch_vccnz .LBB55_600
; %bb.599:
	global_load_b32 v7, v[4:5], off
	s_wait_loadcnt 0x0
	v_cvt_i32_f32_e32 v10, v7
.LBB55_600:
	s_mov_b32 s36, 0
.LBB55_601:
	s_delay_alu instid0(SALU_CYCLE_1)
	s_and_not1_b32 vcc_lo, exec_lo, s36
	s_cbranch_vccnz .LBB55_603
; %bb.602:
	global_load_b32 v7, v[4:5], off
	s_wait_loadcnt 0x0
	v_cvt_f32_f16_e32 v7, v7
	s_delay_alu instid0(VALU_DEP_1)
	v_cvt_i32_f32_e32 v10, v7
.LBB55_603:
	s_mov_b32 s36, 0
.LBB55_604:
	s_delay_alu instid0(SALU_CYCLE_1)
	s_and_not1_b32 vcc_lo, exec_lo, s36
	s_cbranch_vccnz .LBB55_615
; %bb.605:
	s_cmp_lt_i32 s0, 6
	s_cbranch_scc1 .LBB55_608
; %bb.606:
	s_cmp_gt_i32 s0, 6
	s_cbranch_scc0 .LBB55_609
; %bb.607:
	s_wait_loadcnt 0x0
	global_load_b64 v[10:11], v[4:5], off
	s_mov_b32 s36, 0
	s_wait_loadcnt 0x0
	v_cvt_i32_f64_e32 v10, v[10:11]
	s_branch .LBB55_610
.LBB55_608:
	s_mov_b32 s36, -1
                                        ; implicit-def: $vgpr10
	s_branch .LBB55_613
.LBB55_609:
	s_mov_b32 s36, -1
                                        ; implicit-def: $vgpr10
.LBB55_610:
	s_delay_alu instid0(SALU_CYCLE_1)
	s_and_not1_b32 vcc_lo, exec_lo, s36
	s_cbranch_vccnz .LBB55_612
; %bb.611:
	global_load_b32 v7, v[4:5], off
	s_wait_loadcnt 0x0
	v_cvt_i32_f32_e32 v10, v7
.LBB55_612:
	s_mov_b32 s36, 0
.LBB55_613:
	s_delay_alu instid0(SALU_CYCLE_1)
	s_and_not1_b32 vcc_lo, exec_lo, s36
	s_cbranch_vccnz .LBB55_615
; %bb.614:
	global_load_u16 v7, v[4:5], off
	s_wait_loadcnt 0x0
	v_cvt_f32_f16_e32 v7, v7
	s_delay_alu instid0(VALU_DEP_1)
	v_cvt_i32_f32_e32 v10, v7
.LBB55_615:
	s_mov_b32 s36, 0
.LBB55_616:
	s_delay_alu instid0(SALU_CYCLE_1)
	s_and_not1_b32 vcc_lo, exec_lo, s36
	s_cbranch_vccnz .LBB55_636
; %bb.617:
	s_cmp_lt_i32 s0, 2
	s_cbranch_scc1 .LBB55_621
; %bb.618:
	s_cmp_lt_i32 s0, 3
	s_cbranch_scc1 .LBB55_622
; %bb.619:
	s_cmp_gt_i32 s0, 3
	s_cbranch_scc0 .LBB55_623
; %bb.620:
	s_wait_loadcnt 0x0
	global_load_b32 v10, v[4:5], off
	s_mov_b32 s36, 0
	s_branch .LBB55_624
.LBB55_621:
	s_mov_b32 s36, -1
                                        ; implicit-def: $vgpr10
	s_branch .LBB55_630
.LBB55_622:
	s_mov_b32 s36, -1
                                        ; implicit-def: $vgpr10
	s_branch .LBB55_627
.LBB55_623:
	s_mov_b32 s36, -1
                                        ; implicit-def: $vgpr10
.LBB55_624:
	s_delay_alu instid0(SALU_CYCLE_1)
	s_and_not1_b32 vcc_lo, exec_lo, s36
	s_cbranch_vccnz .LBB55_626
; %bb.625:
	s_wait_loadcnt 0x0
	global_load_b32 v10, v[4:5], off
.LBB55_626:
	s_mov_b32 s36, 0
.LBB55_627:
	s_delay_alu instid0(SALU_CYCLE_1)
	s_and_not1_b32 vcc_lo, exec_lo, s36
	s_cbranch_vccnz .LBB55_629
; %bb.628:
	s_wait_loadcnt 0x0
	global_load_i16 v10, v[4:5], off
.LBB55_629:
	s_mov_b32 s36, 0
.LBB55_630:
	s_delay_alu instid0(SALU_CYCLE_1)
	s_and_not1_b32 vcc_lo, exec_lo, s36
	s_cbranch_vccnz .LBB55_636
; %bb.631:
	s_cmp_gt_i32 s0, 0
	s_mov_b32 s0, 0
	s_cbranch_scc0 .LBB55_633
; %bb.632:
	s_wait_loadcnt 0x0
	global_load_i8 v10, v[4:5], off
	s_branch .LBB55_634
.LBB55_633:
	s_mov_b32 s0, -1
                                        ; implicit-def: $vgpr10
.LBB55_634:
	s_delay_alu instid0(SALU_CYCLE_1)
	s_and_not1_b32 vcc_lo, exec_lo, s0
	s_cbranch_vccnz .LBB55_636
; %bb.635:
	s_wait_loadcnt 0x0
	global_load_u8 v10, v[4:5], off
.LBB55_636:
	s_mov_b32 s49, -1
.LBB55_637:
	s_delay_alu instid0(SALU_CYCLE_1)
	s_and_not1_b32 vcc_lo, exec_lo, s49
	s_cbranch_vccnz .LBB55_648
; %bb.638:
	s_wait_loadcnt 0x0
	v_cmp_eq_u32_e32 vcc_lo, s79, v1
	s_mov_b32 s36, -1
	s_mov_b32 s0, 0
	s_mov_b32 s37, 0
	;; [unrolled: 1-line block ×3, first 2 shown]
	s_and_b32 s4, s17, vcc_lo
	s_mov_b32 s39, 0
	s_mov_b32 s49, 0
	s_and_saveexec_b32 s45, s4
	s_cbranch_execz .LBB55_4033
; %bb.639:
	v_cmp_eq_u32_e32 vcc_lo, s14, v3
	s_and_b32 s4, s51, vcc_lo
	s_delay_alu instid0(SALU_CYCLE_1)
	s_and_saveexec_b32 s84, s4
	s_cbranch_execz .LBB55_1958
; %bb.640:
	v_sub_nc_u32_e32 v1, v6, v8
	s_mov_b32 s38, -1
	s_delay_alu instid0(VALU_DEP_1) | instskip(SKIP_4) | instid1(SALU_CYCLE_1)
	v_cmp_le_i32_e32 vcc_lo, s79, v1
	v_cmp_ge_i32_e64 s0, s12, v1
	s_and_b32 s4, vcc_lo, s0
	s_mov_b32 s0, 0
	s_and_b32 s4, s78, s4
	s_and_saveexec_b32 s85, s4
	s_cbranch_execz .LBB55_1957
; %bb.641:
	v_mov_b64_e32 v[4:5], 0
	s_and_not1_b32 vcc_lo, exec_lo, s77
	s_cbranch_vccnz .LBB55_689
; %bb.642:
	v_ashrrev_i32_e32 v11, 31, v10
	s_mov_b32 s57, 0
	v_mov_b64_e32 v[4:5], 0
	s_mov_b32 s49, s57
	s_mov_b64 s[58:59], 0xffffffff
	v_mul_u64_e32 v[12:13], s[14:15], v[10:11]
	v_mov_b32_e32 v10, 0
	s_lshl_b64 s[4:5], s[48:49], 3
	s_mov_b32 s49, s16
	s_add_nc_u64 s[60:61], s[18:19], s[4:5]
	s_add_nc_u64 s[62:63], s[40:41], s[4:5]
	s_branch .LBB55_644
.LBB55_643:                             ;   in Loop: Header=BB55_644 Depth=1
	s_or_b32 exec_lo, exec_lo, s0
	s_delay_alu instid0(VALU_DEP_1)
	v_mul_u64_e32 v[16:17], s[64:65], v[14:15]
	s_load_b64 s[4:5], s[62:63], 0x0
	s_add_co_i32 s49, s49, -1
	s_add_nc_u64 s[60:61], s[60:61], -8
	s_cmp_eq_u32 s49, 0
	s_wait_xcnt 0x0
	s_add_nc_u64 s[62:63], s[62:63], -8
	s_delay_alu instid0(VALU_DEP_1) | instskip(SKIP_1) | instid1(VALU_DEP_1)
	v_sub_nc_u64_e32 v[12:13], v[12:13], v[16:17]
	s_wait_kmcnt 0x0
	v_mad_nc_u64_u32 v[4:5], v12, s4, v[4:5]
	s_delay_alu instid0(VALU_DEP_1) | instskip(NEXT) | instid1(VALU_DEP_1)
	v_mad_u32 v1, v13, s4, v5
	v_mad_u32 v5, v12, s5, v1
	v_mov_b64_e32 v[12:13], v[14:15]
	s_cbranch_scc1 .LBB55_689
.LBB55_644:                             ; =>This Inner Loop Header: Depth=1
	s_load_b64 s[64:65], s[60:61], 0x0
                                        ; implicit-def: $vgpr14_vgpr15
	s_mov_b32 s0, exec_lo
	s_wait_kmcnt 0x0
	s_delay_alu instid0(VALU_DEP_1) | instskip(NEXT) | instid1(VALU_DEP_1)
	v_or_b32_e32 v11, s65, v13
	v_cmpx_ne_u64_e32 0, v[10:11]
	s_xor_b32 s36, exec_lo, s0
	s_cbranch_execz .LBB55_646
; %bb.645:                              ;   in Loop: Header=BB55_644 Depth=1
	s_ashr_i32 s66, s65, 31
	v_dual_mov_b32 v19, v10 :: v_dual_ashrrev_i32 v14, 31, v13
	s_mov_b32 s67, s66
	v_mov_b32_e32 v27, v10
	s_add_nc_u64 s[4:5], s[64:65], s[66:67]
	s_delay_alu instid0(VALU_DEP_2) | instskip(SKIP_1) | instid1(SALU_CYCLE_1)
	v_mov_b32_e32 v15, v14
	s_xor_b64 s[68:69], s[4:5], s[66:67]
	s_cvt_f32_u32 s0, s68
	s_cvt_f32_u32 s4, s69
	s_sub_nc_u64 s[6:7], 0, s[68:69]
	v_add_nc_u64_e32 v[16:17], v[12:13], v[14:15]
	v_mov_b32_e32 v23, v10
	s_fmamk_f32 s0, s4, 0x4f800000, s0
	s_delay_alu instid0(SALU_CYCLE_3) | instskip(NEXT) | instid1(VALU_DEP_2)
	v_s_rcp_f32 s0, s0
	v_xor_b32_e32 v18, v16, v14
	s_delay_alu instid0(VALU_DEP_3) | instskip(NEXT) | instid1(TRANS32_DEP_1)
	v_xor_b32_e32 v22, v17, v14
	s_mul_f32 s0, s0, 0x5f7ffffc
	s_delay_alu instid0(SALU_CYCLE_3) | instskip(NEXT) | instid1(SALU_CYCLE_3)
	s_mul_f32 s4, s0, 0x2f800000
	s_trunc_f32 s4, s4
	s_delay_alu instid0(SALU_CYCLE_3) | instskip(SKIP_1) | instid1(SALU_CYCLE_2)
	s_fmamk_f32 s0, s4, 0xcf800000, s0
	s_cvt_u32_f32 s5, s4
	s_cvt_u32_f32 s4, s0
	s_delay_alu instid0(SALU_CYCLE_3) | instskip(NEXT) | instid1(SALU_CYCLE_1)
	s_mul_u64 s[8:9], s[6:7], s[4:5]
	s_mul_hi_u32 s11, s4, s9
	s_mul_i32 s10, s4, s9
	s_mul_hi_u32 s56, s4, s8
	s_mul_i32 s37, s5, s8
	s_add_nc_u64 s[10:11], s[56:57], s[10:11]
	s_mul_hi_u32 s0, s5, s8
	s_mul_hi_u32 s38, s5, s9
	s_mul_i32 s8, s5, s9
	s_add_co_u32 s9, s10, s37
	s_add_co_ci_u32 s56, s11, s0
	s_add_co_ci_u32 s9, s38, 0
	s_delay_alu instid0(SALU_CYCLE_1) | instskip(NEXT) | instid1(SALU_CYCLE_1)
	s_add_nc_u64 s[8:9], s[56:57], s[8:9]
	s_add_co_u32 s4, s4, s8
	s_cselect_b32 s0, -1, 0
	s_delay_alu instid0(SALU_CYCLE_1) | instskip(SKIP_1) | instid1(SALU_CYCLE_1)
	s_cmp_lg_u32 s0, 0
	s_add_co_ci_u32 s5, s5, s9
	s_mul_u64 s[6:7], s[6:7], s[4:5]
	s_delay_alu instid0(SALU_CYCLE_1)
	s_mul_hi_u32 s9, s4, s7
	s_mul_i32 s8, s4, s7
	s_mul_hi_u32 s56, s4, s6
	s_mul_i32 s10, s5, s6
	s_add_nc_u64 s[8:9], s[56:57], s[8:9]
	s_mul_hi_u32 s0, s5, s6
	s_mul_hi_u32 s11, s5, s7
	s_mul_i32 s6, s5, s7
	s_add_co_u32 s7, s8, s10
	s_add_co_ci_u32 s56, s9, s0
	s_add_co_ci_u32 s7, s11, 0
	s_delay_alu instid0(SALU_CYCLE_1) | instskip(NEXT) | instid1(SALU_CYCLE_1)
	s_add_nc_u64 s[6:7], s[56:57], s[6:7]
	s_add_co_u32 s0, s4, s6
	s_cselect_b32 s4, -1, 0
	v_mul_hi_u32 v26, v18, s0
	s_cmp_lg_u32 s4, 0
	s_add_co_ci_u32 s56, s5, s7
	s_and_b64 s[4:5], s[0:1], s[58:59]
	v_mul_u64_e32 v[20:21], s[56:57], v[18:19]
	v_mul_u64_e32 v[16:17], s[4:5], v[22:23]
	;; [unrolled: 1-line block ×3, first 2 shown]
	s_delay_alu instid0(VALU_DEP_3) | instskip(NEXT) | instid1(VALU_DEP_1)
	v_add_nc_u64_e32 v[20:21], v[26:27], v[20:21]
	v_add_co_u32 v1, vcc_lo, v20, v16
	s_delay_alu instid0(VALU_DEP_2) | instskip(NEXT) | instid1(VALU_DEP_4)
	v_add_co_ci_u32_e32 v26, vcc_lo, v21, v17, vcc_lo
	v_add_co_ci_u32_e32 v25, vcc_lo, 0, v25, vcc_lo
	s_delay_alu instid0(VALU_DEP_1) | instskip(NEXT) | instid1(VALU_DEP_1)
	v_add_nc_u64_e32 v[16:17], v[26:27], v[24:25]
	v_mul_u64_e32 v[20:21], s[68:69], v[16:17]
	s_delay_alu instid0(VALU_DEP_1) | instskip(NEXT) | instid1(VALU_DEP_2)
	v_sub_nc_u32_e32 v1, v22, v21
	v_sub_co_u32 v3, vcc_lo, v18, v20
	s_delay_alu instid0(VALU_DEP_1) | instskip(NEXT) | instid1(VALU_DEP_3)
	v_sub_co_ci_u32_e64 v9, null, v22, v21, vcc_lo
	v_subrev_co_ci_u32_e64 v1, null, s69, v1, vcc_lo
	s_delay_alu instid0(VALU_DEP_3) | instskip(SKIP_1) | instid1(VALU_DEP_3)
	v_sub_co_u32 v7, s0, v3, s68
	v_add_nc_u64_e32 v[18:19], 2, v[16:17]
	v_subrev_co_ci_u32_e64 v1, null, 0, v1, s0
	s_delay_alu instid0(VALU_DEP_3) | instskip(SKIP_2) | instid1(VALU_DEP_4)
	v_cmp_le_u32_e32 vcc_lo, s68, v7
	v_add_nc_u64_e32 v[20:21], 1, v[16:17]
	v_cndmask_b32_e64 v7, 0, -1, vcc_lo
	v_cmp_le_u32_e32 vcc_lo, s69, v1
	v_cndmask_b32_e64 v11, 0, -1, vcc_lo
	v_cmp_le_u32_e32 vcc_lo, s68, v3
	;; [unrolled: 2-line block ×3, first 2 shown]
	v_cndmask_b32_e64 v15, 0, -1, vcc_lo
	v_cmp_eq_u32_e32 vcc_lo, s69, v1
	v_cndmask_b32_e32 v1, v11, v7, vcc_lo
	v_cmp_eq_u32_e32 vcc_lo, s69, v9
	s_delay_alu instid0(VALU_DEP_4) | instskip(NEXT) | instid1(VALU_DEP_3)
	v_cndmask_b32_e32 v3, v15, v3, vcc_lo
	v_cmp_ne_u32_e32 vcc_lo, 0, v1
	s_delay_alu instid0(VALU_DEP_2) | instskip(SKIP_1) | instid1(VALU_DEP_1)
	v_cmp_ne_u32_e64 s0, 0, v3
	v_dual_cndmask_b32 v1, v21, v19, vcc_lo :: v_dual_cndmask_b32 v3, v20, v18, vcc_lo
	v_dual_cndmask_b32 v1, v17, v1, s0 :: v_dual_bitop2_b32 v14, s66, v14 bitop3:0x14
	s_delay_alu instid0(VALU_DEP_1) | instskip(NEXT) | instid1(VALU_DEP_2)
	v_dual_cndmask_b32 v3, v16, v3, s0 :: v_dual_mov_b32 v15, v14
	v_xor_b32_e32 v17, v1, v14
	s_delay_alu instid0(VALU_DEP_2) | instskip(NEXT) | instid1(VALU_DEP_1)
	v_xor_b32_e32 v16, v3, v14
	v_sub_nc_u64_e32 v[14:15], v[16:17], v[14:15]
.LBB55_646:                             ;   in Loop: Header=BB55_644 Depth=1
	s_and_not1_saveexec_b32 s0, s36
	s_cbranch_execz .LBB55_643
; %bb.647:                              ;   in Loop: Header=BB55_644 Depth=1
	v_cvt_f32_u32_e32 v1, s64
	s_sub_co_i32 s4, 0, s64
	v_mov_b32_e32 v15, v10
	s_delay_alu instid0(VALU_DEP_2) | instskip(SKIP_1) | instid1(TRANS32_DEP_1)
	v_rcp_iflag_f32_e32 v1, v1
	v_nop
	v_mul_f32_e32 v1, 0x4f7ffffe, v1
	s_delay_alu instid0(VALU_DEP_1) | instskip(NEXT) | instid1(VALU_DEP_1)
	v_cvt_u32_f32_e32 v1, v1
	v_mul_lo_u32 v3, s4, v1
	s_delay_alu instid0(VALU_DEP_1) | instskip(NEXT) | instid1(VALU_DEP_1)
	v_mul_hi_u32 v3, v1, v3
	v_add_nc_u32_e32 v1, v1, v3
	s_delay_alu instid0(VALU_DEP_1) | instskip(NEXT) | instid1(VALU_DEP_1)
	v_mul_hi_u32 v1, v12, v1
	v_mul_lo_u32 v3, v1, s64
	s_delay_alu instid0(VALU_DEP_1) | instskip(NEXT) | instid1(VALU_DEP_1)
	v_dual_add_nc_u32 v7, 1, v1 :: v_dual_sub_nc_u32 v3, v12, v3
	v_subrev_nc_u32_e32 v9, s64, v3
	v_cmp_le_u32_e32 vcc_lo, s64, v3
	s_delay_alu instid0(VALU_DEP_2) | instskip(NEXT) | instid1(VALU_DEP_1)
	v_dual_cndmask_b32 v3, v3, v9, vcc_lo :: v_dual_cndmask_b32 v1, v1, v7, vcc_lo
	v_cmp_le_u32_e32 vcc_lo, s64, v3
	s_delay_alu instid0(VALU_DEP_2) | instskip(NEXT) | instid1(VALU_DEP_1)
	v_add_nc_u32_e32 v7, 1, v1
	v_cndmask_b32_e32 v14, v1, v7, vcc_lo
	s_branch .LBB55_643
.LBB55_648:
	s_mov_b32 s0, 0
	s_mov_b32 s36, 0
	;; [unrolled: 1-line block ×6, first 2 shown]
.LBB55_649:
                                        ; implicit-def: $vgpr0
.LBB55_650:
	s_delay_alu instid0(SALU_CYCLE_1)
	s_and_b32 s45, s49, exec_lo
	s_and_b32 s68, s39, exec_lo
	;; [unrolled: 1-line block ×10, first 2 shown]
	s_or_not1_b32 s29, s0, exec_lo
.LBB55_651:
	s_wait_xcnt 0x0
	s_or_b32 exec_lo, exec_lo, s91
	s_mov_b32 s30, 0
	s_mov_b32 s28, 0
                                        ; implicit-def: $sgpr0
                                        ; implicit-def: $vgpr12_vgpr13
                                        ; implicit-def: $vgpr2
                                        ; implicit-def: $vgpr8
                                        ; implicit-def: $vgpr10
                                        ; implicit-def: $vgpr4
                                        ; implicit-def: $vgpr6
                                        ; implicit-def: $vgpr3
	s_and_saveexec_b32 s91, s29
	s_cbranch_execz .LBB55_659
; %bb.652:
	s_mov_b32 s28, -1
	s_mov_b32 s92, s90
	s_mov_b32 s94, s89
	;; [unrolled: 1-line block ×10, first 2 shown]
	s_mov_b32 s104, exec_lo
	v_cmpx_gt_i32_e64 s82, v0
	s_cbranch_execz .LBB55_1326
; %bb.653:
	s_and_not1_b32 vcc_lo, exec_lo, s72
	s_cbranch_vccnz .LBB55_662
; %bb.654:
	s_and_not1_b32 vcc_lo, exec_lo, s83
	s_cbranch_vccnz .LBB55_663
; %bb.655:
	s_wait_loadcnt 0x0
	v_dual_mov_b32 v6, 0 :: v_dual_mov_b32 v1, v0
	v_dual_mov_b32 v4, 0 :: v_dual_mov_b32 v10, 0
	;; [unrolled: 1-line block ×3, first 2 shown]
	v_mov_b32_e32 v12, 0
	s_add_co_i32 s0, s81, 1
	s_mov_b64 s[4:5], 0xffffffffffffffd0
	s_and_b32 s0, s0, 30
	s_add_nc_u64 s[56:57], s[2:3], s[4:5]
	s_mov_b64 s[58:59], s[2:3]
.LBB55_656:                             ; =>This Inner Loop Header: Depth=1
	s_clause 0x1
	s_load_b128 s[28:31], s[58:59], 0x4
	s_load_b64 s[4:5], s[58:59], 0x14
	s_clause 0x1
	s_load_b256 s[60:67], s[56:57], 0xf4
	s_load_b128 s[36:39], s[56:57], 0x114
	s_add_co_i32 s0, s0, -2
	s_wait_xcnt 0x0
	s_add_nc_u64 s[58:59], s[58:59], 24
	s_cmp_eq_u32 s0, 0
	s_add_nc_u64 s[56:57], s[56:57], 48
	s_wait_kmcnt 0x0
	v_mul_hi_u32 v3, s29, v1
	s_delay_alu instid0(VALU_DEP_1) | instskip(NEXT) | instid1(VALU_DEP_1)
	v_add_nc_u32_e32 v3, v1, v3
	v_lshrrev_b32_e32 v3, s30, v3
	s_delay_alu instid0(VALU_DEP_1) | instskip(SKIP_1) | instid1(VALU_DEP_1)
	v_mul_hi_u32 v5, s4, v3
	v_mul_lo_u32 v7, v3, s28
	v_dual_add_nc_u32 v5, v3, v5 :: v_dual_sub_nc_u32 v7, v1, v7
	s_delay_alu instid0(VALU_DEP_1) | instskip(NEXT) | instid1(VALU_DEP_2)
	v_lshrrev_b32_e32 v1, s5, v5
	v_mad_u32 v5, v7, s61, v12
	v_mad_u32 v2, v7, s60, v2
	;; [unrolled: 1-line block ×4, first 2 shown]
	v_mul_lo_u32 v9, v1, s31
	v_mad_u32 v4, s65, v7, v4
	v_mad_u32 v6, s64, v7, v6
	s_delay_alu instid0(VALU_DEP_3) | instskip(NEXT) | instid1(VALU_DEP_1)
	v_sub_nc_u32_e32 v3, v3, v9
	v_mad_u32 v12, v3, s67, v5
	v_mad_u32 v2, v3, s66, v2
	;; [unrolled: 1-line block ×6, first 2 shown]
	s_cbranch_scc0 .LBB55_656
; %bb.657:
	s_load_b128 s[8:11], s[2:3], 0xe4
	s_bitcmp1_b32 s81, 0
	s_mov_b64 s[26:27], s[22:23]
	s_cselect_b32 s0, -1, 0
	s_mov_b32 s24, s20
	s_and_b32 vcc_lo, exec_lo, s0
	s_cbranch_vccnz .LBB55_664
; %bb.658:
	s_load_b96 s[4:6], s[58:59], 0x4
	s_wait_kmcnt 0x0
	v_mul_hi_u32 v3, s5, v1
	s_delay_alu instid0(VALU_DEP_1) | instskip(NEXT) | instid1(VALU_DEP_1)
	v_add_nc_u32_e32 v3, v1, v3
	v_lshrrev_b32_e32 v3, s6, v3
	s_clause 0x1
	s_load_b128 s[28:31], s[56:57], 0xf4
	s_load_b64 s[6:7], s[56:57], 0x104
	s_delay_alu instid0(VALU_DEP_1) | instskip(NEXT) | instid1(VALU_DEP_1)
	v_mul_lo_u32 v3, v3, s4
	v_sub_nc_u32_e32 v1, v1, v3
	s_wait_kmcnt 0x0
	s_delay_alu instid0(VALU_DEP_1)
	v_mad_u32 v2, v1, s28, v2
	v_mad_u32 v12, v1, s29, v12
	;; [unrolled: 1-line block ×6, first 2 shown]
	s_branch .LBB55_664
.LBB55_659:
	s_or_b32 exec_lo, exec_lo, s91
	s_mov_b32 s1, 0
	s_and_saveexec_b32 s6, s90
	s_cbranch_execnz .LBB55_2192
.LBB55_660:
	s_or_b32 exec_lo, exec_lo, s6
	s_and_saveexec_b32 s4, s53
	s_delay_alu instid0(SALU_CYCLE_1)
	s_xor_b32 s6, exec_lo, s4
	s_cbranch_execz .LBB55_2193
.LBB55_661:
	global_load_u8 v0, v[12:13], off
	s_or_b32 s28, s28, exec_lo
	s_wait_loadcnt 0x0
	v_cmp_ne_u16_e32 vcc_lo, 0, v0
	v_cndmask_b32_e64 v3, 0, 1, vcc_lo
	s_wait_xcnt 0x0
	s_or_b32 exec_lo, exec_lo, s6
	s_and_saveexec_b32 s6, s30
	s_cbranch_execz .LBB55_2239
	s_branch .LBB55_2194
.LBB55_662:
	s_load_b128 s[8:11], s[2:3], 0xe4
                                        ; implicit-def: $vgpr12
                                        ; implicit-def: $vgpr2
                                        ; implicit-def: $vgpr8
                                        ; implicit-def: $vgpr10
                                        ; implicit-def: $vgpr4
                                        ; implicit-def: $vgpr6
	s_mov_b64 s[26:27], s[22:23]
	s_mov_b32 s24, s20
	s_branch .LBB55_665
.LBB55_663:
	s_load_b128 s[8:11], s[2:3], 0xe4
	v_dual_mov_b32 v12, 0 :: v_dual_mov_b32 v2, 0
	s_wait_loadcnt 0x0
	v_dual_mov_b32 v8, 0 :: v_dual_mov_b32 v10, 0
	v_dual_mov_b32 v4, 0 :: v_dual_mov_b32 v6, 0
	s_mov_b64 s[26:27], s[22:23]
	s_mov_b32 s24, s20
.LBB55_664:
	s_cbranch_execnz .LBB55_667
.LBB55_665:
	s_wait_loadcnt 0x0
	v_mov_b32_e32 v1, 0
	s_load_b256 s[60:67], s[2:3], 0xc4
	s_and_not1_b32 vcc_lo, exec_lo, s44
	s_delay_alu instid0(VALU_DEP_1) | instskip(NEXT) | instid1(VALU_DEP_1)
	v_mul_u64_e32 v[2:3], s[52:53], v[0:1]
	v_add_nc_u32_e32 v2, v0, v3
	s_delay_alu instid0(VALU_DEP_1) | instskip(NEXT) | instid1(VALU_DEP_1)
	v_lshrrev_b32_e32 v14, s26, v2
	v_mul_lo_u32 v2, v14, s24
	s_delay_alu instid0(VALU_DEP_1) | instskip(SKIP_1) | instid1(VALU_DEP_1)
	v_sub_nc_u32_e32 v3, v0, v2
	s_wait_kmcnt 0x0
	v_mul_lo_u32 v12, v3, s61
	v_mul_lo_u32 v2, v3, s60
	;; [unrolled: 1-line block ×6, first 2 shown]
	s_cbranch_vccnz .LBB55_667
; %bb.666:
	v_mov_b32_e32 v15, v1
	s_delay_alu instid0(VALU_DEP_1) | instskip(NEXT) | instid1(VALU_DEP_1)
	v_mul_u64_e32 v[16:17], s[54:55], v[14:15]
	v_add_nc_u32_e32 v1, v14, v17
	s_delay_alu instid0(VALU_DEP_1) | instskip(NEXT) | instid1(VALU_DEP_1)
	v_lshrrev_b32_e32 v1, s47, v1
	v_mul_lo_u32 v1, v1, s27
	s_delay_alu instid0(VALU_DEP_1) | instskip(NEXT) | instid1(VALU_DEP_1)
	v_sub_nc_u32_e32 v1, v14, v1
	v_mad_u32 v2, v1, s66, v2
	v_mad_u32 v12, v1, s67, v12
	;; [unrolled: 1-line block ×6, first 2 shown]
.LBB55_667:
	s_wait_kmcnt 0x0
	s_load_b256 s[4:11], s[2:3], 0x248
	v_mov_b32_e32 v13, 0
	s_and_b32 s0, s1, 0xff
	s_delay_alu instid0(SALU_CYCLE_1) | instskip(SKIP_1) | instid1(VALU_DEP_1)
	s_cmp_lt_i32 s0, 11
	s_wait_kmcnt 0x0
	v_add_nc_u64_e32 v[12:13], s[6:7], v[12:13]
	s_cbranch_scc1 .LBB55_674
; %bb.668:
	s_and_b32 s29, 0xffff, s0
	s_delay_alu instid0(SALU_CYCLE_1)
	s_cmp_gt_i32 s29, 25
	s_cbranch_scc0 .LBB55_683
; %bb.669:
	s_cmp_gt_i32 s29, 28
	s_cbranch_scc0 .LBB55_685
; %bb.670:
	;; [unrolled: 3-line block ×4, first 2 shown]
	s_cmp_eq_u32 s29, 46
	s_mov_b32 s31, 0
	s_cbranch_scc0 .LBB55_705
; %bb.673:
	s_wait_loadcnt 0x0
	global_load_b32 v1, v[12:13], off
	s_mov_b32 s30, -1
	s_mov_b32 s28, 0
	s_wait_loadcnt 0x0
	v_lshlrev_b32_e32 v1, 16, v1
	s_delay_alu instid0(VALU_DEP_1)
	v_cvt_i32_f32_e32 v1, v1
	s_branch .LBB55_707
.LBB55_674:
	s_mov_b32 s30, 0
	s_mov_b32 s28, s90
                                        ; implicit-def: $vgpr1
	s_cbranch_execnz .LBB55_769
.LBB55_675:
	s_and_not1_b32 vcc_lo, exec_lo, s30
	s_cbranch_vccnz .LBB55_817
.LBB55_676:
	s_load_b256 s[4:11], s[2:3], 0x248
	v_mov_b32_e32 v11, 0
	s_and_b32 s0, s75, 0xff
	s_delay_alu instid0(SALU_CYCLE_1)
	s_cmp_lt_i32 s0, 11
	s_wait_loadcnt 0x0
	s_wait_kmcnt 0x0
	v_add_nc_u64_e32 v[10:11], s[8:9], v[10:11]
	s_cbranch_scc1 .LBB55_684
; %bb.677:
	s_and_b32 s30, 0xffff, s0
	s_delay_alu instid0(SALU_CYCLE_1)
	s_cmp_gt_i32 s30, 25
	s_cbranch_scc0 .LBB55_686
; %bb.678:
	s_cmp_gt_i32 s30, 28
	s_cbranch_scc0 .LBB55_688
; %bb.679:
	;; [unrolled: 3-line block ×4, first 2 shown]
	s_cmp_eq_u32 s30, 46
	s_mov_b32 s36, 0
	s_cbranch_scc0 .LBB55_819
; %bb.682:
	global_load_b32 v3, v[10:11], off
	s_mov_b32 s31, -1
	s_mov_b32 s29, 0
	s_wait_loadcnt 0x0
	v_lshlrev_b32_e32 v3, 16, v3
	s_delay_alu instid0(VALU_DEP_1)
	v_cvt_i32_f32_e32 v3, v3
	s_branch .LBB55_821
.LBB55_683:
	s_mov_b32 s31, -1
	s_mov_b32 s30, 0
	s_mov_b32 s28, s90
                                        ; implicit-def: $vgpr1
	s_branch .LBB55_735
.LBB55_684:
	s_mov_b32 s30, -1
	s_mov_b32 s31, 0
	s_mov_b32 s29, s89
                                        ; implicit-def: $vgpr3
	s_branch .LBB55_882
.LBB55_685:
	s_mov_b32 s31, -1
	s_mov_b32 s30, 0
	s_mov_b32 s28, s90
                                        ; implicit-def: $vgpr1
	s_branch .LBB55_718
.LBB55_686:
	s_mov_b32 s36, -1
	s_mov_b32 s31, 0
	s_mov_b32 s29, s89
                                        ; implicit-def: $vgpr3
	s_branch .LBB55_848
.LBB55_687:
	s_mov_b32 s31, -1
	s_mov_b32 s30, 0
	s_mov_b32 s28, s90
                                        ; implicit-def: $vgpr1
	s_branch .LBB55_713
.LBB55_688:
	s_mov_b32 s36, -1
	s_mov_b32 s31, 0
	s_mov_b32 s29, s89
                                        ; implicit-def: $vgpr3
	s_branch .LBB55_831
.LBB55_689:
	s_mov_b32 s38, -1
	s_mov_b32 s36, 0
	s_mov_b32 s0, 0
	s_mov_b32 s37, exec_lo
	v_cmpx_gt_i32_e64 v6, v8
	s_cbranch_execz .LBB55_697
; %bb.690:
	s_delay_alu instid0(VALU_DEP_2) | instskip(SKIP_2) | instid1(VALU_DEP_1)
	v_lshlrev_b64_e32 v[4:5], 2, v[4:5]
	v_dual_ashrrev_i32 v9, 31, v8 :: v_dual_ashrrev_i32 v7, 31, v6
	s_xor_b32 s39, s76, -1
                                        ; implicit-def: $sgpr38
                                        ; implicit-def: $sgpr56
                                        ; implicit-def: $sgpr49
	v_lshl_add_u64 v[8:9], v[8:9], 2, v[4:5]
	v_add_nc_u64_e32 v[10:11], s[42:43], v[4:5]
	s_delay_alu instid0(VALU_DEP_2) | instskip(NEXT) | instid1(VALU_DEP_2)
	v_add_nc_u64_e32 v[8:9], s[42:43], v[8:9]
	v_lshl_add_u64 v[6:7], v[6:7], 2, v[10:11]
	s_delay_alu instid0(VALU_DEP_2)
	v_add_nc_u64_e32 v[4:5], 4, v[8:9]
	s_branch .LBB55_692
.LBB55_691:                             ;   in Loop: Header=BB55_692 Depth=1
	s_or_b32 exec_lo, exec_lo, s57
	s_delay_alu instid0(SALU_CYCLE_1) | instskip(NEXT) | instid1(SALU_CYCLE_1)
	s_and_b32 s4, exec_lo, s56
	s_or_b32 s0, s4, s0
	s_and_not1_b32 s4, s38, exec_lo
	s_and_b32 s5, s49, exec_lo
	s_delay_alu instid0(SALU_CYCLE_1)
	s_or_b32 s38, s4, s5
	s_and_not1_b32 exec_lo, exec_lo, s0
	s_cbranch_execz .LBB55_696
.LBB55_692:                             ; =>This Inner Loop Header: Depth=1
	s_or_b32 s49, s49, exec_lo
	s_or_b32 s56, s56, exec_lo
	s_mov_b32 s57, exec_lo
	s_delay_alu instid0(VALU_DEP_1)
	v_cmpx_lt_u64_e64 v[4:5], v[6:7]
	s_cbranch_execz .LBB55_691
; %bb.693:                              ;   in Loop: Header=BB55_692 Depth=1
	global_load_b64 v[8:9], v[4:5], off offset:-4
	s_wait_xcnt 0x0
	v_add_nc_u64_e32 v[4:5], 4, v[4:5]
	s_and_not1_b32 s5, s56, exec_lo
	s_and_not1_b32 s49, s49, exec_lo
	s_wait_loadcnt 0x0
	v_cmp_ge_i32_e32 vcc_lo, v8, v9
	s_or_b32 s4, s39, vcc_lo
	s_delay_alu instid0(SALU_CYCLE_1) | instskip(NEXT) | instid1(SALU_CYCLE_1)
	s_and_b32 s4, s4, exec_lo
	s_or_b32 s56, s5, s4
	s_branch .LBB55_691
.LBB55_694:
	s_mov_b32 s31, -1
	s_mov_b32 s30, 0
	s_mov_b32 s28, s90
	s_branch .LBB55_706
.LBB55_695:
	s_mov_b32 s36, -1
	s_mov_b32 s31, 0
	s_mov_b32 s29, s89
                                        ; implicit-def: $vgpr3
	s_branch .LBB55_826
.LBB55_696:
	s_or_b32 exec_lo, exec_lo, s0
	s_delay_alu instid0(SALU_CYCLE_1)
	s_mov_b32 s0, exec_lo
	s_or_not1_b32 s38, s38, exec_lo
.LBB55_697:
	s_or_b32 exec_lo, exec_lo, s37
	s_mov_b32 s37, 0
	s_and_saveexec_b32 s49, s38
	s_cbranch_execz .LBB55_1956
; %bb.698:
	s_load_b256 s[4:11], s[2:3], 0x248
	v_mov_b32_e32 v3, 0
	s_and_b32 s57, s34, 0xff
	s_delay_alu instid0(SALU_CYCLE_1) | instskip(SKIP_1) | instid1(VALU_DEP_1)
	s_cmp_lt_i32 s57, 11
	s_wait_kmcnt 0x0
	v_add_nc_u64_e32 v[2:3], s[4:5], v[2:3]
	s_cbranch_scc1 .LBB55_818
; %bb.699:
	s_and_b32 s58, 0xffff, s57
	s_delay_alu instid0(SALU_CYCLE_1)
	s_cmp_gt_i32 s58, 25
	s_cbranch_scc0 .LBB55_945
; %bb.700:
	s_cmp_gt_i32 s58, 28
	s_cbranch_scc0 .LBB55_1072
; %bb.701:
	;; [unrolled: 3-line block ×4, first 2 shown]
	s_mov_b32 s36, 0
	s_mov_b32 s56, -1
	s_cmp_eq_u32 s58, 46
	s_mov_b32 s59, 0
	s_cbranch_scc0 .LBB55_1874
; %bb.704:
	v_mov_b32_e32 v1, 0
	s_mov_b32 s59, -1
	s_mov_b32 s56, 0
	global_store_b32 v[2:3], v1, off
	s_branch .LBB55_1874
.LBB55_705:
	s_mov_b32 s28, -1
	s_mov_b32 s30, 0
.LBB55_706:
                                        ; implicit-def: $vgpr1
.LBB55_707:
	s_and_b32 vcc_lo, exec_lo, s31
	s_cbranch_vccz .LBB55_712
; %bb.708:
	s_cmp_eq_u32 s29, 44
	s_cbranch_scc0 .LBB55_711
; %bb.709:
	s_wait_loadcnt 0x0
	global_load_u8 v1, v[12:13], off
	s_mov_b32 s28, 0
	s_mov_b32 s30, -1
	s_wait_loadcnt 0x0
	v_lshlrev_b32_e32 v3, 23, v1
	v_cmp_ne_u32_e32 vcc_lo, 0, v1
	s_delay_alu instid0(VALU_DEP_2) | instskip(NEXT) | instid1(VALU_DEP_1)
	v_cvt_i32_f32_e32 v3, v3
	v_cndmask_b32_e32 v1, 0, v3, vcc_lo
	s_branch .LBB55_712
.LBB55_710:
	s_mov_b32 s36, -1
	s_mov_b32 s31, 0
	s_mov_b32 s29, s89
	s_branch .LBB55_820
.LBB55_711:
	s_mov_b32 s28, -1
                                        ; implicit-def: $vgpr1
.LBB55_712:
	s_mov_b32 s31, 0
.LBB55_713:
	s_delay_alu instid0(SALU_CYCLE_1)
	s_and_b32 vcc_lo, exec_lo, s31
	s_cbranch_vccz .LBB55_717
; %bb.714:
	s_cmp_eq_u32 s29, 29
	s_cbranch_scc0 .LBB55_716
; %bb.715:
	s_wait_loadcnt 0x0
	global_load_b32 v1, v[12:13], off
	s_mov_b32 s30, -1
	s_mov_b32 s28, 0
	s_branch .LBB55_717
.LBB55_716:
	s_mov_b32 s28, -1
                                        ; implicit-def: $vgpr1
.LBB55_717:
	s_mov_b32 s31, 0
.LBB55_718:
	s_delay_alu instid0(SALU_CYCLE_1)
	s_and_b32 vcc_lo, exec_lo, s31
	s_cbranch_vccz .LBB55_734
; %bb.719:
	s_cmp_lt_i32 s29, 27
	s_cbranch_scc1 .LBB55_722
; %bb.720:
	s_cmp_gt_i32 s29, 27
	s_cbranch_scc0 .LBB55_723
; %bb.721:
	s_wait_loadcnt 0x0
	global_load_b32 v1, v[12:13], off
	s_mov_b32 s30, 0
	s_branch .LBB55_724
.LBB55_722:
	s_mov_b32 s30, -1
                                        ; implicit-def: $vgpr1
	s_branch .LBB55_727
.LBB55_723:
	s_mov_b32 s30, -1
                                        ; implicit-def: $vgpr1
.LBB55_724:
	s_delay_alu instid0(SALU_CYCLE_1)
	s_and_not1_b32 vcc_lo, exec_lo, s30
	s_cbranch_vccnz .LBB55_726
; %bb.725:
	s_wait_loadcnt 0x0
	global_load_u16 v1, v[12:13], off
.LBB55_726:
	s_mov_b32 s30, 0
.LBB55_727:
	s_delay_alu instid0(SALU_CYCLE_1)
	s_and_not1_b32 vcc_lo, exec_lo, s30
	s_cbranch_vccnz .LBB55_733
; %bb.728:
	s_wait_loadcnt 0x0
	global_load_u8 v3, v[12:13], off
	s_mov_b32 s31, 0
	s_mov_b32 s4, exec_lo
	s_wait_loadcnt 0x0
	v_cmpx_lt_i16_e32 0x7f, v3
	s_xor_b32 s30, exec_lo, s4
	s_cbranch_execz .LBB55_745
; %bb.729:
	v_cmp_ne_u16_e32 vcc_lo, 0x80, v3
	s_and_b32 s31, vcc_lo, exec_lo
	s_and_not1_saveexec_b32 s30, s30
	s_cbranch_execnz .LBB55_746
.LBB55_730:
	s_or_b32 exec_lo, exec_lo, s30
	v_mov_b32_e32 v1, 0
	s_and_saveexec_b32 s30, s31
	s_cbranch_execz .LBB55_732
.LBB55_731:
	v_and_b32_e32 v1, 0xffff, v3
	s_delay_alu instid0(VALU_DEP_1) | instskip(SKIP_1) | instid1(VALU_DEP_2)
	v_and_b32_e32 v5, 7, v1
	v_bfe_u32 v11, v1, 3, 4
	v_clz_i32_u32_e32 v7, v5
	s_delay_alu instid0(VALU_DEP_2) | instskip(NEXT) | instid1(VALU_DEP_2)
	v_cmp_eq_u32_e32 vcc_lo, 0, v11
	v_min_u32_e32 v7, 32, v7
	s_delay_alu instid0(VALU_DEP_1) | instskip(NEXT) | instid1(VALU_DEP_1)
	v_subrev_nc_u32_e32 v9, 28, v7
	v_dual_lshlrev_b32 v1, v9, v1 :: v_dual_sub_nc_u32 v7, 29, v7
	s_delay_alu instid0(VALU_DEP_1) | instskip(NEXT) | instid1(VALU_DEP_1)
	v_dual_lshlrev_b32 v3, 24, v3 :: v_dual_bitop2_b32 v1, 7, v1 bitop3:0x40
	v_dual_cndmask_b32 v1, v5, v1, vcc_lo :: v_dual_cndmask_b32 v7, v11, v7, vcc_lo
	s_delay_alu instid0(VALU_DEP_2) | instskip(NEXT) | instid1(VALU_DEP_2)
	v_and_b32_e32 v3, 0x80000000, v3
	v_lshlrev_b32_e32 v1, 20, v1
	s_delay_alu instid0(VALU_DEP_3) | instskip(NEXT) | instid1(VALU_DEP_1)
	v_lshl_add_u32 v5, v7, 23, 0x3b800000
	v_or3_b32 v1, v3, v5, v1
	s_delay_alu instid0(VALU_DEP_1)
	v_cvt_i32_f32_e32 v1, v1
.LBB55_732:
	s_or_b32 exec_lo, exec_lo, s30
.LBB55_733:
	s_mov_b32 s30, -1
.LBB55_734:
	s_mov_b32 s31, 0
.LBB55_735:
	s_delay_alu instid0(SALU_CYCLE_1)
	s_and_b32 vcc_lo, exec_lo, s31
	s_cbranch_vccz .LBB55_768
; %bb.736:
	s_cmp_gt_i32 s29, 22
	s_cbranch_scc0 .LBB55_744
; %bb.737:
	s_cmp_lt_i32 s29, 24
	s_cbranch_scc1 .LBB55_747
; %bb.738:
	s_cmp_gt_i32 s29, 24
	s_cbranch_scc0 .LBB55_748
; %bb.739:
	s_wait_loadcnt 0x0
	global_load_u8 v3, v[12:13], off
	s_mov_b32 s31, 0
	s_mov_b32 s4, exec_lo
	s_wait_loadcnt 0x0
	v_cmpx_lt_i16_e32 0x7f, v3
	s_xor_b32 s30, exec_lo, s4
	s_cbranch_execz .LBB55_760
; %bb.740:
	v_cmp_ne_u16_e32 vcc_lo, 0x80, v3
	s_and_b32 s31, vcc_lo, exec_lo
	s_and_not1_saveexec_b32 s30, s30
	s_cbranch_execnz .LBB55_761
.LBB55_741:
	s_or_b32 exec_lo, exec_lo, s30
	v_mov_b32_e32 v1, 0
	s_and_saveexec_b32 s30, s31
	s_cbranch_execz .LBB55_743
.LBB55_742:
	v_and_b32_e32 v1, 0xffff, v3
	s_delay_alu instid0(VALU_DEP_1) | instskip(SKIP_1) | instid1(VALU_DEP_2)
	v_and_b32_e32 v5, 3, v1
	v_bfe_u32 v11, v1, 2, 5
	v_clz_i32_u32_e32 v7, v5
	s_delay_alu instid0(VALU_DEP_2) | instskip(NEXT) | instid1(VALU_DEP_2)
	v_cmp_eq_u32_e32 vcc_lo, 0, v11
	v_min_u32_e32 v7, 32, v7
	s_delay_alu instid0(VALU_DEP_1) | instskip(NEXT) | instid1(VALU_DEP_1)
	v_subrev_nc_u32_e32 v9, 29, v7
	v_dual_lshlrev_b32 v1, v9, v1 :: v_dual_sub_nc_u32 v7, 30, v7
	s_delay_alu instid0(VALU_DEP_1) | instskip(NEXT) | instid1(VALU_DEP_1)
	v_dual_lshlrev_b32 v3, 24, v3 :: v_dual_bitop2_b32 v1, 3, v1 bitop3:0x40
	v_dual_cndmask_b32 v1, v5, v1, vcc_lo :: v_dual_cndmask_b32 v7, v11, v7, vcc_lo
	s_delay_alu instid0(VALU_DEP_2) | instskip(NEXT) | instid1(VALU_DEP_2)
	v_and_b32_e32 v3, 0x80000000, v3
	v_lshlrev_b32_e32 v1, 21, v1
	s_delay_alu instid0(VALU_DEP_3) | instskip(NEXT) | instid1(VALU_DEP_1)
	v_lshl_add_u32 v5, v7, 23, 0x37800000
	v_or3_b32 v1, v3, v5, v1
	s_delay_alu instid0(VALU_DEP_1)
	v_cvt_i32_f32_e32 v1, v1
.LBB55_743:
	s_or_b32 exec_lo, exec_lo, s30
	s_mov_b32 s30, 0
	s_branch .LBB55_749
.LBB55_744:
	s_mov_b32 s31, -1
                                        ; implicit-def: $vgpr1
	s_branch .LBB55_755
.LBB55_745:
	s_and_not1_saveexec_b32 s30, s30
	s_cbranch_execz .LBB55_730
.LBB55_746:
	v_cmp_ne_u16_e32 vcc_lo, 0, v3
	s_and_not1_b32 s4, s31, exec_lo
	s_and_b32 s5, vcc_lo, exec_lo
	s_delay_alu instid0(SALU_CYCLE_1)
	s_or_b32 s31, s4, s5
	s_or_b32 exec_lo, exec_lo, s30
	v_mov_b32_e32 v1, 0
	s_and_saveexec_b32 s30, s31
	s_cbranch_execnz .LBB55_731
	s_branch .LBB55_732
.LBB55_747:
	s_mov_b32 s30, -1
                                        ; implicit-def: $vgpr1
	s_branch .LBB55_752
.LBB55_748:
	s_mov_b32 s30, -1
                                        ; implicit-def: $vgpr1
.LBB55_749:
	s_delay_alu instid0(SALU_CYCLE_1)
	s_and_b32 vcc_lo, exec_lo, s30
	s_cbranch_vccz .LBB55_751
; %bb.750:
	s_wait_loadcnt 0x0
	global_load_u8 v1, v[12:13], off
	s_wait_loadcnt 0x0
	v_lshlrev_b32_e32 v1, 24, v1
	s_delay_alu instid0(VALU_DEP_1) | instskip(NEXT) | instid1(VALU_DEP_1)
	v_and_b32_e32 v3, 0x7f000000, v1
	v_clz_i32_u32_e32 v5, v3
	v_add_nc_u32_e32 v9, 0x1000000, v3
	v_cmp_ne_u32_e32 vcc_lo, 0, v3
	s_delay_alu instid0(VALU_DEP_3) | instskip(NEXT) | instid1(VALU_DEP_1)
	v_min_u32_e32 v5, 32, v5
	v_sub_nc_u32_e64 v5, v5, 4 clamp
	s_delay_alu instid0(VALU_DEP_1) | instskip(NEXT) | instid1(VALU_DEP_1)
	v_dual_lshlrev_b32 v7, v5, v3 :: v_dual_lshlrev_b32 v5, 23, v5
	v_lshrrev_b32_e32 v7, 4, v7
	s_delay_alu instid0(VALU_DEP_1) | instskip(SKIP_1) | instid1(VALU_DEP_2)
	v_sub_nc_u32_e32 v5, v7, v5
	v_ashrrev_i32_e32 v7, 8, v9
	v_add_nc_u32_e32 v5, 0x3c000000, v5
	s_delay_alu instid0(VALU_DEP_1) | instskip(NEXT) | instid1(VALU_DEP_1)
	v_and_or_b32 v5, 0x7f800000, v7, v5
	v_cndmask_b32_e32 v3, 0, v5, vcc_lo
	s_delay_alu instid0(VALU_DEP_1) | instskip(NEXT) | instid1(VALU_DEP_1)
	v_and_or_b32 v1, 0x80000000, v1, v3
	v_cvt_i32_f32_e32 v1, v1
.LBB55_751:
	s_mov_b32 s30, 0
.LBB55_752:
	s_delay_alu instid0(SALU_CYCLE_1)
	s_and_not1_b32 vcc_lo, exec_lo, s30
	s_cbranch_vccnz .LBB55_754
; %bb.753:
	s_wait_loadcnt 0x0
	global_load_u8 v1, v[12:13], off
	s_wait_loadcnt 0x0
	v_lshlrev_b32_e32 v3, 25, v1
	v_lshlrev_b16 v1, 8, v1
	s_delay_alu instid0(VALU_DEP_1) | instskip(SKIP_1) | instid1(VALU_DEP_2)
	v_and_or_b32 v7, 0x7f00, v1, 0.5
	v_bfe_i32 v1, v1, 0, 16
	v_add_f32_e32 v7, -0.5, v7
	v_lshrrev_b32_e32 v5, 4, v3
	v_cmp_gt_u32_e32 vcc_lo, 0x8000000, v3
	s_delay_alu instid0(VALU_DEP_2) | instskip(NEXT) | instid1(VALU_DEP_1)
	v_or_b32_e32 v5, 0x70000000, v5
	v_mul_f32_e32 v5, 0x7800000, v5
	s_delay_alu instid0(VALU_DEP_1) | instskip(NEXT) | instid1(VALU_DEP_1)
	v_cndmask_b32_e32 v3, v5, v7, vcc_lo
	v_and_or_b32 v1, 0x80000000, v1, v3
	s_delay_alu instid0(VALU_DEP_1)
	v_cvt_i32_f32_e32 v1, v1
.LBB55_754:
	s_mov_b32 s31, 0
	s_mov_b32 s30, -1
.LBB55_755:
	s_and_not1_b32 vcc_lo, exec_lo, s31
	s_cbranch_vccnz .LBB55_768
; %bb.756:
	s_cmp_gt_i32 s29, 14
	s_cbranch_scc0 .LBB55_759
; %bb.757:
	s_cmp_eq_u32 s29, 15
	s_cbranch_scc0 .LBB55_762
; %bb.758:
	s_wait_loadcnt 0x0
	global_load_u16 v1, v[12:13], off
	s_mov_b32 s30, -1
	s_mov_b32 s28, 0
	s_wait_loadcnt 0x0
	v_lshlrev_b32_e32 v1, 16, v1
	s_delay_alu instid0(VALU_DEP_1)
	v_cvt_i32_f32_e32 v1, v1
	s_branch .LBB55_763
.LBB55_759:
	s_mov_b32 s31, -1
                                        ; implicit-def: $vgpr1
	s_branch .LBB55_764
.LBB55_760:
	s_and_not1_saveexec_b32 s30, s30
	s_cbranch_execz .LBB55_741
.LBB55_761:
	v_cmp_ne_u16_e32 vcc_lo, 0, v3
	s_and_not1_b32 s4, s31, exec_lo
	s_and_b32 s5, vcc_lo, exec_lo
	s_delay_alu instid0(SALU_CYCLE_1)
	s_or_b32 s31, s4, s5
	s_or_b32 exec_lo, exec_lo, s30
	v_mov_b32_e32 v1, 0
	s_and_saveexec_b32 s30, s31
	s_cbranch_execnz .LBB55_742
	s_branch .LBB55_743
.LBB55_762:
	s_mov_b32 s28, -1
                                        ; implicit-def: $vgpr1
.LBB55_763:
	s_mov_b32 s31, 0
.LBB55_764:
	s_delay_alu instid0(SALU_CYCLE_1)
	s_and_b32 vcc_lo, exec_lo, s31
	s_cbranch_vccz .LBB55_768
; %bb.765:
	s_cmp_eq_u32 s29, 11
	s_cbranch_scc0 .LBB55_767
; %bb.766:
	s_wait_loadcnt 0x0
	global_load_u8 v1, v[12:13], off
	s_mov_b32 s28, 0
	s_mov_b32 s30, -1
	s_wait_loadcnt 0x0
	v_cmp_ne_u16_e32 vcc_lo, 0, v1
	v_cndmask_b32_e64 v1, 0, 1, vcc_lo
	s_branch .LBB55_768
.LBB55_767:
	s_mov_b32 s28, -1
                                        ; implicit-def: $vgpr1
.LBB55_768:
	s_branch .LBB55_675
.LBB55_769:
	s_and_b32 s0, 0xffff, s0
	s_delay_alu instid0(SALU_CYCLE_1)
	s_cmp_lt_i32 s0, 5
	s_cbranch_scc1 .LBB55_774
; %bb.770:
	s_cmp_lt_i32 s0, 8
	s_cbranch_scc1 .LBB55_775
; %bb.771:
	;; [unrolled: 3-line block ×3, first 2 shown]
	s_cmp_gt_i32 s0, 9
	s_cbranch_scc0 .LBB55_777
; %bb.773:
	global_load_b64 v[14:15], v[12:13], off
	s_mov_b32 s29, 0
	s_wait_loadcnt 0x0
	v_cvt_i32_f64_e32 v1, v[14:15]
	s_branch .LBB55_778
.LBB55_774:
	s_mov_b32 s29, -1
                                        ; implicit-def: $vgpr1
	s_branch .LBB55_796
.LBB55_775:
	s_mov_b32 s29, -1
                                        ; implicit-def: $vgpr1
	s_branch .LBB55_784
.LBB55_776:
	s_mov_b32 s29, -1
                                        ; implicit-def: $vgpr1
	s_branch .LBB55_781
.LBB55_777:
	s_mov_b32 s29, -1
                                        ; implicit-def: $vgpr1
.LBB55_778:
	s_delay_alu instid0(SALU_CYCLE_1)
	s_and_not1_b32 vcc_lo, exec_lo, s29
	s_cbranch_vccnz .LBB55_780
; %bb.779:
	s_wait_loadcnt 0x0
	global_load_b32 v1, v[12:13], off
	s_wait_loadcnt 0x0
	v_cvt_i32_f32_e32 v1, v1
.LBB55_780:
	s_mov_b32 s29, 0
.LBB55_781:
	s_delay_alu instid0(SALU_CYCLE_1)
	s_and_not1_b32 vcc_lo, exec_lo, s29
	s_cbranch_vccnz .LBB55_783
; %bb.782:
	s_wait_loadcnt 0x0
	global_load_b32 v1, v[12:13], off
	s_wait_loadcnt 0x0
	v_cvt_f32_f16_e32 v1, v1
	s_delay_alu instid0(VALU_DEP_1)
	v_cvt_i32_f32_e32 v1, v1
.LBB55_783:
	s_mov_b32 s29, 0
.LBB55_784:
	s_delay_alu instid0(SALU_CYCLE_1)
	s_and_not1_b32 vcc_lo, exec_lo, s29
	s_cbranch_vccnz .LBB55_795
; %bb.785:
	s_cmp_lt_i32 s0, 6
	s_cbranch_scc1 .LBB55_788
; %bb.786:
	s_cmp_gt_i32 s0, 6
	s_cbranch_scc0 .LBB55_789
; %bb.787:
	global_load_b64 v[14:15], v[12:13], off
	s_mov_b32 s29, 0
	s_wait_loadcnt 0x0
	v_cvt_i32_f64_e32 v1, v[14:15]
	s_branch .LBB55_790
.LBB55_788:
	s_mov_b32 s29, -1
                                        ; implicit-def: $vgpr1
	s_branch .LBB55_793
.LBB55_789:
	s_mov_b32 s29, -1
                                        ; implicit-def: $vgpr1
.LBB55_790:
	s_delay_alu instid0(SALU_CYCLE_1)
	s_and_not1_b32 vcc_lo, exec_lo, s29
	s_cbranch_vccnz .LBB55_792
; %bb.791:
	s_wait_loadcnt 0x0
	global_load_b32 v1, v[12:13], off
	s_wait_loadcnt 0x0
	v_cvt_i32_f32_e32 v1, v1
.LBB55_792:
	s_mov_b32 s29, 0
.LBB55_793:
	s_delay_alu instid0(SALU_CYCLE_1)
	s_and_not1_b32 vcc_lo, exec_lo, s29
	s_cbranch_vccnz .LBB55_795
; %bb.794:
	s_wait_loadcnt 0x0
	global_load_u16 v1, v[12:13], off
	s_wait_loadcnt 0x0
	v_cvt_f32_f16_e32 v1, v1
	s_delay_alu instid0(VALU_DEP_1)
	v_cvt_i32_f32_e32 v1, v1
.LBB55_795:
	s_mov_b32 s29, 0
.LBB55_796:
	s_delay_alu instid0(SALU_CYCLE_1)
	s_and_not1_b32 vcc_lo, exec_lo, s29
	s_cbranch_vccnz .LBB55_816
; %bb.797:
	s_cmp_lt_i32 s0, 2
	s_cbranch_scc1 .LBB55_801
; %bb.798:
	s_cmp_lt_i32 s0, 3
	s_cbranch_scc1 .LBB55_802
; %bb.799:
	s_cmp_gt_i32 s0, 3
	s_cbranch_scc0 .LBB55_803
; %bb.800:
	s_wait_loadcnt 0x0
	global_load_b32 v1, v[12:13], off
	s_mov_b32 s29, 0
	s_branch .LBB55_804
.LBB55_801:
	s_mov_b32 s29, -1
                                        ; implicit-def: $vgpr1
	s_branch .LBB55_810
.LBB55_802:
	s_mov_b32 s29, -1
                                        ; implicit-def: $vgpr1
	s_branch .LBB55_807
.LBB55_803:
	s_mov_b32 s29, -1
                                        ; implicit-def: $vgpr1
.LBB55_804:
	s_delay_alu instid0(SALU_CYCLE_1)
	s_and_not1_b32 vcc_lo, exec_lo, s29
	s_cbranch_vccnz .LBB55_806
; %bb.805:
	s_wait_loadcnt 0x0
	global_load_b32 v1, v[12:13], off
.LBB55_806:
	s_mov_b32 s29, 0
.LBB55_807:
	s_delay_alu instid0(SALU_CYCLE_1)
	s_and_not1_b32 vcc_lo, exec_lo, s29
	s_cbranch_vccnz .LBB55_809
; %bb.808:
	s_wait_loadcnt 0x0
	global_load_i16 v1, v[12:13], off
.LBB55_809:
	s_mov_b32 s29, 0
.LBB55_810:
	s_delay_alu instid0(SALU_CYCLE_1)
	s_and_not1_b32 vcc_lo, exec_lo, s29
	s_cbranch_vccnz .LBB55_816
; %bb.811:
	s_cmp_gt_i32 s0, 0
	s_mov_b32 s0, 0
	s_cbranch_scc0 .LBB55_813
; %bb.812:
	s_wait_loadcnt 0x0
	global_load_i8 v1, v[12:13], off
	s_branch .LBB55_814
.LBB55_813:
	s_mov_b32 s0, -1
                                        ; implicit-def: $vgpr1
.LBB55_814:
	s_delay_alu instid0(SALU_CYCLE_1)
	s_and_not1_b32 vcc_lo, exec_lo, s0
	s_cbranch_vccnz .LBB55_816
; %bb.815:
	s_wait_loadcnt 0x0
	global_load_u8 v1, v[12:13], off
.LBB55_816:
	s_branch .LBB55_676
.LBB55_817:
	s_mov_b32 s0, 0
	s_mov_b32 s36, s45
	;; [unrolled: 1-line block ×10, first 2 shown]
	s_branch .LBB55_1324
.LBB55_818:
	s_mov_b32 s36, -1
	s_mov_b32 s56, 0
	s_mov_b32 s59, 0
	s_branch .LBB55_1913
.LBB55_819:
	s_mov_b32 s29, -1
	s_mov_b32 s31, 0
.LBB55_820:
                                        ; implicit-def: $vgpr3
.LBB55_821:
	s_and_b32 vcc_lo, exec_lo, s36
	s_cbranch_vccz .LBB55_825
; %bb.822:
	s_cmp_eq_u32 s30, 44
	s_cbranch_scc0 .LBB55_824
; %bb.823:
	global_load_u8 v3, v[10:11], off
	s_mov_b32 s29, 0
	s_mov_b32 s31, -1
	s_wait_loadcnt 0x0
	v_lshlrev_b32_e32 v5, 23, v3
	v_cmp_ne_u32_e32 vcc_lo, 0, v3
	s_delay_alu instid0(VALU_DEP_2) | instskip(NEXT) | instid1(VALU_DEP_1)
	v_cvt_i32_f32_e32 v5, v5
	v_cndmask_b32_e32 v3, 0, v5, vcc_lo
	s_branch .LBB55_825
.LBB55_824:
	s_mov_b32 s29, -1
                                        ; implicit-def: $vgpr3
.LBB55_825:
	s_mov_b32 s36, 0
.LBB55_826:
	s_delay_alu instid0(SALU_CYCLE_1)
	s_and_b32 vcc_lo, exec_lo, s36
	s_cbranch_vccz .LBB55_830
; %bb.827:
	s_cmp_eq_u32 s30, 29
	s_cbranch_scc0 .LBB55_829
; %bb.828:
	global_load_b32 v3, v[10:11], off
	s_mov_b32 s31, -1
	s_mov_b32 s29, 0
	s_branch .LBB55_830
.LBB55_829:
	s_mov_b32 s29, -1
                                        ; implicit-def: $vgpr3
.LBB55_830:
	s_mov_b32 s36, 0
.LBB55_831:
	s_delay_alu instid0(SALU_CYCLE_1)
	s_and_b32 vcc_lo, exec_lo, s36
	s_cbranch_vccz .LBB55_847
; %bb.832:
	s_cmp_lt_i32 s30, 27
	s_cbranch_scc1 .LBB55_835
; %bb.833:
	s_cmp_gt_i32 s30, 27
	s_cbranch_scc0 .LBB55_836
; %bb.834:
	s_wait_loadcnt 0x0
	global_load_b32 v3, v[10:11], off
	s_mov_b32 s31, 0
	s_branch .LBB55_837
.LBB55_835:
	s_mov_b32 s31, -1
                                        ; implicit-def: $vgpr3
	s_branch .LBB55_840
.LBB55_836:
	s_mov_b32 s31, -1
                                        ; implicit-def: $vgpr3
.LBB55_837:
	s_delay_alu instid0(SALU_CYCLE_1)
	s_and_not1_b32 vcc_lo, exec_lo, s31
	s_cbranch_vccnz .LBB55_839
; %bb.838:
	s_wait_loadcnt 0x0
	global_load_u16 v3, v[10:11], off
.LBB55_839:
	s_mov_b32 s31, 0
.LBB55_840:
	s_delay_alu instid0(SALU_CYCLE_1)
	s_and_not1_b32 vcc_lo, exec_lo, s31
	s_cbranch_vccnz .LBB55_846
; %bb.841:
	global_load_u8 v5, v[10:11], off
	s_mov_b32 s36, 0
	s_mov_b32 s4, exec_lo
	s_wait_loadcnt 0x0
	v_cmpx_lt_i16_e32 0x7f, v5
	s_xor_b32 s31, exec_lo, s4
	s_cbranch_execz .LBB55_858
; %bb.842:
	v_cmp_ne_u16_e32 vcc_lo, 0x80, v5
	s_and_b32 s36, vcc_lo, exec_lo
	s_and_not1_saveexec_b32 s31, s31
	s_cbranch_execnz .LBB55_859
.LBB55_843:
	s_or_b32 exec_lo, exec_lo, s31
	v_mov_b32_e32 v3, 0
	s_and_saveexec_b32 s31, s36
	s_cbranch_execz .LBB55_845
.LBB55_844:
	v_and_b32_e32 v3, 0xffff, v5
	s_delay_alu instid0(VALU_DEP_1) | instskip(SKIP_1) | instid1(VALU_DEP_2)
	v_and_b32_e32 v7, 7, v3
	v_bfe_u32 v13, v3, 3, 4
	v_clz_i32_u32_e32 v9, v7
	s_delay_alu instid0(VALU_DEP_2) | instskip(NEXT) | instid1(VALU_DEP_2)
	v_cmp_eq_u32_e32 vcc_lo, 0, v13
	v_min_u32_e32 v9, 32, v9
	s_delay_alu instid0(VALU_DEP_1) | instskip(NEXT) | instid1(VALU_DEP_1)
	v_subrev_nc_u32_e32 v12, 28, v9
	v_dual_lshlrev_b32 v3, v12, v3 :: v_dual_sub_nc_u32 v9, 29, v9
	s_delay_alu instid0(VALU_DEP_1) | instskip(NEXT) | instid1(VALU_DEP_1)
	v_dual_lshlrev_b32 v5, 24, v5 :: v_dual_bitop2_b32 v3, 7, v3 bitop3:0x40
	v_dual_cndmask_b32 v3, v7, v3, vcc_lo :: v_dual_cndmask_b32 v9, v13, v9, vcc_lo
	s_delay_alu instid0(VALU_DEP_2) | instskip(NEXT) | instid1(VALU_DEP_2)
	v_and_b32_e32 v5, 0x80000000, v5
	v_lshlrev_b32_e32 v3, 20, v3
	s_delay_alu instid0(VALU_DEP_3) | instskip(NEXT) | instid1(VALU_DEP_1)
	v_lshl_add_u32 v7, v9, 23, 0x3b800000
	v_or3_b32 v3, v5, v7, v3
	s_delay_alu instid0(VALU_DEP_1)
	v_cvt_i32_f32_e32 v3, v3
.LBB55_845:
	s_or_b32 exec_lo, exec_lo, s31
.LBB55_846:
	s_mov_b32 s31, -1
.LBB55_847:
	s_mov_b32 s36, 0
.LBB55_848:
	s_delay_alu instid0(SALU_CYCLE_1)
	s_and_b32 vcc_lo, exec_lo, s36
	s_cbranch_vccz .LBB55_881
; %bb.849:
	s_cmp_gt_i32 s30, 22
	s_cbranch_scc0 .LBB55_857
; %bb.850:
	s_cmp_lt_i32 s30, 24
	s_cbranch_scc1 .LBB55_860
; %bb.851:
	s_cmp_gt_i32 s30, 24
	s_cbranch_scc0 .LBB55_861
; %bb.852:
	global_load_u8 v5, v[10:11], off
	s_mov_b32 s36, 0
	s_mov_b32 s4, exec_lo
	s_wait_loadcnt 0x0
	v_cmpx_lt_i16_e32 0x7f, v5
	s_xor_b32 s31, exec_lo, s4
	s_cbranch_execz .LBB55_873
; %bb.853:
	v_cmp_ne_u16_e32 vcc_lo, 0x80, v5
	s_and_b32 s36, vcc_lo, exec_lo
	s_and_not1_saveexec_b32 s31, s31
	s_cbranch_execnz .LBB55_874
.LBB55_854:
	s_or_b32 exec_lo, exec_lo, s31
	v_mov_b32_e32 v3, 0
	s_and_saveexec_b32 s31, s36
	s_cbranch_execz .LBB55_856
.LBB55_855:
	v_and_b32_e32 v3, 0xffff, v5
	s_delay_alu instid0(VALU_DEP_1) | instskip(SKIP_1) | instid1(VALU_DEP_2)
	v_and_b32_e32 v7, 3, v3
	v_bfe_u32 v13, v3, 2, 5
	v_clz_i32_u32_e32 v9, v7
	s_delay_alu instid0(VALU_DEP_2) | instskip(NEXT) | instid1(VALU_DEP_2)
	v_cmp_eq_u32_e32 vcc_lo, 0, v13
	v_min_u32_e32 v9, 32, v9
	s_delay_alu instid0(VALU_DEP_1) | instskip(NEXT) | instid1(VALU_DEP_1)
	v_subrev_nc_u32_e32 v12, 29, v9
	v_dual_lshlrev_b32 v3, v12, v3 :: v_dual_sub_nc_u32 v9, 30, v9
	s_delay_alu instid0(VALU_DEP_1) | instskip(NEXT) | instid1(VALU_DEP_1)
	v_dual_lshlrev_b32 v5, 24, v5 :: v_dual_bitop2_b32 v3, 3, v3 bitop3:0x40
	v_dual_cndmask_b32 v3, v7, v3, vcc_lo :: v_dual_cndmask_b32 v9, v13, v9, vcc_lo
	s_delay_alu instid0(VALU_DEP_2) | instskip(NEXT) | instid1(VALU_DEP_2)
	v_and_b32_e32 v5, 0x80000000, v5
	v_lshlrev_b32_e32 v3, 21, v3
	s_delay_alu instid0(VALU_DEP_3) | instskip(NEXT) | instid1(VALU_DEP_1)
	v_lshl_add_u32 v7, v9, 23, 0x37800000
	v_or3_b32 v3, v5, v7, v3
	s_delay_alu instid0(VALU_DEP_1)
	v_cvt_i32_f32_e32 v3, v3
.LBB55_856:
	s_or_b32 exec_lo, exec_lo, s31
	s_mov_b32 s31, 0
	s_branch .LBB55_862
.LBB55_857:
	s_mov_b32 s36, -1
                                        ; implicit-def: $vgpr3
	s_branch .LBB55_868
.LBB55_858:
	s_and_not1_saveexec_b32 s31, s31
	s_cbranch_execz .LBB55_843
.LBB55_859:
	v_cmp_ne_u16_e32 vcc_lo, 0, v5
	s_and_not1_b32 s4, s36, exec_lo
	s_and_b32 s5, vcc_lo, exec_lo
	s_delay_alu instid0(SALU_CYCLE_1)
	s_or_b32 s36, s4, s5
	s_or_b32 exec_lo, exec_lo, s31
	v_mov_b32_e32 v3, 0
	s_and_saveexec_b32 s31, s36
	s_cbranch_execnz .LBB55_844
	s_branch .LBB55_845
.LBB55_860:
	s_mov_b32 s31, -1
                                        ; implicit-def: $vgpr3
	s_branch .LBB55_865
.LBB55_861:
	s_mov_b32 s31, -1
                                        ; implicit-def: $vgpr3
.LBB55_862:
	s_delay_alu instid0(SALU_CYCLE_1)
	s_and_b32 vcc_lo, exec_lo, s31
	s_cbranch_vccz .LBB55_864
; %bb.863:
	s_wait_loadcnt 0x0
	global_load_u8 v3, v[10:11], off
	s_wait_loadcnt 0x0
	v_lshlrev_b32_e32 v3, 24, v3
	s_delay_alu instid0(VALU_DEP_1) | instskip(NEXT) | instid1(VALU_DEP_1)
	v_and_b32_e32 v5, 0x7f000000, v3
	v_clz_i32_u32_e32 v7, v5
	v_cmp_ne_u32_e32 vcc_lo, 0, v5
	v_add_nc_u32_e32 v12, 0x1000000, v5
	s_delay_alu instid0(VALU_DEP_3) | instskip(NEXT) | instid1(VALU_DEP_1)
	v_min_u32_e32 v7, 32, v7
	v_sub_nc_u32_e64 v7, v7, 4 clamp
	s_delay_alu instid0(VALU_DEP_1) | instskip(NEXT) | instid1(VALU_DEP_1)
	v_dual_lshlrev_b32 v9, v7, v5 :: v_dual_lshlrev_b32 v7, 23, v7
	v_lshrrev_b32_e32 v9, 4, v9
	s_delay_alu instid0(VALU_DEP_1) | instskip(NEXT) | instid1(VALU_DEP_1)
	v_dual_sub_nc_u32 v7, v9, v7 :: v_dual_ashrrev_i32 v9, 8, v12
	v_add_nc_u32_e32 v7, 0x3c000000, v7
	s_delay_alu instid0(VALU_DEP_1) | instskip(NEXT) | instid1(VALU_DEP_1)
	v_and_or_b32 v7, 0x7f800000, v9, v7
	v_cndmask_b32_e32 v5, 0, v7, vcc_lo
	s_delay_alu instid0(VALU_DEP_1) | instskip(NEXT) | instid1(VALU_DEP_1)
	v_and_or_b32 v3, 0x80000000, v3, v5
	v_cvt_i32_f32_e32 v3, v3
.LBB55_864:
	s_mov_b32 s31, 0
.LBB55_865:
	s_delay_alu instid0(SALU_CYCLE_1)
	s_and_not1_b32 vcc_lo, exec_lo, s31
	s_cbranch_vccnz .LBB55_867
; %bb.866:
	s_wait_loadcnt 0x0
	global_load_u8 v3, v[10:11], off
	s_wait_loadcnt 0x0
	v_lshlrev_b32_e32 v5, 25, v3
	v_lshlrev_b16 v3, 8, v3
	s_delay_alu instid0(VALU_DEP_1) | instskip(SKIP_1) | instid1(VALU_DEP_2)
	v_and_or_b32 v9, 0x7f00, v3, 0.5
	v_bfe_i32 v3, v3, 0, 16
	v_add_f32_e32 v9, -0.5, v9
	v_lshrrev_b32_e32 v7, 4, v5
	v_cmp_gt_u32_e32 vcc_lo, 0x8000000, v5
	s_delay_alu instid0(VALU_DEP_2) | instskip(NEXT) | instid1(VALU_DEP_1)
	v_or_b32_e32 v7, 0x70000000, v7
	v_mul_f32_e32 v7, 0x7800000, v7
	s_delay_alu instid0(VALU_DEP_1) | instskip(NEXT) | instid1(VALU_DEP_1)
	v_cndmask_b32_e32 v5, v7, v9, vcc_lo
	v_and_or_b32 v3, 0x80000000, v3, v5
	s_delay_alu instid0(VALU_DEP_1)
	v_cvt_i32_f32_e32 v3, v3
.LBB55_867:
	s_mov_b32 s36, 0
	s_mov_b32 s31, -1
.LBB55_868:
	s_and_not1_b32 vcc_lo, exec_lo, s36
	s_cbranch_vccnz .LBB55_881
; %bb.869:
	s_cmp_gt_i32 s30, 14
	s_cbranch_scc0 .LBB55_872
; %bb.870:
	s_cmp_eq_u32 s30, 15
	s_cbranch_scc0 .LBB55_875
; %bb.871:
	s_wait_loadcnt 0x0
	global_load_u16 v3, v[10:11], off
	s_mov_b32 s31, -1
	s_mov_b32 s29, 0
	s_wait_loadcnt 0x0
	v_lshlrev_b32_e32 v3, 16, v3
	s_delay_alu instid0(VALU_DEP_1)
	v_cvt_i32_f32_e32 v3, v3
	s_branch .LBB55_876
.LBB55_872:
	s_mov_b32 s36, -1
                                        ; implicit-def: $vgpr3
	s_branch .LBB55_877
.LBB55_873:
	s_and_not1_saveexec_b32 s31, s31
	s_cbranch_execz .LBB55_854
.LBB55_874:
	v_cmp_ne_u16_e32 vcc_lo, 0, v5
	s_and_not1_b32 s4, s36, exec_lo
	s_and_b32 s5, vcc_lo, exec_lo
	s_delay_alu instid0(SALU_CYCLE_1)
	s_or_b32 s36, s4, s5
	s_or_b32 exec_lo, exec_lo, s31
	v_mov_b32_e32 v3, 0
	s_and_saveexec_b32 s31, s36
	s_cbranch_execnz .LBB55_855
	s_branch .LBB55_856
.LBB55_875:
	s_mov_b32 s29, -1
                                        ; implicit-def: $vgpr3
.LBB55_876:
	s_mov_b32 s36, 0
.LBB55_877:
	s_delay_alu instid0(SALU_CYCLE_1)
	s_and_b32 vcc_lo, exec_lo, s36
	s_cbranch_vccz .LBB55_881
; %bb.878:
	s_cmp_eq_u32 s30, 11
	s_cbranch_scc0 .LBB55_880
; %bb.879:
	s_wait_loadcnt 0x0
	global_load_u8 v3, v[10:11], off
	s_mov_b32 s29, 0
	s_mov_b32 s31, -1
	s_wait_loadcnt 0x0
	v_cmp_ne_u16_e32 vcc_lo, 0, v3
	v_cndmask_b32_e64 v3, 0, 1, vcc_lo
	s_branch .LBB55_881
.LBB55_880:
	s_mov_b32 s29, -1
                                        ; implicit-def: $vgpr3
.LBB55_881:
	s_mov_b32 s30, 0
.LBB55_882:
	s_delay_alu instid0(SALU_CYCLE_1)
	s_and_b32 vcc_lo, exec_lo, s30
	s_cbranch_vccz .LBB55_931
; %bb.883:
	s_and_b32 s0, 0xffff, s0
	s_delay_alu instid0(SALU_CYCLE_1)
	s_cmp_lt_i32 s0, 5
	s_cbranch_scc1 .LBB55_888
; %bb.884:
	s_cmp_lt_i32 s0, 8
	s_cbranch_scc1 .LBB55_889
; %bb.885:
	;; [unrolled: 3-line block ×3, first 2 shown]
	s_cmp_gt_i32 s0, 9
	s_cbranch_scc0 .LBB55_891
; %bb.887:
	global_load_b64 v[12:13], v[10:11], off
	s_mov_b32 s30, 0
	s_wait_loadcnt 0x0
	v_cvt_i32_f64_e32 v3, v[12:13]
	s_branch .LBB55_892
.LBB55_888:
	s_mov_b32 s30, -1
                                        ; implicit-def: $vgpr3
	s_branch .LBB55_910
.LBB55_889:
	s_mov_b32 s30, -1
                                        ; implicit-def: $vgpr3
	s_branch .LBB55_898
.LBB55_890:
	s_mov_b32 s30, -1
                                        ; implicit-def: $vgpr3
	s_branch .LBB55_895
.LBB55_891:
	s_mov_b32 s30, -1
                                        ; implicit-def: $vgpr3
.LBB55_892:
	s_delay_alu instid0(SALU_CYCLE_1)
	s_and_not1_b32 vcc_lo, exec_lo, s30
	s_cbranch_vccnz .LBB55_894
; %bb.893:
	s_wait_loadcnt 0x0
	global_load_b32 v3, v[10:11], off
	s_wait_loadcnt 0x0
	v_cvt_i32_f32_e32 v3, v3
.LBB55_894:
	s_mov_b32 s30, 0
.LBB55_895:
	s_delay_alu instid0(SALU_CYCLE_1)
	s_and_not1_b32 vcc_lo, exec_lo, s30
	s_cbranch_vccnz .LBB55_897
; %bb.896:
	s_wait_loadcnt 0x0
	global_load_b32 v3, v[10:11], off
	s_wait_loadcnt 0x0
	v_cvt_f32_f16_e32 v3, v3
	s_delay_alu instid0(VALU_DEP_1)
	v_cvt_i32_f32_e32 v3, v3
.LBB55_897:
	s_mov_b32 s30, 0
.LBB55_898:
	s_delay_alu instid0(SALU_CYCLE_1)
	s_and_not1_b32 vcc_lo, exec_lo, s30
	s_cbranch_vccnz .LBB55_909
; %bb.899:
	s_cmp_lt_i32 s0, 6
	s_cbranch_scc1 .LBB55_902
; %bb.900:
	s_cmp_gt_i32 s0, 6
	s_cbranch_scc0 .LBB55_903
; %bb.901:
	global_load_b64 v[12:13], v[10:11], off
	s_mov_b32 s30, 0
	s_wait_loadcnt 0x0
	v_cvt_i32_f64_e32 v3, v[12:13]
	s_branch .LBB55_904
.LBB55_902:
	s_mov_b32 s30, -1
                                        ; implicit-def: $vgpr3
	s_branch .LBB55_907
.LBB55_903:
	s_mov_b32 s30, -1
                                        ; implicit-def: $vgpr3
.LBB55_904:
	s_delay_alu instid0(SALU_CYCLE_1)
	s_and_not1_b32 vcc_lo, exec_lo, s30
	s_cbranch_vccnz .LBB55_906
; %bb.905:
	s_wait_loadcnt 0x0
	global_load_b32 v3, v[10:11], off
	s_wait_loadcnt 0x0
	v_cvt_i32_f32_e32 v3, v3
.LBB55_906:
	s_mov_b32 s30, 0
.LBB55_907:
	s_delay_alu instid0(SALU_CYCLE_1)
	s_and_not1_b32 vcc_lo, exec_lo, s30
	s_cbranch_vccnz .LBB55_909
; %bb.908:
	s_wait_loadcnt 0x0
	global_load_u16 v3, v[10:11], off
	s_wait_loadcnt 0x0
	v_cvt_f32_f16_e32 v3, v3
	s_delay_alu instid0(VALU_DEP_1)
	v_cvt_i32_f32_e32 v3, v3
.LBB55_909:
	s_mov_b32 s30, 0
.LBB55_910:
	s_delay_alu instid0(SALU_CYCLE_1)
	s_and_not1_b32 vcc_lo, exec_lo, s30
	s_cbranch_vccnz .LBB55_930
; %bb.911:
	s_cmp_lt_i32 s0, 2
	s_cbranch_scc1 .LBB55_915
; %bb.912:
	s_cmp_lt_i32 s0, 3
	s_cbranch_scc1 .LBB55_916
; %bb.913:
	s_cmp_gt_i32 s0, 3
	s_cbranch_scc0 .LBB55_917
; %bb.914:
	s_wait_loadcnt 0x0
	global_load_b32 v3, v[10:11], off
	s_mov_b32 s30, 0
	s_branch .LBB55_918
.LBB55_915:
	s_mov_b32 s30, -1
                                        ; implicit-def: $vgpr3
	s_branch .LBB55_924
.LBB55_916:
	s_mov_b32 s30, -1
                                        ; implicit-def: $vgpr3
	s_branch .LBB55_921
.LBB55_917:
	s_mov_b32 s30, -1
                                        ; implicit-def: $vgpr3
.LBB55_918:
	s_delay_alu instid0(SALU_CYCLE_1)
	s_and_not1_b32 vcc_lo, exec_lo, s30
	s_cbranch_vccnz .LBB55_920
; %bb.919:
	s_wait_loadcnt 0x0
	global_load_b32 v3, v[10:11], off
.LBB55_920:
	s_mov_b32 s30, 0
.LBB55_921:
	s_delay_alu instid0(SALU_CYCLE_1)
	s_and_not1_b32 vcc_lo, exec_lo, s30
	s_cbranch_vccnz .LBB55_923
; %bb.922:
	s_wait_loadcnt 0x0
	global_load_i16 v3, v[10:11], off
.LBB55_923:
	s_mov_b32 s30, 0
.LBB55_924:
	s_delay_alu instid0(SALU_CYCLE_1)
	s_and_not1_b32 vcc_lo, exec_lo, s30
	s_cbranch_vccnz .LBB55_930
; %bb.925:
	s_cmp_gt_i32 s0, 0
	s_mov_b32 s0, 0
	s_cbranch_scc0 .LBB55_927
; %bb.926:
	s_wait_loadcnt 0x0
	global_load_i8 v3, v[10:11], off
	s_branch .LBB55_928
.LBB55_927:
	s_mov_b32 s0, -1
                                        ; implicit-def: $vgpr3
.LBB55_928:
	s_delay_alu instid0(SALU_CYCLE_1)
	s_and_not1_b32 vcc_lo, exec_lo, s0
	s_cbranch_vccnz .LBB55_930
; %bb.929:
	s_wait_loadcnt 0x0
	global_load_u8 v3, v[10:11], off
.LBB55_930:
	s_mov_b32 s31, -1
.LBB55_931:
	s_delay_alu instid0(SALU_CYCLE_1)
	s_and_not1_b32 vcc_lo, exec_lo, s31
	s_cbranch_vccnz .LBB55_939
; %bb.932:
	s_load_b256 s[4:11], s[2:3], 0x248
	v_mov_b32_e32 v9, 0
	s_and_b32 s0, s50, 0xff
	s_delay_alu instid0(SALU_CYCLE_1) | instskip(SKIP_1) | instid1(VALU_DEP_1)
	s_cmp_lt_i32 s0, 11
	s_wait_kmcnt 0x0
	v_add_nc_u64_e32 v[10:11], s[10:11], v[8:9]
	s_cbranch_scc1 .LBB55_940
; %bb.933:
	s_and_b32 s31, 0xffff, s0
	s_delay_alu instid0(SALU_CYCLE_1)
	s_cmp_gt_i32 s31, 25
	s_cbranch_scc0 .LBB55_941
; %bb.934:
	s_cmp_gt_i32 s31, 28
	s_cbranch_scc0 .LBB55_942
; %bb.935:
	;; [unrolled: 3-line block ×4, first 2 shown]
	s_cmp_eq_u32 s31, 46
	s_mov_b32 s36, 0
	s_cbranch_scc0 .LBB55_946
; %bb.938:
	global_load_b32 v5, v[10:11], off
	s_mov_b32 s49, -1
	s_mov_b32 s30, 0
	s_wait_loadcnt 0x0
	v_lshlrev_b32_e32 v5, 16, v5
	s_delay_alu instid0(VALU_DEP_1)
	v_cvt_i32_f32_e32 v8, v5
	s_branch .LBB55_948
.LBB55_939:
	s_mov_b32 s0, 0
	s_mov_b32 s36, s45
	;; [unrolled: 1-line block ×9, first 2 shown]
	s_branch .LBB55_1324
.LBB55_940:
	s_mov_b32 s31, -1
	s_mov_b32 s49, 0
	s_mov_b32 s30, s88
                                        ; implicit-def: $vgpr8
	s_branch .LBB55_1009
.LBB55_941:
	s_mov_b32 s36, -1
	s_mov_b32 s49, 0
	s_mov_b32 s30, s88
                                        ; implicit-def: $vgpr8
	s_branch .LBB55_975
.LBB55_942:
	s_mov_b32 s36, -1
	s_mov_b32 s49, 0
	s_mov_b32 s30, s88
                                        ; implicit-def: $vgpr8
	s_branch .LBB55_958
.LBB55_943:
	s_mov_b32 s36, -1
	s_mov_b32 s49, 0
	s_mov_b32 s30, s88
                                        ; implicit-def: $vgpr8
	s_branch .LBB55_953
.LBB55_944:
	s_mov_b32 s36, -1
	s_mov_b32 s49, 0
	s_mov_b32 s30, s88
	s_branch .LBB55_947
.LBB55_945:
	s_mov_b32 s36, -1
	s_mov_b32 s56, 0
	s_mov_b32 s59, 0
	s_branch .LBB55_1893
.LBB55_946:
	s_mov_b32 s30, -1
	s_mov_b32 s49, 0
.LBB55_947:
                                        ; implicit-def: $vgpr8
.LBB55_948:
	s_and_b32 vcc_lo, exec_lo, s36
	s_cbranch_vccz .LBB55_952
; %bb.949:
	s_cmp_eq_u32 s31, 44
	s_cbranch_scc0 .LBB55_951
; %bb.950:
	global_load_u8 v5, v[10:11], off
	s_mov_b32 s30, 0
	s_mov_b32 s49, -1
	s_wait_loadcnt 0x0
	v_lshlrev_b32_e32 v7, 23, v5
	v_cmp_ne_u32_e32 vcc_lo, 0, v5
	s_delay_alu instid0(VALU_DEP_2) | instskip(NEXT) | instid1(VALU_DEP_1)
	v_cvt_i32_f32_e32 v7, v7
	v_cndmask_b32_e32 v8, 0, v7, vcc_lo
	s_branch .LBB55_952
.LBB55_951:
	s_mov_b32 s30, -1
                                        ; implicit-def: $vgpr8
.LBB55_952:
	s_mov_b32 s36, 0
.LBB55_953:
	s_delay_alu instid0(SALU_CYCLE_1)
	s_and_b32 vcc_lo, exec_lo, s36
	s_cbranch_vccz .LBB55_957
; %bb.954:
	s_cmp_eq_u32 s31, 29
	s_cbranch_scc0 .LBB55_956
; %bb.955:
	global_load_b32 v8, v[10:11], off
	s_mov_b32 s49, -1
	s_mov_b32 s30, 0
	s_branch .LBB55_957
.LBB55_956:
	s_mov_b32 s30, -1
                                        ; implicit-def: $vgpr8
.LBB55_957:
	s_mov_b32 s36, 0
.LBB55_958:
	s_delay_alu instid0(SALU_CYCLE_1)
	s_and_b32 vcc_lo, exec_lo, s36
	s_cbranch_vccz .LBB55_974
; %bb.959:
	s_cmp_lt_i32 s31, 27
	s_cbranch_scc1 .LBB55_962
; %bb.960:
	s_cmp_gt_i32 s31, 27
	s_cbranch_scc0 .LBB55_963
; %bb.961:
	s_wait_loadcnt 0x0
	global_load_b32 v8, v[10:11], off
	s_mov_b32 s36, 0
	s_branch .LBB55_964
.LBB55_962:
	s_mov_b32 s36, -1
                                        ; implicit-def: $vgpr8
	s_branch .LBB55_967
.LBB55_963:
	s_mov_b32 s36, -1
                                        ; implicit-def: $vgpr8
.LBB55_964:
	s_delay_alu instid0(SALU_CYCLE_1)
	s_and_not1_b32 vcc_lo, exec_lo, s36
	s_cbranch_vccnz .LBB55_966
; %bb.965:
	s_wait_loadcnt 0x0
	global_load_u16 v8, v[10:11], off
.LBB55_966:
	s_mov_b32 s36, 0
.LBB55_967:
	s_delay_alu instid0(SALU_CYCLE_1)
	s_and_not1_b32 vcc_lo, exec_lo, s36
	s_cbranch_vccnz .LBB55_973
; %bb.968:
	global_load_u8 v5, v[10:11], off
	s_mov_b32 s37, 0
	s_mov_b32 s4, exec_lo
	s_wait_loadcnt 0x0
	v_cmpx_lt_i16_e32 0x7f, v5
	s_xor_b32 s36, exec_lo, s4
	s_cbranch_execz .LBB55_985
; %bb.969:
	v_cmp_ne_u16_e32 vcc_lo, 0x80, v5
	s_and_b32 s37, vcc_lo, exec_lo
	s_and_not1_saveexec_b32 s36, s36
	s_cbranch_execnz .LBB55_986
.LBB55_970:
	s_or_b32 exec_lo, exec_lo, s36
	v_mov_b32_e32 v8, 0
	s_and_saveexec_b32 s36, s37
	s_cbranch_execz .LBB55_972
.LBB55_971:
	v_and_b32_e32 v7, 0xffff, v5
	s_delay_alu instid0(VALU_DEP_1) | instskip(SKIP_1) | instid1(VALU_DEP_2)
	v_and_b32_e32 v8, 7, v7
	v_bfe_u32 v13, v7, 3, 4
	v_clz_i32_u32_e32 v9, v8
	s_delay_alu instid0(VALU_DEP_2) | instskip(NEXT) | instid1(VALU_DEP_2)
	v_cmp_eq_u32_e32 vcc_lo, 0, v13
	v_min_u32_e32 v9, 32, v9
	s_delay_alu instid0(VALU_DEP_1) | instskip(NEXT) | instid1(VALU_DEP_1)
	v_subrev_nc_u32_e32 v12, 28, v9
	v_dual_lshlrev_b32 v7, v12, v7 :: v_dual_sub_nc_u32 v9, 29, v9
	s_delay_alu instid0(VALU_DEP_1) | instskip(NEXT) | instid1(VALU_DEP_1)
	v_dual_lshlrev_b32 v5, 24, v5 :: v_dual_bitop2_b32 v7, 7, v7 bitop3:0x40
	v_dual_cndmask_b32 v7, v8, v7, vcc_lo :: v_dual_cndmask_b32 v9, v13, v9, vcc_lo
	s_delay_alu instid0(VALU_DEP_2) | instskip(NEXT) | instid1(VALU_DEP_2)
	v_and_b32_e32 v5, 0x80000000, v5
	v_lshlrev_b32_e32 v7, 20, v7
	s_delay_alu instid0(VALU_DEP_3) | instskip(NEXT) | instid1(VALU_DEP_1)
	v_lshl_add_u32 v8, v9, 23, 0x3b800000
	v_or3_b32 v5, v5, v8, v7
	s_delay_alu instid0(VALU_DEP_1)
	v_cvt_i32_f32_e32 v8, v5
.LBB55_972:
	s_or_b32 exec_lo, exec_lo, s36
.LBB55_973:
	s_mov_b32 s49, -1
.LBB55_974:
	s_mov_b32 s36, 0
.LBB55_975:
	s_delay_alu instid0(SALU_CYCLE_1)
	s_and_b32 vcc_lo, exec_lo, s36
	s_cbranch_vccz .LBB55_1008
; %bb.976:
	s_cmp_gt_i32 s31, 22
	s_cbranch_scc0 .LBB55_984
; %bb.977:
	s_cmp_lt_i32 s31, 24
	s_cbranch_scc1 .LBB55_987
; %bb.978:
	s_cmp_gt_i32 s31, 24
	s_cbranch_scc0 .LBB55_988
; %bb.979:
	global_load_u8 v5, v[10:11], off
	s_mov_b32 s37, 0
	s_mov_b32 s4, exec_lo
	s_wait_loadcnt 0x0
	v_cmpx_lt_i16_e32 0x7f, v5
	s_xor_b32 s36, exec_lo, s4
	s_cbranch_execz .LBB55_1000
; %bb.980:
	v_cmp_ne_u16_e32 vcc_lo, 0x80, v5
	s_and_b32 s37, vcc_lo, exec_lo
	s_and_not1_saveexec_b32 s36, s36
	s_cbranch_execnz .LBB55_1001
.LBB55_981:
	s_or_b32 exec_lo, exec_lo, s36
	v_mov_b32_e32 v8, 0
	s_and_saveexec_b32 s36, s37
	s_cbranch_execz .LBB55_983
.LBB55_982:
	v_and_b32_e32 v7, 0xffff, v5
	s_delay_alu instid0(VALU_DEP_1) | instskip(SKIP_1) | instid1(VALU_DEP_2)
	v_and_b32_e32 v8, 3, v7
	v_bfe_u32 v13, v7, 2, 5
	v_clz_i32_u32_e32 v9, v8
	s_delay_alu instid0(VALU_DEP_2) | instskip(NEXT) | instid1(VALU_DEP_2)
	v_cmp_eq_u32_e32 vcc_lo, 0, v13
	v_min_u32_e32 v9, 32, v9
	s_delay_alu instid0(VALU_DEP_1) | instskip(NEXT) | instid1(VALU_DEP_1)
	v_subrev_nc_u32_e32 v12, 29, v9
	v_dual_lshlrev_b32 v7, v12, v7 :: v_dual_sub_nc_u32 v9, 30, v9
	s_delay_alu instid0(VALU_DEP_1) | instskip(NEXT) | instid1(VALU_DEP_1)
	v_dual_lshlrev_b32 v5, 24, v5 :: v_dual_bitop2_b32 v7, 3, v7 bitop3:0x40
	v_dual_cndmask_b32 v7, v8, v7, vcc_lo :: v_dual_cndmask_b32 v9, v13, v9, vcc_lo
	s_delay_alu instid0(VALU_DEP_2) | instskip(NEXT) | instid1(VALU_DEP_2)
	v_and_b32_e32 v5, 0x80000000, v5
	v_lshlrev_b32_e32 v7, 21, v7
	s_delay_alu instid0(VALU_DEP_3) | instskip(NEXT) | instid1(VALU_DEP_1)
	v_lshl_add_u32 v8, v9, 23, 0x37800000
	v_or3_b32 v5, v5, v8, v7
	s_delay_alu instid0(VALU_DEP_1)
	v_cvt_i32_f32_e32 v8, v5
.LBB55_983:
	s_or_b32 exec_lo, exec_lo, s36
	s_mov_b32 s36, 0
	s_branch .LBB55_989
.LBB55_984:
	s_mov_b32 s36, -1
                                        ; implicit-def: $vgpr8
	s_branch .LBB55_995
.LBB55_985:
	s_and_not1_saveexec_b32 s36, s36
	s_cbranch_execz .LBB55_970
.LBB55_986:
	v_cmp_ne_u16_e32 vcc_lo, 0, v5
	s_and_not1_b32 s4, s37, exec_lo
	s_and_b32 s5, vcc_lo, exec_lo
	s_delay_alu instid0(SALU_CYCLE_1)
	s_or_b32 s37, s4, s5
	s_or_b32 exec_lo, exec_lo, s36
	v_mov_b32_e32 v8, 0
	s_and_saveexec_b32 s36, s37
	s_cbranch_execnz .LBB55_971
	s_branch .LBB55_972
.LBB55_987:
	s_mov_b32 s36, -1
                                        ; implicit-def: $vgpr8
	s_branch .LBB55_992
.LBB55_988:
	s_mov_b32 s36, -1
                                        ; implicit-def: $vgpr8
.LBB55_989:
	s_delay_alu instid0(SALU_CYCLE_1)
	s_and_b32 vcc_lo, exec_lo, s36
	s_cbranch_vccz .LBB55_991
; %bb.990:
	global_load_u8 v5, v[10:11], off
	s_wait_loadcnt 0x0
	v_lshlrev_b32_e32 v5, 24, v5
	s_delay_alu instid0(VALU_DEP_1) | instskip(NEXT) | instid1(VALU_DEP_1)
	v_and_b32_e32 v7, 0x7f000000, v5
	v_clz_i32_u32_e32 v8, v7
	v_cmp_ne_u32_e32 vcc_lo, 0, v7
	v_add_nc_u32_e32 v12, 0x1000000, v7
	s_delay_alu instid0(VALU_DEP_3) | instskip(NEXT) | instid1(VALU_DEP_1)
	v_min_u32_e32 v8, 32, v8
	v_sub_nc_u32_e64 v8, v8, 4 clamp
	s_delay_alu instid0(VALU_DEP_1) | instskip(NEXT) | instid1(VALU_DEP_1)
	v_dual_lshlrev_b32 v9, v8, v7 :: v_dual_lshlrev_b32 v8, 23, v8
	v_lshrrev_b32_e32 v9, 4, v9
	s_delay_alu instid0(VALU_DEP_1) | instskip(SKIP_1) | instid1(VALU_DEP_2)
	v_sub_nc_u32_e32 v8, v9, v8
	v_ashrrev_i32_e32 v9, 8, v12
	v_add_nc_u32_e32 v8, 0x3c000000, v8
	s_delay_alu instid0(VALU_DEP_1) | instskip(NEXT) | instid1(VALU_DEP_1)
	v_and_or_b32 v8, 0x7f800000, v9, v8
	v_cndmask_b32_e32 v7, 0, v8, vcc_lo
	s_delay_alu instid0(VALU_DEP_1) | instskip(NEXT) | instid1(VALU_DEP_1)
	v_and_or_b32 v5, 0x80000000, v5, v7
	v_cvt_i32_f32_e32 v8, v5
.LBB55_991:
	s_mov_b32 s36, 0
.LBB55_992:
	s_delay_alu instid0(SALU_CYCLE_1)
	s_and_not1_b32 vcc_lo, exec_lo, s36
	s_cbranch_vccnz .LBB55_994
; %bb.993:
	global_load_u8 v5, v[10:11], off
	s_wait_loadcnt 0x0
	v_lshlrev_b32_e32 v7, 25, v5
	v_lshlrev_b16 v5, 8, v5
	s_delay_alu instid0(VALU_DEP_1) | instskip(NEXT) | instid1(VALU_DEP_3)
	v_and_or_b32 v9, 0x7f00, v5, 0.5
	v_lshrrev_b32_e32 v8, 4, v7
	v_bfe_i32 v5, v5, 0, 16
	s_delay_alu instid0(VALU_DEP_3) | instskip(NEXT) | instid1(VALU_DEP_3)
	v_add_f32_e32 v9, -0.5, v9
	v_or_b32_e32 v8, 0x70000000, v8
	s_delay_alu instid0(VALU_DEP_1) | instskip(SKIP_1) | instid1(VALU_DEP_2)
	v_mul_f32_e32 v8, 0x7800000, v8
	v_cmp_gt_u32_e32 vcc_lo, 0x8000000, v7
	v_cndmask_b32_e32 v7, v8, v9, vcc_lo
	s_delay_alu instid0(VALU_DEP_1) | instskip(NEXT) | instid1(VALU_DEP_1)
	v_and_or_b32 v5, 0x80000000, v5, v7
	v_cvt_i32_f32_e32 v8, v5
.LBB55_994:
	s_mov_b32 s36, 0
	s_mov_b32 s49, -1
.LBB55_995:
	s_and_not1_b32 vcc_lo, exec_lo, s36
	s_cbranch_vccnz .LBB55_1008
; %bb.996:
	s_cmp_gt_i32 s31, 14
	s_cbranch_scc0 .LBB55_999
; %bb.997:
	s_cmp_eq_u32 s31, 15
	s_cbranch_scc0 .LBB55_1002
; %bb.998:
	global_load_u16 v5, v[10:11], off
	s_mov_b32 s49, -1
	s_mov_b32 s30, 0
	s_wait_loadcnt 0x0
	v_lshlrev_b32_e32 v5, 16, v5
	s_delay_alu instid0(VALU_DEP_1)
	v_cvt_i32_f32_e32 v8, v5
	s_branch .LBB55_1003
.LBB55_999:
	s_mov_b32 s36, -1
                                        ; implicit-def: $vgpr8
	s_branch .LBB55_1004
.LBB55_1000:
	s_and_not1_saveexec_b32 s36, s36
	s_cbranch_execz .LBB55_981
.LBB55_1001:
	v_cmp_ne_u16_e32 vcc_lo, 0, v5
	s_and_not1_b32 s4, s37, exec_lo
	s_and_b32 s5, vcc_lo, exec_lo
	s_delay_alu instid0(SALU_CYCLE_1)
	s_or_b32 s37, s4, s5
	s_or_b32 exec_lo, exec_lo, s36
	v_mov_b32_e32 v8, 0
	s_and_saveexec_b32 s36, s37
	s_cbranch_execnz .LBB55_982
	s_branch .LBB55_983
.LBB55_1002:
	s_mov_b32 s30, -1
                                        ; implicit-def: $vgpr8
.LBB55_1003:
	s_mov_b32 s36, 0
.LBB55_1004:
	s_delay_alu instid0(SALU_CYCLE_1)
	s_and_b32 vcc_lo, exec_lo, s36
	s_cbranch_vccz .LBB55_1008
; %bb.1005:
	s_cmp_eq_u32 s31, 11
	s_cbranch_scc0 .LBB55_1007
; %bb.1006:
	global_load_u8 v5, v[10:11], off
	s_mov_b32 s30, 0
	s_mov_b32 s49, -1
	s_wait_loadcnt 0x0
	v_cmp_ne_u16_e32 vcc_lo, 0, v5
	v_cndmask_b32_e64 v8, 0, 1, vcc_lo
	s_branch .LBB55_1008
.LBB55_1007:
	s_mov_b32 s30, -1
                                        ; implicit-def: $vgpr8
.LBB55_1008:
	s_mov_b32 s31, 0
.LBB55_1009:
	s_delay_alu instid0(SALU_CYCLE_1)
	s_and_b32 vcc_lo, exec_lo, s31
	s_cbranch_vccz .LBB55_1058
; %bb.1010:
	s_and_b32 s0, 0xffff, s0
	s_delay_alu instid0(SALU_CYCLE_1)
	s_cmp_lt_i32 s0, 5
	s_cbranch_scc1 .LBB55_1015
; %bb.1011:
	s_cmp_lt_i32 s0, 8
	s_cbranch_scc1 .LBB55_1016
; %bb.1012:
	;; [unrolled: 3-line block ×3, first 2 shown]
	s_cmp_gt_i32 s0, 9
	s_cbranch_scc0 .LBB55_1018
; %bb.1014:
	s_wait_loadcnt 0x0
	global_load_b64 v[8:9], v[10:11], off
	s_mov_b32 s31, 0
	s_wait_loadcnt 0x0
	v_cvt_i32_f64_e32 v8, v[8:9]
	s_branch .LBB55_1019
.LBB55_1015:
	s_mov_b32 s31, -1
                                        ; implicit-def: $vgpr8
	s_branch .LBB55_1037
.LBB55_1016:
	s_mov_b32 s31, -1
                                        ; implicit-def: $vgpr8
	s_branch .LBB55_1025
.LBB55_1017:
	s_mov_b32 s31, -1
                                        ; implicit-def: $vgpr8
	s_branch .LBB55_1022
.LBB55_1018:
	s_mov_b32 s31, -1
                                        ; implicit-def: $vgpr8
.LBB55_1019:
	s_delay_alu instid0(SALU_CYCLE_1)
	s_and_not1_b32 vcc_lo, exec_lo, s31
	s_cbranch_vccnz .LBB55_1021
; %bb.1020:
	global_load_b32 v5, v[10:11], off
	s_wait_loadcnt 0x0
	v_cvt_i32_f32_e32 v8, v5
.LBB55_1021:
	s_mov_b32 s31, 0
.LBB55_1022:
	s_delay_alu instid0(SALU_CYCLE_1)
	s_and_not1_b32 vcc_lo, exec_lo, s31
	s_cbranch_vccnz .LBB55_1024
; %bb.1023:
	global_load_b32 v5, v[10:11], off
	s_wait_loadcnt 0x0
	v_cvt_f32_f16_e32 v5, v5
	s_delay_alu instid0(VALU_DEP_1)
	v_cvt_i32_f32_e32 v8, v5
.LBB55_1024:
	s_mov_b32 s31, 0
.LBB55_1025:
	s_delay_alu instid0(SALU_CYCLE_1)
	s_and_not1_b32 vcc_lo, exec_lo, s31
	s_cbranch_vccnz .LBB55_1036
; %bb.1026:
	s_cmp_lt_i32 s0, 6
	s_cbranch_scc1 .LBB55_1029
; %bb.1027:
	s_cmp_gt_i32 s0, 6
	s_cbranch_scc0 .LBB55_1030
; %bb.1028:
	s_wait_loadcnt 0x0
	global_load_b64 v[8:9], v[10:11], off
	s_mov_b32 s31, 0
	s_wait_loadcnt 0x0
	v_cvt_i32_f64_e32 v8, v[8:9]
	s_branch .LBB55_1031
.LBB55_1029:
	s_mov_b32 s31, -1
                                        ; implicit-def: $vgpr8
	s_branch .LBB55_1034
.LBB55_1030:
	s_mov_b32 s31, -1
                                        ; implicit-def: $vgpr8
.LBB55_1031:
	s_delay_alu instid0(SALU_CYCLE_1)
	s_and_not1_b32 vcc_lo, exec_lo, s31
	s_cbranch_vccnz .LBB55_1033
; %bb.1032:
	global_load_b32 v5, v[10:11], off
	s_wait_loadcnt 0x0
	v_cvt_i32_f32_e32 v8, v5
.LBB55_1033:
	s_mov_b32 s31, 0
.LBB55_1034:
	s_delay_alu instid0(SALU_CYCLE_1)
	s_and_not1_b32 vcc_lo, exec_lo, s31
	s_cbranch_vccnz .LBB55_1036
; %bb.1035:
	global_load_u16 v5, v[10:11], off
	s_wait_loadcnt 0x0
	v_cvt_f32_f16_e32 v5, v5
	s_delay_alu instid0(VALU_DEP_1)
	v_cvt_i32_f32_e32 v8, v5
.LBB55_1036:
	s_mov_b32 s31, 0
.LBB55_1037:
	s_delay_alu instid0(SALU_CYCLE_1)
	s_and_not1_b32 vcc_lo, exec_lo, s31
	s_cbranch_vccnz .LBB55_1057
; %bb.1038:
	s_cmp_lt_i32 s0, 2
	s_cbranch_scc1 .LBB55_1042
; %bb.1039:
	s_cmp_lt_i32 s0, 3
	s_cbranch_scc1 .LBB55_1043
; %bb.1040:
	s_cmp_gt_i32 s0, 3
	s_cbranch_scc0 .LBB55_1044
; %bb.1041:
	s_wait_loadcnt 0x0
	global_load_b32 v8, v[10:11], off
	s_mov_b32 s31, 0
	s_branch .LBB55_1045
.LBB55_1042:
	s_mov_b32 s31, -1
                                        ; implicit-def: $vgpr8
	s_branch .LBB55_1051
.LBB55_1043:
	s_mov_b32 s31, -1
                                        ; implicit-def: $vgpr8
	s_branch .LBB55_1048
.LBB55_1044:
	s_mov_b32 s31, -1
                                        ; implicit-def: $vgpr8
.LBB55_1045:
	s_delay_alu instid0(SALU_CYCLE_1)
	s_and_not1_b32 vcc_lo, exec_lo, s31
	s_cbranch_vccnz .LBB55_1047
; %bb.1046:
	s_wait_loadcnt 0x0
	global_load_b32 v8, v[10:11], off
.LBB55_1047:
	s_mov_b32 s31, 0
.LBB55_1048:
	s_delay_alu instid0(SALU_CYCLE_1)
	s_and_not1_b32 vcc_lo, exec_lo, s31
	s_cbranch_vccnz .LBB55_1050
; %bb.1049:
	s_wait_loadcnt 0x0
	global_load_i16 v8, v[10:11], off
.LBB55_1050:
	s_mov_b32 s31, 0
.LBB55_1051:
	s_delay_alu instid0(SALU_CYCLE_1)
	s_and_not1_b32 vcc_lo, exec_lo, s31
	s_cbranch_vccnz .LBB55_1057
; %bb.1052:
	s_cmp_gt_i32 s0, 0
	s_mov_b32 s0, 0
	s_cbranch_scc0 .LBB55_1054
; %bb.1053:
	s_wait_loadcnt 0x0
	global_load_i8 v8, v[10:11], off
	s_branch .LBB55_1055
.LBB55_1054:
	s_mov_b32 s0, -1
                                        ; implicit-def: $vgpr8
.LBB55_1055:
	s_delay_alu instid0(SALU_CYCLE_1)
	s_and_not1_b32 vcc_lo, exec_lo, s0
	s_cbranch_vccnz .LBB55_1057
; %bb.1056:
	s_wait_loadcnt 0x0
	global_load_u8 v8, v[10:11], off
.LBB55_1057:
	s_mov_b32 s49, -1
.LBB55_1058:
	s_delay_alu instid0(SALU_CYCLE_1)
	s_and_not1_b32 vcc_lo, exec_lo, s49
	s_cbranch_vccnz .LBB55_1066
; %bb.1059:
	s_load_b128 s[4:7], s[2:3], 0x268
	v_mov_b32_e32 v7, 0
	s_and_b32 s0, s35, 0xff
	s_delay_alu instid0(SALU_CYCLE_1) | instskip(SKIP_1) | instid1(VALU_DEP_1)
	s_cmp_lt_i32 s0, 11
	s_wait_kmcnt 0x0
	v_add_nc_u64_e32 v[10:11], s[4:5], v[6:7]
	s_cbranch_scc1 .LBB55_1067
; %bb.1060:
	s_and_b32 s49, 0xffff, s0
	s_delay_alu instid0(SALU_CYCLE_1)
	s_cmp_gt_i32 s49, 25
	s_cbranch_scc0 .LBB55_1068
; %bb.1061:
	s_cmp_gt_i32 s49, 28
	s_cbranch_scc0 .LBB55_1069
; %bb.1062:
	;; [unrolled: 3-line block ×4, first 2 shown]
	s_cmp_eq_u32 s49, 46
	s_mov_b32 s36, 0
	s_cbranch_scc0 .LBB55_1073
; %bb.1065:
	global_load_b32 v5, v[10:11], off
	s_mov_b32 s56, -1
	s_mov_b32 s31, 0
	s_wait_loadcnt 0x0
	v_lshlrev_b32_e32 v5, 16, v5
	s_delay_alu instid0(VALU_DEP_1)
	v_cvt_i32_f32_e32 v6, v5
	s_branch .LBB55_1075
.LBB55_1066:
	s_mov_b32 s0, 0
	s_mov_b32 s36, s45
	;; [unrolled: 1-line block ×8, first 2 shown]
	s_branch .LBB55_1324
.LBB55_1067:
	s_mov_b32 s36, -1
	s_mov_b32 s56, 0
	s_mov_b32 s31, s87
                                        ; implicit-def: $vgpr6
	s_branch .LBB55_1136
.LBB55_1068:
	s_mov_b32 s36, -1
	s_mov_b32 s56, 0
	s_mov_b32 s31, s87
                                        ; implicit-def: $vgpr6
	s_branch .LBB55_1102
.LBB55_1069:
	s_mov_b32 s36, -1
	s_mov_b32 s56, 0
	s_mov_b32 s31, s87
                                        ; implicit-def: $vgpr6
	s_branch .LBB55_1085
.LBB55_1070:
	s_mov_b32 s36, -1
	s_mov_b32 s56, 0
	s_mov_b32 s31, s87
                                        ; implicit-def: $vgpr6
	s_branch .LBB55_1080
.LBB55_1071:
	s_mov_b32 s36, -1
	s_mov_b32 s56, 0
	s_mov_b32 s31, s87
	s_branch .LBB55_1074
.LBB55_1072:
	s_mov_b32 s36, -1
	s_mov_b32 s56, 0
	s_mov_b32 s59, 0
	s_branch .LBB55_1882
.LBB55_1073:
	s_mov_b32 s31, -1
	s_mov_b32 s56, 0
.LBB55_1074:
                                        ; implicit-def: $vgpr6
.LBB55_1075:
	s_and_b32 vcc_lo, exec_lo, s36
	s_cbranch_vccz .LBB55_1079
; %bb.1076:
	s_cmp_eq_u32 s49, 44
	s_cbranch_scc0 .LBB55_1078
; %bb.1077:
	global_load_u8 v5, v[10:11], off
	s_mov_b32 s31, 0
	s_mov_b32 s56, -1
	s_wait_loadcnt 0x0
	v_lshlrev_b32_e32 v6, 23, v5
	v_cmp_ne_u32_e32 vcc_lo, 0, v5
	s_delay_alu instid0(VALU_DEP_2) | instskip(NEXT) | instid1(VALU_DEP_1)
	v_cvt_i32_f32_e32 v6, v6
	v_cndmask_b32_e32 v6, 0, v6, vcc_lo
	s_branch .LBB55_1079
.LBB55_1078:
	s_mov_b32 s31, -1
                                        ; implicit-def: $vgpr6
.LBB55_1079:
	s_mov_b32 s36, 0
.LBB55_1080:
	s_delay_alu instid0(SALU_CYCLE_1)
	s_and_b32 vcc_lo, exec_lo, s36
	s_cbranch_vccz .LBB55_1084
; %bb.1081:
	s_cmp_eq_u32 s49, 29
	s_cbranch_scc0 .LBB55_1083
; %bb.1082:
	global_load_b32 v6, v[10:11], off
	s_mov_b32 s56, -1
	s_mov_b32 s31, 0
	s_branch .LBB55_1084
.LBB55_1083:
	s_mov_b32 s31, -1
                                        ; implicit-def: $vgpr6
.LBB55_1084:
	s_mov_b32 s36, 0
.LBB55_1085:
	s_delay_alu instid0(SALU_CYCLE_1)
	s_and_b32 vcc_lo, exec_lo, s36
	s_cbranch_vccz .LBB55_1101
; %bb.1086:
	s_cmp_lt_i32 s49, 27
	s_cbranch_scc1 .LBB55_1089
; %bb.1087:
	s_cmp_gt_i32 s49, 27
	s_cbranch_scc0 .LBB55_1090
; %bb.1088:
	s_wait_loadcnt 0x0
	global_load_b32 v6, v[10:11], off
	s_mov_b32 s36, 0
	s_branch .LBB55_1091
.LBB55_1089:
	s_mov_b32 s36, -1
                                        ; implicit-def: $vgpr6
	s_branch .LBB55_1094
.LBB55_1090:
	s_mov_b32 s36, -1
                                        ; implicit-def: $vgpr6
.LBB55_1091:
	s_delay_alu instid0(SALU_CYCLE_1)
	s_and_not1_b32 vcc_lo, exec_lo, s36
	s_cbranch_vccnz .LBB55_1093
; %bb.1092:
	s_wait_loadcnt 0x0
	global_load_u16 v6, v[10:11], off
.LBB55_1093:
	s_mov_b32 s36, 0
.LBB55_1094:
	s_delay_alu instid0(SALU_CYCLE_1)
	s_and_not1_b32 vcc_lo, exec_lo, s36
	s_cbranch_vccnz .LBB55_1100
; %bb.1095:
	global_load_u8 v5, v[10:11], off
	s_mov_b32 s37, 0
	s_mov_b32 s4, exec_lo
	s_wait_loadcnt 0x0
	v_cmpx_lt_i16_e32 0x7f, v5
	s_xor_b32 s36, exec_lo, s4
	s_cbranch_execz .LBB55_1112
; %bb.1096:
	v_cmp_ne_u16_e32 vcc_lo, 0x80, v5
	s_and_b32 s37, vcc_lo, exec_lo
	s_and_not1_saveexec_b32 s36, s36
	s_cbranch_execnz .LBB55_1113
.LBB55_1097:
	s_or_b32 exec_lo, exec_lo, s36
	v_mov_b32_e32 v6, 0
	s_and_saveexec_b32 s36, s37
	s_cbranch_execz .LBB55_1099
.LBB55_1098:
	v_and_b32_e32 v6, 0xffff, v5
	s_delay_alu instid0(VALU_DEP_1) | instskip(SKIP_1) | instid1(VALU_DEP_2)
	v_and_b32_e32 v7, 7, v6
	v_bfe_u32 v13, v6, 3, 4
	v_clz_i32_u32_e32 v9, v7
	s_delay_alu instid0(VALU_DEP_2) | instskip(NEXT) | instid1(VALU_DEP_2)
	v_cmp_eq_u32_e32 vcc_lo, 0, v13
	v_min_u32_e32 v9, 32, v9
	s_delay_alu instid0(VALU_DEP_1) | instskip(NEXT) | instid1(VALU_DEP_1)
	v_subrev_nc_u32_e32 v12, 28, v9
	v_dual_lshlrev_b32 v6, v12, v6 :: v_dual_sub_nc_u32 v9, 29, v9
	s_delay_alu instid0(VALU_DEP_1) | instskip(NEXT) | instid1(VALU_DEP_1)
	v_dual_lshlrev_b32 v5, 24, v5 :: v_dual_bitop2_b32 v6, 7, v6 bitop3:0x40
	v_dual_cndmask_b32 v6, v7, v6 :: v_dual_cndmask_b32 v9, v13, v9
	s_delay_alu instid0(VALU_DEP_2) | instskip(NEXT) | instid1(VALU_DEP_2)
	v_and_b32_e32 v5, 0x80000000, v5
	v_lshlrev_b32_e32 v6, 20, v6
	s_delay_alu instid0(VALU_DEP_3) | instskip(NEXT) | instid1(VALU_DEP_1)
	v_lshl_add_u32 v7, v9, 23, 0x3b800000
	v_or3_b32 v5, v5, v7, v6
	s_delay_alu instid0(VALU_DEP_1)
	v_cvt_i32_f32_e32 v6, v5
.LBB55_1099:
	s_or_b32 exec_lo, exec_lo, s36
.LBB55_1100:
	s_mov_b32 s56, -1
.LBB55_1101:
	s_mov_b32 s36, 0
.LBB55_1102:
	s_delay_alu instid0(SALU_CYCLE_1)
	s_and_b32 vcc_lo, exec_lo, s36
	s_cbranch_vccz .LBB55_1135
; %bb.1103:
	s_cmp_gt_i32 s49, 22
	s_cbranch_scc0 .LBB55_1111
; %bb.1104:
	s_cmp_lt_i32 s49, 24
	s_cbranch_scc1 .LBB55_1114
; %bb.1105:
	s_cmp_gt_i32 s49, 24
	s_cbranch_scc0 .LBB55_1115
; %bb.1106:
	global_load_u8 v5, v[10:11], off
	s_mov_b32 s37, 0
	s_mov_b32 s4, exec_lo
	s_wait_loadcnt 0x0
	v_cmpx_lt_i16_e32 0x7f, v5
	s_xor_b32 s36, exec_lo, s4
	s_cbranch_execz .LBB55_1127
; %bb.1107:
	v_cmp_ne_u16_e32 vcc_lo, 0x80, v5
	s_and_b32 s37, vcc_lo, exec_lo
	s_and_not1_saveexec_b32 s36, s36
	s_cbranch_execnz .LBB55_1128
.LBB55_1108:
	s_or_b32 exec_lo, exec_lo, s36
	v_mov_b32_e32 v6, 0
	s_and_saveexec_b32 s36, s37
	s_cbranch_execz .LBB55_1110
.LBB55_1109:
	v_and_b32_e32 v6, 0xffff, v5
	s_delay_alu instid0(VALU_DEP_1) | instskip(SKIP_1) | instid1(VALU_DEP_2)
	v_and_b32_e32 v7, 3, v6
	v_bfe_u32 v13, v6, 2, 5
	v_clz_i32_u32_e32 v9, v7
	s_delay_alu instid0(VALU_DEP_2) | instskip(NEXT) | instid1(VALU_DEP_2)
	v_cmp_eq_u32_e32 vcc_lo, 0, v13
	v_min_u32_e32 v9, 32, v9
	s_delay_alu instid0(VALU_DEP_1) | instskip(NEXT) | instid1(VALU_DEP_1)
	v_subrev_nc_u32_e32 v12, 29, v9
	v_dual_lshlrev_b32 v6, v12, v6 :: v_dual_sub_nc_u32 v9, 30, v9
	s_delay_alu instid0(VALU_DEP_1) | instskip(NEXT) | instid1(VALU_DEP_1)
	v_dual_lshlrev_b32 v5, 24, v5 :: v_dual_bitop2_b32 v6, 3, v6 bitop3:0x40
	v_dual_cndmask_b32 v6, v7, v6 :: v_dual_cndmask_b32 v9, v13, v9
	s_delay_alu instid0(VALU_DEP_2) | instskip(NEXT) | instid1(VALU_DEP_2)
	v_and_b32_e32 v5, 0x80000000, v5
	v_lshlrev_b32_e32 v6, 21, v6
	s_delay_alu instid0(VALU_DEP_3) | instskip(NEXT) | instid1(VALU_DEP_1)
	v_lshl_add_u32 v7, v9, 23, 0x37800000
	v_or3_b32 v5, v5, v7, v6
	s_delay_alu instid0(VALU_DEP_1)
	v_cvt_i32_f32_e32 v6, v5
.LBB55_1110:
	s_or_b32 exec_lo, exec_lo, s36
	s_mov_b32 s36, 0
	s_branch .LBB55_1116
.LBB55_1111:
	s_mov_b32 s36, -1
                                        ; implicit-def: $vgpr6
	s_branch .LBB55_1122
.LBB55_1112:
	s_and_not1_saveexec_b32 s36, s36
	s_cbranch_execz .LBB55_1097
.LBB55_1113:
	v_cmp_ne_u16_e32 vcc_lo, 0, v5
	s_and_not1_b32 s4, s37, exec_lo
	s_and_b32 s5, vcc_lo, exec_lo
	s_delay_alu instid0(SALU_CYCLE_1)
	s_or_b32 s37, s4, s5
	s_or_b32 exec_lo, exec_lo, s36
	v_mov_b32_e32 v6, 0
	s_and_saveexec_b32 s36, s37
	s_cbranch_execnz .LBB55_1098
	s_branch .LBB55_1099
.LBB55_1114:
	s_mov_b32 s36, -1
                                        ; implicit-def: $vgpr6
	s_branch .LBB55_1119
.LBB55_1115:
	s_mov_b32 s36, -1
                                        ; implicit-def: $vgpr6
.LBB55_1116:
	s_delay_alu instid0(SALU_CYCLE_1)
	s_and_b32 vcc_lo, exec_lo, s36
	s_cbranch_vccz .LBB55_1118
; %bb.1117:
	global_load_u8 v5, v[10:11], off
	s_wait_loadcnt 0x0
	v_lshlrev_b32_e32 v5, 24, v5
	s_delay_alu instid0(VALU_DEP_1) | instskip(NEXT) | instid1(VALU_DEP_1)
	v_and_b32_e32 v6, 0x7f000000, v5
	v_clz_i32_u32_e32 v7, v6
	v_add_nc_u32_e32 v12, 0x1000000, v6
	v_cmp_ne_u32_e32 vcc_lo, 0, v6
	s_delay_alu instid0(VALU_DEP_3) | instskip(NEXT) | instid1(VALU_DEP_1)
	v_min_u32_e32 v7, 32, v7
	v_sub_nc_u32_e64 v7, v7, 4 clamp
	s_delay_alu instid0(VALU_DEP_1) | instskip(NEXT) | instid1(VALU_DEP_1)
	v_dual_lshlrev_b32 v9, v7, v6 :: v_dual_lshlrev_b32 v7, 23, v7
	v_lshrrev_b32_e32 v9, 4, v9
	s_delay_alu instid0(VALU_DEP_1) | instskip(NEXT) | instid1(VALU_DEP_1)
	v_dual_sub_nc_u32 v7, v9, v7 :: v_dual_ashrrev_i32 v9, 8, v12
	v_add_nc_u32_e32 v7, 0x3c000000, v7
	s_delay_alu instid0(VALU_DEP_1) | instskip(NEXT) | instid1(VALU_DEP_1)
	v_and_or_b32 v7, 0x7f800000, v9, v7
	v_cndmask_b32_e32 v6, 0, v7, vcc_lo
	s_delay_alu instid0(VALU_DEP_1) | instskip(NEXT) | instid1(VALU_DEP_1)
	v_and_or_b32 v5, 0x80000000, v5, v6
	v_cvt_i32_f32_e32 v6, v5
.LBB55_1118:
	s_mov_b32 s36, 0
.LBB55_1119:
	s_delay_alu instid0(SALU_CYCLE_1)
	s_and_not1_b32 vcc_lo, exec_lo, s36
	s_cbranch_vccnz .LBB55_1121
; %bb.1120:
	global_load_u8 v5, v[10:11], off
	s_wait_loadcnt 0x0
	v_lshlrev_b32_e32 v6, 25, v5
	v_lshlrev_b16 v5, 8, v5
	s_delay_alu instid0(VALU_DEP_1) | instskip(NEXT) | instid1(VALU_DEP_3)
	v_and_or_b32 v9, 0x7f00, v5, 0.5
	v_lshrrev_b32_e32 v7, 4, v6
	v_bfe_i32 v5, v5, 0, 16
	s_delay_alu instid0(VALU_DEP_3) | instskip(NEXT) | instid1(VALU_DEP_3)
	v_add_f32_e32 v9, -0.5, v9
	v_or_b32_e32 v7, 0x70000000, v7
	s_delay_alu instid0(VALU_DEP_1) | instskip(SKIP_1) | instid1(VALU_DEP_2)
	v_mul_f32_e32 v7, 0x7800000, v7
	v_cmp_gt_u32_e32 vcc_lo, 0x8000000, v6
	v_cndmask_b32_e32 v6, v7, v9, vcc_lo
	s_delay_alu instid0(VALU_DEP_1) | instskip(NEXT) | instid1(VALU_DEP_1)
	v_and_or_b32 v5, 0x80000000, v5, v6
	v_cvt_i32_f32_e32 v6, v5
.LBB55_1121:
	s_mov_b32 s36, 0
	s_mov_b32 s56, -1
.LBB55_1122:
	s_and_not1_b32 vcc_lo, exec_lo, s36
	s_cbranch_vccnz .LBB55_1135
; %bb.1123:
	s_cmp_gt_i32 s49, 14
	s_cbranch_scc0 .LBB55_1126
; %bb.1124:
	s_cmp_eq_u32 s49, 15
	s_cbranch_scc0 .LBB55_1129
; %bb.1125:
	global_load_u16 v5, v[10:11], off
	s_mov_b32 s56, -1
	s_mov_b32 s31, 0
	s_wait_loadcnt 0x0
	v_lshlrev_b32_e32 v5, 16, v5
	s_delay_alu instid0(VALU_DEP_1)
	v_cvt_i32_f32_e32 v6, v5
	s_branch .LBB55_1130
.LBB55_1126:
	s_mov_b32 s36, -1
                                        ; implicit-def: $vgpr6
	s_branch .LBB55_1131
.LBB55_1127:
	s_and_not1_saveexec_b32 s36, s36
	s_cbranch_execz .LBB55_1108
.LBB55_1128:
	v_cmp_ne_u16_e32 vcc_lo, 0, v5
	s_and_not1_b32 s4, s37, exec_lo
	s_and_b32 s5, vcc_lo, exec_lo
	s_delay_alu instid0(SALU_CYCLE_1)
	s_or_b32 s37, s4, s5
	s_or_b32 exec_lo, exec_lo, s36
	v_mov_b32_e32 v6, 0
	s_and_saveexec_b32 s36, s37
	s_cbranch_execnz .LBB55_1109
	s_branch .LBB55_1110
.LBB55_1129:
	s_mov_b32 s31, -1
                                        ; implicit-def: $vgpr6
.LBB55_1130:
	s_mov_b32 s36, 0
.LBB55_1131:
	s_delay_alu instid0(SALU_CYCLE_1)
	s_and_b32 vcc_lo, exec_lo, s36
	s_cbranch_vccz .LBB55_1135
; %bb.1132:
	s_cmp_eq_u32 s49, 11
	s_cbranch_scc0 .LBB55_1134
; %bb.1133:
	global_load_u8 v5, v[10:11], off
	s_mov_b32 s31, 0
	s_mov_b32 s56, -1
	s_wait_loadcnt 0x0
	v_cmp_ne_u16_e32 vcc_lo, 0, v5
	v_cndmask_b32_e64 v6, 0, 1, vcc_lo
	s_branch .LBB55_1135
.LBB55_1134:
	s_mov_b32 s31, -1
                                        ; implicit-def: $vgpr6
.LBB55_1135:
	s_mov_b32 s36, 0
.LBB55_1136:
	s_delay_alu instid0(SALU_CYCLE_1)
	s_and_b32 vcc_lo, exec_lo, s36
	s_cbranch_vccz .LBB55_1185
; %bb.1137:
	s_and_b32 s0, 0xffff, s0
	s_delay_alu instid0(SALU_CYCLE_1)
	s_cmp_lt_i32 s0, 5
	s_cbranch_scc1 .LBB55_1142
; %bb.1138:
	s_cmp_lt_i32 s0, 8
	s_cbranch_scc1 .LBB55_1143
; %bb.1139:
	s_cmp_lt_i32 s0, 9
	s_cbranch_scc1 .LBB55_1144
; %bb.1140:
	s_cmp_gt_i32 s0, 9
	s_cbranch_scc0 .LBB55_1145
; %bb.1141:
	s_wait_loadcnt 0x0
	global_load_b64 v[6:7], v[10:11], off
	s_mov_b32 s36, 0
	s_wait_loadcnt 0x0
	v_cvt_i32_f64_e32 v6, v[6:7]
	s_branch .LBB55_1146
.LBB55_1142:
	s_mov_b32 s36, -1
                                        ; implicit-def: $vgpr6
	s_branch .LBB55_1164
.LBB55_1143:
	s_mov_b32 s36, -1
                                        ; implicit-def: $vgpr6
	s_branch .LBB55_1152
.LBB55_1144:
	s_mov_b32 s36, -1
                                        ; implicit-def: $vgpr6
	s_branch .LBB55_1149
.LBB55_1145:
	s_mov_b32 s36, -1
                                        ; implicit-def: $vgpr6
.LBB55_1146:
	s_delay_alu instid0(SALU_CYCLE_1)
	s_and_not1_b32 vcc_lo, exec_lo, s36
	s_cbranch_vccnz .LBB55_1148
; %bb.1147:
	global_load_b32 v5, v[10:11], off
	s_wait_loadcnt 0x0
	v_cvt_i32_f32_e32 v6, v5
.LBB55_1148:
	s_mov_b32 s36, 0
.LBB55_1149:
	s_delay_alu instid0(SALU_CYCLE_1)
	s_and_not1_b32 vcc_lo, exec_lo, s36
	s_cbranch_vccnz .LBB55_1151
; %bb.1150:
	global_load_b32 v5, v[10:11], off
	s_wait_loadcnt 0x0
	v_cvt_f32_f16_e32 v5, v5
	s_delay_alu instid0(VALU_DEP_1)
	v_cvt_i32_f32_e32 v6, v5
.LBB55_1151:
	s_mov_b32 s36, 0
.LBB55_1152:
	s_delay_alu instid0(SALU_CYCLE_1)
	s_and_not1_b32 vcc_lo, exec_lo, s36
	s_cbranch_vccnz .LBB55_1163
; %bb.1153:
	s_cmp_lt_i32 s0, 6
	s_cbranch_scc1 .LBB55_1156
; %bb.1154:
	s_cmp_gt_i32 s0, 6
	s_cbranch_scc0 .LBB55_1157
; %bb.1155:
	s_wait_loadcnt 0x0
	global_load_b64 v[6:7], v[10:11], off
	s_mov_b32 s36, 0
	s_wait_loadcnt 0x0
	v_cvt_i32_f64_e32 v6, v[6:7]
	s_branch .LBB55_1158
.LBB55_1156:
	s_mov_b32 s36, -1
                                        ; implicit-def: $vgpr6
	s_branch .LBB55_1161
.LBB55_1157:
	s_mov_b32 s36, -1
                                        ; implicit-def: $vgpr6
.LBB55_1158:
	s_delay_alu instid0(SALU_CYCLE_1)
	s_and_not1_b32 vcc_lo, exec_lo, s36
	s_cbranch_vccnz .LBB55_1160
; %bb.1159:
	global_load_b32 v5, v[10:11], off
	s_wait_loadcnt 0x0
	v_cvt_i32_f32_e32 v6, v5
.LBB55_1160:
	s_mov_b32 s36, 0
.LBB55_1161:
	s_delay_alu instid0(SALU_CYCLE_1)
	s_and_not1_b32 vcc_lo, exec_lo, s36
	s_cbranch_vccnz .LBB55_1163
; %bb.1162:
	global_load_u16 v5, v[10:11], off
	s_wait_loadcnt 0x0
	v_cvt_f32_f16_e32 v5, v5
	s_delay_alu instid0(VALU_DEP_1)
	v_cvt_i32_f32_e32 v6, v5
.LBB55_1163:
	s_mov_b32 s36, 0
.LBB55_1164:
	s_delay_alu instid0(SALU_CYCLE_1)
	s_and_not1_b32 vcc_lo, exec_lo, s36
	s_cbranch_vccnz .LBB55_1184
; %bb.1165:
	s_cmp_lt_i32 s0, 2
	s_cbranch_scc1 .LBB55_1169
; %bb.1166:
	s_cmp_lt_i32 s0, 3
	s_cbranch_scc1 .LBB55_1170
; %bb.1167:
	s_cmp_gt_i32 s0, 3
	s_cbranch_scc0 .LBB55_1171
; %bb.1168:
	s_wait_loadcnt 0x0
	global_load_b32 v6, v[10:11], off
	s_mov_b32 s36, 0
	s_branch .LBB55_1172
.LBB55_1169:
	s_mov_b32 s36, -1
                                        ; implicit-def: $vgpr6
	s_branch .LBB55_1178
.LBB55_1170:
	s_mov_b32 s36, -1
                                        ; implicit-def: $vgpr6
	s_branch .LBB55_1175
.LBB55_1171:
	s_mov_b32 s36, -1
                                        ; implicit-def: $vgpr6
.LBB55_1172:
	s_delay_alu instid0(SALU_CYCLE_1)
	s_and_not1_b32 vcc_lo, exec_lo, s36
	s_cbranch_vccnz .LBB55_1174
; %bb.1173:
	s_wait_loadcnt 0x0
	global_load_b32 v6, v[10:11], off
.LBB55_1174:
	s_mov_b32 s36, 0
.LBB55_1175:
	s_delay_alu instid0(SALU_CYCLE_1)
	s_and_not1_b32 vcc_lo, exec_lo, s36
	s_cbranch_vccnz .LBB55_1177
; %bb.1176:
	s_wait_loadcnt 0x0
	global_load_i16 v6, v[10:11], off
.LBB55_1177:
	s_mov_b32 s36, 0
.LBB55_1178:
	s_delay_alu instid0(SALU_CYCLE_1)
	s_and_not1_b32 vcc_lo, exec_lo, s36
	s_cbranch_vccnz .LBB55_1184
; %bb.1179:
	s_cmp_gt_i32 s0, 0
	s_mov_b32 s0, 0
	s_cbranch_scc0 .LBB55_1181
; %bb.1180:
	s_wait_loadcnt 0x0
	global_load_i8 v6, v[10:11], off
	s_branch .LBB55_1182
.LBB55_1181:
	s_mov_b32 s0, -1
                                        ; implicit-def: $vgpr6
.LBB55_1182:
	s_delay_alu instid0(SALU_CYCLE_1)
	s_and_not1_b32 vcc_lo, exec_lo, s0
	s_cbranch_vccnz .LBB55_1184
; %bb.1183:
	s_wait_loadcnt 0x0
	global_load_u8 v6, v[10:11], off
.LBB55_1184:
	s_mov_b32 s56, -1
.LBB55_1185:
	s_delay_alu instid0(SALU_CYCLE_1)
	s_and_not1_b32 vcc_lo, exec_lo, s56
	s_cbranch_vccnz .LBB55_1193
; %bb.1186:
	s_load_b128 s[4:7], s[2:3], 0x268
	v_mov_b32_e32 v5, 0
	s_and_b32 s0, s80, 0xff
	s_delay_alu instid0(SALU_CYCLE_1) | instskip(SKIP_1) | instid1(VALU_DEP_1)
	s_cmp_lt_i32 s0, 11
	s_wait_kmcnt 0x0
	v_add_nc_u64_e32 v[4:5], s[6:7], v[4:5]
	s_cbranch_scc1 .LBB55_1194
; %bb.1187:
	s_and_b32 s49, 0xffff, s0
	s_delay_alu instid0(SALU_CYCLE_1)
	s_cmp_gt_i32 s49, 25
	s_cbranch_scc0 .LBB55_1195
; %bb.1188:
	s_cmp_gt_i32 s49, 28
	s_cbranch_scc0 .LBB55_1196
; %bb.1189:
	;; [unrolled: 3-line block ×4, first 2 shown]
	s_cmp_eq_u32 s49, 46
	s_mov_b32 s36, 0
	s_cbranch_scc0 .LBB55_1200
; %bb.1192:
	global_load_b32 v7, v[4:5], off
	s_mov_b32 s56, -1
	s_mov_b32 s74, 0
	s_wait_loadcnt 0x0
	v_lshlrev_b32_e32 v7, 16, v7
	s_delay_alu instid0(VALU_DEP_1)
	v_cvt_i32_f32_e32 v10, v7
	s_branch .LBB55_1202
.LBB55_1193:
	s_mov_b32 s0, 0
	s_mov_b32 s36, s45
	;; [unrolled: 1-line block ×7, first 2 shown]
	s_branch .LBB55_1324
.LBB55_1194:
	s_mov_b32 s36, -1
	s_mov_b32 s56, 0
	s_mov_b32 s74, s86
                                        ; implicit-def: $vgpr10
	s_branch .LBB55_1263
.LBB55_1195:
	s_mov_b32 s36, -1
	s_mov_b32 s56, 0
	s_mov_b32 s74, s86
                                        ; implicit-def: $vgpr10
	s_branch .LBB55_1229
.LBB55_1196:
	s_mov_b32 s36, -1
	s_mov_b32 s56, 0
	s_mov_b32 s74, s86
                                        ; implicit-def: $vgpr10
	s_branch .LBB55_1212
.LBB55_1197:
	s_mov_b32 s36, -1
	s_mov_b32 s56, 0
	s_mov_b32 s74, s86
                                        ; implicit-def: $vgpr10
	s_branch .LBB55_1207
.LBB55_1198:
	s_mov_b32 s36, -1
	s_mov_b32 s56, 0
	s_mov_b32 s74, s86
	s_branch .LBB55_1201
.LBB55_1199:
	s_mov_b32 s36, -1
	s_mov_b32 s56, 0
	s_mov_b32 s59, 0
	s_branch .LBB55_1878
.LBB55_1200:
	s_mov_b32 s74, -1
	s_mov_b32 s56, 0
.LBB55_1201:
                                        ; implicit-def: $vgpr10
.LBB55_1202:
	s_and_b32 vcc_lo, exec_lo, s36
	s_cbranch_vccz .LBB55_1206
; %bb.1203:
	s_cmp_eq_u32 s49, 44
	s_cbranch_scc0 .LBB55_1205
; %bb.1204:
	global_load_u8 v7, v[4:5], off
	s_mov_b32 s74, 0
	s_mov_b32 s56, -1
	s_wait_loadcnt 0x0
	v_lshlrev_b32_e32 v9, 23, v7
	v_cmp_ne_u32_e32 vcc_lo, 0, v7
	s_delay_alu instid0(VALU_DEP_2) | instskip(NEXT) | instid1(VALU_DEP_1)
	v_cvt_i32_f32_e32 v9, v9
	v_cndmask_b32_e32 v10, 0, v9, vcc_lo
	s_branch .LBB55_1206
.LBB55_1205:
	s_mov_b32 s74, -1
                                        ; implicit-def: $vgpr10
.LBB55_1206:
	s_mov_b32 s36, 0
.LBB55_1207:
	s_delay_alu instid0(SALU_CYCLE_1)
	s_and_b32 vcc_lo, exec_lo, s36
	s_cbranch_vccz .LBB55_1211
; %bb.1208:
	s_cmp_eq_u32 s49, 29
	s_cbranch_scc0 .LBB55_1210
; %bb.1209:
	global_load_b32 v10, v[4:5], off
	s_mov_b32 s56, -1
	s_mov_b32 s74, 0
	s_branch .LBB55_1211
.LBB55_1210:
	s_mov_b32 s74, -1
                                        ; implicit-def: $vgpr10
.LBB55_1211:
	s_mov_b32 s36, 0
.LBB55_1212:
	s_delay_alu instid0(SALU_CYCLE_1)
	s_and_b32 vcc_lo, exec_lo, s36
	s_cbranch_vccz .LBB55_1228
; %bb.1213:
	s_cmp_lt_i32 s49, 27
	s_cbranch_scc1 .LBB55_1216
; %bb.1214:
	s_cmp_gt_i32 s49, 27
	s_cbranch_scc0 .LBB55_1217
; %bb.1215:
	s_wait_loadcnt 0x0
	global_load_b32 v10, v[4:5], off
	s_mov_b32 s36, 0
	s_branch .LBB55_1218
.LBB55_1216:
	s_mov_b32 s36, -1
                                        ; implicit-def: $vgpr10
	s_branch .LBB55_1221
.LBB55_1217:
	s_mov_b32 s36, -1
                                        ; implicit-def: $vgpr10
.LBB55_1218:
	s_delay_alu instid0(SALU_CYCLE_1)
	s_and_not1_b32 vcc_lo, exec_lo, s36
	s_cbranch_vccnz .LBB55_1220
; %bb.1219:
	s_wait_loadcnt 0x0
	global_load_u16 v10, v[4:5], off
.LBB55_1220:
	s_mov_b32 s36, 0
.LBB55_1221:
	s_delay_alu instid0(SALU_CYCLE_1)
	s_and_not1_b32 vcc_lo, exec_lo, s36
	s_cbranch_vccnz .LBB55_1227
; %bb.1222:
	global_load_u8 v7, v[4:5], off
	s_mov_b32 s37, 0
	s_mov_b32 s4, exec_lo
	s_wait_loadcnt 0x0
	v_cmpx_lt_i16_e32 0x7f, v7
	s_xor_b32 s36, exec_lo, s4
	s_cbranch_execz .LBB55_1239
; %bb.1223:
	v_cmp_ne_u16_e32 vcc_lo, 0x80, v7
	s_and_b32 s37, vcc_lo, exec_lo
	s_and_not1_saveexec_b32 s36, s36
	s_cbranch_execnz .LBB55_1240
.LBB55_1224:
	s_or_b32 exec_lo, exec_lo, s36
	v_mov_b32_e32 v10, 0
	s_and_saveexec_b32 s36, s37
	s_cbranch_execz .LBB55_1226
.LBB55_1225:
	v_and_b32_e32 v9, 0xffff, v7
	s_delay_alu instid0(VALU_DEP_1) | instskip(SKIP_1) | instid1(VALU_DEP_2)
	v_and_b32_e32 v10, 7, v9
	v_bfe_u32 v13, v9, 3, 4
	v_clz_i32_u32_e32 v11, v10
	s_delay_alu instid0(VALU_DEP_2) | instskip(NEXT) | instid1(VALU_DEP_2)
	v_cmp_eq_u32_e32 vcc_lo, 0, v13
	v_min_u32_e32 v11, 32, v11
	s_delay_alu instid0(VALU_DEP_1) | instskip(NEXT) | instid1(VALU_DEP_1)
	v_subrev_nc_u32_e32 v12, 28, v11
	v_dual_lshlrev_b32 v9, v12, v9 :: v_dual_sub_nc_u32 v11, 29, v11
	s_delay_alu instid0(VALU_DEP_1) | instskip(NEXT) | instid1(VALU_DEP_1)
	v_dual_lshlrev_b32 v7, 24, v7 :: v_dual_bitop2_b32 v9, 7, v9 bitop3:0x40
	v_dual_cndmask_b32 v9, v10, v9, vcc_lo :: v_dual_cndmask_b32 v11, v13, v11, vcc_lo
	s_delay_alu instid0(VALU_DEP_2) | instskip(NEXT) | instid1(VALU_DEP_2)
	v_and_b32_e32 v7, 0x80000000, v7
	v_lshlrev_b32_e32 v9, 20, v9
	s_delay_alu instid0(VALU_DEP_3) | instskip(NEXT) | instid1(VALU_DEP_1)
	v_lshl_add_u32 v10, v11, 23, 0x3b800000
	v_or3_b32 v7, v7, v10, v9
	s_delay_alu instid0(VALU_DEP_1)
	v_cvt_i32_f32_e32 v10, v7
.LBB55_1226:
	s_or_b32 exec_lo, exec_lo, s36
.LBB55_1227:
	s_mov_b32 s56, -1
.LBB55_1228:
	s_mov_b32 s36, 0
.LBB55_1229:
	s_delay_alu instid0(SALU_CYCLE_1)
	s_and_b32 vcc_lo, exec_lo, s36
	s_cbranch_vccz .LBB55_1262
; %bb.1230:
	s_cmp_gt_i32 s49, 22
	s_cbranch_scc0 .LBB55_1238
; %bb.1231:
	s_cmp_lt_i32 s49, 24
	s_cbranch_scc1 .LBB55_1241
; %bb.1232:
	s_cmp_gt_i32 s49, 24
	s_cbranch_scc0 .LBB55_1242
; %bb.1233:
	global_load_u8 v7, v[4:5], off
	s_mov_b32 s37, 0
	s_mov_b32 s4, exec_lo
	s_wait_loadcnt 0x0
	v_cmpx_lt_i16_e32 0x7f, v7
	s_xor_b32 s36, exec_lo, s4
	s_cbranch_execz .LBB55_1254
; %bb.1234:
	v_cmp_ne_u16_e32 vcc_lo, 0x80, v7
	s_and_b32 s37, vcc_lo, exec_lo
	s_and_not1_saveexec_b32 s36, s36
	s_cbranch_execnz .LBB55_1255
.LBB55_1235:
	s_or_b32 exec_lo, exec_lo, s36
	v_mov_b32_e32 v10, 0
	s_and_saveexec_b32 s36, s37
	s_cbranch_execz .LBB55_1237
.LBB55_1236:
	v_and_b32_e32 v9, 0xffff, v7
	s_delay_alu instid0(VALU_DEP_1) | instskip(SKIP_1) | instid1(VALU_DEP_2)
	v_and_b32_e32 v10, 3, v9
	v_bfe_u32 v13, v9, 2, 5
	v_clz_i32_u32_e32 v11, v10
	s_delay_alu instid0(VALU_DEP_2) | instskip(NEXT) | instid1(VALU_DEP_2)
	v_cmp_eq_u32_e32 vcc_lo, 0, v13
	v_min_u32_e32 v11, 32, v11
	s_delay_alu instid0(VALU_DEP_1) | instskip(NEXT) | instid1(VALU_DEP_1)
	v_subrev_nc_u32_e32 v12, 29, v11
	v_dual_lshlrev_b32 v9, v12, v9 :: v_dual_sub_nc_u32 v11, 30, v11
	s_delay_alu instid0(VALU_DEP_1) | instskip(NEXT) | instid1(VALU_DEP_1)
	v_dual_lshlrev_b32 v7, 24, v7 :: v_dual_bitop2_b32 v9, 3, v9 bitop3:0x40
	v_dual_cndmask_b32 v9, v10, v9, vcc_lo :: v_dual_cndmask_b32 v11, v13, v11, vcc_lo
	s_delay_alu instid0(VALU_DEP_2) | instskip(NEXT) | instid1(VALU_DEP_2)
	v_and_b32_e32 v7, 0x80000000, v7
	v_lshlrev_b32_e32 v9, 21, v9
	s_delay_alu instid0(VALU_DEP_3) | instskip(NEXT) | instid1(VALU_DEP_1)
	v_lshl_add_u32 v10, v11, 23, 0x37800000
	v_or3_b32 v7, v7, v10, v9
	s_delay_alu instid0(VALU_DEP_1)
	v_cvt_i32_f32_e32 v10, v7
.LBB55_1237:
	s_or_b32 exec_lo, exec_lo, s36
	s_mov_b32 s36, 0
	s_branch .LBB55_1243
.LBB55_1238:
	s_mov_b32 s36, -1
                                        ; implicit-def: $vgpr10
	s_branch .LBB55_1249
.LBB55_1239:
	s_and_not1_saveexec_b32 s36, s36
	s_cbranch_execz .LBB55_1224
.LBB55_1240:
	v_cmp_ne_u16_e32 vcc_lo, 0, v7
	s_and_not1_b32 s4, s37, exec_lo
	s_and_b32 s5, vcc_lo, exec_lo
	s_delay_alu instid0(SALU_CYCLE_1)
	s_or_b32 s37, s4, s5
	s_or_b32 exec_lo, exec_lo, s36
	v_mov_b32_e32 v10, 0
	s_and_saveexec_b32 s36, s37
	s_cbranch_execnz .LBB55_1225
	s_branch .LBB55_1226
.LBB55_1241:
	s_mov_b32 s36, -1
                                        ; implicit-def: $vgpr10
	s_branch .LBB55_1246
.LBB55_1242:
	s_mov_b32 s36, -1
                                        ; implicit-def: $vgpr10
.LBB55_1243:
	s_delay_alu instid0(SALU_CYCLE_1)
	s_and_b32 vcc_lo, exec_lo, s36
	s_cbranch_vccz .LBB55_1245
; %bb.1244:
	global_load_u8 v7, v[4:5], off
	s_wait_loadcnt 0x0
	v_lshlrev_b32_e32 v7, 24, v7
	s_delay_alu instid0(VALU_DEP_1) | instskip(NEXT) | instid1(VALU_DEP_1)
	v_and_b32_e32 v9, 0x7f000000, v7
	v_clz_i32_u32_e32 v10, v9
	v_cmp_ne_u32_e32 vcc_lo, 0, v9
	v_add_nc_u32_e32 v12, 0x1000000, v9
	s_delay_alu instid0(VALU_DEP_3) | instskip(NEXT) | instid1(VALU_DEP_1)
	v_min_u32_e32 v10, 32, v10
	v_sub_nc_u32_e64 v10, v10, 4 clamp
	s_delay_alu instid0(VALU_DEP_1) | instskip(NEXT) | instid1(VALU_DEP_1)
	v_dual_lshlrev_b32 v11, v10, v9 :: v_dual_lshlrev_b32 v10, 23, v10
	v_lshrrev_b32_e32 v11, 4, v11
	s_delay_alu instid0(VALU_DEP_1) | instskip(NEXT) | instid1(VALU_DEP_1)
	v_dual_sub_nc_u32 v10, v11, v10 :: v_dual_ashrrev_i32 v11, 8, v12
	v_add_nc_u32_e32 v10, 0x3c000000, v10
	s_delay_alu instid0(VALU_DEP_1) | instskip(NEXT) | instid1(VALU_DEP_1)
	v_and_or_b32 v10, 0x7f800000, v11, v10
	v_cndmask_b32_e32 v9, 0, v10, vcc_lo
	s_delay_alu instid0(VALU_DEP_1) | instskip(NEXT) | instid1(VALU_DEP_1)
	v_and_or_b32 v7, 0x80000000, v7, v9
	v_cvt_i32_f32_e32 v10, v7
.LBB55_1245:
	s_mov_b32 s36, 0
.LBB55_1246:
	s_delay_alu instid0(SALU_CYCLE_1)
	s_and_not1_b32 vcc_lo, exec_lo, s36
	s_cbranch_vccnz .LBB55_1248
; %bb.1247:
	global_load_u8 v7, v[4:5], off
	s_wait_loadcnt 0x0
	v_lshlrev_b32_e32 v9, 25, v7
	v_lshlrev_b16 v7, 8, v7
	s_delay_alu instid0(VALU_DEP_1) | instskip(NEXT) | instid1(VALU_DEP_3)
	v_and_or_b32 v11, 0x7f00, v7, 0.5
	v_lshrrev_b32_e32 v10, 4, v9
	v_bfe_i32 v7, v7, 0, 16
	s_delay_alu instid0(VALU_DEP_3) | instskip(NEXT) | instid1(VALU_DEP_3)
	v_add_f32_e32 v11, -0.5, v11
	v_or_b32_e32 v10, 0x70000000, v10
	s_delay_alu instid0(VALU_DEP_1) | instskip(SKIP_1) | instid1(VALU_DEP_2)
	v_mul_f32_e32 v10, 0x7800000, v10
	v_cmp_gt_u32_e32 vcc_lo, 0x8000000, v9
	v_cndmask_b32_e32 v9, v10, v11, vcc_lo
	s_delay_alu instid0(VALU_DEP_1) | instskip(NEXT) | instid1(VALU_DEP_1)
	v_and_or_b32 v7, 0x80000000, v7, v9
	v_cvt_i32_f32_e32 v10, v7
.LBB55_1248:
	s_mov_b32 s36, 0
	s_mov_b32 s56, -1
.LBB55_1249:
	s_and_not1_b32 vcc_lo, exec_lo, s36
	s_cbranch_vccnz .LBB55_1262
; %bb.1250:
	s_cmp_gt_i32 s49, 14
	s_cbranch_scc0 .LBB55_1253
; %bb.1251:
	s_cmp_eq_u32 s49, 15
	s_cbranch_scc0 .LBB55_1256
; %bb.1252:
	global_load_u16 v7, v[4:5], off
	s_mov_b32 s56, -1
	s_mov_b32 s74, 0
	s_wait_loadcnt 0x0
	v_lshlrev_b32_e32 v7, 16, v7
	s_delay_alu instid0(VALU_DEP_1)
	v_cvt_i32_f32_e32 v10, v7
	s_branch .LBB55_1257
.LBB55_1253:
	s_mov_b32 s36, -1
                                        ; implicit-def: $vgpr10
	s_branch .LBB55_1258
.LBB55_1254:
	s_and_not1_saveexec_b32 s36, s36
	s_cbranch_execz .LBB55_1235
.LBB55_1255:
	v_cmp_ne_u16_e32 vcc_lo, 0, v7
	s_and_not1_b32 s4, s37, exec_lo
	s_and_b32 s5, vcc_lo, exec_lo
	s_delay_alu instid0(SALU_CYCLE_1)
	s_or_b32 s37, s4, s5
	s_or_b32 exec_lo, exec_lo, s36
	v_mov_b32_e32 v10, 0
	s_and_saveexec_b32 s36, s37
	s_cbranch_execnz .LBB55_1236
	s_branch .LBB55_1237
.LBB55_1256:
	s_mov_b32 s74, -1
                                        ; implicit-def: $vgpr10
.LBB55_1257:
	s_mov_b32 s36, 0
.LBB55_1258:
	s_delay_alu instid0(SALU_CYCLE_1)
	s_and_b32 vcc_lo, exec_lo, s36
	s_cbranch_vccz .LBB55_1262
; %bb.1259:
	s_cmp_eq_u32 s49, 11
	s_cbranch_scc0 .LBB55_1261
; %bb.1260:
	global_load_u8 v7, v[4:5], off
	s_mov_b32 s74, 0
	s_mov_b32 s56, -1
	s_wait_loadcnt 0x0
	v_cmp_ne_u16_e32 vcc_lo, 0, v7
	v_cndmask_b32_e64 v10, 0, 1, vcc_lo
	s_branch .LBB55_1262
.LBB55_1261:
	s_mov_b32 s74, -1
                                        ; implicit-def: $vgpr10
.LBB55_1262:
	s_mov_b32 s36, 0
.LBB55_1263:
	s_delay_alu instid0(SALU_CYCLE_1)
	s_and_b32 vcc_lo, exec_lo, s36
	s_cbranch_vccz .LBB55_1312
; %bb.1264:
	s_and_b32 s0, 0xffff, s0
	s_delay_alu instid0(SALU_CYCLE_1)
	s_cmp_lt_i32 s0, 5
	s_cbranch_scc1 .LBB55_1269
; %bb.1265:
	s_cmp_lt_i32 s0, 8
	s_cbranch_scc1 .LBB55_1270
; %bb.1266:
	;; [unrolled: 3-line block ×3, first 2 shown]
	s_cmp_gt_i32 s0, 9
	s_cbranch_scc0 .LBB55_1272
; %bb.1268:
	s_wait_loadcnt 0x0
	global_load_b64 v[10:11], v[4:5], off
	s_mov_b32 s36, 0
	s_wait_loadcnt 0x0
	v_cvt_i32_f64_e32 v10, v[10:11]
	s_branch .LBB55_1273
.LBB55_1269:
	s_mov_b32 s36, -1
                                        ; implicit-def: $vgpr10
	s_branch .LBB55_1291
.LBB55_1270:
	s_mov_b32 s36, -1
                                        ; implicit-def: $vgpr10
	s_branch .LBB55_1279
.LBB55_1271:
	s_mov_b32 s36, -1
                                        ; implicit-def: $vgpr10
	s_branch .LBB55_1276
.LBB55_1272:
	s_mov_b32 s36, -1
                                        ; implicit-def: $vgpr10
.LBB55_1273:
	s_delay_alu instid0(SALU_CYCLE_1)
	s_and_not1_b32 vcc_lo, exec_lo, s36
	s_cbranch_vccnz .LBB55_1275
; %bb.1274:
	global_load_b32 v7, v[4:5], off
	s_wait_loadcnt 0x0
	v_cvt_i32_f32_e32 v10, v7
.LBB55_1275:
	s_mov_b32 s36, 0
.LBB55_1276:
	s_delay_alu instid0(SALU_CYCLE_1)
	s_and_not1_b32 vcc_lo, exec_lo, s36
	s_cbranch_vccnz .LBB55_1278
; %bb.1277:
	global_load_b32 v7, v[4:5], off
	s_wait_loadcnt 0x0
	v_cvt_f32_f16_e32 v7, v7
	s_delay_alu instid0(VALU_DEP_1)
	v_cvt_i32_f32_e32 v10, v7
.LBB55_1278:
	s_mov_b32 s36, 0
.LBB55_1279:
	s_delay_alu instid0(SALU_CYCLE_1)
	s_and_not1_b32 vcc_lo, exec_lo, s36
	s_cbranch_vccnz .LBB55_1290
; %bb.1280:
	s_cmp_lt_i32 s0, 6
	s_cbranch_scc1 .LBB55_1283
; %bb.1281:
	s_cmp_gt_i32 s0, 6
	s_cbranch_scc0 .LBB55_1284
; %bb.1282:
	s_wait_loadcnt 0x0
	global_load_b64 v[10:11], v[4:5], off
	s_mov_b32 s36, 0
	s_wait_loadcnt 0x0
	v_cvt_i32_f64_e32 v10, v[10:11]
	s_branch .LBB55_1285
.LBB55_1283:
	s_mov_b32 s36, -1
                                        ; implicit-def: $vgpr10
	s_branch .LBB55_1288
.LBB55_1284:
	s_mov_b32 s36, -1
                                        ; implicit-def: $vgpr10
.LBB55_1285:
	s_delay_alu instid0(SALU_CYCLE_1)
	s_and_not1_b32 vcc_lo, exec_lo, s36
	s_cbranch_vccnz .LBB55_1287
; %bb.1286:
	global_load_b32 v7, v[4:5], off
	s_wait_loadcnt 0x0
	v_cvt_i32_f32_e32 v10, v7
.LBB55_1287:
	s_mov_b32 s36, 0
.LBB55_1288:
	s_delay_alu instid0(SALU_CYCLE_1)
	s_and_not1_b32 vcc_lo, exec_lo, s36
	s_cbranch_vccnz .LBB55_1290
; %bb.1289:
	global_load_u16 v7, v[4:5], off
	s_wait_loadcnt 0x0
	v_cvt_f32_f16_e32 v7, v7
	s_delay_alu instid0(VALU_DEP_1)
	v_cvt_i32_f32_e32 v10, v7
.LBB55_1290:
	s_mov_b32 s36, 0
.LBB55_1291:
	s_delay_alu instid0(SALU_CYCLE_1)
	s_and_not1_b32 vcc_lo, exec_lo, s36
	s_cbranch_vccnz .LBB55_1311
; %bb.1292:
	s_cmp_lt_i32 s0, 2
	s_cbranch_scc1 .LBB55_1296
; %bb.1293:
	s_cmp_lt_i32 s0, 3
	s_cbranch_scc1 .LBB55_1297
; %bb.1294:
	s_cmp_gt_i32 s0, 3
	s_cbranch_scc0 .LBB55_1298
; %bb.1295:
	s_wait_loadcnt 0x0
	global_load_b32 v10, v[4:5], off
	s_mov_b32 s36, 0
	s_branch .LBB55_1299
.LBB55_1296:
	s_mov_b32 s36, -1
                                        ; implicit-def: $vgpr10
	s_branch .LBB55_1305
.LBB55_1297:
	s_mov_b32 s36, -1
                                        ; implicit-def: $vgpr10
	s_branch .LBB55_1302
.LBB55_1298:
	s_mov_b32 s36, -1
                                        ; implicit-def: $vgpr10
.LBB55_1299:
	s_delay_alu instid0(SALU_CYCLE_1)
	s_and_not1_b32 vcc_lo, exec_lo, s36
	s_cbranch_vccnz .LBB55_1301
; %bb.1300:
	s_wait_loadcnt 0x0
	global_load_b32 v10, v[4:5], off
.LBB55_1301:
	s_mov_b32 s36, 0
.LBB55_1302:
	s_delay_alu instid0(SALU_CYCLE_1)
	s_and_not1_b32 vcc_lo, exec_lo, s36
	s_cbranch_vccnz .LBB55_1304
; %bb.1303:
	s_wait_loadcnt 0x0
	global_load_i16 v10, v[4:5], off
.LBB55_1304:
	s_mov_b32 s36, 0
.LBB55_1305:
	s_delay_alu instid0(SALU_CYCLE_1)
	s_and_not1_b32 vcc_lo, exec_lo, s36
	s_cbranch_vccnz .LBB55_1311
; %bb.1306:
	s_cmp_gt_i32 s0, 0
	s_mov_b32 s0, 0
	s_cbranch_scc0 .LBB55_1308
; %bb.1307:
	s_wait_loadcnt 0x0
	global_load_i8 v10, v[4:5], off
	s_branch .LBB55_1309
.LBB55_1308:
	s_mov_b32 s0, -1
                                        ; implicit-def: $vgpr10
.LBB55_1309:
	s_delay_alu instid0(SALU_CYCLE_1)
	s_and_not1_b32 vcc_lo, exec_lo, s0
	s_cbranch_vccnz .LBB55_1311
; %bb.1310:
	s_wait_loadcnt 0x0
	global_load_u8 v10, v[4:5], off
.LBB55_1311:
	s_mov_b32 s56, -1
.LBB55_1312:
	s_delay_alu instid0(SALU_CYCLE_1)
	s_and_not1_b32 vcc_lo, exec_lo, s56
	s_cbranch_vccnz .LBB55_1323
; %bb.1313:
	v_cmp_eq_u32_e32 vcc_lo, s79, v1
	s_mov_b32 s0, 0
	s_mov_b32 s39, -1
	s_mov_b32 s49, s84
	s_mov_b32 s38, s69
	s_and_b32 s4, s17, vcc_lo
	s_mov_b32 s37, s68
	s_mov_b32 s36, s45
	s_wait_xcnt 0x0
	s_and_saveexec_b32 s92, s4
	s_cbranch_execz .LBB55_4162
; %bb.1314:
	s_wait_loadcnt 0x0
	v_cmp_eq_u32_e32 vcc_lo, s14, v3
	s_mov_b32 s38, -1
	s_mov_b32 s39, s69
	s_mov_b32 s37, s68
	;; [unrolled: 1-line block ×3, first 2 shown]
	s_and_b32 s4, s51, vcc_lo
	s_delay_alu instid0(SALU_CYCLE_1)
	s_and_saveexec_b32 s93, s4
	s_cbranch_execz .LBB55_3688
; %bb.1315:
	v_sub_nc_u32_e32 v1, v6, v8
	s_mov_b32 s36, 0
	s_mov_b32 s37, -1
	s_mov_b32 s38, s45
	s_delay_alu instid0(VALU_DEP_1) | instskip(SKIP_4) | instid1(SALU_CYCLE_1)
	v_cmp_le_i32_e32 vcc_lo, s79, v1
	v_cmp_ge_i32_e64 s0, s12, v1
	s_and_b32 s4, vcc_lo, s0
	s_mov_b32 s0, s68
	s_and_b32 s4, s78, s4
	s_and_saveexec_b32 s94, s4
	s_cbranch_execz .LBB55_3687
; %bb.1316:
	v_mov_b64_e32 v[4:5], 0
	s_and_not1_b32 vcc_lo, exec_lo, s77
	s_cbranch_vccnz .LBB55_1351
; %bb.1317:
	v_ashrrev_i32_e32 v11, 31, v10
	s_mov_b32 s57, 0
	v_mov_b64_e32 v[4:5], 0
	s_mov_b32 s49, s57
	s_delay_alu instid0(SALU_CYCLE_1)
	s_lshl_b64 s[4:5], s[48:49], 3
	v_mul_u64_e32 v[12:13], s[14:15], v[10:11]
	v_mov_b32_e32 v10, 0
	s_add_nc_u64 s[58:59], s[18:19], s[4:5]
	s_add_nc_u64 s[60:61], s[40:41], s[4:5]
	s_mov_b32 s49, s16
	s_branch .LBB55_1319
.LBB55_1318:                            ;   in Loop: Header=BB55_1319 Depth=1
	s_or_b32 exec_lo, exec_lo, s0
	global_load_b64 v[16:17], v10, s[60:61]
	v_mul_u64_e32 v[18:19], s[62:63], v[14:15]
	s_add_co_i32 s49, s49, -1
	s_add_nc_u64 s[58:59], s[58:59], -8
	s_cmp_lg_u32 s49, 0
	s_wait_xcnt 0x0
	s_add_nc_u64 s[60:61], s[60:61], -8
	s_delay_alu instid0(VALU_DEP_1) | instskip(SKIP_1) | instid1(VALU_DEP_1)
	v_sub_nc_u64_e32 v[12:13], v[12:13], v[18:19]
	s_wait_loadcnt 0x0
	v_mad_nc_u64_u32 v[4:5], v12, v16, v[4:5]
	s_delay_alu instid0(VALU_DEP_1) | instskip(NEXT) | instid1(VALU_DEP_1)
	v_mad_u32 v1, v13, v16, v5
	v_mad_u32 v5, v12, v17, v1
	v_mov_b64_e32 v[12:13], v[14:15]
	s_cbranch_scc0 .LBB55_1351
.LBB55_1319:                            ; =>This Inner Loop Header: Depth=1
	global_load_b64 v[14:15], v10, s[58:59]
	s_mov_b32 s0, exec_lo
	s_wait_loadcnt 0x0
	v_or_b32_e32 v11, v13, v15
	v_readfirstlane_b32 s62, v14
	v_readfirstlane_b32 s63, v15
                                        ; implicit-def: $vgpr14_vgpr15
	s_wait_xcnt 0x0
	s_delay_alu instid0(VALU_DEP_3)
	v_cmpx_ne_u64_e32 0, v[10:11]
	s_xor_b32 s95, exec_lo, s0
	s_cbranch_execz .LBB55_1321
; %bb.1320:                             ;   in Loop: Header=BB55_1319 Depth=1
	s_ashr_i32 s64, s63, 31
	v_dual_mov_b32 v19, v10 :: v_dual_ashrrev_i32 v14, 31, v13
	s_mov_b32 s65, s64
	s_delay_alu instid0(SALU_CYCLE_1) | instskip(NEXT) | instid1(VALU_DEP_1)
	s_add_nc_u64 s[4:5], s[62:63], s[64:65]
	v_mov_b32_e32 v15, v14
	s_xor_b64 s[66:67], s[4:5], s[64:65]
	s_delay_alu instid0(SALU_CYCLE_1)
	s_cvt_f32_u32 s0, s66
	s_cvt_f32_u32 s4, s67
	s_sub_nc_u64 s[6:7], 0, s[66:67]
	v_add_nc_u64_e32 v[16:17], v[12:13], v[14:15]
	v_mov_b32_e32 v21, v10
	s_fmamk_f32 s0, s4, 0x4f800000, s0
	s_delay_alu instid0(SALU_CYCLE_3) | instskip(NEXT) | instid1(VALU_DEP_2)
	v_s_rcp_f32 s0, s0
	v_xor_b32_e32 v18, v16, v14
	s_delay_alu instid0(VALU_DEP_3) | instskip(SKIP_1) | instid1(TRANS32_DEP_1)
	v_dual_mov_b32 v27, v10 :: v_dual_bitop2_b32 v20, v17, v14 bitop3:0x14
	v_xor_b32_e32 v14, s64, v14
	s_mul_f32 s0, s0, 0x5f7ffffc
	s_delay_alu instid0(SALU_CYCLE_3) | instskip(NEXT) | instid1(SALU_CYCLE_3)
	s_mul_f32 s4, s0, 0x2f800000
	s_trunc_f32 s4, s4
	s_delay_alu instid0(SALU_CYCLE_3) | instskip(SKIP_1) | instid1(SALU_CYCLE_2)
	s_fmamk_f32 s0, s4, 0xcf800000, s0
	s_cvt_u32_f32 s5, s4
	s_cvt_u32_f32 s4, s0
	s_delay_alu instid0(SALU_CYCLE_3) | instskip(NEXT) | instid1(SALU_CYCLE_1)
	s_mul_u64 s[8:9], s[6:7], s[4:5]
	s_mul_hi_u32 s11, s4, s9
	s_mul_i32 s10, s4, s9
	s_mul_hi_u32 s56, s4, s8
	s_mul_i32 s36, s5, s8
	s_add_nc_u64 s[10:11], s[56:57], s[10:11]
	s_mul_hi_u32 s0, s5, s8
	s_mul_hi_u32 s37, s5, s9
	s_mul_i32 s8, s5, s9
	s_add_co_u32 s9, s10, s36
	s_add_co_ci_u32 s56, s11, s0
	s_add_co_ci_u32 s9, s37, 0
	s_delay_alu instid0(SALU_CYCLE_1) | instskip(NEXT) | instid1(SALU_CYCLE_1)
	s_add_nc_u64 s[8:9], s[56:57], s[8:9]
	s_add_co_u32 s4, s4, s8
	s_cselect_b32 s0, -1, 0
	s_delay_alu instid0(SALU_CYCLE_1) | instskip(SKIP_1) | instid1(SALU_CYCLE_1)
	s_cmp_lg_u32 s0, 0
	s_add_co_ci_u32 s5, s5, s9
	s_mul_u64 s[6:7], s[6:7], s[4:5]
	s_delay_alu instid0(SALU_CYCLE_1)
	s_mul_hi_u32 s9, s4, s7
	s_mul_i32 s8, s4, s7
	s_mul_hi_u32 s56, s4, s6
	s_mul_i32 s10, s5, s6
	s_add_nc_u64 s[8:9], s[56:57], s[8:9]
	s_mul_hi_u32 s0, s5, s6
	s_mul_hi_u32 s11, s5, s7
	s_mul_i32 s6, s5, s7
	s_add_co_u32 s7, s8, s10
	s_add_co_ci_u32 s56, s9, s0
	s_add_co_ci_u32 s7, s11, 0
	s_delay_alu instid0(SALU_CYCLE_1) | instskip(NEXT) | instid1(SALU_CYCLE_1)
	s_add_nc_u64 s[6:7], s[56:57], s[6:7]
	s_add_co_u32 s0, s4, s6
	s_cselect_b32 s4, -1, 0
	v_mul_hi_u32 v26, v18, s0
	s_cmp_lg_u32 s4, 0
	s_add_co_ci_u32 s56, s5, s7
	s_mov_b64 s[4:5], 0xffffffff
	v_mul_u64_e32 v[22:23], s[56:57], v[18:19]
	s_and_b64 s[4:5], s[0:1], s[4:5]
	v_mul_u64_e32 v[24:25], s[56:57], v[20:21]
	v_mul_u64_e32 v[16:17], s[4:5], v[20:21]
	s_delay_alu instid0(VALU_DEP_3) | instskip(NEXT) | instid1(VALU_DEP_1)
	v_add_nc_u64_e32 v[22:23], v[26:27], v[22:23]
	v_add_co_u32 v1, vcc_lo, v22, v16
	s_delay_alu instid0(VALU_DEP_2) | instskip(SKIP_1) | instid1(VALU_DEP_1)
	v_add_co_ci_u32_e32 v26, vcc_lo, v23, v17, vcc_lo
	v_add_co_ci_u32_e32 v25, vcc_lo, 0, v25, vcc_lo
	v_add_nc_u64_e32 v[16:17], v[26:27], v[24:25]
	s_delay_alu instid0(VALU_DEP_1) | instskip(NEXT) | instid1(VALU_DEP_1)
	v_mul_u64_e32 v[22:23], s[66:67], v[16:17]
	v_sub_nc_u32_e32 v1, v20, v23
	s_delay_alu instid0(VALU_DEP_2) | instskip(NEXT) | instid1(VALU_DEP_1)
	v_sub_co_u32 v3, vcc_lo, v18, v22
	v_sub_co_ci_u32_e64 v9, null, v20, v23, vcc_lo
	s_delay_alu instid0(VALU_DEP_3) | instskip(NEXT) | instid1(VALU_DEP_3)
	v_subrev_co_ci_u32_e64 v1, null, s67, v1, vcc_lo
	v_sub_co_u32 v7, s0, v3, s66
	v_add_nc_u64_e32 v[18:19], 2, v[16:17]
	s_delay_alu instid0(VALU_DEP_3) | instskip(NEXT) | instid1(VALU_DEP_3)
	v_subrev_co_ci_u32_e64 v1, null, 0, v1, s0
	v_cmp_le_u32_e32 vcc_lo, s66, v7
	v_add_nc_u64_e32 v[20:21], 1, v[16:17]
	v_cndmask_b32_e64 v7, 0, -1, vcc_lo
	s_delay_alu instid0(VALU_DEP_4)
	v_cmp_le_u32_e32 vcc_lo, s67, v1
	v_cndmask_b32_e64 v11, 0, -1, vcc_lo
	v_cmp_le_u32_e32 vcc_lo, s66, v3
	v_cndmask_b32_e64 v3, 0, -1, vcc_lo
	;; [unrolled: 2-line block ×3, first 2 shown]
	v_cmp_eq_u32_e32 vcc_lo, s67, v1
	v_cndmask_b32_e32 v1, v11, v7, vcc_lo
	v_cmp_eq_u32_e32 vcc_lo, s67, v9
	s_delay_alu instid0(VALU_DEP_4) | instskip(NEXT) | instid1(VALU_DEP_3)
	v_cndmask_b32_e32 v3, v15, v3, vcc_lo
	v_cmp_ne_u32_e32 vcc_lo, 0, v1
	v_mov_b32_e32 v15, v14
	s_delay_alu instid0(VALU_DEP_3) | instskip(SKIP_1) | instid1(VALU_DEP_1)
	v_cmp_ne_u32_e64 s0, 0, v3
	v_dual_cndmask_b32 v1, v21, v19, vcc_lo :: v_dual_cndmask_b32 v3, v20, v18, vcc_lo
	v_dual_cndmask_b32 v1, v17, v1, s0 :: v_dual_cndmask_b32 v3, v16, v3, s0
	s_delay_alu instid0(VALU_DEP_1) | instskip(NEXT) | instid1(VALU_DEP_2)
	v_xor_b32_e32 v17, v1, v14
	v_xor_b32_e32 v16, v3, v14
	s_delay_alu instid0(VALU_DEP_1)
	v_sub_nc_u64_e32 v[14:15], v[16:17], v[14:15]
.LBB55_1321:                            ;   in Loop: Header=BB55_1319 Depth=1
	s_and_not1_saveexec_b32 s0, s95
	s_cbranch_execz .LBB55_1318
; %bb.1322:                             ;   in Loop: Header=BB55_1319 Depth=1
	v_cvt_f32_u32_e32 v1, s62
	s_sub_co_i32 s4, 0, s62
	v_mov_b32_e32 v15, v10
	s_delay_alu instid0(VALU_DEP_2) | instskip(SKIP_1) | instid1(TRANS32_DEP_1)
	v_rcp_iflag_f32_e32 v1, v1
	v_nop
	v_mul_f32_e32 v1, 0x4f7ffffe, v1
	s_delay_alu instid0(VALU_DEP_1) | instskip(NEXT) | instid1(VALU_DEP_1)
	v_cvt_u32_f32_e32 v1, v1
	v_mul_lo_u32 v3, s4, v1
	s_delay_alu instid0(VALU_DEP_1) | instskip(NEXT) | instid1(VALU_DEP_1)
	v_mul_hi_u32 v3, v1, v3
	v_add_nc_u32_e32 v1, v1, v3
	s_delay_alu instid0(VALU_DEP_1) | instskip(NEXT) | instid1(VALU_DEP_1)
	v_mul_hi_u32 v1, v12, v1
	v_mul_lo_u32 v3, v1, s62
	s_delay_alu instid0(VALU_DEP_1) | instskip(NEXT) | instid1(VALU_DEP_1)
	v_dual_add_nc_u32 v7, 1, v1 :: v_dual_sub_nc_u32 v3, v12, v3
	v_subrev_nc_u32_e32 v9, s62, v3
	v_cmp_le_u32_e32 vcc_lo, s62, v3
	s_delay_alu instid0(VALU_DEP_2) | instskip(NEXT) | instid1(VALU_DEP_1)
	v_dual_cndmask_b32 v3, v3, v9, vcc_lo :: v_dual_cndmask_b32 v1, v1, v7, vcc_lo
	v_cmp_le_u32_e32 vcc_lo, s62, v3
	s_delay_alu instid0(VALU_DEP_2) | instskip(NEXT) | instid1(VALU_DEP_1)
	v_add_nc_u32_e32 v7, 1, v1
	v_cndmask_b32_e32 v14, v1, v7, vcc_lo
	s_branch .LBB55_1318
.LBB55_1323:
	s_mov_b32 s0, 0
	s_mov_b32 s36, s45
	;; [unrolled: 1-line block ×6, first 2 shown]
.LBB55_1324:
                                        ; implicit-def: $vgpr0
.LBB55_1325:
	s_and_not1_b32 s4, s45, exec_lo
	s_and_b32 s5, s36, exec_lo
	s_and_not1_b32 s6, s68, exec_lo
	s_and_b32 s7, s37, exec_lo
	s_or_b32 s99, s4, s5
	s_or_b32 s100, s6, s7
	s_and_not1_b32 s4, s69, exec_lo
	s_and_b32 s5, s38, exec_lo
	s_and_not1_b32 s6, s84, exec_lo
	s_and_b32 s7, s49, exec_lo
	s_or_b32 s101, s4, s5
	s_or_b32 s97, s6, s7
	;; [unrolled: 6-line block ×5, first 2 shown]
	s_or_not1_b32 s28, s0, exec_lo
.LBB55_1326:
	s_wait_xcnt 0x0
	s_or_b32 exec_lo, exec_lo, s104
	s_mov_b32 s29, 0
	s_mov_b32 s30, 0
	;; [unrolled: 1-line block ×3, first 2 shown]
                                        ; implicit-def: $sgpr0
                                        ; implicit-def: $vgpr12_vgpr13
                                        ; implicit-def: $vgpr2
                                        ; implicit-def: $vgpr8
                                        ; implicit-def: $vgpr10
                                        ; implicit-def: $vgpr4
                                        ; implicit-def: $vgpr6
                                        ; implicit-def: $vgpr3
	s_and_saveexec_b32 s104, s28
	s_cbranch_execz .LBB55_2191
; %bb.1327:
	s_mov_b32 s39, -1
	s_mov_b32 s28, s92
	s_mov_b32 s29, s94
	;; [unrolled: 1-line block ×10, first 2 shown]
	s_mov_b32 vcc_hi, exec_lo
	v_cmpx_gt_i32_e64 s82, v0
	s_cbranch_execz .LBB55_2086
; %bb.1328:
	s_and_not1_b32 vcc_lo, exec_lo, s72
	s_cbranch_vccnz .LBB55_1334
; %bb.1329:
	s_and_not1_b32 vcc_lo, exec_lo, s83
	s_cbranch_vccnz .LBB55_1335
; %bb.1330:
	s_wait_loadcnt 0x0
	v_dual_mov_b32 v6, 0 :: v_dual_mov_b32 v1, v0
	v_dual_mov_b32 v4, 0 :: v_dual_mov_b32 v10, 0
	;; [unrolled: 1-line block ×3, first 2 shown]
	v_mov_b32_e32 v12, 0
	s_add_co_i32 s0, s81, 1
	s_mov_b64 s[4:5], 0xffffffffffffffd0
	s_and_b32 s0, s0, 30
	s_add_nc_u64 s[56:57], s[2:3], s[4:5]
	s_mov_b64 s[58:59], s[2:3]
.LBB55_1331:                            ; =>This Inner Loop Header: Depth=1
	s_clause 0x1
	s_load_b128 s[28:31], s[58:59], 0x4
	s_load_b64 s[4:5], s[58:59], 0x14
	s_clause 0x1
	s_load_b256 s[60:67], s[56:57], 0xf4
	s_load_b128 s[36:39], s[56:57], 0x114
	s_add_co_i32 s0, s0, -2
	s_wait_xcnt 0x0
	s_add_nc_u64 s[58:59], s[58:59], 24
	s_cmp_eq_u32 s0, 0
	s_add_nc_u64 s[56:57], s[56:57], 48
	s_wait_kmcnt 0x0
	v_mul_hi_u32 v3, s29, v1
	s_delay_alu instid0(VALU_DEP_1) | instskip(NEXT) | instid1(VALU_DEP_1)
	v_add_nc_u32_e32 v3, v1, v3
	v_lshrrev_b32_e32 v3, s30, v3
	s_delay_alu instid0(VALU_DEP_1) | instskip(SKIP_1) | instid1(VALU_DEP_1)
	v_mul_hi_u32 v5, s4, v3
	v_mul_lo_u32 v7, v3, s28
	v_dual_add_nc_u32 v5, v3, v5 :: v_dual_sub_nc_u32 v7, v1, v7
	s_delay_alu instid0(VALU_DEP_1) | instskip(NEXT) | instid1(VALU_DEP_2)
	v_lshrrev_b32_e32 v1, s5, v5
	v_mad_u32 v5, v7, s61, v12
	v_mad_u32 v2, v7, s60, v2
	;; [unrolled: 1-line block ×4, first 2 shown]
	v_mul_lo_u32 v9, v1, s31
	v_mad_u32 v4, s65, v7, v4
	v_mad_u32 v6, s64, v7, v6
	s_delay_alu instid0(VALU_DEP_3) | instskip(NEXT) | instid1(VALU_DEP_1)
	v_sub_nc_u32_e32 v3, v3, v9
	v_mad_u32 v12, v3, s67, v5
	v_mad_u32 v2, v3, s66, v2
	;; [unrolled: 1-line block ×6, first 2 shown]
	s_cbranch_scc0 .LBB55_1331
; %bb.1332:
	s_bitcmp1_b32 s81, 0
	s_cselect_b32 s0, -1, 0
	s_delay_alu instid0(SALU_CYCLE_1)
	s_and_b32 vcc_lo, exec_lo, s0
	s_cbranch_vccnz .LBB55_1336
; %bb.1333:
	s_load_b96 s[4:6], s[58:59], 0x4
	s_wait_kmcnt 0x0
	v_mul_hi_u32 v3, s5, v1
	s_delay_alu instid0(VALU_DEP_1) | instskip(NEXT) | instid1(VALU_DEP_1)
	v_add_nc_u32_e32 v3, v1, v3
	v_lshrrev_b32_e32 v3, s6, v3
	s_clause 0x1
	s_load_b128 s[28:31], s[56:57], 0xf4
	s_load_b64 s[6:7], s[56:57], 0x104
	s_delay_alu instid0(VALU_DEP_1) | instskip(NEXT) | instid1(VALU_DEP_1)
	v_mul_lo_u32 v3, v3, s4
	v_sub_nc_u32_e32 v1, v1, v3
	s_wait_kmcnt 0x0
	s_delay_alu instid0(VALU_DEP_1)
	v_mad_u32 v2, v1, s28, v2
	v_mad_u32 v12, v1, s29, v12
	;; [unrolled: 1-line block ×6, first 2 shown]
	s_branch .LBB55_1336
.LBB55_1334:
	s_mov_b32 s0, -1
                                        ; implicit-def: $vgpr12
                                        ; implicit-def: $vgpr2
                                        ; implicit-def: $vgpr8
                                        ; implicit-def: $vgpr10
                                        ; implicit-def: $vgpr4
                                        ; implicit-def: $vgpr6
	s_branch .LBB55_1337
.LBB55_1335:
	v_dual_mov_b32 v12, 0 :: v_dual_mov_b32 v2, 0
	s_wait_loadcnt 0x0
	v_dual_mov_b32 v8, 0 :: v_dual_mov_b32 v10, 0
	v_dual_mov_b32 v4, 0 :: v_dual_mov_b32 v6, 0
.LBB55_1336:
	s_mov_b32 s0, 0
.LBB55_1337:
	s_delay_alu instid0(SALU_CYCLE_1)
	s_and_not1_b32 vcc_lo, exec_lo, s0
	s_cbranch_vccnz .LBB55_1340
; %bb.1338:
	s_wait_loadcnt 0x0
	v_mov_b32_e32 v1, 0
	s_mov_b64 s[6:7], s[22:23]
	s_load_b256 s[24:31], s[2:3], 0xc4
	s_mov_b32 s4, s20
	s_and_not1_b32 vcc_lo, exec_lo, s44
	v_mul_u64_e32 v[2:3], s[52:53], v[0:1]
	s_delay_alu instid0(VALU_DEP_1) | instskip(NEXT) | instid1(VALU_DEP_1)
	v_add_nc_u32_e32 v2, v0, v3
	v_lshrrev_b32_e32 v14, s6, v2
	s_delay_alu instid0(VALU_DEP_1) | instskip(NEXT) | instid1(VALU_DEP_1)
	v_mul_lo_u32 v2, v14, s4
	v_sub_nc_u32_e32 v3, v0, v2
	s_wait_kmcnt 0x0
	s_delay_alu instid0(VALU_DEP_1)
	v_mul_lo_u32 v12, v3, s25
	v_mul_lo_u32 v2, v3, s24
	;; [unrolled: 1-line block ×6, first 2 shown]
	s_cbranch_vccnz .LBB55_1340
; %bb.1339:
	v_mov_b32_e32 v15, v1
	s_delay_alu instid0(VALU_DEP_1) | instskip(NEXT) | instid1(VALU_DEP_1)
	v_mul_u64_e32 v[16:17], s[54:55], v[14:15]
	v_add_nc_u32_e32 v1, v14, v17
	s_delay_alu instid0(VALU_DEP_1) | instskip(NEXT) | instid1(VALU_DEP_1)
	v_lshrrev_b32_e32 v1, s47, v1
	v_mul_lo_u32 v1, v1, s7
	s_load_b128 s[4:7], s[2:3], 0xe4
	s_delay_alu instid0(VALU_DEP_1) | instskip(NEXT) | instid1(VALU_DEP_1)
	v_sub_nc_u32_e32 v1, v14, v1
	v_mad_u32 v2, v1, s30, v2
	v_mad_u32 v12, v1, s31, v12
	s_wait_kmcnt 0x0
	v_mad_u32 v10, v1, s4, v10
	v_mad_u32 v8, v1, s5, v8
	;; [unrolled: 1-line block ×4, first 2 shown]
.LBB55_1340:
	s_load_b256 s[4:11], s[2:3], 0x248
	v_mov_b32_e32 v13, 0
	s_and_b32 s0, s1, 0xff
	s_delay_alu instid0(SALU_CYCLE_1) | instskip(SKIP_1) | instid1(VALU_DEP_1)
	s_cmp_lt_i32 s0, 11
	s_wait_kmcnt 0x0
	v_add_nc_u64_e32 v[12:13], s[6:7], v[12:13]
	s_cbranch_scc1 .LBB55_1347
; %bb.1341:
	s_and_b32 s29, 0xffff, s0
	s_delay_alu instid0(SALU_CYCLE_1)
	s_cmp_gt_i32 s29, 25
	s_cbranch_scc0 .LBB55_1348
; %bb.1342:
	s_cmp_gt_i32 s29, 28
	s_cbranch_scc0 .LBB55_1349
; %bb.1343:
	;; [unrolled: 3-line block ×4, first 2 shown]
	s_cmp_eq_u32 s29, 46
	s_mov_b32 s31, 0
	s_cbranch_scc0 .LBB55_1366
; %bb.1346:
	s_wait_loadcnt 0x0
	global_load_b32 v1, v[12:13], off
	s_mov_b32 s30, -1
	s_mov_b32 s28, 0
	s_wait_loadcnt 0x0
	v_lshlrev_b32_e32 v1, 16, v1
	s_delay_alu instid0(VALU_DEP_1)
	v_cvt_i32_f32_e32 v1, v1
	s_branch .LBB55_1368
.LBB55_1347:
	s_mov_b32 s29, -1
	s_mov_b32 s30, 0
	s_mov_b32 s28, s92
                                        ; implicit-def: $vgpr1
	s_branch .LBB55_1429
.LBB55_1348:
	s_mov_b32 s31, -1
	s_mov_b32 s30, 0
	s_mov_b32 s28, s92
                                        ; implicit-def: $vgpr1
	s_branch .LBB55_1395
.LBB55_1349:
	s_mov_b32 s31, -1
	s_mov_b32 s30, 0
	s_mov_b32 s28, s92
                                        ; implicit-def: $vgpr1
	s_branch .LBB55_1378
.LBB55_1350:
	s_mov_b32 s31, -1
	s_mov_b32 s30, 0
	s_mov_b32 s28, s92
                                        ; implicit-def: $vgpr1
	s_branch .LBB55_1373
.LBB55_1351:
	s_mov_b32 s38, -1
	s_mov_b32 s0, s68
	s_mov_b32 s36, exec_lo
	v_cmpx_gt_i32_e64 v6, v8
	s_cbranch_execz .LBB55_1358
; %bb.1352:
	s_delay_alu instid0(VALU_DEP_2) | instskip(SKIP_3) | instid1(VALU_DEP_1)
	v_lshlrev_b64_e32 v[4:5], 2, v[4:5]
	v_dual_ashrrev_i32 v9, 31, v8 :: v_dual_ashrrev_i32 v7, 31, v6
	s_mov_b32 s0, 0
	s_xor_b32 s38, s76, -1
                                        ; implicit-def: $sgpr37
                                        ; implicit-def: $sgpr49
                                        ; implicit-def: $sgpr39
	v_lshl_add_u64 v[8:9], v[8:9], 2, v[4:5]
	v_add_nc_u64_e32 v[10:11], s[42:43], v[4:5]
	s_delay_alu instid0(VALU_DEP_2) | instskip(NEXT) | instid1(VALU_DEP_2)
	v_add_nc_u64_e32 v[8:9], s[42:43], v[8:9]
	v_lshl_add_u64 v[6:7], v[6:7], 2, v[10:11]
	s_delay_alu instid0(VALU_DEP_2)
	v_add_nc_u64_e32 v[4:5], 4, v[8:9]
	s_branch .LBB55_1354
.LBB55_1353:                            ;   in Loop: Header=BB55_1354 Depth=1
	s_or_b32 exec_lo, exec_lo, s56
	s_delay_alu instid0(SALU_CYCLE_1) | instskip(NEXT) | instid1(SALU_CYCLE_1)
	s_and_b32 s4, exec_lo, s49
	s_or_b32 s0, s4, s0
	s_and_not1_b32 s4, s37, exec_lo
	s_and_b32 s5, s39, exec_lo
	s_delay_alu instid0(SALU_CYCLE_1)
	s_or_b32 s37, s4, s5
	s_and_not1_b32 exec_lo, exec_lo, s0
	s_cbranch_execz .LBB55_1357
.LBB55_1354:                            ; =>This Inner Loop Header: Depth=1
	s_or_b32 s39, s39, exec_lo
	s_or_b32 s49, s49, exec_lo
	s_mov_b32 s56, exec_lo
	s_delay_alu instid0(VALU_DEP_1)
	v_cmpx_lt_u64_e64 v[4:5], v[6:7]
	s_cbranch_execz .LBB55_1353
; %bb.1355:                             ;   in Loop: Header=BB55_1354 Depth=1
	global_load_b64 v[8:9], v[4:5], off offset:-4
	s_wait_xcnt 0x0
	v_add_nc_u64_e32 v[4:5], 4, v[4:5]
	s_and_not1_b32 s5, s49, exec_lo
	s_and_not1_b32 s39, s39, exec_lo
	s_wait_loadcnt 0x0
	v_cmp_ge_i32_e32 vcc_lo, v8, v9
	s_or_b32 s4, s38, vcc_lo
	s_delay_alu instid0(SALU_CYCLE_1) | instskip(NEXT) | instid1(SALU_CYCLE_1)
	s_and_b32 s4, s4, exec_lo
	s_or_b32 s49, s5, s4
	s_branch .LBB55_1353
.LBB55_1356:
	s_mov_b32 s31, -1
	s_mov_b32 s30, 0
	s_mov_b32 s28, s92
	s_branch .LBB55_1367
.LBB55_1357:
	s_or_b32 exec_lo, exec_lo, s0
	s_delay_alu instid0(SALU_CYCLE_1)
	s_or_b32 s0, s68, exec_lo
	s_or_not1_b32 s38, s37, exec_lo
.LBB55_1358:
	s_or_b32 exec_lo, exec_lo, s36
	s_mov_b32 s36, 0
	s_mov_b32 s37, s45
	s_and_saveexec_b32 s49, s38
	s_cbranch_execz .LBB55_3686
; %bb.1359:
	s_load_b256 s[4:11], s[2:3], 0x248
	v_mov_b32_e32 v3, 0
	s_and_b32 s57, s34, 0xff
	s_delay_alu instid0(SALU_CYCLE_1) | instskip(SKIP_1) | instid1(VALU_DEP_1)
	s_cmp_lt_i32 s57, 11
	s_wait_kmcnt 0x0
	v_add_nc_u64_e32 v[2:3], s[4:5], v[2:3]
	s_cbranch_scc1 .LBB55_1492
; %bb.1360:
	s_and_b32 s58, 0xffff, s57
	s_delay_alu instid0(SALU_CYCLE_1)
	s_cmp_gt_i32 s58, 25
	s_cbranch_scc0 .LBB55_1619
; %bb.1361:
	s_cmp_gt_i32 s58, 28
	s_cbranch_scc0 .LBB55_1746
; %bb.1362:
	;; [unrolled: 3-line block ×4, first 2 shown]
	s_mov_b32 s56, -1
	s_cmp_eq_u32 s58, 46
	s_mov_b32 s59, 0
	s_cbranch_scc0 .LBB55_3604
; %bb.1365:
	v_mov_b32_e32 v1, 0
	s_mov_b32 s59, -1
	s_mov_b32 s56, 0
	global_store_b32 v[2:3], v1, off
	s_branch .LBB55_3604
.LBB55_1366:
	s_mov_b32 s28, -1
	s_mov_b32 s30, 0
.LBB55_1367:
                                        ; implicit-def: $vgpr1
.LBB55_1368:
	s_and_b32 vcc_lo, exec_lo, s31
	s_cbranch_vccz .LBB55_1372
; %bb.1369:
	s_cmp_eq_u32 s29, 44
	s_cbranch_scc0 .LBB55_1371
; %bb.1370:
	s_wait_loadcnt 0x0
	global_load_u8 v1, v[12:13], off
	s_mov_b32 s28, 0
	s_mov_b32 s30, -1
	s_wait_loadcnt 0x0
	v_lshlrev_b32_e32 v3, 23, v1
	v_cmp_ne_u32_e32 vcc_lo, 0, v1
	s_delay_alu instid0(VALU_DEP_2) | instskip(NEXT) | instid1(VALU_DEP_1)
	v_cvt_i32_f32_e32 v3, v3
	v_cndmask_b32_e32 v1, 0, v3, vcc_lo
	s_branch .LBB55_1372
.LBB55_1371:
	s_mov_b32 s28, -1
                                        ; implicit-def: $vgpr1
.LBB55_1372:
	s_mov_b32 s31, 0
.LBB55_1373:
	s_delay_alu instid0(SALU_CYCLE_1)
	s_and_b32 vcc_lo, exec_lo, s31
	s_cbranch_vccz .LBB55_1377
; %bb.1374:
	s_cmp_eq_u32 s29, 29
	s_cbranch_scc0 .LBB55_1376
; %bb.1375:
	s_wait_loadcnt 0x0
	global_load_b32 v1, v[12:13], off
	s_mov_b32 s30, -1
	s_mov_b32 s28, 0
	s_branch .LBB55_1377
.LBB55_1376:
	s_mov_b32 s28, -1
                                        ; implicit-def: $vgpr1
.LBB55_1377:
	s_mov_b32 s31, 0
.LBB55_1378:
	s_delay_alu instid0(SALU_CYCLE_1)
	s_and_b32 vcc_lo, exec_lo, s31
	s_cbranch_vccz .LBB55_1394
; %bb.1379:
	s_cmp_lt_i32 s29, 27
	s_cbranch_scc1 .LBB55_1382
; %bb.1380:
	s_cmp_gt_i32 s29, 27
	s_cbranch_scc0 .LBB55_1383
; %bb.1381:
	s_wait_loadcnt 0x0
	global_load_b32 v1, v[12:13], off
	s_mov_b32 s30, 0
	s_branch .LBB55_1384
.LBB55_1382:
	s_mov_b32 s30, -1
                                        ; implicit-def: $vgpr1
	s_branch .LBB55_1387
.LBB55_1383:
	s_mov_b32 s30, -1
                                        ; implicit-def: $vgpr1
.LBB55_1384:
	s_delay_alu instid0(SALU_CYCLE_1)
	s_and_not1_b32 vcc_lo, exec_lo, s30
	s_cbranch_vccnz .LBB55_1386
; %bb.1385:
	s_wait_loadcnt 0x0
	global_load_u16 v1, v[12:13], off
.LBB55_1386:
	s_mov_b32 s30, 0
.LBB55_1387:
	s_delay_alu instid0(SALU_CYCLE_1)
	s_and_not1_b32 vcc_lo, exec_lo, s30
	s_cbranch_vccnz .LBB55_1393
; %bb.1388:
	s_wait_loadcnt 0x0
	global_load_u8 v3, v[12:13], off
	s_mov_b32 s31, 0
	s_mov_b32 s4, exec_lo
	s_wait_loadcnt 0x0
	v_cmpx_lt_i16_e32 0x7f, v3
	s_xor_b32 s30, exec_lo, s4
	s_cbranch_execz .LBB55_1405
; %bb.1389:
	v_cmp_ne_u16_e32 vcc_lo, 0x80, v3
	s_and_b32 s31, vcc_lo, exec_lo
	s_and_not1_saveexec_b32 s30, s30
	s_cbranch_execnz .LBB55_1406
.LBB55_1390:
	s_or_b32 exec_lo, exec_lo, s30
	v_mov_b32_e32 v1, 0
	s_and_saveexec_b32 s30, s31
	s_cbranch_execz .LBB55_1392
.LBB55_1391:
	v_and_b32_e32 v1, 0xffff, v3
	s_delay_alu instid0(VALU_DEP_1) | instskip(SKIP_1) | instid1(VALU_DEP_2)
	v_and_b32_e32 v5, 7, v1
	v_bfe_u32 v11, v1, 3, 4
	v_clz_i32_u32_e32 v7, v5
	s_delay_alu instid0(VALU_DEP_2) | instskip(NEXT) | instid1(VALU_DEP_2)
	v_cmp_eq_u32_e32 vcc_lo, 0, v11
	v_min_u32_e32 v7, 32, v7
	s_delay_alu instid0(VALU_DEP_1) | instskip(NEXT) | instid1(VALU_DEP_1)
	v_subrev_nc_u32_e32 v9, 28, v7
	v_dual_lshlrev_b32 v1, v9, v1 :: v_dual_sub_nc_u32 v7, 29, v7
	s_delay_alu instid0(VALU_DEP_1) | instskip(NEXT) | instid1(VALU_DEP_1)
	v_dual_lshlrev_b32 v3, 24, v3 :: v_dual_bitop2_b32 v1, 7, v1 bitop3:0x40
	v_dual_cndmask_b32 v1, v5, v1, vcc_lo :: v_dual_cndmask_b32 v7, v11, v7, vcc_lo
	s_delay_alu instid0(VALU_DEP_2) | instskip(NEXT) | instid1(VALU_DEP_2)
	v_and_b32_e32 v3, 0x80000000, v3
	v_lshlrev_b32_e32 v1, 20, v1
	s_delay_alu instid0(VALU_DEP_3) | instskip(NEXT) | instid1(VALU_DEP_1)
	v_lshl_add_u32 v5, v7, 23, 0x3b800000
	v_or3_b32 v1, v3, v5, v1
	s_delay_alu instid0(VALU_DEP_1)
	v_cvt_i32_f32_e32 v1, v1
.LBB55_1392:
	s_or_b32 exec_lo, exec_lo, s30
.LBB55_1393:
	s_mov_b32 s30, -1
.LBB55_1394:
	s_mov_b32 s31, 0
.LBB55_1395:
	s_delay_alu instid0(SALU_CYCLE_1)
	s_and_b32 vcc_lo, exec_lo, s31
	s_cbranch_vccz .LBB55_1428
; %bb.1396:
	s_cmp_gt_i32 s29, 22
	s_cbranch_scc0 .LBB55_1404
; %bb.1397:
	s_cmp_lt_i32 s29, 24
	s_cbranch_scc1 .LBB55_1407
; %bb.1398:
	s_cmp_gt_i32 s29, 24
	s_cbranch_scc0 .LBB55_1408
; %bb.1399:
	s_wait_loadcnt 0x0
	global_load_u8 v3, v[12:13], off
	s_mov_b32 s31, 0
	s_mov_b32 s4, exec_lo
	s_wait_loadcnt 0x0
	v_cmpx_lt_i16_e32 0x7f, v3
	s_xor_b32 s30, exec_lo, s4
	s_cbranch_execz .LBB55_1420
; %bb.1400:
	v_cmp_ne_u16_e32 vcc_lo, 0x80, v3
	s_and_b32 s31, vcc_lo, exec_lo
	s_and_not1_saveexec_b32 s30, s30
	s_cbranch_execnz .LBB55_1421
.LBB55_1401:
	s_or_b32 exec_lo, exec_lo, s30
	v_mov_b32_e32 v1, 0
	s_and_saveexec_b32 s30, s31
	s_cbranch_execz .LBB55_1403
.LBB55_1402:
	v_and_b32_e32 v1, 0xffff, v3
	s_delay_alu instid0(VALU_DEP_1) | instskip(SKIP_1) | instid1(VALU_DEP_2)
	v_and_b32_e32 v5, 3, v1
	v_bfe_u32 v11, v1, 2, 5
	v_clz_i32_u32_e32 v7, v5
	s_delay_alu instid0(VALU_DEP_2) | instskip(NEXT) | instid1(VALU_DEP_2)
	v_cmp_eq_u32_e32 vcc_lo, 0, v11
	v_min_u32_e32 v7, 32, v7
	s_delay_alu instid0(VALU_DEP_1) | instskip(NEXT) | instid1(VALU_DEP_1)
	v_subrev_nc_u32_e32 v9, 29, v7
	v_dual_lshlrev_b32 v1, v9, v1 :: v_dual_sub_nc_u32 v7, 30, v7
	s_delay_alu instid0(VALU_DEP_1) | instskip(NEXT) | instid1(VALU_DEP_1)
	v_dual_lshlrev_b32 v3, 24, v3 :: v_dual_bitop2_b32 v1, 3, v1 bitop3:0x40
	v_dual_cndmask_b32 v1, v5, v1, vcc_lo :: v_dual_cndmask_b32 v7, v11, v7, vcc_lo
	s_delay_alu instid0(VALU_DEP_2) | instskip(NEXT) | instid1(VALU_DEP_2)
	v_and_b32_e32 v3, 0x80000000, v3
	v_lshlrev_b32_e32 v1, 21, v1
	s_delay_alu instid0(VALU_DEP_3) | instskip(NEXT) | instid1(VALU_DEP_1)
	v_lshl_add_u32 v5, v7, 23, 0x37800000
	v_or3_b32 v1, v3, v5, v1
	s_delay_alu instid0(VALU_DEP_1)
	v_cvt_i32_f32_e32 v1, v1
.LBB55_1403:
	s_or_b32 exec_lo, exec_lo, s30
	s_mov_b32 s30, 0
	s_branch .LBB55_1409
.LBB55_1404:
	s_mov_b32 s31, -1
                                        ; implicit-def: $vgpr1
	s_branch .LBB55_1415
.LBB55_1405:
	s_and_not1_saveexec_b32 s30, s30
	s_cbranch_execz .LBB55_1390
.LBB55_1406:
	v_cmp_ne_u16_e32 vcc_lo, 0, v3
	s_and_not1_b32 s4, s31, exec_lo
	s_and_b32 s5, vcc_lo, exec_lo
	s_delay_alu instid0(SALU_CYCLE_1)
	s_or_b32 s31, s4, s5
	s_or_b32 exec_lo, exec_lo, s30
	v_mov_b32_e32 v1, 0
	s_and_saveexec_b32 s30, s31
	s_cbranch_execnz .LBB55_1391
	s_branch .LBB55_1392
.LBB55_1407:
	s_mov_b32 s30, -1
                                        ; implicit-def: $vgpr1
	s_branch .LBB55_1412
.LBB55_1408:
	s_mov_b32 s30, -1
                                        ; implicit-def: $vgpr1
.LBB55_1409:
	s_delay_alu instid0(SALU_CYCLE_1)
	s_and_b32 vcc_lo, exec_lo, s30
	s_cbranch_vccz .LBB55_1411
; %bb.1410:
	s_wait_loadcnt 0x0
	global_load_u8 v1, v[12:13], off
	s_wait_loadcnt 0x0
	v_lshlrev_b32_e32 v1, 24, v1
	s_delay_alu instid0(VALU_DEP_1) | instskip(NEXT) | instid1(VALU_DEP_1)
	v_and_b32_e32 v3, 0x7f000000, v1
	v_clz_i32_u32_e32 v5, v3
	v_add_nc_u32_e32 v9, 0x1000000, v3
	v_cmp_ne_u32_e32 vcc_lo, 0, v3
	s_delay_alu instid0(VALU_DEP_3) | instskip(NEXT) | instid1(VALU_DEP_1)
	v_min_u32_e32 v5, 32, v5
	v_sub_nc_u32_e64 v5, v5, 4 clamp
	s_delay_alu instid0(VALU_DEP_1) | instskip(NEXT) | instid1(VALU_DEP_1)
	v_dual_lshlrev_b32 v7, v5, v3 :: v_dual_lshlrev_b32 v5, 23, v5
	v_lshrrev_b32_e32 v7, 4, v7
	s_delay_alu instid0(VALU_DEP_1) | instskip(SKIP_1) | instid1(VALU_DEP_2)
	v_sub_nc_u32_e32 v5, v7, v5
	v_ashrrev_i32_e32 v7, 8, v9
	v_add_nc_u32_e32 v5, 0x3c000000, v5
	s_delay_alu instid0(VALU_DEP_1) | instskip(NEXT) | instid1(VALU_DEP_1)
	v_and_or_b32 v5, 0x7f800000, v7, v5
	v_cndmask_b32_e32 v3, 0, v5, vcc_lo
	s_delay_alu instid0(VALU_DEP_1) | instskip(NEXT) | instid1(VALU_DEP_1)
	v_and_or_b32 v1, 0x80000000, v1, v3
	v_cvt_i32_f32_e32 v1, v1
.LBB55_1411:
	s_mov_b32 s30, 0
.LBB55_1412:
	s_delay_alu instid0(SALU_CYCLE_1)
	s_and_not1_b32 vcc_lo, exec_lo, s30
	s_cbranch_vccnz .LBB55_1414
; %bb.1413:
	s_wait_loadcnt 0x0
	global_load_u8 v1, v[12:13], off
	s_wait_loadcnt 0x0
	v_lshlrev_b32_e32 v3, 25, v1
	v_lshlrev_b16 v1, 8, v1
	s_delay_alu instid0(VALU_DEP_1) | instskip(SKIP_1) | instid1(VALU_DEP_2)
	v_and_or_b32 v7, 0x7f00, v1, 0.5
	v_bfe_i32 v1, v1, 0, 16
	v_add_f32_e32 v7, -0.5, v7
	v_lshrrev_b32_e32 v5, 4, v3
	v_cmp_gt_u32_e32 vcc_lo, 0x8000000, v3
	s_delay_alu instid0(VALU_DEP_2) | instskip(NEXT) | instid1(VALU_DEP_1)
	v_or_b32_e32 v5, 0x70000000, v5
	v_mul_f32_e32 v5, 0x7800000, v5
	s_delay_alu instid0(VALU_DEP_1) | instskip(NEXT) | instid1(VALU_DEP_1)
	v_cndmask_b32_e32 v3, v5, v7, vcc_lo
	v_and_or_b32 v1, 0x80000000, v1, v3
	s_delay_alu instid0(VALU_DEP_1)
	v_cvt_i32_f32_e32 v1, v1
.LBB55_1414:
	s_mov_b32 s31, 0
	s_mov_b32 s30, -1
.LBB55_1415:
	s_and_not1_b32 vcc_lo, exec_lo, s31
	s_cbranch_vccnz .LBB55_1428
; %bb.1416:
	s_cmp_gt_i32 s29, 14
	s_cbranch_scc0 .LBB55_1419
; %bb.1417:
	s_cmp_eq_u32 s29, 15
	s_cbranch_scc0 .LBB55_1422
; %bb.1418:
	s_wait_loadcnt 0x0
	global_load_u16 v1, v[12:13], off
	s_mov_b32 s30, -1
	s_mov_b32 s28, 0
	s_wait_loadcnt 0x0
	v_lshlrev_b32_e32 v1, 16, v1
	s_delay_alu instid0(VALU_DEP_1)
	v_cvt_i32_f32_e32 v1, v1
	s_branch .LBB55_1423
.LBB55_1419:
	s_mov_b32 s31, -1
                                        ; implicit-def: $vgpr1
	s_branch .LBB55_1424
.LBB55_1420:
	s_and_not1_saveexec_b32 s30, s30
	s_cbranch_execz .LBB55_1401
.LBB55_1421:
	v_cmp_ne_u16_e32 vcc_lo, 0, v3
	s_and_not1_b32 s4, s31, exec_lo
	s_and_b32 s5, vcc_lo, exec_lo
	s_delay_alu instid0(SALU_CYCLE_1)
	s_or_b32 s31, s4, s5
	s_or_b32 exec_lo, exec_lo, s30
	v_mov_b32_e32 v1, 0
	s_and_saveexec_b32 s30, s31
	s_cbranch_execnz .LBB55_1402
	s_branch .LBB55_1403
.LBB55_1422:
	s_mov_b32 s28, -1
                                        ; implicit-def: $vgpr1
.LBB55_1423:
	s_mov_b32 s31, 0
.LBB55_1424:
	s_delay_alu instid0(SALU_CYCLE_1)
	s_and_b32 vcc_lo, exec_lo, s31
	s_cbranch_vccz .LBB55_1428
; %bb.1425:
	s_cmp_eq_u32 s29, 11
	s_cbranch_scc0 .LBB55_1427
; %bb.1426:
	s_wait_loadcnt 0x0
	global_load_u8 v1, v[12:13], off
	s_mov_b32 s28, 0
	s_mov_b32 s30, -1
	s_wait_loadcnt 0x0
	v_cmp_ne_u16_e32 vcc_lo, 0, v1
	v_cndmask_b32_e64 v1, 0, 1, vcc_lo
	s_branch .LBB55_1428
.LBB55_1427:
	s_mov_b32 s28, -1
                                        ; implicit-def: $vgpr1
.LBB55_1428:
	s_mov_b32 s29, 0
.LBB55_1429:
	s_delay_alu instid0(SALU_CYCLE_1)
	s_and_b32 vcc_lo, exec_lo, s29
	s_cbranch_vccz .LBB55_1478
; %bb.1430:
	s_and_b32 s0, 0xffff, s0
	s_delay_alu instid0(SALU_CYCLE_1)
	s_cmp_lt_i32 s0, 5
	s_cbranch_scc1 .LBB55_1435
; %bb.1431:
	s_cmp_lt_i32 s0, 8
	s_cbranch_scc1 .LBB55_1436
; %bb.1432:
	;; [unrolled: 3-line block ×3, first 2 shown]
	s_cmp_gt_i32 s0, 9
	s_cbranch_scc0 .LBB55_1438
; %bb.1434:
	global_load_b64 v[14:15], v[12:13], off
	s_mov_b32 s29, 0
	s_wait_loadcnt 0x0
	v_cvt_i32_f64_e32 v1, v[14:15]
	s_branch .LBB55_1439
.LBB55_1435:
	s_mov_b32 s29, -1
                                        ; implicit-def: $vgpr1
	s_branch .LBB55_1457
.LBB55_1436:
	s_mov_b32 s29, -1
                                        ; implicit-def: $vgpr1
	s_branch .LBB55_1445
.LBB55_1437:
	s_mov_b32 s29, -1
                                        ; implicit-def: $vgpr1
	s_branch .LBB55_1442
.LBB55_1438:
	s_mov_b32 s29, -1
                                        ; implicit-def: $vgpr1
.LBB55_1439:
	s_delay_alu instid0(SALU_CYCLE_1)
	s_and_not1_b32 vcc_lo, exec_lo, s29
	s_cbranch_vccnz .LBB55_1441
; %bb.1440:
	s_wait_loadcnt 0x0
	global_load_b32 v1, v[12:13], off
	s_wait_loadcnt 0x0
	v_cvt_i32_f32_e32 v1, v1
.LBB55_1441:
	s_mov_b32 s29, 0
.LBB55_1442:
	s_delay_alu instid0(SALU_CYCLE_1)
	s_and_not1_b32 vcc_lo, exec_lo, s29
	s_cbranch_vccnz .LBB55_1444
; %bb.1443:
	s_wait_loadcnt 0x0
	global_load_b32 v1, v[12:13], off
	s_wait_loadcnt 0x0
	v_cvt_f32_f16_e32 v1, v1
	s_delay_alu instid0(VALU_DEP_1)
	v_cvt_i32_f32_e32 v1, v1
.LBB55_1444:
	s_mov_b32 s29, 0
.LBB55_1445:
	s_delay_alu instid0(SALU_CYCLE_1)
	s_and_not1_b32 vcc_lo, exec_lo, s29
	s_cbranch_vccnz .LBB55_1456
; %bb.1446:
	s_cmp_lt_i32 s0, 6
	s_cbranch_scc1 .LBB55_1449
; %bb.1447:
	s_cmp_gt_i32 s0, 6
	s_cbranch_scc0 .LBB55_1450
; %bb.1448:
	global_load_b64 v[14:15], v[12:13], off
	s_mov_b32 s29, 0
	s_wait_loadcnt 0x0
	v_cvt_i32_f64_e32 v1, v[14:15]
	s_branch .LBB55_1451
.LBB55_1449:
	s_mov_b32 s29, -1
                                        ; implicit-def: $vgpr1
	s_branch .LBB55_1454
.LBB55_1450:
	s_mov_b32 s29, -1
                                        ; implicit-def: $vgpr1
.LBB55_1451:
	s_delay_alu instid0(SALU_CYCLE_1)
	s_and_not1_b32 vcc_lo, exec_lo, s29
	s_cbranch_vccnz .LBB55_1453
; %bb.1452:
	s_wait_loadcnt 0x0
	global_load_b32 v1, v[12:13], off
	s_wait_loadcnt 0x0
	v_cvt_i32_f32_e32 v1, v1
.LBB55_1453:
	s_mov_b32 s29, 0
.LBB55_1454:
	s_delay_alu instid0(SALU_CYCLE_1)
	s_and_not1_b32 vcc_lo, exec_lo, s29
	s_cbranch_vccnz .LBB55_1456
; %bb.1455:
	s_wait_loadcnt 0x0
	global_load_u16 v1, v[12:13], off
	s_wait_loadcnt 0x0
	v_cvt_f32_f16_e32 v1, v1
	s_delay_alu instid0(VALU_DEP_1)
	v_cvt_i32_f32_e32 v1, v1
.LBB55_1456:
	s_mov_b32 s29, 0
.LBB55_1457:
	s_delay_alu instid0(SALU_CYCLE_1)
	s_and_not1_b32 vcc_lo, exec_lo, s29
	s_cbranch_vccnz .LBB55_1477
; %bb.1458:
	s_cmp_lt_i32 s0, 2
	s_cbranch_scc1 .LBB55_1462
; %bb.1459:
	s_cmp_lt_i32 s0, 3
	s_cbranch_scc1 .LBB55_1463
; %bb.1460:
	s_cmp_gt_i32 s0, 3
	s_cbranch_scc0 .LBB55_1464
; %bb.1461:
	s_wait_loadcnt 0x0
	global_load_b32 v1, v[12:13], off
	s_mov_b32 s29, 0
	s_branch .LBB55_1465
.LBB55_1462:
	s_mov_b32 s29, -1
                                        ; implicit-def: $vgpr1
	s_branch .LBB55_1471
.LBB55_1463:
	s_mov_b32 s29, -1
                                        ; implicit-def: $vgpr1
	s_branch .LBB55_1468
.LBB55_1464:
	s_mov_b32 s29, -1
                                        ; implicit-def: $vgpr1
.LBB55_1465:
	s_delay_alu instid0(SALU_CYCLE_1)
	s_and_not1_b32 vcc_lo, exec_lo, s29
	s_cbranch_vccnz .LBB55_1467
; %bb.1466:
	s_wait_loadcnt 0x0
	global_load_b32 v1, v[12:13], off
.LBB55_1467:
	s_mov_b32 s29, 0
.LBB55_1468:
	s_delay_alu instid0(SALU_CYCLE_1)
	s_and_not1_b32 vcc_lo, exec_lo, s29
	s_cbranch_vccnz .LBB55_1470
; %bb.1469:
	s_wait_loadcnt 0x0
	global_load_i16 v1, v[12:13], off
.LBB55_1470:
	s_mov_b32 s29, 0
.LBB55_1471:
	s_delay_alu instid0(SALU_CYCLE_1)
	s_and_not1_b32 vcc_lo, exec_lo, s29
	s_cbranch_vccnz .LBB55_1477
; %bb.1472:
	s_cmp_gt_i32 s0, 0
	s_mov_b32 s0, 0
	s_cbranch_scc0 .LBB55_1474
; %bb.1473:
	s_wait_loadcnt 0x0
	global_load_i8 v1, v[12:13], off
	s_branch .LBB55_1475
.LBB55_1474:
	s_mov_b32 s0, -1
                                        ; implicit-def: $vgpr1
.LBB55_1475:
	s_delay_alu instid0(SALU_CYCLE_1)
	s_and_not1_b32 vcc_lo, exec_lo, s0
	s_cbranch_vccnz .LBB55_1477
; %bb.1476:
	s_wait_loadcnt 0x0
	global_load_u8 v1, v[12:13], off
.LBB55_1477:
	s_mov_b32 s30, -1
.LBB55_1478:
	s_delay_alu instid0(SALU_CYCLE_1)
	s_and_not1_b32 vcc_lo, exec_lo, s30
	s_cbranch_vccnz .LBB55_1486
; %bb.1479:
	s_load_b256 s[4:11], s[2:3], 0x248
	v_mov_b32_e32 v11, 0
	s_and_b32 s0, s75, 0xff
	s_delay_alu instid0(SALU_CYCLE_1)
	s_cmp_lt_i32 s0, 11
	s_wait_loadcnt 0x0
	s_wait_kmcnt 0x0
	v_add_nc_u64_e32 v[10:11], s[8:9], v[10:11]
	s_cbranch_scc1 .LBB55_1487
; %bb.1480:
	s_and_b32 s30, 0xffff, s0
	s_delay_alu instid0(SALU_CYCLE_1)
	s_cmp_gt_i32 s30, 25
	s_cbranch_scc0 .LBB55_1488
; %bb.1481:
	s_cmp_gt_i32 s30, 28
	s_cbranch_scc0 .LBB55_1489
; %bb.1482:
	;; [unrolled: 3-line block ×4, first 2 shown]
	s_cmp_eq_u32 s30, 46
	s_mov_b32 s36, 0
	s_cbranch_scc0 .LBB55_1493
; %bb.1485:
	global_load_b32 v3, v[10:11], off
	s_mov_b32 s31, -1
	s_mov_b32 s29, 0
	s_wait_loadcnt 0x0
	v_lshlrev_b32_e32 v3, 16, v3
	s_delay_alu instid0(VALU_DEP_1)
	v_cvt_i32_f32_e32 v3, v3
	s_branch .LBB55_1495
.LBB55_1486:
	s_mov_b32 s0, 0
	s_mov_b32 s36, s99
	;; [unrolled: 1-line block ×10, first 2 shown]
	s_branch .LBB55_2084
.LBB55_1487:
	s_mov_b32 s30, -1
	s_mov_b32 s31, 0
	s_mov_b32 s29, s94
                                        ; implicit-def: $vgpr3
	s_branch .LBB55_1556
.LBB55_1488:
	s_mov_b32 s36, -1
	s_mov_b32 s31, 0
	s_mov_b32 s29, s94
                                        ; implicit-def: $vgpr3
	s_branch .LBB55_1522
.LBB55_1489:
	s_mov_b32 s36, -1
	s_mov_b32 s31, 0
	s_mov_b32 s29, s94
                                        ; implicit-def: $vgpr3
	s_branch .LBB55_1505
.LBB55_1490:
	s_mov_b32 s36, -1
	s_mov_b32 s31, 0
	s_mov_b32 s29, s94
                                        ; implicit-def: $vgpr3
	s_branch .LBB55_1500
.LBB55_1491:
	s_mov_b32 s36, -1
	s_mov_b32 s31, 0
	s_mov_b32 s29, s94
	s_branch .LBB55_1494
.LBB55_1492:
	s_mov_b32 s36, -1
	s_mov_b32 s59, 0
	s_mov_b32 s56, s45
	s_branch .LBB55_3643
.LBB55_1493:
	s_mov_b32 s29, -1
	s_mov_b32 s31, 0
.LBB55_1494:
                                        ; implicit-def: $vgpr3
.LBB55_1495:
	s_and_b32 vcc_lo, exec_lo, s36
	s_cbranch_vccz .LBB55_1499
; %bb.1496:
	s_cmp_eq_u32 s30, 44
	s_cbranch_scc0 .LBB55_1498
; %bb.1497:
	global_load_u8 v3, v[10:11], off
	s_mov_b32 s29, 0
	s_mov_b32 s31, -1
	s_wait_loadcnt 0x0
	v_lshlrev_b32_e32 v5, 23, v3
	v_cmp_ne_u32_e32 vcc_lo, 0, v3
	s_delay_alu instid0(VALU_DEP_2) | instskip(NEXT) | instid1(VALU_DEP_1)
	v_cvt_i32_f32_e32 v5, v5
	v_cndmask_b32_e32 v3, 0, v5, vcc_lo
	s_branch .LBB55_1499
.LBB55_1498:
	s_mov_b32 s29, -1
                                        ; implicit-def: $vgpr3
.LBB55_1499:
	s_mov_b32 s36, 0
.LBB55_1500:
	s_delay_alu instid0(SALU_CYCLE_1)
	s_and_b32 vcc_lo, exec_lo, s36
	s_cbranch_vccz .LBB55_1504
; %bb.1501:
	s_cmp_eq_u32 s30, 29
	s_cbranch_scc0 .LBB55_1503
; %bb.1502:
	global_load_b32 v3, v[10:11], off
	s_mov_b32 s31, -1
	s_mov_b32 s29, 0
	s_branch .LBB55_1504
.LBB55_1503:
	s_mov_b32 s29, -1
                                        ; implicit-def: $vgpr3
.LBB55_1504:
	s_mov_b32 s36, 0
.LBB55_1505:
	s_delay_alu instid0(SALU_CYCLE_1)
	s_and_b32 vcc_lo, exec_lo, s36
	s_cbranch_vccz .LBB55_1521
; %bb.1506:
	s_cmp_lt_i32 s30, 27
	s_cbranch_scc1 .LBB55_1509
; %bb.1507:
	s_cmp_gt_i32 s30, 27
	s_cbranch_scc0 .LBB55_1510
; %bb.1508:
	s_wait_loadcnt 0x0
	global_load_b32 v3, v[10:11], off
	s_mov_b32 s31, 0
	s_branch .LBB55_1511
.LBB55_1509:
	s_mov_b32 s31, -1
                                        ; implicit-def: $vgpr3
	s_branch .LBB55_1514
.LBB55_1510:
	s_mov_b32 s31, -1
                                        ; implicit-def: $vgpr3
.LBB55_1511:
	s_delay_alu instid0(SALU_CYCLE_1)
	s_and_not1_b32 vcc_lo, exec_lo, s31
	s_cbranch_vccnz .LBB55_1513
; %bb.1512:
	s_wait_loadcnt 0x0
	global_load_u16 v3, v[10:11], off
.LBB55_1513:
	s_mov_b32 s31, 0
.LBB55_1514:
	s_delay_alu instid0(SALU_CYCLE_1)
	s_and_not1_b32 vcc_lo, exec_lo, s31
	s_cbranch_vccnz .LBB55_1520
; %bb.1515:
	global_load_u8 v5, v[10:11], off
	s_mov_b32 s36, 0
	s_mov_b32 s4, exec_lo
	s_wait_loadcnt 0x0
	v_cmpx_lt_i16_e32 0x7f, v5
	s_xor_b32 s31, exec_lo, s4
	s_cbranch_execz .LBB55_1532
; %bb.1516:
	v_cmp_ne_u16_e32 vcc_lo, 0x80, v5
	s_and_b32 s36, vcc_lo, exec_lo
	s_and_not1_saveexec_b32 s31, s31
	s_cbranch_execnz .LBB55_1533
.LBB55_1517:
	s_or_b32 exec_lo, exec_lo, s31
	v_mov_b32_e32 v3, 0
	s_and_saveexec_b32 s31, s36
	s_cbranch_execz .LBB55_1519
.LBB55_1518:
	v_and_b32_e32 v3, 0xffff, v5
	s_delay_alu instid0(VALU_DEP_1) | instskip(SKIP_1) | instid1(VALU_DEP_2)
	v_and_b32_e32 v7, 7, v3
	v_bfe_u32 v13, v3, 3, 4
	v_clz_i32_u32_e32 v9, v7
	s_delay_alu instid0(VALU_DEP_2) | instskip(NEXT) | instid1(VALU_DEP_2)
	v_cmp_eq_u32_e32 vcc_lo, 0, v13
	v_min_u32_e32 v9, 32, v9
	s_delay_alu instid0(VALU_DEP_1) | instskip(NEXT) | instid1(VALU_DEP_1)
	v_subrev_nc_u32_e32 v12, 28, v9
	v_dual_lshlrev_b32 v3, v12, v3 :: v_dual_sub_nc_u32 v9, 29, v9
	s_delay_alu instid0(VALU_DEP_1) | instskip(NEXT) | instid1(VALU_DEP_1)
	v_dual_lshlrev_b32 v5, 24, v5 :: v_dual_bitop2_b32 v3, 7, v3 bitop3:0x40
	v_dual_cndmask_b32 v3, v7, v3, vcc_lo :: v_dual_cndmask_b32 v9, v13, v9, vcc_lo
	s_delay_alu instid0(VALU_DEP_2) | instskip(NEXT) | instid1(VALU_DEP_2)
	v_and_b32_e32 v5, 0x80000000, v5
	v_lshlrev_b32_e32 v3, 20, v3
	s_delay_alu instid0(VALU_DEP_3) | instskip(NEXT) | instid1(VALU_DEP_1)
	v_lshl_add_u32 v7, v9, 23, 0x3b800000
	v_or3_b32 v3, v5, v7, v3
	s_delay_alu instid0(VALU_DEP_1)
	v_cvt_i32_f32_e32 v3, v3
.LBB55_1519:
	s_or_b32 exec_lo, exec_lo, s31
.LBB55_1520:
	s_mov_b32 s31, -1
.LBB55_1521:
	s_mov_b32 s36, 0
.LBB55_1522:
	s_delay_alu instid0(SALU_CYCLE_1)
	s_and_b32 vcc_lo, exec_lo, s36
	s_cbranch_vccz .LBB55_1555
; %bb.1523:
	s_cmp_gt_i32 s30, 22
	s_cbranch_scc0 .LBB55_1531
; %bb.1524:
	s_cmp_lt_i32 s30, 24
	s_cbranch_scc1 .LBB55_1534
; %bb.1525:
	s_cmp_gt_i32 s30, 24
	s_cbranch_scc0 .LBB55_1535
; %bb.1526:
	global_load_u8 v5, v[10:11], off
	s_mov_b32 s36, 0
	s_mov_b32 s4, exec_lo
	s_wait_loadcnt 0x0
	v_cmpx_lt_i16_e32 0x7f, v5
	s_xor_b32 s31, exec_lo, s4
	s_cbranch_execz .LBB55_1547
; %bb.1527:
	v_cmp_ne_u16_e32 vcc_lo, 0x80, v5
	s_and_b32 s36, vcc_lo, exec_lo
	s_and_not1_saveexec_b32 s31, s31
	s_cbranch_execnz .LBB55_1548
.LBB55_1528:
	s_or_b32 exec_lo, exec_lo, s31
	v_mov_b32_e32 v3, 0
	s_and_saveexec_b32 s31, s36
	s_cbranch_execz .LBB55_1530
.LBB55_1529:
	v_and_b32_e32 v3, 0xffff, v5
	s_delay_alu instid0(VALU_DEP_1) | instskip(SKIP_1) | instid1(VALU_DEP_2)
	v_and_b32_e32 v7, 3, v3
	v_bfe_u32 v13, v3, 2, 5
	v_clz_i32_u32_e32 v9, v7
	s_delay_alu instid0(VALU_DEP_2) | instskip(NEXT) | instid1(VALU_DEP_2)
	v_cmp_eq_u32_e32 vcc_lo, 0, v13
	v_min_u32_e32 v9, 32, v9
	s_delay_alu instid0(VALU_DEP_1) | instskip(NEXT) | instid1(VALU_DEP_1)
	v_subrev_nc_u32_e32 v12, 29, v9
	v_dual_lshlrev_b32 v3, v12, v3 :: v_dual_sub_nc_u32 v9, 30, v9
	s_delay_alu instid0(VALU_DEP_1) | instskip(NEXT) | instid1(VALU_DEP_1)
	v_dual_lshlrev_b32 v5, 24, v5 :: v_dual_bitop2_b32 v3, 3, v3 bitop3:0x40
	v_dual_cndmask_b32 v3, v7, v3, vcc_lo :: v_dual_cndmask_b32 v9, v13, v9, vcc_lo
	s_delay_alu instid0(VALU_DEP_2) | instskip(NEXT) | instid1(VALU_DEP_2)
	v_and_b32_e32 v5, 0x80000000, v5
	v_lshlrev_b32_e32 v3, 21, v3
	s_delay_alu instid0(VALU_DEP_3) | instskip(NEXT) | instid1(VALU_DEP_1)
	v_lshl_add_u32 v7, v9, 23, 0x37800000
	v_or3_b32 v3, v5, v7, v3
	s_delay_alu instid0(VALU_DEP_1)
	v_cvt_i32_f32_e32 v3, v3
.LBB55_1530:
	s_or_b32 exec_lo, exec_lo, s31
	s_mov_b32 s31, 0
	s_branch .LBB55_1536
.LBB55_1531:
	s_mov_b32 s36, -1
                                        ; implicit-def: $vgpr3
	s_branch .LBB55_1542
.LBB55_1532:
	s_and_not1_saveexec_b32 s31, s31
	s_cbranch_execz .LBB55_1517
.LBB55_1533:
	v_cmp_ne_u16_e32 vcc_lo, 0, v5
	s_and_not1_b32 s4, s36, exec_lo
	s_and_b32 s5, vcc_lo, exec_lo
	s_delay_alu instid0(SALU_CYCLE_1)
	s_or_b32 s36, s4, s5
	s_or_b32 exec_lo, exec_lo, s31
	v_mov_b32_e32 v3, 0
	s_and_saveexec_b32 s31, s36
	s_cbranch_execnz .LBB55_1518
	s_branch .LBB55_1519
.LBB55_1534:
	s_mov_b32 s31, -1
                                        ; implicit-def: $vgpr3
	s_branch .LBB55_1539
.LBB55_1535:
	s_mov_b32 s31, -1
                                        ; implicit-def: $vgpr3
.LBB55_1536:
	s_delay_alu instid0(SALU_CYCLE_1)
	s_and_b32 vcc_lo, exec_lo, s31
	s_cbranch_vccz .LBB55_1538
; %bb.1537:
	s_wait_loadcnt 0x0
	global_load_u8 v3, v[10:11], off
	s_wait_loadcnt 0x0
	v_lshlrev_b32_e32 v3, 24, v3
	s_delay_alu instid0(VALU_DEP_1) | instskip(NEXT) | instid1(VALU_DEP_1)
	v_and_b32_e32 v5, 0x7f000000, v3
	v_clz_i32_u32_e32 v7, v5
	v_cmp_ne_u32_e32 vcc_lo, 0, v5
	v_add_nc_u32_e32 v12, 0x1000000, v5
	s_delay_alu instid0(VALU_DEP_3) | instskip(NEXT) | instid1(VALU_DEP_1)
	v_min_u32_e32 v7, 32, v7
	v_sub_nc_u32_e64 v7, v7, 4 clamp
	s_delay_alu instid0(VALU_DEP_1) | instskip(NEXT) | instid1(VALU_DEP_1)
	v_dual_lshlrev_b32 v9, v7, v5 :: v_dual_lshlrev_b32 v7, 23, v7
	v_lshrrev_b32_e32 v9, 4, v9
	s_delay_alu instid0(VALU_DEP_1) | instskip(NEXT) | instid1(VALU_DEP_1)
	v_dual_sub_nc_u32 v7, v9, v7 :: v_dual_ashrrev_i32 v9, 8, v12
	v_add_nc_u32_e32 v7, 0x3c000000, v7
	s_delay_alu instid0(VALU_DEP_1) | instskip(NEXT) | instid1(VALU_DEP_1)
	v_and_or_b32 v7, 0x7f800000, v9, v7
	v_cndmask_b32_e32 v5, 0, v7, vcc_lo
	s_delay_alu instid0(VALU_DEP_1) | instskip(NEXT) | instid1(VALU_DEP_1)
	v_and_or_b32 v3, 0x80000000, v3, v5
	v_cvt_i32_f32_e32 v3, v3
.LBB55_1538:
	s_mov_b32 s31, 0
.LBB55_1539:
	s_delay_alu instid0(SALU_CYCLE_1)
	s_and_not1_b32 vcc_lo, exec_lo, s31
	s_cbranch_vccnz .LBB55_1541
; %bb.1540:
	s_wait_loadcnt 0x0
	global_load_u8 v3, v[10:11], off
	s_wait_loadcnt 0x0
	v_lshlrev_b32_e32 v5, 25, v3
	v_lshlrev_b16 v3, 8, v3
	s_delay_alu instid0(VALU_DEP_1) | instskip(SKIP_1) | instid1(VALU_DEP_2)
	v_and_or_b32 v9, 0x7f00, v3, 0.5
	v_bfe_i32 v3, v3, 0, 16
	v_add_f32_e32 v9, -0.5, v9
	v_lshrrev_b32_e32 v7, 4, v5
	v_cmp_gt_u32_e32 vcc_lo, 0x8000000, v5
	s_delay_alu instid0(VALU_DEP_2) | instskip(NEXT) | instid1(VALU_DEP_1)
	v_or_b32_e32 v7, 0x70000000, v7
	v_mul_f32_e32 v7, 0x7800000, v7
	s_delay_alu instid0(VALU_DEP_1) | instskip(NEXT) | instid1(VALU_DEP_1)
	v_cndmask_b32_e32 v5, v7, v9, vcc_lo
	v_and_or_b32 v3, 0x80000000, v3, v5
	s_delay_alu instid0(VALU_DEP_1)
	v_cvt_i32_f32_e32 v3, v3
.LBB55_1541:
	s_mov_b32 s36, 0
	s_mov_b32 s31, -1
.LBB55_1542:
	s_and_not1_b32 vcc_lo, exec_lo, s36
	s_cbranch_vccnz .LBB55_1555
; %bb.1543:
	s_cmp_gt_i32 s30, 14
	s_cbranch_scc0 .LBB55_1546
; %bb.1544:
	s_cmp_eq_u32 s30, 15
	s_cbranch_scc0 .LBB55_1549
; %bb.1545:
	s_wait_loadcnt 0x0
	global_load_u16 v3, v[10:11], off
	s_mov_b32 s31, -1
	s_mov_b32 s29, 0
	s_wait_loadcnt 0x0
	v_lshlrev_b32_e32 v3, 16, v3
	s_delay_alu instid0(VALU_DEP_1)
	v_cvt_i32_f32_e32 v3, v3
	s_branch .LBB55_1550
.LBB55_1546:
	s_mov_b32 s36, -1
                                        ; implicit-def: $vgpr3
	s_branch .LBB55_1551
.LBB55_1547:
	s_and_not1_saveexec_b32 s31, s31
	s_cbranch_execz .LBB55_1528
.LBB55_1548:
	v_cmp_ne_u16_e32 vcc_lo, 0, v5
	s_and_not1_b32 s4, s36, exec_lo
	s_and_b32 s5, vcc_lo, exec_lo
	s_delay_alu instid0(SALU_CYCLE_1)
	s_or_b32 s36, s4, s5
	s_or_b32 exec_lo, exec_lo, s31
	v_mov_b32_e32 v3, 0
	s_and_saveexec_b32 s31, s36
	s_cbranch_execnz .LBB55_1529
	s_branch .LBB55_1530
.LBB55_1549:
	s_mov_b32 s29, -1
                                        ; implicit-def: $vgpr3
.LBB55_1550:
	s_mov_b32 s36, 0
.LBB55_1551:
	s_delay_alu instid0(SALU_CYCLE_1)
	s_and_b32 vcc_lo, exec_lo, s36
	s_cbranch_vccz .LBB55_1555
; %bb.1552:
	s_cmp_eq_u32 s30, 11
	s_cbranch_scc0 .LBB55_1554
; %bb.1553:
	s_wait_loadcnt 0x0
	global_load_u8 v3, v[10:11], off
	s_mov_b32 s29, 0
	s_mov_b32 s31, -1
	s_wait_loadcnt 0x0
	v_cmp_ne_u16_e32 vcc_lo, 0, v3
	v_cndmask_b32_e64 v3, 0, 1, vcc_lo
	s_branch .LBB55_1555
.LBB55_1554:
	s_mov_b32 s29, -1
                                        ; implicit-def: $vgpr3
.LBB55_1555:
	s_mov_b32 s30, 0
.LBB55_1556:
	s_delay_alu instid0(SALU_CYCLE_1)
	s_and_b32 vcc_lo, exec_lo, s30
	s_cbranch_vccz .LBB55_1605
; %bb.1557:
	s_and_b32 s0, 0xffff, s0
	s_delay_alu instid0(SALU_CYCLE_1)
	s_cmp_lt_i32 s0, 5
	s_cbranch_scc1 .LBB55_1562
; %bb.1558:
	s_cmp_lt_i32 s0, 8
	s_cbranch_scc1 .LBB55_1563
; %bb.1559:
	;; [unrolled: 3-line block ×3, first 2 shown]
	s_cmp_gt_i32 s0, 9
	s_cbranch_scc0 .LBB55_1565
; %bb.1561:
	global_load_b64 v[12:13], v[10:11], off
	s_mov_b32 s30, 0
	s_wait_loadcnt 0x0
	v_cvt_i32_f64_e32 v3, v[12:13]
	s_branch .LBB55_1566
.LBB55_1562:
	s_mov_b32 s30, -1
                                        ; implicit-def: $vgpr3
	s_branch .LBB55_1584
.LBB55_1563:
	s_mov_b32 s30, -1
                                        ; implicit-def: $vgpr3
	s_branch .LBB55_1572
.LBB55_1564:
	s_mov_b32 s30, -1
                                        ; implicit-def: $vgpr3
	s_branch .LBB55_1569
.LBB55_1565:
	s_mov_b32 s30, -1
                                        ; implicit-def: $vgpr3
.LBB55_1566:
	s_delay_alu instid0(SALU_CYCLE_1)
	s_and_not1_b32 vcc_lo, exec_lo, s30
	s_cbranch_vccnz .LBB55_1568
; %bb.1567:
	s_wait_loadcnt 0x0
	global_load_b32 v3, v[10:11], off
	s_wait_loadcnt 0x0
	v_cvt_i32_f32_e32 v3, v3
.LBB55_1568:
	s_mov_b32 s30, 0
.LBB55_1569:
	s_delay_alu instid0(SALU_CYCLE_1)
	s_and_not1_b32 vcc_lo, exec_lo, s30
	s_cbranch_vccnz .LBB55_1571
; %bb.1570:
	s_wait_loadcnt 0x0
	global_load_b32 v3, v[10:11], off
	s_wait_loadcnt 0x0
	v_cvt_f32_f16_e32 v3, v3
	s_delay_alu instid0(VALU_DEP_1)
	v_cvt_i32_f32_e32 v3, v3
.LBB55_1571:
	s_mov_b32 s30, 0
.LBB55_1572:
	s_delay_alu instid0(SALU_CYCLE_1)
	s_and_not1_b32 vcc_lo, exec_lo, s30
	s_cbranch_vccnz .LBB55_1583
; %bb.1573:
	s_cmp_lt_i32 s0, 6
	s_cbranch_scc1 .LBB55_1576
; %bb.1574:
	s_cmp_gt_i32 s0, 6
	s_cbranch_scc0 .LBB55_1577
; %bb.1575:
	global_load_b64 v[12:13], v[10:11], off
	s_mov_b32 s30, 0
	s_wait_loadcnt 0x0
	v_cvt_i32_f64_e32 v3, v[12:13]
	s_branch .LBB55_1578
.LBB55_1576:
	s_mov_b32 s30, -1
                                        ; implicit-def: $vgpr3
	s_branch .LBB55_1581
.LBB55_1577:
	s_mov_b32 s30, -1
                                        ; implicit-def: $vgpr3
.LBB55_1578:
	s_delay_alu instid0(SALU_CYCLE_1)
	s_and_not1_b32 vcc_lo, exec_lo, s30
	s_cbranch_vccnz .LBB55_1580
; %bb.1579:
	s_wait_loadcnt 0x0
	global_load_b32 v3, v[10:11], off
	s_wait_loadcnt 0x0
	v_cvt_i32_f32_e32 v3, v3
.LBB55_1580:
	s_mov_b32 s30, 0
.LBB55_1581:
	s_delay_alu instid0(SALU_CYCLE_1)
	s_and_not1_b32 vcc_lo, exec_lo, s30
	s_cbranch_vccnz .LBB55_1583
; %bb.1582:
	s_wait_loadcnt 0x0
	global_load_u16 v3, v[10:11], off
	s_wait_loadcnt 0x0
	v_cvt_f32_f16_e32 v3, v3
	s_delay_alu instid0(VALU_DEP_1)
	v_cvt_i32_f32_e32 v3, v3
.LBB55_1583:
	s_mov_b32 s30, 0
.LBB55_1584:
	s_delay_alu instid0(SALU_CYCLE_1)
	s_and_not1_b32 vcc_lo, exec_lo, s30
	s_cbranch_vccnz .LBB55_1604
; %bb.1585:
	s_cmp_lt_i32 s0, 2
	s_cbranch_scc1 .LBB55_1589
; %bb.1586:
	s_cmp_lt_i32 s0, 3
	s_cbranch_scc1 .LBB55_1590
; %bb.1587:
	s_cmp_gt_i32 s0, 3
	s_cbranch_scc0 .LBB55_1591
; %bb.1588:
	s_wait_loadcnt 0x0
	global_load_b32 v3, v[10:11], off
	s_mov_b32 s30, 0
	s_branch .LBB55_1592
.LBB55_1589:
	s_mov_b32 s30, -1
                                        ; implicit-def: $vgpr3
	s_branch .LBB55_1598
.LBB55_1590:
	s_mov_b32 s30, -1
                                        ; implicit-def: $vgpr3
	s_branch .LBB55_1595
.LBB55_1591:
	s_mov_b32 s30, -1
                                        ; implicit-def: $vgpr3
.LBB55_1592:
	s_delay_alu instid0(SALU_CYCLE_1)
	s_and_not1_b32 vcc_lo, exec_lo, s30
	s_cbranch_vccnz .LBB55_1594
; %bb.1593:
	s_wait_loadcnt 0x0
	global_load_b32 v3, v[10:11], off
.LBB55_1594:
	s_mov_b32 s30, 0
.LBB55_1595:
	s_delay_alu instid0(SALU_CYCLE_1)
	s_and_not1_b32 vcc_lo, exec_lo, s30
	s_cbranch_vccnz .LBB55_1597
; %bb.1596:
	s_wait_loadcnt 0x0
	global_load_i16 v3, v[10:11], off
.LBB55_1597:
	s_mov_b32 s30, 0
.LBB55_1598:
	s_delay_alu instid0(SALU_CYCLE_1)
	s_and_not1_b32 vcc_lo, exec_lo, s30
	s_cbranch_vccnz .LBB55_1604
; %bb.1599:
	s_cmp_gt_i32 s0, 0
	s_mov_b32 s0, 0
	s_cbranch_scc0 .LBB55_1601
; %bb.1600:
	s_wait_loadcnt 0x0
	global_load_i8 v3, v[10:11], off
	s_branch .LBB55_1602
.LBB55_1601:
	s_mov_b32 s0, -1
                                        ; implicit-def: $vgpr3
.LBB55_1602:
	s_delay_alu instid0(SALU_CYCLE_1)
	s_and_not1_b32 vcc_lo, exec_lo, s0
	s_cbranch_vccnz .LBB55_1604
; %bb.1603:
	s_wait_loadcnt 0x0
	global_load_u8 v3, v[10:11], off
.LBB55_1604:
	s_mov_b32 s31, -1
.LBB55_1605:
	s_delay_alu instid0(SALU_CYCLE_1)
	s_and_not1_b32 vcc_lo, exec_lo, s31
	s_cbranch_vccnz .LBB55_1613
; %bb.1606:
	s_load_b256 s[4:11], s[2:3], 0x248
	v_mov_b32_e32 v9, 0
	s_and_b32 s0, s50, 0xff
	s_delay_alu instid0(SALU_CYCLE_1) | instskip(SKIP_1) | instid1(VALU_DEP_1)
	s_cmp_lt_i32 s0, 11
	s_wait_kmcnt 0x0
	v_add_nc_u64_e32 v[10:11], s[10:11], v[8:9]
	s_cbranch_scc1 .LBB55_1614
; %bb.1607:
	s_and_b32 s31, 0xffff, s0
	s_delay_alu instid0(SALU_CYCLE_1)
	s_cmp_gt_i32 s31, 25
	s_cbranch_scc0 .LBB55_1615
; %bb.1608:
	s_cmp_gt_i32 s31, 28
	s_cbranch_scc0 .LBB55_1616
; %bb.1609:
	;; [unrolled: 3-line block ×4, first 2 shown]
	s_cmp_eq_u32 s31, 46
	s_mov_b32 s36, 0
	s_cbranch_scc0 .LBB55_1620
; %bb.1612:
	global_load_b32 v5, v[10:11], off
	s_mov_b32 s49, -1
	s_mov_b32 s30, 0
	s_wait_loadcnt 0x0
	v_lshlrev_b32_e32 v5, 16, v5
	s_delay_alu instid0(VALU_DEP_1)
	v_cvt_i32_f32_e32 v8, v5
	s_branch .LBB55_1622
.LBB55_1613:
	s_mov_b32 s0, 0
	s_mov_b32 s36, s99
	;; [unrolled: 1-line block ×9, first 2 shown]
	s_branch .LBB55_2084
.LBB55_1614:
	s_mov_b32 s31, -1
	s_mov_b32 s49, 0
	s_mov_b32 s30, s93
                                        ; implicit-def: $vgpr8
	s_branch .LBB55_1683
.LBB55_1615:
	s_mov_b32 s36, -1
	s_mov_b32 s49, 0
	s_mov_b32 s30, s93
                                        ; implicit-def: $vgpr8
	s_branch .LBB55_1649
.LBB55_1616:
	s_mov_b32 s36, -1
	s_mov_b32 s49, 0
	s_mov_b32 s30, s93
                                        ; implicit-def: $vgpr8
	s_branch .LBB55_1632
.LBB55_1617:
	s_mov_b32 s36, -1
	s_mov_b32 s49, 0
	s_mov_b32 s30, s93
                                        ; implicit-def: $vgpr8
	s_branch .LBB55_1627
.LBB55_1618:
	s_mov_b32 s36, -1
	s_mov_b32 s49, 0
	s_mov_b32 s30, s93
	s_branch .LBB55_1621
.LBB55_1619:
	s_mov_b32 s36, -1
	s_mov_b32 s59, 0
	s_mov_b32 s56, s45
	s_branch .LBB55_3623
.LBB55_1620:
	s_mov_b32 s30, -1
	s_mov_b32 s49, 0
.LBB55_1621:
                                        ; implicit-def: $vgpr8
.LBB55_1622:
	s_and_b32 vcc_lo, exec_lo, s36
	s_cbranch_vccz .LBB55_1626
; %bb.1623:
	s_cmp_eq_u32 s31, 44
	s_cbranch_scc0 .LBB55_1625
; %bb.1624:
	global_load_u8 v5, v[10:11], off
	s_mov_b32 s30, 0
	s_mov_b32 s49, -1
	s_wait_loadcnt 0x0
	v_lshlrev_b32_e32 v7, 23, v5
	v_cmp_ne_u32_e32 vcc_lo, 0, v5
	s_delay_alu instid0(VALU_DEP_2) | instskip(NEXT) | instid1(VALU_DEP_1)
	v_cvt_i32_f32_e32 v7, v7
	v_cndmask_b32_e32 v8, 0, v7, vcc_lo
	s_branch .LBB55_1626
.LBB55_1625:
	s_mov_b32 s30, -1
                                        ; implicit-def: $vgpr8
.LBB55_1626:
	s_mov_b32 s36, 0
.LBB55_1627:
	s_delay_alu instid0(SALU_CYCLE_1)
	s_and_b32 vcc_lo, exec_lo, s36
	s_cbranch_vccz .LBB55_1631
; %bb.1628:
	s_cmp_eq_u32 s31, 29
	s_cbranch_scc0 .LBB55_1630
; %bb.1629:
	global_load_b32 v8, v[10:11], off
	s_mov_b32 s49, -1
	s_mov_b32 s30, 0
	s_branch .LBB55_1631
.LBB55_1630:
	s_mov_b32 s30, -1
                                        ; implicit-def: $vgpr8
.LBB55_1631:
	s_mov_b32 s36, 0
.LBB55_1632:
	s_delay_alu instid0(SALU_CYCLE_1)
	s_and_b32 vcc_lo, exec_lo, s36
	s_cbranch_vccz .LBB55_1648
; %bb.1633:
	s_cmp_lt_i32 s31, 27
	s_cbranch_scc1 .LBB55_1636
; %bb.1634:
	s_cmp_gt_i32 s31, 27
	s_cbranch_scc0 .LBB55_1637
; %bb.1635:
	s_wait_loadcnt 0x0
	global_load_b32 v8, v[10:11], off
	s_mov_b32 s36, 0
	s_branch .LBB55_1638
.LBB55_1636:
	s_mov_b32 s36, -1
                                        ; implicit-def: $vgpr8
	s_branch .LBB55_1641
.LBB55_1637:
	s_mov_b32 s36, -1
                                        ; implicit-def: $vgpr8
.LBB55_1638:
	s_delay_alu instid0(SALU_CYCLE_1)
	s_and_not1_b32 vcc_lo, exec_lo, s36
	s_cbranch_vccnz .LBB55_1640
; %bb.1639:
	s_wait_loadcnt 0x0
	global_load_u16 v8, v[10:11], off
.LBB55_1640:
	s_mov_b32 s36, 0
.LBB55_1641:
	s_delay_alu instid0(SALU_CYCLE_1)
	s_and_not1_b32 vcc_lo, exec_lo, s36
	s_cbranch_vccnz .LBB55_1647
; %bb.1642:
	global_load_u8 v5, v[10:11], off
	s_mov_b32 s37, 0
	s_mov_b32 s4, exec_lo
	s_wait_loadcnt 0x0
	v_cmpx_lt_i16_e32 0x7f, v5
	s_xor_b32 s36, exec_lo, s4
	s_cbranch_execz .LBB55_1659
; %bb.1643:
	v_cmp_ne_u16_e32 vcc_lo, 0x80, v5
	s_and_b32 s37, vcc_lo, exec_lo
	s_and_not1_saveexec_b32 s36, s36
	s_cbranch_execnz .LBB55_1660
.LBB55_1644:
	s_or_b32 exec_lo, exec_lo, s36
	v_mov_b32_e32 v8, 0
	s_and_saveexec_b32 s36, s37
	s_cbranch_execz .LBB55_1646
.LBB55_1645:
	v_and_b32_e32 v7, 0xffff, v5
	s_delay_alu instid0(VALU_DEP_1) | instskip(SKIP_1) | instid1(VALU_DEP_2)
	v_and_b32_e32 v8, 7, v7
	v_bfe_u32 v13, v7, 3, 4
	v_clz_i32_u32_e32 v9, v8
	s_delay_alu instid0(VALU_DEP_2) | instskip(NEXT) | instid1(VALU_DEP_2)
	v_cmp_eq_u32_e32 vcc_lo, 0, v13
	v_min_u32_e32 v9, 32, v9
	s_delay_alu instid0(VALU_DEP_1) | instskip(NEXT) | instid1(VALU_DEP_1)
	v_subrev_nc_u32_e32 v12, 28, v9
	v_dual_lshlrev_b32 v7, v12, v7 :: v_dual_sub_nc_u32 v9, 29, v9
	s_delay_alu instid0(VALU_DEP_1) | instskip(NEXT) | instid1(VALU_DEP_1)
	v_dual_lshlrev_b32 v5, 24, v5 :: v_dual_bitop2_b32 v7, 7, v7 bitop3:0x40
	v_dual_cndmask_b32 v7, v8, v7, vcc_lo :: v_dual_cndmask_b32 v9, v13, v9, vcc_lo
	s_delay_alu instid0(VALU_DEP_2) | instskip(NEXT) | instid1(VALU_DEP_2)
	v_and_b32_e32 v5, 0x80000000, v5
	v_lshlrev_b32_e32 v7, 20, v7
	s_delay_alu instid0(VALU_DEP_3) | instskip(NEXT) | instid1(VALU_DEP_1)
	v_lshl_add_u32 v8, v9, 23, 0x3b800000
	v_or3_b32 v5, v5, v8, v7
	s_delay_alu instid0(VALU_DEP_1)
	v_cvt_i32_f32_e32 v8, v5
.LBB55_1646:
	s_or_b32 exec_lo, exec_lo, s36
.LBB55_1647:
	s_mov_b32 s49, -1
.LBB55_1648:
	s_mov_b32 s36, 0
.LBB55_1649:
	s_delay_alu instid0(SALU_CYCLE_1)
	s_and_b32 vcc_lo, exec_lo, s36
	s_cbranch_vccz .LBB55_1682
; %bb.1650:
	s_cmp_gt_i32 s31, 22
	s_cbranch_scc0 .LBB55_1658
; %bb.1651:
	s_cmp_lt_i32 s31, 24
	s_cbranch_scc1 .LBB55_1661
; %bb.1652:
	s_cmp_gt_i32 s31, 24
	s_cbranch_scc0 .LBB55_1662
; %bb.1653:
	global_load_u8 v5, v[10:11], off
	s_mov_b32 s37, 0
	s_mov_b32 s4, exec_lo
	s_wait_loadcnt 0x0
	v_cmpx_lt_i16_e32 0x7f, v5
	s_xor_b32 s36, exec_lo, s4
	s_cbranch_execz .LBB55_1674
; %bb.1654:
	v_cmp_ne_u16_e32 vcc_lo, 0x80, v5
	s_and_b32 s37, vcc_lo, exec_lo
	s_and_not1_saveexec_b32 s36, s36
	s_cbranch_execnz .LBB55_1675
.LBB55_1655:
	s_or_b32 exec_lo, exec_lo, s36
	v_mov_b32_e32 v8, 0
	s_and_saveexec_b32 s36, s37
	s_cbranch_execz .LBB55_1657
.LBB55_1656:
	v_and_b32_e32 v7, 0xffff, v5
	s_delay_alu instid0(VALU_DEP_1) | instskip(SKIP_1) | instid1(VALU_DEP_2)
	v_and_b32_e32 v8, 3, v7
	v_bfe_u32 v13, v7, 2, 5
	v_clz_i32_u32_e32 v9, v8
	s_delay_alu instid0(VALU_DEP_2) | instskip(NEXT) | instid1(VALU_DEP_2)
	v_cmp_eq_u32_e32 vcc_lo, 0, v13
	v_min_u32_e32 v9, 32, v9
	s_delay_alu instid0(VALU_DEP_1) | instskip(NEXT) | instid1(VALU_DEP_1)
	v_subrev_nc_u32_e32 v12, 29, v9
	v_dual_lshlrev_b32 v7, v12, v7 :: v_dual_sub_nc_u32 v9, 30, v9
	s_delay_alu instid0(VALU_DEP_1) | instskip(NEXT) | instid1(VALU_DEP_1)
	v_dual_lshlrev_b32 v5, 24, v5 :: v_dual_bitop2_b32 v7, 3, v7 bitop3:0x40
	v_dual_cndmask_b32 v7, v8, v7, vcc_lo :: v_dual_cndmask_b32 v9, v13, v9, vcc_lo
	s_delay_alu instid0(VALU_DEP_2) | instskip(NEXT) | instid1(VALU_DEP_2)
	v_and_b32_e32 v5, 0x80000000, v5
	v_lshlrev_b32_e32 v7, 21, v7
	s_delay_alu instid0(VALU_DEP_3) | instskip(NEXT) | instid1(VALU_DEP_1)
	v_lshl_add_u32 v8, v9, 23, 0x37800000
	v_or3_b32 v5, v5, v8, v7
	s_delay_alu instid0(VALU_DEP_1)
	v_cvt_i32_f32_e32 v8, v5
.LBB55_1657:
	s_or_b32 exec_lo, exec_lo, s36
	s_mov_b32 s36, 0
	s_branch .LBB55_1663
.LBB55_1658:
	s_mov_b32 s36, -1
                                        ; implicit-def: $vgpr8
	s_branch .LBB55_1669
.LBB55_1659:
	s_and_not1_saveexec_b32 s36, s36
	s_cbranch_execz .LBB55_1644
.LBB55_1660:
	v_cmp_ne_u16_e32 vcc_lo, 0, v5
	s_and_not1_b32 s4, s37, exec_lo
	s_and_b32 s5, vcc_lo, exec_lo
	s_delay_alu instid0(SALU_CYCLE_1)
	s_or_b32 s37, s4, s5
	s_or_b32 exec_lo, exec_lo, s36
	v_mov_b32_e32 v8, 0
	s_and_saveexec_b32 s36, s37
	s_cbranch_execnz .LBB55_1645
	s_branch .LBB55_1646
.LBB55_1661:
	s_mov_b32 s36, -1
                                        ; implicit-def: $vgpr8
	s_branch .LBB55_1666
.LBB55_1662:
	s_mov_b32 s36, -1
                                        ; implicit-def: $vgpr8
.LBB55_1663:
	s_delay_alu instid0(SALU_CYCLE_1)
	s_and_b32 vcc_lo, exec_lo, s36
	s_cbranch_vccz .LBB55_1665
; %bb.1664:
	global_load_u8 v5, v[10:11], off
	s_wait_loadcnt 0x0
	v_lshlrev_b32_e32 v5, 24, v5
	s_delay_alu instid0(VALU_DEP_1) | instskip(NEXT) | instid1(VALU_DEP_1)
	v_and_b32_e32 v7, 0x7f000000, v5
	v_clz_i32_u32_e32 v8, v7
	v_cmp_ne_u32_e32 vcc_lo, 0, v7
	v_add_nc_u32_e32 v12, 0x1000000, v7
	s_delay_alu instid0(VALU_DEP_3) | instskip(NEXT) | instid1(VALU_DEP_1)
	v_min_u32_e32 v8, 32, v8
	v_sub_nc_u32_e64 v8, v8, 4 clamp
	s_delay_alu instid0(VALU_DEP_1) | instskip(NEXT) | instid1(VALU_DEP_1)
	v_dual_lshlrev_b32 v9, v8, v7 :: v_dual_lshlrev_b32 v8, 23, v8
	v_lshrrev_b32_e32 v9, 4, v9
	s_delay_alu instid0(VALU_DEP_1) | instskip(SKIP_1) | instid1(VALU_DEP_2)
	v_sub_nc_u32_e32 v8, v9, v8
	v_ashrrev_i32_e32 v9, 8, v12
	v_add_nc_u32_e32 v8, 0x3c000000, v8
	s_delay_alu instid0(VALU_DEP_1) | instskip(NEXT) | instid1(VALU_DEP_1)
	v_and_or_b32 v8, 0x7f800000, v9, v8
	v_cndmask_b32_e32 v7, 0, v8, vcc_lo
	s_delay_alu instid0(VALU_DEP_1) | instskip(NEXT) | instid1(VALU_DEP_1)
	v_and_or_b32 v5, 0x80000000, v5, v7
	v_cvt_i32_f32_e32 v8, v5
.LBB55_1665:
	s_mov_b32 s36, 0
.LBB55_1666:
	s_delay_alu instid0(SALU_CYCLE_1)
	s_and_not1_b32 vcc_lo, exec_lo, s36
	s_cbranch_vccnz .LBB55_1668
; %bb.1667:
	global_load_u8 v5, v[10:11], off
	s_wait_loadcnt 0x0
	v_lshlrev_b32_e32 v7, 25, v5
	v_lshlrev_b16 v5, 8, v5
	s_delay_alu instid0(VALU_DEP_1) | instskip(NEXT) | instid1(VALU_DEP_3)
	v_and_or_b32 v9, 0x7f00, v5, 0.5
	v_lshrrev_b32_e32 v8, 4, v7
	v_bfe_i32 v5, v5, 0, 16
	s_delay_alu instid0(VALU_DEP_3) | instskip(NEXT) | instid1(VALU_DEP_3)
	v_add_f32_e32 v9, -0.5, v9
	v_or_b32_e32 v8, 0x70000000, v8
	s_delay_alu instid0(VALU_DEP_1) | instskip(SKIP_1) | instid1(VALU_DEP_2)
	v_mul_f32_e32 v8, 0x7800000, v8
	v_cmp_gt_u32_e32 vcc_lo, 0x8000000, v7
	v_cndmask_b32_e32 v7, v8, v9, vcc_lo
	s_delay_alu instid0(VALU_DEP_1) | instskip(NEXT) | instid1(VALU_DEP_1)
	v_and_or_b32 v5, 0x80000000, v5, v7
	v_cvt_i32_f32_e32 v8, v5
.LBB55_1668:
	s_mov_b32 s36, 0
	s_mov_b32 s49, -1
.LBB55_1669:
	s_and_not1_b32 vcc_lo, exec_lo, s36
	s_cbranch_vccnz .LBB55_1682
; %bb.1670:
	s_cmp_gt_i32 s31, 14
	s_cbranch_scc0 .LBB55_1673
; %bb.1671:
	s_cmp_eq_u32 s31, 15
	s_cbranch_scc0 .LBB55_1676
; %bb.1672:
	global_load_u16 v5, v[10:11], off
	s_mov_b32 s49, -1
	s_mov_b32 s30, 0
	s_wait_loadcnt 0x0
	v_lshlrev_b32_e32 v5, 16, v5
	s_delay_alu instid0(VALU_DEP_1)
	v_cvt_i32_f32_e32 v8, v5
	s_branch .LBB55_1677
.LBB55_1673:
	s_mov_b32 s36, -1
                                        ; implicit-def: $vgpr8
	s_branch .LBB55_1678
.LBB55_1674:
	s_and_not1_saveexec_b32 s36, s36
	s_cbranch_execz .LBB55_1655
.LBB55_1675:
	v_cmp_ne_u16_e32 vcc_lo, 0, v5
	s_and_not1_b32 s4, s37, exec_lo
	s_and_b32 s5, vcc_lo, exec_lo
	s_delay_alu instid0(SALU_CYCLE_1)
	s_or_b32 s37, s4, s5
	s_or_b32 exec_lo, exec_lo, s36
	v_mov_b32_e32 v8, 0
	s_and_saveexec_b32 s36, s37
	s_cbranch_execnz .LBB55_1656
	s_branch .LBB55_1657
.LBB55_1676:
	s_mov_b32 s30, -1
                                        ; implicit-def: $vgpr8
.LBB55_1677:
	s_mov_b32 s36, 0
.LBB55_1678:
	s_delay_alu instid0(SALU_CYCLE_1)
	s_and_b32 vcc_lo, exec_lo, s36
	s_cbranch_vccz .LBB55_1682
; %bb.1679:
	s_cmp_eq_u32 s31, 11
	s_cbranch_scc0 .LBB55_1681
; %bb.1680:
	global_load_u8 v5, v[10:11], off
	s_mov_b32 s30, 0
	s_mov_b32 s49, -1
	s_wait_loadcnt 0x0
	v_cmp_ne_u16_e32 vcc_lo, 0, v5
	v_cndmask_b32_e64 v8, 0, 1, vcc_lo
	s_branch .LBB55_1682
.LBB55_1681:
	s_mov_b32 s30, -1
                                        ; implicit-def: $vgpr8
.LBB55_1682:
	s_mov_b32 s31, 0
.LBB55_1683:
	s_delay_alu instid0(SALU_CYCLE_1)
	s_and_b32 vcc_lo, exec_lo, s31
	s_cbranch_vccz .LBB55_1732
; %bb.1684:
	s_and_b32 s0, 0xffff, s0
	s_delay_alu instid0(SALU_CYCLE_1)
	s_cmp_lt_i32 s0, 5
	s_cbranch_scc1 .LBB55_1689
; %bb.1685:
	s_cmp_lt_i32 s0, 8
	s_cbranch_scc1 .LBB55_1690
; %bb.1686:
	;; [unrolled: 3-line block ×3, first 2 shown]
	s_cmp_gt_i32 s0, 9
	s_cbranch_scc0 .LBB55_1692
; %bb.1688:
	s_wait_loadcnt 0x0
	global_load_b64 v[8:9], v[10:11], off
	s_mov_b32 s31, 0
	s_wait_loadcnt 0x0
	v_cvt_i32_f64_e32 v8, v[8:9]
	s_branch .LBB55_1693
.LBB55_1689:
	s_mov_b32 s31, -1
                                        ; implicit-def: $vgpr8
	s_branch .LBB55_1711
.LBB55_1690:
	s_mov_b32 s31, -1
                                        ; implicit-def: $vgpr8
	s_branch .LBB55_1699
.LBB55_1691:
	s_mov_b32 s31, -1
                                        ; implicit-def: $vgpr8
	s_branch .LBB55_1696
.LBB55_1692:
	s_mov_b32 s31, -1
                                        ; implicit-def: $vgpr8
.LBB55_1693:
	s_delay_alu instid0(SALU_CYCLE_1)
	s_and_not1_b32 vcc_lo, exec_lo, s31
	s_cbranch_vccnz .LBB55_1695
; %bb.1694:
	global_load_b32 v5, v[10:11], off
	s_wait_loadcnt 0x0
	v_cvt_i32_f32_e32 v8, v5
.LBB55_1695:
	s_mov_b32 s31, 0
.LBB55_1696:
	s_delay_alu instid0(SALU_CYCLE_1)
	s_and_not1_b32 vcc_lo, exec_lo, s31
	s_cbranch_vccnz .LBB55_1698
; %bb.1697:
	global_load_b32 v5, v[10:11], off
	s_wait_loadcnt 0x0
	v_cvt_f32_f16_e32 v5, v5
	s_delay_alu instid0(VALU_DEP_1)
	v_cvt_i32_f32_e32 v8, v5
.LBB55_1698:
	s_mov_b32 s31, 0
.LBB55_1699:
	s_delay_alu instid0(SALU_CYCLE_1)
	s_and_not1_b32 vcc_lo, exec_lo, s31
	s_cbranch_vccnz .LBB55_1710
; %bb.1700:
	s_cmp_lt_i32 s0, 6
	s_cbranch_scc1 .LBB55_1703
; %bb.1701:
	s_cmp_gt_i32 s0, 6
	s_cbranch_scc0 .LBB55_1704
; %bb.1702:
	s_wait_loadcnt 0x0
	global_load_b64 v[8:9], v[10:11], off
	s_mov_b32 s31, 0
	s_wait_loadcnt 0x0
	v_cvt_i32_f64_e32 v8, v[8:9]
	s_branch .LBB55_1705
.LBB55_1703:
	s_mov_b32 s31, -1
                                        ; implicit-def: $vgpr8
	s_branch .LBB55_1708
.LBB55_1704:
	s_mov_b32 s31, -1
                                        ; implicit-def: $vgpr8
.LBB55_1705:
	s_delay_alu instid0(SALU_CYCLE_1)
	s_and_not1_b32 vcc_lo, exec_lo, s31
	s_cbranch_vccnz .LBB55_1707
; %bb.1706:
	global_load_b32 v5, v[10:11], off
	s_wait_loadcnt 0x0
	v_cvt_i32_f32_e32 v8, v5
.LBB55_1707:
	s_mov_b32 s31, 0
.LBB55_1708:
	s_delay_alu instid0(SALU_CYCLE_1)
	s_and_not1_b32 vcc_lo, exec_lo, s31
	s_cbranch_vccnz .LBB55_1710
; %bb.1709:
	global_load_u16 v5, v[10:11], off
	s_wait_loadcnt 0x0
	v_cvt_f32_f16_e32 v5, v5
	s_delay_alu instid0(VALU_DEP_1)
	v_cvt_i32_f32_e32 v8, v5
.LBB55_1710:
	s_mov_b32 s31, 0
.LBB55_1711:
	s_delay_alu instid0(SALU_CYCLE_1)
	s_and_not1_b32 vcc_lo, exec_lo, s31
	s_cbranch_vccnz .LBB55_1731
; %bb.1712:
	s_cmp_lt_i32 s0, 2
	s_cbranch_scc1 .LBB55_1716
; %bb.1713:
	s_cmp_lt_i32 s0, 3
	s_cbranch_scc1 .LBB55_1717
; %bb.1714:
	s_cmp_gt_i32 s0, 3
	s_cbranch_scc0 .LBB55_1718
; %bb.1715:
	s_wait_loadcnt 0x0
	global_load_b32 v8, v[10:11], off
	s_mov_b32 s31, 0
	s_branch .LBB55_1719
.LBB55_1716:
	s_mov_b32 s31, -1
                                        ; implicit-def: $vgpr8
	s_branch .LBB55_1725
.LBB55_1717:
	s_mov_b32 s31, -1
                                        ; implicit-def: $vgpr8
	s_branch .LBB55_1722
.LBB55_1718:
	s_mov_b32 s31, -1
                                        ; implicit-def: $vgpr8
.LBB55_1719:
	s_delay_alu instid0(SALU_CYCLE_1)
	s_and_not1_b32 vcc_lo, exec_lo, s31
	s_cbranch_vccnz .LBB55_1721
; %bb.1720:
	s_wait_loadcnt 0x0
	global_load_b32 v8, v[10:11], off
.LBB55_1721:
	s_mov_b32 s31, 0
.LBB55_1722:
	s_delay_alu instid0(SALU_CYCLE_1)
	s_and_not1_b32 vcc_lo, exec_lo, s31
	s_cbranch_vccnz .LBB55_1724
; %bb.1723:
	s_wait_loadcnt 0x0
	global_load_i16 v8, v[10:11], off
.LBB55_1724:
	s_mov_b32 s31, 0
.LBB55_1725:
	s_delay_alu instid0(SALU_CYCLE_1)
	s_and_not1_b32 vcc_lo, exec_lo, s31
	s_cbranch_vccnz .LBB55_1731
; %bb.1726:
	s_cmp_gt_i32 s0, 0
	s_mov_b32 s0, 0
	s_cbranch_scc0 .LBB55_1728
; %bb.1727:
	s_wait_loadcnt 0x0
	global_load_i8 v8, v[10:11], off
	s_branch .LBB55_1729
.LBB55_1728:
	s_mov_b32 s0, -1
                                        ; implicit-def: $vgpr8
.LBB55_1729:
	s_delay_alu instid0(SALU_CYCLE_1)
	s_and_not1_b32 vcc_lo, exec_lo, s0
	s_cbranch_vccnz .LBB55_1731
; %bb.1730:
	s_wait_loadcnt 0x0
	global_load_u8 v8, v[10:11], off
.LBB55_1731:
	s_mov_b32 s49, -1
.LBB55_1732:
	s_delay_alu instid0(SALU_CYCLE_1)
	s_and_not1_b32 vcc_lo, exec_lo, s49
	s_cbranch_vccnz .LBB55_1740
; %bb.1733:
	s_load_b128 s[4:7], s[2:3], 0x268
	v_mov_b32_e32 v7, 0
	s_and_b32 s0, s35, 0xff
	s_delay_alu instid0(SALU_CYCLE_1) | instskip(SKIP_1) | instid1(VALU_DEP_1)
	s_cmp_lt_i32 s0, 11
	s_wait_kmcnt 0x0
	v_add_nc_u64_e32 v[10:11], s[4:5], v[6:7]
	s_cbranch_scc1 .LBB55_1741
; %bb.1734:
	s_and_b32 s49, 0xffff, s0
	s_delay_alu instid0(SALU_CYCLE_1)
	s_cmp_gt_i32 s49, 25
	s_cbranch_scc0 .LBB55_1742
; %bb.1735:
	s_cmp_gt_i32 s49, 28
	s_cbranch_scc0 .LBB55_1743
; %bb.1736:
	;; [unrolled: 3-line block ×4, first 2 shown]
	s_cmp_eq_u32 s49, 46
	s_mov_b32 s36, 0
	s_cbranch_scc0 .LBB55_1747
; %bb.1739:
	global_load_b32 v5, v[10:11], off
	s_mov_b32 s56, -1
	s_mov_b32 s31, 0
	s_wait_loadcnt 0x0
	v_lshlrev_b32_e32 v5, 16, v5
	s_delay_alu instid0(VALU_DEP_1)
	v_cvt_i32_f32_e32 v6, v5
	s_branch .LBB55_1749
.LBB55_1740:
	s_mov_b32 s0, 0
	s_mov_b32 s36, s99
	;; [unrolled: 1-line block ×8, first 2 shown]
	s_branch .LBB55_2084
.LBB55_1741:
	s_mov_b32 s36, -1
	s_mov_b32 s56, 0
	s_mov_b32 s31, s96
                                        ; implicit-def: $vgpr6
	s_branch .LBB55_1810
.LBB55_1742:
	s_mov_b32 s36, -1
	s_mov_b32 s56, 0
	s_mov_b32 s31, s96
                                        ; implicit-def: $vgpr6
	s_branch .LBB55_1776
.LBB55_1743:
	s_mov_b32 s36, -1
	s_mov_b32 s56, 0
	s_mov_b32 s31, s96
                                        ; implicit-def: $vgpr6
	s_branch .LBB55_1759
.LBB55_1744:
	s_mov_b32 s36, -1
	s_mov_b32 s56, 0
	s_mov_b32 s31, s96
                                        ; implicit-def: $vgpr6
	s_branch .LBB55_1754
.LBB55_1745:
	s_mov_b32 s36, -1
	s_mov_b32 s56, 0
	s_mov_b32 s31, s96
	s_branch .LBB55_1748
.LBB55_1746:
	s_mov_b32 s36, -1
	s_mov_b32 s59, 0
	s_mov_b32 s56, s45
	s_branch .LBB55_3612
.LBB55_1747:
	s_mov_b32 s31, -1
	s_mov_b32 s56, 0
.LBB55_1748:
                                        ; implicit-def: $vgpr6
.LBB55_1749:
	s_and_b32 vcc_lo, exec_lo, s36
	s_cbranch_vccz .LBB55_1753
; %bb.1750:
	s_cmp_eq_u32 s49, 44
	s_cbranch_scc0 .LBB55_1752
; %bb.1751:
	global_load_u8 v5, v[10:11], off
	s_mov_b32 s31, 0
	s_mov_b32 s56, -1
	s_wait_loadcnt 0x0
	v_lshlrev_b32_e32 v6, 23, v5
	v_cmp_ne_u32_e32 vcc_lo, 0, v5
	s_delay_alu instid0(VALU_DEP_2) | instskip(NEXT) | instid1(VALU_DEP_1)
	v_cvt_i32_f32_e32 v6, v6
	v_cndmask_b32_e32 v6, 0, v6, vcc_lo
	s_branch .LBB55_1753
.LBB55_1752:
	s_mov_b32 s31, -1
                                        ; implicit-def: $vgpr6
.LBB55_1753:
	s_mov_b32 s36, 0
.LBB55_1754:
	s_delay_alu instid0(SALU_CYCLE_1)
	s_and_b32 vcc_lo, exec_lo, s36
	s_cbranch_vccz .LBB55_1758
; %bb.1755:
	s_cmp_eq_u32 s49, 29
	s_cbranch_scc0 .LBB55_1757
; %bb.1756:
	global_load_b32 v6, v[10:11], off
	s_mov_b32 s56, -1
	s_mov_b32 s31, 0
	s_branch .LBB55_1758
.LBB55_1757:
	s_mov_b32 s31, -1
                                        ; implicit-def: $vgpr6
.LBB55_1758:
	s_mov_b32 s36, 0
.LBB55_1759:
	s_delay_alu instid0(SALU_CYCLE_1)
	s_and_b32 vcc_lo, exec_lo, s36
	s_cbranch_vccz .LBB55_1775
; %bb.1760:
	s_cmp_lt_i32 s49, 27
	s_cbranch_scc1 .LBB55_1763
; %bb.1761:
	s_cmp_gt_i32 s49, 27
	s_cbranch_scc0 .LBB55_1764
; %bb.1762:
	s_wait_loadcnt 0x0
	global_load_b32 v6, v[10:11], off
	s_mov_b32 s36, 0
	s_branch .LBB55_1765
.LBB55_1763:
	s_mov_b32 s36, -1
                                        ; implicit-def: $vgpr6
	s_branch .LBB55_1768
.LBB55_1764:
	s_mov_b32 s36, -1
                                        ; implicit-def: $vgpr6
.LBB55_1765:
	s_delay_alu instid0(SALU_CYCLE_1)
	s_and_not1_b32 vcc_lo, exec_lo, s36
	s_cbranch_vccnz .LBB55_1767
; %bb.1766:
	s_wait_loadcnt 0x0
	global_load_u16 v6, v[10:11], off
.LBB55_1767:
	s_mov_b32 s36, 0
.LBB55_1768:
	s_delay_alu instid0(SALU_CYCLE_1)
	s_and_not1_b32 vcc_lo, exec_lo, s36
	s_cbranch_vccnz .LBB55_1774
; %bb.1769:
	global_load_u8 v5, v[10:11], off
	s_mov_b32 s37, 0
	s_mov_b32 s4, exec_lo
	s_wait_loadcnt 0x0
	v_cmpx_lt_i16_e32 0x7f, v5
	s_xor_b32 s36, exec_lo, s4
	s_cbranch_execz .LBB55_1786
; %bb.1770:
	v_cmp_ne_u16_e32 vcc_lo, 0x80, v5
	s_and_b32 s37, vcc_lo, exec_lo
	s_and_not1_saveexec_b32 s36, s36
	s_cbranch_execnz .LBB55_1787
.LBB55_1771:
	s_or_b32 exec_lo, exec_lo, s36
	v_mov_b32_e32 v6, 0
	s_and_saveexec_b32 s36, s37
	s_cbranch_execz .LBB55_1773
.LBB55_1772:
	v_and_b32_e32 v6, 0xffff, v5
	s_delay_alu instid0(VALU_DEP_1) | instskip(SKIP_1) | instid1(VALU_DEP_2)
	v_and_b32_e32 v7, 7, v6
	v_bfe_u32 v13, v6, 3, 4
	v_clz_i32_u32_e32 v9, v7
	s_delay_alu instid0(VALU_DEP_2) | instskip(NEXT) | instid1(VALU_DEP_2)
	v_cmp_eq_u32_e32 vcc_lo, 0, v13
	v_min_u32_e32 v9, 32, v9
	s_delay_alu instid0(VALU_DEP_1) | instskip(NEXT) | instid1(VALU_DEP_1)
	v_subrev_nc_u32_e32 v12, 28, v9
	v_dual_lshlrev_b32 v6, v12, v6 :: v_dual_sub_nc_u32 v9, 29, v9
	s_delay_alu instid0(VALU_DEP_1) | instskip(NEXT) | instid1(VALU_DEP_1)
	v_dual_lshlrev_b32 v5, 24, v5 :: v_dual_bitop2_b32 v6, 7, v6 bitop3:0x40
	v_dual_cndmask_b32 v6, v7, v6 :: v_dual_cndmask_b32 v9, v13, v9
	s_delay_alu instid0(VALU_DEP_2) | instskip(NEXT) | instid1(VALU_DEP_2)
	v_and_b32_e32 v5, 0x80000000, v5
	v_lshlrev_b32_e32 v6, 20, v6
	s_delay_alu instid0(VALU_DEP_3) | instskip(NEXT) | instid1(VALU_DEP_1)
	v_lshl_add_u32 v7, v9, 23, 0x3b800000
	v_or3_b32 v5, v5, v7, v6
	s_delay_alu instid0(VALU_DEP_1)
	v_cvt_i32_f32_e32 v6, v5
.LBB55_1773:
	s_or_b32 exec_lo, exec_lo, s36
.LBB55_1774:
	s_mov_b32 s56, -1
.LBB55_1775:
	s_mov_b32 s36, 0
.LBB55_1776:
	s_delay_alu instid0(SALU_CYCLE_1)
	s_and_b32 vcc_lo, exec_lo, s36
	s_cbranch_vccz .LBB55_1809
; %bb.1777:
	s_cmp_gt_i32 s49, 22
	s_cbranch_scc0 .LBB55_1785
; %bb.1778:
	s_cmp_lt_i32 s49, 24
	s_cbranch_scc1 .LBB55_1788
; %bb.1779:
	s_cmp_gt_i32 s49, 24
	s_cbranch_scc0 .LBB55_1789
; %bb.1780:
	global_load_u8 v5, v[10:11], off
	s_mov_b32 s37, 0
	s_mov_b32 s4, exec_lo
	s_wait_loadcnt 0x0
	v_cmpx_lt_i16_e32 0x7f, v5
	s_xor_b32 s36, exec_lo, s4
	s_cbranch_execz .LBB55_1801
; %bb.1781:
	v_cmp_ne_u16_e32 vcc_lo, 0x80, v5
	s_and_b32 s37, vcc_lo, exec_lo
	s_and_not1_saveexec_b32 s36, s36
	s_cbranch_execnz .LBB55_1802
.LBB55_1782:
	s_or_b32 exec_lo, exec_lo, s36
	v_mov_b32_e32 v6, 0
	s_and_saveexec_b32 s36, s37
	s_cbranch_execz .LBB55_1784
.LBB55_1783:
	v_and_b32_e32 v6, 0xffff, v5
	s_delay_alu instid0(VALU_DEP_1) | instskip(SKIP_1) | instid1(VALU_DEP_2)
	v_and_b32_e32 v7, 3, v6
	v_bfe_u32 v13, v6, 2, 5
	v_clz_i32_u32_e32 v9, v7
	s_delay_alu instid0(VALU_DEP_2) | instskip(NEXT) | instid1(VALU_DEP_2)
	v_cmp_eq_u32_e32 vcc_lo, 0, v13
	v_min_u32_e32 v9, 32, v9
	s_delay_alu instid0(VALU_DEP_1) | instskip(NEXT) | instid1(VALU_DEP_1)
	v_subrev_nc_u32_e32 v12, 29, v9
	v_dual_lshlrev_b32 v6, v12, v6 :: v_dual_sub_nc_u32 v9, 30, v9
	s_delay_alu instid0(VALU_DEP_1) | instskip(NEXT) | instid1(VALU_DEP_1)
	v_dual_lshlrev_b32 v5, 24, v5 :: v_dual_bitop2_b32 v6, 3, v6 bitop3:0x40
	v_dual_cndmask_b32 v6, v7, v6 :: v_dual_cndmask_b32 v9, v13, v9
	s_delay_alu instid0(VALU_DEP_2) | instskip(NEXT) | instid1(VALU_DEP_2)
	v_and_b32_e32 v5, 0x80000000, v5
	v_lshlrev_b32_e32 v6, 21, v6
	s_delay_alu instid0(VALU_DEP_3) | instskip(NEXT) | instid1(VALU_DEP_1)
	v_lshl_add_u32 v7, v9, 23, 0x37800000
	v_or3_b32 v5, v5, v7, v6
	s_delay_alu instid0(VALU_DEP_1)
	v_cvt_i32_f32_e32 v6, v5
.LBB55_1784:
	s_or_b32 exec_lo, exec_lo, s36
	s_mov_b32 s36, 0
	s_branch .LBB55_1790
.LBB55_1785:
	s_mov_b32 s36, -1
                                        ; implicit-def: $vgpr6
	s_branch .LBB55_1796
.LBB55_1786:
	s_and_not1_saveexec_b32 s36, s36
	s_cbranch_execz .LBB55_1771
.LBB55_1787:
	v_cmp_ne_u16_e32 vcc_lo, 0, v5
	s_and_not1_b32 s4, s37, exec_lo
	s_and_b32 s5, vcc_lo, exec_lo
	s_delay_alu instid0(SALU_CYCLE_1)
	s_or_b32 s37, s4, s5
	s_or_b32 exec_lo, exec_lo, s36
	v_mov_b32_e32 v6, 0
	s_and_saveexec_b32 s36, s37
	s_cbranch_execnz .LBB55_1772
	s_branch .LBB55_1773
.LBB55_1788:
	s_mov_b32 s36, -1
                                        ; implicit-def: $vgpr6
	s_branch .LBB55_1793
.LBB55_1789:
	s_mov_b32 s36, -1
                                        ; implicit-def: $vgpr6
.LBB55_1790:
	s_delay_alu instid0(SALU_CYCLE_1)
	s_and_b32 vcc_lo, exec_lo, s36
	s_cbranch_vccz .LBB55_1792
; %bb.1791:
	global_load_u8 v5, v[10:11], off
	s_wait_loadcnt 0x0
	v_lshlrev_b32_e32 v5, 24, v5
	s_delay_alu instid0(VALU_DEP_1) | instskip(NEXT) | instid1(VALU_DEP_1)
	v_and_b32_e32 v6, 0x7f000000, v5
	v_clz_i32_u32_e32 v7, v6
	v_add_nc_u32_e32 v12, 0x1000000, v6
	v_cmp_ne_u32_e32 vcc_lo, 0, v6
	s_delay_alu instid0(VALU_DEP_3) | instskip(NEXT) | instid1(VALU_DEP_1)
	v_min_u32_e32 v7, 32, v7
	v_sub_nc_u32_e64 v7, v7, 4 clamp
	s_delay_alu instid0(VALU_DEP_1) | instskip(NEXT) | instid1(VALU_DEP_1)
	v_dual_lshlrev_b32 v9, v7, v6 :: v_dual_lshlrev_b32 v7, 23, v7
	v_lshrrev_b32_e32 v9, 4, v9
	s_delay_alu instid0(VALU_DEP_1) | instskip(NEXT) | instid1(VALU_DEP_1)
	v_dual_sub_nc_u32 v7, v9, v7 :: v_dual_ashrrev_i32 v9, 8, v12
	v_add_nc_u32_e32 v7, 0x3c000000, v7
	s_delay_alu instid0(VALU_DEP_1) | instskip(NEXT) | instid1(VALU_DEP_1)
	v_and_or_b32 v7, 0x7f800000, v9, v7
	v_cndmask_b32_e32 v6, 0, v7, vcc_lo
	s_delay_alu instid0(VALU_DEP_1) | instskip(NEXT) | instid1(VALU_DEP_1)
	v_and_or_b32 v5, 0x80000000, v5, v6
	v_cvt_i32_f32_e32 v6, v5
.LBB55_1792:
	s_mov_b32 s36, 0
.LBB55_1793:
	s_delay_alu instid0(SALU_CYCLE_1)
	s_and_not1_b32 vcc_lo, exec_lo, s36
	s_cbranch_vccnz .LBB55_1795
; %bb.1794:
	global_load_u8 v5, v[10:11], off
	s_wait_loadcnt 0x0
	v_lshlrev_b32_e32 v6, 25, v5
	v_lshlrev_b16 v5, 8, v5
	s_delay_alu instid0(VALU_DEP_1) | instskip(NEXT) | instid1(VALU_DEP_3)
	v_and_or_b32 v9, 0x7f00, v5, 0.5
	v_lshrrev_b32_e32 v7, 4, v6
	v_bfe_i32 v5, v5, 0, 16
	s_delay_alu instid0(VALU_DEP_3) | instskip(NEXT) | instid1(VALU_DEP_3)
	v_add_f32_e32 v9, -0.5, v9
	v_or_b32_e32 v7, 0x70000000, v7
	s_delay_alu instid0(VALU_DEP_1) | instskip(SKIP_1) | instid1(VALU_DEP_2)
	v_mul_f32_e32 v7, 0x7800000, v7
	v_cmp_gt_u32_e32 vcc_lo, 0x8000000, v6
	v_cndmask_b32_e32 v6, v7, v9, vcc_lo
	s_delay_alu instid0(VALU_DEP_1) | instskip(NEXT) | instid1(VALU_DEP_1)
	v_and_or_b32 v5, 0x80000000, v5, v6
	v_cvt_i32_f32_e32 v6, v5
.LBB55_1795:
	s_mov_b32 s36, 0
	s_mov_b32 s56, -1
.LBB55_1796:
	s_and_not1_b32 vcc_lo, exec_lo, s36
	s_cbranch_vccnz .LBB55_1809
; %bb.1797:
	s_cmp_gt_i32 s49, 14
	s_cbranch_scc0 .LBB55_1800
; %bb.1798:
	s_cmp_eq_u32 s49, 15
	s_cbranch_scc0 .LBB55_1803
; %bb.1799:
	global_load_u16 v5, v[10:11], off
	s_mov_b32 s56, -1
	s_mov_b32 s31, 0
	s_wait_loadcnt 0x0
	v_lshlrev_b32_e32 v5, 16, v5
	s_delay_alu instid0(VALU_DEP_1)
	v_cvt_i32_f32_e32 v6, v5
	s_branch .LBB55_1804
.LBB55_1800:
	s_mov_b32 s36, -1
                                        ; implicit-def: $vgpr6
	s_branch .LBB55_1805
.LBB55_1801:
	s_and_not1_saveexec_b32 s36, s36
	s_cbranch_execz .LBB55_1782
.LBB55_1802:
	v_cmp_ne_u16_e32 vcc_lo, 0, v5
	s_and_not1_b32 s4, s37, exec_lo
	s_and_b32 s5, vcc_lo, exec_lo
	s_delay_alu instid0(SALU_CYCLE_1)
	s_or_b32 s37, s4, s5
	s_or_b32 exec_lo, exec_lo, s36
	v_mov_b32_e32 v6, 0
	s_and_saveexec_b32 s36, s37
	s_cbranch_execnz .LBB55_1783
	s_branch .LBB55_1784
.LBB55_1803:
	s_mov_b32 s31, -1
                                        ; implicit-def: $vgpr6
.LBB55_1804:
	s_mov_b32 s36, 0
.LBB55_1805:
	s_delay_alu instid0(SALU_CYCLE_1)
	s_and_b32 vcc_lo, exec_lo, s36
	s_cbranch_vccz .LBB55_1809
; %bb.1806:
	s_cmp_eq_u32 s49, 11
	s_cbranch_scc0 .LBB55_1808
; %bb.1807:
	global_load_u8 v5, v[10:11], off
	s_mov_b32 s31, 0
	s_mov_b32 s56, -1
	s_wait_loadcnt 0x0
	v_cmp_ne_u16_e32 vcc_lo, 0, v5
	v_cndmask_b32_e64 v6, 0, 1, vcc_lo
	s_branch .LBB55_1809
.LBB55_1808:
	s_mov_b32 s31, -1
                                        ; implicit-def: $vgpr6
.LBB55_1809:
	s_mov_b32 s36, 0
.LBB55_1810:
	s_delay_alu instid0(SALU_CYCLE_1)
	s_and_b32 vcc_lo, exec_lo, s36
	s_cbranch_vccz .LBB55_1859
; %bb.1811:
	s_and_b32 s0, 0xffff, s0
	s_delay_alu instid0(SALU_CYCLE_1)
	s_cmp_lt_i32 s0, 5
	s_cbranch_scc1 .LBB55_1816
; %bb.1812:
	s_cmp_lt_i32 s0, 8
	s_cbranch_scc1 .LBB55_1817
; %bb.1813:
	;; [unrolled: 3-line block ×3, first 2 shown]
	s_cmp_gt_i32 s0, 9
	s_cbranch_scc0 .LBB55_1819
; %bb.1815:
	s_wait_loadcnt 0x0
	global_load_b64 v[6:7], v[10:11], off
	s_mov_b32 s36, 0
	s_wait_loadcnt 0x0
	v_cvt_i32_f64_e32 v6, v[6:7]
	s_branch .LBB55_1820
.LBB55_1816:
	s_mov_b32 s36, -1
                                        ; implicit-def: $vgpr6
	s_branch .LBB55_1838
.LBB55_1817:
	s_mov_b32 s36, -1
                                        ; implicit-def: $vgpr6
	s_branch .LBB55_1826
.LBB55_1818:
	s_mov_b32 s36, -1
                                        ; implicit-def: $vgpr6
	s_branch .LBB55_1823
.LBB55_1819:
	s_mov_b32 s36, -1
                                        ; implicit-def: $vgpr6
.LBB55_1820:
	s_delay_alu instid0(SALU_CYCLE_1)
	s_and_not1_b32 vcc_lo, exec_lo, s36
	s_cbranch_vccnz .LBB55_1822
; %bb.1821:
	global_load_b32 v5, v[10:11], off
	s_wait_loadcnt 0x0
	v_cvt_i32_f32_e32 v6, v5
.LBB55_1822:
	s_mov_b32 s36, 0
.LBB55_1823:
	s_delay_alu instid0(SALU_CYCLE_1)
	s_and_not1_b32 vcc_lo, exec_lo, s36
	s_cbranch_vccnz .LBB55_1825
; %bb.1824:
	global_load_b32 v5, v[10:11], off
	s_wait_loadcnt 0x0
	v_cvt_f32_f16_e32 v5, v5
	s_delay_alu instid0(VALU_DEP_1)
	v_cvt_i32_f32_e32 v6, v5
.LBB55_1825:
	s_mov_b32 s36, 0
.LBB55_1826:
	s_delay_alu instid0(SALU_CYCLE_1)
	s_and_not1_b32 vcc_lo, exec_lo, s36
	s_cbranch_vccnz .LBB55_1837
; %bb.1827:
	s_cmp_lt_i32 s0, 6
	s_cbranch_scc1 .LBB55_1830
; %bb.1828:
	s_cmp_gt_i32 s0, 6
	s_cbranch_scc0 .LBB55_1831
; %bb.1829:
	s_wait_loadcnt 0x0
	global_load_b64 v[6:7], v[10:11], off
	s_mov_b32 s36, 0
	s_wait_loadcnt 0x0
	v_cvt_i32_f64_e32 v6, v[6:7]
	s_branch .LBB55_1832
.LBB55_1830:
	s_mov_b32 s36, -1
                                        ; implicit-def: $vgpr6
	s_branch .LBB55_1835
.LBB55_1831:
	s_mov_b32 s36, -1
                                        ; implicit-def: $vgpr6
.LBB55_1832:
	s_delay_alu instid0(SALU_CYCLE_1)
	s_and_not1_b32 vcc_lo, exec_lo, s36
	s_cbranch_vccnz .LBB55_1834
; %bb.1833:
	global_load_b32 v5, v[10:11], off
	s_wait_loadcnt 0x0
	v_cvt_i32_f32_e32 v6, v5
.LBB55_1834:
	s_mov_b32 s36, 0
.LBB55_1835:
	s_delay_alu instid0(SALU_CYCLE_1)
	s_and_not1_b32 vcc_lo, exec_lo, s36
	s_cbranch_vccnz .LBB55_1837
; %bb.1836:
	global_load_u16 v5, v[10:11], off
	s_wait_loadcnt 0x0
	v_cvt_f32_f16_e32 v5, v5
	s_delay_alu instid0(VALU_DEP_1)
	v_cvt_i32_f32_e32 v6, v5
.LBB55_1837:
	s_mov_b32 s36, 0
.LBB55_1838:
	s_delay_alu instid0(SALU_CYCLE_1)
	s_and_not1_b32 vcc_lo, exec_lo, s36
	s_cbranch_vccnz .LBB55_1858
; %bb.1839:
	s_cmp_lt_i32 s0, 2
	s_cbranch_scc1 .LBB55_1843
; %bb.1840:
	s_cmp_lt_i32 s0, 3
	s_cbranch_scc1 .LBB55_1844
; %bb.1841:
	s_cmp_gt_i32 s0, 3
	s_cbranch_scc0 .LBB55_1845
; %bb.1842:
	s_wait_loadcnt 0x0
	global_load_b32 v6, v[10:11], off
	s_mov_b32 s36, 0
	s_branch .LBB55_1846
.LBB55_1843:
	s_mov_b32 s36, -1
                                        ; implicit-def: $vgpr6
	s_branch .LBB55_1852
.LBB55_1844:
	s_mov_b32 s36, -1
                                        ; implicit-def: $vgpr6
	s_branch .LBB55_1849
.LBB55_1845:
	s_mov_b32 s36, -1
                                        ; implicit-def: $vgpr6
.LBB55_1846:
	s_delay_alu instid0(SALU_CYCLE_1)
	s_and_not1_b32 vcc_lo, exec_lo, s36
	s_cbranch_vccnz .LBB55_1848
; %bb.1847:
	s_wait_loadcnt 0x0
	global_load_b32 v6, v[10:11], off
.LBB55_1848:
	s_mov_b32 s36, 0
.LBB55_1849:
	s_delay_alu instid0(SALU_CYCLE_1)
	s_and_not1_b32 vcc_lo, exec_lo, s36
	s_cbranch_vccnz .LBB55_1851
; %bb.1850:
	s_wait_loadcnt 0x0
	global_load_i16 v6, v[10:11], off
.LBB55_1851:
	s_mov_b32 s36, 0
.LBB55_1852:
	s_delay_alu instid0(SALU_CYCLE_1)
	s_and_not1_b32 vcc_lo, exec_lo, s36
	s_cbranch_vccnz .LBB55_1858
; %bb.1853:
	s_cmp_gt_i32 s0, 0
	s_mov_b32 s0, 0
	s_cbranch_scc0 .LBB55_1855
; %bb.1854:
	s_wait_loadcnt 0x0
	global_load_i8 v6, v[10:11], off
	s_branch .LBB55_1856
.LBB55_1855:
	s_mov_b32 s0, -1
                                        ; implicit-def: $vgpr6
.LBB55_1856:
	s_delay_alu instid0(SALU_CYCLE_1)
	s_and_not1_b32 vcc_lo, exec_lo, s0
	s_cbranch_vccnz .LBB55_1858
; %bb.1857:
	s_wait_loadcnt 0x0
	global_load_u8 v6, v[10:11], off
.LBB55_1858:
	s_mov_b32 s56, -1
.LBB55_1859:
	s_delay_alu instid0(SALU_CYCLE_1)
	s_and_not1_b32 vcc_lo, exec_lo, s56
	s_cbranch_vccnz .LBB55_1867
; %bb.1860:
	s_load_b128 s[4:7], s[2:3], 0x268
	v_mov_b32_e32 v5, 0
	s_and_b32 s0, s80, 0xff
	s_delay_alu instid0(SALU_CYCLE_1) | instskip(SKIP_1) | instid1(VALU_DEP_1)
	s_cmp_lt_i32 s0, 11
	s_wait_kmcnt 0x0
	v_add_nc_u64_e32 v[4:5], s[6:7], v[4:5]
	s_cbranch_scc1 .LBB55_1868
; %bb.1861:
	s_and_b32 s49, 0xffff, s0
	s_delay_alu instid0(SALU_CYCLE_1)
	s_cmp_gt_i32 s49, 25
	s_cbranch_scc0 .LBB55_1869
; %bb.1862:
	s_cmp_gt_i32 s49, 28
	s_cbranch_scc0 .LBB55_1870
; %bb.1863:
	;; [unrolled: 3-line block ×4, first 2 shown]
	s_cmp_eq_u32 s49, 46
	s_mov_b32 s36, 0
	s_cbranch_scc0 .LBB55_1960
; %bb.1866:
	global_load_b32 v7, v[4:5], off
	s_mov_b32 s56, -1
	s_mov_b32 s74, 0
	s_wait_loadcnt 0x0
	v_lshlrev_b32_e32 v7, 16, v7
	s_delay_alu instid0(VALU_DEP_1)
	v_cvt_i32_f32_e32 v10, v7
	s_branch .LBB55_1962
.LBB55_1867:
	s_mov_b32 s0, 0
	s_mov_b32 s36, s99
	;; [unrolled: 1-line block ×7, first 2 shown]
	s_branch .LBB55_2084
.LBB55_1868:
	s_mov_b32 s36, -1
	s_mov_b32 s56, 0
	s_mov_b32 s74, s95
                                        ; implicit-def: $vgpr10
	s_branch .LBB55_2023
.LBB55_1869:
	s_mov_b32 s36, -1
	s_mov_b32 s56, 0
	s_mov_b32 s74, s95
                                        ; implicit-def: $vgpr10
	s_branch .LBB55_1989
.LBB55_1870:
	s_mov_b32 s36, -1
	s_mov_b32 s56, 0
	s_mov_b32 s74, s95
                                        ; implicit-def: $vgpr10
	s_branch .LBB55_1972
.LBB55_1871:
	s_mov_b32 s36, -1
	s_mov_b32 s56, 0
	s_mov_b32 s74, s95
                                        ; implicit-def: $vgpr10
	s_branch .LBB55_1967
.LBB55_1872:
	s_mov_b32 s36, -1
	s_mov_b32 s56, 0
	s_mov_b32 s74, s95
	s_branch .LBB55_1961
.LBB55_1873:
	s_mov_b32 s36, -1
	s_mov_b32 s56, 0
	s_mov_b32 s59, 0
.LBB55_1874:
	s_and_b32 vcc_lo, exec_lo, s36
	s_cbranch_vccz .LBB55_1877
; %bb.1875:
	s_cmp_eq_u32 s58, 44
	s_mov_b32 s56, -1
	s_cbranch_scc0 .LBB55_1877
; %bb.1876:
	s_wait_xcnt 0x0
	v_mov_b32_e32 v1, 0
	s_mov_b32 s59, -1
	s_mov_b32 s56, 0
	s_mov_b32 s36, 0
	global_store_b8 v[2:3], v1, off
	s_branch .LBB55_1878
.LBB55_1877:
	s_mov_b32 s36, 0
.LBB55_1878:
	s_delay_alu instid0(SALU_CYCLE_1)
	s_and_b32 vcc_lo, exec_lo, s36
	s_cbranch_vccz .LBB55_1881
; %bb.1879:
	s_cmp_eq_u32 s58, 29
	s_mov_b32 s56, -1
	s_cbranch_scc0 .LBB55_1881
; %bb.1880:
	v_mov_b64_e32 v[4:5], 0
	s_mov_b32 s59, -1
	s_mov_b32 s56, 0
	s_mov_b32 s36, 0
	global_store_b64 v[2:3], v[4:5], off
	s_branch .LBB55_1882
.LBB55_1881:
	s_mov_b32 s36, 0
.LBB55_1882:
	s_delay_alu instid0(SALU_CYCLE_1)
	s_and_b32 vcc_lo, exec_lo, s36
	s_cbranch_vccz .LBB55_1892
; %bb.1883:
	s_cmp_lt_i32 s58, 27
	s_mov_b32 s36, -1
	s_cbranch_scc1 .LBB55_1889
; %bb.1884:
	s_cmp_gt_i32 s58, 27
	s_cbranch_scc0 .LBB55_1886
; %bb.1885:
	s_wait_xcnt 0x0
	v_mov_b32_e32 v1, 0
	s_mov_b32 s36, 0
	global_store_b32 v[2:3], v1, off
.LBB55_1886:
	s_and_not1_b32 vcc_lo, exec_lo, s36
	s_cbranch_vccnz .LBB55_1888
; %bb.1887:
	s_wait_xcnt 0x0
	v_mov_b32_e32 v1, 0
	global_store_b16 v[2:3], v1, off
.LBB55_1888:
	s_mov_b32 s36, 0
.LBB55_1889:
	s_delay_alu instid0(SALU_CYCLE_1)
	s_and_not1_b32 vcc_lo, exec_lo, s36
	s_cbranch_vccnz .LBB55_1891
; %bb.1890:
	s_wait_xcnt 0x0
	v_mov_b32_e32 v1, 0
	global_store_b8 v[2:3], v1, off
.LBB55_1891:
	s_mov_b32 s59, -1
.LBB55_1892:
	s_mov_b32 s36, 0
.LBB55_1893:
	s_delay_alu instid0(SALU_CYCLE_1)
	s_and_b32 vcc_lo, exec_lo, s36
	s_cbranch_vccz .LBB55_1912
; %bb.1894:
	s_cmp_gt_i32 s58, 22
	s_mov_b32 s36, -1
	s_cbranch_scc0 .LBB55_1904
; %bb.1895:
	s_cmp_lt_i32 s58, 24
	s_cbranch_scc1 .LBB55_1901
; %bb.1896:
	s_cmp_gt_i32 s58, 24
	s_cbranch_scc0 .LBB55_1898
; %bb.1897:
	s_wait_xcnt 0x0
	v_mov_b32_e32 v1, 0
	s_mov_b32 s36, 0
	global_store_b8 v[2:3], v1, off
.LBB55_1898:
	s_and_not1_b32 vcc_lo, exec_lo, s36
	s_cbranch_vccnz .LBB55_1900
; %bb.1899:
	s_wait_xcnt 0x0
	v_mov_b32_e32 v1, 0
	global_store_b8 v[2:3], v1, off
.LBB55_1900:
	s_mov_b32 s36, 0
.LBB55_1901:
	s_delay_alu instid0(SALU_CYCLE_1)
	s_and_not1_b32 vcc_lo, exec_lo, s36
	s_cbranch_vccnz .LBB55_1903
; %bb.1902:
	s_wait_xcnt 0x0
	v_mov_b32_e32 v1, 0
	global_store_b8 v[2:3], v1, off
.LBB55_1903:
	s_mov_b32 s36, 0
	s_mov_b32 s59, -1
.LBB55_1904:
	s_and_not1_b32 vcc_lo, exec_lo, s36
	s_cbranch_vccnz .LBB55_1912
; %bb.1905:
	s_cmp_gt_i32 s58, 14
	s_mov_b32 s36, -1
	s_cbranch_scc0 .LBB55_1909
; %bb.1906:
	s_cmp_eq_u32 s58, 15
	s_mov_b32 s56, -1
	s_cbranch_scc0 .LBB55_1908
; %bb.1907:
	s_wait_xcnt 0x0
	v_mov_b32_e32 v1, 0
	s_mov_b32 s59, -1
	s_mov_b32 s56, 0
	global_store_b16 v[2:3], v1, off
.LBB55_1908:
	s_mov_b32 s36, 0
.LBB55_1909:
	s_delay_alu instid0(SALU_CYCLE_1)
	s_and_b32 vcc_lo, exec_lo, s36
	s_cbranch_vccz .LBB55_1912
; %bb.1910:
	s_cmp_eq_u32 s58, 11
	s_mov_b32 s56, -1
	s_cbranch_scc0 .LBB55_1912
; %bb.1911:
	s_wait_xcnt 0x0
	v_mov_b32_e32 v1, 0
	s_mov_b32 s59, -1
	s_mov_b32 s56, 0
	global_store_b8 v[2:3], v1, off
.LBB55_1912:
	s_mov_b32 s36, 0
.LBB55_1913:
	s_delay_alu instid0(SALU_CYCLE_1)
	s_and_b32 vcc_lo, exec_lo, s36
	s_cbranch_vccz .LBB55_1952
; %bb.1914:
	s_and_b32 s36, 0xffff, s57
	s_mov_b32 s37, -1
	s_cmp_lt_i32 s36, 5
	s_cbranch_scc1 .LBB55_1935
; %bb.1915:
	s_cmp_lt_i32 s36, 8
	s_cbranch_scc1 .LBB55_1925
; %bb.1916:
	;; [unrolled: 3-line block ×3, first 2 shown]
	s_cmp_gt_i32 s36, 9
	s_cbranch_scc0 .LBB55_1919
; %bb.1918:
	s_wait_xcnt 0x0
	v_mov_b32_e32 v4, 0
	s_mov_b32 s37, 0
	s_delay_alu instid0(VALU_DEP_1)
	v_dual_mov_b32 v5, v4 :: v_dual_mov_b32 v6, v4
	v_mov_b32_e32 v7, v4
	global_store_b128 v[2:3], v[4:7], off
.LBB55_1919:
	s_and_not1_b32 vcc_lo, exec_lo, s37
	s_cbranch_vccnz .LBB55_1921
; %bb.1920:
	s_wait_xcnt 0x0
	v_mov_b64_e32 v[4:5], 0
	global_store_b64 v[2:3], v[4:5], off
.LBB55_1921:
	s_mov_b32 s37, 0
.LBB55_1922:
	s_delay_alu instid0(SALU_CYCLE_1)
	s_and_not1_b32 vcc_lo, exec_lo, s37
	s_cbranch_vccnz .LBB55_1924
; %bb.1923:
	s_wait_xcnt 0x0
	v_mov_b32_e32 v1, 0
	global_store_b32 v[2:3], v1, off
.LBB55_1924:
	s_mov_b32 s37, 0
.LBB55_1925:
	s_delay_alu instid0(SALU_CYCLE_1)
	s_and_not1_b32 vcc_lo, exec_lo, s37
	s_cbranch_vccnz .LBB55_1934
; %bb.1926:
	s_cmp_lt_i32 s36, 6
	s_mov_b32 s37, -1
	s_cbranch_scc1 .LBB55_1932
; %bb.1927:
	s_cmp_gt_i32 s36, 6
	s_cbranch_scc0 .LBB55_1929
; %bb.1928:
	s_wait_xcnt 0x0
	v_mov_b64_e32 v[4:5], 0
	s_mov_b32 s37, 0
	global_store_b64 v[2:3], v[4:5], off
.LBB55_1929:
	s_and_not1_b32 vcc_lo, exec_lo, s37
	s_cbranch_vccnz .LBB55_1931
; %bb.1930:
	s_wait_xcnt 0x0
	v_mov_b32_e32 v1, 0
	global_store_b32 v[2:3], v1, off
.LBB55_1931:
	s_mov_b32 s37, 0
.LBB55_1932:
	s_delay_alu instid0(SALU_CYCLE_1)
	s_and_not1_b32 vcc_lo, exec_lo, s37
	s_cbranch_vccnz .LBB55_1934
; %bb.1933:
	s_wait_xcnt 0x0
	v_mov_b32_e32 v1, 0
	global_store_b16 v[2:3], v1, off
.LBB55_1934:
	s_mov_b32 s37, 0
.LBB55_1935:
	s_delay_alu instid0(SALU_CYCLE_1)
	s_and_not1_b32 vcc_lo, exec_lo, s37
	s_cbranch_vccnz .LBB55_1951
; %bb.1936:
	s_cmp_lt_i32 s36, 2
	s_mov_b32 s37, -1
	s_cbranch_scc1 .LBB55_1946
; %bb.1937:
	s_cmp_lt_i32 s36, 3
	s_cbranch_scc1 .LBB55_1943
; %bb.1938:
	s_cmp_gt_i32 s36, 3
	s_cbranch_scc0 .LBB55_1940
; %bb.1939:
	s_wait_xcnt 0x0
	v_mov_b64_e32 v[4:5], 0
	s_mov_b32 s37, 0
	global_store_b64 v[2:3], v[4:5], off
.LBB55_1940:
	s_and_not1_b32 vcc_lo, exec_lo, s37
	s_cbranch_vccnz .LBB55_1942
; %bb.1941:
	s_wait_xcnt 0x0
	v_mov_b32_e32 v1, 0
	global_store_b32 v[2:3], v1, off
.LBB55_1942:
	s_mov_b32 s37, 0
.LBB55_1943:
	s_delay_alu instid0(SALU_CYCLE_1)
	s_and_not1_b32 vcc_lo, exec_lo, s37
	s_cbranch_vccnz .LBB55_1945
; %bb.1944:
	s_wait_xcnt 0x0
	v_mov_b32_e32 v1, 0
	global_store_b16 v[2:3], v1, off
.LBB55_1945:
	s_mov_b32 s37, 0
.LBB55_1946:
	s_delay_alu instid0(SALU_CYCLE_1)
	s_and_not1_b32 vcc_lo, exec_lo, s37
	s_cbranch_vccnz .LBB55_1951
; %bb.1947:
	s_cmp_gt_i32 s36, 0
	s_mov_b32 s36, -1
	s_cbranch_scc0 .LBB55_1949
; %bb.1948:
	s_wait_xcnt 0x0
	v_mov_b32_e32 v1, 0
	s_mov_b32 s36, 0
	global_store_b8 v[2:3], v1, off
.LBB55_1949:
	s_and_not1_b32 vcc_lo, exec_lo, s36
	s_cbranch_vccnz .LBB55_1951
; %bb.1950:
	s_wait_xcnt 0x0
	v_mov_b32_e32 v1, 0
	global_store_b8 v[2:3], v1, off
.LBB55_1951:
	s_mov_b32 s59, -1
.LBB55_1952:
	s_delay_alu instid0(SALU_CYCLE_1)
	s_and_not1_b32 vcc_lo, exec_lo, s59
	s_cbranch_vccnz .LBB55_1954
; %bb.1953:
	v_add_nc_u32_e32 v0, 0x80, v0
	s_mov_b32 s36, -1
	s_branch .LBB55_1955
.LBB55_1954:
	s_mov_b32 s36, 0
                                        ; implicit-def: $vgpr0
.LBB55_1955:
	s_and_b32 s37, s56, exec_lo
	s_and_not1_b32 s0, s0, exec_lo
	s_and_b32 s36, s36, exec_lo
.LBB55_1956:
	s_wait_xcnt 0x0
	s_or_b32 exec_lo, exec_lo, s49
	s_delay_alu instid0(SALU_CYCLE_1)
	s_and_b32 s39, s37, exec_lo
	s_and_b32 s0, s0, exec_lo
	s_xor_b32 s38, exec_lo, -1
	s_and_b32 s37, s36, exec_lo
.LBB55_1957:
	s_or_b32 exec_lo, exec_lo, s85
	s_delay_alu instid0(SALU_CYCLE_1)
	s_and_b32 s49, s39, exec_lo
	s_and_b32 s39, s0, exec_lo
	;; [unrolled: 1-line block ×3, first 2 shown]
	s_xor_b32 s36, exec_lo, -1
	s_and_b32 s0, s37, exec_lo
.LBB55_1958:
	s_or_b32 exec_lo, exec_lo, s84
	s_delay_alu instid0(SALU_CYCLE_1)
	s_and_b32 s49, s49, exec_lo
	s_and_b32 s39, s39, exec_lo
	;; [unrolled: 1-line block ×4, first 2 shown]
	s_xor_b32 s36, exec_lo, -1
	s_and_b32 s0, s0, exec_lo
	s_or_b32 exec_lo, exec_lo, s45
	s_branch .LBB55_650
.LBB55_1959:
	s_mov_b32 s36, -1
	s_mov_b32 s59, 0
	s_mov_b32 s56, s45
	s_branch .LBB55_3608
.LBB55_1960:
	s_mov_b32 s74, -1
	s_mov_b32 s56, 0
.LBB55_1961:
                                        ; implicit-def: $vgpr10
.LBB55_1962:
	s_and_b32 vcc_lo, exec_lo, s36
	s_cbranch_vccz .LBB55_1966
; %bb.1963:
	s_cmp_eq_u32 s49, 44
	s_cbranch_scc0 .LBB55_1965
; %bb.1964:
	global_load_u8 v7, v[4:5], off
	s_mov_b32 s74, 0
	s_mov_b32 s56, -1
	s_wait_loadcnt 0x0
	v_lshlrev_b32_e32 v9, 23, v7
	v_cmp_ne_u32_e32 vcc_lo, 0, v7
	s_delay_alu instid0(VALU_DEP_2) | instskip(NEXT) | instid1(VALU_DEP_1)
	v_cvt_i32_f32_e32 v9, v9
	v_cndmask_b32_e32 v10, 0, v9, vcc_lo
	s_branch .LBB55_1966
.LBB55_1965:
	s_mov_b32 s74, -1
                                        ; implicit-def: $vgpr10
.LBB55_1966:
	s_mov_b32 s36, 0
.LBB55_1967:
	s_delay_alu instid0(SALU_CYCLE_1)
	s_and_b32 vcc_lo, exec_lo, s36
	s_cbranch_vccz .LBB55_1971
; %bb.1968:
	s_cmp_eq_u32 s49, 29
	s_cbranch_scc0 .LBB55_1970
; %bb.1969:
	global_load_b32 v10, v[4:5], off
	s_mov_b32 s56, -1
	s_mov_b32 s74, 0
	s_branch .LBB55_1971
.LBB55_1970:
	s_mov_b32 s74, -1
                                        ; implicit-def: $vgpr10
.LBB55_1971:
	s_mov_b32 s36, 0
.LBB55_1972:
	s_delay_alu instid0(SALU_CYCLE_1)
	s_and_b32 vcc_lo, exec_lo, s36
	s_cbranch_vccz .LBB55_1988
; %bb.1973:
	s_cmp_lt_i32 s49, 27
	s_cbranch_scc1 .LBB55_1976
; %bb.1974:
	s_cmp_gt_i32 s49, 27
	s_cbranch_scc0 .LBB55_1977
; %bb.1975:
	s_wait_loadcnt 0x0
	global_load_b32 v10, v[4:5], off
	s_mov_b32 s36, 0
	s_branch .LBB55_1978
.LBB55_1976:
	s_mov_b32 s36, -1
                                        ; implicit-def: $vgpr10
	s_branch .LBB55_1981
.LBB55_1977:
	s_mov_b32 s36, -1
                                        ; implicit-def: $vgpr10
.LBB55_1978:
	s_delay_alu instid0(SALU_CYCLE_1)
	s_and_not1_b32 vcc_lo, exec_lo, s36
	s_cbranch_vccnz .LBB55_1980
; %bb.1979:
	s_wait_loadcnt 0x0
	global_load_u16 v10, v[4:5], off
.LBB55_1980:
	s_mov_b32 s36, 0
.LBB55_1981:
	s_delay_alu instid0(SALU_CYCLE_1)
	s_and_not1_b32 vcc_lo, exec_lo, s36
	s_cbranch_vccnz .LBB55_1987
; %bb.1982:
	global_load_u8 v7, v[4:5], off
	s_mov_b32 s37, 0
	s_mov_b32 s4, exec_lo
	s_wait_loadcnt 0x0
	v_cmpx_lt_i16_e32 0x7f, v7
	s_xor_b32 s36, exec_lo, s4
	s_cbranch_execz .LBB55_1999
; %bb.1983:
	v_cmp_ne_u16_e32 vcc_lo, 0x80, v7
	s_and_b32 s37, vcc_lo, exec_lo
	s_and_not1_saveexec_b32 s36, s36
	s_cbranch_execnz .LBB55_2000
.LBB55_1984:
	s_or_b32 exec_lo, exec_lo, s36
	v_mov_b32_e32 v10, 0
	s_and_saveexec_b32 s36, s37
	s_cbranch_execz .LBB55_1986
.LBB55_1985:
	v_and_b32_e32 v9, 0xffff, v7
	s_delay_alu instid0(VALU_DEP_1) | instskip(SKIP_1) | instid1(VALU_DEP_2)
	v_and_b32_e32 v10, 7, v9
	v_bfe_u32 v13, v9, 3, 4
	v_clz_i32_u32_e32 v11, v10
	s_delay_alu instid0(VALU_DEP_2) | instskip(NEXT) | instid1(VALU_DEP_2)
	v_cmp_eq_u32_e32 vcc_lo, 0, v13
	v_min_u32_e32 v11, 32, v11
	s_delay_alu instid0(VALU_DEP_1) | instskip(NEXT) | instid1(VALU_DEP_1)
	v_subrev_nc_u32_e32 v12, 28, v11
	v_dual_lshlrev_b32 v9, v12, v9 :: v_dual_sub_nc_u32 v11, 29, v11
	s_delay_alu instid0(VALU_DEP_1) | instskip(NEXT) | instid1(VALU_DEP_1)
	v_dual_lshlrev_b32 v7, 24, v7 :: v_dual_bitop2_b32 v9, 7, v9 bitop3:0x40
	v_dual_cndmask_b32 v9, v10, v9, vcc_lo :: v_dual_cndmask_b32 v11, v13, v11, vcc_lo
	s_delay_alu instid0(VALU_DEP_2) | instskip(NEXT) | instid1(VALU_DEP_2)
	v_and_b32_e32 v7, 0x80000000, v7
	v_lshlrev_b32_e32 v9, 20, v9
	s_delay_alu instid0(VALU_DEP_3) | instskip(NEXT) | instid1(VALU_DEP_1)
	v_lshl_add_u32 v10, v11, 23, 0x3b800000
	v_or3_b32 v7, v7, v10, v9
	s_delay_alu instid0(VALU_DEP_1)
	v_cvt_i32_f32_e32 v10, v7
.LBB55_1986:
	s_or_b32 exec_lo, exec_lo, s36
.LBB55_1987:
	s_mov_b32 s56, -1
.LBB55_1988:
	s_mov_b32 s36, 0
.LBB55_1989:
	s_delay_alu instid0(SALU_CYCLE_1)
	s_and_b32 vcc_lo, exec_lo, s36
	s_cbranch_vccz .LBB55_2022
; %bb.1990:
	s_cmp_gt_i32 s49, 22
	s_cbranch_scc0 .LBB55_1998
; %bb.1991:
	s_cmp_lt_i32 s49, 24
	s_cbranch_scc1 .LBB55_2001
; %bb.1992:
	s_cmp_gt_i32 s49, 24
	s_cbranch_scc0 .LBB55_2002
; %bb.1993:
	global_load_u8 v7, v[4:5], off
	s_mov_b32 s37, 0
	s_mov_b32 s4, exec_lo
	s_wait_loadcnt 0x0
	v_cmpx_lt_i16_e32 0x7f, v7
	s_xor_b32 s36, exec_lo, s4
	s_cbranch_execz .LBB55_2014
; %bb.1994:
	v_cmp_ne_u16_e32 vcc_lo, 0x80, v7
	s_and_b32 s37, vcc_lo, exec_lo
	s_and_not1_saveexec_b32 s36, s36
	s_cbranch_execnz .LBB55_2015
.LBB55_1995:
	s_or_b32 exec_lo, exec_lo, s36
	v_mov_b32_e32 v10, 0
	s_and_saveexec_b32 s36, s37
	s_cbranch_execz .LBB55_1997
.LBB55_1996:
	v_and_b32_e32 v9, 0xffff, v7
	s_delay_alu instid0(VALU_DEP_1) | instskip(SKIP_1) | instid1(VALU_DEP_2)
	v_and_b32_e32 v10, 3, v9
	v_bfe_u32 v13, v9, 2, 5
	v_clz_i32_u32_e32 v11, v10
	s_delay_alu instid0(VALU_DEP_2) | instskip(NEXT) | instid1(VALU_DEP_2)
	v_cmp_eq_u32_e32 vcc_lo, 0, v13
	v_min_u32_e32 v11, 32, v11
	s_delay_alu instid0(VALU_DEP_1) | instskip(NEXT) | instid1(VALU_DEP_1)
	v_subrev_nc_u32_e32 v12, 29, v11
	v_dual_lshlrev_b32 v9, v12, v9 :: v_dual_sub_nc_u32 v11, 30, v11
	s_delay_alu instid0(VALU_DEP_1) | instskip(NEXT) | instid1(VALU_DEP_1)
	v_dual_lshlrev_b32 v7, 24, v7 :: v_dual_bitop2_b32 v9, 3, v9 bitop3:0x40
	v_dual_cndmask_b32 v9, v10, v9, vcc_lo :: v_dual_cndmask_b32 v11, v13, v11, vcc_lo
	s_delay_alu instid0(VALU_DEP_2) | instskip(NEXT) | instid1(VALU_DEP_2)
	v_and_b32_e32 v7, 0x80000000, v7
	v_lshlrev_b32_e32 v9, 21, v9
	s_delay_alu instid0(VALU_DEP_3) | instskip(NEXT) | instid1(VALU_DEP_1)
	v_lshl_add_u32 v10, v11, 23, 0x37800000
	v_or3_b32 v7, v7, v10, v9
	s_delay_alu instid0(VALU_DEP_1)
	v_cvt_i32_f32_e32 v10, v7
.LBB55_1997:
	s_or_b32 exec_lo, exec_lo, s36
	s_mov_b32 s36, 0
	s_branch .LBB55_2003
.LBB55_1998:
	s_mov_b32 s36, -1
                                        ; implicit-def: $vgpr10
	s_branch .LBB55_2009
.LBB55_1999:
	s_and_not1_saveexec_b32 s36, s36
	s_cbranch_execz .LBB55_1984
.LBB55_2000:
	v_cmp_ne_u16_e32 vcc_lo, 0, v7
	s_and_not1_b32 s4, s37, exec_lo
	s_and_b32 s5, vcc_lo, exec_lo
	s_delay_alu instid0(SALU_CYCLE_1)
	s_or_b32 s37, s4, s5
	s_or_b32 exec_lo, exec_lo, s36
	v_mov_b32_e32 v10, 0
	s_and_saveexec_b32 s36, s37
	s_cbranch_execnz .LBB55_1985
	s_branch .LBB55_1986
.LBB55_2001:
	s_mov_b32 s36, -1
                                        ; implicit-def: $vgpr10
	s_branch .LBB55_2006
.LBB55_2002:
	s_mov_b32 s36, -1
                                        ; implicit-def: $vgpr10
.LBB55_2003:
	s_delay_alu instid0(SALU_CYCLE_1)
	s_and_b32 vcc_lo, exec_lo, s36
	s_cbranch_vccz .LBB55_2005
; %bb.2004:
	global_load_u8 v7, v[4:5], off
	s_wait_loadcnt 0x0
	v_lshlrev_b32_e32 v7, 24, v7
	s_delay_alu instid0(VALU_DEP_1) | instskip(NEXT) | instid1(VALU_DEP_1)
	v_and_b32_e32 v9, 0x7f000000, v7
	v_clz_i32_u32_e32 v10, v9
	v_cmp_ne_u32_e32 vcc_lo, 0, v9
	v_add_nc_u32_e32 v12, 0x1000000, v9
	s_delay_alu instid0(VALU_DEP_3) | instskip(NEXT) | instid1(VALU_DEP_1)
	v_min_u32_e32 v10, 32, v10
	v_sub_nc_u32_e64 v10, v10, 4 clamp
	s_delay_alu instid0(VALU_DEP_1) | instskip(NEXT) | instid1(VALU_DEP_1)
	v_dual_lshlrev_b32 v11, v10, v9 :: v_dual_lshlrev_b32 v10, 23, v10
	v_lshrrev_b32_e32 v11, 4, v11
	s_delay_alu instid0(VALU_DEP_1) | instskip(NEXT) | instid1(VALU_DEP_1)
	v_dual_sub_nc_u32 v10, v11, v10 :: v_dual_ashrrev_i32 v11, 8, v12
	v_add_nc_u32_e32 v10, 0x3c000000, v10
	s_delay_alu instid0(VALU_DEP_1) | instskip(NEXT) | instid1(VALU_DEP_1)
	v_and_or_b32 v10, 0x7f800000, v11, v10
	v_cndmask_b32_e32 v9, 0, v10, vcc_lo
	s_delay_alu instid0(VALU_DEP_1) | instskip(NEXT) | instid1(VALU_DEP_1)
	v_and_or_b32 v7, 0x80000000, v7, v9
	v_cvt_i32_f32_e32 v10, v7
.LBB55_2005:
	s_mov_b32 s36, 0
.LBB55_2006:
	s_delay_alu instid0(SALU_CYCLE_1)
	s_and_not1_b32 vcc_lo, exec_lo, s36
	s_cbranch_vccnz .LBB55_2008
; %bb.2007:
	global_load_u8 v7, v[4:5], off
	s_wait_loadcnt 0x0
	v_lshlrev_b32_e32 v9, 25, v7
	v_lshlrev_b16 v7, 8, v7
	s_delay_alu instid0(VALU_DEP_1) | instskip(NEXT) | instid1(VALU_DEP_3)
	v_and_or_b32 v11, 0x7f00, v7, 0.5
	v_lshrrev_b32_e32 v10, 4, v9
	v_bfe_i32 v7, v7, 0, 16
	s_delay_alu instid0(VALU_DEP_3) | instskip(NEXT) | instid1(VALU_DEP_3)
	v_add_f32_e32 v11, -0.5, v11
	v_or_b32_e32 v10, 0x70000000, v10
	s_delay_alu instid0(VALU_DEP_1) | instskip(SKIP_1) | instid1(VALU_DEP_2)
	v_mul_f32_e32 v10, 0x7800000, v10
	v_cmp_gt_u32_e32 vcc_lo, 0x8000000, v9
	v_cndmask_b32_e32 v9, v10, v11, vcc_lo
	s_delay_alu instid0(VALU_DEP_1) | instskip(NEXT) | instid1(VALU_DEP_1)
	v_and_or_b32 v7, 0x80000000, v7, v9
	v_cvt_i32_f32_e32 v10, v7
.LBB55_2008:
	s_mov_b32 s36, 0
	s_mov_b32 s56, -1
.LBB55_2009:
	s_and_not1_b32 vcc_lo, exec_lo, s36
	s_cbranch_vccnz .LBB55_2022
; %bb.2010:
	s_cmp_gt_i32 s49, 14
	s_cbranch_scc0 .LBB55_2013
; %bb.2011:
	s_cmp_eq_u32 s49, 15
	s_cbranch_scc0 .LBB55_2016
; %bb.2012:
	global_load_u16 v7, v[4:5], off
	s_mov_b32 s56, -1
	s_mov_b32 s74, 0
	s_wait_loadcnt 0x0
	v_lshlrev_b32_e32 v7, 16, v7
	s_delay_alu instid0(VALU_DEP_1)
	v_cvt_i32_f32_e32 v10, v7
	s_branch .LBB55_2017
.LBB55_2013:
	s_mov_b32 s36, -1
                                        ; implicit-def: $vgpr10
	s_branch .LBB55_2018
.LBB55_2014:
	s_and_not1_saveexec_b32 s36, s36
	s_cbranch_execz .LBB55_1995
.LBB55_2015:
	v_cmp_ne_u16_e32 vcc_lo, 0, v7
	s_and_not1_b32 s4, s37, exec_lo
	s_and_b32 s5, vcc_lo, exec_lo
	s_delay_alu instid0(SALU_CYCLE_1)
	s_or_b32 s37, s4, s5
	s_or_b32 exec_lo, exec_lo, s36
	v_mov_b32_e32 v10, 0
	s_and_saveexec_b32 s36, s37
	s_cbranch_execnz .LBB55_1996
	s_branch .LBB55_1997
.LBB55_2016:
	s_mov_b32 s74, -1
                                        ; implicit-def: $vgpr10
.LBB55_2017:
	s_mov_b32 s36, 0
.LBB55_2018:
	s_delay_alu instid0(SALU_CYCLE_1)
	s_and_b32 vcc_lo, exec_lo, s36
	s_cbranch_vccz .LBB55_2022
; %bb.2019:
	s_cmp_eq_u32 s49, 11
	s_cbranch_scc0 .LBB55_2021
; %bb.2020:
	global_load_u8 v7, v[4:5], off
	s_mov_b32 s74, 0
	s_mov_b32 s56, -1
	s_wait_loadcnt 0x0
	v_cmp_ne_u16_e32 vcc_lo, 0, v7
	v_cndmask_b32_e64 v10, 0, 1, vcc_lo
	s_branch .LBB55_2022
.LBB55_2021:
	s_mov_b32 s74, -1
                                        ; implicit-def: $vgpr10
.LBB55_2022:
	s_mov_b32 s36, 0
.LBB55_2023:
	s_delay_alu instid0(SALU_CYCLE_1)
	s_and_b32 vcc_lo, exec_lo, s36
	s_cbranch_vccz .LBB55_2072
; %bb.2024:
	s_and_b32 s0, 0xffff, s0
	s_delay_alu instid0(SALU_CYCLE_1)
	s_cmp_lt_i32 s0, 5
	s_cbranch_scc1 .LBB55_2029
; %bb.2025:
	s_cmp_lt_i32 s0, 8
	s_cbranch_scc1 .LBB55_2030
; %bb.2026:
	;; [unrolled: 3-line block ×3, first 2 shown]
	s_cmp_gt_i32 s0, 9
	s_cbranch_scc0 .LBB55_2032
; %bb.2028:
	s_wait_loadcnt 0x0
	global_load_b64 v[10:11], v[4:5], off
	s_mov_b32 s36, 0
	s_wait_loadcnt 0x0
	v_cvt_i32_f64_e32 v10, v[10:11]
	s_branch .LBB55_2033
.LBB55_2029:
	s_mov_b32 s36, -1
                                        ; implicit-def: $vgpr10
	s_branch .LBB55_2051
.LBB55_2030:
	s_mov_b32 s36, -1
                                        ; implicit-def: $vgpr10
	s_branch .LBB55_2039
.LBB55_2031:
	s_mov_b32 s36, -1
                                        ; implicit-def: $vgpr10
	s_branch .LBB55_2036
.LBB55_2032:
	s_mov_b32 s36, -1
                                        ; implicit-def: $vgpr10
.LBB55_2033:
	s_delay_alu instid0(SALU_CYCLE_1)
	s_and_not1_b32 vcc_lo, exec_lo, s36
	s_cbranch_vccnz .LBB55_2035
; %bb.2034:
	global_load_b32 v7, v[4:5], off
	s_wait_loadcnt 0x0
	v_cvt_i32_f32_e32 v10, v7
.LBB55_2035:
	s_mov_b32 s36, 0
.LBB55_2036:
	s_delay_alu instid0(SALU_CYCLE_1)
	s_and_not1_b32 vcc_lo, exec_lo, s36
	s_cbranch_vccnz .LBB55_2038
; %bb.2037:
	global_load_b32 v7, v[4:5], off
	s_wait_loadcnt 0x0
	v_cvt_f32_f16_e32 v7, v7
	s_delay_alu instid0(VALU_DEP_1)
	v_cvt_i32_f32_e32 v10, v7
.LBB55_2038:
	s_mov_b32 s36, 0
.LBB55_2039:
	s_delay_alu instid0(SALU_CYCLE_1)
	s_and_not1_b32 vcc_lo, exec_lo, s36
	s_cbranch_vccnz .LBB55_2050
; %bb.2040:
	s_cmp_lt_i32 s0, 6
	s_cbranch_scc1 .LBB55_2043
; %bb.2041:
	s_cmp_gt_i32 s0, 6
	s_cbranch_scc0 .LBB55_2044
; %bb.2042:
	s_wait_loadcnt 0x0
	global_load_b64 v[10:11], v[4:5], off
	s_mov_b32 s36, 0
	s_wait_loadcnt 0x0
	v_cvt_i32_f64_e32 v10, v[10:11]
	s_branch .LBB55_2045
.LBB55_2043:
	s_mov_b32 s36, -1
                                        ; implicit-def: $vgpr10
	s_branch .LBB55_2048
.LBB55_2044:
	s_mov_b32 s36, -1
                                        ; implicit-def: $vgpr10
.LBB55_2045:
	s_delay_alu instid0(SALU_CYCLE_1)
	s_and_not1_b32 vcc_lo, exec_lo, s36
	s_cbranch_vccnz .LBB55_2047
; %bb.2046:
	global_load_b32 v7, v[4:5], off
	s_wait_loadcnt 0x0
	v_cvt_i32_f32_e32 v10, v7
.LBB55_2047:
	s_mov_b32 s36, 0
.LBB55_2048:
	s_delay_alu instid0(SALU_CYCLE_1)
	s_and_not1_b32 vcc_lo, exec_lo, s36
	s_cbranch_vccnz .LBB55_2050
; %bb.2049:
	global_load_u16 v7, v[4:5], off
	s_wait_loadcnt 0x0
	v_cvt_f32_f16_e32 v7, v7
	s_delay_alu instid0(VALU_DEP_1)
	v_cvt_i32_f32_e32 v10, v7
.LBB55_2050:
	s_mov_b32 s36, 0
.LBB55_2051:
	s_delay_alu instid0(SALU_CYCLE_1)
	s_and_not1_b32 vcc_lo, exec_lo, s36
	s_cbranch_vccnz .LBB55_2071
; %bb.2052:
	s_cmp_lt_i32 s0, 2
	s_cbranch_scc1 .LBB55_2056
; %bb.2053:
	s_cmp_lt_i32 s0, 3
	s_cbranch_scc1 .LBB55_2057
; %bb.2054:
	s_cmp_gt_i32 s0, 3
	s_cbranch_scc0 .LBB55_2058
; %bb.2055:
	s_wait_loadcnt 0x0
	global_load_b32 v10, v[4:5], off
	s_mov_b32 s36, 0
	s_branch .LBB55_2059
.LBB55_2056:
	s_mov_b32 s36, -1
                                        ; implicit-def: $vgpr10
	s_branch .LBB55_2065
.LBB55_2057:
	s_mov_b32 s36, -1
                                        ; implicit-def: $vgpr10
	s_branch .LBB55_2062
.LBB55_2058:
	s_mov_b32 s36, -1
                                        ; implicit-def: $vgpr10
.LBB55_2059:
	s_delay_alu instid0(SALU_CYCLE_1)
	s_and_not1_b32 vcc_lo, exec_lo, s36
	s_cbranch_vccnz .LBB55_2061
; %bb.2060:
	s_wait_loadcnt 0x0
	global_load_b32 v10, v[4:5], off
.LBB55_2061:
	s_mov_b32 s36, 0
.LBB55_2062:
	s_delay_alu instid0(SALU_CYCLE_1)
	s_and_not1_b32 vcc_lo, exec_lo, s36
	s_cbranch_vccnz .LBB55_2064
; %bb.2063:
	s_wait_loadcnt 0x0
	global_load_i16 v10, v[4:5], off
.LBB55_2064:
	s_mov_b32 s36, 0
.LBB55_2065:
	s_delay_alu instid0(SALU_CYCLE_1)
	s_and_not1_b32 vcc_lo, exec_lo, s36
	s_cbranch_vccnz .LBB55_2071
; %bb.2066:
	s_cmp_gt_i32 s0, 0
	s_mov_b32 s0, 0
	s_cbranch_scc0 .LBB55_2068
; %bb.2067:
	s_wait_loadcnt 0x0
	global_load_i8 v10, v[4:5], off
	s_branch .LBB55_2069
.LBB55_2068:
	s_mov_b32 s0, -1
                                        ; implicit-def: $vgpr10
.LBB55_2069:
	s_delay_alu instid0(SALU_CYCLE_1)
	s_and_not1_b32 vcc_lo, exec_lo, s0
	s_cbranch_vccnz .LBB55_2071
; %bb.2070:
	s_wait_loadcnt 0x0
	global_load_u8 v10, v[4:5], off
.LBB55_2071:
	s_mov_b32 s56, -1
.LBB55_2072:
	s_delay_alu instid0(SALU_CYCLE_1)
	s_and_not1_b32 vcc_lo, exec_lo, s56
	s_cbranch_vccnz .LBB55_2083
; %bb.2073:
	v_cmp_eq_u32_e32 vcc_lo, s79, v1
	s_mov_b32 s0, 0
	s_mov_b32 s39, -1
	s_mov_b32 s49, s97
	s_mov_b32 s38, s101
	s_and_b32 s4, s17, vcc_lo
	s_mov_b32 s37, s100
	s_mov_b32 s36, s99
	s_wait_xcnt 0x0
	s_and_saveexec_b32 s21, s4
	s_cbranch_execz .LBB55_4291
; %bb.2074:
	s_wait_loadcnt 0x0
	v_cmp_eq_u32_e32 vcc_lo, s14, v3
	s_mov_b32 s38, -1
	s_mov_b32 s39, s101
	s_mov_b32 s37, s100
	;; [unrolled: 1-line block ×3, first 2 shown]
	s_and_b32 s4, s51, vcc_lo
	s_delay_alu instid0(SALU_CYCLE_1)
	s_and_saveexec_b32 s24, s4
	s_cbranch_execz .LBB55_3777
; %bb.2075:
	v_sub_nc_u32_e32 v1, v6, v8
	s_mov_b32 s36, 0
	s_mov_b32 s37, -1
	s_mov_b32 s38, s99
	s_delay_alu instid0(VALU_DEP_1) | instskip(SKIP_4) | instid1(SALU_CYCLE_1)
	v_cmp_le_i32_e32 vcc_lo, s79, v1
	v_cmp_ge_i32_e64 s0, s12, v1
	s_and_b32 s4, vcc_lo, s0
	s_mov_b32 s0, s100
	s_and_b32 s4, s78, s4
	s_and_saveexec_b32 s25, s4
	s_cbranch_execz .LBB55_3776
; %bb.2076:
	v_mov_b64_e32 v[4:5], 0
	s_and_not1_b32 vcc_lo, exec_lo, s77
	s_cbranch_vccnz .LBB55_2112
; %bb.2077:
	v_ashrrev_i32_e32 v11, 31, v10
	s_mov_b32 s57, 0
	v_mov_b64_e32 v[4:5], 0
	s_mov_b32 s49, s57
	s_delay_alu instid0(SALU_CYCLE_1)
	s_lshl_b64 s[4:5], s[48:49], 3
	v_mul_u64_e32 v[12:13], s[14:15], v[10:11]
	v_mov_b32_e32 v10, 0
	s_add_nc_u64 s[58:59], s[18:19], s[4:5]
	s_add_nc_u64 s[60:61], s[40:41], s[4:5]
	s_mov_b32 s49, s16
	s_branch .LBB55_2079
.LBB55_2078:                            ;   in Loop: Header=BB55_2079 Depth=1
	s_or_b32 exec_lo, exec_lo, s0
	global_load_b64 v[16:17], v10, s[60:61]
	v_mul_u64_e32 v[18:19], s[62:63], v[14:15]
	s_add_co_i32 s49, s49, -1
	s_add_nc_u64 s[58:59], s[58:59], -8
	s_cmp_lg_u32 s49, 0
	s_wait_xcnt 0x0
	s_add_nc_u64 s[60:61], s[60:61], -8
	s_delay_alu instid0(VALU_DEP_1) | instskip(SKIP_1) | instid1(VALU_DEP_1)
	v_sub_nc_u64_e32 v[12:13], v[12:13], v[18:19]
	s_wait_loadcnt 0x0
	v_mad_nc_u64_u32 v[4:5], v12, v16, v[4:5]
	s_delay_alu instid0(VALU_DEP_1) | instskip(NEXT) | instid1(VALU_DEP_1)
	v_mad_u32 v1, v13, v16, v5
	v_mad_u32 v5, v12, v17, v1
	v_mov_b64_e32 v[12:13], v[14:15]
	s_cbranch_scc0 .LBB55_2112
.LBB55_2079:                            ; =>This Inner Loop Header: Depth=1
	global_load_b64 v[14:15], v10, s[58:59]
	s_mov_b32 s0, exec_lo
	s_wait_loadcnt 0x0
	v_or_b32_e32 v11, v13, v15
	v_readfirstlane_b32 s62, v14
	v_readfirstlane_b32 s63, v15
                                        ; implicit-def: $vgpr14_vgpr15
	s_wait_xcnt 0x0
	s_delay_alu instid0(VALU_DEP_3)
	v_cmpx_ne_u64_e32 0, v[10:11]
	s_xor_b32 s36, exec_lo, s0
	s_cbranch_execz .LBB55_2081
; %bb.2080:                             ;   in Loop: Header=BB55_2079 Depth=1
	s_ashr_i32 s64, s63, 31
	v_dual_mov_b32 v19, v10 :: v_dual_ashrrev_i32 v14, 31, v13
	s_mov_b32 s65, s64
	s_delay_alu instid0(SALU_CYCLE_1) | instskip(NEXT) | instid1(VALU_DEP_1)
	s_add_nc_u64 s[4:5], s[62:63], s[64:65]
	v_mov_b32_e32 v15, v14
	s_xor_b64 s[66:67], s[4:5], s[64:65]
	s_delay_alu instid0(SALU_CYCLE_1)
	s_cvt_f32_u32 s0, s66
	s_cvt_f32_u32 s4, s67
	s_sub_nc_u64 s[6:7], 0, s[66:67]
	v_add_nc_u64_e32 v[16:17], v[12:13], v[14:15]
	v_mov_b32_e32 v21, v10
	s_fmamk_f32 s0, s4, 0x4f800000, s0
	s_delay_alu instid0(SALU_CYCLE_3) | instskip(NEXT) | instid1(VALU_DEP_2)
	v_s_rcp_f32 s0, s0
	v_xor_b32_e32 v18, v16, v14
	s_delay_alu instid0(VALU_DEP_3) | instskip(SKIP_1) | instid1(TRANS32_DEP_1)
	v_dual_mov_b32 v27, v10 :: v_dual_bitop2_b32 v20, v17, v14 bitop3:0x14
	v_xor_b32_e32 v14, s64, v14
	s_mul_f32 s0, s0, 0x5f7ffffc
	s_delay_alu instid0(SALU_CYCLE_3) | instskip(NEXT) | instid1(SALU_CYCLE_3)
	s_mul_f32 s4, s0, 0x2f800000
	s_trunc_f32 s4, s4
	s_delay_alu instid0(SALU_CYCLE_3) | instskip(SKIP_1) | instid1(SALU_CYCLE_2)
	s_fmamk_f32 s0, s4, 0xcf800000, s0
	s_cvt_u32_f32 s5, s4
	s_cvt_u32_f32 s4, s0
	s_delay_alu instid0(SALU_CYCLE_3) | instskip(NEXT) | instid1(SALU_CYCLE_1)
	s_mul_u64 s[8:9], s[6:7], s[4:5]
	s_mul_hi_u32 s11, s4, s9
	s_mul_i32 s10, s4, s9
	s_mul_hi_u32 s56, s4, s8
	s_mul_i32 s37, s5, s8
	s_add_nc_u64 s[10:11], s[56:57], s[10:11]
	s_mul_hi_u32 s0, s5, s8
	s_mul_hi_u32 s38, s5, s9
	s_mul_i32 s8, s5, s9
	s_add_co_u32 s9, s10, s37
	s_add_co_ci_u32 s56, s11, s0
	s_add_co_ci_u32 s9, s38, 0
	s_delay_alu instid0(SALU_CYCLE_1) | instskip(NEXT) | instid1(SALU_CYCLE_1)
	s_add_nc_u64 s[8:9], s[56:57], s[8:9]
	s_add_co_u32 s4, s4, s8
	s_cselect_b32 s0, -1, 0
	s_delay_alu instid0(SALU_CYCLE_1) | instskip(SKIP_1) | instid1(SALU_CYCLE_1)
	s_cmp_lg_u32 s0, 0
	s_add_co_ci_u32 s5, s5, s9
	s_mul_u64 s[6:7], s[6:7], s[4:5]
	s_delay_alu instid0(SALU_CYCLE_1)
	s_mul_hi_u32 s9, s4, s7
	s_mul_i32 s8, s4, s7
	s_mul_hi_u32 s56, s4, s6
	s_mul_i32 s10, s5, s6
	s_add_nc_u64 s[8:9], s[56:57], s[8:9]
	s_mul_hi_u32 s0, s5, s6
	s_mul_hi_u32 s11, s5, s7
	s_mul_i32 s6, s5, s7
	s_add_co_u32 s7, s8, s10
	s_add_co_ci_u32 s56, s9, s0
	s_add_co_ci_u32 s7, s11, 0
	s_delay_alu instid0(SALU_CYCLE_1) | instskip(NEXT) | instid1(SALU_CYCLE_1)
	s_add_nc_u64 s[6:7], s[56:57], s[6:7]
	s_add_co_u32 s0, s4, s6
	s_cselect_b32 s4, -1, 0
	v_mul_hi_u32 v26, v18, s0
	s_cmp_lg_u32 s4, 0
	s_add_co_ci_u32 s56, s5, s7
	s_mov_b64 s[4:5], 0xffffffff
	v_mul_u64_e32 v[22:23], s[56:57], v[18:19]
	s_and_b64 s[4:5], s[0:1], s[4:5]
	v_mul_u64_e32 v[24:25], s[56:57], v[20:21]
	v_mul_u64_e32 v[16:17], s[4:5], v[20:21]
	s_delay_alu instid0(VALU_DEP_3) | instskip(NEXT) | instid1(VALU_DEP_1)
	v_add_nc_u64_e32 v[22:23], v[26:27], v[22:23]
	v_add_co_u32 v1, vcc_lo, v22, v16
	s_delay_alu instid0(VALU_DEP_2) | instskip(SKIP_1) | instid1(VALU_DEP_1)
	v_add_co_ci_u32_e32 v26, vcc_lo, v23, v17, vcc_lo
	v_add_co_ci_u32_e32 v25, vcc_lo, 0, v25, vcc_lo
	v_add_nc_u64_e32 v[16:17], v[26:27], v[24:25]
	s_delay_alu instid0(VALU_DEP_1) | instskip(NEXT) | instid1(VALU_DEP_1)
	v_mul_u64_e32 v[22:23], s[66:67], v[16:17]
	v_sub_nc_u32_e32 v1, v20, v23
	s_delay_alu instid0(VALU_DEP_2) | instskip(NEXT) | instid1(VALU_DEP_1)
	v_sub_co_u32 v3, vcc_lo, v18, v22
	v_sub_co_ci_u32_e64 v9, null, v20, v23, vcc_lo
	s_delay_alu instid0(VALU_DEP_3) | instskip(NEXT) | instid1(VALU_DEP_3)
	v_subrev_co_ci_u32_e64 v1, null, s67, v1, vcc_lo
	v_sub_co_u32 v7, s0, v3, s66
	v_add_nc_u64_e32 v[18:19], 2, v[16:17]
	s_delay_alu instid0(VALU_DEP_3) | instskip(NEXT) | instid1(VALU_DEP_3)
	v_subrev_co_ci_u32_e64 v1, null, 0, v1, s0
	v_cmp_le_u32_e32 vcc_lo, s66, v7
	v_add_nc_u64_e32 v[20:21], 1, v[16:17]
	v_cndmask_b32_e64 v7, 0, -1, vcc_lo
	s_delay_alu instid0(VALU_DEP_4)
	v_cmp_le_u32_e32 vcc_lo, s67, v1
	v_cndmask_b32_e64 v11, 0, -1, vcc_lo
	v_cmp_le_u32_e32 vcc_lo, s66, v3
	v_cndmask_b32_e64 v3, 0, -1, vcc_lo
	;; [unrolled: 2-line block ×3, first 2 shown]
	v_cmp_eq_u32_e32 vcc_lo, s67, v1
	v_cndmask_b32_e32 v1, v11, v7, vcc_lo
	v_cmp_eq_u32_e32 vcc_lo, s67, v9
	s_delay_alu instid0(VALU_DEP_4) | instskip(NEXT) | instid1(VALU_DEP_3)
	v_cndmask_b32_e32 v3, v15, v3, vcc_lo
	v_cmp_ne_u32_e32 vcc_lo, 0, v1
	v_mov_b32_e32 v15, v14
	s_delay_alu instid0(VALU_DEP_3) | instskip(SKIP_1) | instid1(VALU_DEP_1)
	v_cmp_ne_u32_e64 s0, 0, v3
	v_dual_cndmask_b32 v1, v21, v19, vcc_lo :: v_dual_cndmask_b32 v3, v20, v18, vcc_lo
	v_dual_cndmask_b32 v1, v17, v1, s0 :: v_dual_cndmask_b32 v3, v16, v3, s0
	s_delay_alu instid0(VALU_DEP_1) | instskip(NEXT) | instid1(VALU_DEP_2)
	v_xor_b32_e32 v17, v1, v14
	v_xor_b32_e32 v16, v3, v14
	s_delay_alu instid0(VALU_DEP_1)
	v_sub_nc_u64_e32 v[14:15], v[16:17], v[14:15]
.LBB55_2081:                            ;   in Loop: Header=BB55_2079 Depth=1
	s_and_not1_saveexec_b32 s0, s36
	s_cbranch_execz .LBB55_2078
; %bb.2082:                             ;   in Loop: Header=BB55_2079 Depth=1
	v_cvt_f32_u32_e32 v1, s62
	s_sub_co_i32 s4, 0, s62
	v_mov_b32_e32 v15, v10
	s_delay_alu instid0(VALU_DEP_2) | instskip(SKIP_1) | instid1(TRANS32_DEP_1)
	v_rcp_iflag_f32_e32 v1, v1
	v_nop
	v_mul_f32_e32 v1, 0x4f7ffffe, v1
	s_delay_alu instid0(VALU_DEP_1) | instskip(NEXT) | instid1(VALU_DEP_1)
	v_cvt_u32_f32_e32 v1, v1
	v_mul_lo_u32 v3, s4, v1
	s_delay_alu instid0(VALU_DEP_1) | instskip(NEXT) | instid1(VALU_DEP_1)
	v_mul_hi_u32 v3, v1, v3
	v_add_nc_u32_e32 v1, v1, v3
	s_delay_alu instid0(VALU_DEP_1) | instskip(NEXT) | instid1(VALU_DEP_1)
	v_mul_hi_u32 v1, v12, v1
	v_mul_lo_u32 v3, v1, s62
	s_delay_alu instid0(VALU_DEP_1) | instskip(NEXT) | instid1(VALU_DEP_1)
	v_dual_add_nc_u32 v7, 1, v1 :: v_dual_sub_nc_u32 v3, v12, v3
	v_subrev_nc_u32_e32 v9, s62, v3
	v_cmp_le_u32_e32 vcc_lo, s62, v3
	s_delay_alu instid0(VALU_DEP_2) | instskip(NEXT) | instid1(VALU_DEP_1)
	v_dual_cndmask_b32 v1, v1, v7, vcc_lo :: v_dual_cndmask_b32 v3, v3, v9, vcc_lo
	v_add_nc_u32_e32 v7, 1, v1
	s_delay_alu instid0(VALU_DEP_2) | instskip(NEXT) | instid1(VALU_DEP_2)
	v_cmp_le_u32_e32 vcc_lo, s62, v3
	v_cndmask_b32_e32 v14, v1, v7, vcc_lo
	s_branch .LBB55_2078
.LBB55_2083:
	s_mov_b32 s0, 0
	s_mov_b32 s36, s99
	;; [unrolled: 1-line block ×6, first 2 shown]
.LBB55_2084:
                                        ; implicit-def: $vgpr0
.LBB55_2085:
	s_and_not1_b32 s4, s99, exec_lo
	s_and_b32 s5, s36, exec_lo
	s_and_not1_b32 s6, s100, exec_lo
	s_and_b32 s7, s37, exec_lo
	s_or_b32 s64, s4, s5
	s_or_b32 s61, s6, s7
	s_and_not1_b32 s4, s101, exec_lo
	s_and_b32 s5, s38, exec_lo
	s_and_not1_b32 s6, s97, exec_lo
	s_and_b32 s7, s49, exec_lo
	s_or_b32 s63, s4, s5
	s_or_b32 s60, s6, s7
	;; [unrolled: 6-line block ×5, first 2 shown]
	s_or_not1_b32 s39, s0, exec_lo
.LBB55_2086:
	s_wait_xcnt 0x0
	s_or_b32 exec_lo, exec_lo, vcc_hi
	s_mov_b32 s36, 0
	s_mov_b32 s37, 0
	;; [unrolled: 1-line block ×3, first 2 shown]
                                        ; implicit-def: $sgpr0
                                        ; implicit-def: $vgpr12_vgpr13
                                        ; implicit-def: $vgpr2
                                        ; implicit-def: $vgpr8
                                        ; implicit-def: $vgpr10
                                        ; implicit-def: $vgpr4
                                        ; implicit-def: $vgpr6
                                        ; implicit-def: $vgpr3
	s_and_saveexec_b32 s65, s39
	s_cbranch_execz .LBB55_2190
; %bb.2087:
	s_mov_b32 s39, s28
	s_mov_b32 s66, exec_lo
                                        ; implicit-def: $sgpr0
                                        ; implicit-def: $vgpr12_vgpr13
                                        ; implicit-def: $vgpr2
                                        ; implicit-def: $vgpr8
                                        ; implicit-def: $vgpr10
                                        ; implicit-def: $vgpr4
                                        ; implicit-def: $vgpr6
                                        ; implicit-def: $vgpr3
	v_cmpx_gt_i32_e64 s82, v0
	s_cbranch_execz .LBB55_2189
; %bb.2088:
	s_and_not1_b32 vcc_lo, exec_lo, s72
	s_cbranch_vccnz .LBB55_2095
; %bb.2089:
	s_and_not1_b32 vcc_lo, exec_lo, s83
	s_cbranch_vccnz .LBB55_2096
; %bb.2090:
	s_wait_loadcnt 0x0
	v_dual_mov_b32 v6, 0 :: v_dual_mov_b32 v1, v0
	v_dual_mov_b32 v4, 0 :: v_dual_mov_b32 v10, 0
	v_dual_mov_b32 v8, 0 :: v_dual_mov_b32 v2, 0
	v_mov_b32_e32 v12, 0
	s_add_co_i32 s0, s81, 1
	s_mov_b64 s[4:5], 0xffffffffffffffd0
	s_mov_b32 s13, s17
	s_mov_b32 s17, s51
	;; [unrolled: 1-line block ×3, first 2 shown]
	s_mov_b32 vcc_hi, s78
	s_mov_b32 s74, s77
	s_mov_b32 s67, s76
	s_mov_b64 s[78:79], s[42:43]
	s_mov_b64 s[76:77], s[40:41]
	s_and_b32 s0, s0, 30
	s_add_nc_u64 s[56:57], s[2:3], s[4:5]
	s_mov_b64 s[58:59], s[2:3]
.LBB55_2091:                            ; =>This Inner Loop Header: Depth=1
	s_clause 0x1
	s_load_b128 s[4:7], s[58:59], 0x4
	s_load_b64 s[82:83], s[58:59], 0x14
	s_clause 0x1
	s_load_b256 s[36:43], s[56:57], 0xf4
	s_load_b128 s[8:11], s[56:57], 0x114
	s_add_co_i32 s0, s0, -2
	s_wait_xcnt 0x0
	s_add_nc_u64 s[58:59], s[58:59], 24
	s_cmp_eq_u32 s0, 0
	s_add_nc_u64 s[56:57], s[56:57], 48
	s_wait_kmcnt 0x0
	v_mul_hi_u32 v3, s5, v1
	s_delay_alu instid0(VALU_DEP_1) | instskip(NEXT) | instid1(VALU_DEP_1)
	v_add_nc_u32_e32 v3, v1, v3
	v_lshrrev_b32_e32 v3, s6, v3
	s_delay_alu instid0(VALU_DEP_1) | instskip(SKIP_1) | instid1(VALU_DEP_1)
	v_mul_hi_u32 v5, s82, v3
	v_mul_lo_u32 v7, v3, s4
	v_dual_add_nc_u32 v5, v3, v5 :: v_dual_sub_nc_u32 v7, v1, v7
	s_delay_alu instid0(VALU_DEP_1) | instskip(NEXT) | instid1(VALU_DEP_2)
	v_lshrrev_b32_e32 v1, s83, v5
	v_mad_u32 v5, v7, s37, v12
	v_mad_u32 v2, v7, s36, v2
	;; [unrolled: 1-line block ×4, first 2 shown]
	v_mul_lo_u32 v9, v1, s7
	v_mad_u32 v4, s41, v7, v4
	v_mad_u32 v6, s40, v7, v6
	s_delay_alu instid0(VALU_DEP_3) | instskip(NEXT) | instid1(VALU_DEP_1)
	v_sub_nc_u32_e32 v3, v3, v9
	v_mad_u32 v12, v3, s43, v5
	v_mad_u32 v2, v3, s42, v2
	;; [unrolled: 1-line block ×6, first 2 shown]
	s_cbranch_scc0 .LBB55_2091
; %bb.2092:
	s_bitcmp1_b32 s81, 0
	s_cselect_b32 s0, -1, 0
	s_delay_alu instid0(SALU_CYCLE_1)
	s_and_b32 vcc_lo, exec_lo, s0
	s_cbranch_vccnz .LBB55_2094
; %bb.2093:
	s_load_b96 s[8:10], s[58:59], 0x4
	s_wait_kmcnt 0x0
	v_mul_hi_u32 v3, s9, v1
	s_delay_alu instid0(VALU_DEP_1) | instskip(NEXT) | instid1(VALU_DEP_1)
	v_add_nc_u32_e32 v3, v1, v3
	v_lshrrev_b32_e32 v3, s10, v3
	s_clause 0x1
	s_load_b128 s[4:7], s[56:57], 0xf4
	s_load_b64 s[10:11], s[56:57], 0x104
	s_delay_alu instid0(VALU_DEP_1) | instskip(NEXT) | instid1(VALU_DEP_1)
	v_mul_lo_u32 v3, v3, s8
	v_sub_nc_u32_e32 v1, v1, v3
	s_wait_kmcnt 0x0
	s_delay_alu instid0(VALU_DEP_1)
	v_mad_u32 v2, v1, s4, v2
	v_mad_u32 v12, v1, s5, v12
	;; [unrolled: 1-line block ×6, first 2 shown]
.LBB55_2094:
	s_load_b256 s[4:11], s[2:3], 0xc4
	s_mov_b64 s[40:41], s[76:77]
	s_mov_b64 s[42:43], s[78:79]
	s_mov_b32 s76, s67
	s_mov_b32 s77, s74
	s_mov_b32 s78, vcc_hi
	s_mov_b32 s79, s51
	s_mov_b32 s51, s17
	;; [unrolled: 1-line block ×3, first 2 shown]
	s_branch .LBB55_2097
.LBB55_2095:
	s_load_b256 s[4:11], s[2:3], 0xc4
	s_mov_b32 s0, -1
                                        ; implicit-def: $vgpr12
                                        ; implicit-def: $vgpr2
                                        ; implicit-def: $vgpr8
                                        ; implicit-def: $vgpr10
                                        ; implicit-def: $vgpr4
                                        ; implicit-def: $vgpr6
	s_branch .LBB55_2098
.LBB55_2096:
	s_load_b256 s[4:11], s[2:3], 0xc4
	v_dual_mov_b32 v12, 0 :: v_dual_mov_b32 v2, 0
	s_wait_loadcnt 0x0
	v_dual_mov_b32 v8, 0 :: v_dual_mov_b32 v10, 0
	v_dual_mov_b32 v4, 0 :: v_dual_mov_b32 v6, 0
.LBB55_2097:
	s_mov_b32 s0, 0
.LBB55_2098:
	s_delay_alu instid0(SALU_CYCLE_1)
	s_and_not1_b32 vcc_lo, exec_lo, s0
	s_cbranch_vccnz .LBB55_2101
; %bb.2099:
	s_wait_loadcnt 0x0
	v_mov_b32_e32 v1, 0
	s_and_not1_b32 vcc_lo, exec_lo, s44
	s_delay_alu instid0(VALU_DEP_1) | instskip(NEXT) | instid1(VALU_DEP_1)
	v_mul_u64_e32 v[2:3], s[52:53], v[0:1]
	v_add_nc_u32_e32 v2, v0, v3
	s_delay_alu instid0(VALU_DEP_1) | instskip(NEXT) | instid1(VALU_DEP_1)
	v_lshrrev_b32_e32 v14, s22, v2
	v_mul_lo_u32 v2, v14, s20
	s_delay_alu instid0(VALU_DEP_1) | instskip(SKIP_1) | instid1(VALU_DEP_1)
	v_sub_nc_u32_e32 v0, v0, v2
	s_wait_kmcnt 0x0
	v_mul_lo_u32 v12, v0, s5
	v_mul_lo_u32 v2, v0, s4
	v_mul_lo_u32 v8, v0, s7
	v_mul_lo_u32 v10, v0, s6
	v_mul_lo_u32 v4, s9, v0
	v_mul_lo_u32 v6, s8, v0
	s_cbranch_vccnz .LBB55_2101
; %bb.2100:
	v_mov_b32_e32 v15, v1
	s_load_b128 s[4:7], s[2:3], 0xe4
	s_delay_alu instid0(VALU_DEP_1) | instskip(NEXT) | instid1(VALU_DEP_1)
	v_mul_u64_e32 v[0:1], s[54:55], v[14:15]
	v_add_nc_u32_e32 v0, v14, v1
	s_delay_alu instid0(VALU_DEP_1) | instskip(NEXT) | instid1(VALU_DEP_1)
	v_lshrrev_b32_e32 v0, s47, v0
	v_mul_lo_u32 v0, v0, s23
	s_delay_alu instid0(VALU_DEP_1) | instskip(NEXT) | instid1(VALU_DEP_1)
	v_sub_nc_u32_e32 v0, v14, v0
	v_mad_u32 v2, v0, s10, v2
	v_mad_u32 v12, v0, s11, v12
	s_wait_kmcnt 0x0
	v_mad_u32 v10, v0, s4, v10
	v_mad_u32 v8, v0, s5, v8
	;; [unrolled: 1-line block ×4, first 2 shown]
.LBB55_2101:
	s_wait_kmcnt 0x0
	s_load_b256 s[4:11], s[2:3], 0x248
	v_mov_b32_e32 v13, 0
	s_and_b32 s0, s1, 0xff
	s_delay_alu instid0(SALU_CYCLE_1) | instskip(SKIP_1) | instid1(VALU_DEP_1)
	s_cmp_lt_i32 s0, 11
	s_wait_kmcnt 0x0
	v_add_nc_u64_e32 v[12:13], s[6:7], v[12:13]
	s_cbranch_scc1 .LBB55_2108
; %bb.2102:
	s_and_b32 s6, 0xffff, s0
	s_mov_b32 s7, 0
	s_cmp_gt_i32 s6, 25
	s_cbranch_scc0 .LBB55_2109
; %bb.2103:
	s_cmp_gt_i32 s6, 28
	s_cbranch_scc0 .LBB55_2110
; %bb.2104:
	;; [unrolled: 3-line block ×4, first 2 shown]
	s_cmp_eq_u32 s6, 46
	s_mov_b32 s21, 0
	s_cbranch_scc0 .LBB55_2127
; %bb.2107:
	global_load_b32 v0, v[12:13], off
	s_mov_b32 s1, 0
	s_mov_b32 s20, -1
	s_wait_loadcnt 0x0
	v_lshlrev_b32_e32 v0, 16, v0
	s_delay_alu instid0(VALU_DEP_1)
	v_cvt_i32_f32_e32 v3, v0
	s_branch .LBB55_2129
.LBB55_2108:
	s_mov_b32 s6, -1
	s_mov_b32 s20, 0
	s_mov_b32 s7, 0
	;; [unrolled: 1-line block ×3, first 2 shown]
                                        ; implicit-def: $vgpr3
	s_branch .LBB55_2188
.LBB55_2109:
	s_mov_b32 s21, -1
	s_mov_b32 s20, 0
	s_mov_b32 s1, s28
                                        ; implicit-def: $vgpr3
	s_branch .LBB55_2156
.LBB55_2110:
	s_mov_b32 s21, -1
	s_mov_b32 s20, 0
	s_mov_b32 s1, s28
                                        ; implicit-def: $vgpr3
	s_branch .LBB55_2139
.LBB55_2111:
	s_mov_b32 s21, -1
	s_mov_b32 s20, 0
	s_mov_b32 s1, s28
                                        ; implicit-def: $vgpr3
	s_branch .LBB55_2134
.LBB55_2112:
	s_mov_b32 s38, -1
	s_mov_b32 s0, s100
	s_mov_b32 s36, exec_lo
	v_cmpx_gt_i32_e64 v6, v8
	s_cbranch_execz .LBB55_2119
; %bb.2113:
	s_delay_alu instid0(VALU_DEP_2) | instskip(SKIP_3) | instid1(VALU_DEP_1)
	v_lshlrev_b64_e32 v[4:5], 2, v[4:5]
	v_dual_ashrrev_i32 v9, 31, v8 :: v_dual_ashrrev_i32 v7, 31, v6
	s_mov_b32 s0, 0
	s_xor_b32 s38, s76, -1
                                        ; implicit-def: $sgpr37
                                        ; implicit-def: $sgpr49
                                        ; implicit-def: $sgpr39
	v_lshl_add_u64 v[8:9], v[8:9], 2, v[4:5]
	v_add_nc_u64_e32 v[10:11], s[42:43], v[4:5]
	s_delay_alu instid0(VALU_DEP_2) | instskip(NEXT) | instid1(VALU_DEP_2)
	v_add_nc_u64_e32 v[8:9], s[42:43], v[8:9]
	v_lshl_add_u64 v[6:7], v[6:7], 2, v[10:11]
	s_delay_alu instid0(VALU_DEP_2)
	v_add_nc_u64_e32 v[4:5], 4, v[8:9]
	s_branch .LBB55_2115
.LBB55_2114:                            ;   in Loop: Header=BB55_2115 Depth=1
	s_or_b32 exec_lo, exec_lo, s56
	s_delay_alu instid0(SALU_CYCLE_1) | instskip(NEXT) | instid1(SALU_CYCLE_1)
	s_and_b32 s4, exec_lo, s49
	s_or_b32 s0, s4, s0
	s_and_not1_b32 s4, s37, exec_lo
	s_and_b32 s5, s39, exec_lo
	s_delay_alu instid0(SALU_CYCLE_1)
	s_or_b32 s37, s4, s5
	s_and_not1_b32 exec_lo, exec_lo, s0
	s_cbranch_execz .LBB55_2118
.LBB55_2115:                            ; =>This Inner Loop Header: Depth=1
	s_or_b32 s39, s39, exec_lo
	s_or_b32 s49, s49, exec_lo
	s_mov_b32 s56, exec_lo
	s_delay_alu instid0(VALU_DEP_1)
	v_cmpx_lt_u64_e64 v[4:5], v[6:7]
	s_cbranch_execz .LBB55_2114
; %bb.2116:                             ;   in Loop: Header=BB55_2115 Depth=1
	global_load_b64 v[8:9], v[4:5], off offset:-4
	s_wait_xcnt 0x0
	v_add_nc_u64_e32 v[4:5], 4, v[4:5]
	s_and_not1_b32 s5, s49, exec_lo
	s_and_not1_b32 s39, s39, exec_lo
	s_wait_loadcnt 0x0
	v_cmp_ge_i32_e32 vcc_lo, v8, v9
	s_or_b32 s4, s38, vcc_lo
	s_delay_alu instid0(SALU_CYCLE_1) | instskip(NEXT) | instid1(SALU_CYCLE_1)
	s_and_b32 s4, s4, exec_lo
	s_or_b32 s49, s5, s4
	s_branch .LBB55_2114
.LBB55_2117:
	s_mov_b32 s21, -1
	s_mov_b32 s20, 0
	s_mov_b32 s1, s28
	s_branch .LBB55_2128
.LBB55_2118:
	s_or_b32 exec_lo, exec_lo, s0
	s_delay_alu instid0(SALU_CYCLE_1)
	s_or_b32 s0, s100, exec_lo
	s_or_not1_b32 s38, s37, exec_lo
.LBB55_2119:
	s_or_b32 exec_lo, exec_lo, s36
	s_mov_b32 s36, 0
	s_mov_b32 s37, s99
	s_and_saveexec_b32 s49, s38
	s_cbranch_execz .LBB55_3775
; %bb.2120:
	s_load_b256 s[4:11], s[2:3], 0x248
	v_mov_b32_e32 v3, 0
	s_and_b32 s57, s34, 0xff
	s_delay_alu instid0(SALU_CYCLE_1) | instskip(SKIP_1) | instid1(VALU_DEP_1)
	s_cmp_lt_i32 s57, 11
	s_wait_kmcnt 0x0
	v_add_nc_u64_e32 v[2:3], s[4:5], v[2:3]
	s_cbranch_scc1 .LBB55_3597
; %bb.2121:
	s_and_b32 s58, 0xffff, s57
	s_delay_alu instid0(SALU_CYCLE_1)
	s_cmp_gt_i32 s58, 25
	s_cbranch_scc0 .LBB55_3599
; %bb.2122:
	s_cmp_gt_i32 s58, 28
	s_cbranch_scc0 .LBB55_3601
; %bb.2123:
	;; [unrolled: 3-line block ×4, first 2 shown]
	s_mov_b32 s56, -1
	s_cmp_eq_u32 s58, 46
	s_mov_b32 s59, 0
	s_cbranch_scc0 .LBB55_3693
; %bb.2126:
	v_mov_b32_e32 v1, 0
	s_mov_b32 s59, -1
	s_mov_b32 s56, 0
	global_store_b32 v[2:3], v1, off
	s_branch .LBB55_3693
.LBB55_2127:
	s_mov_b32 s1, -1
	s_mov_b32 s20, 0
.LBB55_2128:
                                        ; implicit-def: $vgpr3
.LBB55_2129:
	s_and_b32 vcc_lo, exec_lo, s21
	s_cbranch_vccz .LBB55_2133
; %bb.2130:
	s_cmp_eq_u32 s6, 44
	s_cbranch_scc0 .LBB55_2132
; %bb.2131:
	global_load_u8 v0, v[12:13], off
	s_mov_b32 s1, 0
	s_mov_b32 s20, -1
	s_wait_loadcnt 0x0
	v_lshlrev_b32_e32 v1, 23, v0
	v_cmp_ne_u32_e32 vcc_lo, 0, v0
	s_delay_alu instid0(VALU_DEP_2) | instskip(NEXT) | instid1(VALU_DEP_1)
	v_cvt_i32_f32_e32 v1, v1
	v_cndmask_b32_e32 v3, 0, v1, vcc_lo
	s_branch .LBB55_2133
.LBB55_2132:
	s_mov_b32 s1, -1
                                        ; implicit-def: $vgpr3
.LBB55_2133:
	s_mov_b32 s21, 0
.LBB55_2134:
	s_delay_alu instid0(SALU_CYCLE_1)
	s_and_b32 vcc_lo, exec_lo, s21
	s_cbranch_vccz .LBB55_2138
; %bb.2135:
	s_cmp_eq_u32 s6, 29
	s_cbranch_scc0 .LBB55_2137
; %bb.2136:
	s_wait_loadcnt 0x0
	global_load_b32 v3, v[12:13], off
	s_mov_b32 s1, 0
	s_mov_b32 s20, -1
	s_branch .LBB55_2138
.LBB55_2137:
	s_mov_b32 s1, -1
                                        ; implicit-def: $vgpr3
.LBB55_2138:
	s_mov_b32 s21, 0
.LBB55_2139:
	s_delay_alu instid0(SALU_CYCLE_1)
	s_and_b32 vcc_lo, exec_lo, s21
	s_cbranch_vccz .LBB55_2155
; %bb.2140:
	s_cmp_lt_i32 s6, 27
	s_cbranch_scc1 .LBB55_2143
; %bb.2141:
	s_cmp_gt_i32 s6, 27
	s_cbranch_scc0 .LBB55_2144
; %bb.2142:
	s_wait_loadcnt 0x0
	global_load_b32 v3, v[12:13], off
	s_mov_b32 s20, 0
	s_branch .LBB55_2145
.LBB55_2143:
	s_mov_b32 s20, -1
                                        ; implicit-def: $vgpr3
	s_branch .LBB55_2148
.LBB55_2144:
	s_mov_b32 s20, -1
                                        ; implicit-def: $vgpr3
.LBB55_2145:
	s_delay_alu instid0(SALU_CYCLE_1)
	s_and_not1_b32 vcc_lo, exec_lo, s20
	s_cbranch_vccnz .LBB55_2147
; %bb.2146:
	s_wait_loadcnt 0x0
	global_load_u16 v3, v[12:13], off
.LBB55_2147:
	s_mov_b32 s20, 0
.LBB55_2148:
	s_delay_alu instid0(SALU_CYCLE_1)
	s_and_not1_b32 vcc_lo, exec_lo, s20
	s_cbranch_vccnz .LBB55_2154
; %bb.2149:
	global_load_u8 v0, v[12:13], off
	s_mov_b32 s21, 0
	s_mov_b32 s4, exec_lo
	s_wait_loadcnt 0x0
	v_cmpx_lt_i16_e32 0x7f, v0
	s_xor_b32 s20, exec_lo, s4
	s_cbranch_execz .LBB55_2166
; %bb.2150:
	v_cmp_ne_u16_e32 vcc_lo, 0x80, v0
	s_and_b32 s21, vcc_lo, exec_lo
	s_and_not1_saveexec_b32 s20, s20
	s_cbranch_execnz .LBB55_2167
.LBB55_2151:
	s_or_b32 exec_lo, exec_lo, s20
	v_mov_b32_e32 v3, 0
	s_and_saveexec_b32 s20, s21
	s_cbranch_execz .LBB55_2153
.LBB55_2152:
	v_and_b32_e32 v1, 0xffff, v0
	s_delay_alu instid0(VALU_DEP_1) | instskip(SKIP_1) | instid1(VALU_DEP_2)
	v_dual_lshlrev_b32 v0, 24, v0 :: v_dual_bitop2_b32 v3, 7, v1 bitop3:0x40
	v_bfe_u32 v9, v1, 3, 4
	v_and_b32_e32 v0, 0x80000000, v0
	s_delay_alu instid0(VALU_DEP_3) | instskip(NEXT) | instid1(VALU_DEP_3)
	v_clz_i32_u32_e32 v5, v3
	v_cmp_eq_u32_e32 vcc_lo, 0, v9
	s_delay_alu instid0(VALU_DEP_2) | instskip(NEXT) | instid1(VALU_DEP_1)
	v_min_u32_e32 v5, 32, v5
	v_subrev_nc_u32_e32 v7, 28, v5
	v_sub_nc_u32_e32 v5, 29, v5
	s_delay_alu instid0(VALU_DEP_2) | instskip(NEXT) | instid1(VALU_DEP_2)
	v_lshlrev_b32_e32 v1, v7, v1
	v_cndmask_b32_e32 v5, v9, v5, vcc_lo
	s_delay_alu instid0(VALU_DEP_2) | instskip(NEXT) | instid1(VALU_DEP_1)
	v_and_b32_e32 v1, 7, v1
	v_cndmask_b32_e32 v1, v3, v1, vcc_lo
	s_delay_alu instid0(VALU_DEP_3) | instskip(NEXT) | instid1(VALU_DEP_2)
	v_lshl_add_u32 v3, v5, 23, 0x3b800000
	v_lshlrev_b32_e32 v1, 20, v1
	s_delay_alu instid0(VALU_DEP_1) | instskip(NEXT) | instid1(VALU_DEP_1)
	v_or3_b32 v0, v0, v3, v1
	v_cvt_i32_f32_e32 v3, v0
.LBB55_2153:
	s_or_b32 exec_lo, exec_lo, s20
.LBB55_2154:
	s_mov_b32 s20, -1
.LBB55_2155:
	s_mov_b32 s21, 0
.LBB55_2156:
	s_delay_alu instid0(SALU_CYCLE_1)
	s_and_b32 vcc_lo, exec_lo, s21
	s_cbranch_vccz .LBB55_2187
; %bb.2157:
	s_cmp_gt_i32 s6, 22
	s_cbranch_scc0 .LBB55_2165
; %bb.2158:
	s_cmp_lt_i32 s6, 24
	s_cbranch_scc1 .LBB55_2168
; %bb.2159:
	s_cmp_gt_i32 s6, 24
	s_cbranch_scc0 .LBB55_2169
; %bb.2160:
	global_load_u8 v0, v[12:13], off
	s_mov_b32 s20, 0
	s_mov_b32 s4, exec_lo
	s_wait_loadcnt 0x0
	v_cmpx_lt_i16_e32 0x7f, v0
	s_xor_b32 s7, exec_lo, s4
	s_cbranch_execz .LBB55_2181
; %bb.2161:
	v_cmp_ne_u16_e32 vcc_lo, 0x80, v0
	s_and_b32 s20, vcc_lo, exec_lo
	s_and_not1_saveexec_b32 s7, s7
	s_cbranch_execnz .LBB55_2182
.LBB55_2162:
	s_or_b32 exec_lo, exec_lo, s7
	v_mov_b32_e32 v3, 0
	s_and_saveexec_b32 s7, s20
	s_cbranch_execz .LBB55_2164
.LBB55_2163:
	v_and_b32_e32 v1, 0xffff, v0
	s_delay_alu instid0(VALU_DEP_1) | instskip(SKIP_1) | instid1(VALU_DEP_2)
	v_dual_lshlrev_b32 v0, 24, v0 :: v_dual_bitop2_b32 v3, 3, v1 bitop3:0x40
	v_bfe_u32 v9, v1, 2, 5
	v_and_b32_e32 v0, 0x80000000, v0
	s_delay_alu instid0(VALU_DEP_3) | instskip(NEXT) | instid1(VALU_DEP_3)
	v_clz_i32_u32_e32 v5, v3
	v_cmp_eq_u32_e32 vcc_lo, 0, v9
	s_delay_alu instid0(VALU_DEP_2) | instskip(NEXT) | instid1(VALU_DEP_1)
	v_min_u32_e32 v5, 32, v5
	v_subrev_nc_u32_e32 v7, 29, v5
	v_sub_nc_u32_e32 v5, 30, v5
	s_delay_alu instid0(VALU_DEP_2) | instskip(NEXT) | instid1(VALU_DEP_2)
	v_lshlrev_b32_e32 v1, v7, v1
	v_cndmask_b32_e32 v5, v9, v5, vcc_lo
	s_delay_alu instid0(VALU_DEP_2) | instskip(NEXT) | instid1(VALU_DEP_1)
	v_and_b32_e32 v1, 3, v1
	v_cndmask_b32_e32 v1, v3, v1, vcc_lo
	s_delay_alu instid0(VALU_DEP_3) | instskip(NEXT) | instid1(VALU_DEP_2)
	v_lshl_add_u32 v3, v5, 23, 0x37800000
	v_lshlrev_b32_e32 v1, 21, v1
	s_delay_alu instid0(VALU_DEP_1) | instskip(NEXT) | instid1(VALU_DEP_1)
	v_or3_b32 v0, v0, v3, v1
	v_cvt_i32_f32_e32 v3, v0
.LBB55_2164:
	s_or_b32 exec_lo, exec_lo, s7
	s_mov_b32 s7, 0
	s_branch .LBB55_2170
.LBB55_2165:
	s_mov_b32 s7, -1
                                        ; implicit-def: $vgpr3
	s_branch .LBB55_2176
.LBB55_2166:
	s_and_not1_saveexec_b32 s20, s20
	s_cbranch_execz .LBB55_2151
.LBB55_2167:
	v_cmp_ne_u16_e32 vcc_lo, 0, v0
	s_and_not1_b32 s4, s21, exec_lo
	s_and_b32 s5, vcc_lo, exec_lo
	s_delay_alu instid0(SALU_CYCLE_1)
	s_or_b32 s21, s4, s5
	s_or_b32 exec_lo, exec_lo, s20
	v_mov_b32_e32 v3, 0
	s_and_saveexec_b32 s20, s21
	s_cbranch_execnz .LBB55_2152
	s_branch .LBB55_2153
.LBB55_2168:
	s_mov_b32 s7, -1
                                        ; implicit-def: $vgpr3
	s_branch .LBB55_2173
.LBB55_2169:
	s_mov_b32 s7, -1
                                        ; implicit-def: $vgpr3
.LBB55_2170:
	s_delay_alu instid0(SALU_CYCLE_1)
	s_and_b32 vcc_lo, exec_lo, s7
	s_cbranch_vccz .LBB55_2172
; %bb.2171:
	global_load_u8 v0, v[12:13], off
	s_wait_loadcnt 0x0
	v_lshlrev_b32_e32 v0, 24, v0
	s_delay_alu instid0(VALU_DEP_1) | instskip(NEXT) | instid1(VALU_DEP_1)
	v_and_b32_e32 v1, 0x7f000000, v0
	v_clz_i32_u32_e32 v3, v1
	v_add_nc_u32_e32 v7, 0x1000000, v1
	v_cmp_ne_u32_e32 vcc_lo, 0, v1
	s_delay_alu instid0(VALU_DEP_3) | instskip(NEXT) | instid1(VALU_DEP_1)
	v_min_u32_e32 v3, 32, v3
	v_sub_nc_u32_e64 v3, v3, 4 clamp
	s_delay_alu instid0(VALU_DEP_1) | instskip(NEXT) | instid1(VALU_DEP_1)
	v_dual_lshlrev_b32 v5, v3, v1 :: v_dual_lshlrev_b32 v3, 23, v3
	v_lshrrev_b32_e32 v5, 4, v5
	s_delay_alu instid0(VALU_DEP_1) | instskip(SKIP_1) | instid1(VALU_DEP_2)
	v_sub_nc_u32_e32 v3, v5, v3
	v_ashrrev_i32_e32 v5, 8, v7
	v_add_nc_u32_e32 v3, 0x3c000000, v3
	s_delay_alu instid0(VALU_DEP_1) | instskip(NEXT) | instid1(VALU_DEP_1)
	v_and_or_b32 v3, 0x7f800000, v5, v3
	v_cndmask_b32_e32 v1, 0, v3, vcc_lo
	s_delay_alu instid0(VALU_DEP_1) | instskip(NEXT) | instid1(VALU_DEP_1)
	v_and_or_b32 v0, 0x80000000, v0, v1
	v_cvt_i32_f32_e32 v3, v0
.LBB55_2172:
	s_mov_b32 s7, 0
.LBB55_2173:
	s_delay_alu instid0(SALU_CYCLE_1)
	s_and_not1_b32 vcc_lo, exec_lo, s7
	s_cbranch_vccnz .LBB55_2175
; %bb.2174:
	global_load_u8 v0, v[12:13], off
	s_wait_loadcnt 0x0
	v_lshlrev_b32_e32 v1, 25, v0
	v_lshlrev_b16 v0, 8, v0
	s_delay_alu instid0(VALU_DEP_1) | instskip(SKIP_1) | instid1(VALU_DEP_2)
	v_and_or_b32 v5, 0x7f00, v0, 0.5
	v_bfe_i32 v0, v0, 0, 16
	v_add_f32_e32 v5, -0.5, v5
	v_lshrrev_b32_e32 v3, 4, v1
	v_cmp_gt_u32_e32 vcc_lo, 0x8000000, v1
	s_delay_alu instid0(VALU_DEP_2) | instskip(NEXT) | instid1(VALU_DEP_1)
	v_or_b32_e32 v3, 0x70000000, v3
	v_mul_f32_e32 v3, 0x7800000, v3
	s_delay_alu instid0(VALU_DEP_1) | instskip(NEXT) | instid1(VALU_DEP_1)
	v_cndmask_b32_e32 v1, v3, v5, vcc_lo
	v_and_or_b32 v0, 0x80000000, v0, v1
	s_delay_alu instid0(VALU_DEP_1)
	v_cvt_i32_f32_e32 v3, v0
.LBB55_2175:
	s_mov_b32 s7, 0
	s_mov_b32 s20, -1
.LBB55_2176:
	s_and_not1_b32 vcc_lo, exec_lo, s7
	s_mov_b32 s7, 0
	s_cbranch_vccnz .LBB55_2187
; %bb.2177:
	s_cmp_gt_i32 s6, 14
	s_cbranch_scc0 .LBB55_2180
; %bb.2178:
	s_cmp_eq_u32 s6, 15
	s_cbranch_scc0 .LBB55_2183
; %bb.2179:
	global_load_u16 v0, v[12:13], off
	s_mov_b32 s1, 0
	s_mov_b32 s20, -1
	s_wait_loadcnt 0x0
	v_lshlrev_b32_e32 v0, 16, v0
	s_delay_alu instid0(VALU_DEP_1)
	v_cvt_i32_f32_e32 v3, v0
	s_branch .LBB55_2185
.LBB55_2180:
	s_mov_b32 s7, -1
	s_branch .LBB55_2184
.LBB55_2181:
	s_and_not1_saveexec_b32 s7, s7
	s_cbranch_execz .LBB55_2162
.LBB55_2182:
	v_cmp_ne_u16_e32 vcc_lo, 0, v0
	s_and_not1_b32 s4, s20, exec_lo
	s_and_b32 s5, vcc_lo, exec_lo
	s_delay_alu instid0(SALU_CYCLE_1)
	s_or_b32 s20, s4, s5
	s_or_b32 exec_lo, exec_lo, s7
	v_mov_b32_e32 v3, 0
	s_and_saveexec_b32 s7, s20
	s_cbranch_execnz .LBB55_2163
	s_branch .LBB55_2164
.LBB55_2183:
	s_mov_b32 s1, -1
.LBB55_2184:
                                        ; implicit-def: $vgpr3
.LBB55_2185:
	s_and_b32 vcc_lo, exec_lo, s7
	s_mov_b32 s7, 0
	s_cbranch_vccz .LBB55_2187
; %bb.2186:
	s_cmp_lg_u32 s6, 11
	s_mov_b32 s7, -1
	s_cselect_b32 s4, -1, 0
	s_and_not1_b32 s1, s1, exec_lo
	s_and_b32 s4, s4, exec_lo
	s_delay_alu instid0(SALU_CYCLE_1)
	s_or_b32 s1, s1, s4
.LBB55_2187:
	s_mov_b32 s6, 0
.LBB55_2188:
	s_and_not1_b32 s4, s28, exec_lo
	s_and_b32 s1, s1, exec_lo
	s_and_b32 s38, s20, exec_lo
	;; [unrolled: 1-line block ×4, first 2 shown]
	s_or_b32 s39, s4, s1
.LBB55_2189:
	s_wait_xcnt 0x0
	s_or_b32 exec_lo, exec_lo, s66
	s_delay_alu instid0(SALU_CYCLE_1)
	s_and_not1_b32 s1, s28, exec_lo
	s_and_b32 s4, s39, exec_lo
	s_and_b32 s38, s38, exec_lo
	;; [unrolled: 1-line block ×4, first 2 shown]
	s_or_b32 s28, s1, s4
.LBB55_2190:
	s_or_b32 exec_lo, exec_lo, s65
	s_delay_alu instid0(SALU_CYCLE_1)
	s_and_not1_b32 s1, s99, exec_lo
	s_and_b32 s4, s64, exec_lo
	s_and_not1_b32 s5, s101, exec_lo
	s_or_b32 s99, s1, s4
	s_and_not1_b32 s1, s100, exec_lo
	s_and_b32 s4, s61, exec_lo
	s_and_b32 s6, s63, exec_lo
	s_or_b32 s100, s1, s4
	s_and_not1_b32 s1, s97, exec_lo
	s_and_b32 s4, s60, exec_lo
	s_or_b32 s101, s5, s6
	s_and_not1_b32 s5, s98, exec_lo
	;; [unrolled: 3-line block ×7, first 2 shown]
	s_and_b32 s4, s28, exec_lo
	s_or_b32 s94, s5, s6
	s_and_b32 s31, s38, exec_lo
	s_and_b32 s30, s37, exec_lo
	;; [unrolled: 1-line block ×3, first 2 shown]
	s_or_b32 s92, s1, s4
.LBB55_2191:
	s_or_b32 exec_lo, exec_lo, s104
	s_delay_alu instid0(SALU_CYCLE_1)
	s_and_not1_b32 s1, s45, exec_lo
	s_and_b32 s4, s99, exec_lo
	s_and_not1_b32 s5, s69, exec_lo
	s_or_b32 s45, s1, s4
	s_and_not1_b32 s1, s68, exec_lo
	s_and_b32 s4, s100, exec_lo
	s_and_b32 s6, s101, exec_lo
	s_or_b32 s68, s1, s4
	s_and_not1_b32 s1, s84, exec_lo
	s_and_b32 s4, s97, exec_lo
	s_or_b32 s69, s5, s6
	s_and_not1_b32 s5, s85, exec_lo
	;; [unrolled: 3-line block ×7, first 2 shown]
	s_and_b32 s4, s92, exec_lo
	s_or_b32 s89, s5, s6
	s_and_b32 s28, s31, exec_lo
	s_and_b32 s30, s30, exec_lo
	;; [unrolled: 1-line block ×3, first 2 shown]
	s_or_b32 s90, s1, s4
	s_or_b32 exec_lo, exec_lo, s91
	s_mov_b32 s1, 0
	s_and_saveexec_b32 s6, s90
	s_cbranch_execz .LBB55_660
.LBB55_2192:
	s_mov_b32 s1, exec_lo
	s_and_not1_b32 s53, s53, exec_lo
	s_trap 2
	s_or_b32 exec_lo, exec_lo, s6
	s_and_saveexec_b32 s4, s53
	s_delay_alu instid0(SALU_CYCLE_1)
	s_xor_b32 s6, exec_lo, s4
	s_cbranch_execnz .LBB55_661
.LBB55_2193:
	s_or_b32 exec_lo, exec_lo, s6
	s_and_saveexec_b32 s6, s30
	s_cbranch_execz .LBB55_2239
.LBB55_2194:
	s_sext_i32_i16 s7, s0
	s_delay_alu instid0(SALU_CYCLE_1)
	s_cmp_lt_i32 s7, 5
	s_cbranch_scc1 .LBB55_2199
; %bb.2195:
	s_cmp_lt_i32 s7, 8
	s_cbranch_scc1 .LBB55_2200
; %bb.2196:
	;; [unrolled: 3-line block ×3, first 2 shown]
	s_cmp_gt_i32 s7, 9
	s_cbranch_scc0 .LBB55_2202
; %bb.2198:
	s_wait_loadcnt 0x0
	global_load_b64 v[0:1], v[12:13], off
	s_mov_b32 s7, 0
	s_wait_loadcnt 0x0
	v_cvt_i32_f64_e32 v3, v[0:1]
	s_branch .LBB55_2203
.LBB55_2199:
                                        ; implicit-def: $vgpr3
	s_branch .LBB55_2220
.LBB55_2200:
                                        ; implicit-def: $vgpr3
	s_branch .LBB55_2209
.LBB55_2201:
	s_mov_b32 s7, -1
                                        ; implicit-def: $vgpr3
	s_branch .LBB55_2206
.LBB55_2202:
	s_mov_b32 s7, -1
                                        ; implicit-def: $vgpr3
.LBB55_2203:
	s_delay_alu instid0(SALU_CYCLE_1)
	s_and_not1_b32 vcc_lo, exec_lo, s7
	s_cbranch_vccnz .LBB55_2205
; %bb.2204:
	global_load_b32 v0, v[12:13], off
	s_wait_loadcnt 0x0
	v_cvt_i32_f32_e32 v3, v0
.LBB55_2205:
	s_mov_b32 s7, 0
.LBB55_2206:
	s_delay_alu instid0(SALU_CYCLE_1)
	s_and_not1_b32 vcc_lo, exec_lo, s7
	s_cbranch_vccnz .LBB55_2208
; %bb.2207:
	global_load_b32 v0, v[12:13], off
	s_wait_loadcnt 0x0
	v_cvt_f32_f16_e32 v0, v0
	s_delay_alu instid0(VALU_DEP_1)
	v_cvt_i32_f32_e32 v3, v0
.LBB55_2208:
	s_cbranch_execnz .LBB55_2219
.LBB55_2209:
	s_sext_i32_i16 s7, s0
	s_delay_alu instid0(SALU_CYCLE_1)
	s_cmp_lt_i32 s7, 6
	s_cbranch_scc1 .LBB55_2212
; %bb.2210:
	s_cmp_gt_i32 s7, 6
	s_cbranch_scc0 .LBB55_2213
; %bb.2211:
	s_wait_loadcnt 0x0
	global_load_b64 v[0:1], v[12:13], off
	s_mov_b32 s7, 0
	s_wait_loadcnt 0x0
	v_cvt_i32_f64_e32 v3, v[0:1]
	s_branch .LBB55_2214
.LBB55_2212:
	s_mov_b32 s7, -1
                                        ; implicit-def: $vgpr3
	s_branch .LBB55_2217
.LBB55_2213:
	s_mov_b32 s7, -1
                                        ; implicit-def: $vgpr3
.LBB55_2214:
	s_delay_alu instid0(SALU_CYCLE_1)
	s_and_not1_b32 vcc_lo, exec_lo, s7
	s_cbranch_vccnz .LBB55_2216
; %bb.2215:
	global_load_b32 v0, v[12:13], off
	s_wait_loadcnt 0x0
	v_cvt_i32_f32_e32 v3, v0
.LBB55_2216:
	s_mov_b32 s7, 0
.LBB55_2217:
	s_delay_alu instid0(SALU_CYCLE_1)
	s_and_not1_b32 vcc_lo, exec_lo, s7
	s_cbranch_vccnz .LBB55_2219
; %bb.2218:
	global_load_u16 v0, v[12:13], off
	s_wait_loadcnt 0x0
	v_cvt_f32_f16_e32 v0, v0
	s_delay_alu instid0(VALU_DEP_1)
	v_cvt_i32_f32_e32 v3, v0
.LBB55_2219:
	s_cbranch_execnz .LBB55_2238
.LBB55_2220:
	s_sext_i32_i16 s7, s0
	s_delay_alu instid0(SALU_CYCLE_1)
	s_cmp_lt_i32 s7, 2
	s_cbranch_scc1 .LBB55_2224
; %bb.2221:
	s_cmp_lt_i32 s7, 3
	s_cbranch_scc1 .LBB55_2225
; %bb.2222:
	s_cmp_gt_i32 s7, 3
	s_cbranch_scc0 .LBB55_2226
; %bb.2223:
	s_wait_loadcnt 0x0
	global_load_b32 v3, v[12:13], off
	s_mov_b32 s7, 0
	s_branch .LBB55_2227
.LBB55_2224:
                                        ; implicit-def: $vgpr3
	s_branch .LBB55_2233
.LBB55_2225:
	s_mov_b32 s7, -1
                                        ; implicit-def: $vgpr3
	s_branch .LBB55_2230
.LBB55_2226:
	s_mov_b32 s7, -1
                                        ; implicit-def: $vgpr3
.LBB55_2227:
	s_delay_alu instid0(SALU_CYCLE_1)
	s_and_not1_b32 vcc_lo, exec_lo, s7
	s_cbranch_vccnz .LBB55_2229
; %bb.2228:
	s_wait_loadcnt 0x0
	global_load_b32 v3, v[12:13], off
.LBB55_2229:
	s_mov_b32 s7, 0
.LBB55_2230:
	s_delay_alu instid0(SALU_CYCLE_1)
	s_and_not1_b32 vcc_lo, exec_lo, s7
	s_cbranch_vccnz .LBB55_2232
; %bb.2231:
	s_wait_loadcnt 0x0
	global_load_i16 v3, v[12:13], off
.LBB55_2232:
	s_cbranch_execnz .LBB55_2238
.LBB55_2233:
	s_sext_i32_i16 s0, s0
	s_delay_alu instid0(SALU_CYCLE_1)
	s_cmp_gt_i32 s0, 0
	s_mov_b32 s0, 0
	s_cbranch_scc0 .LBB55_2235
; %bb.2234:
	s_wait_loadcnt 0x0
	global_load_i8 v3, v[12:13], off
	s_branch .LBB55_2236
.LBB55_2235:
	s_mov_b32 s0, -1
                                        ; implicit-def: $vgpr3
.LBB55_2236:
	s_delay_alu instid0(SALU_CYCLE_1)
	s_and_not1_b32 vcc_lo, exec_lo, s0
	s_cbranch_vccnz .LBB55_2238
; %bb.2237:
	s_wait_loadcnt 0x0
	global_load_u8 v3, v[12:13], off
.LBB55_2238:
	s_or_b32 s28, s28, exec_lo
.LBB55_2239:
	s_wait_xcnt 0x0
	s_or_b32 exec_lo, exec_lo, s6
	s_mov_b32 s7, 0
	s_mov_b32 s21, 0
	;; [unrolled: 1-line block ×3, first 2 shown]
                                        ; implicit-def: $sgpr0
                                        ; implicit-def: $vgpr0_vgpr1
                                        ; implicit-def: $vgpr12
	s_and_saveexec_b32 s6, s28
	s_cbranch_execz .LBB55_2247
; %bb.2240:
	s_load_b256 s[20:27], s[2:3], 0x248
	v_mov_b32_e32 v11, 0
	s_and_b32 s0, s75, 0xff
	s_delay_alu instid0(SALU_CYCLE_1)
	s_cmp_lt_i32 s0, 11
	s_wait_loadcnt 0x0
	s_wait_kmcnt 0x0
	v_add_nc_u64_e32 v[0:1], s[24:25], v[10:11]
	s_cbranch_scc1 .LBB55_2250
; %bb.2241:
	s_and_b32 s8, 0xffff, s0
	s_mov_b32 s9, 0
	s_cmp_gt_i32 s8, 25
	s_cbranch_scc0 .LBB55_2251
; %bb.2242:
	s_cmp_gt_i32 s8, 28
	s_cbranch_scc0 .LBB55_2252
; %bb.2243:
	;; [unrolled: 3-line block ×4, first 2 shown]
	s_cmp_eq_u32 s8, 46
	s_mov_b32 s21, 0
	s_cbranch_scc0 .LBB55_2255
; %bb.2246:
	global_load_b32 v5, v[0:1], off
	s_mov_b32 s20, -1
	s_wait_loadcnt 0x0
	v_lshlrev_b32_e32 v5, 16, v5
	s_delay_alu instid0(VALU_DEP_1)
	v_cvt_i32_f32_e32 v12, v5
	s_branch .LBB55_2257
.LBB55_2247:
	s_or_b32 exec_lo, exec_lo, s6
	s_and_saveexec_b32 s6, s89
	s_cbranch_execnz .LBB55_2316
.LBB55_2248:
	s_or_b32 exec_lo, exec_lo, s6
	s_and_saveexec_b32 s4, s7
	s_delay_alu instid0(SALU_CYCLE_1)
	s_xor_b32 s6, exec_lo, s4
	s_cbranch_execz .LBB55_2317
.LBB55_2249:
	s_wait_loadcnt 0x0
	global_load_u8 v5, v[0:1], off
	s_or_b32 s20, s20, exec_lo
	s_wait_loadcnt 0x0
	v_cmp_ne_u16_e32 vcc_lo, 0, v5
	v_cndmask_b32_e64 v12, 0, 1, vcc_lo
	s_wait_xcnt 0x0
	s_or_b32 exec_lo, exec_lo, s6
	s_and_saveexec_b32 s6, s21
	s_cbranch_execz .LBB55_2363
	s_branch .LBB55_2318
.LBB55_2250:
	s_mov_b32 s8, -1
	s_mov_b32 s20, 0
	s_mov_b32 s9, 0
	;; [unrolled: 1-line block ×3, first 2 shown]
                                        ; implicit-def: $vgpr12
	s_branch .LBB55_2315
.LBB55_2251:
	s_mov_b32 s20, 0
	s_mov_b32 s7, s89
                                        ; implicit-def: $vgpr12
	s_cbranch_execnz .LBB55_2284
	s_branch .LBB55_2314
.LBB55_2252:
	s_mov_b32 s21, -1
	s_mov_b32 s20, 0
	s_mov_b32 s7, s89
                                        ; implicit-def: $vgpr12
	s_branch .LBB55_2267
.LBB55_2253:
	s_mov_b32 s21, -1
	s_mov_b32 s20, 0
	s_mov_b32 s7, s89
                                        ; implicit-def: $vgpr12
	s_branch .LBB55_2262
.LBB55_2254:
	s_mov_b32 s21, -1
	s_mov_b32 s20, 0
	s_mov_b32 s7, s89
	s_branch .LBB55_2256
.LBB55_2255:
	s_mov_b32 s7, -1
	s_mov_b32 s20, 0
.LBB55_2256:
                                        ; implicit-def: $vgpr12
.LBB55_2257:
	s_and_b32 vcc_lo, exec_lo, s21
	s_cbranch_vccz .LBB55_2261
; %bb.2258:
	s_cmp_eq_u32 s8, 44
	s_cbranch_scc0 .LBB55_2260
; %bb.2259:
	global_load_u8 v5, v[0:1], off
	s_mov_b32 s7, 0
	s_mov_b32 s20, -1
	s_wait_loadcnt 0x0
	v_lshlrev_b32_e32 v7, 23, v5
	v_cmp_ne_u32_e32 vcc_lo, 0, v5
	s_delay_alu instid0(VALU_DEP_2) | instskip(NEXT) | instid1(VALU_DEP_1)
	v_cvt_i32_f32_e32 v7, v7
	v_cndmask_b32_e32 v12, 0, v7, vcc_lo
	s_branch .LBB55_2261
.LBB55_2260:
	s_mov_b32 s7, -1
                                        ; implicit-def: $vgpr12
.LBB55_2261:
	s_mov_b32 s21, 0
.LBB55_2262:
	s_delay_alu instid0(SALU_CYCLE_1)
	s_and_b32 vcc_lo, exec_lo, s21
	s_cbranch_vccz .LBB55_2266
; %bb.2263:
	s_cmp_eq_u32 s8, 29
	s_cbranch_scc0 .LBB55_2265
; %bb.2264:
	global_load_b32 v12, v[0:1], off
	s_mov_b32 s7, 0
	s_mov_b32 s20, -1
	s_branch .LBB55_2266
.LBB55_2265:
	s_mov_b32 s7, -1
                                        ; implicit-def: $vgpr12
.LBB55_2266:
	s_mov_b32 s21, 0
.LBB55_2267:
	s_delay_alu instid0(SALU_CYCLE_1)
	s_and_b32 vcc_lo, exec_lo, s21
	s_cbranch_vccz .LBB55_2283
; %bb.2268:
	s_cmp_lt_i32 s8, 27
	s_cbranch_scc1 .LBB55_2271
; %bb.2269:
	s_cmp_gt_i32 s8, 27
	s_cbranch_scc0 .LBB55_2272
; %bb.2270:
	s_wait_loadcnt 0x0
	global_load_b32 v12, v[0:1], off
	s_mov_b32 s20, 0
	s_branch .LBB55_2273
.LBB55_2271:
	s_mov_b32 s20, -1
                                        ; implicit-def: $vgpr12
	s_branch .LBB55_2276
.LBB55_2272:
	s_mov_b32 s20, -1
                                        ; implicit-def: $vgpr12
.LBB55_2273:
	s_delay_alu instid0(SALU_CYCLE_1)
	s_and_not1_b32 vcc_lo, exec_lo, s20
	s_cbranch_vccnz .LBB55_2275
; %bb.2274:
	s_wait_loadcnt 0x0
	global_load_u16 v12, v[0:1], off
.LBB55_2275:
	s_mov_b32 s20, 0
.LBB55_2276:
	s_delay_alu instid0(SALU_CYCLE_1)
	s_and_not1_b32 vcc_lo, exec_lo, s20
	s_cbranch_vccnz .LBB55_2282
; %bb.2277:
	global_load_u8 v5, v[0:1], off
	s_mov_b32 s21, 0
	s_mov_b32 s4, exec_lo
	s_wait_loadcnt 0x0
	v_cmpx_lt_i16_e32 0x7f, v5
	s_xor_b32 s20, exec_lo, s4
	s_cbranch_execz .LBB55_2293
; %bb.2278:
	v_cmp_ne_u16_e32 vcc_lo, 0x80, v5
	s_and_b32 s21, vcc_lo, exec_lo
	s_and_not1_saveexec_b32 s20, s20
	s_cbranch_execnz .LBB55_2294
.LBB55_2279:
	s_or_b32 exec_lo, exec_lo, s20
	v_mov_b32_e32 v12, 0
	s_and_saveexec_b32 s20, s21
	s_cbranch_execz .LBB55_2281
.LBB55_2280:
	v_and_b32_e32 v7, 0xffff, v5
	s_delay_alu instid0(VALU_DEP_1) | instskip(SKIP_1) | instid1(VALU_DEP_2)
	v_and_b32_e32 v9, 7, v7
	v_bfe_u32 v12, v7, 3, 4
	v_clz_i32_u32_e32 v10, v9
	s_delay_alu instid0(VALU_DEP_2) | instskip(NEXT) | instid1(VALU_DEP_2)
	v_cmp_eq_u32_e32 vcc_lo, 0, v12
	v_min_u32_e32 v10, 32, v10
	s_delay_alu instid0(VALU_DEP_1) | instskip(NEXT) | instid1(VALU_DEP_1)
	v_subrev_nc_u32_e32 v11, 28, v10
	v_dual_lshlrev_b32 v7, v11, v7 :: v_dual_sub_nc_u32 v10, 29, v10
	s_delay_alu instid0(VALU_DEP_1) | instskip(NEXT) | instid1(VALU_DEP_1)
	v_dual_lshlrev_b32 v5, 24, v5 :: v_dual_bitop2_b32 v7, 7, v7 bitop3:0x40
	v_dual_cndmask_b32 v10, v12, v10 :: v_dual_cndmask_b32 v7, v9, v7
	s_delay_alu instid0(VALU_DEP_2) | instskip(NEXT) | instid1(VALU_DEP_2)
	v_and_b32_e32 v5, 0x80000000, v5
	v_lshl_add_u32 v9, v10, 23, 0x3b800000
	s_delay_alu instid0(VALU_DEP_3) | instskip(NEXT) | instid1(VALU_DEP_1)
	v_lshlrev_b32_e32 v7, 20, v7
	v_or3_b32 v5, v5, v9, v7
	s_delay_alu instid0(VALU_DEP_1)
	v_cvt_i32_f32_e32 v12, v5
.LBB55_2281:
	s_or_b32 exec_lo, exec_lo, s20
.LBB55_2282:
	s_mov_b32 s20, -1
.LBB55_2283:
	s_branch .LBB55_2314
.LBB55_2284:
	s_cmp_gt_i32 s8, 22
	s_cbranch_scc0 .LBB55_2292
; %bb.2285:
	s_cmp_lt_i32 s8, 24
	s_cbranch_scc1 .LBB55_2295
; %bb.2286:
	s_cmp_gt_i32 s8, 24
	s_cbranch_scc0 .LBB55_2296
; %bb.2287:
	global_load_u8 v5, v[0:1], off
	s_mov_b32 s20, 0
	s_mov_b32 s4, exec_lo
	s_wait_loadcnt 0x0
	v_cmpx_lt_i16_e32 0x7f, v5
	s_xor_b32 s9, exec_lo, s4
	s_cbranch_execz .LBB55_2308
; %bb.2288:
	v_cmp_ne_u16_e32 vcc_lo, 0x80, v5
	s_and_b32 s20, vcc_lo, exec_lo
	s_and_not1_saveexec_b32 s9, s9
	s_cbranch_execnz .LBB55_2309
.LBB55_2289:
	s_or_b32 exec_lo, exec_lo, s9
	v_mov_b32_e32 v12, 0
	s_and_saveexec_b32 s9, s20
	s_cbranch_execz .LBB55_2291
.LBB55_2290:
	v_and_b32_e32 v7, 0xffff, v5
	s_delay_alu instid0(VALU_DEP_1) | instskip(SKIP_1) | instid1(VALU_DEP_2)
	v_and_b32_e32 v9, 3, v7
	v_bfe_u32 v12, v7, 2, 5
	v_clz_i32_u32_e32 v10, v9
	s_delay_alu instid0(VALU_DEP_2) | instskip(NEXT) | instid1(VALU_DEP_2)
	v_cmp_eq_u32_e32 vcc_lo, 0, v12
	v_min_u32_e32 v10, 32, v10
	s_delay_alu instid0(VALU_DEP_1) | instskip(NEXT) | instid1(VALU_DEP_1)
	v_subrev_nc_u32_e32 v11, 29, v10
	v_dual_lshlrev_b32 v7, v11, v7 :: v_dual_sub_nc_u32 v10, 30, v10
	s_delay_alu instid0(VALU_DEP_1) | instskip(NEXT) | instid1(VALU_DEP_1)
	v_dual_lshlrev_b32 v5, 24, v5 :: v_dual_bitop2_b32 v7, 3, v7 bitop3:0x40
	v_dual_cndmask_b32 v10, v12, v10 :: v_dual_cndmask_b32 v7, v9, v7
	s_delay_alu instid0(VALU_DEP_2) | instskip(NEXT) | instid1(VALU_DEP_2)
	v_and_b32_e32 v5, 0x80000000, v5
	v_lshl_add_u32 v9, v10, 23, 0x37800000
	s_delay_alu instid0(VALU_DEP_3) | instskip(NEXT) | instid1(VALU_DEP_1)
	v_lshlrev_b32_e32 v7, 21, v7
	v_or3_b32 v5, v5, v9, v7
	s_delay_alu instid0(VALU_DEP_1)
	v_cvt_i32_f32_e32 v12, v5
.LBB55_2291:
	s_or_b32 exec_lo, exec_lo, s9
	s_mov_b32 s9, 0
	s_branch .LBB55_2297
.LBB55_2292:
	s_mov_b32 s9, -1
                                        ; implicit-def: $vgpr12
	s_branch .LBB55_2303
.LBB55_2293:
	s_and_not1_saveexec_b32 s20, s20
	s_cbranch_execz .LBB55_2279
.LBB55_2294:
	v_cmp_ne_u16_e32 vcc_lo, 0, v5
	s_and_not1_b32 s4, s21, exec_lo
	s_and_b32 s5, vcc_lo, exec_lo
	s_delay_alu instid0(SALU_CYCLE_1)
	s_or_b32 s21, s4, s5
	s_or_b32 exec_lo, exec_lo, s20
	v_mov_b32_e32 v12, 0
	s_and_saveexec_b32 s20, s21
	s_cbranch_execnz .LBB55_2280
	s_branch .LBB55_2281
.LBB55_2295:
	s_mov_b32 s9, -1
                                        ; implicit-def: $vgpr12
	s_branch .LBB55_2300
.LBB55_2296:
	s_mov_b32 s9, -1
                                        ; implicit-def: $vgpr12
.LBB55_2297:
	s_delay_alu instid0(SALU_CYCLE_1)
	s_and_b32 vcc_lo, exec_lo, s9
	s_cbranch_vccz .LBB55_2299
; %bb.2298:
	global_load_u8 v5, v[0:1], off
	s_wait_loadcnt 0x0
	v_lshlrev_b32_e32 v5, 24, v5
	s_delay_alu instid0(VALU_DEP_1) | instskip(NEXT) | instid1(VALU_DEP_1)
	v_and_b32_e32 v7, 0x7f000000, v5
	v_clz_i32_u32_e32 v9, v7
	v_add_nc_u32_e32 v11, 0x1000000, v7
	v_cmp_ne_u32_e32 vcc_lo, 0, v7
	s_delay_alu instid0(VALU_DEP_3) | instskip(NEXT) | instid1(VALU_DEP_1)
	v_min_u32_e32 v9, 32, v9
	v_sub_nc_u32_e64 v9, v9, 4 clamp
	s_delay_alu instid0(VALU_DEP_1) | instskip(NEXT) | instid1(VALU_DEP_1)
	v_dual_lshlrev_b32 v10, v9, v7 :: v_dual_lshlrev_b32 v9, 23, v9
	v_lshrrev_b32_e32 v10, 4, v10
	s_delay_alu instid0(VALU_DEP_1) | instskip(NEXT) | instid1(VALU_DEP_1)
	v_dual_sub_nc_u32 v9, v10, v9 :: v_dual_ashrrev_i32 v10, 8, v11
	v_add_nc_u32_e32 v9, 0x3c000000, v9
	s_delay_alu instid0(VALU_DEP_1) | instskip(NEXT) | instid1(VALU_DEP_1)
	v_and_or_b32 v9, 0x7f800000, v10, v9
	v_cndmask_b32_e32 v7, 0, v9, vcc_lo
	s_delay_alu instid0(VALU_DEP_1) | instskip(NEXT) | instid1(VALU_DEP_1)
	v_and_or_b32 v5, 0x80000000, v5, v7
	v_cvt_i32_f32_e32 v12, v5
.LBB55_2299:
	s_mov_b32 s9, 0
.LBB55_2300:
	s_delay_alu instid0(SALU_CYCLE_1)
	s_and_not1_b32 vcc_lo, exec_lo, s9
	s_cbranch_vccnz .LBB55_2302
; %bb.2301:
	global_load_u8 v5, v[0:1], off
	s_wait_loadcnt 0x0
	v_lshlrev_b32_e32 v7, 25, v5
	v_lshlrev_b16 v5, 8, v5
	s_delay_alu instid0(VALU_DEP_1) | instskip(SKIP_1) | instid1(VALU_DEP_2)
	v_and_or_b32 v10, 0x7f00, v5, 0.5
	v_bfe_i32 v5, v5, 0, 16
	v_dual_add_f32 v10, -0.5, v10 :: v_dual_lshrrev_b32 v9, 4, v7
	v_cmp_gt_u32_e32 vcc_lo, 0x8000000, v7
	s_delay_alu instid0(VALU_DEP_2) | instskip(NEXT) | instid1(VALU_DEP_1)
	v_or_b32_e32 v9, 0x70000000, v9
	v_mul_f32_e32 v9, 0x7800000, v9
	s_delay_alu instid0(VALU_DEP_1) | instskip(NEXT) | instid1(VALU_DEP_1)
	v_cndmask_b32_e32 v7, v9, v10, vcc_lo
	v_and_or_b32 v5, 0x80000000, v5, v7
	s_delay_alu instid0(VALU_DEP_1)
	v_cvt_i32_f32_e32 v12, v5
.LBB55_2302:
	s_mov_b32 s9, 0
	s_mov_b32 s20, -1
.LBB55_2303:
	s_and_not1_b32 vcc_lo, exec_lo, s9
	s_mov_b32 s9, 0
	s_cbranch_vccnz .LBB55_2314
; %bb.2304:
	s_cmp_gt_i32 s8, 14
	s_cbranch_scc0 .LBB55_2307
; %bb.2305:
	s_cmp_eq_u32 s8, 15
	s_cbranch_scc0 .LBB55_2310
; %bb.2306:
	global_load_u16 v5, v[0:1], off
	s_mov_b32 s7, 0
	s_mov_b32 s20, -1
	s_wait_loadcnt 0x0
	v_lshlrev_b32_e32 v5, 16, v5
	s_delay_alu instid0(VALU_DEP_1)
	v_cvt_i32_f32_e32 v12, v5
	s_branch .LBB55_2312
.LBB55_2307:
	s_mov_b32 s9, -1
	s_branch .LBB55_2311
.LBB55_2308:
	s_and_not1_saveexec_b32 s9, s9
	s_cbranch_execz .LBB55_2289
.LBB55_2309:
	v_cmp_ne_u16_e32 vcc_lo, 0, v5
	s_and_not1_b32 s4, s20, exec_lo
	s_and_b32 s5, vcc_lo, exec_lo
	s_delay_alu instid0(SALU_CYCLE_1)
	s_or_b32 s20, s4, s5
	s_or_b32 exec_lo, exec_lo, s9
	v_mov_b32_e32 v12, 0
	s_and_saveexec_b32 s9, s20
	s_cbranch_execnz .LBB55_2290
	s_branch .LBB55_2291
.LBB55_2310:
	s_mov_b32 s7, -1
.LBB55_2311:
                                        ; implicit-def: $vgpr12
.LBB55_2312:
	s_and_b32 vcc_lo, exec_lo, s9
	s_mov_b32 s9, 0
	s_cbranch_vccz .LBB55_2314
; %bb.2313:
	s_cmp_lg_u32 s8, 11
	s_mov_b32 s9, -1
	s_cselect_b32 s4, -1, 0
	s_and_not1_b32 s5, s7, exec_lo
	s_and_b32 s4, s4, exec_lo
	s_delay_alu instid0(SALU_CYCLE_1)
	s_or_b32 s7, s5, s4
.LBB55_2314:
	s_mov_b32 s8, 0
.LBB55_2315:
	s_and_not1_b32 s4, s89, exec_lo
	s_and_b32 s5, s7, exec_lo
	s_and_b32 s20, s20, exec_lo
	;; [unrolled: 1-line block ×4, first 2 shown]
	s_or_b32 s89, s4, s5
	s_wait_xcnt 0x0
	s_or_b32 exec_lo, exec_lo, s6
	s_and_saveexec_b32 s6, s89
	s_cbranch_execz .LBB55_2248
.LBB55_2316:
	s_or_b32 s1, s1, exec_lo
	s_and_not1_b32 s7, s7, exec_lo
	s_trap 2
	s_or_b32 exec_lo, exec_lo, s6
	s_and_saveexec_b32 s4, s7
	s_delay_alu instid0(SALU_CYCLE_1)
	s_xor_b32 s6, exec_lo, s4
	s_cbranch_execnz .LBB55_2249
.LBB55_2317:
	s_or_b32 exec_lo, exec_lo, s6
	s_and_saveexec_b32 s6, s21
	s_cbranch_execz .LBB55_2363
.LBB55_2318:
	s_sext_i32_i16 s7, s0
	s_delay_alu instid0(SALU_CYCLE_1)
	s_cmp_lt_i32 s7, 5
	s_cbranch_scc1 .LBB55_2323
; %bb.2319:
	s_cmp_lt_i32 s7, 8
	s_cbranch_scc1 .LBB55_2324
; %bb.2320:
	;; [unrolled: 3-line block ×3, first 2 shown]
	s_cmp_gt_i32 s7, 9
	s_cbranch_scc0 .LBB55_2326
; %bb.2322:
	s_wait_loadcnt 0x0
	global_load_b64 v[10:11], v[0:1], off
	s_mov_b32 s7, 0
	s_wait_loadcnt 0x0
	v_cvt_i32_f64_e32 v12, v[10:11]
	s_branch .LBB55_2327
.LBB55_2323:
                                        ; implicit-def: $vgpr12
	s_branch .LBB55_2344
.LBB55_2324:
                                        ; implicit-def: $vgpr12
	s_branch .LBB55_2333
.LBB55_2325:
	s_mov_b32 s7, -1
                                        ; implicit-def: $vgpr12
	s_branch .LBB55_2330
.LBB55_2326:
	s_mov_b32 s7, -1
                                        ; implicit-def: $vgpr12
.LBB55_2327:
	s_delay_alu instid0(SALU_CYCLE_1)
	s_and_not1_b32 vcc_lo, exec_lo, s7
	s_cbranch_vccnz .LBB55_2329
; %bb.2328:
	s_wait_loadcnt 0x0
	global_load_b32 v5, v[0:1], off
	s_wait_loadcnt 0x0
	v_cvt_i32_f32_e32 v12, v5
.LBB55_2329:
	s_mov_b32 s7, 0
.LBB55_2330:
	s_delay_alu instid0(SALU_CYCLE_1)
	s_and_not1_b32 vcc_lo, exec_lo, s7
	s_cbranch_vccnz .LBB55_2332
; %bb.2331:
	s_wait_loadcnt 0x0
	global_load_b32 v5, v[0:1], off
	s_wait_loadcnt 0x0
	v_cvt_f32_f16_e32 v5, v5
	s_delay_alu instid0(VALU_DEP_1)
	v_cvt_i32_f32_e32 v12, v5
.LBB55_2332:
	s_cbranch_execnz .LBB55_2343
.LBB55_2333:
	s_sext_i32_i16 s7, s0
	s_delay_alu instid0(SALU_CYCLE_1)
	s_cmp_lt_i32 s7, 6
	s_cbranch_scc1 .LBB55_2336
; %bb.2334:
	s_cmp_gt_i32 s7, 6
	s_cbranch_scc0 .LBB55_2337
; %bb.2335:
	s_wait_loadcnt 0x0
	global_load_b64 v[10:11], v[0:1], off
	s_mov_b32 s7, 0
	s_wait_loadcnt 0x0
	v_cvt_i32_f64_e32 v12, v[10:11]
	s_branch .LBB55_2338
.LBB55_2336:
	s_mov_b32 s7, -1
                                        ; implicit-def: $vgpr12
	s_branch .LBB55_2341
.LBB55_2337:
	s_mov_b32 s7, -1
                                        ; implicit-def: $vgpr12
.LBB55_2338:
	s_delay_alu instid0(SALU_CYCLE_1)
	s_and_not1_b32 vcc_lo, exec_lo, s7
	s_cbranch_vccnz .LBB55_2340
; %bb.2339:
	s_wait_loadcnt 0x0
	global_load_b32 v5, v[0:1], off
	s_wait_loadcnt 0x0
	v_cvt_i32_f32_e32 v12, v5
.LBB55_2340:
	s_mov_b32 s7, 0
.LBB55_2341:
	s_delay_alu instid0(SALU_CYCLE_1)
	s_and_not1_b32 vcc_lo, exec_lo, s7
	s_cbranch_vccnz .LBB55_2343
; %bb.2342:
	s_wait_loadcnt 0x0
	global_load_u16 v5, v[0:1], off
	s_wait_loadcnt 0x0
	v_cvt_f32_f16_e32 v5, v5
	s_delay_alu instid0(VALU_DEP_1)
	v_cvt_i32_f32_e32 v12, v5
.LBB55_2343:
	s_cbranch_execnz .LBB55_2362
.LBB55_2344:
	s_sext_i32_i16 s7, s0
	s_delay_alu instid0(SALU_CYCLE_1)
	s_cmp_lt_i32 s7, 2
	s_cbranch_scc1 .LBB55_2348
; %bb.2345:
	s_cmp_lt_i32 s7, 3
	s_cbranch_scc1 .LBB55_2349
; %bb.2346:
	s_cmp_gt_i32 s7, 3
	s_cbranch_scc0 .LBB55_2350
; %bb.2347:
	s_wait_loadcnt 0x0
	global_load_b32 v12, v[0:1], off
	s_mov_b32 s7, 0
	s_branch .LBB55_2351
.LBB55_2348:
                                        ; implicit-def: $vgpr12
	s_branch .LBB55_2357
.LBB55_2349:
	s_mov_b32 s7, -1
                                        ; implicit-def: $vgpr12
	s_branch .LBB55_2354
.LBB55_2350:
	s_mov_b32 s7, -1
                                        ; implicit-def: $vgpr12
.LBB55_2351:
	s_delay_alu instid0(SALU_CYCLE_1)
	s_and_not1_b32 vcc_lo, exec_lo, s7
	s_cbranch_vccnz .LBB55_2353
; %bb.2352:
	s_wait_loadcnt 0x0
	global_load_b32 v12, v[0:1], off
.LBB55_2353:
	s_mov_b32 s7, 0
.LBB55_2354:
	s_delay_alu instid0(SALU_CYCLE_1)
	s_and_not1_b32 vcc_lo, exec_lo, s7
	s_cbranch_vccnz .LBB55_2356
; %bb.2355:
	s_wait_loadcnt 0x0
	global_load_i16 v12, v[0:1], off
.LBB55_2356:
	s_cbranch_execnz .LBB55_2362
.LBB55_2357:
	s_sext_i32_i16 s0, s0
	s_delay_alu instid0(SALU_CYCLE_1)
	s_cmp_gt_i32 s0, 0
	s_mov_b32 s0, 0
	s_cbranch_scc0 .LBB55_2359
; %bb.2358:
	s_wait_loadcnt 0x0
	global_load_i8 v12, v[0:1], off
	s_branch .LBB55_2360
.LBB55_2359:
	s_mov_b32 s0, -1
                                        ; implicit-def: $vgpr12
.LBB55_2360:
	s_delay_alu instid0(SALU_CYCLE_1)
	s_and_not1_b32 vcc_lo, exec_lo, s0
	s_cbranch_vccnz .LBB55_2362
; %bb.2361:
	s_wait_loadcnt 0x0
	global_load_u8 v12, v[0:1], off
.LBB55_2362:
	s_or_b32 s20, s20, exec_lo
.LBB55_2363:
	s_wait_xcnt 0x0
	s_or_b32 exec_lo, exec_lo, s6
	s_mov_b32 s7, 0
	s_mov_b32 s21, 0
	;; [unrolled: 1-line block ×3, first 2 shown]
                                        ; implicit-def: $sgpr0
                                        ; implicit-def: $vgpr10_vgpr11
                                        ; implicit-def: $vgpr0
	s_and_saveexec_b32 s6, s20
	s_cbranch_execz .LBB55_2371
; %bb.2364:
	s_load_b256 s[20:27], s[2:3], 0x248
	v_mov_b32_e32 v9, 0
	s_and_b32 s0, s50, 0xff
	s_delay_alu instid0(SALU_CYCLE_1)
	s_cmp_lt_i32 s0, 11
	s_wait_loadcnt 0x0
	s_wait_kmcnt 0x0
	v_add_nc_u64_e32 v[10:11], s[26:27], v[8:9]
	s_cbranch_scc1 .LBB55_2374
; %bb.2365:
	s_and_b32 s8, 0xffff, s0
	s_mov_b32 s9, 0
	s_cmp_gt_i32 s8, 25
	s_cbranch_scc0 .LBB55_2375
; %bb.2366:
	s_cmp_gt_i32 s8, 28
	s_cbranch_scc0 .LBB55_2376
; %bb.2367:
	;; [unrolled: 3-line block ×4, first 2 shown]
	s_cmp_eq_u32 s8, 46
	s_mov_b32 s11, 0
	s_cbranch_scc0 .LBB55_2379
; %bb.2370:
	global_load_b32 v0, v[10:11], off
	s_mov_b32 s10, -1
	s_wait_loadcnt 0x0
	v_lshlrev_b32_e32 v0, 16, v0
	s_delay_alu instid0(VALU_DEP_1)
	v_cvt_i32_f32_e32 v0, v0
	s_branch .LBB55_2381
.LBB55_2371:
	s_or_b32 exec_lo, exec_lo, s6
	s_and_saveexec_b32 s6, s88
	s_cbranch_execnz .LBB55_2440
.LBB55_2372:
	s_or_b32 exec_lo, exec_lo, s6
	s_and_saveexec_b32 s4, s7
	s_delay_alu instid0(SALU_CYCLE_1)
	s_xor_b32 s6, exec_lo, s4
	s_cbranch_execz .LBB55_2441
.LBB55_2373:
	s_wait_loadcnt 0x0
	global_load_u8 v0, v[10:11], off
	s_or_b32 s8, s8, exec_lo
	s_wait_loadcnt 0x0
	v_cmp_ne_u16_e32 vcc_lo, 0, v0
	v_cndmask_b32_e64 v0, 0, 1, vcc_lo
	s_wait_xcnt 0x0
	s_or_b32 exec_lo, exec_lo, s6
	s_and_saveexec_b32 s6, s21
	s_cbranch_execz .LBB55_2487
	s_branch .LBB55_2442
.LBB55_2374:
	s_mov_b32 s11, -1
	s_mov_b32 s10, 0
	s_mov_b32 s9, 0
	;; [unrolled: 1-line block ×3, first 2 shown]
                                        ; implicit-def: $vgpr0
	s_branch .LBB55_2439
.LBB55_2375:
	s_mov_b32 s10, 0
	s_mov_b32 s7, s88
                                        ; implicit-def: $vgpr0
	s_cbranch_execnz .LBB55_2408
	s_branch .LBB55_2438
.LBB55_2376:
	s_mov_b32 s11, -1
	s_mov_b32 s10, 0
	s_mov_b32 s7, s88
                                        ; implicit-def: $vgpr0
	s_branch .LBB55_2391
.LBB55_2377:
	s_mov_b32 s11, -1
	s_mov_b32 s10, 0
	s_mov_b32 s7, s88
                                        ; implicit-def: $vgpr0
	s_branch .LBB55_2386
.LBB55_2378:
	s_mov_b32 s11, -1
	s_mov_b32 s10, 0
	s_mov_b32 s7, s88
	s_branch .LBB55_2380
.LBB55_2379:
	s_mov_b32 s7, -1
	s_mov_b32 s10, 0
.LBB55_2380:
                                        ; implicit-def: $vgpr0
.LBB55_2381:
	s_and_b32 vcc_lo, exec_lo, s11
	s_cbranch_vccz .LBB55_2385
; %bb.2382:
	s_cmp_eq_u32 s8, 44
	s_cbranch_scc0 .LBB55_2384
; %bb.2383:
	global_load_u8 v0, v[10:11], off
	s_mov_b32 s7, 0
	s_mov_b32 s10, -1
	s_wait_loadcnt 0x0
	v_lshlrev_b32_e32 v1, 23, v0
	v_cmp_ne_u32_e32 vcc_lo, 0, v0
	s_delay_alu instid0(VALU_DEP_2) | instskip(NEXT) | instid1(VALU_DEP_1)
	v_cvt_i32_f32_e32 v1, v1
	v_cndmask_b32_e32 v0, 0, v1, vcc_lo
	s_branch .LBB55_2385
.LBB55_2384:
	s_mov_b32 s7, -1
                                        ; implicit-def: $vgpr0
.LBB55_2385:
	s_mov_b32 s11, 0
.LBB55_2386:
	s_delay_alu instid0(SALU_CYCLE_1)
	s_and_b32 vcc_lo, exec_lo, s11
	s_cbranch_vccz .LBB55_2390
; %bb.2387:
	s_cmp_eq_u32 s8, 29
	s_cbranch_scc0 .LBB55_2389
; %bb.2388:
	global_load_b32 v0, v[10:11], off
	s_mov_b32 s7, 0
	s_mov_b32 s10, -1
	s_branch .LBB55_2390
.LBB55_2389:
	s_mov_b32 s7, -1
                                        ; implicit-def: $vgpr0
.LBB55_2390:
	s_mov_b32 s11, 0
.LBB55_2391:
	s_delay_alu instid0(SALU_CYCLE_1)
	s_and_b32 vcc_lo, exec_lo, s11
	s_cbranch_vccz .LBB55_2407
; %bb.2392:
	s_cmp_lt_i32 s8, 27
	s_cbranch_scc1 .LBB55_2395
; %bb.2393:
	s_cmp_gt_i32 s8, 27
	s_cbranch_scc0 .LBB55_2396
; %bb.2394:
	s_wait_loadcnt 0x0
	global_load_b32 v0, v[10:11], off
	s_mov_b32 s10, 0
	s_branch .LBB55_2397
.LBB55_2395:
	s_mov_b32 s10, -1
                                        ; implicit-def: $vgpr0
	s_branch .LBB55_2400
.LBB55_2396:
	s_mov_b32 s10, -1
                                        ; implicit-def: $vgpr0
.LBB55_2397:
	s_delay_alu instid0(SALU_CYCLE_1)
	s_and_not1_b32 vcc_lo, exec_lo, s10
	s_cbranch_vccnz .LBB55_2399
; %bb.2398:
	s_wait_loadcnt 0x0
	global_load_u16 v0, v[10:11], off
.LBB55_2399:
	s_mov_b32 s10, 0
.LBB55_2400:
	s_delay_alu instid0(SALU_CYCLE_1)
	s_and_not1_b32 vcc_lo, exec_lo, s10
	s_cbranch_vccnz .LBB55_2406
; %bb.2401:
	global_load_u8 v1, v[10:11], off
	s_mov_b32 s11, 0
	s_mov_b32 s4, exec_lo
	s_wait_loadcnt 0x0
	v_cmpx_lt_i16_e32 0x7f, v1
	s_xor_b32 s10, exec_lo, s4
	s_cbranch_execz .LBB55_2417
; %bb.2402:
	v_cmp_ne_u16_e32 vcc_lo, 0x80, v1
	s_and_b32 s11, vcc_lo, exec_lo
	s_and_not1_saveexec_b32 s10, s10
	s_cbranch_execnz .LBB55_2418
.LBB55_2403:
	s_or_b32 exec_lo, exec_lo, s10
	v_mov_b32_e32 v0, 0
	s_and_saveexec_b32 s10, s11
	s_cbranch_execz .LBB55_2405
.LBB55_2404:
	v_and_b32_e32 v0, 0xffff, v1
	s_delay_alu instid0(VALU_DEP_1) | instskip(SKIP_1) | instid1(VALU_DEP_2)
	v_and_b32_e32 v5, 7, v0
	v_bfe_u32 v9, v0, 3, 4
	v_clz_i32_u32_e32 v7, v5
	s_delay_alu instid0(VALU_DEP_2) | instskip(NEXT) | instid1(VALU_DEP_2)
	v_cmp_eq_u32_e32 vcc_lo, 0, v9
	v_min_u32_e32 v7, 32, v7
	s_delay_alu instid0(VALU_DEP_1) | instskip(NEXT) | instid1(VALU_DEP_1)
	v_subrev_nc_u32_e32 v8, 28, v7
	v_dual_lshlrev_b32 v0, v8, v0 :: v_dual_sub_nc_u32 v7, 29, v7
	s_delay_alu instid0(VALU_DEP_1) | instskip(NEXT) | instid1(VALU_DEP_2)
	v_dual_lshlrev_b32 v1, 24, v1 :: v_dual_bitop2_b32 v0, 7, v0 bitop3:0x40
	v_cndmask_b32_e32 v7, v9, v7, vcc_lo
	s_delay_alu instid0(VALU_DEP_2) | instskip(NEXT) | instid1(VALU_DEP_3)
	v_cndmask_b32_e32 v0, v5, v0, vcc_lo
	v_and_b32_e32 v1, 0x80000000, v1
	s_delay_alu instid0(VALU_DEP_3) | instskip(NEXT) | instid1(VALU_DEP_3)
	v_lshl_add_u32 v5, v7, 23, 0x3b800000
	v_lshlrev_b32_e32 v0, 20, v0
	s_delay_alu instid0(VALU_DEP_1) | instskip(NEXT) | instid1(VALU_DEP_1)
	v_or3_b32 v0, v1, v5, v0
	v_cvt_i32_f32_e32 v0, v0
.LBB55_2405:
	s_or_b32 exec_lo, exec_lo, s10
.LBB55_2406:
	s_mov_b32 s10, -1
.LBB55_2407:
	s_branch .LBB55_2438
.LBB55_2408:
	s_cmp_gt_i32 s8, 22
	s_cbranch_scc0 .LBB55_2416
; %bb.2409:
	s_cmp_lt_i32 s8, 24
	s_cbranch_scc1 .LBB55_2419
; %bb.2410:
	s_cmp_gt_i32 s8, 24
	s_cbranch_scc0 .LBB55_2420
; %bb.2411:
	global_load_u8 v1, v[10:11], off
	s_mov_b32 s10, 0
	s_mov_b32 s4, exec_lo
	s_wait_loadcnt 0x0
	v_cmpx_lt_i16_e32 0x7f, v1
	s_xor_b32 s9, exec_lo, s4
	s_cbranch_execz .LBB55_2432
; %bb.2412:
	v_cmp_ne_u16_e32 vcc_lo, 0x80, v1
	s_and_b32 s10, vcc_lo, exec_lo
	s_and_not1_saveexec_b32 s9, s9
	s_cbranch_execnz .LBB55_2433
.LBB55_2413:
	s_or_b32 exec_lo, exec_lo, s9
	v_mov_b32_e32 v0, 0
	s_and_saveexec_b32 s9, s10
	s_cbranch_execz .LBB55_2415
.LBB55_2414:
	v_and_b32_e32 v0, 0xffff, v1
	s_delay_alu instid0(VALU_DEP_1) | instskip(SKIP_1) | instid1(VALU_DEP_2)
	v_and_b32_e32 v5, 3, v0
	v_bfe_u32 v9, v0, 2, 5
	v_clz_i32_u32_e32 v7, v5
	s_delay_alu instid0(VALU_DEP_2) | instskip(NEXT) | instid1(VALU_DEP_2)
	v_cmp_eq_u32_e32 vcc_lo, 0, v9
	v_min_u32_e32 v7, 32, v7
	s_delay_alu instid0(VALU_DEP_1) | instskip(NEXT) | instid1(VALU_DEP_1)
	v_subrev_nc_u32_e32 v8, 29, v7
	v_dual_lshlrev_b32 v0, v8, v0 :: v_dual_sub_nc_u32 v7, 30, v7
	s_delay_alu instid0(VALU_DEP_1) | instskip(NEXT) | instid1(VALU_DEP_2)
	v_dual_lshlrev_b32 v1, 24, v1 :: v_dual_bitop2_b32 v0, 3, v0 bitop3:0x40
	v_cndmask_b32_e32 v7, v9, v7, vcc_lo
	s_delay_alu instid0(VALU_DEP_2) | instskip(NEXT) | instid1(VALU_DEP_3)
	v_cndmask_b32_e32 v0, v5, v0, vcc_lo
	v_and_b32_e32 v1, 0x80000000, v1
	s_delay_alu instid0(VALU_DEP_3) | instskip(NEXT) | instid1(VALU_DEP_3)
	v_lshl_add_u32 v5, v7, 23, 0x37800000
	v_lshlrev_b32_e32 v0, 21, v0
	s_delay_alu instid0(VALU_DEP_1) | instskip(NEXT) | instid1(VALU_DEP_1)
	v_or3_b32 v0, v1, v5, v0
	v_cvt_i32_f32_e32 v0, v0
.LBB55_2415:
	s_or_b32 exec_lo, exec_lo, s9
	s_mov_b32 s9, 0
	s_branch .LBB55_2421
.LBB55_2416:
	s_mov_b32 s9, -1
                                        ; implicit-def: $vgpr0
	s_branch .LBB55_2427
.LBB55_2417:
	s_and_not1_saveexec_b32 s10, s10
	s_cbranch_execz .LBB55_2403
.LBB55_2418:
	v_cmp_ne_u16_e32 vcc_lo, 0, v1
	s_and_not1_b32 s4, s11, exec_lo
	s_and_b32 s5, vcc_lo, exec_lo
	s_delay_alu instid0(SALU_CYCLE_1)
	s_or_b32 s11, s4, s5
	s_or_b32 exec_lo, exec_lo, s10
	v_mov_b32_e32 v0, 0
	s_and_saveexec_b32 s10, s11
	s_cbranch_execnz .LBB55_2404
	s_branch .LBB55_2405
.LBB55_2419:
	s_mov_b32 s9, -1
                                        ; implicit-def: $vgpr0
	s_branch .LBB55_2424
.LBB55_2420:
	s_mov_b32 s9, -1
                                        ; implicit-def: $vgpr0
.LBB55_2421:
	s_delay_alu instid0(SALU_CYCLE_1)
	s_and_b32 vcc_lo, exec_lo, s9
	s_cbranch_vccz .LBB55_2423
; %bb.2422:
	s_wait_loadcnt 0x0
	global_load_u8 v0, v[10:11], off
	s_wait_loadcnt 0x0
	v_lshlrev_b32_e32 v0, 24, v0
	s_delay_alu instid0(VALU_DEP_1) | instskip(NEXT) | instid1(VALU_DEP_1)
	v_and_b32_e32 v1, 0x7f000000, v0
	v_clz_i32_u32_e32 v5, v1
	v_add_nc_u32_e32 v8, 0x1000000, v1
	v_cmp_ne_u32_e32 vcc_lo, 0, v1
	s_delay_alu instid0(VALU_DEP_3) | instskip(NEXT) | instid1(VALU_DEP_1)
	v_min_u32_e32 v5, 32, v5
	v_sub_nc_u32_e64 v5, v5, 4 clamp
	s_delay_alu instid0(VALU_DEP_1) | instskip(NEXT) | instid1(VALU_DEP_1)
	v_lshlrev_b32_e32 v7, v5, v1
	v_dual_lshlrev_b32 v5, 23, v5 :: v_dual_lshrrev_b32 v7, 4, v7
	s_delay_alu instid0(VALU_DEP_1) | instskip(NEXT) | instid1(VALU_DEP_1)
	v_dual_sub_nc_u32 v5, v7, v5 :: v_dual_ashrrev_i32 v7, 8, v8
	v_add_nc_u32_e32 v5, 0x3c000000, v5
	s_delay_alu instid0(VALU_DEP_1) | instskip(NEXT) | instid1(VALU_DEP_1)
	v_and_or_b32 v5, 0x7f800000, v7, v5
	v_cndmask_b32_e32 v1, 0, v5, vcc_lo
	s_delay_alu instid0(VALU_DEP_1) | instskip(NEXT) | instid1(VALU_DEP_1)
	v_and_or_b32 v0, 0x80000000, v0, v1
	v_cvt_i32_f32_e32 v0, v0
.LBB55_2423:
	s_mov_b32 s9, 0
.LBB55_2424:
	s_delay_alu instid0(SALU_CYCLE_1)
	s_and_not1_b32 vcc_lo, exec_lo, s9
	s_cbranch_vccnz .LBB55_2426
; %bb.2425:
	s_wait_loadcnt 0x0
	global_load_u8 v0, v[10:11], off
	s_wait_loadcnt 0x0
	v_lshlrev_b32_e32 v1, 25, v0
	v_lshlrev_b16 v0, 8, v0
	s_delay_alu instid0(VALU_DEP_1) | instskip(SKIP_1) | instid1(VALU_DEP_2)
	v_and_or_b32 v7, 0x7f00, v0, 0.5
	v_bfe_i32 v0, v0, 0, 16
	v_dual_add_f32 v7, -0.5, v7 :: v_dual_lshrrev_b32 v5, 4, v1
	v_cmp_gt_u32_e32 vcc_lo, 0x8000000, v1
	s_delay_alu instid0(VALU_DEP_2) | instskip(NEXT) | instid1(VALU_DEP_1)
	v_or_b32_e32 v5, 0x70000000, v5
	v_mul_f32_e32 v5, 0x7800000, v5
	s_delay_alu instid0(VALU_DEP_1) | instskip(NEXT) | instid1(VALU_DEP_1)
	v_cndmask_b32_e32 v1, v5, v7, vcc_lo
	v_and_or_b32 v0, 0x80000000, v0, v1
	s_delay_alu instid0(VALU_DEP_1)
	v_cvt_i32_f32_e32 v0, v0
.LBB55_2426:
	s_mov_b32 s9, 0
	s_mov_b32 s10, -1
.LBB55_2427:
	s_and_not1_b32 vcc_lo, exec_lo, s9
	s_mov_b32 s9, 0
	s_cbranch_vccnz .LBB55_2438
; %bb.2428:
	s_cmp_gt_i32 s8, 14
	s_cbranch_scc0 .LBB55_2431
; %bb.2429:
	s_cmp_eq_u32 s8, 15
	s_cbranch_scc0 .LBB55_2434
; %bb.2430:
	s_wait_loadcnt 0x0
	global_load_u16 v0, v[10:11], off
	s_mov_b32 s7, 0
	s_mov_b32 s10, -1
	s_wait_loadcnt 0x0
	v_lshlrev_b32_e32 v0, 16, v0
	s_delay_alu instid0(VALU_DEP_1)
	v_cvt_i32_f32_e32 v0, v0
	s_branch .LBB55_2436
.LBB55_2431:
	s_mov_b32 s9, -1
	s_branch .LBB55_2435
.LBB55_2432:
	s_and_not1_saveexec_b32 s9, s9
	s_cbranch_execz .LBB55_2413
.LBB55_2433:
	v_cmp_ne_u16_e32 vcc_lo, 0, v1
	s_and_not1_b32 s4, s10, exec_lo
	s_and_b32 s5, vcc_lo, exec_lo
	s_delay_alu instid0(SALU_CYCLE_1)
	s_or_b32 s10, s4, s5
	s_or_b32 exec_lo, exec_lo, s9
	v_mov_b32_e32 v0, 0
	s_and_saveexec_b32 s9, s10
	s_cbranch_execnz .LBB55_2414
	s_branch .LBB55_2415
.LBB55_2434:
	s_mov_b32 s7, -1
.LBB55_2435:
                                        ; implicit-def: $vgpr0
.LBB55_2436:
	s_and_b32 vcc_lo, exec_lo, s9
	s_mov_b32 s9, 0
	s_cbranch_vccz .LBB55_2438
; %bb.2437:
	s_cmp_lg_u32 s8, 11
	s_mov_b32 s9, -1
	s_cselect_b32 s4, -1, 0
	s_and_not1_b32 s5, s7, exec_lo
	s_and_b32 s4, s4, exec_lo
	s_delay_alu instid0(SALU_CYCLE_1)
	s_or_b32 s7, s5, s4
.LBB55_2438:
	s_mov_b32 s11, 0
.LBB55_2439:
	s_and_not1_b32 s4, s88, exec_lo
	s_and_b32 s5, s7, exec_lo
	s_and_b32 s8, s10, exec_lo
	;; [unrolled: 1-line block ×4, first 2 shown]
	s_or_b32 s88, s4, s5
	s_wait_xcnt 0x0
	s_or_b32 exec_lo, exec_lo, s6
	s_and_saveexec_b32 s6, s88
	s_cbranch_execz .LBB55_2372
.LBB55_2440:
	s_or_b32 s1, s1, exec_lo
	s_and_not1_b32 s7, s7, exec_lo
	s_trap 2
	s_or_b32 exec_lo, exec_lo, s6
	s_and_saveexec_b32 s4, s7
	s_delay_alu instid0(SALU_CYCLE_1)
	s_xor_b32 s6, exec_lo, s4
	s_cbranch_execnz .LBB55_2373
.LBB55_2441:
	s_or_b32 exec_lo, exec_lo, s6
	s_and_saveexec_b32 s6, s21
	s_cbranch_execz .LBB55_2487
.LBB55_2442:
	s_sext_i32_i16 s7, s0
	s_delay_alu instid0(SALU_CYCLE_1)
	s_cmp_lt_i32 s7, 5
	s_cbranch_scc1 .LBB55_2447
; %bb.2443:
	s_cmp_lt_i32 s7, 8
	s_cbranch_scc1 .LBB55_2448
; %bb.2444:
	;; [unrolled: 3-line block ×3, first 2 shown]
	s_cmp_gt_i32 s7, 9
	s_cbranch_scc0 .LBB55_2450
; %bb.2446:
	s_wait_loadcnt 0x0
	global_load_b64 v[0:1], v[10:11], off
	s_mov_b32 s7, 0
	s_wait_loadcnt 0x0
	v_cvt_i32_f64_e32 v0, v[0:1]
	s_branch .LBB55_2451
.LBB55_2447:
                                        ; implicit-def: $vgpr0
	s_branch .LBB55_2468
.LBB55_2448:
                                        ; implicit-def: $vgpr0
	s_branch .LBB55_2457
.LBB55_2449:
	s_mov_b32 s7, -1
                                        ; implicit-def: $vgpr0
	s_branch .LBB55_2454
.LBB55_2450:
	s_mov_b32 s7, -1
                                        ; implicit-def: $vgpr0
.LBB55_2451:
	s_delay_alu instid0(SALU_CYCLE_1)
	s_and_not1_b32 vcc_lo, exec_lo, s7
	s_cbranch_vccnz .LBB55_2453
; %bb.2452:
	s_wait_loadcnt 0x0
	global_load_b32 v0, v[10:11], off
	s_wait_loadcnt 0x0
	v_cvt_i32_f32_e32 v0, v0
.LBB55_2453:
	s_mov_b32 s7, 0
.LBB55_2454:
	s_delay_alu instid0(SALU_CYCLE_1)
	s_and_not1_b32 vcc_lo, exec_lo, s7
	s_cbranch_vccnz .LBB55_2456
; %bb.2455:
	s_wait_loadcnt 0x0
	global_load_b32 v0, v[10:11], off
	s_wait_loadcnt 0x0
	v_cvt_f32_f16_e32 v0, v0
	s_delay_alu instid0(VALU_DEP_1)
	v_cvt_i32_f32_e32 v0, v0
.LBB55_2456:
	s_cbranch_execnz .LBB55_2467
.LBB55_2457:
	s_sext_i32_i16 s7, s0
	s_delay_alu instid0(SALU_CYCLE_1)
	s_cmp_lt_i32 s7, 6
	s_cbranch_scc1 .LBB55_2460
; %bb.2458:
	s_cmp_gt_i32 s7, 6
	s_cbranch_scc0 .LBB55_2461
; %bb.2459:
	s_wait_loadcnt 0x0
	global_load_b64 v[0:1], v[10:11], off
	s_mov_b32 s7, 0
	s_wait_loadcnt 0x0
	v_cvt_i32_f64_e32 v0, v[0:1]
	s_branch .LBB55_2462
.LBB55_2460:
	s_mov_b32 s7, -1
                                        ; implicit-def: $vgpr0
	s_branch .LBB55_2465
.LBB55_2461:
	s_mov_b32 s7, -1
                                        ; implicit-def: $vgpr0
.LBB55_2462:
	s_delay_alu instid0(SALU_CYCLE_1)
	s_and_not1_b32 vcc_lo, exec_lo, s7
	s_cbranch_vccnz .LBB55_2464
; %bb.2463:
	s_wait_loadcnt 0x0
	global_load_b32 v0, v[10:11], off
	s_wait_loadcnt 0x0
	v_cvt_i32_f32_e32 v0, v0
.LBB55_2464:
	s_mov_b32 s7, 0
.LBB55_2465:
	s_delay_alu instid0(SALU_CYCLE_1)
	s_and_not1_b32 vcc_lo, exec_lo, s7
	s_cbranch_vccnz .LBB55_2467
; %bb.2466:
	s_wait_loadcnt 0x0
	global_load_u16 v0, v[10:11], off
	s_wait_loadcnt 0x0
	v_cvt_f32_f16_e32 v0, v0
	s_delay_alu instid0(VALU_DEP_1)
	v_cvt_i32_f32_e32 v0, v0
.LBB55_2467:
	s_cbranch_execnz .LBB55_2486
.LBB55_2468:
	s_sext_i32_i16 s7, s0
	s_delay_alu instid0(SALU_CYCLE_1)
	s_cmp_lt_i32 s7, 2
	s_cbranch_scc1 .LBB55_2472
; %bb.2469:
	s_cmp_lt_i32 s7, 3
	s_cbranch_scc1 .LBB55_2473
; %bb.2470:
	s_cmp_gt_i32 s7, 3
	s_cbranch_scc0 .LBB55_2474
; %bb.2471:
	s_wait_loadcnt 0x0
	global_load_b32 v0, v[10:11], off
	s_mov_b32 s7, 0
	s_branch .LBB55_2475
.LBB55_2472:
                                        ; implicit-def: $vgpr0
	s_branch .LBB55_2481
.LBB55_2473:
	s_mov_b32 s7, -1
                                        ; implicit-def: $vgpr0
	s_branch .LBB55_2478
.LBB55_2474:
	s_mov_b32 s7, -1
                                        ; implicit-def: $vgpr0
.LBB55_2475:
	s_delay_alu instid0(SALU_CYCLE_1)
	s_and_not1_b32 vcc_lo, exec_lo, s7
	s_cbranch_vccnz .LBB55_2477
; %bb.2476:
	s_wait_loadcnt 0x0
	global_load_b32 v0, v[10:11], off
.LBB55_2477:
	s_mov_b32 s7, 0
.LBB55_2478:
	s_delay_alu instid0(SALU_CYCLE_1)
	s_and_not1_b32 vcc_lo, exec_lo, s7
	s_cbranch_vccnz .LBB55_2480
; %bb.2479:
	s_wait_loadcnt 0x0
	global_load_i16 v0, v[10:11], off
.LBB55_2480:
	s_cbranch_execnz .LBB55_2486
.LBB55_2481:
	s_sext_i32_i16 s0, s0
	s_delay_alu instid0(SALU_CYCLE_1)
	s_cmp_gt_i32 s0, 0
	s_mov_b32 s0, 0
	s_cbranch_scc0 .LBB55_2483
; %bb.2482:
	s_wait_loadcnt 0x0
	global_load_i8 v0, v[10:11], off
	s_branch .LBB55_2484
.LBB55_2483:
	s_mov_b32 s0, -1
                                        ; implicit-def: $vgpr0
.LBB55_2484:
	s_delay_alu instid0(SALU_CYCLE_1)
	s_and_not1_b32 vcc_lo, exec_lo, s0
	s_cbranch_vccnz .LBB55_2486
; %bb.2485:
	s_wait_loadcnt 0x0
	global_load_u8 v0, v[10:11], off
.LBB55_2486:
	s_or_b32 s8, s8, exec_lo
.LBB55_2487:
	s_wait_xcnt 0x0
	s_or_b32 exec_lo, exec_lo, s6
	s_mov_b32 s7, 0
	s_mov_b32 s11, 0
	;; [unrolled: 1-line block ×3, first 2 shown]
                                        ; implicit-def: $sgpr0
                                        ; implicit-def: $vgpr10_vgpr11
                                        ; implicit-def: $vgpr8
	s_and_saveexec_b32 s6, s8
	s_cbranch_execz .LBB55_2495
; %bb.2488:
	s_load_b128 s[8:11], s[2:3], 0x268
	v_mov_b32_e32 v7, 0
	s_and_b32 s0, s35, 0xff
	s_delay_alu instid0(SALU_CYCLE_1)
	s_cmp_lt_i32 s0, 11
	s_wait_loadcnt 0x0
	s_wait_kmcnt 0x0
	v_add_nc_u64_e32 v[10:11], s[8:9], v[6:7]
	s_cbranch_scc1 .LBB55_2498
; %bb.2489:
	s_and_b32 s8, 0xffff, s0
	s_mov_b32 s10, 0
	s_cmp_gt_i32 s8, 25
	s_cbranch_scc0 .LBB55_2499
; %bb.2490:
	s_cmp_gt_i32 s8, 28
	s_cbranch_scc0 .LBB55_2500
; %bb.2491:
	;; [unrolled: 3-line block ×4, first 2 shown]
	s_cmp_eq_u32 s8, 46
	s_mov_b32 s11, 0
	s_cbranch_scc0 .LBB55_2503
; %bb.2494:
	global_load_b32 v1, v[10:11], off
	s_mov_b32 s9, -1
	s_wait_loadcnt 0x0
	v_lshlrev_b32_e32 v1, 16, v1
	s_delay_alu instid0(VALU_DEP_1)
	v_cvt_i32_f32_e32 v8, v1
	s_branch .LBB55_2505
.LBB55_2495:
	s_or_b32 exec_lo, exec_lo, s6
	s_and_saveexec_b32 s6, s87
	s_cbranch_execnz .LBB55_2564
.LBB55_2496:
	s_or_b32 exec_lo, exec_lo, s6
	s_and_saveexec_b32 s4, s7
	s_delay_alu instid0(SALU_CYCLE_1)
	s_xor_b32 s6, exec_lo, s4
	s_cbranch_execz .LBB55_2565
.LBB55_2497:
	s_wait_loadcnt 0x0
	global_load_u8 v1, v[10:11], off
	s_or_b32 s9, s9, exec_lo
	s_wait_loadcnt 0x0
	v_cmp_ne_u16_e32 vcc_lo, 0, v1
	v_cndmask_b32_e64 v8, 0, 1, vcc_lo
	s_wait_xcnt 0x0
	s_or_b32 exec_lo, exec_lo, s6
	s_and_saveexec_b32 s6, s11
	s_cbranch_execz .LBB55_2611
	s_branch .LBB55_2566
.LBB55_2498:
	s_mov_b32 s8, -1
	s_mov_b32 s9, 0
	s_mov_b32 s10, 0
	;; [unrolled: 1-line block ×3, first 2 shown]
                                        ; implicit-def: $vgpr8
	s_branch .LBB55_2563
.LBB55_2499:
	s_mov_b32 s9, 0
	s_mov_b32 s7, s87
                                        ; implicit-def: $vgpr8
	s_cbranch_execnz .LBB55_2532
	s_branch .LBB55_2562
.LBB55_2500:
	s_mov_b32 s11, -1
	s_mov_b32 s9, 0
	s_mov_b32 s7, s87
                                        ; implicit-def: $vgpr8
	s_branch .LBB55_2515
.LBB55_2501:
	s_mov_b32 s11, -1
	s_mov_b32 s9, 0
	s_mov_b32 s7, s87
                                        ; implicit-def: $vgpr8
	s_branch .LBB55_2510
.LBB55_2502:
	s_mov_b32 s11, -1
	s_mov_b32 s9, 0
	s_mov_b32 s7, s87
	s_branch .LBB55_2504
.LBB55_2503:
	s_mov_b32 s7, -1
	s_mov_b32 s9, 0
.LBB55_2504:
                                        ; implicit-def: $vgpr8
.LBB55_2505:
	s_and_b32 vcc_lo, exec_lo, s11
	s_cbranch_vccz .LBB55_2509
; %bb.2506:
	s_cmp_eq_u32 s8, 44
	s_cbranch_scc0 .LBB55_2508
; %bb.2507:
	global_load_u8 v1, v[10:11], off
	s_mov_b32 s7, 0
	s_mov_b32 s9, -1
	s_wait_loadcnt 0x0
	v_lshlrev_b32_e32 v5, 23, v1
	v_cmp_ne_u32_e32 vcc_lo, 0, v1
	s_delay_alu instid0(VALU_DEP_2) | instskip(NEXT) | instid1(VALU_DEP_1)
	v_cvt_i32_f32_e32 v5, v5
	v_cndmask_b32_e32 v8, 0, v5, vcc_lo
	s_branch .LBB55_2509
.LBB55_2508:
	s_mov_b32 s7, -1
                                        ; implicit-def: $vgpr8
.LBB55_2509:
	s_mov_b32 s11, 0
.LBB55_2510:
	s_delay_alu instid0(SALU_CYCLE_1)
	s_and_b32 vcc_lo, exec_lo, s11
	s_cbranch_vccz .LBB55_2514
; %bb.2511:
	s_cmp_eq_u32 s8, 29
	s_cbranch_scc0 .LBB55_2513
; %bb.2512:
	global_load_b32 v8, v[10:11], off
	s_mov_b32 s7, 0
	s_mov_b32 s9, -1
	s_branch .LBB55_2514
.LBB55_2513:
	s_mov_b32 s7, -1
                                        ; implicit-def: $vgpr8
.LBB55_2514:
	s_mov_b32 s11, 0
.LBB55_2515:
	s_delay_alu instid0(SALU_CYCLE_1)
	s_and_b32 vcc_lo, exec_lo, s11
	s_cbranch_vccz .LBB55_2531
; %bb.2516:
	s_cmp_lt_i32 s8, 27
	s_cbranch_scc1 .LBB55_2519
; %bb.2517:
	s_cmp_gt_i32 s8, 27
	s_cbranch_scc0 .LBB55_2520
; %bb.2518:
	s_wait_loadcnt 0x0
	global_load_b32 v8, v[10:11], off
	s_mov_b32 s9, 0
	s_branch .LBB55_2521
.LBB55_2519:
	s_mov_b32 s9, -1
                                        ; implicit-def: $vgpr8
	s_branch .LBB55_2524
.LBB55_2520:
	s_mov_b32 s9, -1
                                        ; implicit-def: $vgpr8
.LBB55_2521:
	s_delay_alu instid0(SALU_CYCLE_1)
	s_and_not1_b32 vcc_lo, exec_lo, s9
	s_cbranch_vccnz .LBB55_2523
; %bb.2522:
	s_wait_loadcnt 0x0
	global_load_u16 v8, v[10:11], off
.LBB55_2523:
	s_mov_b32 s9, 0
.LBB55_2524:
	s_delay_alu instid0(SALU_CYCLE_1)
	s_and_not1_b32 vcc_lo, exec_lo, s9
	s_cbranch_vccnz .LBB55_2530
; %bb.2525:
	global_load_u8 v1, v[10:11], off
	s_mov_b32 s11, 0
	s_mov_b32 s4, exec_lo
	s_wait_loadcnt 0x0
	v_cmpx_lt_i16_e32 0x7f, v1
	s_xor_b32 s9, exec_lo, s4
	s_cbranch_execz .LBB55_2541
; %bb.2526:
	v_cmp_ne_u16_e32 vcc_lo, 0x80, v1
	s_and_b32 s11, vcc_lo, exec_lo
	s_and_not1_saveexec_b32 s9, s9
	s_cbranch_execnz .LBB55_2542
.LBB55_2527:
	s_or_b32 exec_lo, exec_lo, s9
	v_mov_b32_e32 v8, 0
	s_and_saveexec_b32 s9, s11
	s_cbranch_execz .LBB55_2529
.LBB55_2528:
	v_and_b32_e32 v5, 0xffff, v1
	s_delay_alu instid0(VALU_DEP_1) | instskip(SKIP_1) | instid1(VALU_DEP_2)
	v_and_b32_e32 v6, 7, v5
	v_bfe_u32 v9, v5, 3, 4
	v_clz_i32_u32_e32 v7, v6
	s_delay_alu instid0(VALU_DEP_2) | instskip(NEXT) | instid1(VALU_DEP_2)
	v_cmp_eq_u32_e32 vcc_lo, 0, v9
	v_min_u32_e32 v7, 32, v7
	s_delay_alu instid0(VALU_DEP_1) | instskip(NEXT) | instid1(VALU_DEP_1)
	v_subrev_nc_u32_e32 v8, 28, v7
	v_dual_lshlrev_b32 v5, v8, v5 :: v_dual_sub_nc_u32 v7, 29, v7
	s_delay_alu instid0(VALU_DEP_1) | instskip(NEXT) | instid1(VALU_DEP_2)
	v_and_b32_e32 v5, 7, v5
	v_dual_lshlrev_b32 v1, 24, v1 :: v_dual_cndmask_b32 v7, v9, v7, vcc_lo
	s_delay_alu instid0(VALU_DEP_2) | instskip(NEXT) | instid1(VALU_DEP_2)
	v_cndmask_b32_e32 v5, v6, v5, vcc_lo
	v_and_b32_e32 v1, 0x80000000, v1
	s_delay_alu instid0(VALU_DEP_3) | instskip(NEXT) | instid1(VALU_DEP_3)
	v_lshl_add_u32 v6, v7, 23, 0x3b800000
	v_lshlrev_b32_e32 v5, 20, v5
	s_delay_alu instid0(VALU_DEP_1) | instskip(NEXT) | instid1(VALU_DEP_1)
	v_or3_b32 v1, v1, v6, v5
	v_cvt_i32_f32_e32 v8, v1
.LBB55_2529:
	s_or_b32 exec_lo, exec_lo, s9
.LBB55_2530:
	s_mov_b32 s9, -1
.LBB55_2531:
	s_branch .LBB55_2562
.LBB55_2532:
	s_cmp_gt_i32 s8, 22
	s_cbranch_scc0 .LBB55_2540
; %bb.2533:
	s_cmp_lt_i32 s8, 24
	s_cbranch_scc1 .LBB55_2543
; %bb.2534:
	s_cmp_gt_i32 s8, 24
	s_cbranch_scc0 .LBB55_2544
; %bb.2535:
	global_load_u8 v1, v[10:11], off
	s_mov_b32 s4, exec_lo
	s_wait_loadcnt 0x0
	v_cmpx_lt_i16_e32 0x7f, v1
	s_xor_b32 s9, exec_lo, s4
	s_cbranch_execz .LBB55_2556
; %bb.2536:
	v_cmp_ne_u16_e32 vcc_lo, 0x80, v1
	s_and_b32 s10, vcc_lo, exec_lo
	s_and_not1_saveexec_b32 s9, s9
	s_cbranch_execnz .LBB55_2557
.LBB55_2537:
	s_or_b32 exec_lo, exec_lo, s9
	v_mov_b32_e32 v8, 0
	s_and_saveexec_b32 s9, s10
	s_cbranch_execz .LBB55_2539
.LBB55_2538:
	v_and_b32_e32 v5, 0xffff, v1
	s_delay_alu instid0(VALU_DEP_1) | instskip(SKIP_1) | instid1(VALU_DEP_2)
	v_and_b32_e32 v6, 3, v5
	v_bfe_u32 v9, v5, 2, 5
	v_clz_i32_u32_e32 v7, v6
	s_delay_alu instid0(VALU_DEP_2) | instskip(NEXT) | instid1(VALU_DEP_2)
	v_cmp_eq_u32_e32 vcc_lo, 0, v9
	v_min_u32_e32 v7, 32, v7
	s_delay_alu instid0(VALU_DEP_1) | instskip(NEXT) | instid1(VALU_DEP_1)
	v_subrev_nc_u32_e32 v8, 29, v7
	v_dual_lshlrev_b32 v5, v8, v5 :: v_dual_sub_nc_u32 v7, 30, v7
	s_delay_alu instid0(VALU_DEP_1) | instskip(NEXT) | instid1(VALU_DEP_2)
	v_and_b32_e32 v5, 3, v5
	v_dual_lshlrev_b32 v1, 24, v1 :: v_dual_cndmask_b32 v7, v9, v7, vcc_lo
	s_delay_alu instid0(VALU_DEP_2) | instskip(NEXT) | instid1(VALU_DEP_2)
	v_cndmask_b32_e32 v5, v6, v5, vcc_lo
	v_and_b32_e32 v1, 0x80000000, v1
	s_delay_alu instid0(VALU_DEP_3) | instskip(NEXT) | instid1(VALU_DEP_3)
	v_lshl_add_u32 v6, v7, 23, 0x37800000
	v_lshlrev_b32_e32 v5, 21, v5
	s_delay_alu instid0(VALU_DEP_1) | instskip(NEXT) | instid1(VALU_DEP_1)
	v_or3_b32 v1, v1, v6, v5
	v_cvt_i32_f32_e32 v8, v1
.LBB55_2539:
	s_or_b32 exec_lo, exec_lo, s9
	s_mov_b32 s9, 0
	s_branch .LBB55_2545
.LBB55_2540:
	s_mov_b32 s10, -1
                                        ; implicit-def: $vgpr8
	s_branch .LBB55_2551
.LBB55_2541:
	s_and_not1_saveexec_b32 s9, s9
	s_cbranch_execz .LBB55_2527
.LBB55_2542:
	v_cmp_ne_u16_e32 vcc_lo, 0, v1
	s_and_not1_b32 s4, s11, exec_lo
	s_and_b32 s5, vcc_lo, exec_lo
	s_delay_alu instid0(SALU_CYCLE_1)
	s_or_b32 s11, s4, s5
	s_or_b32 exec_lo, exec_lo, s9
	v_mov_b32_e32 v8, 0
	s_and_saveexec_b32 s9, s11
	s_cbranch_execnz .LBB55_2528
	s_branch .LBB55_2529
.LBB55_2543:
	s_mov_b32 s9, -1
                                        ; implicit-def: $vgpr8
	s_branch .LBB55_2548
.LBB55_2544:
	s_mov_b32 s9, -1
                                        ; implicit-def: $vgpr8
.LBB55_2545:
	s_delay_alu instid0(SALU_CYCLE_1)
	s_and_b32 vcc_lo, exec_lo, s9
	s_cbranch_vccz .LBB55_2547
; %bb.2546:
	global_load_u8 v1, v[10:11], off
	s_wait_loadcnt 0x0
	v_lshlrev_b32_e32 v1, 24, v1
	s_delay_alu instid0(VALU_DEP_1) | instskip(NEXT) | instid1(VALU_DEP_1)
	v_and_b32_e32 v5, 0x7f000000, v1
	v_clz_i32_u32_e32 v6, v5
	v_cmp_ne_u32_e32 vcc_lo, 0, v5
	v_add_nc_u32_e32 v8, 0x1000000, v5
	s_delay_alu instid0(VALU_DEP_3) | instskip(NEXT) | instid1(VALU_DEP_1)
	v_min_u32_e32 v6, 32, v6
	v_sub_nc_u32_e64 v6, v6, 4 clamp
	s_delay_alu instid0(VALU_DEP_1) | instskip(NEXT) | instid1(VALU_DEP_1)
	v_dual_lshlrev_b32 v7, v6, v5 :: v_dual_lshlrev_b32 v6, 23, v6
	v_lshrrev_b32_e32 v7, 4, v7
	s_delay_alu instid0(VALU_DEP_1) | instskip(NEXT) | instid1(VALU_DEP_1)
	v_dual_sub_nc_u32 v6, v7, v6 :: v_dual_ashrrev_i32 v7, 8, v8
	v_add_nc_u32_e32 v6, 0x3c000000, v6
	s_delay_alu instid0(VALU_DEP_1) | instskip(NEXT) | instid1(VALU_DEP_1)
	v_and_or_b32 v6, 0x7f800000, v7, v6
	v_cndmask_b32_e32 v5, 0, v6, vcc_lo
	s_delay_alu instid0(VALU_DEP_1) | instskip(NEXT) | instid1(VALU_DEP_1)
	v_and_or_b32 v1, 0x80000000, v1, v5
	v_cvt_i32_f32_e32 v8, v1
.LBB55_2547:
	s_mov_b32 s9, 0
.LBB55_2548:
	s_delay_alu instid0(SALU_CYCLE_1)
	s_and_not1_b32 vcc_lo, exec_lo, s9
	s_cbranch_vccnz .LBB55_2550
; %bb.2549:
	global_load_u8 v1, v[10:11], off
	s_wait_loadcnt 0x0
	v_lshlrev_b32_e32 v5, 25, v1
	v_lshlrev_b16 v1, 8, v1
	s_delay_alu instid0(VALU_DEP_1) | instskip(SKIP_1) | instid1(VALU_DEP_2)
	v_and_or_b32 v7, 0x7f00, v1, 0.5
	v_bfe_i32 v1, v1, 0, 16
	v_dual_add_f32 v7, -0.5, v7 :: v_dual_lshrrev_b32 v6, 4, v5
	v_cmp_gt_u32_e32 vcc_lo, 0x8000000, v5
	s_delay_alu instid0(VALU_DEP_2) | instskip(NEXT) | instid1(VALU_DEP_1)
	v_or_b32_e32 v6, 0x70000000, v6
	v_mul_f32_e32 v6, 0x7800000, v6
	s_delay_alu instid0(VALU_DEP_1) | instskip(NEXT) | instid1(VALU_DEP_1)
	v_cndmask_b32_e32 v5, v6, v7, vcc_lo
	v_and_or_b32 v1, 0x80000000, v1, v5
	s_delay_alu instid0(VALU_DEP_1)
	v_cvt_i32_f32_e32 v8, v1
.LBB55_2550:
	s_mov_b32 s10, 0
	s_mov_b32 s9, -1
.LBB55_2551:
	s_and_not1_b32 vcc_lo, exec_lo, s10
	s_mov_b32 s10, 0
	s_cbranch_vccnz .LBB55_2562
; %bb.2552:
	s_cmp_gt_i32 s8, 14
	s_cbranch_scc0 .LBB55_2555
; %bb.2553:
	s_cmp_eq_u32 s8, 15
	s_cbranch_scc0 .LBB55_2558
; %bb.2554:
	global_load_u16 v1, v[10:11], off
	s_mov_b32 s7, 0
	s_mov_b32 s9, -1
	s_wait_loadcnt 0x0
	v_lshlrev_b32_e32 v1, 16, v1
	s_delay_alu instid0(VALU_DEP_1)
	v_cvt_i32_f32_e32 v8, v1
	s_branch .LBB55_2560
.LBB55_2555:
	s_mov_b32 s10, -1
	s_branch .LBB55_2559
.LBB55_2556:
	s_and_not1_saveexec_b32 s9, s9
	s_cbranch_execz .LBB55_2537
.LBB55_2557:
	v_cmp_ne_u16_e32 vcc_lo, 0, v1
	s_and_not1_b32 s4, s10, exec_lo
	s_and_b32 s5, vcc_lo, exec_lo
	s_delay_alu instid0(SALU_CYCLE_1)
	s_or_b32 s10, s4, s5
	s_or_b32 exec_lo, exec_lo, s9
	v_mov_b32_e32 v8, 0
	s_and_saveexec_b32 s9, s10
	s_cbranch_execnz .LBB55_2538
	s_branch .LBB55_2539
.LBB55_2558:
	s_mov_b32 s7, -1
.LBB55_2559:
                                        ; implicit-def: $vgpr8
.LBB55_2560:
	s_and_b32 vcc_lo, exec_lo, s10
	s_mov_b32 s10, 0
	s_cbranch_vccz .LBB55_2562
; %bb.2561:
	s_cmp_lg_u32 s8, 11
	s_mov_b32 s10, -1
	s_cselect_b32 s4, -1, 0
	s_and_not1_b32 s5, s7, exec_lo
	s_and_b32 s4, s4, exec_lo
	s_delay_alu instid0(SALU_CYCLE_1)
	s_or_b32 s7, s5, s4
.LBB55_2562:
	s_mov_b32 s8, 0
.LBB55_2563:
	s_and_not1_b32 s4, s87, exec_lo
	s_and_b32 s5, s7, exec_lo
	s_and_b32 s9, s9, exec_lo
	s_and_b32 s11, s8, exec_lo
	s_and_b32 s7, s10, exec_lo
	s_or_b32 s87, s4, s5
	s_wait_xcnt 0x0
	s_or_b32 exec_lo, exec_lo, s6
	s_and_saveexec_b32 s6, s87
	s_cbranch_execz .LBB55_2496
.LBB55_2564:
	s_or_b32 s1, s1, exec_lo
	s_and_not1_b32 s7, s7, exec_lo
	s_trap 2
	s_or_b32 exec_lo, exec_lo, s6
	s_and_saveexec_b32 s4, s7
	s_delay_alu instid0(SALU_CYCLE_1)
	s_xor_b32 s6, exec_lo, s4
	s_cbranch_execnz .LBB55_2497
.LBB55_2565:
	s_or_b32 exec_lo, exec_lo, s6
	s_and_saveexec_b32 s6, s11
	s_cbranch_execz .LBB55_2611
.LBB55_2566:
	s_sext_i32_i16 s7, s0
	s_delay_alu instid0(SALU_CYCLE_1)
	s_cmp_lt_i32 s7, 5
	s_cbranch_scc1 .LBB55_2571
; %bb.2567:
	s_cmp_lt_i32 s7, 8
	s_cbranch_scc1 .LBB55_2572
; %bb.2568:
	;; [unrolled: 3-line block ×3, first 2 shown]
	s_cmp_gt_i32 s7, 9
	s_cbranch_scc0 .LBB55_2574
; %bb.2570:
	s_wait_loadcnt 0x0
	global_load_b64 v[6:7], v[10:11], off
	s_mov_b32 s7, 0
	s_wait_loadcnt 0x0
	v_cvt_i32_f64_e32 v8, v[6:7]
	s_branch .LBB55_2575
.LBB55_2571:
                                        ; implicit-def: $vgpr8
	s_branch .LBB55_2592
.LBB55_2572:
                                        ; implicit-def: $vgpr8
	s_branch .LBB55_2581
.LBB55_2573:
	s_mov_b32 s7, -1
                                        ; implicit-def: $vgpr8
	s_branch .LBB55_2578
.LBB55_2574:
	s_mov_b32 s7, -1
                                        ; implicit-def: $vgpr8
.LBB55_2575:
	s_delay_alu instid0(SALU_CYCLE_1)
	s_and_not1_b32 vcc_lo, exec_lo, s7
	s_cbranch_vccnz .LBB55_2577
; %bb.2576:
	s_wait_loadcnt 0x0
	global_load_b32 v1, v[10:11], off
	s_wait_loadcnt 0x0
	v_cvt_i32_f32_e32 v8, v1
.LBB55_2577:
	s_mov_b32 s7, 0
.LBB55_2578:
	s_delay_alu instid0(SALU_CYCLE_1)
	s_and_not1_b32 vcc_lo, exec_lo, s7
	s_cbranch_vccnz .LBB55_2580
; %bb.2579:
	s_wait_loadcnt 0x0
	global_load_b32 v1, v[10:11], off
	s_wait_loadcnt 0x0
	v_cvt_f32_f16_e32 v1, v1
	s_delay_alu instid0(VALU_DEP_1)
	v_cvt_i32_f32_e32 v8, v1
.LBB55_2580:
	s_cbranch_execnz .LBB55_2591
.LBB55_2581:
	s_sext_i32_i16 s7, s0
	s_delay_alu instid0(SALU_CYCLE_1)
	s_cmp_lt_i32 s7, 6
	s_cbranch_scc1 .LBB55_2584
; %bb.2582:
	s_cmp_gt_i32 s7, 6
	s_cbranch_scc0 .LBB55_2585
; %bb.2583:
	s_wait_loadcnt 0x0
	global_load_b64 v[6:7], v[10:11], off
	s_mov_b32 s7, 0
	s_wait_loadcnt 0x0
	v_cvt_i32_f64_e32 v8, v[6:7]
	s_branch .LBB55_2586
.LBB55_2584:
	s_mov_b32 s7, -1
                                        ; implicit-def: $vgpr8
	s_branch .LBB55_2589
.LBB55_2585:
	s_mov_b32 s7, -1
                                        ; implicit-def: $vgpr8
.LBB55_2586:
	s_delay_alu instid0(SALU_CYCLE_1)
	s_and_not1_b32 vcc_lo, exec_lo, s7
	s_cbranch_vccnz .LBB55_2588
; %bb.2587:
	s_wait_loadcnt 0x0
	global_load_b32 v1, v[10:11], off
	s_wait_loadcnt 0x0
	v_cvt_i32_f32_e32 v8, v1
.LBB55_2588:
	s_mov_b32 s7, 0
.LBB55_2589:
	s_delay_alu instid0(SALU_CYCLE_1)
	s_and_not1_b32 vcc_lo, exec_lo, s7
	s_cbranch_vccnz .LBB55_2591
; %bb.2590:
	s_wait_loadcnt 0x0
	global_load_u16 v1, v[10:11], off
	s_wait_loadcnt 0x0
	v_cvt_f32_f16_e32 v1, v1
	s_delay_alu instid0(VALU_DEP_1)
	v_cvt_i32_f32_e32 v8, v1
.LBB55_2591:
	s_cbranch_execnz .LBB55_2610
.LBB55_2592:
	s_sext_i32_i16 s7, s0
	s_delay_alu instid0(SALU_CYCLE_1)
	s_cmp_lt_i32 s7, 2
	s_cbranch_scc1 .LBB55_2596
; %bb.2593:
	s_cmp_lt_i32 s7, 3
	s_cbranch_scc1 .LBB55_2597
; %bb.2594:
	s_cmp_gt_i32 s7, 3
	s_cbranch_scc0 .LBB55_2598
; %bb.2595:
	s_wait_loadcnt 0x0
	global_load_b32 v8, v[10:11], off
	s_mov_b32 s7, 0
	s_branch .LBB55_2599
.LBB55_2596:
                                        ; implicit-def: $vgpr8
	s_branch .LBB55_2605
.LBB55_2597:
	s_mov_b32 s7, -1
                                        ; implicit-def: $vgpr8
	s_branch .LBB55_2602
.LBB55_2598:
	s_mov_b32 s7, -1
                                        ; implicit-def: $vgpr8
.LBB55_2599:
	s_delay_alu instid0(SALU_CYCLE_1)
	s_and_not1_b32 vcc_lo, exec_lo, s7
	s_cbranch_vccnz .LBB55_2601
; %bb.2600:
	s_wait_loadcnt 0x0
	global_load_b32 v8, v[10:11], off
.LBB55_2601:
	s_mov_b32 s7, 0
.LBB55_2602:
	s_delay_alu instid0(SALU_CYCLE_1)
	s_and_not1_b32 vcc_lo, exec_lo, s7
	s_cbranch_vccnz .LBB55_2604
; %bb.2603:
	s_wait_loadcnt 0x0
	global_load_i16 v8, v[10:11], off
.LBB55_2604:
	s_cbranch_execnz .LBB55_2610
.LBB55_2605:
	s_sext_i32_i16 s0, s0
	s_delay_alu instid0(SALU_CYCLE_1)
	s_cmp_gt_i32 s0, 0
	s_mov_b32 s0, 0
	s_cbranch_scc0 .LBB55_2607
; %bb.2606:
	s_wait_loadcnt 0x0
	global_load_i8 v8, v[10:11], off
	s_branch .LBB55_2608
.LBB55_2607:
	s_mov_b32 s0, -1
                                        ; implicit-def: $vgpr8
.LBB55_2608:
	s_delay_alu instid0(SALU_CYCLE_1)
	s_and_not1_b32 vcc_lo, exec_lo, s0
	s_cbranch_vccnz .LBB55_2610
; %bb.2609:
	s_wait_loadcnt 0x0
	global_load_u8 v8, v[10:11], off
.LBB55_2610:
	s_or_b32 s9, s9, exec_lo
.LBB55_2611:
	s_wait_xcnt 0x0
	s_or_b32 exec_lo, exec_lo, s6
	s_mov_b32 s7, 0
	s_mov_b32 s10, 0
	;; [unrolled: 1-line block ×3, first 2 shown]
                                        ; implicit-def: $sgpr0
                                        ; implicit-def: $vgpr6_vgpr7
                                        ; implicit-def: $vgpr10
	s_and_saveexec_b32 s6, s9
	s_cbranch_execz .LBB55_2619
; %bb.2612:
	s_load_b128 s[8:11], s[2:3], 0x268
	v_mov_b32_e32 v5, 0
	s_and_b32 s0, s80, 0xff
	s_delay_alu instid0(SALU_CYCLE_1)
	s_cmp_lt_i32 s0, 11
	s_wait_loadcnt 0x0
	s_wait_kmcnt 0x0
	v_add_nc_u64_e32 v[6:7], s[10:11], v[4:5]
	s_cbranch_scc1 .LBB55_2622
; %bb.2613:
	s_and_b32 s8, 0xffff, s0
	s_mov_b32 s9, 0
	s_cmp_gt_i32 s8, 25
	s_cbranch_scc0 .LBB55_2623
; %bb.2614:
	s_cmp_gt_i32 s8, 28
	s_cbranch_scc0 .LBB55_2624
; %bb.2615:
	;; [unrolled: 3-line block ×4, first 2 shown]
	s_cmp_eq_u32 s8, 46
	s_mov_b32 s11, 0
	s_cbranch_scc0 .LBB55_2627
; %bb.2618:
	global_load_b32 v1, v[6:7], off
	s_mov_b32 s10, -1
	s_wait_loadcnt 0x0
	v_lshlrev_b32_e32 v1, 16, v1
	s_delay_alu instid0(VALU_DEP_1)
	v_cvt_i32_f32_e32 v10, v1
	s_branch .LBB55_2629
.LBB55_2619:
	s_or_b32 exec_lo, exec_lo, s6
	s_and_saveexec_b32 s6, s86
	s_cbranch_execnz .LBB55_2688
.LBB55_2620:
	s_or_b32 exec_lo, exec_lo, s6
	s_and_saveexec_b32 s4, s7
	s_delay_alu instid0(SALU_CYCLE_1)
	s_xor_b32 s6, exec_lo, s4
	s_cbranch_execz .LBB55_2689
.LBB55_2621:
	s_wait_loadcnt 0x0
	global_load_u8 v1, v[6:7], off
	s_or_b32 s8, s8, exec_lo
	s_wait_loadcnt 0x0
	v_cmp_ne_u16_e32 vcc_lo, 0, v1
	v_cndmask_b32_e64 v10, 0, 1, vcc_lo
	s_wait_xcnt 0x0
	s_or_b32 exec_lo, exec_lo, s6
	s_and_saveexec_b32 s6, s10
	s_cbranch_execz .LBB55_2735
	s_branch .LBB55_2690
.LBB55_2622:
	s_mov_b32 s11, -1
	s_mov_b32 s10, 0
	s_mov_b32 s9, 0
	;; [unrolled: 1-line block ×3, first 2 shown]
                                        ; implicit-def: $vgpr10
	s_branch .LBB55_2687
.LBB55_2623:
	s_mov_b32 s10, 0
	s_mov_b32 s7, s86
                                        ; implicit-def: $vgpr10
	s_cbranch_execnz .LBB55_2656
	s_branch .LBB55_2686
.LBB55_2624:
	s_mov_b32 s11, -1
	s_mov_b32 s10, 0
	s_mov_b32 s7, s86
                                        ; implicit-def: $vgpr10
	s_branch .LBB55_2639
.LBB55_2625:
	s_mov_b32 s11, -1
	s_mov_b32 s10, 0
	s_mov_b32 s7, s86
                                        ; implicit-def: $vgpr10
	s_branch .LBB55_2634
.LBB55_2626:
	s_mov_b32 s11, -1
	s_mov_b32 s10, 0
	s_mov_b32 s7, s86
	s_branch .LBB55_2628
.LBB55_2627:
	s_mov_b32 s7, -1
	s_mov_b32 s10, 0
.LBB55_2628:
                                        ; implicit-def: $vgpr10
.LBB55_2629:
	s_and_b32 vcc_lo, exec_lo, s11
	s_cbranch_vccz .LBB55_2633
; %bb.2630:
	s_cmp_eq_u32 s8, 44
	s_cbranch_scc0 .LBB55_2632
; %bb.2631:
	global_load_u8 v1, v[6:7], off
	s_mov_b32 s7, 0
	s_mov_b32 s10, -1
	s_wait_loadcnt 0x0
	v_lshlrev_b32_e32 v4, 23, v1
	v_cmp_ne_u32_e32 vcc_lo, 0, v1
	s_delay_alu instid0(VALU_DEP_2) | instskip(NEXT) | instid1(VALU_DEP_1)
	v_cvt_i32_f32_e32 v4, v4
	v_cndmask_b32_e32 v10, 0, v4, vcc_lo
	s_branch .LBB55_2633
.LBB55_2632:
	s_mov_b32 s7, -1
                                        ; implicit-def: $vgpr10
.LBB55_2633:
	s_mov_b32 s11, 0
.LBB55_2634:
	s_delay_alu instid0(SALU_CYCLE_1)
	s_and_b32 vcc_lo, exec_lo, s11
	s_cbranch_vccz .LBB55_2638
; %bb.2635:
	s_cmp_eq_u32 s8, 29
	s_cbranch_scc0 .LBB55_2637
; %bb.2636:
	global_load_b32 v10, v[6:7], off
	s_mov_b32 s7, 0
	s_mov_b32 s10, -1
	s_branch .LBB55_2638
.LBB55_2637:
	s_mov_b32 s7, -1
                                        ; implicit-def: $vgpr10
.LBB55_2638:
	s_mov_b32 s11, 0
.LBB55_2639:
	s_delay_alu instid0(SALU_CYCLE_1)
	s_and_b32 vcc_lo, exec_lo, s11
	s_cbranch_vccz .LBB55_2655
; %bb.2640:
	s_cmp_lt_i32 s8, 27
	s_cbranch_scc1 .LBB55_2643
; %bb.2641:
	s_cmp_gt_i32 s8, 27
	s_cbranch_scc0 .LBB55_2644
; %bb.2642:
	s_wait_loadcnt 0x0
	global_load_b32 v10, v[6:7], off
	s_mov_b32 s10, 0
	s_branch .LBB55_2645
.LBB55_2643:
	s_mov_b32 s10, -1
                                        ; implicit-def: $vgpr10
	s_branch .LBB55_2648
.LBB55_2644:
	s_mov_b32 s10, -1
                                        ; implicit-def: $vgpr10
.LBB55_2645:
	s_delay_alu instid0(SALU_CYCLE_1)
	s_and_not1_b32 vcc_lo, exec_lo, s10
	s_cbranch_vccnz .LBB55_2647
; %bb.2646:
	s_wait_loadcnt 0x0
	global_load_u16 v10, v[6:7], off
.LBB55_2647:
	s_mov_b32 s10, 0
.LBB55_2648:
	s_delay_alu instid0(SALU_CYCLE_1)
	s_and_not1_b32 vcc_lo, exec_lo, s10
	s_cbranch_vccnz .LBB55_2654
; %bb.2649:
	global_load_u8 v1, v[6:7], off
	s_mov_b32 s11, 0
	s_mov_b32 s4, exec_lo
	s_wait_loadcnt 0x0
	v_cmpx_lt_i16_e32 0x7f, v1
	s_xor_b32 s10, exec_lo, s4
	s_cbranch_execz .LBB55_2665
; %bb.2650:
	v_cmp_ne_u16_e32 vcc_lo, 0x80, v1
	s_and_b32 s11, vcc_lo, exec_lo
	s_and_not1_saveexec_b32 s10, s10
	s_cbranch_execnz .LBB55_2666
.LBB55_2651:
	s_or_b32 exec_lo, exec_lo, s10
	v_mov_b32_e32 v10, 0
	s_and_saveexec_b32 s10, s11
	s_cbranch_execz .LBB55_2653
.LBB55_2652:
	v_and_b32_e32 v4, 0xffff, v1
	s_delay_alu instid0(VALU_DEP_1) | instskip(SKIP_1) | instid1(VALU_DEP_2)
	v_and_b32_e32 v5, 7, v4
	v_bfe_u32 v11, v4, 3, 4
	v_clz_i32_u32_e32 v9, v5
	s_delay_alu instid0(VALU_DEP_2) | instskip(NEXT) | instid1(VALU_DEP_2)
	v_cmp_eq_u32_e32 vcc_lo, 0, v11
	v_min_u32_e32 v9, 32, v9
	s_delay_alu instid0(VALU_DEP_1) | instskip(NEXT) | instid1(VALU_DEP_1)
	v_subrev_nc_u32_e32 v10, 28, v9
	v_dual_lshlrev_b32 v4, v10, v4 :: v_dual_sub_nc_u32 v9, 29, v9
	s_delay_alu instid0(VALU_DEP_1) | instskip(NEXT) | instid1(VALU_DEP_1)
	v_dual_lshlrev_b32 v1, 24, v1 :: v_dual_bitop2_b32 v4, 7, v4 bitop3:0x40
	v_dual_cndmask_b32 v4, v5, v4 :: v_dual_cndmask_b32 v9, v11, v9
	s_delay_alu instid0(VALU_DEP_2) | instskip(NEXT) | instid1(VALU_DEP_2)
	v_and_b32_e32 v1, 0x80000000, v1
	v_lshlrev_b32_e32 v4, 20, v4
	s_delay_alu instid0(VALU_DEP_3) | instskip(NEXT) | instid1(VALU_DEP_1)
	v_lshl_add_u32 v5, v9, 23, 0x3b800000
	v_or3_b32 v1, v1, v5, v4
	s_delay_alu instid0(VALU_DEP_1)
	v_cvt_i32_f32_e32 v10, v1
.LBB55_2653:
	s_or_b32 exec_lo, exec_lo, s10
.LBB55_2654:
	s_mov_b32 s10, -1
.LBB55_2655:
	s_branch .LBB55_2686
.LBB55_2656:
	s_cmp_gt_i32 s8, 22
	s_cbranch_scc0 .LBB55_2664
; %bb.2657:
	s_cmp_lt_i32 s8, 24
	s_cbranch_scc1 .LBB55_2667
; %bb.2658:
	s_cmp_gt_i32 s8, 24
	s_cbranch_scc0 .LBB55_2668
; %bb.2659:
	global_load_u8 v1, v[6:7], off
	s_mov_b32 s10, 0
	s_mov_b32 s4, exec_lo
	s_wait_loadcnt 0x0
	v_cmpx_lt_i16_e32 0x7f, v1
	s_xor_b32 s9, exec_lo, s4
	s_cbranch_execz .LBB55_2680
; %bb.2660:
	v_cmp_ne_u16_e32 vcc_lo, 0x80, v1
	s_and_b32 s10, vcc_lo, exec_lo
	s_and_not1_saveexec_b32 s9, s9
	s_cbranch_execnz .LBB55_2681
.LBB55_2661:
	s_or_b32 exec_lo, exec_lo, s9
	v_mov_b32_e32 v10, 0
	s_and_saveexec_b32 s9, s10
	s_cbranch_execz .LBB55_2663
.LBB55_2662:
	v_and_b32_e32 v4, 0xffff, v1
	s_delay_alu instid0(VALU_DEP_1) | instskip(SKIP_1) | instid1(VALU_DEP_2)
	v_and_b32_e32 v5, 3, v4
	v_bfe_u32 v11, v4, 2, 5
	v_clz_i32_u32_e32 v9, v5
	s_delay_alu instid0(VALU_DEP_2) | instskip(NEXT) | instid1(VALU_DEP_2)
	v_cmp_eq_u32_e32 vcc_lo, 0, v11
	v_min_u32_e32 v9, 32, v9
	s_delay_alu instid0(VALU_DEP_1) | instskip(NEXT) | instid1(VALU_DEP_1)
	v_subrev_nc_u32_e32 v10, 29, v9
	v_dual_lshlrev_b32 v4, v10, v4 :: v_dual_sub_nc_u32 v9, 30, v9
	s_delay_alu instid0(VALU_DEP_1) | instskip(NEXT) | instid1(VALU_DEP_1)
	v_dual_lshlrev_b32 v1, 24, v1 :: v_dual_bitop2_b32 v4, 3, v4 bitop3:0x40
	v_dual_cndmask_b32 v4, v5, v4 :: v_dual_cndmask_b32 v9, v11, v9
	s_delay_alu instid0(VALU_DEP_2) | instskip(NEXT) | instid1(VALU_DEP_2)
	v_and_b32_e32 v1, 0x80000000, v1
	v_lshlrev_b32_e32 v4, 21, v4
	s_delay_alu instid0(VALU_DEP_3) | instskip(NEXT) | instid1(VALU_DEP_1)
	v_lshl_add_u32 v5, v9, 23, 0x37800000
	v_or3_b32 v1, v1, v5, v4
	s_delay_alu instid0(VALU_DEP_1)
	v_cvt_i32_f32_e32 v10, v1
.LBB55_2663:
	s_or_b32 exec_lo, exec_lo, s9
	s_mov_b32 s9, 0
	s_branch .LBB55_2669
.LBB55_2664:
	s_mov_b32 s9, -1
                                        ; implicit-def: $vgpr10
	s_branch .LBB55_2675
.LBB55_2665:
	s_and_not1_saveexec_b32 s10, s10
	s_cbranch_execz .LBB55_2651
.LBB55_2666:
	v_cmp_ne_u16_e32 vcc_lo, 0, v1
	s_and_not1_b32 s4, s11, exec_lo
	s_and_b32 s5, vcc_lo, exec_lo
	s_delay_alu instid0(SALU_CYCLE_1)
	s_or_b32 s11, s4, s5
	s_or_b32 exec_lo, exec_lo, s10
	v_mov_b32_e32 v10, 0
	s_and_saveexec_b32 s10, s11
	s_cbranch_execnz .LBB55_2652
	s_branch .LBB55_2653
.LBB55_2667:
	s_mov_b32 s9, -1
                                        ; implicit-def: $vgpr10
	s_branch .LBB55_2672
.LBB55_2668:
	s_mov_b32 s9, -1
                                        ; implicit-def: $vgpr10
.LBB55_2669:
	s_delay_alu instid0(SALU_CYCLE_1)
	s_and_b32 vcc_lo, exec_lo, s9
	s_cbranch_vccz .LBB55_2671
; %bb.2670:
	global_load_u8 v1, v[6:7], off
	s_wait_loadcnt 0x0
	v_lshlrev_b32_e32 v1, 24, v1
	s_delay_alu instid0(VALU_DEP_1) | instskip(NEXT) | instid1(VALU_DEP_1)
	v_and_b32_e32 v4, 0x7f000000, v1
	v_clz_i32_u32_e32 v5, v4
	v_add_nc_u32_e32 v10, 0x1000000, v4
	v_cmp_ne_u32_e32 vcc_lo, 0, v4
	s_delay_alu instid0(VALU_DEP_3) | instskip(NEXT) | instid1(VALU_DEP_1)
	v_min_u32_e32 v5, 32, v5
	v_sub_nc_u32_e64 v5, v5, 4 clamp
	s_delay_alu instid0(VALU_DEP_1) | instskip(NEXT) | instid1(VALU_DEP_1)
	v_dual_lshlrev_b32 v9, v5, v4 :: v_dual_lshlrev_b32 v5, 23, v5
	v_lshrrev_b32_e32 v9, 4, v9
	s_delay_alu instid0(VALU_DEP_1) | instskip(NEXT) | instid1(VALU_DEP_1)
	v_dual_sub_nc_u32 v5, v9, v5 :: v_dual_ashrrev_i32 v9, 8, v10
	v_add_nc_u32_e32 v5, 0x3c000000, v5
	s_delay_alu instid0(VALU_DEP_1) | instskip(NEXT) | instid1(VALU_DEP_1)
	v_and_or_b32 v5, 0x7f800000, v9, v5
	v_cndmask_b32_e32 v4, 0, v5, vcc_lo
	s_delay_alu instid0(VALU_DEP_1) | instskip(NEXT) | instid1(VALU_DEP_1)
	v_and_or_b32 v1, 0x80000000, v1, v4
	v_cvt_i32_f32_e32 v10, v1
.LBB55_2671:
	s_mov_b32 s9, 0
.LBB55_2672:
	s_delay_alu instid0(SALU_CYCLE_1)
	s_and_not1_b32 vcc_lo, exec_lo, s9
	s_cbranch_vccnz .LBB55_2674
; %bb.2673:
	global_load_u8 v1, v[6:7], off
	s_wait_loadcnt 0x0
	v_lshlrev_b32_e32 v4, 25, v1
	v_lshlrev_b16 v1, 8, v1
	s_delay_alu instid0(VALU_DEP_2) | instskip(NEXT) | instid1(VALU_DEP_2)
	v_cmp_gt_u32_e32 vcc_lo, 0x8000000, v4
	v_and_or_b32 v9, 0x7f00, v1, 0.5
	v_lshrrev_b32_e32 v5, 4, v4
	v_bfe_i32 v1, v1, 0, 16
	s_delay_alu instid0(VALU_DEP_3) | instskip(NEXT) | instid1(VALU_DEP_3)
	v_add_f32_e32 v9, -0.5, v9
	v_or_b32_e32 v5, 0x70000000, v5
	s_delay_alu instid0(VALU_DEP_1) | instskip(NEXT) | instid1(VALU_DEP_1)
	v_mul_f32_e32 v5, 0x7800000, v5
	v_cndmask_b32_e32 v4, v5, v9, vcc_lo
	s_delay_alu instid0(VALU_DEP_1) | instskip(NEXT) | instid1(VALU_DEP_1)
	v_and_or_b32 v1, 0x80000000, v1, v4
	v_cvt_i32_f32_e32 v10, v1
.LBB55_2674:
	s_mov_b32 s9, 0
	s_mov_b32 s10, -1
.LBB55_2675:
	s_and_not1_b32 vcc_lo, exec_lo, s9
	s_mov_b32 s9, 0
	s_cbranch_vccnz .LBB55_2686
; %bb.2676:
	s_cmp_gt_i32 s8, 14
	s_cbranch_scc0 .LBB55_2679
; %bb.2677:
	s_cmp_eq_u32 s8, 15
	s_cbranch_scc0 .LBB55_2682
; %bb.2678:
	global_load_u16 v1, v[6:7], off
	s_mov_b32 s7, 0
	s_mov_b32 s10, -1
	s_wait_loadcnt 0x0
	v_lshlrev_b32_e32 v1, 16, v1
	s_delay_alu instid0(VALU_DEP_1)
	v_cvt_i32_f32_e32 v10, v1
	s_branch .LBB55_2684
.LBB55_2679:
	s_mov_b32 s9, -1
	s_branch .LBB55_2683
.LBB55_2680:
	s_and_not1_saveexec_b32 s9, s9
	s_cbranch_execz .LBB55_2661
.LBB55_2681:
	v_cmp_ne_u16_e32 vcc_lo, 0, v1
	s_and_not1_b32 s4, s10, exec_lo
	s_and_b32 s5, vcc_lo, exec_lo
	s_delay_alu instid0(SALU_CYCLE_1)
	s_or_b32 s10, s4, s5
	s_or_b32 exec_lo, exec_lo, s9
	v_mov_b32_e32 v10, 0
	s_and_saveexec_b32 s9, s10
	s_cbranch_execnz .LBB55_2662
	s_branch .LBB55_2663
.LBB55_2682:
	s_mov_b32 s7, -1
.LBB55_2683:
                                        ; implicit-def: $vgpr10
.LBB55_2684:
	s_and_b32 vcc_lo, exec_lo, s9
	s_mov_b32 s9, 0
	s_cbranch_vccz .LBB55_2686
; %bb.2685:
	s_cmp_lg_u32 s8, 11
	s_mov_b32 s9, -1
	s_cselect_b32 s4, -1, 0
	s_and_not1_b32 s5, s7, exec_lo
	s_and_b32 s4, s4, exec_lo
	s_delay_alu instid0(SALU_CYCLE_1)
	s_or_b32 s7, s5, s4
.LBB55_2686:
	s_mov_b32 s11, 0
.LBB55_2687:
	s_and_not1_b32 s4, s86, exec_lo
	s_and_b32 s5, s7, exec_lo
	s_and_b32 s8, s10, exec_lo
	;; [unrolled: 1-line block ×4, first 2 shown]
	s_or_b32 s86, s4, s5
	s_wait_xcnt 0x0
	s_or_b32 exec_lo, exec_lo, s6
	s_and_saveexec_b32 s6, s86
	s_cbranch_execz .LBB55_2620
.LBB55_2688:
	s_or_b32 s1, s1, exec_lo
	s_and_not1_b32 s7, s7, exec_lo
	s_trap 2
	s_or_b32 exec_lo, exec_lo, s6
	s_and_saveexec_b32 s4, s7
	s_delay_alu instid0(SALU_CYCLE_1)
	s_xor_b32 s6, exec_lo, s4
	s_cbranch_execnz .LBB55_2621
.LBB55_2689:
	s_or_b32 exec_lo, exec_lo, s6
	s_and_saveexec_b32 s6, s10
	s_cbranch_execz .LBB55_2735
.LBB55_2690:
	s_sext_i32_i16 s7, s0
	s_delay_alu instid0(SALU_CYCLE_1)
	s_cmp_lt_i32 s7, 5
	s_cbranch_scc1 .LBB55_2695
; %bb.2691:
	s_cmp_lt_i32 s7, 8
	s_cbranch_scc1 .LBB55_2696
; %bb.2692:
	;; [unrolled: 3-line block ×3, first 2 shown]
	s_cmp_gt_i32 s7, 9
	s_cbranch_scc0 .LBB55_2698
; %bb.2694:
	s_wait_loadcnt 0x0
	global_load_b64 v[4:5], v[6:7], off
	s_mov_b32 s7, 0
	s_wait_loadcnt 0x0
	v_cvt_i32_f64_e32 v10, v[4:5]
	s_branch .LBB55_2699
.LBB55_2695:
                                        ; implicit-def: $vgpr10
	s_branch .LBB55_2716
.LBB55_2696:
                                        ; implicit-def: $vgpr10
	s_branch .LBB55_2705
.LBB55_2697:
	s_mov_b32 s7, -1
                                        ; implicit-def: $vgpr10
	s_branch .LBB55_2702
.LBB55_2698:
	s_mov_b32 s7, -1
                                        ; implicit-def: $vgpr10
.LBB55_2699:
	s_delay_alu instid0(SALU_CYCLE_1)
	s_and_not1_b32 vcc_lo, exec_lo, s7
	s_cbranch_vccnz .LBB55_2701
; %bb.2700:
	s_wait_loadcnt 0x0
	global_load_b32 v1, v[6:7], off
	s_wait_loadcnt 0x0
	v_cvt_i32_f32_e32 v10, v1
.LBB55_2701:
	s_mov_b32 s7, 0
.LBB55_2702:
	s_delay_alu instid0(SALU_CYCLE_1)
	s_and_not1_b32 vcc_lo, exec_lo, s7
	s_cbranch_vccnz .LBB55_2704
; %bb.2703:
	s_wait_loadcnt 0x0
	global_load_b32 v1, v[6:7], off
	s_wait_loadcnt 0x0
	v_cvt_f32_f16_e32 v1, v1
	s_delay_alu instid0(VALU_DEP_1)
	v_cvt_i32_f32_e32 v10, v1
.LBB55_2704:
	s_cbranch_execnz .LBB55_2715
.LBB55_2705:
	s_sext_i32_i16 s7, s0
	s_delay_alu instid0(SALU_CYCLE_1)
	s_cmp_lt_i32 s7, 6
	s_cbranch_scc1 .LBB55_2708
; %bb.2706:
	s_cmp_gt_i32 s7, 6
	s_cbranch_scc0 .LBB55_2709
; %bb.2707:
	s_wait_loadcnt 0x0
	global_load_b64 v[4:5], v[6:7], off
	s_mov_b32 s7, 0
	s_wait_loadcnt 0x0
	v_cvt_i32_f64_e32 v10, v[4:5]
	s_branch .LBB55_2710
.LBB55_2708:
	s_mov_b32 s7, -1
                                        ; implicit-def: $vgpr10
	s_branch .LBB55_2713
.LBB55_2709:
	s_mov_b32 s7, -1
                                        ; implicit-def: $vgpr10
.LBB55_2710:
	s_delay_alu instid0(SALU_CYCLE_1)
	s_and_not1_b32 vcc_lo, exec_lo, s7
	s_cbranch_vccnz .LBB55_2712
; %bb.2711:
	s_wait_loadcnt 0x0
	global_load_b32 v1, v[6:7], off
	s_wait_loadcnt 0x0
	v_cvt_i32_f32_e32 v10, v1
.LBB55_2712:
	s_mov_b32 s7, 0
.LBB55_2713:
	s_delay_alu instid0(SALU_CYCLE_1)
	s_and_not1_b32 vcc_lo, exec_lo, s7
	s_cbranch_vccnz .LBB55_2715
; %bb.2714:
	s_wait_loadcnt 0x0
	global_load_u16 v1, v[6:7], off
	s_wait_loadcnt 0x0
	v_cvt_f32_f16_e32 v1, v1
	s_delay_alu instid0(VALU_DEP_1)
	v_cvt_i32_f32_e32 v10, v1
.LBB55_2715:
	s_cbranch_execnz .LBB55_2734
.LBB55_2716:
	s_sext_i32_i16 s7, s0
	s_delay_alu instid0(SALU_CYCLE_1)
	s_cmp_lt_i32 s7, 2
	s_cbranch_scc1 .LBB55_2720
; %bb.2717:
	s_cmp_lt_i32 s7, 3
	s_cbranch_scc1 .LBB55_2721
; %bb.2718:
	s_cmp_gt_i32 s7, 3
	s_cbranch_scc0 .LBB55_2722
; %bb.2719:
	s_wait_loadcnt 0x0
	global_load_b32 v10, v[6:7], off
	s_mov_b32 s7, 0
	s_branch .LBB55_2723
.LBB55_2720:
                                        ; implicit-def: $vgpr10
	s_branch .LBB55_2729
.LBB55_2721:
	s_mov_b32 s7, -1
                                        ; implicit-def: $vgpr10
	s_branch .LBB55_2726
.LBB55_2722:
	s_mov_b32 s7, -1
                                        ; implicit-def: $vgpr10
.LBB55_2723:
	s_delay_alu instid0(SALU_CYCLE_1)
	s_and_not1_b32 vcc_lo, exec_lo, s7
	s_cbranch_vccnz .LBB55_2725
; %bb.2724:
	s_wait_loadcnt 0x0
	global_load_b32 v10, v[6:7], off
.LBB55_2725:
	s_mov_b32 s7, 0
.LBB55_2726:
	s_delay_alu instid0(SALU_CYCLE_1)
	s_and_not1_b32 vcc_lo, exec_lo, s7
	s_cbranch_vccnz .LBB55_2728
; %bb.2727:
	s_wait_loadcnt 0x0
	global_load_i16 v10, v[6:7], off
.LBB55_2728:
	s_cbranch_execnz .LBB55_2734
.LBB55_2729:
	s_sext_i32_i16 s0, s0
	s_delay_alu instid0(SALU_CYCLE_1)
	s_cmp_gt_i32 s0, 0
	s_mov_b32 s0, 0
	s_cbranch_scc0 .LBB55_2731
; %bb.2730:
	s_wait_loadcnt 0x0
	global_load_i8 v10, v[6:7], off
	s_branch .LBB55_2732
.LBB55_2731:
	s_mov_b32 s0, -1
                                        ; implicit-def: $vgpr10
.LBB55_2732:
	s_delay_alu instid0(SALU_CYCLE_1)
	s_and_not1_b32 vcc_lo, exec_lo, s0
	s_cbranch_vccnz .LBB55_2734
; %bb.2733:
	s_wait_loadcnt 0x0
	global_load_u8 v10, v[6:7], off
.LBB55_2734:
	s_or_b32 s8, s8, exec_lo
.LBB55_2735:
	s_wait_xcnt 0x0
	s_or_b32 exec_lo, exec_lo, s6
	s_mov_b32 s0, 0
	s_and_saveexec_b32 s4, s8
	s_delay_alu instid0(SALU_CYCLE_1)
	s_xor_b32 s6, exec_lo, s4
	s_cbranch_execz .LBB55_2737
; %bb.2736:
	s_wait_loadcnt 0x0
	v_cmp_ne_u32_e32 vcc_lo, s79, v3
	s_xor_b32 s4, s17, -1
	s_and_not1_b32 s5, s85, exec_lo
	s_mov_b32 s0, exec_lo
	s_or_b32 s4, s4, vcc_lo
	s_delay_alu instid0(SALU_CYCLE_1) | instskip(NEXT) | instid1(SALU_CYCLE_1)
	s_and_b32 s4, s4, exec_lo
	s_or_b32 s85, s5, s4
.LBB55_2737:
	s_or_b32 exec_lo, exec_lo, s6
	s_and_saveexec_b32 s6, s85
	s_cbranch_execnz .LBB55_2774
.LBB55_2738:
	s_or_b32 exec_lo, exec_lo, s6
	s_mov_b32 s7, 0
	s_and_saveexec_b32 s4, s0
	s_delay_alu instid0(SALU_CYCLE_1)
	s_xor_b32 s0, exec_lo, s4
	s_cbranch_execz .LBB55_2740
; %bb.2739:
	s_wait_loadcnt 0x0
	v_cmp_ne_u32_e32 vcc_lo, s14, v12
	s_xor_b32 s4, s51, -1
	s_and_not1_b32 s5, s84, exec_lo
	s_mov_b32 s7, exec_lo
	s_or_b32 s4, s4, vcc_lo
	s_delay_alu instid0(SALU_CYCLE_1) | instskip(NEXT) | instid1(SALU_CYCLE_1)
	s_and_b32 s4, s4, exec_lo
	s_or_b32 s84, s5, s4
.LBB55_2740:
	s_or_b32 exec_lo, exec_lo, s0
	s_and_saveexec_b32 s0, s84
	s_cbranch_execnz .LBB55_2775
.LBB55_2741:
	s_or_b32 exec_lo, exec_lo, s0
	s_mov_b32 s6, 0
	s_and_saveexec_b32 s0, s7
	s_delay_alu instid0(SALU_CYCLE_1)
	s_xor_b32 s7, exec_lo, s0
	s_cbranch_execz .LBB55_2753
; %bb.2742:
	s_wait_loadcnt 0x0
	v_sub_nc_u32_e32 v1, v8, v0
	s_and_not1_b32 s4, s69, exec_lo
	s_mov_b32 s6, exec_lo
	s_delay_alu instid0(VALU_DEP_1) | instskip(SKIP_2) | instid1(SALU_CYCLE_1)
	v_cmp_le_i32_e32 vcc_lo, s79, v1
	v_cmp_ge_i32_e64 s0, s12, v1
	s_and_b32 s0, vcc_lo, s0
	s_and_b32 s0, s78, s0
	s_delay_alu instid0(SALU_CYCLE_1) | instskip(NEXT) | instid1(SALU_CYCLE_1)
	s_xor_b32 s0, s0, -1
	s_and_b32 s0, s0, exec_lo
	s_delay_alu instid0(SALU_CYCLE_1)
	s_or_b32 s69, s4, s0
	s_or_b32 exec_lo, exec_lo, s7
	s_and_saveexec_b32 s0, s69
	s_cbranch_execz .LBB55_2754
.LBB55_2743:
	s_or_b32 s1, s1, exec_lo
	s_and_not1_b32 s6, s6, exec_lo
	s_trap 2
	s_or_b32 exec_lo, exec_lo, s0
	s_mov_b32 s8, 0
	s_and_saveexec_b32 s20, s6
	s_cbranch_execnz .LBB55_2755
.LBB55_2744:
	s_or_b32 exec_lo, exec_lo, s20
	s_and_saveexec_b32 s0, s68
	s_cbranch_execnz .LBB55_2773
.LBB55_2745:
	s_or_b32 exec_lo, exec_lo, s0
	s_mov_b32 s9, 0
	s_mov_b32 s7, 0
                                        ; implicit-def: $sgpr0
                                        ; implicit-def: $vgpr0_vgpr1
	s_and_saveexec_b32 s6, s8
	s_cbranch_execz .LBB55_2762
; %bb.2746:
	s_load_b256 s[8:15], s[2:3], 0x248
	s_wait_loadcnt 0x0
	v_mov_b32_e32 v3, 0
	s_and_b32 s0, s34, 0xff
	s_delay_alu instid0(SALU_CYCLE_1) | instskip(SKIP_1) | instid1(VALU_DEP_1)
	s_cmp_lt_i32 s0, 11
	s_wait_kmcnt 0x0
	v_add_nc_u64_e32 v[0:1], s[8:9], v[2:3]
	s_cbranch_scc1 .LBB55_2770
; %bb.2747:
	s_and_b32 s5, 0xffff, s0
	s_mov_b32 s7, -1
	s_cmp_gt_i32 s5, 25
	s_mov_b32 s4, s45
	s_cbranch_scc0 .LBB55_2795
; %bb.2748:
	s_cmp_gt_i32 s5, 28
	s_mov_b32 s4, s45
	s_cbranch_scc0 .LBB55_2785
; %bb.2749:
	;; [unrolled: 4-line block ×4, first 2 shown]
	s_cmp_eq_u32 s5, 46
	s_mov_b32 s4, -1
	s_cbranch_scc0 .LBB55_2776
; %bb.2752:
	v_mov_b32_e32 v2, 0
	s_mov_b32 s4, 0
	s_mov_b32 s7, 0
	global_store_b32 v[0:1], v2, off
	s_branch .LBB55_2777
.LBB55_2753:
	s_or_b32 exec_lo, exec_lo, s7
	s_and_saveexec_b32 s0, s69
	s_cbranch_execnz .LBB55_2743
.LBB55_2754:
	s_or_b32 exec_lo, exec_lo, s0
	s_mov_b32 s8, 0
	s_and_saveexec_b32 s20, s6
	s_cbranch_execz .LBB55_2744
.LBB55_2755:
	v_mov_b64_e32 v[4:5], 0
	s_and_not1_b32 vcc_lo, exec_lo, s77
	s_cbranch_vccnz .LBB55_2765
; %bb.2756:
	s_wait_loadcnt 0x0
	v_dual_mov_b32 v6, 0 :: v_dual_ashrrev_i32 v11, 31, v10
	v_mov_b64_e32 v[4:5], 0
	s_mov_b32 s49, 0
	s_mov_b64 s[6:7], 0xffffffff
	s_delay_alu instid0(VALU_DEP_2) | instskip(SKIP_1) | instid1(SALU_CYCLE_1)
	v_mul_u64_e32 v[10:11], s[14:15], v[10:11]
	s_lshl_b64 s[4:5], s[48:49], 3
	s_add_nc_u64 s[8:9], s[18:19], s[4:5]
	s_add_nc_u64 s[10:11], s[40:41], s[4:5]
	s_branch .LBB55_2758
.LBB55_2757:                            ;   in Loop: Header=BB55_2758 Depth=1
	s_or_b32 exec_lo, exec_lo, s0
	global_load_b64 v[14:15], v6, s[10:11]
	v_mul_u64_e32 v[16:17], s[12:13], v[12:13]
	s_add_co_i32 s16, s16, -1
	s_add_nc_u64 s[8:9], s[8:9], -8
	s_cmp_lg_u32 s16, 0
	s_wait_xcnt 0x0
	s_add_nc_u64 s[10:11], s[10:11], -8
	s_delay_alu instid0(VALU_DEP_1) | instskip(SKIP_1) | instid1(VALU_DEP_1)
	v_sub_nc_u64_e32 v[10:11], v[10:11], v[16:17]
	s_wait_loadcnt 0x0
	v_mad_nc_u64_u32 v[4:5], v10, v14, v[4:5]
	s_delay_alu instid0(VALU_DEP_1) | instskip(NEXT) | instid1(VALU_DEP_1)
	v_mad_u32 v1, v11, v14, v5
	v_mad_u32 v5, v10, v15, v1
	v_mov_b64_e32 v[10:11], v[12:13]
	s_cbranch_scc0 .LBB55_2765
.LBB55_2758:                            ; =>This Inner Loop Header: Depth=1
	global_load_b64 v[12:13], v6, s[8:9]
	s_mov_b32 s0, exec_lo
	s_wait_loadcnt 0x0
	v_or_b32_e32 v7, v11, v13
	v_readfirstlane_b32 s12, v12
	v_readfirstlane_b32 s13, v13
                                        ; implicit-def: $vgpr12_vgpr13
	s_wait_xcnt 0x0
	s_delay_alu instid0(VALU_DEP_3)
	v_cmpx_ne_u64_e32 0, v[6:7]
	s_xor_b32 s21, exec_lo, s0
	s_cbranch_execz .LBB55_2760
; %bb.2759:                             ;   in Loop: Header=BB55_2758 Depth=1
	s_ashr_i32 s14, s13, 31
	v_dual_mov_b32 v17, v6 :: v_dual_ashrrev_i32 v12, 31, v11
	s_mov_b32 s15, s14
	s_delay_alu instid0(SALU_CYCLE_1) | instskip(NEXT) | instid1(VALU_DEP_1)
	s_add_nc_u64 s[4:5], s[12:13], s[14:15]
	v_mov_b32_e32 v13, v12
	s_xor_b64 s[18:19], s[4:5], s[14:15]
	s_delay_alu instid0(SALU_CYCLE_1)
	s_cvt_f32_u32 s0, s18
	s_cvt_f32_u32 s4, s19
	s_sub_nc_u64 s[22:23], 0, s[18:19]
	v_add_nc_u64_e32 v[14:15], v[10:11], v[12:13]
	v_mov_b32_e32 v21, v6
	s_fmamk_f32 s0, s4, 0x4f800000, s0
	s_delay_alu instid0(SALU_CYCLE_3) | instskip(NEXT) | instid1(VALU_DEP_2)
	v_s_rcp_f32 s0, s0
	v_xor_b32_e32 v16, v14, v12
	s_delay_alu instid0(VALU_DEP_3) | instskip(NEXT) | instid1(TRANS32_DEP_1)
	v_dual_mov_b32 v25, v6 :: v_dual_bitop2_b32 v20, v15, v12 bitop3:0x14
	s_mul_f32 s0, s0, 0x5f7ffffc
	s_delay_alu instid0(SALU_CYCLE_3) | instskip(NEXT) | instid1(SALU_CYCLE_3)
	s_mul_f32 s4, s0, 0x2f800000
	s_trunc_f32 s4, s4
	s_delay_alu instid0(SALU_CYCLE_3) | instskip(SKIP_1) | instid1(SALU_CYCLE_2)
	s_fmamk_f32 s0, s4, 0xcf800000, s0
	s_cvt_u32_f32 s5, s4
	s_cvt_u32_f32 s4, s0
	s_delay_alu instid0(SALU_CYCLE_3) | instskip(NEXT) | instid1(SALU_CYCLE_1)
	s_mul_u64 s[24:25], s[22:23], s[4:5]
	s_mul_hi_u32 s27, s4, s25
	s_mul_i32 s26, s4, s25
	s_mul_hi_u32 s48, s4, s24
	s_mul_i32 s15, s5, s24
	s_add_nc_u64 s[26:27], s[48:49], s[26:27]
	s_mul_hi_u32 s0, s5, s24
	s_mul_hi_u32 s28, s5, s25
	s_add_co_u32 s15, s26, s15
	s_add_co_ci_u32 s48, s27, s0
	s_mul_i32 s24, s5, s25
	s_add_co_ci_u32 s25, s28, 0
	s_delay_alu instid0(SALU_CYCLE_1) | instskip(NEXT) | instid1(SALU_CYCLE_1)
	s_add_nc_u64 s[24:25], s[48:49], s[24:25]
	s_add_co_u32 s4, s4, s24
	s_cselect_b32 s0, -1, 0
	s_delay_alu instid0(SALU_CYCLE_1) | instskip(SKIP_1) | instid1(SALU_CYCLE_1)
	s_cmp_lg_u32 s0, 0
	s_add_co_ci_u32 s5, s5, s25
	s_mul_u64 s[22:23], s[22:23], s[4:5]
	s_delay_alu instid0(SALU_CYCLE_1)
	s_mul_hi_u32 s25, s4, s23
	s_mul_i32 s24, s4, s23
	s_mul_hi_u32 s48, s4, s22
	s_mul_i32 s15, s5, s22
	s_add_nc_u64 s[24:25], s[48:49], s[24:25]
	s_mul_hi_u32 s0, s5, s22
	s_mul_hi_u32 s26, s5, s23
	s_add_co_u32 s15, s24, s15
	s_add_co_ci_u32 s48, s25, s0
	s_mul_i32 s22, s5, s23
	s_add_co_ci_u32 s23, s26, 0
	s_delay_alu instid0(SALU_CYCLE_1) | instskip(NEXT) | instid1(SALU_CYCLE_1)
	s_add_nc_u64 s[22:23], s[48:49], s[22:23]
	s_add_co_u32 s0, s4, s22
	s_cselect_b32 s4, -1, 0
	v_mul_hi_u32 v24, v16, s0
	s_cmp_lg_u32 s4, 0
	s_add_co_ci_u32 s48, s5, s23
	s_and_b64 s[4:5], s[0:1], s[6:7]
	v_mul_u64_e32 v[18:19], s[48:49], v[16:17]
	v_mul_u64_e32 v[14:15], s[4:5], v[20:21]
	;; [unrolled: 1-line block ×3, first 2 shown]
	s_delay_alu instid0(VALU_DEP_3) | instskip(NEXT) | instid1(VALU_DEP_1)
	v_add_nc_u64_e32 v[18:19], v[24:25], v[18:19]
	v_add_co_u32 v1, vcc_lo, v18, v14
	s_delay_alu instid0(VALU_DEP_2) | instskip(NEXT) | instid1(VALU_DEP_4)
	v_add_co_ci_u32_e32 v24, vcc_lo, v19, v15, vcc_lo
	v_add_co_ci_u32_e32 v23, vcc_lo, 0, v23, vcc_lo
	s_delay_alu instid0(VALU_DEP_1) | instskip(NEXT) | instid1(VALU_DEP_1)
	v_add_nc_u64_e32 v[14:15], v[24:25], v[22:23]
	v_mul_u64_e32 v[18:19], s[18:19], v[14:15]
	s_delay_alu instid0(VALU_DEP_1) | instskip(NEXT) | instid1(VALU_DEP_2)
	v_sub_nc_u32_e32 v1, v20, v19
	v_sub_co_u32 v3, vcc_lo, v16, v18
	s_delay_alu instid0(VALU_DEP_1) | instskip(NEXT) | instid1(VALU_DEP_3)
	v_sub_co_ci_u32_e64 v9, null, v20, v19, vcc_lo
	v_subrev_co_ci_u32_e64 v1, null, s19, v1, vcc_lo
	s_delay_alu instid0(VALU_DEP_3) | instskip(SKIP_1) | instid1(VALU_DEP_3)
	v_sub_co_u32 v7, s0, v3, s18
	v_add_nc_u64_e32 v[16:17], 2, v[14:15]
	v_subrev_co_ci_u32_e64 v1, null, 0, v1, s0
	s_delay_alu instid0(VALU_DEP_3) | instskip(SKIP_2) | instid1(VALU_DEP_4)
	v_cmp_le_u32_e32 vcc_lo, s18, v7
	v_add_nc_u64_e32 v[18:19], 1, v[14:15]
	v_cndmask_b32_e64 v7, 0, -1, vcc_lo
	v_cmp_le_u32_e32 vcc_lo, s19, v1
	v_cndmask_b32_e64 v13, 0, -1, vcc_lo
	v_cmp_le_u32_e32 vcc_lo, s18, v3
	;; [unrolled: 2-line block ×3, first 2 shown]
	v_cndmask_b32_e64 v20, 0, -1, vcc_lo
	v_cmp_eq_u32_e32 vcc_lo, s19, v1
	v_cndmask_b32_e32 v1, v13, v7, vcc_lo
	v_cmp_eq_u32_e32 vcc_lo, s19, v9
	s_delay_alu instid0(VALU_DEP_4) | instskip(NEXT) | instid1(VALU_DEP_3)
	v_cndmask_b32_e32 v3, v20, v3, vcc_lo
	v_cmp_ne_u32_e32 vcc_lo, 0, v1
	v_cndmask_b32_e32 v1, v19, v17, vcc_lo
	s_delay_alu instid0(VALU_DEP_3) | instskip(SKIP_1) | instid1(VALU_DEP_2)
	v_cmp_ne_u32_e64 s0, 0, v3
	v_cndmask_b32_e32 v3, v18, v16, vcc_lo
	v_dual_cndmask_b32 v1, v15, v1, s0 :: v_dual_bitop2_b32 v12, s14, v12 bitop3:0x14
	s_delay_alu instid0(VALU_DEP_1) | instskip(NEXT) | instid1(VALU_DEP_2)
	v_dual_cndmask_b32 v3, v14, v3, s0 :: v_dual_mov_b32 v13, v12
	v_xor_b32_e32 v15, v1, v12
	s_delay_alu instid0(VALU_DEP_2) | instskip(NEXT) | instid1(VALU_DEP_1)
	v_xor_b32_e32 v14, v3, v12
	v_sub_nc_u64_e32 v[12:13], v[14:15], v[12:13]
.LBB55_2760:                            ;   in Loop: Header=BB55_2758 Depth=1
	s_and_not1_saveexec_b32 s0, s21
	s_cbranch_execz .LBB55_2757
; %bb.2761:                             ;   in Loop: Header=BB55_2758 Depth=1
	v_cvt_f32_u32_e32 v1, s12
	s_sub_co_i32 s4, 0, s12
	v_mov_b32_e32 v13, v6
	s_delay_alu instid0(VALU_DEP_2) | instskip(SKIP_1) | instid1(TRANS32_DEP_1)
	v_rcp_iflag_f32_e32 v1, v1
	v_nop
	v_mul_f32_e32 v1, 0x4f7ffffe, v1
	s_delay_alu instid0(VALU_DEP_1) | instskip(NEXT) | instid1(VALU_DEP_1)
	v_cvt_u32_f32_e32 v1, v1
	v_mul_lo_u32 v3, s4, v1
	s_delay_alu instid0(VALU_DEP_1) | instskip(NEXT) | instid1(VALU_DEP_1)
	v_mul_hi_u32 v3, v1, v3
	v_add_nc_u32_e32 v1, v1, v3
	s_delay_alu instid0(VALU_DEP_1) | instskip(NEXT) | instid1(VALU_DEP_1)
	v_mul_hi_u32 v1, v10, v1
	v_mul_lo_u32 v3, v1, s12
	s_delay_alu instid0(VALU_DEP_1) | instskip(NEXT) | instid1(VALU_DEP_1)
	v_dual_add_nc_u32 v7, 1, v1 :: v_dual_sub_nc_u32 v3, v10, v3
	v_subrev_nc_u32_e32 v9, s12, v3
	v_cmp_le_u32_e32 vcc_lo, s12, v3
	s_delay_alu instid0(VALU_DEP_2) | instskip(NEXT) | instid1(VALU_DEP_1)
	v_dual_cndmask_b32 v3, v3, v9, vcc_lo :: v_dual_cndmask_b32 v1, v1, v7, vcc_lo
	v_cmp_le_u32_e32 vcc_lo, s12, v3
	s_delay_alu instid0(VALU_DEP_2) | instskip(NEXT) | instid1(VALU_DEP_1)
	v_add_nc_u32_e32 v7, 1, v1
	v_cndmask_b32_e32 v12, v1, v7, vcc_lo
	s_branch .LBB55_2757
.LBB55_2762:
	s_or_b32 exec_lo, exec_lo, s6
	s_and_saveexec_b32 s4, s45
	s_cbranch_execnz .LBB55_2815
.LBB55_2763:
	s_or_b32 exec_lo, exec_lo, s4
	s_and_saveexec_b32 s4, s9
	s_delay_alu instid0(SALU_CYCLE_1)
	s_xor_b32 s4, exec_lo, s4
	s_cbranch_execz .LBB55_2816
.LBB55_2764:
	v_mov_b32_e32 v2, 0
	s_wait_loadcnt 0x0
	global_store_b8 v[0:1], v2, off
	s_wait_xcnt 0x0
	s_or_b32 exec_lo, exec_lo, s4
	s_and_saveexec_b32 s4, s7
	s_delay_alu instid0(SALU_CYCLE_1)
	s_xor_b32 s4, exec_lo, s4
	s_cbranch_execz .LBB55_2854
	s_branch .LBB55_2817
.LBB55_2765:
	s_mov_b32 s6, s68
	s_mov_b32 s0, exec_lo
	s_wait_loadcnt 0x0
	v_cmpx_gt_i32_e64 v8, v0
	s_cbranch_execz .LBB55_2772
; %bb.2766:
	s_delay_alu instid0(VALU_DEP_2) | instskip(SKIP_4) | instid1(VALU_DEP_2)
	v_lshlrev_b64_e32 v[4:5], 2, v[4:5]
	v_ashrrev_i32_e32 v1, 31, v0
	v_ashrrev_i32_e32 v9, 31, v8
	s_mov_b32 s6, 0
	s_xor_b32 s8, s76, -1
                                        ; implicit-def: $sgpr7
                                        ; implicit-def: $sgpr10
                                        ; implicit-def: $sgpr9
	v_lshl_add_u64 v[0:1], v[0:1], 2, v[4:5]
	v_add_nc_u64_e32 v[4:5], s[42:43], v[4:5]
	s_delay_alu instid0(VALU_DEP_2) | instskip(NEXT) | instid1(VALU_DEP_2)
	v_add_nc_u64_e32 v[0:1], s[42:43], v[0:1]
	v_lshl_add_u64 v[4:5], v[8:9], 2, v[4:5]
	s_delay_alu instid0(VALU_DEP_2)
	v_add_nc_u64_e32 v[0:1], 4, v[0:1]
	s_branch .LBB55_2768
.LBB55_2767:                            ;   in Loop: Header=BB55_2768 Depth=1
	s_or_b32 exec_lo, exec_lo, s11
	s_xor_b32 s4, s9, -1
	s_and_b32 s5, exec_lo, s10
	s_delay_alu instid0(SALU_CYCLE_1) | instskip(SKIP_2) | instid1(SALU_CYCLE_1)
	s_or_b32 s6, s5, s6
	s_and_not1_b32 s5, s7, exec_lo
	s_and_b32 s4, s4, exec_lo
	s_or_b32 s7, s5, s4
	s_and_not1_b32 exec_lo, exec_lo, s6
	s_cbranch_execz .LBB55_2771
.LBB55_2768:                            ; =>This Inner Loop Header: Depth=1
	s_or_b32 s9, s9, exec_lo
	s_or_b32 s10, s10, exec_lo
	s_mov_b32 s11, exec_lo
	s_delay_alu instid0(VALU_DEP_1)
	v_cmpx_lt_u64_e64 v[0:1], v[4:5]
	s_cbranch_execz .LBB55_2767
; %bb.2769:                             ;   in Loop: Header=BB55_2768 Depth=1
	global_load_b64 v[6:7], v[0:1], off offset:-4
	s_wait_xcnt 0x0
	v_add_nc_u64_e32 v[0:1], 4, v[0:1]
	s_and_not1_b32 s5, s10, exec_lo
	s_and_not1_b32 s9, s9, exec_lo
	s_wait_loadcnt 0x0
	v_cmp_ge_i32_e32 vcc_lo, v6, v7
	s_or_b32 s4, s8, vcc_lo
	s_delay_alu instid0(SALU_CYCLE_1) | instskip(NEXT) | instid1(SALU_CYCLE_1)
	s_and_b32 s4, s4, exec_lo
	s_or_b32 s10, s5, s4
	s_branch .LBB55_2767
.LBB55_2770:
	s_mov_b32 s8, 0
	s_mov_b32 s7, -1
	s_mov_b32 s4, s45
	s_branch .LBB55_2814
.LBB55_2771:
	s_or_b32 exec_lo, exec_lo, s6
	s_delay_alu instid0(SALU_CYCLE_1) | instskip(SKIP_1) | instid1(SALU_CYCLE_1)
	s_and_not1_b32 s4, s68, exec_lo
	s_and_b32 s5, s7, exec_lo
	s_or_b32 s6, s4, s5
.LBB55_2772:
	s_or_b32 exec_lo, exec_lo, s0
	s_delay_alu instid0(SALU_CYCLE_1)
	s_and_not1_b32 s0, s68, exec_lo
	s_and_b32 s4, s6, exec_lo
	s_mov_b32 s8, exec_lo
	s_or_b32 s68, s0, s4
	s_or_b32 exec_lo, exec_lo, s20
	s_and_saveexec_b32 s0, s68
	s_cbranch_execz .LBB55_2745
.LBB55_2773:
	s_or_b32 s1, s1, exec_lo
	s_and_not1_b32 s8, s8, exec_lo
	s_trap 2
	s_branch .LBB55_2745
.LBB55_2774:
	s_or_b32 s1, s1, exec_lo
	s_and_not1_b32 s0, s0, exec_lo
	s_trap 2
	s_branch .LBB55_2738
.LBB55_2775:
	s_or_b32 s1, s1, exec_lo
	s_and_not1_b32 s7, s7, exec_lo
	s_trap 2
	s_branch .LBB55_2741
.LBB55_2776:
	s_mov_b32 s7, 0
.LBB55_2777:
	s_delay_alu instid0(SALU_CYCLE_1)
	s_and_b32 vcc_lo, exec_lo, s7
	s_cbranch_vccz .LBB55_2780
; %bb.2778:
	s_cmp_eq_u32 s5, 44
	s_mov_b32 s4, -1
	s_cbranch_scc0 .LBB55_2780
; %bb.2779:
	s_wait_xcnt 0x0
	v_mov_b32_e32 v2, 0
	s_mov_b32 s4, 0
	s_mov_b32 s7, 0
	global_store_b8 v[0:1], v2, off
	s_branch .LBB55_2781
.LBB55_2780:
	s_mov_b32 s7, 0
.LBB55_2781:
	s_delay_alu instid0(SALU_CYCLE_1)
	s_and_b32 vcc_lo, exec_lo, s7
	s_cbranch_vccz .LBB55_2784
; %bb.2782:
	s_cmp_eq_u32 s5, 29
	s_mov_b32 s4, -1
	s_cbranch_scc0 .LBB55_2784
; %bb.2783:
	s_wait_xcnt 0x0
	v_mov_b64_e32 v[2:3], 0
	s_mov_b32 s4, 0
	s_mov_b32 s7, 0
	global_store_b64 v[0:1], v[2:3], off
	s_branch .LBB55_2785
.LBB55_2784:
	s_mov_b32 s7, 0
.LBB55_2785:
	s_delay_alu instid0(SALU_CYCLE_1)
	s_and_b32 vcc_lo, exec_lo, s7
	s_cbranch_vccz .LBB55_2794
; %bb.2786:
	s_cmp_lt_i32 s5, 27
	s_mov_b32 s7, -1
	s_cbranch_scc1 .LBB55_2792
; %bb.2787:
	s_cmp_gt_i32 s5, 27
	s_cbranch_scc0 .LBB55_2789
; %bb.2788:
	s_wait_xcnt 0x0
	v_mov_b32_e32 v2, 0
	s_mov_b32 s7, 0
	global_store_b32 v[0:1], v2, off
.LBB55_2789:
	s_and_not1_b32 vcc_lo, exec_lo, s7
	s_cbranch_vccnz .LBB55_2791
; %bb.2790:
	s_wait_xcnt 0x0
	v_mov_b32_e32 v2, 0
	global_store_b16 v[0:1], v2, off
.LBB55_2791:
	s_mov_b32 s7, 0
.LBB55_2792:
	s_delay_alu instid0(SALU_CYCLE_1)
	s_and_not1_b32 vcc_lo, exec_lo, s7
	s_cbranch_vccnz .LBB55_2794
; %bb.2793:
	s_wait_xcnt 0x0
	v_mov_b32_e32 v2, 0
	global_store_b8 v[0:1], v2, off
.LBB55_2794:
	s_mov_b32 s7, 0
.LBB55_2795:
	s_delay_alu instid0(SALU_CYCLE_1)
	s_and_b32 vcc_lo, exec_lo, s7
	s_mov_b32 s7, 0
	s_cbranch_vccz .LBB55_2813
; %bb.2796:
	s_cmp_gt_i32 s5, 22
	s_mov_b32 s8, -1
	s_cbranch_scc0 .LBB55_2806
; %bb.2797:
	s_cmp_lt_i32 s5, 24
	s_cbranch_scc1 .LBB55_2803
; %bb.2798:
	s_cmp_gt_i32 s5, 24
	s_cbranch_scc0 .LBB55_2800
; %bb.2799:
	s_wait_xcnt 0x0
	v_mov_b32_e32 v2, 0
	s_mov_b32 s8, 0
	global_store_b8 v[0:1], v2, off
.LBB55_2800:
	s_and_not1_b32 vcc_lo, exec_lo, s8
	s_cbranch_vccnz .LBB55_2802
; %bb.2801:
	s_wait_xcnt 0x0
	v_mov_b32_e32 v2, 0
	global_store_b8 v[0:1], v2, off
.LBB55_2802:
	s_mov_b32 s8, 0
.LBB55_2803:
	s_delay_alu instid0(SALU_CYCLE_1)
	s_and_not1_b32 vcc_lo, exec_lo, s8
	s_cbranch_vccnz .LBB55_2805
; %bb.2804:
	s_wait_xcnt 0x0
	v_mov_b32_e32 v2, 0
	global_store_b8 v[0:1], v2, off
.LBB55_2805:
	s_mov_b32 s8, 0
.LBB55_2806:
	s_delay_alu instid0(SALU_CYCLE_1)
	s_and_not1_b32 vcc_lo, exec_lo, s8
	s_mov_b32 s8, 0
	s_cbranch_vccnz .LBB55_2814
; %bb.2807:
	s_cmp_gt_i32 s5, 14
	s_mov_b32 s8, -1
	s_cbranch_scc0 .LBB55_2811
; %bb.2808:
	s_cmp_eq_u32 s5, 15
	s_mov_b32 s4, -1
	s_cbranch_scc0 .LBB55_2810
; %bb.2809:
	s_wait_xcnt 0x0
	v_mov_b32_e32 v2, 0
	s_mov_b32 s4, 0
	global_store_b16 v[0:1], v2, off
.LBB55_2810:
	s_mov_b32 s8, 0
.LBB55_2811:
	s_delay_alu instid0(SALU_CYCLE_1)
	s_and_b32 vcc_lo, exec_lo, s8
	s_mov_b32 s8, 0
	s_cbranch_vccz .LBB55_2814
; %bb.2812:
	s_cmp_lg_u32 s5, 11
	s_mov_b32 s8, -1
	s_cselect_b32 s5, -1, 0
	s_and_not1_b32 s4, s4, exec_lo
	s_and_b32 s5, s5, exec_lo
	s_delay_alu instid0(SALU_CYCLE_1)
	s_or_b32 s4, s4, s5
	s_branch .LBB55_2814
.LBB55_2813:
	s_mov_b32 s8, 0
.LBB55_2814:
	s_and_not1_b32 s5, s45, exec_lo
	s_and_b32 s4, s4, exec_lo
	s_and_b32 s7, s7, exec_lo
	;; [unrolled: 1-line block ×3, first 2 shown]
	s_or_b32 s45, s5, s4
	s_wait_xcnt 0x0
	s_or_b32 exec_lo, exec_lo, s6
	s_and_saveexec_b32 s4, s45
	s_cbranch_execz .LBB55_2763
.LBB55_2815:
	s_or_b32 s1, s1, exec_lo
	s_and_not1_b32 s9, s9, exec_lo
	s_trap 2
	s_or_b32 exec_lo, exec_lo, s4
	s_and_saveexec_b32 s4, s9
	s_delay_alu instid0(SALU_CYCLE_1)
	s_xor_b32 s4, exec_lo, s4
	s_cbranch_execnz .LBB55_2764
.LBB55_2816:
	s_or_b32 exec_lo, exec_lo, s4
	s_and_saveexec_b32 s4, s7
	s_delay_alu instid0(SALU_CYCLE_1)
	s_xor_b32 s4, exec_lo, s4
	s_cbranch_execz .LBB55_2854
.LBB55_2817:
	s_sext_i32_i16 s6, s0
	s_mov_b32 s5, -1
	s_cmp_lt_i32 s6, 5
	s_cbranch_scc1 .LBB55_2838
; %bb.2818:
	s_cmp_lt_i32 s6, 8
	s_cbranch_scc1 .LBB55_2828
; %bb.2819:
	;; [unrolled: 3-line block ×3, first 2 shown]
	s_cmp_gt_i32 s6, 9
	s_cbranch_scc0 .LBB55_2822
; %bb.2821:
	v_mov_b32_e32 v2, 0
	s_mov_b32 s5, 0
	s_wait_loadcnt 0x0
	s_delay_alu instid0(VALU_DEP_1)
	v_dual_mov_b32 v3, v2 :: v_dual_mov_b32 v4, v2
	v_mov_b32_e32 v5, v2
	global_store_b128 v[0:1], v[2:5], off
.LBB55_2822:
	s_and_not1_b32 vcc_lo, exec_lo, s5
	s_cbranch_vccnz .LBB55_2824
; %bb.2823:
	s_wait_loadcnt 0x0
	v_mov_b64_e32 v[2:3], 0
	global_store_b64 v[0:1], v[2:3], off
.LBB55_2824:
	s_mov_b32 s5, 0
.LBB55_2825:
	s_delay_alu instid0(SALU_CYCLE_1)
	s_and_not1_b32 vcc_lo, exec_lo, s5
	s_cbranch_vccnz .LBB55_2827
; %bb.2826:
	s_wait_xcnt 0x0
	v_mov_b32_e32 v2, 0
	s_wait_loadcnt 0x0
	global_store_b32 v[0:1], v2, off
.LBB55_2827:
	s_mov_b32 s5, 0
.LBB55_2828:
	s_delay_alu instid0(SALU_CYCLE_1)
	s_and_not1_b32 vcc_lo, exec_lo, s5
	s_cbranch_vccnz .LBB55_2837
; %bb.2829:
	s_sext_i32_i16 s6, s0
	s_mov_b32 s5, -1
	s_cmp_lt_i32 s6, 6
	s_cbranch_scc1 .LBB55_2835
; %bb.2830:
	s_cmp_gt_i32 s6, 6
	s_cbranch_scc0 .LBB55_2832
; %bb.2831:
	s_wait_loadcnt 0x0
	v_mov_b64_e32 v[2:3], 0
	s_mov_b32 s5, 0
	global_store_b64 v[0:1], v[2:3], off
.LBB55_2832:
	s_and_not1_b32 vcc_lo, exec_lo, s5
	s_cbranch_vccnz .LBB55_2834
; %bb.2833:
	s_wait_xcnt 0x0
	v_mov_b32_e32 v2, 0
	s_wait_loadcnt 0x0
	global_store_b32 v[0:1], v2, off
.LBB55_2834:
	s_mov_b32 s5, 0
.LBB55_2835:
	s_delay_alu instid0(SALU_CYCLE_1)
	s_and_not1_b32 vcc_lo, exec_lo, s5
	s_cbranch_vccnz .LBB55_2837
; %bb.2836:
	s_wait_xcnt 0x0
	v_mov_b32_e32 v2, 0
	s_wait_loadcnt 0x0
	global_store_b16 v[0:1], v2, off
.LBB55_2837:
	s_mov_b32 s5, 0
.LBB55_2838:
	s_delay_alu instid0(SALU_CYCLE_1)
	s_and_not1_b32 vcc_lo, exec_lo, s5
	s_cbranch_vccnz .LBB55_2854
; %bb.2839:
	s_sext_i32_i16 s6, s0
	s_mov_b32 s5, -1
	s_cmp_lt_i32 s6, 2
	s_cbranch_scc1 .LBB55_2849
; %bb.2840:
	s_cmp_lt_i32 s6, 3
	s_cbranch_scc1 .LBB55_2846
; %bb.2841:
	s_cmp_gt_i32 s6, 3
	s_cbranch_scc0 .LBB55_2843
; %bb.2842:
	s_wait_loadcnt 0x0
	v_mov_b64_e32 v[2:3], 0
	s_mov_b32 s5, 0
	global_store_b64 v[0:1], v[2:3], off
.LBB55_2843:
	s_and_not1_b32 vcc_lo, exec_lo, s5
	s_cbranch_vccnz .LBB55_2845
; %bb.2844:
	s_wait_xcnt 0x0
	v_mov_b32_e32 v2, 0
	s_wait_loadcnt 0x0
	global_store_b32 v[0:1], v2, off
.LBB55_2845:
	s_mov_b32 s5, 0
.LBB55_2846:
	s_delay_alu instid0(SALU_CYCLE_1)
	s_and_not1_b32 vcc_lo, exec_lo, s5
	s_cbranch_vccnz .LBB55_2848
; %bb.2847:
	s_wait_xcnt 0x0
	v_mov_b32_e32 v2, 0
	s_wait_loadcnt 0x0
	global_store_b16 v[0:1], v2, off
.LBB55_2848:
	s_mov_b32 s5, 0
.LBB55_2849:
	s_delay_alu instid0(SALU_CYCLE_1)
	s_and_not1_b32 vcc_lo, exec_lo, s5
	s_cbranch_vccnz .LBB55_2854
; %bb.2850:
	s_sext_i32_i16 s0, s0
	s_delay_alu instid0(SALU_CYCLE_1)
	s_cmp_gt_i32 s0, 0
	s_mov_b32 s0, -1
	s_cbranch_scc0 .LBB55_2852
; %bb.2851:
	s_wait_xcnt 0x0
	v_mov_b32_e32 v2, 0
	s_mov_b32 s0, 0
	s_wait_loadcnt 0x0
	global_store_b8 v[0:1], v2, off
.LBB55_2852:
	s_and_not1_b32 vcc_lo, exec_lo, s0
	s_cbranch_vccnz .LBB55_2854
; %bb.2853:
	s_wait_xcnt 0x0
	v_mov_b32_e32 v2, 0
	s_wait_loadcnt 0x0
	global_store_b8 v[0:1], v2, off
.LBB55_2854:
	s_wait_xcnt 0x0
	s_or_b32 exec_lo, exec_lo, s4
	s_delay_alu instid0(SALU_CYCLE_1)
	s_and_b32 s38, s1, exec_lo
                                        ; implicit-def: $vgpr1
                                        ; implicit-def: $vgpr0
.LBB55_2855:
	s_or_saveexec_b32 s39, s73
	s_mov_b32 s4, 0
                                        ; implicit-def: $vgpr38_vgpr39
                                        ; implicit-def: $sgpr0
	s_xor_b32 exec_lo, exec_lo, s39
	s_cbranch_execz .LBB55_3532
; %bb.2856:
	s_wait_loadcnt 0x0
	v_cndmask_b32_e64 v3, 0, 1, s72
	s_and_not1_b32 vcc_lo, exec_lo, s72
	s_cbranch_vccnz .LBB55_2862
; %bb.2857:
	s_cmp_lg_u32 s33, 0
	s_mov_b32 s6, 0
	s_cbranch_scc0 .LBB55_2866
; %bb.2858:
	s_min_u32 s7, s70, 15
	v_dual_mov_b32 v40, 0 :: v_dual_mov_b32 v2, v0
	v_dual_mov_b32 v38, 0 :: v_dual_mov_b32 v44, 0
	;; [unrolled: 1-line block ×3, first 2 shown]
	v_mov_b32_e32 v46, 0
	s_add_co_i32 s4, s7, 1
	s_mov_b64 s[0:1], 0xffffffffffffffd0
	s_and_b32 s8, s4, 30
	s_add_nc_u64 s[0:1], s[2:3], s[0:1]
	s_mov_b64 s[4:5], s[2:3]
.LBB55_2859:                            ; =>This Inner Loop Header: Depth=1
	s_clause 0x1
	s_load_b128 s[20:23], s[4:5], 0x4
	s_load_b64 s[10:11], s[4:5], 0x14
	s_clause 0x1
	s_load_b256 s[12:19], s[0:1], 0xf4
	s_load_b128 s[24:27], s[0:1], 0x114
	s_add_co_i32 s8, s8, -2
	s_wait_xcnt 0x0
	s_add_nc_u64 s[4:5], s[4:5], 24
	s_cmp_lg_u32 s8, 0
	s_add_nc_u64 s[0:1], s[0:1], 48
	s_wait_kmcnt 0x0
	v_mul_hi_u32 v4, s21, v2
	s_delay_alu instid0(VALU_DEP_1) | instskip(NEXT) | instid1(VALU_DEP_1)
	v_add_nc_u32_e32 v4, v2, v4
	v_lshrrev_b32_e32 v4, s22, v4
	s_delay_alu instid0(VALU_DEP_1) | instskip(SKIP_1) | instid1(VALU_DEP_1)
	v_mul_hi_u32 v5, s10, v4
	v_mul_lo_u32 v7, v4, s20
	v_dual_add_nc_u32 v5, v4, v5 :: v_dual_sub_nc_u32 v7, v2, v7
	s_delay_alu instid0(VALU_DEP_1) | instskip(NEXT) | instid1(VALU_DEP_2)
	v_lshrrev_b32_e32 v2, s11, v5
	v_mad_u32 v5, v7, s13, v46
	v_mad_u32 v6, v7, s12, v6
	;; [unrolled: 1-line block ×4, first 2 shown]
	v_mul_lo_u32 v8, v2, s23
	v_mad_u32 v11, s17, v7, v38
	v_mad_u32 v7, s16, v7, v40
	s_delay_alu instid0(VALU_DEP_3) | instskip(NEXT) | instid1(VALU_DEP_1)
	v_sub_nc_u32_e32 v4, v4, v8
	v_mad_u32 v46, v4, s19, v5
	v_mad_u32 v6, v4, s18, v6
	v_mad_u32 v42, v4, s25, v9
	v_mad_u32 v44, v4, s24, v10
	v_mad_u32 v38, s27, v4, v11
	v_mad_u32 v40, s26, v4, v7
	s_cbranch_scc1 .LBB55_2859
; %bb.2860:
	s_bitcmp1_b32 s7, 0
	s_cselect_b32 s7, -1, 0
	s_delay_alu instid0(SALU_CYCLE_1)
	s_and_b32 vcc_lo, exec_lo, s7
	s_cbranch_vccnz .LBB55_2863
; %bb.2861:
	s_load_b96 s[12:14], s[4:5], 0x4
	s_load_b128 s[8:11], s[0:1], 0xf4
	s_wait_xcnt 0x0
	s_load_b64 s[4:5], s[0:1], 0x104
	s_wait_kmcnt 0x0
	v_mul_hi_u32 v4, s13, v2
	s_delay_alu instid0(VALU_DEP_1) | instskip(NEXT) | instid1(VALU_DEP_1)
	v_add_nc_u32_e32 v4, v2, v4
	v_lshrrev_b32_e32 v4, s14, v4
	s_delay_alu instid0(VALU_DEP_1) | instskip(NEXT) | instid1(VALU_DEP_1)
	v_mul_lo_u32 v4, v4, s12
	v_sub_nc_u32_e32 v2, v2, v4
	s_delay_alu instid0(VALU_DEP_1)
	v_mad_u32 v6, v2, s8, v6
	v_mad_u32 v46, v2, s9, v46
	;; [unrolled: 1-line block ×6, first 2 shown]
	s_and_not1_b32 vcc_lo, exec_lo, s6
	s_cbranch_vccz .LBB55_2864
	s_branch .LBB55_2867
.LBB55_2862:
	s_mov_b32 s6, -1
                                        ; implicit-def: $vgpr46
                                        ; implicit-def: $vgpr6
                                        ; implicit-def: $vgpr42
                                        ; implicit-def: $vgpr44
                                        ; implicit-def: $vgpr38
                                        ; implicit-def: $vgpr40
.LBB55_2863:
	s_delay_alu instid0(SALU_CYCLE_1)
	s_and_not1_b32 vcc_lo, exec_lo, s6
	s_cbranch_vccnz .LBB55_2867
.LBB55_2864:
	s_clause 0x2
	s_load_b96 s[8:10], s[2:3], 0x4
	s_load_b128 s[4:7], s[2:3], 0xc4
	s_load_b64 s[0:1], s[2:3], 0xd4
	s_cmp_lt_u32 s33, 2
	s_wait_kmcnt 0x0
	v_mul_hi_u32 v2, s9, v0
	s_delay_alu instid0(VALU_DEP_1) | instskip(NEXT) | instid1(VALU_DEP_1)
	v_add_nc_u32_e32 v2, v0, v2
	v_lshrrev_b32_e32 v2, s10, v2
	s_delay_alu instid0(VALU_DEP_1) | instskip(NEXT) | instid1(VALU_DEP_1)
	v_mul_lo_u32 v4, v2, s8
	v_sub_nc_u32_e32 v4, v0, v4
	s_delay_alu instid0(VALU_DEP_1)
	v_mul_lo_u32 v46, v4, s5
	v_mul_lo_u32 v6, v4, s4
	;; [unrolled: 1-line block ×6, first 2 shown]
	s_cbranch_scc1 .LBB55_2867
; %bb.2865:
	s_clause 0x2
	s_load_b96 s[8:10], s[2:3], 0x10
	s_load_b128 s[4:7], s[2:3], 0xdc
	s_load_b64 s[0:1], s[2:3], 0xec
	s_wait_kmcnt 0x0
	v_mul_hi_u32 v4, s9, v2
	s_delay_alu instid0(VALU_DEP_1) | instskip(NEXT) | instid1(VALU_DEP_1)
	v_add_nc_u32_e32 v4, v2, v4
	v_lshrrev_b32_e32 v4, s10, v4
	s_delay_alu instid0(VALU_DEP_1) | instskip(NEXT) | instid1(VALU_DEP_1)
	v_mul_lo_u32 v4, v4, s8
	v_sub_nc_u32_e32 v2, v2, v4
	s_delay_alu instid0(VALU_DEP_1)
	v_mad_u32 v6, v2, s4, v6
	v_mad_u32 v46, v2, s5, v46
	;; [unrolled: 1-line block ×6, first 2 shown]
	s_branch .LBB55_2867
.LBB55_2866:
	v_dual_mov_b32 v46, 0 :: v_dual_mov_b32 v6, 0
	v_dual_mov_b32 v42, 0 :: v_dual_mov_b32 v44, 0
	;; [unrolled: 1-line block ×3, first 2 shown]
	s_and_not1_b32 vcc_lo, exec_lo, s6
	s_cbranch_vccz .LBB55_2864
.LBB55_2867:
	v_cmp_ne_u32_e32 vcc_lo, 1, v3
	v_add_nc_u32_e32 v2, 0x80, v0
	s_cbranch_vccnz .LBB55_2873
; %bb.2868:
	s_cmp_lg_u32 s33, 0
	s_mov_b32 s6, 0
	s_cbranch_scc0 .LBB55_2877
; %bb.2869:
	s_min_u32 s7, s70, 15
	v_dual_mov_b32 v30, 0 :: v_dual_mov_b32 v5, v2
	v_dual_mov_b32 v28, 0 :: v_dual_mov_b32 v34, 0
	;; [unrolled: 1-line block ×3, first 2 shown]
	v_mov_b32_e32 v36, 0
	s_add_co_i32 s4, s7, 1
	s_mov_b64 s[0:1], 0xffffffffffffffd0
	s_and_b32 s8, s4, 30
	s_add_nc_u64 s[0:1], s[2:3], s[0:1]
	s_mov_b64 s[4:5], s[2:3]
.LBB55_2870:                            ; =>This Inner Loop Header: Depth=1
	s_clause 0x1
	s_load_b128 s[20:23], s[4:5], 0x4
	s_load_b64 s[10:11], s[4:5], 0x14
	s_clause 0x1
	s_load_b256 s[12:19], s[0:1], 0xf4
	s_load_b128 s[24:27], s[0:1], 0x114
	s_add_co_i32 s8, s8, -2
	s_wait_xcnt 0x0
	s_add_nc_u64 s[4:5], s[4:5], 24
	s_cmp_lg_u32 s8, 0
	s_add_nc_u64 s[0:1], s[0:1], 48
	s_wait_kmcnt 0x0
	v_mul_hi_u32 v7, s21, v5
	s_delay_alu instid0(VALU_DEP_1) | instskip(NEXT) | instid1(VALU_DEP_1)
	v_add_nc_u32_e32 v7, v5, v7
	v_lshrrev_b32_e32 v7, s22, v7
	s_delay_alu instid0(VALU_DEP_1) | instskip(SKIP_1) | instid1(VALU_DEP_1)
	v_mul_hi_u32 v8, s10, v7
	v_mul_lo_u32 v9, v7, s20
	v_dual_add_nc_u32 v8, v7, v8 :: v_dual_sub_nc_u32 v9, v5, v9
	s_delay_alu instid0(VALU_DEP_1) | instskip(NEXT) | instid1(VALU_DEP_2)
	v_lshrrev_b32_e32 v5, s11, v8
	v_mad_u32 v8, v9, s13, v36
	v_mad_u32 v4, v9, s12, v4
	;; [unrolled: 1-line block ×4, first 2 shown]
	v_mul_lo_u32 v10, v5, s23
	v_mad_u32 v13, s17, v9, v28
	v_mad_u32 v9, s16, v9, v30
	s_delay_alu instid0(VALU_DEP_3) | instskip(NEXT) | instid1(VALU_DEP_1)
	v_sub_nc_u32_e32 v7, v7, v10
	v_mad_u32 v36, v7, s19, v8
	v_mad_u32 v4, v7, s18, v4
	;; [unrolled: 1-line block ×6, first 2 shown]
	s_cbranch_scc1 .LBB55_2870
; %bb.2871:
	s_bitcmp1_b32 s7, 0
	s_cselect_b32 s7, -1, 0
	s_delay_alu instid0(SALU_CYCLE_1)
	s_and_b32 vcc_lo, exec_lo, s7
	s_cbranch_vccnz .LBB55_2874
; %bb.2872:
	s_load_b96 s[12:14], s[4:5], 0x4
	s_load_b128 s[8:11], s[0:1], 0xf4
	s_wait_xcnt 0x0
	s_load_b64 s[4:5], s[0:1], 0x104
	s_wait_kmcnt 0x0
	v_mul_hi_u32 v7, s13, v5
	s_delay_alu instid0(VALU_DEP_1) | instskip(NEXT) | instid1(VALU_DEP_1)
	v_add_nc_u32_e32 v7, v5, v7
	v_lshrrev_b32_e32 v7, s14, v7
	s_delay_alu instid0(VALU_DEP_1) | instskip(NEXT) | instid1(VALU_DEP_1)
	v_mul_lo_u32 v7, v7, s12
	v_sub_nc_u32_e32 v5, v5, v7
	s_delay_alu instid0(VALU_DEP_1)
	v_mad_u32 v4, v5, s8, v4
	v_mad_u32 v36, v5, s9, v36
	v_mad_u32 v34, v5, s10, v34
	v_mad_u32 v32, v5, s11, v32
	v_mad_u32 v30, s4, v5, v30
	v_mad_u32 v28, s5, v5, v28
	s_and_not1_b32 vcc_lo, exec_lo, s6
	s_cbranch_vccz .LBB55_2875
	s_branch .LBB55_2878
.LBB55_2873:
	s_mov_b32 s6, -1
                                        ; implicit-def: $vgpr36
                                        ; implicit-def: $vgpr4
                                        ; implicit-def: $vgpr32
                                        ; implicit-def: $vgpr34
                                        ; implicit-def: $vgpr28
                                        ; implicit-def: $vgpr30
.LBB55_2874:
	s_delay_alu instid0(SALU_CYCLE_1)
	s_and_not1_b32 vcc_lo, exec_lo, s6
	s_cbranch_vccnz .LBB55_2878
.LBB55_2875:
	s_clause 0x2
	s_load_b96 s[8:10], s[2:3], 0x4
	s_load_b128 s[4:7], s[2:3], 0xc4
	s_load_b64 s[0:1], s[2:3], 0xd4
	s_cmp_lt_u32 s33, 2
	s_wait_kmcnt 0x0
	v_mul_hi_u32 v4, s9, v2
	s_delay_alu instid0(VALU_DEP_1) | instskip(NEXT) | instid1(VALU_DEP_1)
	v_add_nc_u32_e32 v4, v2, v4
	v_lshrrev_b32_e32 v5, s10, v4
	s_delay_alu instid0(VALU_DEP_1) | instskip(NEXT) | instid1(VALU_DEP_1)
	v_mul_lo_u32 v4, v5, s8
	v_sub_nc_u32_e32 v2, v2, v4
	s_delay_alu instid0(VALU_DEP_1)
	v_mul_lo_u32 v36, v2, s5
	v_mul_lo_u32 v4, v2, s4
	;; [unrolled: 1-line block ×6, first 2 shown]
	s_cbranch_scc1 .LBB55_2878
; %bb.2876:
	s_clause 0x2
	s_load_b96 s[8:10], s[2:3], 0x10
	s_load_b128 s[4:7], s[2:3], 0xdc
	s_load_b64 s[0:1], s[2:3], 0xec
	s_wait_kmcnt 0x0
	v_mul_hi_u32 v2, s9, v5
	s_delay_alu instid0(VALU_DEP_1) | instskip(NEXT) | instid1(VALU_DEP_1)
	v_add_nc_u32_e32 v2, v5, v2
	v_lshrrev_b32_e32 v2, s10, v2
	s_delay_alu instid0(VALU_DEP_1) | instskip(NEXT) | instid1(VALU_DEP_1)
	v_mul_lo_u32 v2, v2, s8
	v_sub_nc_u32_e32 v2, v5, v2
	s_delay_alu instid0(VALU_DEP_1)
	v_mad_u32 v4, v2, s4, v4
	v_mad_u32 v36, v2, s5, v36
	;; [unrolled: 1-line block ×6, first 2 shown]
	s_branch .LBB55_2878
.LBB55_2877:
	v_dual_mov_b32 v36, 0 :: v_dual_mov_b32 v4, 0
	v_dual_mov_b32 v32, 0 :: v_dual_mov_b32 v34, 0
	;; [unrolled: 1-line block ×3, first 2 shown]
	s_and_not1_b32 vcc_lo, exec_lo, s6
	s_cbranch_vccz .LBB55_2875
.LBB55_2878:
	v_cmp_ne_u32_e32 vcc_lo, 1, v3
	v_add_nc_u32_e32 v0, 0x100, v0
	s_cbranch_vccnz .LBB55_2884
; %bb.2879:
	s_cmp_lg_u32 s33, 0
	s_mov_b32 s6, 0
	s_cbranch_scc0 .LBB55_2888
; %bb.2880:
	s_min_u32 s7, s70, 15
	v_dual_mov_b32 v20, 0 :: v_dual_mov_b32 v5, v0
	v_dual_mov_b32 v18, 0 :: v_dual_mov_b32 v24, 0
	;; [unrolled: 1-line block ×3, first 2 shown]
	v_mov_b32_e32 v26, 0
	s_add_co_i32 s4, s7, 1
	s_mov_b64 s[0:1], 0xffffffffffffffd0
	s_and_b32 s8, s4, 30
	s_add_nc_u64 s[0:1], s[2:3], s[0:1]
	s_mov_b64 s[4:5], s[2:3]
.LBB55_2881:                            ; =>This Inner Loop Header: Depth=1
	s_clause 0x1
	s_load_b128 s[20:23], s[4:5], 0x4
	s_load_b64 s[10:11], s[4:5], 0x14
	s_clause 0x1
	s_load_b256 s[12:19], s[0:1], 0xf4
	s_load_b128 s[24:27], s[0:1], 0x114
	s_add_co_i32 s8, s8, -2
	s_wait_xcnt 0x0
	s_add_nc_u64 s[4:5], s[4:5], 24
	s_cmp_lg_u32 s8, 0
	s_add_nc_u64 s[0:1], s[0:1], 48
	s_wait_kmcnt 0x0
	v_mul_hi_u32 v7, s21, v5
	s_delay_alu instid0(VALU_DEP_1) | instskip(NEXT) | instid1(VALU_DEP_1)
	v_add_nc_u32_e32 v7, v5, v7
	v_lshrrev_b32_e32 v7, s22, v7
	s_delay_alu instid0(VALU_DEP_1) | instskip(SKIP_1) | instid1(VALU_DEP_1)
	v_mul_hi_u32 v8, s10, v7
	v_mul_lo_u32 v9, v7, s20
	v_dual_add_nc_u32 v8, v7, v8 :: v_dual_sub_nc_u32 v9, v5, v9
	s_delay_alu instid0(VALU_DEP_1) | instskip(NEXT) | instid1(VALU_DEP_2)
	v_lshrrev_b32_e32 v5, s11, v8
	v_mad_u32 v8, v9, s13, v26
	v_mad_u32 v2, v9, s12, v2
	;; [unrolled: 1-line block ×4, first 2 shown]
	v_mul_lo_u32 v10, v5, s23
	v_mad_u32 v13, s17, v9, v18
	v_mad_u32 v9, s16, v9, v20
	s_delay_alu instid0(VALU_DEP_3) | instskip(NEXT) | instid1(VALU_DEP_1)
	v_sub_nc_u32_e32 v7, v7, v10
	v_mad_u32 v26, v7, s19, v8
	v_mad_u32 v2, v7, s18, v2
	;; [unrolled: 1-line block ×6, first 2 shown]
	s_cbranch_scc1 .LBB55_2881
; %bb.2882:
	s_bitcmp1_b32 s7, 0
	s_cselect_b32 s7, -1, 0
	s_delay_alu instid0(SALU_CYCLE_1)
	s_and_b32 vcc_lo, exec_lo, s7
	s_cbranch_vccnz .LBB55_2885
; %bb.2883:
	s_load_b96 s[12:14], s[4:5], 0x4
	s_load_b128 s[8:11], s[0:1], 0xf4
	s_wait_xcnt 0x0
	s_load_b64 s[4:5], s[0:1], 0x104
	s_wait_kmcnt 0x0
	v_mul_hi_u32 v7, s13, v5
	s_delay_alu instid0(VALU_DEP_1) | instskip(NEXT) | instid1(VALU_DEP_1)
	v_add_nc_u32_e32 v7, v5, v7
	v_lshrrev_b32_e32 v7, s14, v7
	s_delay_alu instid0(VALU_DEP_1) | instskip(NEXT) | instid1(VALU_DEP_1)
	v_mul_lo_u32 v7, v7, s12
	v_sub_nc_u32_e32 v5, v5, v7
	s_delay_alu instid0(VALU_DEP_1)
	v_mad_u32 v2, v5, s8, v2
	v_mad_u32 v26, v5, s9, v26
	;; [unrolled: 1-line block ×6, first 2 shown]
	s_and_not1_b32 vcc_lo, exec_lo, s6
	s_cbranch_vccz .LBB55_2886
	s_branch .LBB55_2889
.LBB55_2884:
	s_mov_b32 s6, -1
                                        ; implicit-def: $vgpr26
                                        ; implicit-def: $vgpr2
                                        ; implicit-def: $vgpr22
                                        ; implicit-def: $vgpr24
                                        ; implicit-def: $vgpr18
                                        ; implicit-def: $vgpr20
.LBB55_2885:
	s_delay_alu instid0(SALU_CYCLE_1)
	s_and_not1_b32 vcc_lo, exec_lo, s6
	s_cbranch_vccnz .LBB55_2889
.LBB55_2886:
	s_clause 0x2
	s_load_b96 s[8:10], s[2:3], 0x4
	s_load_b128 s[4:7], s[2:3], 0xc4
	s_load_b64 s[0:1], s[2:3], 0xd4
	s_cmp_lt_u32 s33, 2
	s_wait_kmcnt 0x0
	v_mul_hi_u32 v2, s9, v0
	s_delay_alu instid0(VALU_DEP_1) | instskip(NEXT) | instid1(VALU_DEP_1)
	v_add_nc_u32_e32 v2, v0, v2
	v_lshrrev_b32_e32 v5, s10, v2
	s_delay_alu instid0(VALU_DEP_1) | instskip(NEXT) | instid1(VALU_DEP_1)
	v_mul_lo_u32 v2, v5, s8
	v_sub_nc_u32_e32 v0, v0, v2
	s_delay_alu instid0(VALU_DEP_1)
	v_mul_lo_u32 v26, v0, s5
	v_mul_lo_u32 v2, v0, s4
	;; [unrolled: 1-line block ×6, first 2 shown]
	s_cbranch_scc1 .LBB55_2889
; %bb.2887:
	s_clause 0x2
	s_load_b96 s[8:10], s[2:3], 0x10
	s_load_b128 s[4:7], s[2:3], 0xdc
	s_load_b64 s[0:1], s[2:3], 0xec
	s_wait_kmcnt 0x0
	v_mul_hi_u32 v0, s9, v5
	s_delay_alu instid0(VALU_DEP_1) | instskip(NEXT) | instid1(VALU_DEP_1)
	v_add_nc_u32_e32 v0, v5, v0
	v_lshrrev_b32_e32 v0, s10, v0
	s_delay_alu instid0(VALU_DEP_1) | instskip(NEXT) | instid1(VALU_DEP_1)
	v_mul_lo_u32 v0, v0, s8
	v_sub_nc_u32_e32 v0, v5, v0
	s_delay_alu instid0(VALU_DEP_1)
	v_mad_u32 v2, v0, s4, v2
	v_mad_u32 v26, v0, s5, v26
	;; [unrolled: 1-line block ×6, first 2 shown]
	s_branch .LBB55_2889
.LBB55_2888:
	v_dual_mov_b32 v26, 0 :: v_dual_mov_b32 v2, 0
	v_dual_mov_b32 v22, 0 :: v_dual_mov_b32 v24, 0
	v_dual_mov_b32 v18, 0 :: v_dual_mov_b32 v20, 0
	s_and_not1_b32 vcc_lo, exec_lo, s6
	s_cbranch_vccz .LBB55_2886
.LBB55_2889:
	v_cmp_ne_u32_e32 vcc_lo, 1, v3
	s_cbranch_vccnz .LBB55_2895
; %bb.2890:
	s_cmp_lg_u32 s33, 0
	s_mov_b32 s6, 0
	s_cbranch_scc0 .LBB55_2899
; %bb.2891:
	s_min_u32 s7, s70, 15
	v_dual_mov_b32 v10, 0 :: v_dual_mov_b32 v3, v1
	v_dual_mov_b32 v8, 0 :: v_dual_mov_b32 v14, 0
	;; [unrolled: 1-line block ×3, first 2 shown]
	v_mov_b32_e32 v16, 0
	s_add_co_i32 s4, s7, 1
	s_mov_b64 s[0:1], 0xffffffffffffffd0
	s_and_b32 s8, s4, 30
	s_add_nc_u64 s[0:1], s[2:3], s[0:1]
	s_mov_b64 s[4:5], s[2:3]
.LBB55_2892:                            ; =>This Inner Loop Header: Depth=1
	s_clause 0x1
	s_load_b128 s[20:23], s[4:5], 0x4
	s_load_b64 s[10:11], s[4:5], 0x14
	s_clause 0x1
	s_load_b256 s[12:19], s[0:1], 0xf4
	s_load_b128 s[24:27], s[0:1], 0x114
	s_add_co_i32 s8, s8, -2
	s_wait_xcnt 0x0
	s_add_nc_u64 s[4:5], s[4:5], 24
	s_cmp_lg_u32 s8, 0
	s_add_nc_u64 s[0:1], s[0:1], 48
	s_wait_kmcnt 0x0
	v_mul_hi_u32 v5, s21, v3
	s_delay_alu instid0(VALU_DEP_1) | instskip(NEXT) | instid1(VALU_DEP_1)
	v_add_nc_u32_e32 v5, v3, v5
	v_lshrrev_b32_e32 v5, s22, v5
	s_delay_alu instid0(VALU_DEP_1) | instskip(SKIP_1) | instid1(VALU_DEP_1)
	v_mul_hi_u32 v7, s10, v5
	v_mul_lo_u32 v9, v5, s20
	v_dual_add_nc_u32 v7, v5, v7 :: v_dual_sub_nc_u32 v9, v3, v9
	s_delay_alu instid0(VALU_DEP_1) | instskip(NEXT) | instid1(VALU_DEP_2)
	v_lshrrev_b32_e32 v3, s11, v7
	v_mad_u32 v7, v9, s13, v16
	v_mad_u32 v0, v9, s12, v0
	;; [unrolled: 1-line block ×4, first 2 shown]
	v_mul_lo_u32 v11, v3, s23
	v_mad_u32 v8, s17, v9, v8
	v_mad_u32 v9, s16, v9, v10
	s_delay_alu instid0(VALU_DEP_3) | instskip(NEXT) | instid1(VALU_DEP_1)
	v_sub_nc_u32_e32 v5, v5, v11
	v_mad_u32 v16, v5, s19, v7
	v_mad_u32 v0, v5, s18, v0
	;; [unrolled: 1-line block ×6, first 2 shown]
	s_cbranch_scc1 .LBB55_2892
; %bb.2893:
	s_bitcmp1_b32 s7, 0
	s_cselect_b32 s7, -1, 0
	s_delay_alu instid0(SALU_CYCLE_1)
	s_and_b32 vcc_lo, exec_lo, s7
	s_cbranch_vccnz .LBB55_2896
; %bb.2894:
	s_load_b96 s[12:14], s[4:5], 0x4
	s_load_b128 s[8:11], s[0:1], 0xf4
	s_wait_xcnt 0x0
	s_load_b64 s[4:5], s[0:1], 0x104
	s_wait_kmcnt 0x0
	v_mul_hi_u32 v5, s13, v3
	s_delay_alu instid0(VALU_DEP_1) | instskip(NEXT) | instid1(VALU_DEP_1)
	v_add_nc_u32_e32 v5, v3, v5
	v_lshrrev_b32_e32 v5, s14, v5
	s_delay_alu instid0(VALU_DEP_1) | instskip(NEXT) | instid1(VALU_DEP_1)
	v_mul_lo_u32 v5, v5, s12
	v_sub_nc_u32_e32 v3, v3, v5
	s_delay_alu instid0(VALU_DEP_1)
	v_mad_u32 v0, v3, s8, v0
	v_mad_u32 v16, v3, s9, v16
	;; [unrolled: 1-line block ×6, first 2 shown]
	s_and_not1_b32 vcc_lo, exec_lo, s6
	s_cbranch_vccz .LBB55_2897
	s_branch .LBB55_2900
.LBB55_2895:
	s_mov_b32 s6, -1
                                        ; implicit-def: $vgpr16
                                        ; implicit-def: $vgpr0
                                        ; implicit-def: $vgpr12
                                        ; implicit-def: $vgpr14
                                        ; implicit-def: $vgpr8
                                        ; implicit-def: $vgpr10
.LBB55_2896:
	s_delay_alu instid0(SALU_CYCLE_1)
	s_and_not1_b32 vcc_lo, exec_lo, s6
	s_cbranch_vccnz .LBB55_2900
.LBB55_2897:
	s_clause 0x2
	s_load_b96 s[8:10], s[2:3], 0x4
	s_load_b128 s[4:7], s[2:3], 0xc4
	s_load_b64 s[0:1], s[2:3], 0xd4
	s_cmp_lt_u32 s33, 2
	s_wait_kmcnt 0x0
	v_mul_hi_u32 v0, s9, v1
	s_delay_alu instid0(VALU_DEP_1) | instskip(NEXT) | instid1(VALU_DEP_1)
	v_add_nc_u32_e32 v0, v1, v0
	v_lshrrev_b32_e32 v3, s10, v0
	s_delay_alu instid0(VALU_DEP_1) | instskip(NEXT) | instid1(VALU_DEP_1)
	v_mul_lo_u32 v0, v3, s8
	v_sub_nc_u32_e32 v1, v1, v0
	s_delay_alu instid0(VALU_DEP_1)
	v_mul_lo_u32 v16, v1, s5
	v_mul_lo_u32 v0, v1, s4
	;; [unrolled: 1-line block ×6, first 2 shown]
	s_cbranch_scc1 .LBB55_2900
; %bb.2898:
	s_clause 0x2
	s_load_b96 s[8:10], s[2:3], 0x10
	s_load_b128 s[4:7], s[2:3], 0xdc
	s_load_b64 s[0:1], s[2:3], 0xec
	s_wait_kmcnt 0x0
	v_mul_hi_u32 v1, s9, v3
	s_delay_alu instid0(VALU_DEP_1) | instskip(NEXT) | instid1(VALU_DEP_1)
	v_add_nc_u32_e32 v1, v3, v1
	v_lshrrev_b32_e32 v1, s10, v1
	s_delay_alu instid0(VALU_DEP_1) | instskip(NEXT) | instid1(VALU_DEP_1)
	v_mul_lo_u32 v1, v1, s8
	v_sub_nc_u32_e32 v1, v3, v1
	s_delay_alu instid0(VALU_DEP_1)
	v_mad_u32 v0, v1, s4, v0
	v_mad_u32 v16, v1, s5, v16
	v_mad_u32 v14, v1, s6, v14
	v_mad_u32 v12, v1, s7, v12
	v_mad_u32 v10, s0, v1, v10
	v_mad_u32 v8, s1, v1, v8
	s_branch .LBB55_2900
.LBB55_2899:
	v_dual_mov_b32 v16, 0 :: v_dual_mov_b32 v0, 0
	v_dual_mov_b32 v12, 0 :: v_dual_mov_b32 v14, 0
	;; [unrolled: 1-line block ×3, first 2 shown]
	s_and_not1_b32 vcc_lo, exec_lo, s6
	s_cbranch_vccz .LBB55_2897
.LBB55_2900:
	v_mov_b32_e32 v47, 0
	s_load_b128 s[4:7], s[2:3], 0x248
	global_load_u8 v1, v47, s[2:3] offset:689
	s_wait_kmcnt 0x0
	v_add_nc_u64_e32 v[46:47], s[6:7], v[46:47]
	s_wait_loadcnt 0x0
	v_and_b32_e32 v3, 0xffff, v1
	v_readfirstlane_b32 s36, v1
	s_delay_alu instid0(VALU_DEP_2)
	v_cmp_gt_i32_e32 vcc_lo, 11, v3
	s_cbranch_vccnz .LBB55_2907
; %bb.2901:
	s_and_b32 s0, 0xffff, s36
	s_mov_b32 s8, 0
	s_cmp_gt_i32 s0, 25
	s_cbranch_scc0 .LBB55_2909
; %bb.2902:
	s_cmp_gt_i32 s0, 28
	s_cbranch_scc0 .LBB55_2910
; %bb.2903:
	;; [unrolled: 3-line block ×4, first 2 shown]
	s_cmp_eq_u32 s0, 46
	s_mov_b32 s10, 0
	s_cbranch_scc0 .LBB55_2913
; %bb.2906:
	global_load_b32 v1, v[46:47], off
	s_mov_b32 s1, 0
	s_mov_b32 s9, -1
	s_wait_loadcnt 0x0
	v_lshlrev_b32_e32 v1, 16, v1
	s_delay_alu instid0(VALU_DEP_1)
	v_cvt_i32_f32_e32 v1, v1
	s_branch .LBB55_2915
.LBB55_2907:
	s_mov_b32 s9, 0
	s_mov_b32 s33, s38
                                        ; implicit-def: $vgpr1
	s_cbranch_execnz .LBB55_2973
.LBB55_2908:
	s_and_not1_b32 vcc_lo, exec_lo, s9
	s_cbranch_vccz .LBB55_3018
	s_branch .LBB55_3530
.LBB55_2909:
	s_mov_b32 s9, 0
	s_mov_b32 s1, 0
                                        ; implicit-def: $vgpr1
	s_cbranch_execnz .LBB55_2940
	s_branch .LBB55_2969
.LBB55_2910:
	s_mov_b32 s9, 0
	s_mov_b32 s1, 0
                                        ; implicit-def: $vgpr1
	s_cbranch_execz .LBB55_2939
	s_branch .LBB55_2924
.LBB55_2911:
	s_mov_b32 s9, 0
	s_mov_b32 s1, 0
                                        ; implicit-def: $vgpr1
	s_cbranch_execnz .LBB55_2920
	s_branch .LBB55_2923
.LBB55_2912:
	s_mov_b32 s10, -1
	s_mov_b32 s9, 0
	s_mov_b32 s1, 0
	s_branch .LBB55_2914
.LBB55_2913:
	s_mov_b32 s1, -1
	s_mov_b32 s9, 0
.LBB55_2914:
                                        ; implicit-def: $vgpr1
.LBB55_2915:
	s_and_b32 vcc_lo, exec_lo, s10
	s_cbranch_vccz .LBB55_2918
; %bb.2916:
	s_cmp_eq_u32 s0, 44
	s_cbranch_scc0 .LBB55_2919
; %bb.2917:
	global_load_u8 v1, v[46:47], off
	s_mov_b32 s1, 0
	s_mov_b32 s9, -1
	s_wait_loadcnt 0x0
	v_lshlrev_b32_e32 v3, 23, v1
	v_cmp_ne_u32_e32 vcc_lo, 0, v1
	s_delay_alu instid0(VALU_DEP_2) | instskip(NEXT) | instid1(VALU_DEP_1)
	v_cvt_i32_f32_e32 v3, v3
	v_cndmask_b32_e32 v1, 0, v3, vcc_lo
.LBB55_2918:
	s_branch .LBB55_2923
.LBB55_2919:
	s_mov_b32 s1, -1
                                        ; implicit-def: $vgpr1
	s_branch .LBB55_2923
.LBB55_2920:
	s_cmp_eq_u32 s0, 29
	s_cbranch_scc0 .LBB55_2922
; %bb.2921:
	global_load_b32 v1, v[46:47], off
	s_mov_b32 s1, 0
	s_mov_b32 s9, -1
	s_branch .LBB55_2923
.LBB55_2922:
	s_mov_b32 s1, -1
                                        ; implicit-def: $vgpr1
.LBB55_2923:
	s_branch .LBB55_2939
.LBB55_2924:
	s_cmp_lt_i32 s0, 27
	s_cbranch_scc1 .LBB55_2927
; %bb.2925:
	s_cmp_gt_i32 s0, 27
	s_cbranch_scc0 .LBB55_2928
; %bb.2926:
	s_wait_loadcnt 0x0
	global_load_b32 v1, v[46:47], off
	s_mov_b32 s9, 0
	s_branch .LBB55_2929
.LBB55_2927:
	s_mov_b32 s9, -1
                                        ; implicit-def: $vgpr1
	s_branch .LBB55_2932
.LBB55_2928:
	s_mov_b32 s9, -1
                                        ; implicit-def: $vgpr1
.LBB55_2929:
	s_delay_alu instid0(SALU_CYCLE_1)
	s_and_not1_b32 vcc_lo, exec_lo, s9
	s_cbranch_vccnz .LBB55_2931
; %bb.2930:
	s_wait_loadcnt 0x0
	global_load_u16 v1, v[46:47], off
.LBB55_2931:
	s_mov_b32 s9, 0
.LBB55_2932:
	s_delay_alu instid0(SALU_CYCLE_1)
	s_and_not1_b32 vcc_lo, exec_lo, s9
	s_cbranch_vccnz .LBB55_2938
; %bb.2933:
	global_load_u8 v3, v[46:47], off
	s_mov_b32 s10, 0
	s_mov_b32 s9, exec_lo
	s_wait_loadcnt 0x0
	v_cmpx_lt_i16_e32 0x7f, v3
	s_xor_b32 s9, exec_lo, s9
	s_cbranch_execz .LBB55_2949
; %bb.2934:
	v_cmp_ne_u16_e32 vcc_lo, 0x80, v3
	s_and_b32 s10, vcc_lo, exec_lo
	s_and_not1_saveexec_b32 s9, s9
	s_cbranch_execnz .LBB55_2950
.LBB55_2935:
	s_or_b32 exec_lo, exec_lo, s9
	v_mov_b32_e32 v1, 0
	s_and_saveexec_b32 s9, s10
	s_cbranch_execz .LBB55_2937
.LBB55_2936:
	v_and_b32_e32 v1, 0xffff, v3
	s_delay_alu instid0(VALU_DEP_1) | instskip(SKIP_1) | instid1(VALU_DEP_2)
	v_and_b32_e32 v5, 7, v1
	v_bfe_u32 v11, v1, 3, 4
	v_clz_i32_u32_e32 v7, v5
	s_delay_alu instid0(VALU_DEP_2) | instskip(NEXT) | instid1(VALU_DEP_2)
	v_cmp_eq_u32_e32 vcc_lo, 0, v11
	v_min_u32_e32 v7, 32, v7
	s_delay_alu instid0(VALU_DEP_1) | instskip(NEXT) | instid1(VALU_DEP_1)
	v_subrev_nc_u32_e32 v9, 28, v7
	v_dual_lshlrev_b32 v1, v9, v1 :: v_dual_sub_nc_u32 v7, 29, v7
	s_delay_alu instid0(VALU_DEP_1) | instskip(NEXT) | instid1(VALU_DEP_1)
	v_dual_lshlrev_b32 v3, 24, v3 :: v_dual_bitop2_b32 v1, 7, v1 bitop3:0x40
	v_dual_cndmask_b32 v1, v5, v1, vcc_lo :: v_dual_cndmask_b32 v7, v11, v7, vcc_lo
	s_delay_alu instid0(VALU_DEP_2) | instskip(NEXT) | instid1(VALU_DEP_2)
	v_and_b32_e32 v3, 0x80000000, v3
	v_lshlrev_b32_e32 v1, 20, v1
	s_delay_alu instid0(VALU_DEP_3) | instskip(NEXT) | instid1(VALU_DEP_1)
	v_lshl_add_u32 v5, v7, 23, 0x3b800000
	v_or3_b32 v1, v3, v5, v1
	s_delay_alu instid0(VALU_DEP_1)
	v_cvt_i32_f32_e32 v1, v1
.LBB55_2937:
	s_or_b32 exec_lo, exec_lo, s9
.LBB55_2938:
	s_mov_b32 s9, -1
.LBB55_2939:
	s_branch .LBB55_2969
.LBB55_2940:
	s_cmp_gt_i32 s0, 22
	s_cbranch_scc0 .LBB55_2948
; %bb.2941:
	s_cmp_lt_i32 s0, 24
	s_cbranch_scc1 .LBB55_2951
; %bb.2942:
	s_cmp_gt_i32 s0, 24
	s_cbranch_scc0 .LBB55_2952
; %bb.2943:
	global_load_u8 v3, v[46:47], off
	s_mov_b32 s9, 0
	s_mov_b32 s8, exec_lo
	s_wait_loadcnt 0x0
	v_cmpx_lt_i16_e32 0x7f, v3
	s_xor_b32 s8, exec_lo, s8
	s_cbranch_execz .LBB55_2963
; %bb.2944:
	v_cmp_ne_u16_e32 vcc_lo, 0x80, v3
	s_and_b32 s9, vcc_lo, exec_lo
	s_and_not1_saveexec_b32 s8, s8
	s_cbranch_execnz .LBB55_2964
.LBB55_2945:
	s_or_b32 exec_lo, exec_lo, s8
	v_mov_b32_e32 v1, 0
	s_and_saveexec_b32 s8, s9
	s_cbranch_execz .LBB55_2947
.LBB55_2946:
	v_and_b32_e32 v1, 0xffff, v3
	s_delay_alu instid0(VALU_DEP_1) | instskip(SKIP_1) | instid1(VALU_DEP_2)
	v_and_b32_e32 v5, 3, v1
	v_bfe_u32 v11, v1, 2, 5
	v_clz_i32_u32_e32 v7, v5
	s_delay_alu instid0(VALU_DEP_2) | instskip(NEXT) | instid1(VALU_DEP_2)
	v_cmp_eq_u32_e32 vcc_lo, 0, v11
	v_min_u32_e32 v7, 32, v7
	s_delay_alu instid0(VALU_DEP_1) | instskip(NEXT) | instid1(VALU_DEP_1)
	v_subrev_nc_u32_e32 v9, 29, v7
	v_dual_lshlrev_b32 v1, v9, v1 :: v_dual_sub_nc_u32 v7, 30, v7
	s_delay_alu instid0(VALU_DEP_1) | instskip(NEXT) | instid1(VALU_DEP_1)
	v_dual_lshlrev_b32 v3, 24, v3 :: v_dual_bitop2_b32 v1, 3, v1 bitop3:0x40
	v_dual_cndmask_b32 v1, v5, v1, vcc_lo :: v_dual_cndmask_b32 v7, v11, v7, vcc_lo
	s_delay_alu instid0(VALU_DEP_2) | instskip(NEXT) | instid1(VALU_DEP_2)
	v_and_b32_e32 v3, 0x80000000, v3
	v_lshlrev_b32_e32 v1, 21, v1
	s_delay_alu instid0(VALU_DEP_3) | instskip(NEXT) | instid1(VALU_DEP_1)
	v_lshl_add_u32 v5, v7, 23, 0x37800000
	v_or3_b32 v1, v3, v5, v1
	s_delay_alu instid0(VALU_DEP_1)
	v_cvt_i32_f32_e32 v1, v1
.LBB55_2947:
	s_or_b32 exec_lo, exec_lo, s8
	s_mov_b32 s8, 0
	s_branch .LBB55_2953
.LBB55_2948:
                                        ; implicit-def: $vgpr1
	s_mov_b32 s8, 0
	s_branch .LBB55_2959
.LBB55_2949:
	s_and_not1_saveexec_b32 s9, s9
	s_cbranch_execz .LBB55_2935
.LBB55_2950:
	v_cmp_ne_u16_e32 vcc_lo, 0, v3
	s_and_not1_b32 s10, s10, exec_lo
	s_and_b32 s11, vcc_lo, exec_lo
	s_delay_alu instid0(SALU_CYCLE_1)
	s_or_b32 s10, s10, s11
	s_or_b32 exec_lo, exec_lo, s9
	v_mov_b32_e32 v1, 0
	s_and_saveexec_b32 s9, s10
	s_cbranch_execnz .LBB55_2936
	s_branch .LBB55_2937
.LBB55_2951:
	s_mov_b32 s8, -1
                                        ; implicit-def: $vgpr1
	s_branch .LBB55_2956
.LBB55_2952:
	s_mov_b32 s8, -1
                                        ; implicit-def: $vgpr1
.LBB55_2953:
	s_delay_alu instid0(SALU_CYCLE_1)
	s_and_b32 vcc_lo, exec_lo, s8
	s_cbranch_vccz .LBB55_2955
; %bb.2954:
	s_wait_loadcnt 0x0
	global_load_u8 v1, v[46:47], off
	s_wait_loadcnt 0x0
	v_lshlrev_b32_e32 v1, 24, v1
	s_delay_alu instid0(VALU_DEP_1) | instskip(NEXT) | instid1(VALU_DEP_1)
	v_and_b32_e32 v3, 0x7f000000, v1
	v_clz_i32_u32_e32 v5, v3
	v_add_nc_u32_e32 v9, 0x1000000, v3
	v_cmp_ne_u32_e32 vcc_lo, 0, v3
	s_delay_alu instid0(VALU_DEP_3) | instskip(NEXT) | instid1(VALU_DEP_1)
	v_min_u32_e32 v5, 32, v5
	v_sub_nc_u32_e64 v5, v5, 4 clamp
	s_delay_alu instid0(VALU_DEP_1) | instskip(NEXT) | instid1(VALU_DEP_1)
	v_dual_lshlrev_b32 v7, v5, v3 :: v_dual_lshlrev_b32 v5, 23, v5
	v_lshrrev_b32_e32 v7, 4, v7
	s_delay_alu instid0(VALU_DEP_1) | instskip(SKIP_1) | instid1(VALU_DEP_2)
	v_sub_nc_u32_e32 v5, v7, v5
	v_ashrrev_i32_e32 v7, 8, v9
	v_add_nc_u32_e32 v5, 0x3c000000, v5
	s_delay_alu instid0(VALU_DEP_1) | instskip(NEXT) | instid1(VALU_DEP_1)
	v_and_or_b32 v5, 0x7f800000, v7, v5
	v_cndmask_b32_e32 v3, 0, v5, vcc_lo
	s_delay_alu instid0(VALU_DEP_1) | instskip(NEXT) | instid1(VALU_DEP_1)
	v_and_or_b32 v1, 0x80000000, v1, v3
	v_cvt_i32_f32_e32 v1, v1
.LBB55_2955:
	s_mov_b32 s8, 0
.LBB55_2956:
	s_delay_alu instid0(SALU_CYCLE_1)
	s_and_not1_b32 vcc_lo, exec_lo, s8
	s_cbranch_vccnz .LBB55_2958
; %bb.2957:
	s_wait_loadcnt 0x0
	global_load_u8 v1, v[46:47], off
	s_wait_loadcnt 0x0
	v_lshlrev_b32_e32 v3, 25, v1
	v_lshlrev_b16 v1, 8, v1
	s_delay_alu instid0(VALU_DEP_1) | instskip(SKIP_1) | instid1(VALU_DEP_2)
	v_and_or_b32 v7, 0x7f00, v1, 0.5
	v_bfe_i32 v1, v1, 0, 16
	v_add_f32_e32 v7, -0.5, v7
	v_lshrrev_b32_e32 v5, 4, v3
	v_cmp_gt_u32_e32 vcc_lo, 0x8000000, v3
	s_delay_alu instid0(VALU_DEP_2) | instskip(NEXT) | instid1(VALU_DEP_1)
	v_or_b32_e32 v5, 0x70000000, v5
	v_mul_f32_e32 v5, 0x7800000, v5
	s_delay_alu instid0(VALU_DEP_1) | instskip(NEXT) | instid1(VALU_DEP_1)
	v_cndmask_b32_e32 v3, v5, v7, vcc_lo
	v_and_or_b32 v1, 0x80000000, v1, v3
	s_delay_alu instid0(VALU_DEP_1)
	v_cvt_i32_f32_e32 v1, v1
.LBB55_2958:
	s_mov_b32 s9, -1
	s_mov_b32 s8, 0
	s_cbranch_execnz .LBB55_2969
.LBB55_2959:
	s_cmp_gt_i32 s0, 14
	s_cbranch_scc0 .LBB55_2962
; %bb.2960:
	s_cmp_eq_u32 s0, 15
	s_cbranch_scc0 .LBB55_2965
; %bb.2961:
	s_wait_loadcnt 0x0
	global_load_u16 v1, v[46:47], off
	s_mov_b32 s1, 0
	s_mov_b32 s9, -1
	s_wait_loadcnt 0x0
	v_lshlrev_b32_e32 v1, 16, v1
	s_delay_alu instid0(VALU_DEP_1)
	v_cvt_i32_f32_e32 v1, v1
	s_branch .LBB55_2967
.LBB55_2962:
	s_mov_b32 s8, -1
	s_branch .LBB55_2966
.LBB55_2963:
	s_and_not1_saveexec_b32 s8, s8
	s_cbranch_execz .LBB55_2945
.LBB55_2964:
	v_cmp_ne_u16_e32 vcc_lo, 0, v3
	s_and_not1_b32 s9, s9, exec_lo
	s_and_b32 s10, vcc_lo, exec_lo
	s_delay_alu instid0(SALU_CYCLE_1)
	s_or_b32 s9, s9, s10
	s_or_b32 exec_lo, exec_lo, s8
	v_mov_b32_e32 v1, 0
	s_and_saveexec_b32 s8, s9
	s_cbranch_execnz .LBB55_2946
	s_branch .LBB55_2947
.LBB55_2965:
	s_mov_b32 s1, -1
.LBB55_2966:
                                        ; implicit-def: $vgpr1
.LBB55_2967:
	s_and_b32 vcc_lo, exec_lo, s8
	s_mov_b32 s8, 0
	s_cbranch_vccz .LBB55_2969
; %bb.2968:
	s_cmp_lg_u32 s0, 11
	s_mov_b32 s8, -1
	s_cselect_b32 s1, -1, 0
.LBB55_2969:
	s_delay_alu instid0(SALU_CYCLE_1)
	s_and_b32 vcc_lo, exec_lo, s1
	s_mov_b32 s33, s38
	s_cbranch_vccnz .LBB55_3030
; %bb.2970:
	s_and_not1_b32 vcc_lo, exec_lo, s8
	s_cbranch_vccnz .LBB55_2972
.LBB55_2971:
	s_wait_loadcnt 0x0
	global_load_u8 v1, v[46:47], off
	s_mov_b32 s9, -1
	s_wait_loadcnt 0x0
	v_cmp_ne_u16_e32 vcc_lo, 0, v1
	v_cndmask_b32_e64 v1, 0, 1, vcc_lo
.LBB55_2972:
	s_branch .LBB55_2908
.LBB55_2973:
	s_and_b32 s0, 0xffff, s36
	s_delay_alu instid0(SALU_CYCLE_1)
	s_cmp_lt_i32 s0, 5
	s_cbranch_scc1 .LBB55_2978
; %bb.2974:
	s_cmp_lt_i32 s0, 8
	s_cbranch_scc1 .LBB55_2979
; %bb.2975:
	;; [unrolled: 3-line block ×3, first 2 shown]
	s_cmp_gt_i32 s0, 9
	s_cbranch_scc0 .LBB55_2981
; %bb.2977:
	global_load_b64 v[48:49], v[46:47], off
	s_mov_b32 s1, 0
	s_wait_loadcnt 0x0
	v_cvt_i32_f64_e32 v1, v[48:49]
	s_branch .LBB55_2982
.LBB55_2978:
                                        ; implicit-def: $vgpr1
	s_branch .LBB55_2999
.LBB55_2979:
                                        ; implicit-def: $vgpr1
	s_branch .LBB55_2988
.LBB55_2980:
	s_mov_b32 s1, -1
                                        ; implicit-def: $vgpr1
	s_branch .LBB55_2985
.LBB55_2981:
	s_mov_b32 s1, -1
                                        ; implicit-def: $vgpr1
.LBB55_2982:
	s_delay_alu instid0(SALU_CYCLE_1)
	s_and_not1_b32 vcc_lo, exec_lo, s1
	s_cbranch_vccnz .LBB55_2984
; %bb.2983:
	s_wait_loadcnt 0x0
	global_load_b32 v1, v[46:47], off
	s_wait_loadcnt 0x0
	v_cvt_i32_f32_e32 v1, v1
.LBB55_2984:
	s_mov_b32 s1, 0
.LBB55_2985:
	s_delay_alu instid0(SALU_CYCLE_1)
	s_and_not1_b32 vcc_lo, exec_lo, s1
	s_cbranch_vccnz .LBB55_2987
; %bb.2986:
	s_wait_loadcnt 0x0
	global_load_b32 v1, v[46:47], off
	s_wait_loadcnt 0x0
	v_cvt_f32_f16_e32 v1, v1
	s_delay_alu instid0(VALU_DEP_1)
	v_cvt_i32_f32_e32 v1, v1
.LBB55_2987:
	s_cbranch_execnz .LBB55_2998
.LBB55_2988:
	s_cmp_lt_i32 s0, 6
	s_cbranch_scc1 .LBB55_2991
; %bb.2989:
	s_cmp_gt_i32 s0, 6
	s_cbranch_scc0 .LBB55_2992
; %bb.2990:
	global_load_b64 v[48:49], v[46:47], off
	s_mov_b32 s1, 0
	s_wait_loadcnt 0x0
	v_cvt_i32_f64_e32 v1, v[48:49]
	s_branch .LBB55_2993
.LBB55_2991:
	s_mov_b32 s1, -1
                                        ; implicit-def: $vgpr1
	s_branch .LBB55_2996
.LBB55_2992:
	s_mov_b32 s1, -1
                                        ; implicit-def: $vgpr1
.LBB55_2993:
	s_delay_alu instid0(SALU_CYCLE_1)
	s_and_not1_b32 vcc_lo, exec_lo, s1
	s_cbranch_vccnz .LBB55_2995
; %bb.2994:
	s_wait_loadcnt 0x0
	global_load_b32 v1, v[46:47], off
	s_wait_loadcnt 0x0
	v_cvt_i32_f32_e32 v1, v1
.LBB55_2995:
	s_mov_b32 s1, 0
.LBB55_2996:
	s_delay_alu instid0(SALU_CYCLE_1)
	s_and_not1_b32 vcc_lo, exec_lo, s1
	s_cbranch_vccnz .LBB55_2998
; %bb.2997:
	s_wait_loadcnt 0x0
	global_load_u16 v1, v[46:47], off
	s_wait_loadcnt 0x0
	v_cvt_f32_f16_e32 v1, v1
	s_delay_alu instid0(VALU_DEP_1)
	v_cvt_i32_f32_e32 v1, v1
.LBB55_2998:
	s_cbranch_execnz .LBB55_3017
.LBB55_2999:
	s_cmp_lt_i32 s0, 2
	s_cbranch_scc1 .LBB55_3003
; %bb.3000:
	s_cmp_lt_i32 s0, 3
	s_cbranch_scc1 .LBB55_3004
; %bb.3001:
	s_cmp_gt_i32 s0, 3
	s_cbranch_scc0 .LBB55_3005
; %bb.3002:
	s_wait_loadcnt 0x0
	global_load_b32 v1, v[46:47], off
	s_mov_b32 s1, 0
	s_branch .LBB55_3006
.LBB55_3003:
                                        ; implicit-def: $vgpr1
	s_branch .LBB55_3012
.LBB55_3004:
	s_mov_b32 s1, -1
                                        ; implicit-def: $vgpr1
	s_branch .LBB55_3009
.LBB55_3005:
	s_mov_b32 s1, -1
                                        ; implicit-def: $vgpr1
.LBB55_3006:
	s_delay_alu instid0(SALU_CYCLE_1)
	s_and_not1_b32 vcc_lo, exec_lo, s1
	s_cbranch_vccnz .LBB55_3008
; %bb.3007:
	s_wait_loadcnt 0x0
	global_load_b32 v1, v[46:47], off
.LBB55_3008:
	s_mov_b32 s1, 0
.LBB55_3009:
	s_delay_alu instid0(SALU_CYCLE_1)
	s_and_not1_b32 vcc_lo, exec_lo, s1
	s_cbranch_vccnz .LBB55_3011
; %bb.3010:
	s_wait_loadcnt 0x0
	global_load_i16 v1, v[46:47], off
.LBB55_3011:
	s_cbranch_execnz .LBB55_3017
.LBB55_3012:
	s_cmp_gt_i32 s0, 0
	s_mov_b32 s0, 0
	s_cbranch_scc0 .LBB55_3014
; %bb.3013:
	s_wait_loadcnt 0x0
	global_load_i8 v1, v[46:47], off
	s_branch .LBB55_3015
.LBB55_3014:
	s_mov_b32 s0, -1
                                        ; implicit-def: $vgpr1
.LBB55_3015:
	s_delay_alu instid0(SALU_CYCLE_1)
	s_and_not1_b32 vcc_lo, exec_lo, s0
	s_cbranch_vccnz .LBB55_3017
; %bb.3016:
	s_wait_loadcnt 0x0
	global_load_u8 v1, v[46:47], off
.LBB55_3017:
.LBB55_3018:
	v_mov_b32_e32 v45, 0
	s_load_b64 s[12:13], s[2:3], 0x258
	global_load_u8 v3, v45, s[2:3] offset:690
	s_wait_kmcnt 0x0
	v_add_nc_u64_e32 v[44:45], s[12:13], v[44:45]
	s_wait_loadcnt 0x0
	v_and_b32_e32 v5, 0xffff, v3
	v_readfirstlane_b32 s37, v3
	s_delay_alu instid0(VALU_DEP_2)
	v_cmp_gt_i32_e32 vcc_lo, 11, v5
	s_cbranch_vccnz .LBB55_3025
; %bb.3019:
	s_and_b32 s0, 0xffff, s37
	s_mov_b32 s8, 0
	s_cmp_gt_i32 s0, 25
	s_cbranch_scc0 .LBB55_3027
; %bb.3020:
	s_cmp_gt_i32 s0, 28
	s_cbranch_scc0 .LBB55_3028
; %bb.3021:
	;; [unrolled: 3-line block ×4, first 2 shown]
	s_cmp_eq_u32 s0, 46
	s_mov_b32 s10, 0
	s_cbranch_scc0 .LBB55_3032
; %bb.3024:
	global_load_b32 v3, v[44:45], off
	s_mov_b32 s1, 0
	s_mov_b32 s9, -1
	s_wait_loadcnt 0x0
	v_lshlrev_b32_e32 v3, 16, v3
	s_delay_alu instid0(VALU_DEP_1)
	v_cvt_i32_f32_e32 v3, v3
	s_branch .LBB55_3034
.LBB55_3025:
	s_mov_b32 s9, 0
                                        ; implicit-def: $vgpr3
	s_cbranch_execnz .LBB55_3095
.LBB55_3026:
	s_and_not1_b32 vcc_lo, exec_lo, s9
	s_cbranch_vccnz .LBB55_3530
	s_branch .LBB55_3142
.LBB55_3027:
	s_mov_b32 s9, 0
	s_mov_b32 s1, 0
                                        ; implicit-def: $vgpr3
	s_cbranch_execnz .LBB55_3061
	s_branch .LBB55_3091
.LBB55_3028:
	s_mov_b32 s10, -1
	s_mov_b32 s9, 0
	s_mov_b32 s1, 0
                                        ; implicit-def: $vgpr3
	s_branch .LBB55_3044
.LBB55_3029:
	s_mov_b32 s10, -1
	s_mov_b32 s9, 0
	s_mov_b32 s1, 0
                                        ; implicit-def: $vgpr3
	s_branch .LBB55_3039
.LBB55_3030:
	s_or_b32 s33, s38, exec_lo
	s_trap 2
	s_cbranch_execz .LBB55_2971
	s_branch .LBB55_2972
.LBB55_3031:
	s_mov_b32 s10, -1
	s_mov_b32 s9, 0
	s_mov_b32 s1, 0
	s_branch .LBB55_3033
.LBB55_3032:
	s_mov_b32 s1, -1
	s_mov_b32 s9, 0
.LBB55_3033:
                                        ; implicit-def: $vgpr3
.LBB55_3034:
	s_and_b32 vcc_lo, exec_lo, s10
	s_cbranch_vccz .LBB55_3038
; %bb.3035:
	s_cmp_eq_u32 s0, 44
	s_cbranch_scc0 .LBB55_3037
; %bb.3036:
	global_load_u8 v3, v[44:45], off
	s_mov_b32 s1, 0
	s_mov_b32 s9, -1
	s_wait_loadcnt 0x0
	v_lshlrev_b32_e32 v5, 23, v3
	v_cmp_ne_u32_e32 vcc_lo, 0, v3
	s_delay_alu instid0(VALU_DEP_2) | instskip(NEXT) | instid1(VALU_DEP_1)
	v_cvt_i32_f32_e32 v5, v5
	v_cndmask_b32_e32 v3, 0, v5, vcc_lo
	s_branch .LBB55_3038
.LBB55_3037:
	s_mov_b32 s1, -1
                                        ; implicit-def: $vgpr3
.LBB55_3038:
	s_mov_b32 s10, 0
.LBB55_3039:
	s_delay_alu instid0(SALU_CYCLE_1)
	s_and_b32 vcc_lo, exec_lo, s10
	s_cbranch_vccz .LBB55_3043
; %bb.3040:
	s_cmp_eq_u32 s0, 29
	s_cbranch_scc0 .LBB55_3042
; %bb.3041:
	global_load_b32 v3, v[44:45], off
	s_mov_b32 s1, 0
	s_mov_b32 s9, -1
	s_branch .LBB55_3043
.LBB55_3042:
	s_mov_b32 s1, -1
                                        ; implicit-def: $vgpr3
.LBB55_3043:
	s_mov_b32 s10, 0
.LBB55_3044:
	s_delay_alu instid0(SALU_CYCLE_1)
	s_and_b32 vcc_lo, exec_lo, s10
	s_cbranch_vccz .LBB55_3060
; %bb.3045:
	s_cmp_lt_i32 s0, 27
	s_cbranch_scc1 .LBB55_3048
; %bb.3046:
	s_cmp_gt_i32 s0, 27
	s_cbranch_scc0 .LBB55_3049
; %bb.3047:
	s_wait_loadcnt 0x0
	global_load_b32 v3, v[44:45], off
	s_mov_b32 s9, 0
	s_branch .LBB55_3050
.LBB55_3048:
	s_mov_b32 s9, -1
                                        ; implicit-def: $vgpr3
	s_branch .LBB55_3053
.LBB55_3049:
	s_mov_b32 s9, -1
                                        ; implicit-def: $vgpr3
.LBB55_3050:
	s_delay_alu instid0(SALU_CYCLE_1)
	s_and_not1_b32 vcc_lo, exec_lo, s9
	s_cbranch_vccnz .LBB55_3052
; %bb.3051:
	s_wait_loadcnt 0x0
	global_load_u16 v3, v[44:45], off
.LBB55_3052:
	s_mov_b32 s9, 0
.LBB55_3053:
	s_delay_alu instid0(SALU_CYCLE_1)
	s_and_not1_b32 vcc_lo, exec_lo, s9
	s_cbranch_vccnz .LBB55_3059
; %bb.3054:
	global_load_u8 v5, v[44:45], off
	s_mov_b32 s10, 0
	s_mov_b32 s9, exec_lo
	s_wait_loadcnt 0x0
	v_cmpx_lt_i16_e32 0x7f, v5
	s_xor_b32 s9, exec_lo, s9
	s_cbranch_execz .LBB55_3070
; %bb.3055:
	v_cmp_ne_u16_e32 vcc_lo, 0x80, v5
	s_and_b32 s10, vcc_lo, exec_lo
	s_and_not1_saveexec_b32 s9, s9
	s_cbranch_execnz .LBB55_3071
.LBB55_3056:
	s_or_b32 exec_lo, exec_lo, s9
	v_mov_b32_e32 v3, 0
	s_and_saveexec_b32 s9, s10
	s_cbranch_execz .LBB55_3058
.LBB55_3057:
	v_and_b32_e32 v3, 0xffff, v5
	s_delay_alu instid0(VALU_DEP_1) | instskip(SKIP_1) | instid1(VALU_DEP_2)
	v_and_b32_e32 v7, 7, v3
	v_bfe_u32 v13, v3, 3, 4
	v_clz_i32_u32_e32 v9, v7
	s_delay_alu instid0(VALU_DEP_2) | instskip(NEXT) | instid1(VALU_DEP_2)
	v_cmp_eq_u32_e32 vcc_lo, 0, v13
	v_min_u32_e32 v9, 32, v9
	s_delay_alu instid0(VALU_DEP_1) | instskip(NEXT) | instid1(VALU_DEP_1)
	v_subrev_nc_u32_e32 v11, 28, v9
	v_dual_lshlrev_b32 v3, v11, v3 :: v_dual_sub_nc_u32 v9, 29, v9
	s_delay_alu instid0(VALU_DEP_1) | instskip(NEXT) | instid1(VALU_DEP_1)
	v_dual_lshlrev_b32 v5, 24, v5 :: v_dual_bitop2_b32 v3, 7, v3 bitop3:0x40
	v_dual_cndmask_b32 v3, v7, v3, vcc_lo :: v_dual_cndmask_b32 v9, v13, v9, vcc_lo
	s_delay_alu instid0(VALU_DEP_2) | instskip(NEXT) | instid1(VALU_DEP_2)
	v_and_b32_e32 v5, 0x80000000, v5
	v_lshlrev_b32_e32 v3, 20, v3
	s_delay_alu instid0(VALU_DEP_3) | instskip(NEXT) | instid1(VALU_DEP_1)
	v_lshl_add_u32 v7, v9, 23, 0x3b800000
	v_or3_b32 v3, v5, v7, v3
	s_delay_alu instid0(VALU_DEP_1)
	v_cvt_i32_f32_e32 v3, v3
.LBB55_3058:
	s_or_b32 exec_lo, exec_lo, s9
.LBB55_3059:
	s_mov_b32 s9, -1
.LBB55_3060:
	s_branch .LBB55_3091
.LBB55_3061:
	s_cmp_gt_i32 s0, 22
	s_cbranch_scc0 .LBB55_3069
; %bb.3062:
	s_cmp_lt_i32 s0, 24
	s_cbranch_scc1 .LBB55_3072
; %bb.3063:
	s_cmp_gt_i32 s0, 24
	s_cbranch_scc0 .LBB55_3073
; %bb.3064:
	global_load_u8 v5, v[44:45], off
	s_mov_b32 s9, 0
	s_mov_b32 s8, exec_lo
	s_wait_loadcnt 0x0
	v_cmpx_lt_i16_e32 0x7f, v5
	s_xor_b32 s8, exec_lo, s8
	s_cbranch_execz .LBB55_3085
; %bb.3065:
	v_cmp_ne_u16_e32 vcc_lo, 0x80, v5
	s_and_b32 s9, vcc_lo, exec_lo
	s_and_not1_saveexec_b32 s8, s8
	s_cbranch_execnz .LBB55_3086
.LBB55_3066:
	s_or_b32 exec_lo, exec_lo, s8
	v_mov_b32_e32 v3, 0
	s_and_saveexec_b32 s8, s9
	s_cbranch_execz .LBB55_3068
.LBB55_3067:
	v_and_b32_e32 v3, 0xffff, v5
	s_delay_alu instid0(VALU_DEP_1) | instskip(SKIP_1) | instid1(VALU_DEP_2)
	v_and_b32_e32 v7, 3, v3
	v_bfe_u32 v13, v3, 2, 5
	v_clz_i32_u32_e32 v9, v7
	s_delay_alu instid0(VALU_DEP_2) | instskip(NEXT) | instid1(VALU_DEP_2)
	v_cmp_eq_u32_e32 vcc_lo, 0, v13
	v_min_u32_e32 v9, 32, v9
	s_delay_alu instid0(VALU_DEP_1) | instskip(NEXT) | instid1(VALU_DEP_1)
	v_subrev_nc_u32_e32 v11, 29, v9
	v_dual_lshlrev_b32 v3, v11, v3 :: v_dual_sub_nc_u32 v9, 30, v9
	s_delay_alu instid0(VALU_DEP_1) | instskip(NEXT) | instid1(VALU_DEP_1)
	v_dual_lshlrev_b32 v5, 24, v5 :: v_dual_bitop2_b32 v3, 3, v3 bitop3:0x40
	v_dual_cndmask_b32 v3, v7, v3, vcc_lo :: v_dual_cndmask_b32 v9, v13, v9, vcc_lo
	s_delay_alu instid0(VALU_DEP_2) | instskip(NEXT) | instid1(VALU_DEP_2)
	v_and_b32_e32 v5, 0x80000000, v5
	v_lshlrev_b32_e32 v3, 21, v3
	s_delay_alu instid0(VALU_DEP_3) | instskip(NEXT) | instid1(VALU_DEP_1)
	v_lshl_add_u32 v7, v9, 23, 0x37800000
	v_or3_b32 v3, v5, v7, v3
	s_delay_alu instid0(VALU_DEP_1)
	v_cvt_i32_f32_e32 v3, v3
.LBB55_3068:
	s_or_b32 exec_lo, exec_lo, s8
	s_mov_b32 s8, 0
	s_branch .LBB55_3074
.LBB55_3069:
	s_mov_b32 s8, -1
                                        ; implicit-def: $vgpr3
	s_branch .LBB55_3080
.LBB55_3070:
	s_and_not1_saveexec_b32 s9, s9
	s_cbranch_execz .LBB55_3056
.LBB55_3071:
	v_cmp_ne_u16_e32 vcc_lo, 0, v5
	s_and_not1_b32 s10, s10, exec_lo
	s_and_b32 s11, vcc_lo, exec_lo
	s_delay_alu instid0(SALU_CYCLE_1)
	s_or_b32 s10, s10, s11
	s_or_b32 exec_lo, exec_lo, s9
	v_mov_b32_e32 v3, 0
	s_and_saveexec_b32 s9, s10
	s_cbranch_execnz .LBB55_3057
	s_branch .LBB55_3058
.LBB55_3072:
	s_mov_b32 s8, -1
                                        ; implicit-def: $vgpr3
	s_branch .LBB55_3077
.LBB55_3073:
	s_mov_b32 s8, -1
                                        ; implicit-def: $vgpr3
.LBB55_3074:
	s_delay_alu instid0(SALU_CYCLE_1)
	s_and_b32 vcc_lo, exec_lo, s8
	s_cbranch_vccz .LBB55_3076
; %bb.3075:
	s_wait_loadcnt 0x0
	global_load_u8 v3, v[44:45], off
	s_wait_loadcnt 0x0
	v_lshlrev_b32_e32 v3, 24, v3
	s_delay_alu instid0(VALU_DEP_1) | instskip(NEXT) | instid1(VALU_DEP_1)
	v_and_b32_e32 v5, 0x7f000000, v3
	v_clz_i32_u32_e32 v7, v5
	v_add_nc_u32_e32 v11, 0x1000000, v5
	v_cmp_ne_u32_e32 vcc_lo, 0, v5
	s_delay_alu instid0(VALU_DEP_3) | instskip(NEXT) | instid1(VALU_DEP_1)
	v_min_u32_e32 v7, 32, v7
	v_sub_nc_u32_e64 v7, v7, 4 clamp
	s_delay_alu instid0(VALU_DEP_1) | instskip(NEXT) | instid1(VALU_DEP_1)
	v_dual_lshlrev_b32 v9, v7, v5 :: v_dual_lshlrev_b32 v7, 23, v7
	v_lshrrev_b32_e32 v9, 4, v9
	s_delay_alu instid0(VALU_DEP_1) | instskip(SKIP_1) | instid1(VALU_DEP_2)
	v_sub_nc_u32_e32 v7, v9, v7
	v_ashrrev_i32_e32 v9, 8, v11
	v_add_nc_u32_e32 v7, 0x3c000000, v7
	s_delay_alu instid0(VALU_DEP_1) | instskip(NEXT) | instid1(VALU_DEP_1)
	v_and_or_b32 v7, 0x7f800000, v9, v7
	v_cndmask_b32_e32 v5, 0, v7, vcc_lo
	s_delay_alu instid0(VALU_DEP_1) | instskip(NEXT) | instid1(VALU_DEP_1)
	v_and_or_b32 v3, 0x80000000, v3, v5
	v_cvt_i32_f32_e32 v3, v3
.LBB55_3076:
	s_mov_b32 s8, 0
.LBB55_3077:
	s_delay_alu instid0(SALU_CYCLE_1)
	s_and_not1_b32 vcc_lo, exec_lo, s8
	s_cbranch_vccnz .LBB55_3079
; %bb.3078:
	s_wait_loadcnt 0x0
	global_load_u8 v3, v[44:45], off
	s_wait_loadcnt 0x0
	v_lshlrev_b32_e32 v5, 25, v3
	v_lshlrev_b16 v3, 8, v3
	s_delay_alu instid0(VALU_DEP_1) | instskip(SKIP_1) | instid1(VALU_DEP_2)
	v_and_or_b32 v9, 0x7f00, v3, 0.5
	v_bfe_i32 v3, v3, 0, 16
	v_add_f32_e32 v9, -0.5, v9
	v_lshrrev_b32_e32 v7, 4, v5
	v_cmp_gt_u32_e32 vcc_lo, 0x8000000, v5
	s_delay_alu instid0(VALU_DEP_2) | instskip(NEXT) | instid1(VALU_DEP_1)
	v_or_b32_e32 v7, 0x70000000, v7
	v_mul_f32_e32 v7, 0x7800000, v7
	s_delay_alu instid0(VALU_DEP_1) | instskip(NEXT) | instid1(VALU_DEP_1)
	v_cndmask_b32_e32 v5, v7, v9, vcc_lo
	v_and_or_b32 v3, 0x80000000, v3, v5
	s_delay_alu instid0(VALU_DEP_1)
	v_cvt_i32_f32_e32 v3, v3
.LBB55_3079:
	s_mov_b32 s8, 0
	s_mov_b32 s9, -1
.LBB55_3080:
	s_and_not1_b32 vcc_lo, exec_lo, s8
	s_mov_b32 s8, 0
	s_cbranch_vccnz .LBB55_3091
; %bb.3081:
	s_cmp_gt_i32 s0, 14
	s_cbranch_scc0 .LBB55_3084
; %bb.3082:
	s_cmp_eq_u32 s0, 15
	s_cbranch_scc0 .LBB55_3087
; %bb.3083:
	s_wait_loadcnt 0x0
	global_load_u16 v3, v[44:45], off
	s_mov_b32 s1, 0
	s_mov_b32 s9, -1
	s_wait_loadcnt 0x0
	v_lshlrev_b32_e32 v3, 16, v3
	s_delay_alu instid0(VALU_DEP_1)
	v_cvt_i32_f32_e32 v3, v3
	s_branch .LBB55_3089
.LBB55_3084:
	s_mov_b32 s8, -1
	s_branch .LBB55_3088
.LBB55_3085:
	s_and_not1_saveexec_b32 s8, s8
	s_cbranch_execz .LBB55_3066
.LBB55_3086:
	v_cmp_ne_u16_e32 vcc_lo, 0, v5
	s_and_not1_b32 s9, s9, exec_lo
	s_and_b32 s10, vcc_lo, exec_lo
	s_delay_alu instid0(SALU_CYCLE_1)
	s_or_b32 s9, s9, s10
	s_or_b32 exec_lo, exec_lo, s8
	v_mov_b32_e32 v3, 0
	s_and_saveexec_b32 s8, s9
	s_cbranch_execnz .LBB55_3067
	s_branch .LBB55_3068
.LBB55_3087:
	s_mov_b32 s1, -1
.LBB55_3088:
                                        ; implicit-def: $vgpr3
.LBB55_3089:
	s_and_b32 vcc_lo, exec_lo, s8
	s_mov_b32 s8, 0
	s_cbranch_vccz .LBB55_3091
; %bb.3090:
	s_cmp_lg_u32 s0, 11
	s_mov_b32 s8, -1
	s_cselect_b32 s1, -1, 0
.LBB55_3091:
	s_delay_alu instid0(SALU_CYCLE_1)
	s_and_b32 vcc_lo, exec_lo, s1
	s_cbranch_vccnz .LBB55_3154
; %bb.3092:
	s_and_not1_b32 vcc_lo, exec_lo, s8
	s_cbranch_vccnz .LBB55_3094
.LBB55_3093:
	s_wait_loadcnt 0x0
	global_load_u8 v3, v[44:45], off
	s_mov_b32 s9, -1
	s_wait_loadcnt 0x0
	v_cmp_ne_u16_e32 vcc_lo, 0, v3
	v_cndmask_b32_e64 v3, 0, 1, vcc_lo
.LBB55_3094:
	s_branch .LBB55_3026
.LBB55_3095:
	s_and_b32 s0, 0xffff, s37
	s_delay_alu instid0(SALU_CYCLE_1)
	s_cmp_lt_i32 s0, 5
	s_cbranch_scc1 .LBB55_3100
; %bb.3096:
	s_cmp_lt_i32 s0, 8
	s_cbranch_scc1 .LBB55_3101
; %bb.3097:
	;; [unrolled: 3-line block ×3, first 2 shown]
	s_cmp_gt_i32 s0, 9
	s_cbranch_scc0 .LBB55_3103
; %bb.3099:
	global_load_b64 v[46:47], v[44:45], off
	s_mov_b32 s1, 0
	s_wait_loadcnt 0x0
	v_cvt_i32_f64_e32 v3, v[46:47]
	s_branch .LBB55_3104
.LBB55_3100:
                                        ; implicit-def: $vgpr3
	s_branch .LBB55_3122
.LBB55_3101:
	s_mov_b32 s1, -1
                                        ; implicit-def: $vgpr3
	s_branch .LBB55_3110
.LBB55_3102:
	s_mov_b32 s1, -1
                                        ; implicit-def: $vgpr3
	s_branch .LBB55_3107
.LBB55_3103:
	s_mov_b32 s1, -1
                                        ; implicit-def: $vgpr3
.LBB55_3104:
	s_delay_alu instid0(SALU_CYCLE_1)
	s_and_not1_b32 vcc_lo, exec_lo, s1
	s_cbranch_vccnz .LBB55_3106
; %bb.3105:
	s_wait_loadcnt 0x0
	global_load_b32 v3, v[44:45], off
	s_wait_loadcnt 0x0
	v_cvt_i32_f32_e32 v3, v3
.LBB55_3106:
	s_mov_b32 s1, 0
.LBB55_3107:
	s_delay_alu instid0(SALU_CYCLE_1)
	s_and_not1_b32 vcc_lo, exec_lo, s1
	s_cbranch_vccnz .LBB55_3109
; %bb.3108:
	s_wait_loadcnt 0x0
	global_load_b32 v3, v[44:45], off
	s_wait_loadcnt 0x0
	v_cvt_f32_f16_e32 v3, v3
	s_delay_alu instid0(VALU_DEP_1)
	v_cvt_i32_f32_e32 v3, v3
.LBB55_3109:
	s_mov_b32 s1, 0
.LBB55_3110:
	s_delay_alu instid0(SALU_CYCLE_1)
	s_and_not1_b32 vcc_lo, exec_lo, s1
	s_cbranch_vccnz .LBB55_3121
; %bb.3111:
	s_cmp_lt_i32 s0, 6
	s_cbranch_scc1 .LBB55_3114
; %bb.3112:
	s_cmp_gt_i32 s0, 6
	s_cbranch_scc0 .LBB55_3115
; %bb.3113:
	global_load_b64 v[46:47], v[44:45], off
	s_mov_b32 s1, 0
	s_wait_loadcnt 0x0
	v_cvt_i32_f64_e32 v3, v[46:47]
	s_branch .LBB55_3116
.LBB55_3114:
	s_mov_b32 s1, -1
                                        ; implicit-def: $vgpr3
	s_branch .LBB55_3119
.LBB55_3115:
	s_mov_b32 s1, -1
                                        ; implicit-def: $vgpr3
.LBB55_3116:
	s_delay_alu instid0(SALU_CYCLE_1)
	s_and_not1_b32 vcc_lo, exec_lo, s1
	s_cbranch_vccnz .LBB55_3118
; %bb.3117:
	s_wait_loadcnt 0x0
	global_load_b32 v3, v[44:45], off
	s_wait_loadcnt 0x0
	v_cvt_i32_f32_e32 v3, v3
.LBB55_3118:
	s_mov_b32 s1, 0
.LBB55_3119:
	s_delay_alu instid0(SALU_CYCLE_1)
	s_and_not1_b32 vcc_lo, exec_lo, s1
	s_cbranch_vccnz .LBB55_3121
; %bb.3120:
	s_wait_loadcnt 0x0
	global_load_u16 v3, v[44:45], off
	s_wait_loadcnt 0x0
	v_cvt_f32_f16_e32 v3, v3
	s_delay_alu instid0(VALU_DEP_1)
	v_cvt_i32_f32_e32 v3, v3
.LBB55_3121:
	s_cbranch_execnz .LBB55_3141
.LBB55_3122:
	s_cmp_lt_i32 s0, 2
	s_cbranch_scc1 .LBB55_3126
; %bb.3123:
	s_cmp_lt_i32 s0, 3
	s_cbranch_scc1 .LBB55_3127
; %bb.3124:
	s_cmp_gt_i32 s0, 3
	s_cbranch_scc0 .LBB55_3128
; %bb.3125:
	s_wait_loadcnt 0x0
	global_load_b32 v3, v[44:45], off
	s_mov_b32 s1, 0
	s_branch .LBB55_3129
.LBB55_3126:
	s_mov_b32 s1, -1
                                        ; implicit-def: $vgpr3
	s_branch .LBB55_3135
.LBB55_3127:
	s_mov_b32 s1, -1
                                        ; implicit-def: $vgpr3
	s_branch .LBB55_3132
.LBB55_3128:
	s_mov_b32 s1, -1
                                        ; implicit-def: $vgpr3
.LBB55_3129:
	s_delay_alu instid0(SALU_CYCLE_1)
	s_and_not1_b32 vcc_lo, exec_lo, s1
	s_cbranch_vccnz .LBB55_3131
; %bb.3130:
	s_wait_loadcnt 0x0
	global_load_b32 v3, v[44:45], off
.LBB55_3131:
	s_mov_b32 s1, 0
.LBB55_3132:
	s_delay_alu instid0(SALU_CYCLE_1)
	s_and_not1_b32 vcc_lo, exec_lo, s1
	s_cbranch_vccnz .LBB55_3134
; %bb.3133:
	s_wait_loadcnt 0x0
	global_load_i16 v3, v[44:45], off
.LBB55_3134:
	s_mov_b32 s1, 0
.LBB55_3135:
	s_delay_alu instid0(SALU_CYCLE_1)
	s_and_not1_b32 vcc_lo, exec_lo, s1
	s_cbranch_vccnz .LBB55_3141
; %bb.3136:
	s_cmp_gt_i32 s0, 0
	s_mov_b32 s0, 0
	s_cbranch_scc0 .LBB55_3138
; %bb.3137:
	s_wait_loadcnt 0x0
	global_load_i8 v3, v[44:45], off
	s_branch .LBB55_3139
.LBB55_3138:
	s_mov_b32 s0, -1
                                        ; implicit-def: $vgpr3
.LBB55_3139:
	s_delay_alu instid0(SALU_CYCLE_1)
	s_and_not1_b32 vcc_lo, exec_lo, s0
	s_cbranch_vccnz .LBB55_3141
; %bb.3140:
	s_wait_loadcnt 0x0
	global_load_u8 v3, v[44:45], off
.LBB55_3141:
.LBB55_3142:
	v_mov_b32_e32 v43, 0
	s_load_b64 s[14:15], s[2:3], 0x260
	global_load_u8 v5, v43, s[2:3] offset:691
	s_wait_kmcnt 0x0
	v_add_nc_u64_e32 v[44:45], s[14:15], v[42:43]
	s_wait_loadcnt 0x0
	v_and_b32_e32 v7, 0xffff, v5
	v_readfirstlane_b32 s49, v5
	s_delay_alu instid0(VALU_DEP_2)
	v_cmp_gt_i32_e32 vcc_lo, 11, v7
	s_cbranch_vccnz .LBB55_3149
; %bb.3143:
	s_and_b32 s0, 0xffff, s49
	s_mov_b32 s8, 0
	s_cmp_gt_i32 s0, 25
	s_cbranch_scc0 .LBB55_3151
; %bb.3144:
	s_cmp_gt_i32 s0, 28
	s_cbranch_scc0 .LBB55_3152
; %bb.3145:
	;; [unrolled: 3-line block ×4, first 2 shown]
	s_cmp_eq_u32 s0, 46
	s_mov_b32 s10, 0
	s_cbranch_scc0 .LBB55_3156
; %bb.3148:
	global_load_b32 v5, v[44:45], off
	s_mov_b32 s1, 0
	s_mov_b32 s9, -1
	s_wait_loadcnt 0x0
	v_lshlrev_b32_e32 v5, 16, v5
	s_delay_alu instid0(VALU_DEP_1)
	v_cvt_i32_f32_e32 v42, v5
	s_branch .LBB55_3158
.LBB55_3149:
	s_mov_b32 s9, 0
                                        ; implicit-def: $vgpr42
	s_cbranch_execnz .LBB55_3220
.LBB55_3150:
	s_and_not1_b32 vcc_lo, exec_lo, s9
	s_cbranch_vccnz .LBB55_3530
	s_branch .LBB55_3268
.LBB55_3151:
	s_mov_b32 s10, -1
	s_mov_b32 s9, 0
	s_mov_b32 s1, 0
                                        ; implicit-def: $vgpr42
	s_branch .LBB55_3185
.LBB55_3152:
	s_mov_b32 s10, -1
	s_mov_b32 s9, 0
	s_mov_b32 s1, 0
                                        ; implicit-def: $vgpr42
	s_branch .LBB55_3168
.LBB55_3153:
	s_mov_b32 s10, -1
	s_mov_b32 s9, 0
	s_mov_b32 s1, 0
                                        ; implicit-def: $vgpr42
	s_branch .LBB55_3163
.LBB55_3154:
	s_or_b32 s33, s33, exec_lo
	s_trap 2
	s_cbranch_execz .LBB55_3093
	s_branch .LBB55_3094
.LBB55_3155:
	s_mov_b32 s10, -1
	s_mov_b32 s9, 0
	s_mov_b32 s1, 0
	s_branch .LBB55_3157
.LBB55_3156:
	s_mov_b32 s1, -1
	s_mov_b32 s9, 0
.LBB55_3157:
                                        ; implicit-def: $vgpr42
.LBB55_3158:
	s_and_b32 vcc_lo, exec_lo, s10
	s_cbranch_vccz .LBB55_3162
; %bb.3159:
	s_cmp_eq_u32 s0, 44
	s_cbranch_scc0 .LBB55_3161
; %bb.3160:
	global_load_u8 v5, v[44:45], off
	s_mov_b32 s1, 0
	s_mov_b32 s9, -1
	s_wait_loadcnt 0x0
	v_lshlrev_b32_e32 v7, 23, v5
	v_cmp_ne_u32_e32 vcc_lo, 0, v5
	s_delay_alu instid0(VALU_DEP_2) | instskip(NEXT) | instid1(VALU_DEP_1)
	v_cvt_i32_f32_e32 v7, v7
	v_cndmask_b32_e32 v42, 0, v7, vcc_lo
	s_branch .LBB55_3162
.LBB55_3161:
	s_mov_b32 s1, -1
                                        ; implicit-def: $vgpr42
.LBB55_3162:
	s_mov_b32 s10, 0
.LBB55_3163:
	s_delay_alu instid0(SALU_CYCLE_1)
	s_and_b32 vcc_lo, exec_lo, s10
	s_cbranch_vccz .LBB55_3167
; %bb.3164:
	s_cmp_eq_u32 s0, 29
	s_cbranch_scc0 .LBB55_3166
; %bb.3165:
	global_load_b32 v42, v[44:45], off
	s_mov_b32 s1, 0
	s_mov_b32 s9, -1
	s_branch .LBB55_3167
.LBB55_3166:
	s_mov_b32 s1, -1
                                        ; implicit-def: $vgpr42
.LBB55_3167:
	s_mov_b32 s10, 0
.LBB55_3168:
	s_delay_alu instid0(SALU_CYCLE_1)
	s_and_b32 vcc_lo, exec_lo, s10
	s_cbranch_vccz .LBB55_3184
; %bb.3169:
	s_cmp_lt_i32 s0, 27
	s_cbranch_scc1 .LBB55_3172
; %bb.3170:
	s_cmp_gt_i32 s0, 27
	s_cbranch_scc0 .LBB55_3173
; %bb.3171:
	s_wait_loadcnt 0x0
	global_load_b32 v42, v[44:45], off
	s_mov_b32 s9, 0
	s_branch .LBB55_3174
.LBB55_3172:
	s_mov_b32 s9, -1
                                        ; implicit-def: $vgpr42
	s_branch .LBB55_3177
.LBB55_3173:
	s_mov_b32 s9, -1
                                        ; implicit-def: $vgpr42
.LBB55_3174:
	s_delay_alu instid0(SALU_CYCLE_1)
	s_and_not1_b32 vcc_lo, exec_lo, s9
	s_cbranch_vccnz .LBB55_3176
; %bb.3175:
	s_wait_loadcnt 0x0
	global_load_u16 v42, v[44:45], off
.LBB55_3176:
	s_mov_b32 s9, 0
.LBB55_3177:
	s_delay_alu instid0(SALU_CYCLE_1)
	s_and_not1_b32 vcc_lo, exec_lo, s9
	s_cbranch_vccnz .LBB55_3183
; %bb.3178:
	global_load_u8 v5, v[44:45], off
	s_mov_b32 s10, 0
	s_mov_b32 s9, exec_lo
	s_wait_loadcnt 0x0
	v_cmpx_lt_i16_e32 0x7f, v5
	s_xor_b32 s9, exec_lo, s9
	s_cbranch_execz .LBB55_3195
; %bb.3179:
	v_cmp_ne_u16_e32 vcc_lo, 0x80, v5
	s_and_b32 s10, vcc_lo, exec_lo
	s_and_not1_saveexec_b32 s9, s9
	s_cbranch_execnz .LBB55_3196
.LBB55_3180:
	s_or_b32 exec_lo, exec_lo, s9
	v_mov_b32_e32 v42, 0
	s_and_saveexec_b32 s9, s10
	s_cbranch_execz .LBB55_3182
.LBB55_3181:
	v_and_b32_e32 v7, 0xffff, v5
	s_delay_alu instid0(VALU_DEP_1) | instskip(SKIP_1) | instid1(VALU_DEP_2)
	v_dual_lshlrev_b32 v5, 24, v5 :: v_dual_bitop2_b32 v9, 7, v7 bitop3:0x40
	v_bfe_u32 v15, v7, 3, 4
	v_and_b32_e32 v5, 0x80000000, v5
	s_delay_alu instid0(VALU_DEP_3) | instskip(NEXT) | instid1(VALU_DEP_3)
	v_clz_i32_u32_e32 v11, v9
	v_cmp_eq_u32_e32 vcc_lo, 0, v15
	s_delay_alu instid0(VALU_DEP_2) | instskip(NEXT) | instid1(VALU_DEP_1)
	v_min_u32_e32 v11, 32, v11
	v_subrev_nc_u32_e32 v13, 28, v11
	v_sub_nc_u32_e32 v11, 29, v11
	s_delay_alu instid0(VALU_DEP_2) | instskip(NEXT) | instid1(VALU_DEP_2)
	v_lshlrev_b32_e32 v7, v13, v7
	v_cndmask_b32_e32 v11, v15, v11, vcc_lo
	s_delay_alu instid0(VALU_DEP_2) | instskip(NEXT) | instid1(VALU_DEP_1)
	v_and_b32_e32 v7, 7, v7
	v_cndmask_b32_e32 v7, v9, v7, vcc_lo
	s_delay_alu instid0(VALU_DEP_3) | instskip(NEXT) | instid1(VALU_DEP_2)
	v_lshl_add_u32 v9, v11, 23, 0x3b800000
	v_lshlrev_b32_e32 v7, 20, v7
	s_delay_alu instid0(VALU_DEP_1) | instskip(NEXT) | instid1(VALU_DEP_1)
	v_or3_b32 v5, v5, v9, v7
	v_cvt_i32_f32_e32 v42, v5
.LBB55_3182:
	s_or_b32 exec_lo, exec_lo, s9
.LBB55_3183:
	s_mov_b32 s9, -1
.LBB55_3184:
	s_mov_b32 s10, 0
.LBB55_3185:
	s_delay_alu instid0(SALU_CYCLE_1)
	s_and_b32 vcc_lo, exec_lo, s10
	s_cbranch_vccz .LBB55_3216
; %bb.3186:
	s_cmp_gt_i32 s0, 22
	s_cbranch_scc0 .LBB55_3194
; %bb.3187:
	s_cmp_lt_i32 s0, 24
	s_cbranch_scc1 .LBB55_3197
; %bb.3188:
	s_cmp_gt_i32 s0, 24
	s_cbranch_scc0 .LBB55_3198
; %bb.3189:
	global_load_u8 v5, v[44:45], off
	s_mov_b32 s9, 0
	s_mov_b32 s8, exec_lo
	s_wait_loadcnt 0x0
	v_cmpx_lt_i16_e32 0x7f, v5
	s_xor_b32 s8, exec_lo, s8
	s_cbranch_execz .LBB55_3210
; %bb.3190:
	v_cmp_ne_u16_e32 vcc_lo, 0x80, v5
	s_and_b32 s9, vcc_lo, exec_lo
	s_and_not1_saveexec_b32 s8, s8
	s_cbranch_execnz .LBB55_3211
.LBB55_3191:
	s_or_b32 exec_lo, exec_lo, s8
	v_mov_b32_e32 v42, 0
	s_and_saveexec_b32 s8, s9
	s_cbranch_execz .LBB55_3193
.LBB55_3192:
	v_and_b32_e32 v7, 0xffff, v5
	s_delay_alu instid0(VALU_DEP_1) | instskip(SKIP_1) | instid1(VALU_DEP_2)
	v_dual_lshlrev_b32 v5, 24, v5 :: v_dual_bitop2_b32 v9, 3, v7 bitop3:0x40
	v_bfe_u32 v15, v7, 2, 5
	v_and_b32_e32 v5, 0x80000000, v5
	s_delay_alu instid0(VALU_DEP_3) | instskip(NEXT) | instid1(VALU_DEP_3)
	v_clz_i32_u32_e32 v11, v9
	v_cmp_eq_u32_e32 vcc_lo, 0, v15
	s_delay_alu instid0(VALU_DEP_2) | instskip(NEXT) | instid1(VALU_DEP_1)
	v_min_u32_e32 v11, 32, v11
	v_subrev_nc_u32_e32 v13, 29, v11
	v_sub_nc_u32_e32 v11, 30, v11
	s_delay_alu instid0(VALU_DEP_2) | instskip(NEXT) | instid1(VALU_DEP_2)
	v_lshlrev_b32_e32 v7, v13, v7
	v_cndmask_b32_e32 v11, v15, v11, vcc_lo
	s_delay_alu instid0(VALU_DEP_2) | instskip(NEXT) | instid1(VALU_DEP_1)
	v_and_b32_e32 v7, 3, v7
	v_cndmask_b32_e32 v7, v9, v7, vcc_lo
	s_delay_alu instid0(VALU_DEP_3) | instskip(NEXT) | instid1(VALU_DEP_2)
	v_lshl_add_u32 v9, v11, 23, 0x37800000
	v_lshlrev_b32_e32 v7, 21, v7
	s_delay_alu instid0(VALU_DEP_1) | instskip(NEXT) | instid1(VALU_DEP_1)
	v_or3_b32 v5, v5, v9, v7
	v_cvt_i32_f32_e32 v42, v5
.LBB55_3193:
	s_or_b32 exec_lo, exec_lo, s8
	s_mov_b32 s8, 0
	s_branch .LBB55_3199
.LBB55_3194:
	s_mov_b32 s8, -1
                                        ; implicit-def: $vgpr42
	s_branch .LBB55_3205
.LBB55_3195:
	s_and_not1_saveexec_b32 s9, s9
	s_cbranch_execz .LBB55_3180
.LBB55_3196:
	v_cmp_ne_u16_e32 vcc_lo, 0, v5
	s_and_not1_b32 s10, s10, exec_lo
	s_and_b32 s11, vcc_lo, exec_lo
	s_delay_alu instid0(SALU_CYCLE_1)
	s_or_b32 s10, s10, s11
	s_or_b32 exec_lo, exec_lo, s9
	v_mov_b32_e32 v42, 0
	s_and_saveexec_b32 s9, s10
	s_cbranch_execnz .LBB55_3181
	s_branch .LBB55_3182
.LBB55_3197:
	s_mov_b32 s8, -1
                                        ; implicit-def: $vgpr42
	s_branch .LBB55_3202
.LBB55_3198:
	s_mov_b32 s8, -1
                                        ; implicit-def: $vgpr42
.LBB55_3199:
	s_delay_alu instid0(SALU_CYCLE_1)
	s_and_b32 vcc_lo, exec_lo, s8
	s_cbranch_vccz .LBB55_3201
; %bb.3200:
	global_load_u8 v5, v[44:45], off
	s_wait_loadcnt 0x0
	v_lshlrev_b32_e32 v5, 24, v5
	s_delay_alu instid0(VALU_DEP_1) | instskip(NEXT) | instid1(VALU_DEP_1)
	v_and_b32_e32 v7, 0x7f000000, v5
	v_clz_i32_u32_e32 v9, v7
	v_add_nc_u32_e32 v13, 0x1000000, v7
	v_cmp_ne_u32_e32 vcc_lo, 0, v7
	s_delay_alu instid0(VALU_DEP_3) | instskip(NEXT) | instid1(VALU_DEP_1)
	v_min_u32_e32 v9, 32, v9
	v_sub_nc_u32_e64 v9, v9, 4 clamp
	s_delay_alu instid0(VALU_DEP_1) | instskip(NEXT) | instid1(VALU_DEP_1)
	v_dual_lshlrev_b32 v11, v9, v7 :: v_dual_lshlrev_b32 v9, 23, v9
	v_lshrrev_b32_e32 v11, 4, v11
	s_delay_alu instid0(VALU_DEP_1) | instskip(SKIP_1) | instid1(VALU_DEP_2)
	v_sub_nc_u32_e32 v9, v11, v9
	v_ashrrev_i32_e32 v11, 8, v13
	v_add_nc_u32_e32 v9, 0x3c000000, v9
	s_delay_alu instid0(VALU_DEP_1) | instskip(NEXT) | instid1(VALU_DEP_1)
	v_and_or_b32 v9, 0x7f800000, v11, v9
	v_cndmask_b32_e32 v7, 0, v9, vcc_lo
	s_delay_alu instid0(VALU_DEP_1) | instskip(NEXT) | instid1(VALU_DEP_1)
	v_and_or_b32 v5, 0x80000000, v5, v7
	v_cvt_i32_f32_e32 v42, v5
.LBB55_3201:
	s_mov_b32 s8, 0
.LBB55_3202:
	s_delay_alu instid0(SALU_CYCLE_1)
	s_and_not1_b32 vcc_lo, exec_lo, s8
	s_cbranch_vccnz .LBB55_3204
; %bb.3203:
	global_load_u8 v5, v[44:45], off
	s_wait_loadcnt 0x0
	v_lshlrev_b32_e32 v7, 25, v5
	v_lshlrev_b16 v5, 8, v5
	s_delay_alu instid0(VALU_DEP_1) | instskip(SKIP_1) | instid1(VALU_DEP_2)
	v_and_or_b32 v11, 0x7f00, v5, 0.5
	v_bfe_i32 v5, v5, 0, 16
	v_add_f32_e32 v11, -0.5, v11
	v_lshrrev_b32_e32 v9, 4, v7
	v_cmp_gt_u32_e32 vcc_lo, 0x8000000, v7
	s_delay_alu instid0(VALU_DEP_2) | instskip(NEXT) | instid1(VALU_DEP_1)
	v_or_b32_e32 v9, 0x70000000, v9
	v_mul_f32_e32 v9, 0x7800000, v9
	s_delay_alu instid0(VALU_DEP_1) | instskip(NEXT) | instid1(VALU_DEP_1)
	v_cndmask_b32_e32 v7, v9, v11, vcc_lo
	v_and_or_b32 v5, 0x80000000, v5, v7
	s_delay_alu instid0(VALU_DEP_1)
	v_cvt_i32_f32_e32 v42, v5
.LBB55_3204:
	s_mov_b32 s8, 0
	s_mov_b32 s9, -1
.LBB55_3205:
	s_and_not1_b32 vcc_lo, exec_lo, s8
	s_mov_b32 s8, 0
	s_cbranch_vccnz .LBB55_3216
; %bb.3206:
	s_cmp_gt_i32 s0, 14
	s_cbranch_scc0 .LBB55_3209
; %bb.3207:
	s_cmp_eq_u32 s0, 15
	s_cbranch_scc0 .LBB55_3212
; %bb.3208:
	global_load_u16 v5, v[44:45], off
	s_mov_b32 s1, 0
	s_mov_b32 s9, -1
	s_wait_loadcnt 0x0
	v_lshlrev_b32_e32 v5, 16, v5
	s_delay_alu instid0(VALU_DEP_1)
	v_cvt_i32_f32_e32 v42, v5
	s_branch .LBB55_3214
.LBB55_3209:
	s_mov_b32 s8, -1
	s_branch .LBB55_3213
.LBB55_3210:
	s_and_not1_saveexec_b32 s8, s8
	s_cbranch_execz .LBB55_3191
.LBB55_3211:
	v_cmp_ne_u16_e32 vcc_lo, 0, v5
	s_and_not1_b32 s9, s9, exec_lo
	s_and_b32 s10, vcc_lo, exec_lo
	s_delay_alu instid0(SALU_CYCLE_1)
	s_or_b32 s9, s9, s10
	s_or_b32 exec_lo, exec_lo, s8
	v_mov_b32_e32 v42, 0
	s_and_saveexec_b32 s8, s9
	s_cbranch_execnz .LBB55_3192
	s_branch .LBB55_3193
.LBB55_3212:
	s_mov_b32 s1, -1
.LBB55_3213:
                                        ; implicit-def: $vgpr42
.LBB55_3214:
	s_and_b32 vcc_lo, exec_lo, s8
	s_mov_b32 s8, 0
	s_cbranch_vccz .LBB55_3216
; %bb.3215:
	s_cmp_lg_u32 s0, 11
	s_mov_b32 s8, -1
	s_cselect_b32 s1, -1, 0
.LBB55_3216:
	s_delay_alu instid0(SALU_CYCLE_1)
	s_and_b32 vcc_lo, exec_lo, s1
	s_cbranch_vccnz .LBB55_3279
; %bb.3217:
	s_and_not1_b32 vcc_lo, exec_lo, s8
	s_cbranch_vccnz .LBB55_3219
.LBB55_3218:
	global_load_u8 v5, v[44:45], off
	s_mov_b32 s9, -1
	s_wait_loadcnt 0x0
	v_cmp_ne_u16_e32 vcc_lo, 0, v5
	v_cndmask_b32_e64 v42, 0, 1, vcc_lo
.LBB55_3219:
	s_branch .LBB55_3150
.LBB55_3220:
	s_and_b32 s0, 0xffff, s49
	s_delay_alu instid0(SALU_CYCLE_1)
	s_cmp_lt_i32 s0, 5
	s_cbranch_scc1 .LBB55_3225
; %bb.3221:
	s_cmp_lt_i32 s0, 8
	s_cbranch_scc1 .LBB55_3226
; %bb.3222:
	;; [unrolled: 3-line block ×3, first 2 shown]
	s_cmp_gt_i32 s0, 9
	s_cbranch_scc0 .LBB55_3228
; %bb.3224:
	s_wait_loadcnt 0x0
	global_load_b64 v[42:43], v[44:45], off
	s_mov_b32 s1, 0
	s_wait_loadcnt 0x0
	v_cvt_i32_f64_e32 v42, v[42:43]
	s_branch .LBB55_3229
.LBB55_3225:
	s_mov_b32 s1, -1
                                        ; implicit-def: $vgpr42
	s_branch .LBB55_3247
.LBB55_3226:
	s_mov_b32 s1, -1
                                        ; implicit-def: $vgpr42
	s_branch .LBB55_3235
.LBB55_3227:
	s_mov_b32 s1, -1
                                        ; implicit-def: $vgpr42
	s_branch .LBB55_3232
.LBB55_3228:
	s_mov_b32 s1, -1
                                        ; implicit-def: $vgpr42
.LBB55_3229:
	s_delay_alu instid0(SALU_CYCLE_1)
	s_and_not1_b32 vcc_lo, exec_lo, s1
	s_cbranch_vccnz .LBB55_3231
; %bb.3230:
	global_load_b32 v5, v[44:45], off
	s_wait_loadcnt 0x0
	v_cvt_i32_f32_e32 v42, v5
.LBB55_3231:
	s_mov_b32 s1, 0
.LBB55_3232:
	s_delay_alu instid0(SALU_CYCLE_1)
	s_and_not1_b32 vcc_lo, exec_lo, s1
	s_cbranch_vccnz .LBB55_3234
; %bb.3233:
	global_load_b32 v5, v[44:45], off
	s_wait_loadcnt 0x0
	v_cvt_f32_f16_e32 v5, v5
	s_delay_alu instid0(VALU_DEP_1)
	v_cvt_i32_f32_e32 v42, v5
.LBB55_3234:
	s_mov_b32 s1, 0
.LBB55_3235:
	s_delay_alu instid0(SALU_CYCLE_1)
	s_and_not1_b32 vcc_lo, exec_lo, s1
	s_cbranch_vccnz .LBB55_3246
; %bb.3236:
	s_cmp_lt_i32 s0, 6
	s_cbranch_scc1 .LBB55_3239
; %bb.3237:
	s_cmp_gt_i32 s0, 6
	s_cbranch_scc0 .LBB55_3240
; %bb.3238:
	s_wait_loadcnt 0x0
	global_load_b64 v[42:43], v[44:45], off
	s_mov_b32 s1, 0
	s_wait_loadcnt 0x0
	v_cvt_i32_f64_e32 v42, v[42:43]
	s_branch .LBB55_3241
.LBB55_3239:
	s_mov_b32 s1, -1
                                        ; implicit-def: $vgpr42
	s_branch .LBB55_3244
.LBB55_3240:
	s_mov_b32 s1, -1
                                        ; implicit-def: $vgpr42
.LBB55_3241:
	s_delay_alu instid0(SALU_CYCLE_1)
	s_and_not1_b32 vcc_lo, exec_lo, s1
	s_cbranch_vccnz .LBB55_3243
; %bb.3242:
	global_load_b32 v5, v[44:45], off
	s_wait_loadcnt 0x0
	v_cvt_i32_f32_e32 v42, v5
.LBB55_3243:
	s_mov_b32 s1, 0
.LBB55_3244:
	s_delay_alu instid0(SALU_CYCLE_1)
	s_and_not1_b32 vcc_lo, exec_lo, s1
	s_cbranch_vccnz .LBB55_3246
; %bb.3245:
	global_load_u16 v5, v[44:45], off
	s_wait_loadcnt 0x0
	v_cvt_f32_f16_e32 v5, v5
	s_delay_alu instid0(VALU_DEP_1)
	v_cvt_i32_f32_e32 v42, v5
.LBB55_3246:
	s_mov_b32 s1, 0
.LBB55_3247:
	s_delay_alu instid0(SALU_CYCLE_1)
	s_and_not1_b32 vcc_lo, exec_lo, s1
	s_cbranch_vccnz .LBB55_3267
; %bb.3248:
	s_cmp_lt_i32 s0, 2
	s_cbranch_scc1 .LBB55_3252
; %bb.3249:
	s_cmp_lt_i32 s0, 3
	s_cbranch_scc1 .LBB55_3253
; %bb.3250:
	s_cmp_gt_i32 s0, 3
	s_cbranch_scc0 .LBB55_3254
; %bb.3251:
	s_wait_loadcnt 0x0
	global_load_b32 v42, v[44:45], off
	s_mov_b32 s1, 0
	s_branch .LBB55_3255
.LBB55_3252:
	s_mov_b32 s1, -1
                                        ; implicit-def: $vgpr42
	s_branch .LBB55_3261
.LBB55_3253:
	s_mov_b32 s1, -1
                                        ; implicit-def: $vgpr42
	s_branch .LBB55_3258
.LBB55_3254:
	s_mov_b32 s1, -1
                                        ; implicit-def: $vgpr42
.LBB55_3255:
	s_delay_alu instid0(SALU_CYCLE_1)
	s_and_not1_b32 vcc_lo, exec_lo, s1
	s_cbranch_vccnz .LBB55_3257
; %bb.3256:
	s_wait_loadcnt 0x0
	global_load_b32 v42, v[44:45], off
.LBB55_3257:
	s_mov_b32 s1, 0
.LBB55_3258:
	s_delay_alu instid0(SALU_CYCLE_1)
	s_and_not1_b32 vcc_lo, exec_lo, s1
	s_cbranch_vccnz .LBB55_3260
; %bb.3259:
	s_wait_loadcnt 0x0
	global_load_i16 v42, v[44:45], off
.LBB55_3260:
	s_mov_b32 s1, 0
.LBB55_3261:
	s_delay_alu instid0(SALU_CYCLE_1)
	s_and_not1_b32 vcc_lo, exec_lo, s1
	s_cbranch_vccnz .LBB55_3267
; %bb.3262:
	s_cmp_gt_i32 s0, 0
	s_mov_b32 s0, 0
	s_cbranch_scc0 .LBB55_3264
; %bb.3263:
	s_wait_loadcnt 0x0
	global_load_i8 v42, v[44:45], off
	s_branch .LBB55_3265
.LBB55_3264:
	s_mov_b32 s0, -1
                                        ; implicit-def: $vgpr42
.LBB55_3265:
	s_delay_alu instid0(SALU_CYCLE_1)
	s_and_not1_b32 vcc_lo, exec_lo, s0
	s_cbranch_vccnz .LBB55_3267
; %bb.3266:
	s_wait_loadcnt 0x0
	global_load_u8 v42, v[44:45], off
.LBB55_3267:
.LBB55_3268:
	s_clause 0x1
	s_load_b64 s[16:17], s[2:3], 0x268
	s_load_b32 s0, s[2:3], 0x2b4
	v_mov_b32_e32 v41, 0
	s_wait_kmcnt 0x0
	s_delay_alu instid0(VALU_DEP_1) | instskip(SKIP_1) | instid1(SALU_CYCLE_1)
	v_add_nc_u64_e32 v[44:45], s[16:17], v[40:41]
	s_and_b32 s50, s0, 0xff
	s_cmp_lt_i32 s50, 11
	s_cbranch_scc1 .LBB55_3275
; %bb.3269:
	s_and_b32 s0, 0xffff, s50
	s_mov_b32 s8, 0
	s_cmp_gt_i32 s0, 25
	s_cbranch_scc0 .LBB55_3276
; %bb.3270:
	s_cmp_gt_i32 s0, 28
	s_cbranch_scc0 .LBB55_3277
; %bb.3271:
	;; [unrolled: 3-line block ×4, first 2 shown]
	s_cmp_eq_u32 s0, 46
	s_mov_b32 s10, 0
	s_cbranch_scc0 .LBB55_3281
; %bb.3274:
	global_load_b32 v5, v[44:45], off
	s_mov_b32 s1, 0
	s_mov_b32 s9, -1
	s_wait_loadcnt 0x0
	v_lshlrev_b32_e32 v5, 16, v5
	s_delay_alu instid0(VALU_DEP_1)
	v_cvt_i32_f32_e32 v40, v5
	s_branch .LBB55_3283
.LBB55_3275:
	s_mov_b32 s0, -1
	s_mov_b32 s9, 0
                                        ; implicit-def: $vgpr40
	s_branch .LBB55_3345
.LBB55_3276:
	s_mov_b32 s10, -1
	s_mov_b32 s9, 0
	s_mov_b32 s1, 0
                                        ; implicit-def: $vgpr40
	s_branch .LBB55_3310
.LBB55_3277:
	s_mov_b32 s10, -1
	s_mov_b32 s9, 0
	s_mov_b32 s1, 0
                                        ; implicit-def: $vgpr40
	s_branch .LBB55_3293
.LBB55_3278:
	s_mov_b32 s10, -1
	s_mov_b32 s9, 0
	s_mov_b32 s1, 0
                                        ; implicit-def: $vgpr40
	s_branch .LBB55_3288
.LBB55_3279:
	s_or_b32 s33, s33, exec_lo
	s_trap 2
	s_cbranch_execz .LBB55_3218
	s_branch .LBB55_3219
.LBB55_3280:
	s_mov_b32 s10, -1
	s_mov_b32 s9, 0
	s_mov_b32 s1, 0
	s_branch .LBB55_3282
.LBB55_3281:
	s_mov_b32 s1, -1
	s_mov_b32 s9, 0
.LBB55_3282:
                                        ; implicit-def: $vgpr40
.LBB55_3283:
	s_and_b32 vcc_lo, exec_lo, s10
	s_cbranch_vccz .LBB55_3287
; %bb.3284:
	s_cmp_eq_u32 s0, 44
	s_cbranch_scc0 .LBB55_3286
; %bb.3285:
	global_load_u8 v5, v[44:45], off
	s_mov_b32 s1, 0
	s_mov_b32 s9, -1
	s_wait_loadcnt 0x0
	v_lshlrev_b32_e32 v7, 23, v5
	v_cmp_ne_u32_e32 vcc_lo, 0, v5
	s_delay_alu instid0(VALU_DEP_2) | instskip(NEXT) | instid1(VALU_DEP_1)
	v_cvt_i32_f32_e32 v7, v7
	v_cndmask_b32_e32 v40, 0, v7, vcc_lo
	s_branch .LBB55_3287
.LBB55_3286:
	s_mov_b32 s1, -1
                                        ; implicit-def: $vgpr40
.LBB55_3287:
	s_mov_b32 s10, 0
.LBB55_3288:
	s_delay_alu instid0(SALU_CYCLE_1)
	s_and_b32 vcc_lo, exec_lo, s10
	s_cbranch_vccz .LBB55_3292
; %bb.3289:
	s_cmp_eq_u32 s0, 29
	s_cbranch_scc0 .LBB55_3291
; %bb.3290:
	global_load_b32 v40, v[44:45], off
	s_mov_b32 s1, 0
	s_mov_b32 s9, -1
	s_branch .LBB55_3292
.LBB55_3291:
	s_mov_b32 s1, -1
                                        ; implicit-def: $vgpr40
.LBB55_3292:
	s_mov_b32 s10, 0
.LBB55_3293:
	s_delay_alu instid0(SALU_CYCLE_1)
	s_and_b32 vcc_lo, exec_lo, s10
	s_cbranch_vccz .LBB55_3309
; %bb.3294:
	s_cmp_lt_i32 s0, 27
	s_cbranch_scc1 .LBB55_3297
; %bb.3295:
	s_cmp_gt_i32 s0, 27
	s_cbranch_scc0 .LBB55_3298
; %bb.3296:
	s_wait_loadcnt 0x0
	global_load_b32 v40, v[44:45], off
	s_mov_b32 s9, 0
	s_branch .LBB55_3299
.LBB55_3297:
	s_mov_b32 s9, -1
                                        ; implicit-def: $vgpr40
	s_branch .LBB55_3302
.LBB55_3298:
	s_mov_b32 s9, -1
                                        ; implicit-def: $vgpr40
.LBB55_3299:
	s_delay_alu instid0(SALU_CYCLE_1)
	s_and_not1_b32 vcc_lo, exec_lo, s9
	s_cbranch_vccnz .LBB55_3301
; %bb.3300:
	s_wait_loadcnt 0x0
	global_load_u16 v40, v[44:45], off
.LBB55_3301:
	s_mov_b32 s9, 0
.LBB55_3302:
	s_delay_alu instid0(SALU_CYCLE_1)
	s_and_not1_b32 vcc_lo, exec_lo, s9
	s_cbranch_vccnz .LBB55_3308
; %bb.3303:
	global_load_u8 v5, v[44:45], off
	s_mov_b32 s10, 0
	s_mov_b32 s9, exec_lo
	s_wait_loadcnt 0x0
	v_cmpx_lt_i16_e32 0x7f, v5
	s_xor_b32 s9, exec_lo, s9
	s_cbranch_execz .LBB55_3320
; %bb.3304:
	v_cmp_ne_u16_e32 vcc_lo, 0x80, v5
	s_and_b32 s10, vcc_lo, exec_lo
	s_and_not1_saveexec_b32 s9, s9
	s_cbranch_execnz .LBB55_3321
.LBB55_3305:
	s_or_b32 exec_lo, exec_lo, s9
	v_mov_b32_e32 v40, 0
	s_and_saveexec_b32 s9, s10
	s_cbranch_execz .LBB55_3307
.LBB55_3306:
	v_and_b32_e32 v7, 0xffff, v5
	s_delay_alu instid0(VALU_DEP_1) | instskip(SKIP_1) | instid1(VALU_DEP_2)
	v_dual_lshlrev_b32 v5, 24, v5 :: v_dual_bitop2_b32 v9, 7, v7 bitop3:0x40
	v_bfe_u32 v15, v7, 3, 4
	v_and_b32_e32 v5, 0x80000000, v5
	s_delay_alu instid0(VALU_DEP_3) | instskip(NEXT) | instid1(VALU_DEP_3)
	v_clz_i32_u32_e32 v11, v9
	v_cmp_eq_u32_e32 vcc_lo, 0, v15
	s_delay_alu instid0(VALU_DEP_2) | instskip(NEXT) | instid1(VALU_DEP_1)
	v_min_u32_e32 v11, 32, v11
	v_subrev_nc_u32_e32 v13, 28, v11
	v_sub_nc_u32_e32 v11, 29, v11
	s_delay_alu instid0(VALU_DEP_2) | instskip(NEXT) | instid1(VALU_DEP_2)
	v_lshlrev_b32_e32 v7, v13, v7
	v_cndmask_b32_e32 v11, v15, v11, vcc_lo
	s_delay_alu instid0(VALU_DEP_2) | instskip(NEXT) | instid1(VALU_DEP_1)
	v_and_b32_e32 v7, 7, v7
	v_cndmask_b32_e32 v7, v9, v7, vcc_lo
	s_delay_alu instid0(VALU_DEP_3) | instskip(NEXT) | instid1(VALU_DEP_2)
	v_lshl_add_u32 v9, v11, 23, 0x3b800000
	v_lshlrev_b32_e32 v7, 20, v7
	s_delay_alu instid0(VALU_DEP_1) | instskip(NEXT) | instid1(VALU_DEP_1)
	v_or3_b32 v5, v5, v9, v7
	v_cvt_i32_f32_e32 v40, v5
.LBB55_3307:
	s_or_b32 exec_lo, exec_lo, s9
.LBB55_3308:
	s_mov_b32 s9, -1
.LBB55_3309:
	s_mov_b32 s10, 0
.LBB55_3310:
	s_delay_alu instid0(SALU_CYCLE_1)
	s_and_b32 vcc_lo, exec_lo, s10
	s_cbranch_vccz .LBB55_3341
; %bb.3311:
	s_cmp_gt_i32 s0, 22
	s_cbranch_scc0 .LBB55_3319
; %bb.3312:
	s_cmp_lt_i32 s0, 24
	s_cbranch_scc1 .LBB55_3322
; %bb.3313:
	s_cmp_gt_i32 s0, 24
	s_cbranch_scc0 .LBB55_3323
; %bb.3314:
	global_load_u8 v5, v[44:45], off
	s_mov_b32 s9, 0
	s_mov_b32 s8, exec_lo
	s_wait_loadcnt 0x0
	v_cmpx_lt_i16_e32 0x7f, v5
	s_xor_b32 s8, exec_lo, s8
	s_cbranch_execz .LBB55_3335
; %bb.3315:
	v_cmp_ne_u16_e32 vcc_lo, 0x80, v5
	s_and_b32 s9, vcc_lo, exec_lo
	s_and_not1_saveexec_b32 s8, s8
	s_cbranch_execnz .LBB55_3336
.LBB55_3316:
	s_or_b32 exec_lo, exec_lo, s8
	v_mov_b32_e32 v40, 0
	s_and_saveexec_b32 s8, s9
	s_cbranch_execz .LBB55_3318
.LBB55_3317:
	v_and_b32_e32 v7, 0xffff, v5
	s_delay_alu instid0(VALU_DEP_1) | instskip(SKIP_1) | instid1(VALU_DEP_2)
	v_dual_lshlrev_b32 v5, 24, v5 :: v_dual_bitop2_b32 v9, 3, v7 bitop3:0x40
	v_bfe_u32 v15, v7, 2, 5
	v_and_b32_e32 v5, 0x80000000, v5
	s_delay_alu instid0(VALU_DEP_3) | instskip(NEXT) | instid1(VALU_DEP_3)
	v_clz_i32_u32_e32 v11, v9
	v_cmp_eq_u32_e32 vcc_lo, 0, v15
	s_delay_alu instid0(VALU_DEP_2) | instskip(NEXT) | instid1(VALU_DEP_1)
	v_min_u32_e32 v11, 32, v11
	v_subrev_nc_u32_e32 v13, 29, v11
	v_sub_nc_u32_e32 v11, 30, v11
	s_delay_alu instid0(VALU_DEP_2) | instskip(NEXT) | instid1(VALU_DEP_2)
	v_lshlrev_b32_e32 v7, v13, v7
	v_cndmask_b32_e32 v11, v15, v11, vcc_lo
	s_delay_alu instid0(VALU_DEP_2) | instskip(NEXT) | instid1(VALU_DEP_1)
	v_and_b32_e32 v7, 3, v7
	v_cndmask_b32_e32 v7, v9, v7, vcc_lo
	s_delay_alu instid0(VALU_DEP_3) | instskip(NEXT) | instid1(VALU_DEP_2)
	v_lshl_add_u32 v9, v11, 23, 0x37800000
	v_lshlrev_b32_e32 v7, 21, v7
	s_delay_alu instid0(VALU_DEP_1) | instskip(NEXT) | instid1(VALU_DEP_1)
	v_or3_b32 v5, v5, v9, v7
	v_cvt_i32_f32_e32 v40, v5
.LBB55_3318:
	s_or_b32 exec_lo, exec_lo, s8
	s_mov_b32 s8, 0
	s_branch .LBB55_3324
.LBB55_3319:
	s_mov_b32 s8, -1
                                        ; implicit-def: $vgpr40
	s_branch .LBB55_3330
.LBB55_3320:
	s_and_not1_saveexec_b32 s9, s9
	s_cbranch_execz .LBB55_3305
.LBB55_3321:
	v_cmp_ne_u16_e32 vcc_lo, 0, v5
	s_and_not1_b32 s10, s10, exec_lo
	s_and_b32 s11, vcc_lo, exec_lo
	s_delay_alu instid0(SALU_CYCLE_1)
	s_or_b32 s10, s10, s11
	s_or_b32 exec_lo, exec_lo, s9
	v_mov_b32_e32 v40, 0
	s_and_saveexec_b32 s9, s10
	s_cbranch_execnz .LBB55_3306
	s_branch .LBB55_3307
.LBB55_3322:
	s_mov_b32 s8, -1
                                        ; implicit-def: $vgpr40
	s_branch .LBB55_3327
.LBB55_3323:
	s_mov_b32 s8, -1
                                        ; implicit-def: $vgpr40
.LBB55_3324:
	s_delay_alu instid0(SALU_CYCLE_1)
	s_and_b32 vcc_lo, exec_lo, s8
	s_cbranch_vccz .LBB55_3326
; %bb.3325:
	global_load_u8 v5, v[44:45], off
	s_wait_loadcnt 0x0
	v_lshlrev_b32_e32 v5, 24, v5
	s_delay_alu instid0(VALU_DEP_1) | instskip(NEXT) | instid1(VALU_DEP_1)
	v_and_b32_e32 v7, 0x7f000000, v5
	v_clz_i32_u32_e32 v9, v7
	v_add_nc_u32_e32 v13, 0x1000000, v7
	v_cmp_ne_u32_e32 vcc_lo, 0, v7
	s_delay_alu instid0(VALU_DEP_3) | instskip(NEXT) | instid1(VALU_DEP_1)
	v_min_u32_e32 v9, 32, v9
	v_sub_nc_u32_e64 v9, v9, 4 clamp
	s_delay_alu instid0(VALU_DEP_1) | instskip(NEXT) | instid1(VALU_DEP_1)
	v_dual_lshlrev_b32 v11, v9, v7 :: v_dual_lshlrev_b32 v9, 23, v9
	v_lshrrev_b32_e32 v11, 4, v11
	s_delay_alu instid0(VALU_DEP_1) | instskip(SKIP_1) | instid1(VALU_DEP_2)
	v_sub_nc_u32_e32 v9, v11, v9
	v_ashrrev_i32_e32 v11, 8, v13
	v_add_nc_u32_e32 v9, 0x3c000000, v9
	s_delay_alu instid0(VALU_DEP_1) | instskip(NEXT) | instid1(VALU_DEP_1)
	v_and_or_b32 v9, 0x7f800000, v11, v9
	v_cndmask_b32_e32 v7, 0, v9, vcc_lo
	s_delay_alu instid0(VALU_DEP_1) | instskip(NEXT) | instid1(VALU_DEP_1)
	v_and_or_b32 v5, 0x80000000, v5, v7
	v_cvt_i32_f32_e32 v40, v5
.LBB55_3326:
	s_mov_b32 s8, 0
.LBB55_3327:
	s_delay_alu instid0(SALU_CYCLE_1)
	s_and_not1_b32 vcc_lo, exec_lo, s8
	s_cbranch_vccnz .LBB55_3329
; %bb.3328:
	global_load_u8 v5, v[44:45], off
	s_wait_loadcnt 0x0
	v_lshlrev_b32_e32 v7, 25, v5
	v_lshlrev_b16 v5, 8, v5
	s_delay_alu instid0(VALU_DEP_1) | instskip(SKIP_1) | instid1(VALU_DEP_2)
	v_and_or_b32 v11, 0x7f00, v5, 0.5
	v_bfe_i32 v5, v5, 0, 16
	v_add_f32_e32 v11, -0.5, v11
	v_lshrrev_b32_e32 v9, 4, v7
	v_cmp_gt_u32_e32 vcc_lo, 0x8000000, v7
	s_delay_alu instid0(VALU_DEP_2) | instskip(NEXT) | instid1(VALU_DEP_1)
	v_or_b32_e32 v9, 0x70000000, v9
	v_mul_f32_e32 v9, 0x7800000, v9
	s_delay_alu instid0(VALU_DEP_1) | instskip(NEXT) | instid1(VALU_DEP_1)
	v_cndmask_b32_e32 v7, v9, v11, vcc_lo
	v_and_or_b32 v5, 0x80000000, v5, v7
	s_delay_alu instid0(VALU_DEP_1)
	v_cvt_i32_f32_e32 v40, v5
.LBB55_3329:
	s_mov_b32 s8, 0
	s_mov_b32 s9, -1
.LBB55_3330:
	s_and_not1_b32 vcc_lo, exec_lo, s8
	s_mov_b32 s8, 0
	s_cbranch_vccnz .LBB55_3341
; %bb.3331:
	s_cmp_gt_i32 s0, 14
	s_cbranch_scc0 .LBB55_3334
; %bb.3332:
	s_cmp_eq_u32 s0, 15
	s_cbranch_scc0 .LBB55_3337
; %bb.3333:
	global_load_u16 v5, v[44:45], off
	s_mov_b32 s1, 0
	s_mov_b32 s9, -1
	s_wait_loadcnt 0x0
	v_lshlrev_b32_e32 v5, 16, v5
	s_delay_alu instid0(VALU_DEP_1)
	v_cvt_i32_f32_e32 v40, v5
	s_branch .LBB55_3339
.LBB55_3334:
	s_mov_b32 s8, -1
	s_branch .LBB55_3338
.LBB55_3335:
	s_and_not1_saveexec_b32 s8, s8
	s_cbranch_execz .LBB55_3316
.LBB55_3336:
	v_cmp_ne_u16_e32 vcc_lo, 0, v5
	s_and_not1_b32 s9, s9, exec_lo
	s_and_b32 s10, vcc_lo, exec_lo
	s_delay_alu instid0(SALU_CYCLE_1)
	s_or_b32 s9, s9, s10
	s_or_b32 exec_lo, exec_lo, s8
	v_mov_b32_e32 v40, 0
	s_and_saveexec_b32 s8, s9
	s_cbranch_execnz .LBB55_3317
	s_branch .LBB55_3318
.LBB55_3337:
	s_mov_b32 s1, -1
.LBB55_3338:
                                        ; implicit-def: $vgpr40
.LBB55_3339:
	s_and_b32 vcc_lo, exec_lo, s8
	s_mov_b32 s8, 0
	s_cbranch_vccz .LBB55_3341
; %bb.3340:
	s_cmp_lg_u32 s0, 11
	s_mov_b32 s8, -1
	s_cselect_b32 s1, -1, 0
.LBB55_3341:
	s_delay_alu instid0(SALU_CYCLE_1)
	s_and_b32 vcc_lo, exec_lo, s1
	s_cbranch_vccnz .LBB55_3406
; %bb.3342:
	s_and_not1_b32 vcc_lo, exec_lo, s8
	s_cbranch_vccnz .LBB55_3344
.LBB55_3343:
	global_load_u8 v5, v[44:45], off
	s_mov_b32 s9, -1
	s_wait_loadcnt 0x0
	v_cmp_ne_u16_e32 vcc_lo, 0, v5
	v_cndmask_b32_e64 v40, 0, 1, vcc_lo
.LBB55_3344:
	s_mov_b32 s0, 0
.LBB55_3345:
	s_delay_alu instid0(SALU_CYCLE_1)
	s_and_b32 vcc_lo, exec_lo, s0
	s_cbranch_vccz .LBB55_3394
; %bb.3346:
	s_and_b32 s0, 0xffff, s50
	s_delay_alu instid0(SALU_CYCLE_1)
	s_cmp_lt_i32 s0, 5
	s_cbranch_scc1 .LBB55_3351
; %bb.3347:
	s_cmp_lt_i32 s0, 8
	s_cbranch_scc1 .LBB55_3352
; %bb.3348:
	;; [unrolled: 3-line block ×3, first 2 shown]
	s_cmp_gt_i32 s0, 9
	s_cbranch_scc0 .LBB55_3354
; %bb.3350:
	s_wait_loadcnt 0x0
	global_load_b64 v[40:41], v[44:45], off
	s_mov_b32 s1, 0
	s_wait_loadcnt 0x0
	v_cvt_i32_f64_e32 v40, v[40:41]
	s_branch .LBB55_3355
.LBB55_3351:
	s_mov_b32 s1, -1
                                        ; implicit-def: $vgpr40
	s_branch .LBB55_3373
.LBB55_3352:
	s_mov_b32 s1, -1
                                        ; implicit-def: $vgpr40
	s_branch .LBB55_3361
.LBB55_3353:
	s_mov_b32 s1, -1
                                        ; implicit-def: $vgpr40
	s_branch .LBB55_3358
.LBB55_3354:
	s_mov_b32 s1, -1
                                        ; implicit-def: $vgpr40
.LBB55_3355:
	s_delay_alu instid0(SALU_CYCLE_1)
	s_and_not1_b32 vcc_lo, exec_lo, s1
	s_cbranch_vccnz .LBB55_3357
; %bb.3356:
	global_load_b32 v5, v[44:45], off
	s_wait_loadcnt 0x0
	v_cvt_i32_f32_e32 v40, v5
.LBB55_3357:
	s_mov_b32 s1, 0
.LBB55_3358:
	s_delay_alu instid0(SALU_CYCLE_1)
	s_and_not1_b32 vcc_lo, exec_lo, s1
	s_cbranch_vccnz .LBB55_3360
; %bb.3359:
	global_load_b32 v5, v[44:45], off
	s_wait_loadcnt 0x0
	v_cvt_f32_f16_e32 v5, v5
	s_delay_alu instid0(VALU_DEP_1)
	v_cvt_i32_f32_e32 v40, v5
.LBB55_3360:
	s_mov_b32 s1, 0
.LBB55_3361:
	s_delay_alu instid0(SALU_CYCLE_1)
	s_and_not1_b32 vcc_lo, exec_lo, s1
	s_cbranch_vccnz .LBB55_3372
; %bb.3362:
	s_cmp_lt_i32 s0, 6
	s_cbranch_scc1 .LBB55_3365
; %bb.3363:
	s_cmp_gt_i32 s0, 6
	s_cbranch_scc0 .LBB55_3366
; %bb.3364:
	s_wait_loadcnt 0x0
	global_load_b64 v[40:41], v[44:45], off
	s_mov_b32 s1, 0
	s_wait_loadcnt 0x0
	v_cvt_i32_f64_e32 v40, v[40:41]
	s_branch .LBB55_3367
.LBB55_3365:
	s_mov_b32 s1, -1
                                        ; implicit-def: $vgpr40
	s_branch .LBB55_3370
.LBB55_3366:
	s_mov_b32 s1, -1
                                        ; implicit-def: $vgpr40
.LBB55_3367:
	s_delay_alu instid0(SALU_CYCLE_1)
	s_and_not1_b32 vcc_lo, exec_lo, s1
	s_cbranch_vccnz .LBB55_3369
; %bb.3368:
	global_load_b32 v5, v[44:45], off
	s_wait_loadcnt 0x0
	v_cvt_i32_f32_e32 v40, v5
.LBB55_3369:
	s_mov_b32 s1, 0
.LBB55_3370:
	s_delay_alu instid0(SALU_CYCLE_1)
	s_and_not1_b32 vcc_lo, exec_lo, s1
	s_cbranch_vccnz .LBB55_3372
; %bb.3371:
	global_load_u16 v5, v[44:45], off
	s_wait_loadcnt 0x0
	v_cvt_f32_f16_e32 v5, v5
	s_delay_alu instid0(VALU_DEP_1)
	v_cvt_i32_f32_e32 v40, v5
.LBB55_3372:
	s_mov_b32 s1, 0
.LBB55_3373:
	s_delay_alu instid0(SALU_CYCLE_1)
	s_and_not1_b32 vcc_lo, exec_lo, s1
	s_cbranch_vccnz .LBB55_3393
; %bb.3374:
	s_cmp_lt_i32 s0, 2
	s_cbranch_scc1 .LBB55_3378
; %bb.3375:
	s_cmp_lt_i32 s0, 3
	s_cbranch_scc1 .LBB55_3379
; %bb.3376:
	s_cmp_gt_i32 s0, 3
	s_cbranch_scc0 .LBB55_3380
; %bb.3377:
	s_wait_loadcnt 0x0
	global_load_b32 v40, v[44:45], off
	s_mov_b32 s1, 0
	s_branch .LBB55_3381
.LBB55_3378:
	s_mov_b32 s1, -1
                                        ; implicit-def: $vgpr40
	s_branch .LBB55_3387
.LBB55_3379:
	s_mov_b32 s1, -1
                                        ; implicit-def: $vgpr40
	s_branch .LBB55_3384
.LBB55_3380:
	s_mov_b32 s1, -1
                                        ; implicit-def: $vgpr40
.LBB55_3381:
	s_delay_alu instid0(SALU_CYCLE_1)
	s_and_not1_b32 vcc_lo, exec_lo, s1
	s_cbranch_vccnz .LBB55_3383
; %bb.3382:
	s_wait_loadcnt 0x0
	global_load_b32 v40, v[44:45], off
.LBB55_3383:
	s_mov_b32 s1, 0
.LBB55_3384:
	s_delay_alu instid0(SALU_CYCLE_1)
	s_and_not1_b32 vcc_lo, exec_lo, s1
	s_cbranch_vccnz .LBB55_3386
; %bb.3385:
	s_wait_loadcnt 0x0
	global_load_i16 v40, v[44:45], off
.LBB55_3386:
	s_mov_b32 s1, 0
.LBB55_3387:
	s_delay_alu instid0(SALU_CYCLE_1)
	s_and_not1_b32 vcc_lo, exec_lo, s1
	s_cbranch_vccnz .LBB55_3393
; %bb.3388:
	s_cmp_gt_i32 s0, 0
	s_mov_b32 s0, 0
	s_cbranch_scc0 .LBB55_3390
; %bb.3389:
	s_wait_loadcnt 0x0
	global_load_i8 v40, v[44:45], off
	s_branch .LBB55_3391
.LBB55_3390:
	s_mov_b32 s0, -1
                                        ; implicit-def: $vgpr40
.LBB55_3391:
	s_delay_alu instid0(SALU_CYCLE_1)
	s_and_not1_b32 vcc_lo, exec_lo, s0
	s_cbranch_vccnz .LBB55_3393
; %bb.3392:
	s_wait_loadcnt 0x0
	global_load_u8 v40, v[44:45], off
.LBB55_3393:
	s_mov_b32 s9, -1
.LBB55_3394:
	s_delay_alu instid0(SALU_CYCLE_1)
	s_and_not1_b32 vcc_lo, exec_lo, s9
	s_cbranch_vccnz .LBB55_3530
; %bb.3395:
	v_mov_b32_e32 v39, 0
	s_load_b64 s[18:19], s[2:3], 0x270
	global_load_u8 v5, v39, s[2:3] offset:693
	s_wait_kmcnt 0x0
	v_add_nc_u64_e32 v[38:39], s[18:19], v[38:39]
	s_wait_loadcnt 0x0
	v_and_b32_e32 v7, 0xffff, v5
	v_readfirstlane_b32 s51, v5
	s_delay_alu instid0(VALU_DEP_2)
	v_cmp_gt_i32_e32 vcc_lo, 11, v7
	s_cbranch_vccnz .LBB55_3402
; %bb.3396:
	s_and_b32 s0, 0xffff, s51
	s_mov_b32 s8, 0
	s_cmp_gt_i32 s0, 25
	s_cbranch_scc0 .LBB55_3403
; %bb.3397:
	s_cmp_gt_i32 s0, 28
	s_cbranch_scc0 .LBB55_3404
; %bb.3398:
	;; [unrolled: 3-line block ×4, first 2 shown]
	s_cmp_eq_u32 s0, 46
	s_mov_b32 s10, 0
	s_cbranch_scc0 .LBB55_3408
; %bb.3401:
	global_load_b32 v5, v[38:39], off
	s_mov_b32 s1, 0
	s_mov_b32 s9, -1
	s_wait_loadcnt 0x0
	v_lshlrev_b32_e32 v5, 16, v5
	s_delay_alu instid0(VALU_DEP_1)
	v_cvt_i32_f32_e32 v44, v5
	s_branch .LBB55_3410
.LBB55_3402:
	s_mov_b32 s0, -1
	s_mov_b32 s9, 0
                                        ; implicit-def: $vgpr44
	s_branch .LBB55_3472
.LBB55_3403:
	s_mov_b32 s10, -1
	s_mov_b32 s9, 0
	s_mov_b32 s1, 0
                                        ; implicit-def: $vgpr44
	s_branch .LBB55_3437
.LBB55_3404:
	s_mov_b32 s10, -1
	s_mov_b32 s9, 0
	s_mov_b32 s1, 0
                                        ; implicit-def: $vgpr44
	s_branch .LBB55_3420
.LBB55_3405:
	s_mov_b32 s10, -1
	s_mov_b32 s9, 0
	s_mov_b32 s1, 0
                                        ; implicit-def: $vgpr44
	s_branch .LBB55_3415
.LBB55_3406:
	s_or_b32 s33, s33, exec_lo
	s_trap 2
	s_cbranch_execz .LBB55_3343
	s_branch .LBB55_3344
.LBB55_3407:
	s_mov_b32 s10, -1
	s_mov_b32 s9, 0
	s_mov_b32 s1, 0
	s_branch .LBB55_3409
.LBB55_3408:
	s_mov_b32 s1, -1
	s_mov_b32 s9, 0
.LBB55_3409:
                                        ; implicit-def: $vgpr44
.LBB55_3410:
	s_and_b32 vcc_lo, exec_lo, s10
	s_cbranch_vccz .LBB55_3414
; %bb.3411:
	s_cmp_eq_u32 s0, 44
	s_cbranch_scc0 .LBB55_3413
; %bb.3412:
	global_load_u8 v5, v[38:39], off
	s_mov_b32 s1, 0
	s_mov_b32 s9, -1
	s_wait_loadcnt 0x0
	v_lshlrev_b32_e32 v7, 23, v5
	v_cmp_ne_u32_e32 vcc_lo, 0, v5
	s_delay_alu instid0(VALU_DEP_2) | instskip(NEXT) | instid1(VALU_DEP_1)
	v_cvt_i32_f32_e32 v7, v7
	v_cndmask_b32_e32 v44, 0, v7, vcc_lo
	s_branch .LBB55_3414
.LBB55_3413:
	s_mov_b32 s1, -1
                                        ; implicit-def: $vgpr44
.LBB55_3414:
	s_mov_b32 s10, 0
.LBB55_3415:
	s_delay_alu instid0(SALU_CYCLE_1)
	s_and_b32 vcc_lo, exec_lo, s10
	s_cbranch_vccz .LBB55_3419
; %bb.3416:
	s_cmp_eq_u32 s0, 29
	s_cbranch_scc0 .LBB55_3418
; %bb.3417:
	global_load_b32 v44, v[38:39], off
	s_mov_b32 s1, 0
	s_mov_b32 s9, -1
	s_branch .LBB55_3419
.LBB55_3418:
	s_mov_b32 s1, -1
                                        ; implicit-def: $vgpr44
.LBB55_3419:
	s_mov_b32 s10, 0
.LBB55_3420:
	s_delay_alu instid0(SALU_CYCLE_1)
	s_and_b32 vcc_lo, exec_lo, s10
	s_cbranch_vccz .LBB55_3436
; %bb.3421:
	s_cmp_lt_i32 s0, 27
	s_cbranch_scc1 .LBB55_3424
; %bb.3422:
	s_cmp_gt_i32 s0, 27
	s_cbranch_scc0 .LBB55_3425
; %bb.3423:
	s_wait_loadcnt 0x0
	global_load_b32 v44, v[38:39], off
	s_mov_b32 s9, 0
	s_branch .LBB55_3426
.LBB55_3424:
	s_mov_b32 s9, -1
                                        ; implicit-def: $vgpr44
	s_branch .LBB55_3429
.LBB55_3425:
	s_mov_b32 s9, -1
                                        ; implicit-def: $vgpr44
.LBB55_3426:
	s_delay_alu instid0(SALU_CYCLE_1)
	s_and_not1_b32 vcc_lo, exec_lo, s9
	s_cbranch_vccnz .LBB55_3428
; %bb.3427:
	s_wait_loadcnt 0x0
	global_load_u16 v44, v[38:39], off
.LBB55_3428:
	s_mov_b32 s9, 0
.LBB55_3429:
	s_delay_alu instid0(SALU_CYCLE_1)
	s_and_not1_b32 vcc_lo, exec_lo, s9
	s_cbranch_vccnz .LBB55_3435
; %bb.3430:
	global_load_u8 v5, v[38:39], off
	s_mov_b32 s10, 0
	s_mov_b32 s9, exec_lo
	s_wait_loadcnt 0x0
	v_cmpx_lt_i16_e32 0x7f, v5
	s_xor_b32 s9, exec_lo, s9
	s_cbranch_execz .LBB55_3447
; %bb.3431:
	v_cmp_ne_u16_e32 vcc_lo, 0x80, v5
	s_and_b32 s10, vcc_lo, exec_lo
	s_and_not1_saveexec_b32 s9, s9
	s_cbranch_execnz .LBB55_3448
.LBB55_3432:
	s_or_b32 exec_lo, exec_lo, s9
	v_mov_b32_e32 v44, 0
	s_and_saveexec_b32 s9, s10
	s_cbranch_execz .LBB55_3434
.LBB55_3433:
	v_and_b32_e32 v7, 0xffff, v5
	s_delay_alu instid0(VALU_DEP_1) | instskip(SKIP_1) | instid1(VALU_DEP_2)
	v_dual_lshlrev_b32 v5, 24, v5 :: v_dual_bitop2_b32 v9, 7, v7 bitop3:0x40
	v_bfe_u32 v15, v7, 3, 4
	v_and_b32_e32 v5, 0x80000000, v5
	s_delay_alu instid0(VALU_DEP_3) | instskip(NEXT) | instid1(VALU_DEP_3)
	v_clz_i32_u32_e32 v11, v9
	v_cmp_eq_u32_e32 vcc_lo, 0, v15
	s_delay_alu instid0(VALU_DEP_2) | instskip(NEXT) | instid1(VALU_DEP_1)
	v_min_u32_e32 v11, 32, v11
	v_subrev_nc_u32_e32 v13, 28, v11
	v_sub_nc_u32_e32 v11, 29, v11
	s_delay_alu instid0(VALU_DEP_2) | instskip(NEXT) | instid1(VALU_DEP_2)
	v_lshlrev_b32_e32 v7, v13, v7
	v_cndmask_b32_e32 v11, v15, v11, vcc_lo
	s_delay_alu instid0(VALU_DEP_2) | instskip(NEXT) | instid1(VALU_DEP_1)
	v_and_b32_e32 v7, 7, v7
	v_cndmask_b32_e32 v7, v9, v7, vcc_lo
	s_delay_alu instid0(VALU_DEP_3) | instskip(NEXT) | instid1(VALU_DEP_2)
	v_lshl_add_u32 v9, v11, 23, 0x3b800000
	v_lshlrev_b32_e32 v7, 20, v7
	s_delay_alu instid0(VALU_DEP_1) | instskip(NEXT) | instid1(VALU_DEP_1)
	v_or3_b32 v5, v5, v9, v7
	v_cvt_i32_f32_e32 v44, v5
.LBB55_3434:
	s_or_b32 exec_lo, exec_lo, s9
.LBB55_3435:
	s_mov_b32 s9, -1
.LBB55_3436:
	s_mov_b32 s10, 0
.LBB55_3437:
	s_delay_alu instid0(SALU_CYCLE_1)
	s_and_b32 vcc_lo, exec_lo, s10
	s_cbranch_vccz .LBB55_3468
; %bb.3438:
	s_cmp_gt_i32 s0, 22
	s_cbranch_scc0 .LBB55_3446
; %bb.3439:
	s_cmp_lt_i32 s0, 24
	s_cbranch_scc1 .LBB55_3449
; %bb.3440:
	s_cmp_gt_i32 s0, 24
	s_cbranch_scc0 .LBB55_3450
; %bb.3441:
	global_load_u8 v5, v[38:39], off
	s_mov_b32 s9, 0
	s_mov_b32 s8, exec_lo
	s_wait_loadcnt 0x0
	v_cmpx_lt_i16_e32 0x7f, v5
	s_xor_b32 s8, exec_lo, s8
	s_cbranch_execz .LBB55_3462
; %bb.3442:
	v_cmp_ne_u16_e32 vcc_lo, 0x80, v5
	s_and_b32 s9, vcc_lo, exec_lo
	s_and_not1_saveexec_b32 s8, s8
	s_cbranch_execnz .LBB55_3463
.LBB55_3443:
	s_or_b32 exec_lo, exec_lo, s8
	v_mov_b32_e32 v44, 0
	s_and_saveexec_b32 s8, s9
	s_cbranch_execz .LBB55_3445
.LBB55_3444:
	v_and_b32_e32 v7, 0xffff, v5
	s_delay_alu instid0(VALU_DEP_1) | instskip(SKIP_1) | instid1(VALU_DEP_2)
	v_dual_lshlrev_b32 v5, 24, v5 :: v_dual_bitop2_b32 v9, 3, v7 bitop3:0x40
	v_bfe_u32 v15, v7, 2, 5
	v_and_b32_e32 v5, 0x80000000, v5
	s_delay_alu instid0(VALU_DEP_3) | instskip(NEXT) | instid1(VALU_DEP_3)
	v_clz_i32_u32_e32 v11, v9
	v_cmp_eq_u32_e32 vcc_lo, 0, v15
	s_delay_alu instid0(VALU_DEP_2) | instskip(NEXT) | instid1(VALU_DEP_1)
	v_min_u32_e32 v11, 32, v11
	v_subrev_nc_u32_e32 v13, 29, v11
	v_sub_nc_u32_e32 v11, 30, v11
	s_delay_alu instid0(VALU_DEP_2) | instskip(NEXT) | instid1(VALU_DEP_2)
	v_lshlrev_b32_e32 v7, v13, v7
	v_cndmask_b32_e32 v11, v15, v11, vcc_lo
	s_delay_alu instid0(VALU_DEP_2) | instskip(NEXT) | instid1(VALU_DEP_1)
	v_and_b32_e32 v7, 3, v7
	v_cndmask_b32_e32 v7, v9, v7, vcc_lo
	s_delay_alu instid0(VALU_DEP_3) | instskip(NEXT) | instid1(VALU_DEP_2)
	v_lshl_add_u32 v9, v11, 23, 0x37800000
	v_lshlrev_b32_e32 v7, 21, v7
	s_delay_alu instid0(VALU_DEP_1) | instskip(NEXT) | instid1(VALU_DEP_1)
	v_or3_b32 v5, v5, v9, v7
	v_cvt_i32_f32_e32 v44, v5
.LBB55_3445:
	s_or_b32 exec_lo, exec_lo, s8
	s_mov_b32 s8, 0
	s_branch .LBB55_3451
.LBB55_3446:
	s_mov_b32 s8, -1
                                        ; implicit-def: $vgpr44
	s_branch .LBB55_3457
.LBB55_3447:
	s_and_not1_saveexec_b32 s9, s9
	s_cbranch_execz .LBB55_3432
.LBB55_3448:
	v_cmp_ne_u16_e32 vcc_lo, 0, v5
	s_and_not1_b32 s10, s10, exec_lo
	s_and_b32 s11, vcc_lo, exec_lo
	s_delay_alu instid0(SALU_CYCLE_1)
	s_or_b32 s10, s10, s11
	s_or_b32 exec_lo, exec_lo, s9
	v_mov_b32_e32 v44, 0
	s_and_saveexec_b32 s9, s10
	s_cbranch_execnz .LBB55_3433
	s_branch .LBB55_3434
.LBB55_3449:
	s_mov_b32 s8, -1
                                        ; implicit-def: $vgpr44
	s_branch .LBB55_3454
.LBB55_3450:
	s_mov_b32 s8, -1
                                        ; implicit-def: $vgpr44
.LBB55_3451:
	s_delay_alu instid0(SALU_CYCLE_1)
	s_and_b32 vcc_lo, exec_lo, s8
	s_cbranch_vccz .LBB55_3453
; %bb.3452:
	global_load_u8 v5, v[38:39], off
	s_wait_loadcnt 0x0
	v_lshlrev_b32_e32 v5, 24, v5
	s_delay_alu instid0(VALU_DEP_1) | instskip(NEXT) | instid1(VALU_DEP_1)
	v_and_b32_e32 v7, 0x7f000000, v5
	v_clz_i32_u32_e32 v9, v7
	v_add_nc_u32_e32 v13, 0x1000000, v7
	v_cmp_ne_u32_e32 vcc_lo, 0, v7
	s_delay_alu instid0(VALU_DEP_3) | instskip(NEXT) | instid1(VALU_DEP_1)
	v_min_u32_e32 v9, 32, v9
	v_sub_nc_u32_e64 v9, v9, 4 clamp
	s_delay_alu instid0(VALU_DEP_1) | instskip(NEXT) | instid1(VALU_DEP_1)
	v_dual_lshlrev_b32 v11, v9, v7 :: v_dual_lshlrev_b32 v9, 23, v9
	v_lshrrev_b32_e32 v11, 4, v11
	s_delay_alu instid0(VALU_DEP_1) | instskip(SKIP_1) | instid1(VALU_DEP_2)
	v_sub_nc_u32_e32 v9, v11, v9
	v_ashrrev_i32_e32 v11, 8, v13
	v_add_nc_u32_e32 v9, 0x3c000000, v9
	s_delay_alu instid0(VALU_DEP_1) | instskip(NEXT) | instid1(VALU_DEP_1)
	v_and_or_b32 v9, 0x7f800000, v11, v9
	v_cndmask_b32_e32 v7, 0, v9, vcc_lo
	s_delay_alu instid0(VALU_DEP_1) | instskip(NEXT) | instid1(VALU_DEP_1)
	v_and_or_b32 v5, 0x80000000, v5, v7
	v_cvt_i32_f32_e32 v44, v5
.LBB55_3453:
	s_mov_b32 s8, 0
.LBB55_3454:
	s_delay_alu instid0(SALU_CYCLE_1)
	s_and_not1_b32 vcc_lo, exec_lo, s8
	s_cbranch_vccnz .LBB55_3456
; %bb.3455:
	global_load_u8 v5, v[38:39], off
	s_wait_loadcnt 0x0
	v_lshlrev_b32_e32 v7, 25, v5
	v_lshlrev_b16 v5, 8, v5
	s_delay_alu instid0(VALU_DEP_1) | instskip(SKIP_1) | instid1(VALU_DEP_2)
	v_and_or_b32 v11, 0x7f00, v5, 0.5
	v_bfe_i32 v5, v5, 0, 16
	v_add_f32_e32 v11, -0.5, v11
	v_lshrrev_b32_e32 v9, 4, v7
	v_cmp_gt_u32_e32 vcc_lo, 0x8000000, v7
	s_delay_alu instid0(VALU_DEP_2) | instskip(NEXT) | instid1(VALU_DEP_1)
	v_or_b32_e32 v9, 0x70000000, v9
	v_mul_f32_e32 v9, 0x7800000, v9
	s_delay_alu instid0(VALU_DEP_1) | instskip(NEXT) | instid1(VALU_DEP_1)
	v_cndmask_b32_e32 v7, v9, v11, vcc_lo
	v_and_or_b32 v5, 0x80000000, v5, v7
	s_delay_alu instid0(VALU_DEP_1)
	v_cvt_i32_f32_e32 v44, v5
.LBB55_3456:
	s_mov_b32 s8, 0
	s_mov_b32 s9, -1
.LBB55_3457:
	s_and_not1_b32 vcc_lo, exec_lo, s8
	s_mov_b32 s8, 0
	s_cbranch_vccnz .LBB55_3468
; %bb.3458:
	s_cmp_gt_i32 s0, 14
	s_cbranch_scc0 .LBB55_3461
; %bb.3459:
	s_cmp_eq_u32 s0, 15
	s_cbranch_scc0 .LBB55_3464
; %bb.3460:
	global_load_u16 v5, v[38:39], off
	s_mov_b32 s1, 0
	s_mov_b32 s9, -1
	s_wait_loadcnt 0x0
	v_lshlrev_b32_e32 v5, 16, v5
	s_delay_alu instid0(VALU_DEP_1)
	v_cvt_i32_f32_e32 v44, v5
	s_branch .LBB55_3466
.LBB55_3461:
	s_mov_b32 s8, -1
	s_branch .LBB55_3465
.LBB55_3462:
	s_and_not1_saveexec_b32 s8, s8
	s_cbranch_execz .LBB55_3443
.LBB55_3463:
	v_cmp_ne_u16_e32 vcc_lo, 0, v5
	s_and_not1_b32 s9, s9, exec_lo
	s_and_b32 s10, vcc_lo, exec_lo
	s_delay_alu instid0(SALU_CYCLE_1)
	s_or_b32 s9, s9, s10
	s_or_b32 exec_lo, exec_lo, s8
	v_mov_b32_e32 v44, 0
	s_and_saveexec_b32 s8, s9
	s_cbranch_execnz .LBB55_3444
	s_branch .LBB55_3445
.LBB55_3464:
	s_mov_b32 s1, -1
.LBB55_3465:
                                        ; implicit-def: $vgpr44
.LBB55_3466:
	s_and_b32 vcc_lo, exec_lo, s8
	s_mov_b32 s8, 0
	s_cbranch_vccz .LBB55_3468
; %bb.3467:
	s_cmp_lg_u32 s0, 11
	s_mov_b32 s8, -1
	s_cselect_b32 s1, -1, 0
.LBB55_3468:
	s_delay_alu instid0(SALU_CYCLE_1)
	s_and_b32 vcc_lo, exec_lo, s1
	s_cbranch_vccnz .LBB55_3595
; %bb.3469:
	s_and_not1_b32 vcc_lo, exec_lo, s8
	s_cbranch_vccnz .LBB55_3471
.LBB55_3470:
	global_load_u8 v5, v[38:39], off
	s_mov_b32 s9, -1
	s_wait_loadcnt 0x0
	v_cmp_ne_u16_e32 vcc_lo, 0, v5
	v_cndmask_b32_e64 v44, 0, 1, vcc_lo
.LBB55_3471:
	s_mov_b32 s0, 0
.LBB55_3472:
	s_delay_alu instid0(SALU_CYCLE_1)
	s_and_b32 vcc_lo, exec_lo, s0
	s_cbranch_vccz .LBB55_3521
; %bb.3473:
	s_and_b32 s0, 0xffff, s51
	s_delay_alu instid0(SALU_CYCLE_1)
	s_cmp_lt_i32 s0, 5
	s_cbranch_scc1 .LBB55_3478
; %bb.3474:
	s_cmp_lt_i32 s0, 8
	s_cbranch_scc1 .LBB55_3479
; %bb.3475:
	;; [unrolled: 3-line block ×3, first 2 shown]
	s_cmp_gt_i32 s0, 9
	s_cbranch_scc0 .LBB55_3481
; %bb.3477:
	s_wait_loadcnt 0x0
	global_load_b64 v[44:45], v[38:39], off
	s_mov_b32 s1, 0
	s_wait_loadcnt 0x0
	v_cvt_i32_f64_e32 v44, v[44:45]
	s_branch .LBB55_3482
.LBB55_3478:
	s_mov_b32 s1, -1
                                        ; implicit-def: $vgpr44
	s_branch .LBB55_3500
.LBB55_3479:
	s_mov_b32 s1, -1
                                        ; implicit-def: $vgpr44
	s_branch .LBB55_3488
.LBB55_3480:
	s_mov_b32 s1, -1
                                        ; implicit-def: $vgpr44
	s_branch .LBB55_3485
.LBB55_3481:
	s_mov_b32 s1, -1
                                        ; implicit-def: $vgpr44
.LBB55_3482:
	s_delay_alu instid0(SALU_CYCLE_1)
	s_and_not1_b32 vcc_lo, exec_lo, s1
	s_cbranch_vccnz .LBB55_3484
; %bb.3483:
	global_load_b32 v5, v[38:39], off
	s_wait_loadcnt 0x0
	v_cvt_i32_f32_e32 v44, v5
.LBB55_3484:
	s_mov_b32 s1, 0
.LBB55_3485:
	s_delay_alu instid0(SALU_CYCLE_1)
	s_and_not1_b32 vcc_lo, exec_lo, s1
	s_cbranch_vccnz .LBB55_3487
; %bb.3486:
	global_load_b32 v5, v[38:39], off
	s_wait_loadcnt 0x0
	v_cvt_f32_f16_e32 v5, v5
	s_delay_alu instid0(VALU_DEP_1)
	v_cvt_i32_f32_e32 v44, v5
.LBB55_3487:
	s_mov_b32 s1, 0
.LBB55_3488:
	s_delay_alu instid0(SALU_CYCLE_1)
	s_and_not1_b32 vcc_lo, exec_lo, s1
	s_cbranch_vccnz .LBB55_3499
; %bb.3489:
	s_cmp_lt_i32 s0, 6
	s_cbranch_scc1 .LBB55_3492
; %bb.3490:
	s_cmp_gt_i32 s0, 6
	s_cbranch_scc0 .LBB55_3493
; %bb.3491:
	s_wait_loadcnt 0x0
	global_load_b64 v[44:45], v[38:39], off
	s_mov_b32 s1, 0
	s_wait_loadcnt 0x0
	v_cvt_i32_f64_e32 v44, v[44:45]
	s_branch .LBB55_3494
.LBB55_3492:
	s_mov_b32 s1, -1
                                        ; implicit-def: $vgpr44
	s_branch .LBB55_3497
.LBB55_3493:
	s_mov_b32 s1, -1
                                        ; implicit-def: $vgpr44
.LBB55_3494:
	s_delay_alu instid0(SALU_CYCLE_1)
	s_and_not1_b32 vcc_lo, exec_lo, s1
	s_cbranch_vccnz .LBB55_3496
; %bb.3495:
	global_load_b32 v5, v[38:39], off
	s_wait_loadcnt 0x0
	v_cvt_i32_f32_e32 v44, v5
.LBB55_3496:
	s_mov_b32 s1, 0
.LBB55_3497:
	s_delay_alu instid0(SALU_CYCLE_1)
	s_and_not1_b32 vcc_lo, exec_lo, s1
	s_cbranch_vccnz .LBB55_3499
; %bb.3498:
	global_load_u16 v5, v[38:39], off
	s_wait_loadcnt 0x0
	v_cvt_f32_f16_e32 v5, v5
	s_delay_alu instid0(VALU_DEP_1)
	v_cvt_i32_f32_e32 v44, v5
.LBB55_3499:
	s_mov_b32 s1, 0
.LBB55_3500:
	s_delay_alu instid0(SALU_CYCLE_1)
	s_and_not1_b32 vcc_lo, exec_lo, s1
	s_cbranch_vccnz .LBB55_3520
; %bb.3501:
	s_cmp_lt_i32 s0, 2
	s_cbranch_scc1 .LBB55_3505
; %bb.3502:
	s_cmp_lt_i32 s0, 3
	s_cbranch_scc1 .LBB55_3506
; %bb.3503:
	s_cmp_gt_i32 s0, 3
	s_cbranch_scc0 .LBB55_3507
; %bb.3504:
	s_wait_loadcnt 0x0
	global_load_b32 v44, v[38:39], off
	s_mov_b32 s1, 0
	s_branch .LBB55_3508
.LBB55_3505:
	s_mov_b32 s1, -1
                                        ; implicit-def: $vgpr44
	s_branch .LBB55_3514
.LBB55_3506:
	s_mov_b32 s1, -1
                                        ; implicit-def: $vgpr44
	s_branch .LBB55_3511
.LBB55_3507:
	s_mov_b32 s1, -1
                                        ; implicit-def: $vgpr44
.LBB55_3508:
	s_delay_alu instid0(SALU_CYCLE_1)
	s_and_not1_b32 vcc_lo, exec_lo, s1
	s_cbranch_vccnz .LBB55_3510
; %bb.3509:
	s_wait_loadcnt 0x0
	global_load_b32 v44, v[38:39], off
.LBB55_3510:
	s_mov_b32 s1, 0
.LBB55_3511:
	s_delay_alu instid0(SALU_CYCLE_1)
	s_and_not1_b32 vcc_lo, exec_lo, s1
	s_cbranch_vccnz .LBB55_3513
; %bb.3512:
	s_wait_loadcnt 0x0
	global_load_i16 v44, v[38:39], off
.LBB55_3513:
	s_mov_b32 s1, 0
.LBB55_3514:
	s_delay_alu instid0(SALU_CYCLE_1)
	s_and_not1_b32 vcc_lo, exec_lo, s1
	s_cbranch_vccnz .LBB55_3520
; %bb.3515:
	s_cmp_gt_i32 s0, 0
	s_mov_b32 s0, 0
	s_cbranch_scc0 .LBB55_3517
; %bb.3516:
	s_wait_loadcnt 0x0
	global_load_i8 v44, v[38:39], off
	s_branch .LBB55_3518
.LBB55_3517:
	s_mov_b32 s0, -1
                                        ; implicit-def: $vgpr44
.LBB55_3518:
	s_delay_alu instid0(SALU_CYCLE_1)
	s_and_not1_b32 vcc_lo, exec_lo, s0
	s_cbranch_vccnz .LBB55_3520
; %bb.3519:
	s_wait_loadcnt 0x0
	global_load_u8 v44, v[38:39], off
.LBB55_3520:
	s_mov_b32 s9, -1
.LBB55_3521:
	s_delay_alu instid0(SALU_CYCLE_1)
	s_and_not1_b32 vcc_lo, exec_lo, s9
	s_cbranch_vccnz .LBB55_3530
; %bb.3522:
	s_load_b32 s8, s[2:3], 0x278
	s_get_pc_i64 s[0:1]
	s_add_nc_u64 s[0:1], s[0:1], .str.1@rel64+4
	s_delay_alu instid0(SALU_CYCLE_1) | instskip(SKIP_4) | instid1(SALU_CYCLE_1)
	s_cmp_eq_u64 s[0:1], 0
	s_cselect_b32 s0, -1, 0
	s_wait_kmcnt 0x0
	v_cmp_ne_u32_e32 vcc_lo, s8, v1
	s_or_b32 s0, s0, vcc_lo
	s_and_saveexec_b32 s1, s0
	s_delay_alu instid0(SALU_CYCLE_1)
	s_xor_b32 s0, exec_lo, s1
	s_cbranch_execnz .LBB55_3905
.LBB55_3523:
	s_or_saveexec_b32 s40, s0
	s_mov_b32 s1, 0
	s_mov_b32 s8, 0
                                        ; implicit-def: $vgpr38_vgpr39
                                        ; implicit-def: $sgpr0
	s_xor_b32 exec_lo, exec_lo, s40
	s_cbranch_execz .LBB55_4419
; %bb.3524:
	s_load_b64 s[10:11], s[2:3], 0x288
	s_get_pc_i64 s[0:1]
	s_add_nc_u64 s[0:1], s[0:1], .str.2@rel64+4
	s_mov_b32 s41, s33
	s_cmp_eq_u64 s[0:1], 0
	s_cselect_b32 s0, -1, 0
	s_wait_kmcnt 0x0
	v_cmp_ne_u32_e32 vcc_lo, s10, v3
	s_or_b32 s0, s0, vcc_lo
	s_delay_alu instid0(SALU_CYCLE_1) | instskip(NEXT) | instid1(SALU_CYCLE_1)
	s_and_saveexec_b32 s1, s0
	s_xor_b32 s0, exec_lo, s1
	s_cbranch_execnz .LBB55_4034
; %bb.3525:
	s_or_saveexec_b32 s42, s0
	s_mov_b32 s1, 0
                                        ; implicit-def: $vgpr38_vgpr39
                                        ; implicit-def: $sgpr0
	s_xor_b32 exec_lo, exec_lo, s42
	s_cbranch_execz .LBB55_4418
.LBB55_3526:
	s_load_b64 s[20:21], s[2:3], 0x280
	v_sub_nc_u32_e32 v5, v40, v42
	s_get_pc_i64 s[8:9]
	s_add_nc_u64 s[8:9], s[8:9], .str.3@rel64+4
	s_wait_kmcnt 0x0
	s_mov_b32 s21, s41
	v_cmp_gt_i32_e32 vcc_lo, v1, v5
	v_cmp_lt_i32_e64 s0, s20, v5
	s_or_b32 s0, vcc_lo, s0
	s_cmp_eq_u64 s[8:9], 0
	s_cselect_b32 s1, -1, 0
	s_delay_alu instid0(SALU_CYCLE_1) | instskip(NEXT) | instid1(SALU_CYCLE_1)
	s_or_b32 s0, s1, s0
	s_and_saveexec_b32 s1, s0
	s_delay_alu instid0(SALU_CYCLE_1)
	s_xor_b32 s0, exec_lo, s1
	s_cbranch_execnz .LBB55_4163
.LBB55_3527:
	s_or_saveexec_b32 s43, s0
	s_mov_b32 s1, 0
	s_mov_b32 s8, 0
                                        ; implicit-def: $vgpr38_vgpr39
                                        ; implicit-def: $sgpr0
	s_xor_b32 exec_lo, exec_lo, s43
	s_cbranch_execz .LBB55_4417
; %bb.3528:
	s_load_b32 s47, s[2:3], 0x290
	v_cmp_gt_i64_e64 s0, s[10:11], 0
	v_mov_b64_e32 v[38:39], 0
	s_wait_kmcnt 0x0
	s_add_co_i32 s8, s47, -1
	s_delay_alu instid0(SALU_CYCLE_1) | instskip(SKIP_1) | instid1(SALU_CYCLE_1)
	s_cmp_gt_i32 s8, -1
	s_cselect_b32 s1, -1, 0
	s_and_b32 s0, s0, s1
	s_delay_alu instid0(SALU_CYCLE_1) | instskip(NEXT) | instid1(VALU_DEP_1)
	v_cndmask_b32_e64 v5, 0, 1, s0
	v_cmp_ne_u32_e32 vcc_lo, 1, v5
	s_cbranch_vccnz .LBB55_3580
; %bb.3529:
	s_wait_loadcnt 0x0
	v_dual_mov_b32 v46, 0 :: v_dual_ashrrev_i32 v45, 31, v44
	s_load_b128 s[24:27], s[2:3], 0x298
	s_mov_b32 s1, 0
	v_mov_b64_e32 v[38:39], 0
	s_delay_alu instid0(VALU_DEP_2)
	v_mul_u64_e32 v[44:45], s[10:11], v[44:45]
	s_mov_b32 s9, s1
	s_mov_b64 s[22:23], 0xffffffff
	s_lshl_b64 s[28:29], s[8:9], 3
	s_mov_b32 s9, s47
	s_wait_kmcnt 0x0
	s_add_nc_u64 s[24:25], s[24:25], s[28:29]
	s_add_nc_u64 s[26:27], s[26:27], s[28:29]
	s_branch .LBB55_3576
.LBB55_3530:
	s_mov_b32 s1, 0
	s_mov_b32 s8, 0
                                        ; implicit-def: $vgpr38_vgpr39
                                        ; implicit-def: $sgpr0
.LBB55_3531:
	s_wait_xcnt 0x0
	s_and_not1_b32 s2, s38, exec_lo
	s_and_b32 s3, s33, exec_lo
	s_and_b32 s4, s8, exec_lo
	;; [unrolled: 1-line block ×3, first 2 shown]
	s_or_b32 s38, s2, s3
.LBB55_3532:
	s_or_b32 exec_lo, exec_lo, s39
	s_and_saveexec_b32 s1, s38
	s_cbranch_execz .LBB55_3535
; %bb.3533:
	; divergent unreachable
	s_or_b32 exec_lo, exec_lo, s1
	s_and_saveexec_b32 s1, s71
	s_delay_alu instid0(SALU_CYCLE_1)
	s_xor_b32 s1, exec_lo, s1
	s_cbranch_execnz .LBB55_3536
.LBB55_3534:
	s_or_b32 exec_lo, exec_lo, s1
	s_and_saveexec_b32 s1, s4
	s_cbranch_execnz .LBB55_3537
	s_branch .LBB55_3574
.LBB55_3535:
	s_or_b32 exec_lo, exec_lo, s1
	s_and_saveexec_b32 s1, s71
	s_delay_alu instid0(SALU_CYCLE_1)
	s_xor_b32 s1, exec_lo, s1
	s_cbranch_execz .LBB55_3534
.LBB55_3536:
	s_wait_loadcnt 0x0
	v_mov_b32_e32 v0, 0
	global_store_b8 v[38:39], v0, off
	s_wait_xcnt 0x0
	s_or_b32 exec_lo, exec_lo, s1
	s_and_saveexec_b32 s1, s4
	s_cbranch_execz .LBB55_3574
.LBB55_3537:
	s_sext_i32_i16 s2, s0
	s_mov_b32 s1, -1
	s_cmp_lt_i32 s2, 5
	s_cbranch_scc1 .LBB55_3558
; %bb.3538:
	s_cmp_lt_i32 s2, 8
	s_cbranch_scc1 .LBB55_3548
; %bb.3539:
	s_cmp_lt_i32 s2, 9
	s_cbranch_scc1 .LBB55_3545
; %bb.3540:
	s_cmp_gt_i32 s2, 9
	s_cbranch_scc0 .LBB55_3542
; %bb.3541:
	s_wait_loadcnt 0x0
	v_mov_b32_e32 v0, 0
	s_mov_b32 s1, 0
	s_delay_alu instid0(VALU_DEP_1)
	v_dual_mov_b32 v1, v0 :: v_dual_mov_b32 v2, v0
	v_mov_b32_e32 v3, v0
	global_store_b128 v[38:39], v[0:3], off
.LBB55_3542:
	s_and_not1_b32 vcc_lo, exec_lo, s1
	s_cbranch_vccnz .LBB55_3544
; %bb.3543:
	s_wait_loadcnt 0x0
	v_mov_b64_e32 v[0:1], 0
	global_store_b64 v[38:39], v[0:1], off
.LBB55_3544:
	s_mov_b32 s1, 0
.LBB55_3545:
	s_delay_alu instid0(SALU_CYCLE_1)
	s_and_not1_b32 vcc_lo, exec_lo, s1
	s_cbranch_vccnz .LBB55_3547
; %bb.3546:
	s_wait_loadcnt 0x0
	v_mov_b32_e32 v0, 0
	global_store_b32 v[38:39], v0, off
.LBB55_3547:
	s_mov_b32 s1, 0
.LBB55_3548:
	s_delay_alu instid0(SALU_CYCLE_1)
	s_and_not1_b32 vcc_lo, exec_lo, s1
	s_cbranch_vccnz .LBB55_3557
; %bb.3549:
	s_sext_i32_i16 s2, s0
	s_mov_b32 s1, -1
	s_cmp_lt_i32 s2, 6
	s_cbranch_scc1 .LBB55_3555
; %bb.3550:
	s_cmp_gt_i32 s2, 6
	s_cbranch_scc0 .LBB55_3552
; %bb.3551:
	s_wait_loadcnt 0x0
	v_mov_b64_e32 v[0:1], 0
	s_mov_b32 s1, 0
	global_store_b64 v[38:39], v[0:1], off
.LBB55_3552:
	s_and_not1_b32 vcc_lo, exec_lo, s1
	s_cbranch_vccnz .LBB55_3554
; %bb.3553:
	s_wait_loadcnt 0x0
	v_mov_b32_e32 v0, 0
	global_store_b32 v[38:39], v0, off
.LBB55_3554:
	s_mov_b32 s1, 0
.LBB55_3555:
	s_delay_alu instid0(SALU_CYCLE_1)
	s_and_not1_b32 vcc_lo, exec_lo, s1
	s_cbranch_vccnz .LBB55_3557
; %bb.3556:
	s_wait_loadcnt 0x0
	v_mov_b32_e32 v0, 0
	global_store_b16 v[38:39], v0, off
.LBB55_3557:
	s_mov_b32 s1, 0
.LBB55_3558:
	s_delay_alu instid0(SALU_CYCLE_1)
	s_and_not1_b32 vcc_lo, exec_lo, s1
	s_cbranch_vccnz .LBB55_3574
; %bb.3559:
	s_sext_i32_i16 s2, s0
	s_mov_b32 s1, -1
	s_cmp_lt_i32 s2, 2
	s_cbranch_scc1 .LBB55_3569
; %bb.3560:
	s_cmp_lt_i32 s2, 3
	s_cbranch_scc1 .LBB55_3566
; %bb.3561:
	s_cmp_gt_i32 s2, 3
	s_cbranch_scc0 .LBB55_3563
; %bb.3562:
	s_wait_loadcnt 0x0
	v_mov_b64_e32 v[0:1], 0
	s_mov_b32 s1, 0
	global_store_b64 v[38:39], v[0:1], off
.LBB55_3563:
	s_and_not1_b32 vcc_lo, exec_lo, s1
	s_cbranch_vccnz .LBB55_3565
; %bb.3564:
	s_wait_loadcnt 0x0
	v_mov_b32_e32 v0, 0
	global_store_b32 v[38:39], v0, off
.LBB55_3565:
	s_mov_b32 s1, 0
.LBB55_3566:
	s_delay_alu instid0(SALU_CYCLE_1)
	s_and_not1_b32 vcc_lo, exec_lo, s1
	s_cbranch_vccnz .LBB55_3568
; %bb.3567:
	s_wait_loadcnt 0x0
	v_mov_b32_e32 v0, 0
	global_store_b16 v[38:39], v0, off
.LBB55_3568:
	s_mov_b32 s1, 0
.LBB55_3569:
	s_delay_alu instid0(SALU_CYCLE_1)
	s_and_not1_b32 vcc_lo, exec_lo, s1
	s_cbranch_vccnz .LBB55_3574
; %bb.3570:
	s_sext_i32_i16 s0, s0
	s_delay_alu instid0(SALU_CYCLE_1)
	s_cmp_gt_i32 s0, 0
	s_mov_b32 s0, -1
	s_cbranch_scc0 .LBB55_3572
; %bb.3571:
	s_wait_loadcnt 0x0
	v_mov_b32_e32 v0, 0
	s_mov_b32 s0, 0
	global_store_b8 v[38:39], v0, off
.LBB55_3572:
	s_and_not1_b32 vcc_lo, exec_lo, s0
	s_cbranch_vccnz .LBB55_3574
; %bb.3573:
	s_wait_loadcnt 0x0
	v_mov_b32_e32 v0, 0
	global_store_b8 v[38:39], v0, off
	s_endpgm
.LBB55_3574:
	s_endpgm
.LBB55_3575:                            ;   in Loop: Header=BB55_3576 Depth=1
	s_or_b32 exec_lo, exec_lo, s0
	global_load_b64 v[50:51], v46, s[26:27]
	v_mul_u64_e32 v[52:53], s[28:29], v[48:49]
	s_add_co_i32 s9, s9, -1
	s_add_nc_u64 s[24:25], s[24:25], -8
	s_cmp_eq_u32 s9, 0
	s_wait_xcnt 0x0
	s_add_nc_u64 s[26:27], s[26:27], -8
	s_delay_alu instid0(VALU_DEP_1) | instskip(SKIP_1) | instid1(VALU_DEP_1)
	v_sub_nc_u64_e32 v[44:45], v[44:45], v[52:53]
	s_wait_loadcnt 0x0
	v_mad_nc_u64_u32 v[38:39], v44, v50, v[38:39]
	s_delay_alu instid0(VALU_DEP_1) | instskip(NEXT) | instid1(VALU_DEP_1)
	v_mad_u32 v7, v45, v50, v39
	v_mad_u32 v39, v44, v51, v7
	v_mov_b64_e32 v[44:45], v[48:49]
	s_cbranch_scc1 .LBB55_3580
.LBB55_3576:                            ; =>This Inner Loop Header: Depth=1
	global_load_b64 v[48:49], v46, s[24:25]
	s_mov_b32 s0, exec_lo
	s_wait_loadcnt 0x0
	v_or_b32_e32 v47, v45, v49
	v_readfirstlane_b32 s28, v48
	v_readfirstlane_b32 s29, v49
                                        ; implicit-def: $vgpr48_vgpr49
	s_wait_xcnt 0x0
	s_delay_alu instid0(VALU_DEP_3)
	v_cmpx_ne_u64_e32 0, v[46:47]
	s_xor_b32 s44, exec_lo, s0
	s_cbranch_execz .LBB55_3578
; %bb.3577:                             ;   in Loop: Header=BB55_3576 Depth=1
	s_ashr_i32 s30, s29, 31
	v_dual_mov_b32 v53, v46 :: v_dual_ashrrev_i32 v48, 31, v45
	s_mov_b32 s31, s30
	s_delay_alu instid0(SALU_CYCLE_1) | instskip(NEXT) | instid1(VALU_DEP_1)
	s_add_nc_u64 s[34:35], s[28:29], s[30:31]
	v_mov_b32_e32 v49, v48
	s_xor_b64 s[34:35], s[34:35], s[30:31]
	s_delay_alu instid0(SALU_CYCLE_1)
	s_cvt_f32_u32 s0, s34
	s_cvt_f32_u32 s31, s35
	s_sub_nc_u64 s[54:55], 0, s[34:35]
	v_add_nc_u64_e32 v[50:51], v[44:45], v[48:49]
	v_mov_b32_e32 v57, v46
	s_fmamk_f32 s0, s31, 0x4f800000, s0
	s_delay_alu instid0(SALU_CYCLE_3) | instskip(NEXT) | instid1(VALU_DEP_2)
	v_s_rcp_f32 s0, s0
	v_xor_b32_e32 v52, v50, v48
	s_delay_alu instid0(VALU_DEP_3) | instskip(NEXT) | instid1(TRANS32_DEP_1)
	v_dual_mov_b32 v61, v46 :: v_dual_bitop2_b32 v56, v51, v48 bitop3:0x14
	s_mul_f32 s0, s0, 0x5f7ffffc
	s_delay_alu instid0(SALU_CYCLE_3) | instskip(NEXT) | instid1(SALU_CYCLE_3)
	s_mul_f32 s31, s0, 0x2f800000
	s_trunc_f32 s31, s31
	s_delay_alu instid0(SALU_CYCLE_3) | instskip(SKIP_1) | instid1(SALU_CYCLE_2)
	s_fmamk_f32 s0, s31, 0xcf800000, s0
	s_cvt_u32_f32 s53, s31
	s_cvt_u32_f32 s52, s0
	s_delay_alu instid0(SALU_CYCLE_3) | instskip(NEXT) | instid1(SALU_CYCLE_1)
	s_mul_u64 s[56:57], s[54:55], s[52:53]
	s_mul_hi_u32 s59, s52, s57
	s_mul_i32 s58, s52, s57
	s_mul_hi_u32 s0, s52, s56
	s_mul_i32 s45, s53, s56
	s_add_nc_u64 s[58:59], s[0:1], s[58:59]
	s_mul_hi_u32 s31, s53, s56
	s_mul_hi_u32 s46, s53, s57
	s_add_co_u32 s0, s58, s45
	s_add_co_ci_u32 s0, s59, s31
	s_mul_i32 s56, s53, s57
	s_add_co_ci_u32 s57, s46, 0
	s_delay_alu instid0(SALU_CYCLE_1) | instskip(NEXT) | instid1(SALU_CYCLE_1)
	s_add_nc_u64 s[56:57], s[0:1], s[56:57]
	s_add_co_u32 s52, s52, s56
	s_cselect_b32 s0, -1, 0
	s_delay_alu instid0(SALU_CYCLE_1) | instskip(SKIP_1) | instid1(SALU_CYCLE_1)
	s_cmp_lg_u32 s0, 0
	s_add_co_ci_u32 s53, s53, s57
	s_mul_u64 s[54:55], s[54:55], s[52:53]
	s_delay_alu instid0(SALU_CYCLE_1)
	s_mul_hi_u32 s57, s52, s55
	s_mul_i32 s56, s52, s55
	s_mul_hi_u32 s0, s52, s54
	s_mul_i32 s45, s53, s54
	s_add_nc_u64 s[56:57], s[0:1], s[56:57]
	s_mul_hi_u32 s31, s53, s54
	s_mul_hi_u32 s46, s53, s55
	s_add_co_u32 s0, s56, s45
	s_add_co_ci_u32 s0, s57, s31
	s_mul_i32 s54, s53, s55
	s_add_co_ci_u32 s55, s46, 0
	s_delay_alu instid0(SALU_CYCLE_1) | instskip(NEXT) | instid1(SALU_CYCLE_1)
	s_add_nc_u64 s[54:55], s[0:1], s[54:55]
	s_add_co_u32 s46, s52, s54
	s_cselect_b32 s0, -1, 0
	v_mul_hi_u32 v60, v52, s46
	s_cmp_lg_u32 s0, 0
	s_add_co_ci_u32 s0, s53, s55
	s_and_b64 s[52:53], s[46:47], s[22:23]
	v_mul_u64_e32 v[54:55], s[0:1], v[52:53]
	v_mul_u64_e32 v[50:51], s[52:53], v[56:57]
	;; [unrolled: 1-line block ×3, first 2 shown]
	s_delay_alu instid0(VALU_DEP_3) | instskip(NEXT) | instid1(VALU_DEP_1)
	v_add_nc_u64_e32 v[54:55], v[60:61], v[54:55]
	v_add_co_u32 v7, vcc_lo, v54, v50
	s_delay_alu instid0(VALU_DEP_2) | instskip(NEXT) | instid1(VALU_DEP_4)
	v_add_co_ci_u32_e32 v60, vcc_lo, v55, v51, vcc_lo
	v_add_co_ci_u32_e32 v59, vcc_lo, 0, v59, vcc_lo
	s_delay_alu instid0(VALU_DEP_1) | instskip(NEXT) | instid1(VALU_DEP_1)
	v_add_nc_u64_e32 v[50:51], v[60:61], v[58:59]
	v_mul_u64_e32 v[54:55], s[34:35], v[50:51]
	s_delay_alu instid0(VALU_DEP_1) | instskip(NEXT) | instid1(VALU_DEP_2)
	v_sub_nc_u32_e32 v7, v56, v55
	v_sub_co_u32 v9, vcc_lo, v52, v54
	s_delay_alu instid0(VALU_DEP_1) | instskip(NEXT) | instid1(VALU_DEP_3)
	v_sub_co_ci_u32_e64 v13, null, v56, v55, vcc_lo
	v_subrev_co_ci_u32_e64 v7, null, s35, v7, vcc_lo
	s_delay_alu instid0(VALU_DEP_3) | instskip(SKIP_1) | instid1(VALU_DEP_3)
	v_sub_co_u32 v11, s0, v9, s34
	v_add_nc_u64_e32 v[52:53], 2, v[50:51]
	v_subrev_co_ci_u32_e64 v7, null, 0, v7, s0
	s_delay_alu instid0(VALU_DEP_3) | instskip(SKIP_2) | instid1(VALU_DEP_4)
	v_cmp_le_u32_e32 vcc_lo, s34, v11
	v_add_nc_u64_e32 v[54:55], 1, v[50:51]
	v_cndmask_b32_e64 v11, 0, -1, vcc_lo
	v_cmp_le_u32_e32 vcc_lo, s35, v7
	v_cndmask_b32_e64 v15, 0, -1, vcc_lo
	v_cmp_le_u32_e32 vcc_lo, s34, v9
	;; [unrolled: 2-line block ×3, first 2 shown]
	v_cndmask_b32_e64 v17, 0, -1, vcc_lo
	v_cmp_eq_u32_e32 vcc_lo, s35, v7
	v_cndmask_b32_e32 v7, v15, v11, vcc_lo
	v_cmp_eq_u32_e32 vcc_lo, s35, v13
	s_delay_alu instid0(VALU_DEP_4) | instskip(NEXT) | instid1(VALU_DEP_3)
	v_cndmask_b32_e32 v9, v17, v9, vcc_lo
	v_cmp_ne_u32_e32 vcc_lo, 0, v7
	s_delay_alu instid0(VALU_DEP_2) | instskip(SKIP_1) | instid1(VALU_DEP_1)
	v_cmp_ne_u32_e64 s0, 0, v9
	v_dual_cndmask_b32 v7, v55, v53, vcc_lo :: v_dual_cndmask_b32 v9, v54, v52, vcc_lo
	v_dual_cndmask_b32 v7, v51, v7, s0 :: v_dual_bitop2_b32 v48, s30, v48 bitop3:0x14
	s_delay_alu instid0(VALU_DEP_1) | instskip(NEXT) | instid1(VALU_DEP_2)
	v_dual_cndmask_b32 v9, v50, v9, s0 :: v_dual_mov_b32 v49, v48
	v_xor_b32_e32 v51, v7, v48
	s_delay_alu instid0(VALU_DEP_2) | instskip(NEXT) | instid1(VALU_DEP_1)
	v_xor_b32_e32 v50, v9, v48
	v_sub_nc_u64_e32 v[48:49], v[50:51], v[48:49]
.LBB55_3578:                            ;   in Loop: Header=BB55_3576 Depth=1
	s_and_not1_saveexec_b32 s0, s44
	s_cbranch_execz .LBB55_3575
; %bb.3579:                             ;   in Loop: Header=BB55_3576 Depth=1
	v_cvt_f32_u32_e32 v7, s28
	s_sub_co_i32 s30, 0, s28
	v_mov_b32_e32 v49, v46
	s_delay_alu instid0(VALU_DEP_2) | instskip(SKIP_1) | instid1(TRANS32_DEP_1)
	v_rcp_iflag_f32_e32 v7, v7
	v_nop
	v_mul_f32_e32 v7, 0x4f7ffffe, v7
	s_delay_alu instid0(VALU_DEP_1) | instskip(NEXT) | instid1(VALU_DEP_1)
	v_cvt_u32_f32_e32 v7, v7
	v_mul_lo_u32 v9, s30, v7
	s_delay_alu instid0(VALU_DEP_1) | instskip(NEXT) | instid1(VALU_DEP_1)
	v_mul_hi_u32 v9, v7, v9
	v_add_nc_u32_e32 v7, v7, v9
	s_delay_alu instid0(VALU_DEP_1) | instskip(NEXT) | instid1(VALU_DEP_1)
	v_mul_hi_u32 v7, v44, v7
	v_mul_lo_u32 v9, v7, s28
	s_delay_alu instid0(VALU_DEP_1) | instskip(NEXT) | instid1(VALU_DEP_1)
	v_sub_nc_u32_e32 v9, v44, v9
	v_subrev_nc_u32_e32 v13, s28, v9
	v_cmp_le_u32_e32 vcc_lo, s28, v9
	s_delay_alu instid0(VALU_DEP_2) | instskip(NEXT) | instid1(VALU_DEP_1)
	v_dual_add_nc_u32 v11, 1, v7 :: v_dual_cndmask_b32 v9, v9, v13, vcc_lo
	v_cndmask_b32_e32 v7, v7, v11, vcc_lo
	s_delay_alu instid0(VALU_DEP_2) | instskip(NEXT) | instid1(VALU_DEP_2)
	v_cmp_le_u32_e32 vcc_lo, s28, v9
	v_add_nc_u32_e32 v11, 1, v7
	s_delay_alu instid0(VALU_DEP_1)
	v_cndmask_b32_e32 v48, v7, v11, vcc_lo
	s_branch .LBB55_3575
.LBB55_3580:
	s_load_b64 s[22:23], s[2:3], 0x2a8
	s_get_pc_i64 s[0:1]
	s_add_nc_u64 s[0:1], s[0:1], .str.4@rel64+4
	s_mov_b32 s24, -1
	s_cmp_lg_u64 s[0:1], 0
	s_mov_b32 s44, s21
	s_cselect_b32 s48, -1, 0
	s_mov_b32 s0, exec_lo
	v_cmpx_gt_i32_e64 v40, v42
	s_cbranch_execz .LBB55_3587
; %bb.3581:
	v_lshlrev_b64_e32 v[38:39], 2, v[38:39]
	v_dual_ashrrev_i32 v43, 31, v42 :: v_dual_ashrrev_i32 v41, 31, v40
	s_mov_b32 s9, 0
	s_xor_b32 s24, s48, -1
                                        ; implicit-def: $sgpr1
                                        ; implicit-def: $sgpr26
                                        ; implicit-def: $sgpr25
	s_delay_alu instid0(VALU_DEP_1) | instskip(SKIP_3) | instid1(VALU_DEP_2)
	v_lshl_add_u64 v[42:43], v[42:43], 2, v[38:39]
	s_wait_loadcnt 0x0
	s_wait_kmcnt 0x0
	v_add_nc_u64_e32 v[44:45], s[22:23], v[38:39]
	v_add_nc_u64_e32 v[42:43], s[22:23], v[42:43]
	s_delay_alu instid0(VALU_DEP_2) | instskip(NEXT) | instid1(VALU_DEP_2)
	v_lshl_add_u64 v[40:41], v[40:41], 2, v[44:45]
	v_add_nc_u64_e32 v[38:39], 4, v[42:43]
	s_branch .LBB55_3583
.LBB55_3582:                            ;   in Loop: Header=BB55_3583 Depth=1
	s_or_b32 exec_lo, exec_lo, s27
	s_xor_b32 s27, s25, -1
	s_and_b32 s28, exec_lo, s26
	s_delay_alu instid0(SALU_CYCLE_1) | instskip(SKIP_2) | instid1(SALU_CYCLE_1)
	s_or_b32 s9, s28, s9
	s_and_not1_b32 s1, s1, exec_lo
	s_and_b32 s27, s27, exec_lo
	s_or_b32 s1, s1, s27
	s_and_not1_b32 exec_lo, exec_lo, s9
	s_cbranch_execz .LBB55_3585
.LBB55_3583:                            ; =>This Inner Loop Header: Depth=1
	s_or_b32 s25, s25, exec_lo
	s_or_b32 s26, s26, exec_lo
	s_mov_b32 s27, exec_lo
	s_delay_alu instid0(VALU_DEP_1)
	v_cmpx_lt_u64_e64 v[38:39], v[40:41]
	s_cbranch_execz .LBB55_3582
; %bb.3584:                             ;   in Loop: Header=BB55_3583 Depth=1
	global_load_b64 v[42:43], v[38:39], off offset:-4
	s_wait_xcnt 0x0
	v_add_nc_u64_e32 v[38:39], 4, v[38:39]
	s_and_not1_b32 s26, s26, exec_lo
	s_and_not1_b32 s25, s25, exec_lo
	s_wait_loadcnt 0x0
	v_cmp_ge_i32_e32 vcc_lo, v42, v43
	s_or_b32 s28, s24, vcc_lo
	s_delay_alu instid0(SALU_CYCLE_1) | instskip(NEXT) | instid1(SALU_CYCLE_1)
	s_and_b32 s28, s28, exec_lo
	s_or_b32 s26, s26, s28
	s_branch .LBB55_3582
.LBB55_3585:
	s_or_b32 exec_lo, exec_lo, s9
	s_mov_b32 s9, -1
	s_mov_b32 s24, s21
	s_and_saveexec_b32 s25, s1
	s_delay_alu instid0(SALU_CYCLE_1)
	s_xor_b32 s1, exec_lo, s25
	s_cbranch_execnz .LBB55_3690
.LBB55_3586:
	s_or_b32 exec_lo, exec_lo, s1
	s_delay_alu instid0(SALU_CYCLE_1) | instskip(SKIP_1) | instid1(SALU_CYCLE_1)
	s_and_not1_b32 s1, s21, exec_lo
	s_and_b32 s24, s24, exec_lo
	s_or_b32 s44, s1, s24
	s_or_not1_b32 s24, s9, exec_lo
.LBB55_3587:
	s_or_b32 exec_lo, exec_lo, s0
	s_mov_b32 s1, 0
	s_mov_b32 s9, 0
                                        ; implicit-def: $vgpr38_vgpr39
                                        ; implicit-def: $sgpr0
	s_and_saveexec_b32 s45, s24
	s_cbranch_execz .LBB55_4416
; %bb.3588:
	v_mov_b32_e32 v37, 0
	s_and_b32 s57, 0xffff, s36
	s_delay_alu instid0(SALU_CYCLE_1) | instskip(NEXT) | instid1(VALU_DEP_1)
	s_cmp_lt_i32 s57, 11
	v_add_nc_u64_e32 v[36:37], s[6:7], v[36:37]
	s_cbranch_scc1 .LBB55_3596
; %bb.3589:
	s_cmp_gt_i32 s57, 25
	s_cbranch_scc0 .LBB55_3598
; %bb.3590:
	s_cmp_gt_i32 s57, 28
	s_cbranch_scc0 .LBB55_3600
	;; [unrolled: 3-line block ×4, first 2 shown]
; %bb.3593:
	s_cmp_eq_u32 s57, 46
	s_mov_b32 s24, 0
	s_cbranch_scc0 .LBB55_3778
; %bb.3594:
	global_load_b32 v7, v[36:37], off
	s_mov_b32 s0, 0
	s_mov_b32 s9, -1
	s_wait_loadcnt 0x0
	v_lshlrev_b32_e32 v7, 16, v7
	s_delay_alu instid0(VALU_DEP_1)
	v_cvt_i32_f32_e32 v7, v7
	s_branch .LBB55_3780
.LBB55_3595:
	s_or_b32 s33, s33, exec_lo
	s_trap 2
	s_cbranch_execz .LBB55_3470
	s_branch .LBB55_3471
.LBB55_3596:
	s_mov_b32 s0, -1
	s_mov_b32 s46, s44
                                        ; implicit-def: $vgpr7
	s_branch .LBB55_3842
.LBB55_3597:
	s_mov_b32 s36, -1
	s_mov_b32 s59, 0
	s_mov_b32 s56, s99
	s_branch .LBB55_3732
.LBB55_3598:
	s_mov_b32 s24, -1
	s_mov_b32 s0, 0
                                        ; implicit-def: $vgpr7
	s_branch .LBB55_3807
.LBB55_3599:
	s_mov_b32 s36, -1
	s_mov_b32 s59, 0
	s_mov_b32 s56, s99
	s_branch .LBB55_3712
.LBB55_3600:
	s_mov_b32 s24, -1
	s_mov_b32 s0, 0
                                        ; implicit-def: $vgpr7
	s_branch .LBB55_3790
.LBB55_3601:
	s_mov_b32 s36, -1
	s_mov_b32 s59, 0
	s_mov_b32 s56, s99
	s_branch .LBB55_3701
.LBB55_3602:
	s_mov_b32 s24, -1
	s_mov_b32 s0, 0
                                        ; implicit-def: $vgpr7
	s_branch .LBB55_3785
.LBB55_3603:
	s_mov_b32 s36, -1
	s_mov_b32 s59, 0
	s_mov_b32 s56, s45
.LBB55_3604:
	s_and_b32 vcc_lo, exec_lo, s36
	s_cbranch_vccz .LBB55_3607
; %bb.3605:
	s_cmp_eq_u32 s58, 44
	s_mov_b32 s56, -1
	s_cbranch_scc0 .LBB55_3607
; %bb.3606:
	s_wait_xcnt 0x0
	v_mov_b32_e32 v1, 0
	s_mov_b32 s59, -1
	s_mov_b32 s56, 0
	global_store_b8 v[2:3], v1, off
.LBB55_3607:
	s_mov_b32 s36, 0
.LBB55_3608:
	s_delay_alu instid0(SALU_CYCLE_1)
	s_and_b32 vcc_lo, exec_lo, s36
	s_cbranch_vccz .LBB55_3611
; %bb.3609:
	s_cmp_eq_u32 s58, 29
	s_mov_b32 s56, -1
	s_cbranch_scc0 .LBB55_3611
; %bb.3610:
	v_mov_b64_e32 v[4:5], 0
	s_mov_b32 s59, -1
	s_mov_b32 s56, 0
	s_mov_b32 s36, 0
	global_store_b64 v[2:3], v[4:5], off
	s_branch .LBB55_3612
.LBB55_3611:
	s_mov_b32 s36, 0
.LBB55_3612:
	s_delay_alu instid0(SALU_CYCLE_1)
	s_and_b32 vcc_lo, exec_lo, s36
	s_cbranch_vccz .LBB55_3622
; %bb.3613:
	s_cmp_lt_i32 s58, 27
	s_mov_b32 s36, -1
	s_cbranch_scc1 .LBB55_3619
; %bb.3614:
	s_cmp_gt_i32 s58, 27
	s_cbranch_scc0 .LBB55_3616
; %bb.3615:
	s_wait_xcnt 0x0
	v_mov_b32_e32 v1, 0
	s_mov_b32 s36, 0
	global_store_b32 v[2:3], v1, off
.LBB55_3616:
	s_and_not1_b32 vcc_lo, exec_lo, s36
	s_cbranch_vccnz .LBB55_3618
; %bb.3617:
	s_wait_xcnt 0x0
	v_mov_b32_e32 v1, 0
	global_store_b16 v[2:3], v1, off
.LBB55_3618:
	s_mov_b32 s36, 0
.LBB55_3619:
	s_delay_alu instid0(SALU_CYCLE_1)
	s_and_not1_b32 vcc_lo, exec_lo, s36
	s_cbranch_vccnz .LBB55_3621
; %bb.3620:
	s_wait_xcnt 0x0
	v_mov_b32_e32 v1, 0
	global_store_b8 v[2:3], v1, off
.LBB55_3621:
	s_mov_b32 s59, -1
.LBB55_3622:
	s_mov_b32 s36, 0
.LBB55_3623:
	s_delay_alu instid0(SALU_CYCLE_1)
	s_and_b32 vcc_lo, exec_lo, s36
	s_cbranch_vccz .LBB55_3642
; %bb.3624:
	s_cmp_gt_i32 s58, 22
	s_mov_b32 s36, -1
	s_cbranch_scc0 .LBB55_3634
; %bb.3625:
	s_cmp_lt_i32 s58, 24
	s_cbranch_scc1 .LBB55_3631
; %bb.3626:
	s_cmp_gt_i32 s58, 24
	s_cbranch_scc0 .LBB55_3628
; %bb.3627:
	s_wait_xcnt 0x0
	v_mov_b32_e32 v1, 0
	s_mov_b32 s36, 0
	global_store_b8 v[2:3], v1, off
.LBB55_3628:
	s_and_not1_b32 vcc_lo, exec_lo, s36
	s_cbranch_vccnz .LBB55_3630
; %bb.3629:
	s_wait_xcnt 0x0
	v_mov_b32_e32 v1, 0
	global_store_b8 v[2:3], v1, off
.LBB55_3630:
	s_mov_b32 s36, 0
.LBB55_3631:
	s_delay_alu instid0(SALU_CYCLE_1)
	s_and_not1_b32 vcc_lo, exec_lo, s36
	s_cbranch_vccnz .LBB55_3633
; %bb.3632:
	s_wait_xcnt 0x0
	v_mov_b32_e32 v1, 0
	global_store_b8 v[2:3], v1, off
.LBB55_3633:
	s_mov_b32 s36, 0
	s_mov_b32 s59, -1
.LBB55_3634:
	s_and_not1_b32 vcc_lo, exec_lo, s36
	s_cbranch_vccnz .LBB55_3642
; %bb.3635:
	s_cmp_gt_i32 s58, 14
	s_mov_b32 s36, -1
	s_cbranch_scc0 .LBB55_3639
; %bb.3636:
	s_cmp_eq_u32 s58, 15
	s_mov_b32 s56, -1
	s_cbranch_scc0 .LBB55_3638
; %bb.3637:
	s_wait_xcnt 0x0
	v_mov_b32_e32 v1, 0
	s_mov_b32 s59, -1
	s_mov_b32 s56, 0
	global_store_b16 v[2:3], v1, off
.LBB55_3638:
	s_mov_b32 s36, 0
.LBB55_3639:
	s_delay_alu instid0(SALU_CYCLE_1)
	s_and_b32 vcc_lo, exec_lo, s36
	s_cbranch_vccz .LBB55_3642
; %bb.3640:
	s_cmp_eq_u32 s58, 11
	s_mov_b32 s56, -1
	s_cbranch_scc0 .LBB55_3642
; %bb.3641:
	s_wait_xcnt 0x0
	v_mov_b32_e32 v1, 0
	s_mov_b32 s59, -1
	s_mov_b32 s56, 0
	global_store_b8 v[2:3], v1, off
.LBB55_3642:
	s_mov_b32 s36, 0
.LBB55_3643:
	s_delay_alu instid0(SALU_CYCLE_1)
	s_and_b32 vcc_lo, exec_lo, s36
	s_cbranch_vccz .LBB55_3682
; %bb.3644:
	s_and_b32 s36, 0xffff, s57
	s_mov_b32 s37, -1
	s_cmp_lt_i32 s36, 5
	s_cbranch_scc1 .LBB55_3665
; %bb.3645:
	s_cmp_lt_i32 s36, 8
	s_cbranch_scc1 .LBB55_3655
; %bb.3646:
	;; [unrolled: 3-line block ×3, first 2 shown]
	s_cmp_gt_i32 s36, 9
	s_cbranch_scc0 .LBB55_3649
; %bb.3648:
	s_wait_xcnt 0x0
	v_mov_b32_e32 v4, 0
	s_mov_b32 s37, 0
	s_delay_alu instid0(VALU_DEP_1)
	v_dual_mov_b32 v5, v4 :: v_dual_mov_b32 v6, v4
	v_mov_b32_e32 v7, v4
	global_store_b128 v[2:3], v[4:7], off
.LBB55_3649:
	s_and_not1_b32 vcc_lo, exec_lo, s37
	s_cbranch_vccnz .LBB55_3651
; %bb.3650:
	s_wait_xcnt 0x0
	v_mov_b64_e32 v[4:5], 0
	global_store_b64 v[2:3], v[4:5], off
.LBB55_3651:
	s_mov_b32 s37, 0
.LBB55_3652:
	s_delay_alu instid0(SALU_CYCLE_1)
	s_and_not1_b32 vcc_lo, exec_lo, s37
	s_cbranch_vccnz .LBB55_3654
; %bb.3653:
	s_wait_xcnt 0x0
	v_mov_b32_e32 v1, 0
	global_store_b32 v[2:3], v1, off
.LBB55_3654:
	s_mov_b32 s37, 0
.LBB55_3655:
	s_delay_alu instid0(SALU_CYCLE_1)
	s_and_not1_b32 vcc_lo, exec_lo, s37
	s_cbranch_vccnz .LBB55_3664
; %bb.3656:
	s_cmp_lt_i32 s36, 6
	s_mov_b32 s37, -1
	s_cbranch_scc1 .LBB55_3662
; %bb.3657:
	s_cmp_gt_i32 s36, 6
	s_cbranch_scc0 .LBB55_3659
; %bb.3658:
	s_wait_xcnt 0x0
	v_mov_b64_e32 v[4:5], 0
	s_mov_b32 s37, 0
	global_store_b64 v[2:3], v[4:5], off
.LBB55_3659:
	s_and_not1_b32 vcc_lo, exec_lo, s37
	s_cbranch_vccnz .LBB55_3661
; %bb.3660:
	s_wait_xcnt 0x0
	v_mov_b32_e32 v1, 0
	global_store_b32 v[2:3], v1, off
.LBB55_3661:
	s_mov_b32 s37, 0
.LBB55_3662:
	s_delay_alu instid0(SALU_CYCLE_1)
	s_and_not1_b32 vcc_lo, exec_lo, s37
	s_cbranch_vccnz .LBB55_3664
; %bb.3663:
	s_wait_xcnt 0x0
	v_mov_b32_e32 v1, 0
	global_store_b16 v[2:3], v1, off
.LBB55_3664:
	s_mov_b32 s37, 0
.LBB55_3665:
	s_delay_alu instid0(SALU_CYCLE_1)
	s_and_not1_b32 vcc_lo, exec_lo, s37
	s_cbranch_vccnz .LBB55_3681
; %bb.3666:
	s_cmp_lt_i32 s36, 2
	s_mov_b32 s37, -1
	s_cbranch_scc1 .LBB55_3676
; %bb.3667:
	s_cmp_lt_i32 s36, 3
	s_cbranch_scc1 .LBB55_3673
; %bb.3668:
	s_cmp_gt_i32 s36, 3
	s_cbranch_scc0 .LBB55_3670
; %bb.3669:
	s_wait_xcnt 0x0
	v_mov_b64_e32 v[4:5], 0
	s_mov_b32 s37, 0
	global_store_b64 v[2:3], v[4:5], off
.LBB55_3670:
	s_and_not1_b32 vcc_lo, exec_lo, s37
	s_cbranch_vccnz .LBB55_3672
; %bb.3671:
	s_wait_xcnt 0x0
	v_mov_b32_e32 v1, 0
	global_store_b32 v[2:3], v1, off
.LBB55_3672:
	s_mov_b32 s37, 0
.LBB55_3673:
	s_delay_alu instid0(SALU_CYCLE_1)
	s_and_not1_b32 vcc_lo, exec_lo, s37
	s_cbranch_vccnz .LBB55_3675
; %bb.3674:
	s_wait_xcnt 0x0
	v_mov_b32_e32 v1, 0
	global_store_b16 v[2:3], v1, off
.LBB55_3675:
	s_mov_b32 s37, 0
.LBB55_3676:
	s_delay_alu instid0(SALU_CYCLE_1)
	s_and_not1_b32 vcc_lo, exec_lo, s37
	s_cbranch_vccnz .LBB55_3681
; %bb.3677:
	s_cmp_gt_i32 s36, 0
	s_mov_b32 s36, -1
	s_cbranch_scc0 .LBB55_3679
; %bb.3678:
	s_wait_xcnt 0x0
	v_mov_b32_e32 v1, 0
	s_mov_b32 s36, 0
	global_store_b8 v[2:3], v1, off
.LBB55_3679:
	s_and_not1_b32 vcc_lo, exec_lo, s36
	s_cbranch_vccnz .LBB55_3681
; %bb.3680:
	s_wait_xcnt 0x0
	v_mov_b32_e32 v1, 0
	global_store_b8 v[2:3], v1, off
.LBB55_3681:
	s_mov_b32 s59, -1
.LBB55_3682:
	s_delay_alu instid0(SALU_CYCLE_1)
	s_and_not1_b32 vcc_lo, exec_lo, s59
	s_cbranch_vccnz .LBB55_3684
; %bb.3683:
	v_add_nc_u32_e32 v0, 0x80, v0
	s_mov_b32 s36, -1
	s_branch .LBB55_3685
.LBB55_3684:
	s_mov_b32 s36, 0
                                        ; implicit-def: $vgpr0
.LBB55_3685:
	s_and_not1_b32 s4, s45, exec_lo
	s_and_b32 s5, s56, exec_lo
	s_and_not1_b32 s0, s0, exec_lo
	s_or_b32 s37, s4, s5
	s_and_b32 s36, s36, exec_lo
.LBB55_3686:
	s_wait_xcnt 0x0
	s_or_b32 exec_lo, exec_lo, s49
	s_delay_alu instid0(SALU_CYCLE_1)
	s_and_not1_b32 s4, s45, exec_lo
	s_and_b32 s5, s37, exec_lo
	s_and_not1_b32 s6, s68, exec_lo
	s_and_b32 s0, s0, exec_lo
	s_or_b32 s38, s4, s5
	s_or_b32 s0, s6, s0
	s_xor_b32 s37, exec_lo, -1
	s_and_b32 s36, s36, exec_lo
.LBB55_3687:
	s_or_b32 exec_lo, exec_lo, s94
	s_delay_alu instid0(SALU_CYCLE_1)
	s_and_not1_b32 s4, s45, exec_lo
	s_and_b32 s5, s38, exec_lo
	s_and_b32 s0, s0, exec_lo
	s_or_b32 s49, s4, s5
	s_and_not1_b32 s4, s68, exec_lo
	s_and_not1_b32 s5, s69, exec_lo
	s_and_b32 s6, s37, exec_lo
	s_or_b32 s37, s4, s0
	s_or_b32 s39, s5, s6
	s_xor_b32 s38, exec_lo, -1
	s_and_b32 s0, s36, exec_lo
.LBB55_3688:
	s_or_b32 exec_lo, exec_lo, s93
	s_delay_alu instid0(SALU_CYCLE_1)
	s_and_not1_b32 s4, s45, exec_lo
	s_and_b32 s5, s49, exec_lo
	s_and_not1_b32 s6, s68, exec_lo
	s_and_b32 s7, s37, exec_lo
	s_or_b32 s36, s4, s5
	s_or_b32 s37, s6, s7
	s_and_not1_b32 s4, s69, exec_lo
	s_and_b32 s5, s39, exec_lo
	s_and_not1_b32 s6, s84, exec_lo
	s_and_b32 s7, s38, exec_lo
	s_or_b32 s38, s4, s5
	s_or_b32 s49, s6, s7
	s_xor_b32 s39, exec_lo, -1
	s_and_b32 s0, s0, exec_lo
	s_or_b32 exec_lo, exec_lo, s92
	s_branch .LBB55_1325
.LBB55_3689:
	s_mov_b32 s36, -1
	s_mov_b32 s59, 0
	s_mov_b32 s56, s99
	s_branch .LBB55_3697
.LBB55_3690:
	s_or_b32 s24, s21, exec_lo
	s_xor_b32 s9, exec_lo, -1
	s_trap 2
	s_branch .LBB55_3586
.LBB55_3691:
	s_mov_b32 s24, -1
	s_mov_b32 s0, 0
	s_branch .LBB55_3779
.LBB55_3692:
	s_mov_b32 s36, -1
	s_mov_b32 s59, 0
	s_mov_b32 s56, s99
.LBB55_3693:
	s_and_b32 vcc_lo, exec_lo, s36
	s_cbranch_vccz .LBB55_3696
; %bb.3694:
	s_cmp_eq_u32 s58, 44
	s_mov_b32 s56, -1
	s_cbranch_scc0 .LBB55_3696
; %bb.3695:
	s_wait_xcnt 0x0
	v_mov_b32_e32 v1, 0
	s_mov_b32 s59, -1
	s_mov_b32 s56, 0
	global_store_b8 v[2:3], v1, off
.LBB55_3696:
	s_mov_b32 s36, 0
.LBB55_3697:
	s_delay_alu instid0(SALU_CYCLE_1)
	s_and_b32 vcc_lo, exec_lo, s36
	s_cbranch_vccz .LBB55_3700
; %bb.3698:
	s_cmp_eq_u32 s58, 29
	s_mov_b32 s56, -1
	s_cbranch_scc0 .LBB55_3700
; %bb.3699:
	v_mov_b64_e32 v[4:5], 0
	s_mov_b32 s59, -1
	s_mov_b32 s56, 0
	s_mov_b32 s36, 0
	global_store_b64 v[2:3], v[4:5], off
	s_branch .LBB55_3701
.LBB55_3700:
	s_mov_b32 s36, 0
.LBB55_3701:
	s_delay_alu instid0(SALU_CYCLE_1)
	s_and_b32 vcc_lo, exec_lo, s36
	s_cbranch_vccz .LBB55_3711
; %bb.3702:
	s_cmp_lt_i32 s58, 27
	s_mov_b32 s36, -1
	s_cbranch_scc1 .LBB55_3708
; %bb.3703:
	s_cmp_gt_i32 s58, 27
	s_cbranch_scc0 .LBB55_3705
; %bb.3704:
	s_wait_xcnt 0x0
	v_mov_b32_e32 v1, 0
	s_mov_b32 s36, 0
	global_store_b32 v[2:3], v1, off
.LBB55_3705:
	s_and_not1_b32 vcc_lo, exec_lo, s36
	s_cbranch_vccnz .LBB55_3707
; %bb.3706:
	s_wait_xcnt 0x0
	v_mov_b32_e32 v1, 0
	global_store_b16 v[2:3], v1, off
.LBB55_3707:
	s_mov_b32 s36, 0
.LBB55_3708:
	s_delay_alu instid0(SALU_CYCLE_1)
	s_and_not1_b32 vcc_lo, exec_lo, s36
	s_cbranch_vccnz .LBB55_3710
; %bb.3709:
	s_wait_xcnt 0x0
	v_mov_b32_e32 v1, 0
	global_store_b8 v[2:3], v1, off
.LBB55_3710:
	s_mov_b32 s59, -1
.LBB55_3711:
	s_mov_b32 s36, 0
.LBB55_3712:
	s_delay_alu instid0(SALU_CYCLE_1)
	s_and_b32 vcc_lo, exec_lo, s36
	s_cbranch_vccz .LBB55_3731
; %bb.3713:
	s_cmp_gt_i32 s58, 22
	s_mov_b32 s36, -1
	s_cbranch_scc0 .LBB55_3723
; %bb.3714:
	s_cmp_lt_i32 s58, 24
	s_cbranch_scc1 .LBB55_3720
; %bb.3715:
	s_cmp_gt_i32 s58, 24
	s_cbranch_scc0 .LBB55_3717
; %bb.3716:
	s_wait_xcnt 0x0
	v_mov_b32_e32 v1, 0
	s_mov_b32 s36, 0
	global_store_b8 v[2:3], v1, off
.LBB55_3717:
	s_and_not1_b32 vcc_lo, exec_lo, s36
	s_cbranch_vccnz .LBB55_3719
; %bb.3718:
	s_wait_xcnt 0x0
	v_mov_b32_e32 v1, 0
	global_store_b8 v[2:3], v1, off
.LBB55_3719:
	s_mov_b32 s36, 0
.LBB55_3720:
	s_delay_alu instid0(SALU_CYCLE_1)
	s_and_not1_b32 vcc_lo, exec_lo, s36
	s_cbranch_vccnz .LBB55_3722
; %bb.3721:
	s_wait_xcnt 0x0
	v_mov_b32_e32 v1, 0
	global_store_b8 v[2:3], v1, off
.LBB55_3722:
	s_mov_b32 s36, 0
	s_mov_b32 s59, -1
.LBB55_3723:
	s_and_not1_b32 vcc_lo, exec_lo, s36
	s_cbranch_vccnz .LBB55_3731
; %bb.3724:
	s_cmp_gt_i32 s58, 14
	s_mov_b32 s36, -1
	s_cbranch_scc0 .LBB55_3728
; %bb.3725:
	s_cmp_eq_u32 s58, 15
	s_mov_b32 s56, -1
	s_cbranch_scc0 .LBB55_3727
; %bb.3726:
	s_wait_xcnt 0x0
	v_mov_b32_e32 v1, 0
	s_mov_b32 s59, -1
	s_mov_b32 s56, 0
	global_store_b16 v[2:3], v1, off
.LBB55_3727:
	s_mov_b32 s36, 0
.LBB55_3728:
	s_delay_alu instid0(SALU_CYCLE_1)
	s_and_b32 vcc_lo, exec_lo, s36
	s_cbranch_vccz .LBB55_3731
; %bb.3729:
	s_cmp_eq_u32 s58, 11
	s_mov_b32 s56, -1
	s_cbranch_scc0 .LBB55_3731
; %bb.3730:
	s_wait_xcnt 0x0
	v_mov_b32_e32 v1, 0
	s_mov_b32 s59, -1
	s_mov_b32 s56, 0
	global_store_b8 v[2:3], v1, off
.LBB55_3731:
	s_mov_b32 s36, 0
.LBB55_3732:
	s_delay_alu instid0(SALU_CYCLE_1)
	s_and_b32 vcc_lo, exec_lo, s36
	s_cbranch_vccz .LBB55_3771
; %bb.3733:
	s_and_b32 s36, 0xffff, s57
	s_mov_b32 s37, -1
	s_cmp_lt_i32 s36, 5
	s_cbranch_scc1 .LBB55_3754
; %bb.3734:
	s_cmp_lt_i32 s36, 8
	s_cbranch_scc1 .LBB55_3744
; %bb.3735:
	;; [unrolled: 3-line block ×3, first 2 shown]
	s_cmp_gt_i32 s36, 9
	s_cbranch_scc0 .LBB55_3738
; %bb.3737:
	s_wait_xcnt 0x0
	v_mov_b32_e32 v4, 0
	s_mov_b32 s37, 0
	s_delay_alu instid0(VALU_DEP_1)
	v_dual_mov_b32 v5, v4 :: v_dual_mov_b32 v6, v4
	v_mov_b32_e32 v7, v4
	global_store_b128 v[2:3], v[4:7], off
.LBB55_3738:
	s_and_not1_b32 vcc_lo, exec_lo, s37
	s_cbranch_vccnz .LBB55_3740
; %bb.3739:
	s_wait_xcnt 0x0
	v_mov_b64_e32 v[4:5], 0
	global_store_b64 v[2:3], v[4:5], off
.LBB55_3740:
	s_mov_b32 s37, 0
.LBB55_3741:
	s_delay_alu instid0(SALU_CYCLE_1)
	s_and_not1_b32 vcc_lo, exec_lo, s37
	s_cbranch_vccnz .LBB55_3743
; %bb.3742:
	s_wait_xcnt 0x0
	v_mov_b32_e32 v1, 0
	global_store_b32 v[2:3], v1, off
.LBB55_3743:
	s_mov_b32 s37, 0
.LBB55_3744:
	s_delay_alu instid0(SALU_CYCLE_1)
	s_and_not1_b32 vcc_lo, exec_lo, s37
	s_cbranch_vccnz .LBB55_3753
; %bb.3745:
	s_cmp_lt_i32 s36, 6
	s_mov_b32 s37, -1
	s_cbranch_scc1 .LBB55_3751
; %bb.3746:
	s_cmp_gt_i32 s36, 6
	s_cbranch_scc0 .LBB55_3748
; %bb.3747:
	s_wait_xcnt 0x0
	v_mov_b64_e32 v[4:5], 0
	s_mov_b32 s37, 0
	global_store_b64 v[2:3], v[4:5], off
.LBB55_3748:
	s_and_not1_b32 vcc_lo, exec_lo, s37
	s_cbranch_vccnz .LBB55_3750
; %bb.3749:
	s_wait_xcnt 0x0
	v_mov_b32_e32 v1, 0
	global_store_b32 v[2:3], v1, off
.LBB55_3750:
	s_mov_b32 s37, 0
.LBB55_3751:
	s_delay_alu instid0(SALU_CYCLE_1)
	s_and_not1_b32 vcc_lo, exec_lo, s37
	s_cbranch_vccnz .LBB55_3753
; %bb.3752:
	s_wait_xcnt 0x0
	v_mov_b32_e32 v1, 0
	global_store_b16 v[2:3], v1, off
.LBB55_3753:
	s_mov_b32 s37, 0
.LBB55_3754:
	s_delay_alu instid0(SALU_CYCLE_1)
	s_and_not1_b32 vcc_lo, exec_lo, s37
	s_cbranch_vccnz .LBB55_3770
; %bb.3755:
	s_cmp_lt_i32 s36, 2
	s_mov_b32 s37, -1
	s_cbranch_scc1 .LBB55_3765
; %bb.3756:
	s_cmp_lt_i32 s36, 3
	s_cbranch_scc1 .LBB55_3762
; %bb.3757:
	s_cmp_gt_i32 s36, 3
	s_cbranch_scc0 .LBB55_3759
; %bb.3758:
	s_wait_xcnt 0x0
	v_mov_b64_e32 v[4:5], 0
	s_mov_b32 s37, 0
	global_store_b64 v[2:3], v[4:5], off
.LBB55_3759:
	s_and_not1_b32 vcc_lo, exec_lo, s37
	s_cbranch_vccnz .LBB55_3761
; %bb.3760:
	s_wait_xcnt 0x0
	v_mov_b32_e32 v1, 0
	global_store_b32 v[2:3], v1, off
.LBB55_3761:
	s_mov_b32 s37, 0
.LBB55_3762:
	s_delay_alu instid0(SALU_CYCLE_1)
	s_and_not1_b32 vcc_lo, exec_lo, s37
	s_cbranch_vccnz .LBB55_3764
; %bb.3763:
	s_wait_xcnt 0x0
	v_mov_b32_e32 v1, 0
	global_store_b16 v[2:3], v1, off
.LBB55_3764:
	s_mov_b32 s37, 0
.LBB55_3765:
	s_delay_alu instid0(SALU_CYCLE_1)
	s_and_not1_b32 vcc_lo, exec_lo, s37
	s_cbranch_vccnz .LBB55_3770
; %bb.3766:
	s_cmp_gt_i32 s36, 0
	s_mov_b32 s36, -1
	s_cbranch_scc0 .LBB55_3768
; %bb.3767:
	s_wait_xcnt 0x0
	v_mov_b32_e32 v1, 0
	s_mov_b32 s36, 0
	global_store_b8 v[2:3], v1, off
.LBB55_3768:
	s_and_not1_b32 vcc_lo, exec_lo, s36
	s_cbranch_vccnz .LBB55_3770
; %bb.3769:
	s_wait_xcnt 0x0
	v_mov_b32_e32 v1, 0
	global_store_b8 v[2:3], v1, off
.LBB55_3770:
	s_mov_b32 s59, -1
.LBB55_3771:
	s_delay_alu instid0(SALU_CYCLE_1)
	s_and_not1_b32 vcc_lo, exec_lo, s59
	s_cbranch_vccnz .LBB55_3773
; %bb.3772:
	v_add_nc_u32_e32 v0, 0x80, v0
	s_mov_b32 s36, -1
	s_branch .LBB55_3774
.LBB55_3773:
	s_mov_b32 s36, 0
                                        ; implicit-def: $vgpr0
.LBB55_3774:
	s_and_not1_b32 s4, s99, exec_lo
	s_and_b32 s5, s56, exec_lo
	s_and_not1_b32 s0, s0, exec_lo
	s_or_b32 s37, s4, s5
	s_and_b32 s36, s36, exec_lo
.LBB55_3775:
	s_wait_xcnt 0x0
	s_or_b32 exec_lo, exec_lo, s49
	s_delay_alu instid0(SALU_CYCLE_1)
	s_and_not1_b32 s4, s99, exec_lo
	s_and_b32 s5, s37, exec_lo
	s_and_not1_b32 s6, s100, exec_lo
	s_and_b32 s0, s0, exec_lo
	s_or_b32 s38, s4, s5
	s_or_b32 s0, s6, s0
	s_xor_b32 s37, exec_lo, -1
	s_and_b32 s36, s36, exec_lo
.LBB55_3776:
	s_or_b32 exec_lo, exec_lo, s25
	s_delay_alu instid0(SALU_CYCLE_1)
	s_and_not1_b32 s4, s99, exec_lo
	s_and_b32 s5, s38, exec_lo
	s_and_b32 s0, s0, exec_lo
	s_or_b32 s49, s4, s5
	s_and_not1_b32 s4, s100, exec_lo
	s_and_not1_b32 s5, s101, exec_lo
	s_and_b32 s6, s37, exec_lo
	s_or_b32 s37, s4, s0
	s_or_b32 s39, s5, s6
	s_xor_b32 s38, exec_lo, -1
	s_and_b32 s0, s36, exec_lo
.LBB55_3777:
	s_or_b32 exec_lo, exec_lo, s24
	s_delay_alu instid0(SALU_CYCLE_1)
	s_and_not1_b32 s4, s99, exec_lo
	s_and_b32 s5, s49, exec_lo
	s_and_not1_b32 s6, s100, exec_lo
	s_and_b32 s7, s37, exec_lo
	s_or_b32 s36, s4, s5
	s_or_b32 s37, s6, s7
	s_and_not1_b32 s4, s101, exec_lo
	s_and_b32 s5, s39, exec_lo
	s_and_not1_b32 s6, s97, exec_lo
	s_and_b32 s7, s38, exec_lo
	s_or_b32 s38, s4, s5
	s_or_b32 s49, s6, s7
	s_xor_b32 s39, exec_lo, -1
	s_and_b32 s0, s0, exec_lo
	s_or_b32 exec_lo, exec_lo, s21
	s_branch .LBB55_2085
.LBB55_3778:
	s_mov_b32 s0, -1
.LBB55_3779:
                                        ; implicit-def: $vgpr7
.LBB55_3780:
	s_and_b32 vcc_lo, exec_lo, s24
	s_cbranch_vccz .LBB55_3784
; %bb.3781:
	s_cmp_eq_u32 s57, 44
	s_cbranch_scc0 .LBB55_3783
; %bb.3782:
	global_load_u8 v7, v[36:37], off
	s_mov_b32 s0, 0
	s_mov_b32 s9, -1
	s_wait_loadcnt 0x0
	v_lshlrev_b32_e32 v9, 23, v7
	v_cmp_ne_u32_e32 vcc_lo, 0, v7
	s_delay_alu instid0(VALU_DEP_2) | instskip(NEXT) | instid1(VALU_DEP_1)
	v_cvt_i32_f32_e32 v9, v9
	v_cndmask_b32_e32 v7, 0, v9, vcc_lo
	s_branch .LBB55_3784
.LBB55_3783:
	s_mov_b32 s0, -1
                                        ; implicit-def: $vgpr7
.LBB55_3784:
	s_mov_b32 s24, 0
.LBB55_3785:
	s_delay_alu instid0(SALU_CYCLE_1)
	s_and_b32 vcc_lo, exec_lo, s24
	s_cbranch_vccz .LBB55_3789
; %bb.3786:
	s_cmp_eq_u32 s57, 29
	s_cbranch_scc0 .LBB55_3788
; %bb.3787:
	global_load_b32 v7, v[36:37], off
	s_mov_b32 s0, 0
	s_mov_b32 s9, -1
	s_branch .LBB55_3789
.LBB55_3788:
	s_mov_b32 s0, -1
                                        ; implicit-def: $vgpr7
.LBB55_3789:
	s_mov_b32 s24, 0
.LBB55_3790:
	s_delay_alu instid0(SALU_CYCLE_1)
	s_and_b32 vcc_lo, exec_lo, s24
	s_cbranch_vccz .LBB55_3806
; %bb.3791:
	s_cmp_lt_i32 s57, 27
	s_cbranch_scc1 .LBB55_3794
; %bb.3792:
	s_cmp_gt_i32 s57, 27
	s_cbranch_scc0 .LBB55_3795
; %bb.3793:
	s_wait_loadcnt 0x0
	global_load_b32 v7, v[36:37], off
	s_mov_b32 s9, 0
	s_branch .LBB55_3796
.LBB55_3794:
	s_mov_b32 s9, -1
                                        ; implicit-def: $vgpr7
	s_branch .LBB55_3799
.LBB55_3795:
	s_mov_b32 s9, -1
                                        ; implicit-def: $vgpr7
.LBB55_3796:
	s_delay_alu instid0(SALU_CYCLE_1)
	s_and_not1_b32 vcc_lo, exec_lo, s9
	s_cbranch_vccnz .LBB55_3798
; %bb.3797:
	s_wait_loadcnt 0x0
	global_load_u16 v7, v[36:37], off
.LBB55_3798:
	s_mov_b32 s9, 0
.LBB55_3799:
	s_delay_alu instid0(SALU_CYCLE_1)
	s_and_not1_b32 vcc_lo, exec_lo, s9
	s_cbranch_vccnz .LBB55_3805
; %bb.3800:
	global_load_u8 v9, v[36:37], off
	s_mov_b32 s24, 0
	s_mov_b32 s9, exec_lo
	s_wait_loadcnt 0x0
	v_cmpx_lt_i16_e32 0x7f, v9
	s_xor_b32 s9, exec_lo, s9
	s_cbranch_execz .LBB55_3817
; %bb.3801:
	v_cmp_ne_u16_e32 vcc_lo, 0x80, v9
	s_and_b32 s24, vcc_lo, exec_lo
	s_and_not1_saveexec_b32 s9, s9
	s_cbranch_execnz .LBB55_3818
.LBB55_3802:
	s_or_b32 exec_lo, exec_lo, s9
	v_mov_b32_e32 v7, 0
	s_and_saveexec_b32 s9, s24
	s_cbranch_execz .LBB55_3804
.LBB55_3803:
	v_and_b32_e32 v7, 0xffff, v9
	s_delay_alu instid0(VALU_DEP_1) | instskip(SKIP_1) | instid1(VALU_DEP_2)
	v_and_b32_e32 v11, 7, v7
	v_bfe_u32 v17, v7, 3, 4
	v_clz_i32_u32_e32 v13, v11
	s_delay_alu instid0(VALU_DEP_2) | instskip(NEXT) | instid1(VALU_DEP_2)
	v_cmp_eq_u32_e32 vcc_lo, 0, v17
	v_min_u32_e32 v13, 32, v13
	s_delay_alu instid0(VALU_DEP_1) | instskip(NEXT) | instid1(VALU_DEP_1)
	v_subrev_nc_u32_e32 v15, 28, v13
	v_dual_lshlrev_b32 v7, v15, v7 :: v_dual_sub_nc_u32 v13, 29, v13
	s_delay_alu instid0(VALU_DEP_1) | instskip(NEXT) | instid1(VALU_DEP_1)
	v_dual_lshlrev_b32 v9, 24, v9 :: v_dual_bitop2_b32 v7, 7, v7 bitop3:0x40
	v_dual_cndmask_b32 v7, v11, v7, vcc_lo :: v_dual_cndmask_b32 v13, v17, v13, vcc_lo
	s_delay_alu instid0(VALU_DEP_2) | instskip(NEXT) | instid1(VALU_DEP_2)
	v_and_b32_e32 v9, 0x80000000, v9
	v_lshlrev_b32_e32 v7, 20, v7
	s_delay_alu instid0(VALU_DEP_3) | instskip(NEXT) | instid1(VALU_DEP_1)
	v_lshl_add_u32 v11, v13, 23, 0x3b800000
	v_or3_b32 v7, v9, v11, v7
	s_delay_alu instid0(VALU_DEP_1)
	v_cvt_i32_f32_e32 v7, v7
.LBB55_3804:
	s_or_b32 exec_lo, exec_lo, s9
.LBB55_3805:
	s_mov_b32 s9, -1
.LBB55_3806:
	s_mov_b32 s24, 0
.LBB55_3807:
	s_delay_alu instid0(SALU_CYCLE_1)
	s_and_b32 vcc_lo, exec_lo, s24
	s_cbranch_vccz .LBB55_3838
; %bb.3808:
	s_cmp_gt_i32 s57, 22
	s_cbranch_scc0 .LBB55_3816
; %bb.3809:
	s_cmp_lt_i32 s57, 24
	s_cbranch_scc1 .LBB55_3819
; %bb.3810:
	s_cmp_gt_i32 s57, 24
	s_cbranch_scc0 .LBB55_3820
; %bb.3811:
	global_load_u8 v9, v[36:37], off
	s_mov_b32 s9, 0
	s_mov_b32 s1, exec_lo
	s_wait_loadcnt 0x0
	v_cmpx_lt_i16_e32 0x7f, v9
	s_xor_b32 s1, exec_lo, s1
	s_cbranch_execz .LBB55_3832
; %bb.3812:
	v_cmp_ne_u16_e32 vcc_lo, 0x80, v9
	s_and_b32 s9, vcc_lo, exec_lo
	s_and_not1_saveexec_b32 s1, s1
	s_cbranch_execnz .LBB55_3833
.LBB55_3813:
	s_or_b32 exec_lo, exec_lo, s1
	v_mov_b32_e32 v7, 0
	s_and_saveexec_b32 s1, s9
	s_cbranch_execz .LBB55_3815
.LBB55_3814:
	v_and_b32_e32 v7, 0xffff, v9
	s_delay_alu instid0(VALU_DEP_1) | instskip(SKIP_1) | instid1(VALU_DEP_2)
	v_and_b32_e32 v11, 3, v7
	v_bfe_u32 v17, v7, 2, 5
	v_clz_i32_u32_e32 v13, v11
	s_delay_alu instid0(VALU_DEP_2) | instskip(NEXT) | instid1(VALU_DEP_2)
	v_cmp_eq_u32_e32 vcc_lo, 0, v17
	v_min_u32_e32 v13, 32, v13
	s_delay_alu instid0(VALU_DEP_1) | instskip(NEXT) | instid1(VALU_DEP_1)
	v_subrev_nc_u32_e32 v15, 29, v13
	v_dual_lshlrev_b32 v7, v15, v7 :: v_dual_sub_nc_u32 v13, 30, v13
	s_delay_alu instid0(VALU_DEP_1) | instskip(NEXT) | instid1(VALU_DEP_1)
	v_dual_lshlrev_b32 v9, 24, v9 :: v_dual_bitop2_b32 v7, 3, v7 bitop3:0x40
	v_dual_cndmask_b32 v7, v11, v7, vcc_lo :: v_dual_cndmask_b32 v13, v17, v13, vcc_lo
	s_delay_alu instid0(VALU_DEP_2) | instskip(NEXT) | instid1(VALU_DEP_2)
	v_and_b32_e32 v9, 0x80000000, v9
	v_lshlrev_b32_e32 v7, 21, v7
	s_delay_alu instid0(VALU_DEP_3) | instskip(NEXT) | instid1(VALU_DEP_1)
	v_lshl_add_u32 v11, v13, 23, 0x37800000
	v_or3_b32 v7, v9, v11, v7
	s_delay_alu instid0(VALU_DEP_1)
	v_cvt_i32_f32_e32 v7, v7
.LBB55_3815:
	s_or_b32 exec_lo, exec_lo, s1
	s_mov_b32 s1, 0
	s_branch .LBB55_3821
.LBB55_3816:
	s_mov_b32 s1, -1
                                        ; implicit-def: $vgpr7
	s_branch .LBB55_3827
.LBB55_3817:
	s_and_not1_saveexec_b32 s9, s9
	s_cbranch_execz .LBB55_3802
.LBB55_3818:
	v_cmp_ne_u16_e32 vcc_lo, 0, v9
	s_and_not1_b32 s24, s24, exec_lo
	s_and_b32 s25, vcc_lo, exec_lo
	s_delay_alu instid0(SALU_CYCLE_1)
	s_or_b32 s24, s24, s25
	s_or_b32 exec_lo, exec_lo, s9
	v_mov_b32_e32 v7, 0
	s_and_saveexec_b32 s9, s24
	s_cbranch_execnz .LBB55_3803
	s_branch .LBB55_3804
.LBB55_3819:
	s_mov_b32 s1, -1
                                        ; implicit-def: $vgpr7
	s_branch .LBB55_3824
.LBB55_3820:
	s_mov_b32 s1, -1
                                        ; implicit-def: $vgpr7
.LBB55_3821:
	s_delay_alu instid0(SALU_CYCLE_1)
	s_and_b32 vcc_lo, exec_lo, s1
	s_cbranch_vccz .LBB55_3823
; %bb.3822:
	s_wait_loadcnt 0x0
	global_load_u8 v7, v[36:37], off
	s_wait_loadcnt 0x0
	v_lshlrev_b32_e32 v7, 24, v7
	s_delay_alu instid0(VALU_DEP_1) | instskip(NEXT) | instid1(VALU_DEP_1)
	v_and_b32_e32 v9, 0x7f000000, v7
	v_clz_i32_u32_e32 v11, v9
	v_add_nc_u32_e32 v15, 0x1000000, v9
	v_cmp_ne_u32_e32 vcc_lo, 0, v9
	s_delay_alu instid0(VALU_DEP_3) | instskip(NEXT) | instid1(VALU_DEP_1)
	v_min_u32_e32 v11, 32, v11
	v_sub_nc_u32_e64 v11, v11, 4 clamp
	s_delay_alu instid0(VALU_DEP_1) | instskip(NEXT) | instid1(VALU_DEP_1)
	v_dual_lshlrev_b32 v13, v11, v9 :: v_dual_lshlrev_b32 v11, 23, v11
	v_lshrrev_b32_e32 v13, 4, v13
	s_delay_alu instid0(VALU_DEP_1) | instskip(SKIP_1) | instid1(VALU_DEP_2)
	v_sub_nc_u32_e32 v11, v13, v11
	v_ashrrev_i32_e32 v13, 8, v15
	v_add_nc_u32_e32 v11, 0x3c000000, v11
	s_delay_alu instid0(VALU_DEP_1) | instskip(NEXT) | instid1(VALU_DEP_1)
	v_and_or_b32 v11, 0x7f800000, v13, v11
	v_cndmask_b32_e32 v9, 0, v11, vcc_lo
	s_delay_alu instid0(VALU_DEP_1) | instskip(NEXT) | instid1(VALU_DEP_1)
	v_and_or_b32 v7, 0x80000000, v7, v9
	v_cvt_i32_f32_e32 v7, v7
.LBB55_3823:
	s_mov_b32 s1, 0
.LBB55_3824:
	s_delay_alu instid0(SALU_CYCLE_1)
	s_and_not1_b32 vcc_lo, exec_lo, s1
	s_cbranch_vccnz .LBB55_3826
; %bb.3825:
	s_wait_loadcnt 0x0
	global_load_u8 v7, v[36:37], off
	s_wait_loadcnt 0x0
	v_lshlrev_b32_e32 v9, 25, v7
	v_lshlrev_b16 v7, 8, v7
	s_delay_alu instid0(VALU_DEP_1) | instskip(SKIP_1) | instid1(VALU_DEP_2)
	v_and_or_b32 v13, 0x7f00, v7, 0.5
	v_bfe_i32 v7, v7, 0, 16
	v_add_f32_e32 v13, -0.5, v13
	v_lshrrev_b32_e32 v11, 4, v9
	v_cmp_gt_u32_e32 vcc_lo, 0x8000000, v9
	s_delay_alu instid0(VALU_DEP_2) | instskip(NEXT) | instid1(VALU_DEP_1)
	v_or_b32_e32 v11, 0x70000000, v11
	v_mul_f32_e32 v11, 0x7800000, v11
	s_delay_alu instid0(VALU_DEP_1) | instskip(NEXT) | instid1(VALU_DEP_1)
	v_cndmask_b32_e32 v9, v11, v13, vcc_lo
	v_and_or_b32 v7, 0x80000000, v7, v9
	s_delay_alu instid0(VALU_DEP_1)
	v_cvt_i32_f32_e32 v7, v7
.LBB55_3826:
	s_mov_b32 s1, 0
	s_mov_b32 s9, -1
.LBB55_3827:
	s_and_not1_b32 vcc_lo, exec_lo, s1
	s_mov_b32 s1, 0
	s_cbranch_vccnz .LBB55_3838
; %bb.3828:
	s_cmp_gt_i32 s57, 14
	s_cbranch_scc0 .LBB55_3831
; %bb.3829:
	s_cmp_eq_u32 s57, 15
	s_cbranch_scc0 .LBB55_3834
; %bb.3830:
	s_wait_loadcnt 0x0
	global_load_u16 v7, v[36:37], off
	s_mov_b32 s0, 0
	s_mov_b32 s9, -1
	s_wait_loadcnt 0x0
	v_lshlrev_b32_e32 v7, 16, v7
	s_delay_alu instid0(VALU_DEP_1)
	v_cvt_i32_f32_e32 v7, v7
	s_branch .LBB55_3836
.LBB55_3831:
	s_mov_b32 s1, -1
	s_branch .LBB55_3835
.LBB55_3832:
	s_and_not1_saveexec_b32 s1, s1
	s_cbranch_execz .LBB55_3813
.LBB55_3833:
	v_cmp_ne_u16_e32 vcc_lo, 0, v9
	s_and_not1_b32 s9, s9, exec_lo
	s_and_b32 s24, vcc_lo, exec_lo
	s_delay_alu instid0(SALU_CYCLE_1)
	s_or_b32 s9, s9, s24
	s_or_b32 exec_lo, exec_lo, s1
	v_mov_b32_e32 v7, 0
	s_and_saveexec_b32 s1, s9
	s_cbranch_execnz .LBB55_3814
	s_branch .LBB55_3815
.LBB55_3834:
	s_mov_b32 s0, -1
.LBB55_3835:
                                        ; implicit-def: $vgpr7
.LBB55_3836:
	s_and_b32 vcc_lo, exec_lo, s1
	s_mov_b32 s1, 0
	s_cbranch_vccz .LBB55_3838
; %bb.3837:
	s_cmp_lg_u32 s57, 11
	s_mov_b32 s1, -1
	s_cselect_b32 s0, -1, 0
.LBB55_3838:
	s_delay_alu instid0(SALU_CYCLE_1)
	s_and_b32 vcc_lo, exec_lo, s0
	s_mov_b32 s46, s44
	s_cbranch_vccnz .LBB55_3903
; %bb.3839:
	s_and_not1_b32 vcc_lo, exec_lo, s1
	s_cbranch_vccnz .LBB55_3841
.LBB55_3840:
	s_wait_loadcnt 0x0
	global_load_u8 v7, v[36:37], off
	s_mov_b32 s9, -1
	s_wait_loadcnt 0x0
	v_cmp_ne_u16_e32 vcc_lo, 0, v7
	v_cndmask_b32_e64 v7, 0, 1, vcc_lo
.LBB55_3841:
	s_mov_b32 s0, 0
.LBB55_3842:
	s_delay_alu instid0(SALU_CYCLE_1)
	s_and_b32 vcc_lo, exec_lo, s0
	s_cbranch_vccz .LBB55_3891
; %bb.3843:
	s_cmp_lt_i32 s57, 5
	s_cbranch_scc1 .LBB55_3848
; %bb.3844:
	s_cmp_lt_i32 s57, 8
	s_cbranch_scc1 .LBB55_3849
	;; [unrolled: 3-line block ×3, first 2 shown]
; %bb.3846:
	s_cmp_gt_i32 s57, 9
	s_cbranch_scc0 .LBB55_3851
; %bb.3847:
	global_load_b64 v[38:39], v[36:37], off
	s_mov_b32 s0, 0
	s_wait_loadcnt 0x0
	v_cvt_i32_f64_e32 v7, v[38:39]
	s_branch .LBB55_3852
.LBB55_3848:
	s_mov_b32 s0, -1
                                        ; implicit-def: $vgpr7
	s_branch .LBB55_3870
.LBB55_3849:
	s_mov_b32 s0, -1
                                        ; implicit-def: $vgpr7
	s_branch .LBB55_3858
.LBB55_3850:
	s_mov_b32 s0, -1
                                        ; implicit-def: $vgpr7
	s_branch .LBB55_3855
.LBB55_3851:
	s_mov_b32 s0, -1
                                        ; implicit-def: $vgpr7
.LBB55_3852:
	s_delay_alu instid0(SALU_CYCLE_1)
	s_and_not1_b32 vcc_lo, exec_lo, s0
	s_cbranch_vccnz .LBB55_3854
; %bb.3853:
	s_wait_loadcnt 0x0
	global_load_b32 v7, v[36:37], off
	s_wait_loadcnt 0x0
	v_cvt_i32_f32_e32 v7, v7
.LBB55_3854:
	s_mov_b32 s0, 0
.LBB55_3855:
	s_delay_alu instid0(SALU_CYCLE_1)
	s_and_not1_b32 vcc_lo, exec_lo, s0
	s_cbranch_vccnz .LBB55_3857
; %bb.3856:
	s_wait_loadcnt 0x0
	global_load_b32 v7, v[36:37], off
	s_wait_loadcnt 0x0
	v_cvt_f32_f16_e32 v7, v7
	s_delay_alu instid0(VALU_DEP_1)
	v_cvt_i32_f32_e32 v7, v7
.LBB55_3857:
	s_mov_b32 s0, 0
.LBB55_3858:
	s_delay_alu instid0(SALU_CYCLE_1)
	s_and_not1_b32 vcc_lo, exec_lo, s0
	s_cbranch_vccnz .LBB55_3869
; %bb.3859:
	s_cmp_lt_i32 s57, 6
	s_cbranch_scc1 .LBB55_3862
; %bb.3860:
	s_cmp_gt_i32 s57, 6
	s_cbranch_scc0 .LBB55_3863
; %bb.3861:
	global_load_b64 v[38:39], v[36:37], off
	s_mov_b32 s0, 0
	s_wait_loadcnt 0x0
	v_cvt_i32_f64_e32 v7, v[38:39]
	s_branch .LBB55_3864
.LBB55_3862:
	s_mov_b32 s0, -1
                                        ; implicit-def: $vgpr7
	s_branch .LBB55_3867
.LBB55_3863:
	s_mov_b32 s0, -1
                                        ; implicit-def: $vgpr7
.LBB55_3864:
	s_delay_alu instid0(SALU_CYCLE_1)
	s_and_not1_b32 vcc_lo, exec_lo, s0
	s_cbranch_vccnz .LBB55_3866
; %bb.3865:
	s_wait_loadcnt 0x0
	global_load_b32 v7, v[36:37], off
	s_wait_loadcnt 0x0
	v_cvt_i32_f32_e32 v7, v7
.LBB55_3866:
	s_mov_b32 s0, 0
.LBB55_3867:
	s_delay_alu instid0(SALU_CYCLE_1)
	s_and_not1_b32 vcc_lo, exec_lo, s0
	s_cbranch_vccnz .LBB55_3869
; %bb.3868:
	s_wait_loadcnt 0x0
	global_load_u16 v7, v[36:37], off
	s_wait_loadcnt 0x0
	v_cvt_f32_f16_e32 v7, v7
	s_delay_alu instid0(VALU_DEP_1)
	v_cvt_i32_f32_e32 v7, v7
.LBB55_3869:
	s_mov_b32 s0, 0
.LBB55_3870:
	s_delay_alu instid0(SALU_CYCLE_1)
	s_and_not1_b32 vcc_lo, exec_lo, s0
	s_cbranch_vccnz .LBB55_3890
; %bb.3871:
	s_cmp_lt_i32 s57, 2
	s_cbranch_scc1 .LBB55_3875
; %bb.3872:
	s_cmp_lt_i32 s57, 3
	s_cbranch_scc1 .LBB55_3876
; %bb.3873:
	s_cmp_gt_i32 s57, 3
	s_cbranch_scc0 .LBB55_3877
; %bb.3874:
	s_wait_loadcnt 0x0
	global_load_b32 v7, v[36:37], off
	s_mov_b32 s0, 0
	s_branch .LBB55_3878
.LBB55_3875:
	s_mov_b32 s0, -1
                                        ; implicit-def: $vgpr7
	s_branch .LBB55_3884
.LBB55_3876:
	s_mov_b32 s0, -1
                                        ; implicit-def: $vgpr7
	s_branch .LBB55_3881
.LBB55_3877:
	s_mov_b32 s0, -1
                                        ; implicit-def: $vgpr7
.LBB55_3878:
	s_delay_alu instid0(SALU_CYCLE_1)
	s_and_not1_b32 vcc_lo, exec_lo, s0
	s_cbranch_vccnz .LBB55_3880
; %bb.3879:
	s_wait_loadcnt 0x0
	global_load_b32 v7, v[36:37], off
.LBB55_3880:
	s_mov_b32 s0, 0
.LBB55_3881:
	s_delay_alu instid0(SALU_CYCLE_1)
	s_and_not1_b32 vcc_lo, exec_lo, s0
	s_cbranch_vccnz .LBB55_3883
; %bb.3882:
	s_wait_loadcnt 0x0
	global_load_i16 v7, v[36:37], off
.LBB55_3883:
	s_mov_b32 s0, 0
.LBB55_3884:
	s_delay_alu instid0(SALU_CYCLE_1)
	s_and_not1_b32 vcc_lo, exec_lo, s0
	s_cbranch_vccnz .LBB55_3890
; %bb.3885:
	s_cmp_gt_i32 s57, 0
	s_mov_b32 s0, 0
	s_cbranch_scc0 .LBB55_3887
; %bb.3886:
	s_wait_loadcnt 0x0
	global_load_i8 v7, v[36:37], off
	s_branch .LBB55_3888
.LBB55_3887:
	s_mov_b32 s0, -1
                                        ; implicit-def: $vgpr7
.LBB55_3888:
	s_delay_alu instid0(SALU_CYCLE_1)
	s_and_not1_b32 vcc_lo, exec_lo, s0
	s_cbranch_vccnz .LBB55_3890
; %bb.3889:
	s_wait_loadcnt 0x0
	global_load_u8 v7, v[36:37], off
.LBB55_3890:
	s_mov_b32 s9, -1
.LBB55_3891:
	s_delay_alu instid0(SALU_CYCLE_1)
	s_and_not1_b32 vcc_lo, exec_lo, s9
	s_cbranch_vccnz .LBB55_4414
; %bb.3892:
	v_mov_b32_e32 v35, 0
	s_and_b32 s58, 0xffff, s37
	s_delay_alu instid0(SALU_CYCLE_1) | instskip(NEXT) | instid1(VALU_DEP_1)
	s_cmp_lt_i32 s58, 11
	v_add_nc_u64_e32 v[34:35], s[12:13], v[34:35]
	s_cbranch_scc1 .LBB55_3899
; %bb.3893:
	s_cmp_gt_i32 s58, 25
	s_mov_b32 s1, 0
	s_cbranch_scc0 .LBB55_3900
; %bb.3894:
	s_cmp_gt_i32 s58, 28
	s_cbranch_scc0 .LBB55_3901
; %bb.3895:
	s_cmp_gt_i32 s58, 43
	;; [unrolled: 3-line block ×3, first 2 shown]
	s_cbranch_scc0 .LBB55_3904
; %bb.3897:
	s_cmp_eq_u32 s58, 46
	s_mov_b32 s24, 0
	s_cbranch_scc0 .LBB55_3906
; %bb.3898:
	global_load_b32 v9, v[34:35], off
	s_mov_b32 s0, 0
	s_mov_b32 s9, -1
	s_wait_loadcnt 0x0
	v_lshlrev_b32_e32 v9, 16, v9
	s_delay_alu instid0(VALU_DEP_1)
	v_cvt_i32_f32_e32 v9, v9
	s_branch .LBB55_3908
.LBB55_3899:
	s_mov_b32 s0, -1
	s_mov_b32 s9, 0
                                        ; implicit-def: $vgpr9
	s_branch .LBB55_3970
.LBB55_3900:
	s_mov_b32 s24, -1
	s_mov_b32 s9, 0
	s_mov_b32 s0, 0
                                        ; implicit-def: $vgpr9
	s_branch .LBB55_3935
.LBB55_3901:
	s_mov_b32 s24, -1
	s_mov_b32 s9, 0
	s_mov_b32 s0, 0
                                        ; implicit-def: $vgpr9
	s_branch .LBB55_3918
.LBB55_3902:
	s_mov_b32 s24, -1
	s_mov_b32 s9, 0
	s_mov_b32 s0, 0
                                        ; implicit-def: $vgpr9
	s_branch .LBB55_3913
.LBB55_3903:
	s_or_b32 s46, s44, exec_lo
	s_trap 2
	s_cbranch_execz .LBB55_3840
	s_branch .LBB55_3841
.LBB55_3904:
	s_mov_b32 s24, -1
	s_mov_b32 s9, 0
	s_mov_b32 s0, 0
	s_branch .LBB55_3907
.LBB55_3905:
	s_or_b32 s33, s33, exec_lo
	s_trap 2
                                        ; implicit-def: $vgpr6
                                        ; implicit-def: $vgpr30
                                        ; implicit-def: $vgpr28
                                        ; implicit-def: $vgpr34
                                        ; implicit-def: $vgpr32
                                        ; implicit-def: $vgpr4
                                        ; implicit-def: $vgpr36
                                        ; implicit-def: $vgpr20
                                        ; implicit-def: $vgpr18
                                        ; implicit-def: $vgpr24
                                        ; implicit-def: $vgpr22
                                        ; implicit-def: $vgpr2
                                        ; implicit-def: $vgpr26
                                        ; implicit-def: $vgpr10
                                        ; implicit-def: $vgpr8
                                        ; implicit-def: $vgpr14
                                        ; implicit-def: $vgpr12
                                        ; implicit-def: $vgpr0
                                        ; implicit-def: $vgpr16
                                        ; implicit-def: $vgpr1
                                        ; implicit-def: $vgpr3
                                        ; implicit-def: $vgpr42
                                        ; implicit-def: $vgpr40
                                        ; implicit-def: $vgpr44
	s_branch .LBB55_3523
.LBB55_3906:
	s_mov_b32 s0, -1
	s_mov_b32 s9, 0
.LBB55_3907:
                                        ; implicit-def: $vgpr9
.LBB55_3908:
	s_and_b32 vcc_lo, exec_lo, s24
	s_cbranch_vccz .LBB55_3912
; %bb.3909:
	s_cmp_eq_u32 s58, 44
	s_cbranch_scc0 .LBB55_3911
; %bb.3910:
	global_load_u8 v9, v[34:35], off
	s_mov_b32 s0, 0
	s_mov_b32 s9, -1
	s_wait_loadcnt 0x0
	v_lshlrev_b32_e32 v11, 23, v9
	v_cmp_ne_u32_e32 vcc_lo, 0, v9
	s_delay_alu instid0(VALU_DEP_2) | instskip(NEXT) | instid1(VALU_DEP_1)
	v_cvt_i32_f32_e32 v11, v11
	v_cndmask_b32_e32 v9, 0, v11, vcc_lo
	s_branch .LBB55_3912
.LBB55_3911:
	s_mov_b32 s0, -1
                                        ; implicit-def: $vgpr9
.LBB55_3912:
	s_mov_b32 s24, 0
.LBB55_3913:
	s_delay_alu instid0(SALU_CYCLE_1)
	s_and_b32 vcc_lo, exec_lo, s24
	s_cbranch_vccz .LBB55_3917
; %bb.3914:
	s_cmp_eq_u32 s58, 29
	s_cbranch_scc0 .LBB55_3916
; %bb.3915:
	global_load_b32 v9, v[34:35], off
	s_mov_b32 s0, 0
	s_mov_b32 s9, -1
	s_branch .LBB55_3917
.LBB55_3916:
	s_mov_b32 s0, -1
                                        ; implicit-def: $vgpr9
.LBB55_3917:
	s_mov_b32 s24, 0
.LBB55_3918:
	s_delay_alu instid0(SALU_CYCLE_1)
	s_and_b32 vcc_lo, exec_lo, s24
	s_cbranch_vccz .LBB55_3934
; %bb.3919:
	s_cmp_lt_i32 s58, 27
	s_cbranch_scc1 .LBB55_3922
; %bb.3920:
	s_cmp_gt_i32 s58, 27
	s_cbranch_scc0 .LBB55_3923
; %bb.3921:
	s_wait_loadcnt 0x0
	global_load_b32 v9, v[34:35], off
	s_mov_b32 s9, 0
	s_branch .LBB55_3924
.LBB55_3922:
	s_mov_b32 s9, -1
                                        ; implicit-def: $vgpr9
	s_branch .LBB55_3927
.LBB55_3923:
	s_mov_b32 s9, -1
                                        ; implicit-def: $vgpr9
.LBB55_3924:
	s_delay_alu instid0(SALU_CYCLE_1)
	s_and_not1_b32 vcc_lo, exec_lo, s9
	s_cbranch_vccnz .LBB55_3926
; %bb.3925:
	s_wait_loadcnt 0x0
	global_load_u16 v9, v[34:35], off
.LBB55_3926:
	s_mov_b32 s9, 0
.LBB55_3927:
	s_delay_alu instid0(SALU_CYCLE_1)
	s_and_not1_b32 vcc_lo, exec_lo, s9
	s_cbranch_vccnz .LBB55_3933
; %bb.3928:
	global_load_u8 v11, v[34:35], off
	s_mov_b32 s24, 0
	s_mov_b32 s9, exec_lo
	s_wait_loadcnt 0x0
	v_cmpx_lt_i16_e32 0x7f, v11
	s_xor_b32 s9, exec_lo, s9
	s_cbranch_execz .LBB55_3945
; %bb.3929:
	v_cmp_ne_u16_e32 vcc_lo, 0x80, v11
	s_and_b32 s24, vcc_lo, exec_lo
	s_and_not1_saveexec_b32 s9, s9
	s_cbranch_execnz .LBB55_3946
.LBB55_3930:
	s_or_b32 exec_lo, exec_lo, s9
	v_mov_b32_e32 v9, 0
	s_and_saveexec_b32 s9, s24
	s_cbranch_execz .LBB55_3932
.LBB55_3931:
	v_and_b32_e32 v9, 0xffff, v11
	s_delay_alu instid0(VALU_DEP_1) | instskip(SKIP_1) | instid1(VALU_DEP_2)
	v_and_b32_e32 v13, 7, v9
	v_bfe_u32 v19, v9, 3, 4
	v_clz_i32_u32_e32 v15, v13
	s_delay_alu instid0(VALU_DEP_2) | instskip(NEXT) | instid1(VALU_DEP_2)
	v_cmp_eq_u32_e32 vcc_lo, 0, v19
	v_min_u32_e32 v15, 32, v15
	s_delay_alu instid0(VALU_DEP_1) | instskip(NEXT) | instid1(VALU_DEP_1)
	v_subrev_nc_u32_e32 v17, 28, v15
	v_dual_lshlrev_b32 v9, v17, v9 :: v_dual_sub_nc_u32 v15, 29, v15
	s_delay_alu instid0(VALU_DEP_1) | instskip(NEXT) | instid1(VALU_DEP_1)
	v_dual_lshlrev_b32 v11, 24, v11 :: v_dual_bitop2_b32 v9, 7, v9 bitop3:0x40
	v_dual_cndmask_b32 v9, v13, v9, vcc_lo :: v_dual_cndmask_b32 v15, v19, v15, vcc_lo
	s_delay_alu instid0(VALU_DEP_2) | instskip(NEXT) | instid1(VALU_DEP_2)
	v_and_b32_e32 v11, 0x80000000, v11
	v_lshlrev_b32_e32 v9, 20, v9
	s_delay_alu instid0(VALU_DEP_3) | instskip(NEXT) | instid1(VALU_DEP_1)
	v_lshl_add_u32 v13, v15, 23, 0x3b800000
	v_or3_b32 v9, v11, v13, v9
	s_delay_alu instid0(VALU_DEP_1)
	v_cvt_i32_f32_e32 v9, v9
.LBB55_3932:
	s_or_b32 exec_lo, exec_lo, s9
.LBB55_3933:
	s_mov_b32 s9, -1
.LBB55_3934:
	s_mov_b32 s24, 0
.LBB55_3935:
	s_delay_alu instid0(SALU_CYCLE_1)
	s_and_b32 vcc_lo, exec_lo, s24
	s_cbranch_vccz .LBB55_3966
; %bb.3936:
	s_cmp_gt_i32 s58, 22
	s_cbranch_scc0 .LBB55_3944
; %bb.3937:
	s_cmp_lt_i32 s58, 24
	s_cbranch_scc1 .LBB55_3947
; %bb.3938:
	s_cmp_gt_i32 s58, 24
	s_cbranch_scc0 .LBB55_3948
; %bb.3939:
	global_load_u8 v11, v[34:35], off
	s_mov_b32 s9, 0
	s_mov_b32 s1, exec_lo
	s_wait_loadcnt 0x0
	v_cmpx_lt_i16_e32 0x7f, v11
	s_xor_b32 s1, exec_lo, s1
	s_cbranch_execz .LBB55_3960
; %bb.3940:
	v_cmp_ne_u16_e32 vcc_lo, 0x80, v11
	s_and_b32 s9, vcc_lo, exec_lo
	s_and_not1_saveexec_b32 s1, s1
	s_cbranch_execnz .LBB55_3961
.LBB55_3941:
	s_or_b32 exec_lo, exec_lo, s1
	v_mov_b32_e32 v9, 0
	s_and_saveexec_b32 s1, s9
	s_cbranch_execz .LBB55_3943
.LBB55_3942:
	v_and_b32_e32 v9, 0xffff, v11
	s_delay_alu instid0(VALU_DEP_1) | instskip(SKIP_1) | instid1(VALU_DEP_2)
	v_and_b32_e32 v13, 3, v9
	v_bfe_u32 v19, v9, 2, 5
	v_clz_i32_u32_e32 v15, v13
	s_delay_alu instid0(VALU_DEP_2) | instskip(NEXT) | instid1(VALU_DEP_2)
	v_cmp_eq_u32_e32 vcc_lo, 0, v19
	v_min_u32_e32 v15, 32, v15
	s_delay_alu instid0(VALU_DEP_1) | instskip(NEXT) | instid1(VALU_DEP_1)
	v_subrev_nc_u32_e32 v17, 29, v15
	v_dual_lshlrev_b32 v9, v17, v9 :: v_dual_sub_nc_u32 v15, 30, v15
	s_delay_alu instid0(VALU_DEP_1) | instskip(NEXT) | instid1(VALU_DEP_1)
	v_dual_lshlrev_b32 v11, 24, v11 :: v_dual_bitop2_b32 v9, 3, v9 bitop3:0x40
	v_dual_cndmask_b32 v9, v13, v9, vcc_lo :: v_dual_cndmask_b32 v15, v19, v15, vcc_lo
	s_delay_alu instid0(VALU_DEP_2) | instskip(NEXT) | instid1(VALU_DEP_2)
	v_and_b32_e32 v11, 0x80000000, v11
	v_lshlrev_b32_e32 v9, 21, v9
	s_delay_alu instid0(VALU_DEP_3) | instskip(NEXT) | instid1(VALU_DEP_1)
	v_lshl_add_u32 v13, v15, 23, 0x37800000
	v_or3_b32 v9, v11, v13, v9
	s_delay_alu instid0(VALU_DEP_1)
	v_cvt_i32_f32_e32 v9, v9
.LBB55_3943:
	s_or_b32 exec_lo, exec_lo, s1
	s_mov_b32 s1, 0
	s_branch .LBB55_3949
.LBB55_3944:
	s_mov_b32 s1, -1
                                        ; implicit-def: $vgpr9
	s_branch .LBB55_3955
.LBB55_3945:
	s_and_not1_saveexec_b32 s9, s9
	s_cbranch_execz .LBB55_3930
.LBB55_3946:
	v_cmp_ne_u16_e32 vcc_lo, 0, v11
	s_and_not1_b32 s24, s24, exec_lo
	s_and_b32 s25, vcc_lo, exec_lo
	s_delay_alu instid0(SALU_CYCLE_1)
	s_or_b32 s24, s24, s25
	s_or_b32 exec_lo, exec_lo, s9
	v_mov_b32_e32 v9, 0
	s_and_saveexec_b32 s9, s24
	s_cbranch_execnz .LBB55_3931
	s_branch .LBB55_3932
.LBB55_3947:
	s_mov_b32 s1, -1
                                        ; implicit-def: $vgpr9
	s_branch .LBB55_3952
.LBB55_3948:
	s_mov_b32 s1, -1
                                        ; implicit-def: $vgpr9
.LBB55_3949:
	s_delay_alu instid0(SALU_CYCLE_1)
	s_and_b32 vcc_lo, exec_lo, s1
	s_cbranch_vccz .LBB55_3951
; %bb.3950:
	s_wait_loadcnt 0x0
	global_load_u8 v9, v[34:35], off
	s_wait_loadcnt 0x0
	v_lshlrev_b32_e32 v9, 24, v9
	s_delay_alu instid0(VALU_DEP_1) | instskip(NEXT) | instid1(VALU_DEP_1)
	v_and_b32_e32 v11, 0x7f000000, v9
	v_clz_i32_u32_e32 v13, v11
	v_add_nc_u32_e32 v17, 0x1000000, v11
	v_cmp_ne_u32_e32 vcc_lo, 0, v11
	s_delay_alu instid0(VALU_DEP_3) | instskip(NEXT) | instid1(VALU_DEP_1)
	v_min_u32_e32 v13, 32, v13
	v_sub_nc_u32_e64 v13, v13, 4 clamp
	s_delay_alu instid0(VALU_DEP_1) | instskip(NEXT) | instid1(VALU_DEP_1)
	v_dual_lshlrev_b32 v15, v13, v11 :: v_dual_lshlrev_b32 v13, 23, v13
	v_lshrrev_b32_e32 v15, 4, v15
	s_delay_alu instid0(VALU_DEP_1) | instskip(SKIP_1) | instid1(VALU_DEP_2)
	v_sub_nc_u32_e32 v13, v15, v13
	v_ashrrev_i32_e32 v15, 8, v17
	v_add_nc_u32_e32 v13, 0x3c000000, v13
	s_delay_alu instid0(VALU_DEP_1) | instskip(NEXT) | instid1(VALU_DEP_1)
	v_and_or_b32 v13, 0x7f800000, v15, v13
	v_cndmask_b32_e32 v11, 0, v13, vcc_lo
	s_delay_alu instid0(VALU_DEP_1) | instskip(NEXT) | instid1(VALU_DEP_1)
	v_and_or_b32 v9, 0x80000000, v9, v11
	v_cvt_i32_f32_e32 v9, v9
.LBB55_3951:
	s_mov_b32 s1, 0
.LBB55_3952:
	s_delay_alu instid0(SALU_CYCLE_1)
	s_and_not1_b32 vcc_lo, exec_lo, s1
	s_cbranch_vccnz .LBB55_3954
; %bb.3953:
	s_wait_loadcnt 0x0
	global_load_u8 v9, v[34:35], off
	s_wait_loadcnt 0x0
	v_lshlrev_b32_e32 v11, 25, v9
	v_lshlrev_b16 v9, 8, v9
	s_delay_alu instid0(VALU_DEP_1) | instskip(SKIP_1) | instid1(VALU_DEP_2)
	v_and_or_b32 v15, 0x7f00, v9, 0.5
	v_bfe_i32 v9, v9, 0, 16
	v_add_f32_e32 v15, -0.5, v15
	v_lshrrev_b32_e32 v13, 4, v11
	v_cmp_gt_u32_e32 vcc_lo, 0x8000000, v11
	s_delay_alu instid0(VALU_DEP_2) | instskip(NEXT) | instid1(VALU_DEP_1)
	v_or_b32_e32 v13, 0x70000000, v13
	v_mul_f32_e32 v13, 0x7800000, v13
	s_delay_alu instid0(VALU_DEP_1) | instskip(NEXT) | instid1(VALU_DEP_1)
	v_cndmask_b32_e32 v11, v13, v15, vcc_lo
	v_and_or_b32 v9, 0x80000000, v9, v11
	s_delay_alu instid0(VALU_DEP_1)
	v_cvt_i32_f32_e32 v9, v9
.LBB55_3954:
	s_mov_b32 s1, 0
	s_mov_b32 s9, -1
.LBB55_3955:
	s_and_not1_b32 vcc_lo, exec_lo, s1
	s_mov_b32 s1, 0
	s_cbranch_vccnz .LBB55_3966
; %bb.3956:
	s_cmp_gt_i32 s58, 14
	s_cbranch_scc0 .LBB55_3959
; %bb.3957:
	s_cmp_eq_u32 s58, 15
	s_cbranch_scc0 .LBB55_3962
; %bb.3958:
	s_wait_loadcnt 0x0
	global_load_u16 v9, v[34:35], off
	s_mov_b32 s0, 0
	s_mov_b32 s9, -1
	s_wait_loadcnt 0x0
	v_lshlrev_b32_e32 v9, 16, v9
	s_delay_alu instid0(VALU_DEP_1)
	v_cvt_i32_f32_e32 v9, v9
	s_branch .LBB55_3964
.LBB55_3959:
	s_mov_b32 s1, -1
	s_branch .LBB55_3963
.LBB55_3960:
	s_and_not1_saveexec_b32 s1, s1
	s_cbranch_execz .LBB55_3941
.LBB55_3961:
	v_cmp_ne_u16_e32 vcc_lo, 0, v11
	s_and_not1_b32 s9, s9, exec_lo
	s_and_b32 s24, vcc_lo, exec_lo
	s_delay_alu instid0(SALU_CYCLE_1)
	s_or_b32 s9, s9, s24
	s_or_b32 exec_lo, exec_lo, s1
	v_mov_b32_e32 v9, 0
	s_and_saveexec_b32 s1, s9
	s_cbranch_execnz .LBB55_3942
	s_branch .LBB55_3943
.LBB55_3962:
	s_mov_b32 s0, -1
.LBB55_3963:
                                        ; implicit-def: $vgpr9
.LBB55_3964:
	s_and_b32 vcc_lo, exec_lo, s1
	s_mov_b32 s1, 0
	s_cbranch_vccz .LBB55_3966
; %bb.3965:
	s_cmp_lg_u32 s58, 11
	s_mov_b32 s1, -1
	s_cselect_b32 s0, -1, 0
.LBB55_3966:
	s_delay_alu instid0(SALU_CYCLE_1)
	s_and_b32 vcc_lo, exec_lo, s0
	s_cbranch_vccnz .LBB55_4031
; %bb.3967:
	s_and_not1_b32 vcc_lo, exec_lo, s1
	s_cbranch_vccnz .LBB55_3969
.LBB55_3968:
	s_wait_loadcnt 0x0
	global_load_u8 v9, v[34:35], off
	s_mov_b32 s9, -1
	s_wait_loadcnt 0x0
	v_cmp_ne_u16_e32 vcc_lo, 0, v9
	v_cndmask_b32_e64 v9, 0, 1, vcc_lo
.LBB55_3969:
	s_mov_b32 s0, 0
.LBB55_3970:
	s_delay_alu instid0(SALU_CYCLE_1)
	s_and_b32 vcc_lo, exec_lo, s0
	s_cbranch_vccz .LBB55_4019
; %bb.3971:
	s_cmp_lt_i32 s58, 5
	s_cbranch_scc1 .LBB55_3976
; %bb.3972:
	s_cmp_lt_i32 s58, 8
	s_cbranch_scc1 .LBB55_3977
	;; [unrolled: 3-line block ×3, first 2 shown]
; %bb.3974:
	s_cmp_gt_i32 s58, 9
	s_cbranch_scc0 .LBB55_3979
; %bb.3975:
	global_load_b64 v[36:37], v[34:35], off
	s_mov_b32 s0, 0
	s_wait_loadcnt 0x0
	v_cvt_i32_f64_e32 v9, v[36:37]
	s_branch .LBB55_3980
.LBB55_3976:
	s_mov_b32 s0, -1
                                        ; implicit-def: $vgpr9
	s_branch .LBB55_3998
.LBB55_3977:
	s_mov_b32 s0, -1
                                        ; implicit-def: $vgpr9
	s_branch .LBB55_3986
.LBB55_3978:
	s_mov_b32 s0, -1
                                        ; implicit-def: $vgpr9
	s_branch .LBB55_3983
.LBB55_3979:
	s_mov_b32 s0, -1
                                        ; implicit-def: $vgpr9
.LBB55_3980:
	s_delay_alu instid0(SALU_CYCLE_1)
	s_and_not1_b32 vcc_lo, exec_lo, s0
	s_cbranch_vccnz .LBB55_3982
; %bb.3981:
	s_wait_loadcnt 0x0
	global_load_b32 v9, v[34:35], off
	s_wait_loadcnt 0x0
	v_cvt_i32_f32_e32 v9, v9
.LBB55_3982:
	s_mov_b32 s0, 0
.LBB55_3983:
	s_delay_alu instid0(SALU_CYCLE_1)
	s_and_not1_b32 vcc_lo, exec_lo, s0
	s_cbranch_vccnz .LBB55_3985
; %bb.3984:
	s_wait_loadcnt 0x0
	global_load_b32 v9, v[34:35], off
	s_wait_loadcnt 0x0
	v_cvt_f32_f16_e32 v9, v9
	s_delay_alu instid0(VALU_DEP_1)
	v_cvt_i32_f32_e32 v9, v9
.LBB55_3985:
	s_mov_b32 s0, 0
.LBB55_3986:
	s_delay_alu instid0(SALU_CYCLE_1)
	s_and_not1_b32 vcc_lo, exec_lo, s0
	s_cbranch_vccnz .LBB55_3997
; %bb.3987:
	s_cmp_lt_i32 s58, 6
	s_cbranch_scc1 .LBB55_3990
; %bb.3988:
	s_cmp_gt_i32 s58, 6
	s_cbranch_scc0 .LBB55_3991
; %bb.3989:
	global_load_b64 v[36:37], v[34:35], off
	s_mov_b32 s0, 0
	s_wait_loadcnt 0x0
	v_cvt_i32_f64_e32 v9, v[36:37]
	s_branch .LBB55_3992
.LBB55_3990:
	s_mov_b32 s0, -1
                                        ; implicit-def: $vgpr9
	s_branch .LBB55_3995
.LBB55_3991:
	s_mov_b32 s0, -1
                                        ; implicit-def: $vgpr9
.LBB55_3992:
	s_delay_alu instid0(SALU_CYCLE_1)
	s_and_not1_b32 vcc_lo, exec_lo, s0
	s_cbranch_vccnz .LBB55_3994
; %bb.3993:
	s_wait_loadcnt 0x0
	global_load_b32 v9, v[34:35], off
	s_wait_loadcnt 0x0
	v_cvt_i32_f32_e32 v9, v9
.LBB55_3994:
	s_mov_b32 s0, 0
.LBB55_3995:
	s_delay_alu instid0(SALU_CYCLE_1)
	s_and_not1_b32 vcc_lo, exec_lo, s0
	s_cbranch_vccnz .LBB55_3997
; %bb.3996:
	s_wait_loadcnt 0x0
	global_load_u16 v9, v[34:35], off
	s_wait_loadcnt 0x0
	v_cvt_f32_f16_e32 v9, v9
	s_delay_alu instid0(VALU_DEP_1)
	v_cvt_i32_f32_e32 v9, v9
.LBB55_3997:
	s_mov_b32 s0, 0
.LBB55_3998:
	s_delay_alu instid0(SALU_CYCLE_1)
	s_and_not1_b32 vcc_lo, exec_lo, s0
	s_cbranch_vccnz .LBB55_4018
; %bb.3999:
	s_cmp_lt_i32 s58, 2
	s_cbranch_scc1 .LBB55_4003
; %bb.4000:
	s_cmp_lt_i32 s58, 3
	s_cbranch_scc1 .LBB55_4004
; %bb.4001:
	s_cmp_gt_i32 s58, 3
	s_cbranch_scc0 .LBB55_4005
; %bb.4002:
	s_wait_loadcnt 0x0
	global_load_b32 v9, v[34:35], off
	s_mov_b32 s0, 0
	s_branch .LBB55_4006
.LBB55_4003:
	s_mov_b32 s0, -1
                                        ; implicit-def: $vgpr9
	s_branch .LBB55_4012
.LBB55_4004:
	s_mov_b32 s0, -1
                                        ; implicit-def: $vgpr9
	s_branch .LBB55_4009
.LBB55_4005:
	s_mov_b32 s0, -1
                                        ; implicit-def: $vgpr9
.LBB55_4006:
	s_delay_alu instid0(SALU_CYCLE_1)
	s_and_not1_b32 vcc_lo, exec_lo, s0
	s_cbranch_vccnz .LBB55_4008
; %bb.4007:
	s_wait_loadcnt 0x0
	global_load_b32 v9, v[34:35], off
.LBB55_4008:
	s_mov_b32 s0, 0
.LBB55_4009:
	s_delay_alu instid0(SALU_CYCLE_1)
	s_and_not1_b32 vcc_lo, exec_lo, s0
	s_cbranch_vccnz .LBB55_4011
; %bb.4010:
	s_wait_loadcnt 0x0
	global_load_i16 v9, v[34:35], off
.LBB55_4011:
	s_mov_b32 s0, 0
.LBB55_4012:
	s_delay_alu instid0(SALU_CYCLE_1)
	s_and_not1_b32 vcc_lo, exec_lo, s0
	s_cbranch_vccnz .LBB55_4018
; %bb.4013:
	s_cmp_gt_i32 s58, 0
	s_mov_b32 s0, 0
	s_cbranch_scc0 .LBB55_4015
; %bb.4014:
	s_wait_loadcnt 0x0
	global_load_i8 v9, v[34:35], off
	s_branch .LBB55_4016
.LBB55_4015:
	s_mov_b32 s0, -1
                                        ; implicit-def: $vgpr9
.LBB55_4016:
	s_delay_alu instid0(SALU_CYCLE_1)
	s_and_not1_b32 vcc_lo, exec_lo, s0
	s_cbranch_vccnz .LBB55_4018
; %bb.4017:
	s_wait_loadcnt 0x0
	global_load_u8 v9, v[34:35], off
.LBB55_4018:
	s_mov_b32 s9, -1
.LBB55_4019:
	s_delay_alu instid0(SALU_CYCLE_1)
	s_and_not1_b32 vcc_lo, exec_lo, s9
	s_cbranch_vccnz .LBB55_4414
; %bb.4020:
	v_mov_b32_e32 v33, 0
	s_and_b32 s59, 0xffff, s49
	s_delay_alu instid0(SALU_CYCLE_1) | instskip(SKIP_1) | instid1(VALU_DEP_1)
	s_cmp_lt_i32 s59, 11
	s_wait_xcnt 0x0
	v_add_nc_u64_e32 v[34:35], s[14:15], v[32:33]
	s_cbranch_scc1 .LBB55_4027
; %bb.4021:
	s_cmp_gt_i32 s59, 25
	s_mov_b32 s1, 0
	s_cbranch_scc0 .LBB55_4028
; %bb.4022:
	s_cmp_gt_i32 s59, 28
	s_cbranch_scc0 .LBB55_4029
; %bb.4023:
	s_cmp_gt_i32 s59, 43
	;; [unrolled: 3-line block ×3, first 2 shown]
	s_cbranch_scc0 .LBB55_4032
; %bb.4025:
	s_cmp_eq_u32 s59, 46
	s_mov_b32 s24, 0
	s_cbranch_scc0 .LBB55_4035
; %bb.4026:
	global_load_b32 v11, v[34:35], off
	s_mov_b32 s0, 0
	s_mov_b32 s9, -1
	s_wait_loadcnt 0x0
	v_lshlrev_b32_e32 v11, 16, v11
	s_delay_alu instid0(VALU_DEP_1)
	v_cvt_i32_f32_e32 v32, v11
	s_branch .LBB55_4037
.LBB55_4027:
	s_mov_b32 s0, -1
	s_mov_b32 s9, 0
                                        ; implicit-def: $vgpr32
	s_branch .LBB55_4099
.LBB55_4028:
	s_mov_b32 s24, -1
	s_mov_b32 s9, 0
	s_mov_b32 s0, 0
                                        ; implicit-def: $vgpr32
	s_branch .LBB55_4064
.LBB55_4029:
	s_mov_b32 s24, -1
	s_mov_b32 s9, 0
	s_mov_b32 s0, 0
                                        ; implicit-def: $vgpr32
	s_branch .LBB55_4047
.LBB55_4030:
	s_mov_b32 s24, -1
	s_mov_b32 s9, 0
	s_mov_b32 s0, 0
                                        ; implicit-def: $vgpr32
	s_branch .LBB55_4042
.LBB55_4031:
	s_or_b32 s46, s46, exec_lo
	s_trap 2
	s_cbranch_execz .LBB55_3968
	s_branch .LBB55_3969
.LBB55_4032:
	s_mov_b32 s24, -1
	s_mov_b32 s9, 0
	s_mov_b32 s0, 0
	s_branch .LBB55_4036
.LBB55_4033:
	s_or_b32 exec_lo, exec_lo, s45
	s_branch .LBB55_650
.LBB55_4034:
	s_or_b32 s41, s33, exec_lo
	s_trap 2
                                        ; implicit-def: $vgpr6
                                        ; implicit-def: $vgpr30
                                        ; implicit-def: $vgpr28
                                        ; implicit-def: $vgpr34
                                        ; implicit-def: $vgpr32
                                        ; implicit-def: $vgpr4
                                        ; implicit-def: $vgpr36
                                        ; implicit-def: $vgpr20
                                        ; implicit-def: $vgpr18
                                        ; implicit-def: $vgpr24
                                        ; implicit-def: $vgpr22
                                        ; implicit-def: $vgpr2
                                        ; implicit-def: $vgpr26
                                        ; implicit-def: $vgpr10
                                        ; implicit-def: $vgpr8
                                        ; implicit-def: $vgpr14
                                        ; implicit-def: $vgpr12
                                        ; implicit-def: $vgpr0
                                        ; implicit-def: $vgpr16
                                        ; implicit-def: $vgpr1
                                        ; implicit-def: $vgpr3
                                        ; implicit-def: $vgpr42
                                        ; implicit-def: $vgpr40
                                        ; implicit-def: $vgpr44
	s_or_saveexec_b32 s42, s0
	s_mov_b32 s1, 0
                                        ; implicit-def: $vgpr38_vgpr39
                                        ; implicit-def: $sgpr0
	s_xor_b32 exec_lo, exec_lo, s42
	s_cbranch_execz .LBB55_4418
	s_branch .LBB55_3526
.LBB55_4035:
	s_mov_b32 s0, -1
	s_mov_b32 s9, 0
.LBB55_4036:
                                        ; implicit-def: $vgpr32
.LBB55_4037:
	s_and_b32 vcc_lo, exec_lo, s24
	s_cbranch_vccz .LBB55_4041
; %bb.4038:
	s_cmp_eq_u32 s59, 44
	s_cbranch_scc0 .LBB55_4040
; %bb.4039:
	global_load_u8 v11, v[34:35], off
	s_mov_b32 s0, 0
	s_mov_b32 s9, -1
	s_wait_loadcnt 0x0
	v_lshlrev_b32_e32 v13, 23, v11
	v_cmp_ne_u32_e32 vcc_lo, 0, v11
	s_delay_alu instid0(VALU_DEP_2) | instskip(NEXT) | instid1(VALU_DEP_1)
	v_cvt_i32_f32_e32 v13, v13
	v_cndmask_b32_e32 v32, 0, v13, vcc_lo
	s_branch .LBB55_4041
.LBB55_4040:
	s_mov_b32 s0, -1
                                        ; implicit-def: $vgpr32
.LBB55_4041:
	s_mov_b32 s24, 0
.LBB55_4042:
	s_delay_alu instid0(SALU_CYCLE_1)
	s_and_b32 vcc_lo, exec_lo, s24
	s_cbranch_vccz .LBB55_4046
; %bb.4043:
	s_cmp_eq_u32 s59, 29
	s_cbranch_scc0 .LBB55_4045
; %bb.4044:
	global_load_b32 v32, v[34:35], off
	s_mov_b32 s0, 0
	s_mov_b32 s9, -1
	s_branch .LBB55_4046
.LBB55_4045:
	s_mov_b32 s0, -1
                                        ; implicit-def: $vgpr32
.LBB55_4046:
	s_mov_b32 s24, 0
.LBB55_4047:
	s_delay_alu instid0(SALU_CYCLE_1)
	s_and_b32 vcc_lo, exec_lo, s24
	s_cbranch_vccz .LBB55_4063
; %bb.4048:
	s_cmp_lt_i32 s59, 27
	s_cbranch_scc1 .LBB55_4051
; %bb.4049:
	s_cmp_gt_i32 s59, 27
	s_cbranch_scc0 .LBB55_4052
; %bb.4050:
	s_wait_loadcnt 0x0
	global_load_b32 v32, v[34:35], off
	s_mov_b32 s9, 0
	s_branch .LBB55_4053
.LBB55_4051:
	s_mov_b32 s9, -1
                                        ; implicit-def: $vgpr32
	s_branch .LBB55_4056
.LBB55_4052:
	s_mov_b32 s9, -1
                                        ; implicit-def: $vgpr32
.LBB55_4053:
	s_delay_alu instid0(SALU_CYCLE_1)
	s_and_not1_b32 vcc_lo, exec_lo, s9
	s_cbranch_vccnz .LBB55_4055
; %bb.4054:
	s_wait_loadcnt 0x0
	global_load_u16 v32, v[34:35], off
.LBB55_4055:
	s_mov_b32 s9, 0
.LBB55_4056:
	s_delay_alu instid0(SALU_CYCLE_1)
	s_and_not1_b32 vcc_lo, exec_lo, s9
	s_cbranch_vccnz .LBB55_4062
; %bb.4057:
	global_load_u8 v11, v[34:35], off
	s_mov_b32 s24, 0
	s_mov_b32 s9, exec_lo
	s_wait_loadcnt 0x0
	v_cmpx_lt_i16_e32 0x7f, v11
	s_xor_b32 s9, exec_lo, s9
	s_cbranch_execz .LBB55_4074
; %bb.4058:
	v_cmp_ne_u16_e32 vcc_lo, 0x80, v11
	s_and_b32 s24, vcc_lo, exec_lo
	s_and_not1_saveexec_b32 s9, s9
	s_cbranch_execnz .LBB55_4075
.LBB55_4059:
	s_or_b32 exec_lo, exec_lo, s9
	v_mov_b32_e32 v32, 0
	s_and_saveexec_b32 s9, s24
	s_cbranch_execz .LBB55_4061
.LBB55_4060:
	v_and_b32_e32 v13, 0xffff, v11
	s_delay_alu instid0(VALU_DEP_1) | instskip(SKIP_1) | instid1(VALU_DEP_2)
	v_dual_lshlrev_b32 v11, 24, v11 :: v_dual_bitop2_b32 v15, 7, v13 bitop3:0x40
	v_bfe_u32 v21, v13, 3, 4
	v_and_b32_e32 v11, 0x80000000, v11
	s_delay_alu instid0(VALU_DEP_3) | instskip(NEXT) | instid1(VALU_DEP_3)
	v_clz_i32_u32_e32 v17, v15
	v_cmp_eq_u32_e32 vcc_lo, 0, v21
	s_delay_alu instid0(VALU_DEP_2) | instskip(NEXT) | instid1(VALU_DEP_1)
	v_min_u32_e32 v17, 32, v17
	v_subrev_nc_u32_e32 v19, 28, v17
	v_sub_nc_u32_e32 v17, 29, v17
	s_delay_alu instid0(VALU_DEP_2) | instskip(NEXT) | instid1(VALU_DEP_2)
	v_lshlrev_b32_e32 v13, v19, v13
	v_cndmask_b32_e32 v17, v21, v17, vcc_lo
	s_delay_alu instid0(VALU_DEP_2) | instskip(NEXT) | instid1(VALU_DEP_1)
	v_and_b32_e32 v13, 7, v13
	v_cndmask_b32_e32 v13, v15, v13, vcc_lo
	s_delay_alu instid0(VALU_DEP_3) | instskip(NEXT) | instid1(VALU_DEP_2)
	v_lshl_add_u32 v15, v17, 23, 0x3b800000
	v_lshlrev_b32_e32 v13, 20, v13
	s_delay_alu instid0(VALU_DEP_1) | instskip(NEXT) | instid1(VALU_DEP_1)
	v_or3_b32 v11, v11, v15, v13
	v_cvt_i32_f32_e32 v32, v11
.LBB55_4061:
	s_or_b32 exec_lo, exec_lo, s9
.LBB55_4062:
	s_mov_b32 s9, -1
.LBB55_4063:
	s_mov_b32 s24, 0
.LBB55_4064:
	s_delay_alu instid0(SALU_CYCLE_1)
	s_and_b32 vcc_lo, exec_lo, s24
	s_cbranch_vccz .LBB55_4095
; %bb.4065:
	s_cmp_gt_i32 s59, 22
	s_cbranch_scc0 .LBB55_4073
; %bb.4066:
	s_cmp_lt_i32 s59, 24
	s_cbranch_scc1 .LBB55_4076
; %bb.4067:
	s_cmp_gt_i32 s59, 24
	s_cbranch_scc0 .LBB55_4077
; %bb.4068:
	global_load_u8 v11, v[34:35], off
	s_mov_b32 s9, 0
	s_mov_b32 s1, exec_lo
	s_wait_loadcnt 0x0
	v_cmpx_lt_i16_e32 0x7f, v11
	s_xor_b32 s1, exec_lo, s1
	s_cbranch_execz .LBB55_4089
; %bb.4069:
	v_cmp_ne_u16_e32 vcc_lo, 0x80, v11
	s_and_b32 s9, vcc_lo, exec_lo
	s_and_not1_saveexec_b32 s1, s1
	s_cbranch_execnz .LBB55_4090
.LBB55_4070:
	s_or_b32 exec_lo, exec_lo, s1
	v_mov_b32_e32 v32, 0
	s_and_saveexec_b32 s1, s9
	s_cbranch_execz .LBB55_4072
.LBB55_4071:
	v_and_b32_e32 v13, 0xffff, v11
	s_delay_alu instid0(VALU_DEP_1) | instskip(SKIP_1) | instid1(VALU_DEP_2)
	v_dual_lshlrev_b32 v11, 24, v11 :: v_dual_bitop2_b32 v15, 3, v13 bitop3:0x40
	v_bfe_u32 v21, v13, 2, 5
	v_and_b32_e32 v11, 0x80000000, v11
	s_delay_alu instid0(VALU_DEP_3) | instskip(NEXT) | instid1(VALU_DEP_3)
	v_clz_i32_u32_e32 v17, v15
	v_cmp_eq_u32_e32 vcc_lo, 0, v21
	s_delay_alu instid0(VALU_DEP_2) | instskip(NEXT) | instid1(VALU_DEP_1)
	v_min_u32_e32 v17, 32, v17
	v_subrev_nc_u32_e32 v19, 29, v17
	v_sub_nc_u32_e32 v17, 30, v17
	s_delay_alu instid0(VALU_DEP_2) | instskip(NEXT) | instid1(VALU_DEP_2)
	v_lshlrev_b32_e32 v13, v19, v13
	v_cndmask_b32_e32 v17, v21, v17, vcc_lo
	s_delay_alu instid0(VALU_DEP_2) | instskip(NEXT) | instid1(VALU_DEP_1)
	v_and_b32_e32 v13, 3, v13
	v_cndmask_b32_e32 v13, v15, v13, vcc_lo
	s_delay_alu instid0(VALU_DEP_3) | instskip(NEXT) | instid1(VALU_DEP_2)
	v_lshl_add_u32 v15, v17, 23, 0x37800000
	v_lshlrev_b32_e32 v13, 21, v13
	s_delay_alu instid0(VALU_DEP_1) | instskip(NEXT) | instid1(VALU_DEP_1)
	v_or3_b32 v11, v11, v15, v13
	v_cvt_i32_f32_e32 v32, v11
.LBB55_4072:
	s_or_b32 exec_lo, exec_lo, s1
	s_mov_b32 s1, 0
	s_branch .LBB55_4078
.LBB55_4073:
	s_mov_b32 s1, -1
                                        ; implicit-def: $vgpr32
	s_branch .LBB55_4084
.LBB55_4074:
	s_and_not1_saveexec_b32 s9, s9
	s_cbranch_execz .LBB55_4059
.LBB55_4075:
	v_cmp_ne_u16_e32 vcc_lo, 0, v11
	s_and_not1_b32 s24, s24, exec_lo
	s_and_b32 s25, vcc_lo, exec_lo
	s_delay_alu instid0(SALU_CYCLE_1)
	s_or_b32 s24, s24, s25
	s_or_b32 exec_lo, exec_lo, s9
	v_mov_b32_e32 v32, 0
	s_and_saveexec_b32 s9, s24
	s_cbranch_execnz .LBB55_4060
	s_branch .LBB55_4061
.LBB55_4076:
	s_mov_b32 s1, -1
                                        ; implicit-def: $vgpr32
	s_branch .LBB55_4081
.LBB55_4077:
	s_mov_b32 s1, -1
                                        ; implicit-def: $vgpr32
.LBB55_4078:
	s_delay_alu instid0(SALU_CYCLE_1)
	s_and_b32 vcc_lo, exec_lo, s1
	s_cbranch_vccz .LBB55_4080
; %bb.4079:
	global_load_u8 v11, v[34:35], off
	s_wait_loadcnt 0x0
	v_lshlrev_b32_e32 v11, 24, v11
	s_delay_alu instid0(VALU_DEP_1) | instskip(NEXT) | instid1(VALU_DEP_1)
	v_and_b32_e32 v13, 0x7f000000, v11
	v_clz_i32_u32_e32 v15, v13
	v_add_nc_u32_e32 v19, 0x1000000, v13
	v_cmp_ne_u32_e32 vcc_lo, 0, v13
	s_delay_alu instid0(VALU_DEP_3) | instskip(NEXT) | instid1(VALU_DEP_1)
	v_min_u32_e32 v15, 32, v15
	v_sub_nc_u32_e64 v15, v15, 4 clamp
	s_delay_alu instid0(VALU_DEP_1) | instskip(NEXT) | instid1(VALU_DEP_1)
	v_dual_lshlrev_b32 v17, v15, v13 :: v_dual_lshlrev_b32 v15, 23, v15
	v_lshrrev_b32_e32 v17, 4, v17
	s_delay_alu instid0(VALU_DEP_1) | instskip(SKIP_1) | instid1(VALU_DEP_2)
	v_sub_nc_u32_e32 v15, v17, v15
	v_ashrrev_i32_e32 v17, 8, v19
	v_add_nc_u32_e32 v15, 0x3c000000, v15
	s_delay_alu instid0(VALU_DEP_1) | instskip(NEXT) | instid1(VALU_DEP_1)
	v_and_or_b32 v15, 0x7f800000, v17, v15
	v_cndmask_b32_e32 v13, 0, v15, vcc_lo
	s_delay_alu instid0(VALU_DEP_1) | instskip(NEXT) | instid1(VALU_DEP_1)
	v_and_or_b32 v11, 0x80000000, v11, v13
	v_cvt_i32_f32_e32 v32, v11
.LBB55_4080:
	s_mov_b32 s1, 0
.LBB55_4081:
	s_delay_alu instid0(SALU_CYCLE_1)
	s_and_not1_b32 vcc_lo, exec_lo, s1
	s_cbranch_vccnz .LBB55_4083
; %bb.4082:
	global_load_u8 v11, v[34:35], off
	s_wait_loadcnt 0x0
	v_lshlrev_b32_e32 v13, 25, v11
	v_lshlrev_b16 v11, 8, v11
	s_delay_alu instid0(VALU_DEP_1) | instskip(SKIP_1) | instid1(VALU_DEP_2)
	v_and_or_b32 v17, 0x7f00, v11, 0.5
	v_bfe_i32 v11, v11, 0, 16
	v_add_f32_e32 v17, -0.5, v17
	v_lshrrev_b32_e32 v15, 4, v13
	v_cmp_gt_u32_e32 vcc_lo, 0x8000000, v13
	s_delay_alu instid0(VALU_DEP_2) | instskip(NEXT) | instid1(VALU_DEP_1)
	v_or_b32_e32 v15, 0x70000000, v15
	v_mul_f32_e32 v15, 0x7800000, v15
	s_delay_alu instid0(VALU_DEP_1) | instskip(NEXT) | instid1(VALU_DEP_1)
	v_cndmask_b32_e32 v13, v15, v17, vcc_lo
	v_and_or_b32 v11, 0x80000000, v11, v13
	s_delay_alu instid0(VALU_DEP_1)
	v_cvt_i32_f32_e32 v32, v11
.LBB55_4083:
	s_mov_b32 s1, 0
	s_mov_b32 s9, -1
.LBB55_4084:
	s_and_not1_b32 vcc_lo, exec_lo, s1
	s_mov_b32 s1, 0
	s_cbranch_vccnz .LBB55_4095
; %bb.4085:
	s_cmp_gt_i32 s59, 14
	s_cbranch_scc0 .LBB55_4088
; %bb.4086:
	s_cmp_eq_u32 s59, 15
	s_cbranch_scc0 .LBB55_4091
; %bb.4087:
	global_load_u16 v11, v[34:35], off
	s_mov_b32 s0, 0
	s_mov_b32 s9, -1
	s_wait_loadcnt 0x0
	v_lshlrev_b32_e32 v11, 16, v11
	s_delay_alu instid0(VALU_DEP_1)
	v_cvt_i32_f32_e32 v32, v11
	s_branch .LBB55_4093
.LBB55_4088:
	s_mov_b32 s1, -1
	s_branch .LBB55_4092
.LBB55_4089:
	s_and_not1_saveexec_b32 s1, s1
	s_cbranch_execz .LBB55_4070
.LBB55_4090:
	v_cmp_ne_u16_e32 vcc_lo, 0, v11
	s_and_not1_b32 s9, s9, exec_lo
	s_and_b32 s24, vcc_lo, exec_lo
	s_delay_alu instid0(SALU_CYCLE_1)
	s_or_b32 s9, s9, s24
	s_or_b32 exec_lo, exec_lo, s1
	v_mov_b32_e32 v32, 0
	s_and_saveexec_b32 s1, s9
	s_cbranch_execnz .LBB55_4071
	s_branch .LBB55_4072
.LBB55_4091:
	s_mov_b32 s0, -1
.LBB55_4092:
                                        ; implicit-def: $vgpr32
.LBB55_4093:
	s_and_b32 vcc_lo, exec_lo, s1
	s_mov_b32 s1, 0
	s_cbranch_vccz .LBB55_4095
; %bb.4094:
	s_cmp_lg_u32 s59, 11
	s_mov_b32 s1, -1
	s_cselect_b32 s0, -1, 0
.LBB55_4095:
	s_delay_alu instid0(SALU_CYCLE_1)
	s_and_b32 vcc_lo, exec_lo, s0
	s_cbranch_vccnz .LBB55_4160
; %bb.4096:
	s_and_not1_b32 vcc_lo, exec_lo, s1
	s_cbranch_vccnz .LBB55_4098
.LBB55_4097:
	global_load_u8 v11, v[34:35], off
	s_mov_b32 s9, -1
	s_wait_loadcnt 0x0
	v_cmp_ne_u16_e32 vcc_lo, 0, v11
	v_cndmask_b32_e64 v32, 0, 1, vcc_lo
.LBB55_4098:
	s_mov_b32 s0, 0
.LBB55_4099:
	s_delay_alu instid0(SALU_CYCLE_1)
	s_and_b32 vcc_lo, exec_lo, s0
	s_cbranch_vccz .LBB55_4148
; %bb.4100:
	s_cmp_lt_i32 s59, 5
	s_cbranch_scc1 .LBB55_4105
; %bb.4101:
	s_cmp_lt_i32 s59, 8
	s_cbranch_scc1 .LBB55_4106
	;; [unrolled: 3-line block ×3, first 2 shown]
; %bb.4103:
	s_cmp_gt_i32 s59, 9
	s_cbranch_scc0 .LBB55_4108
; %bb.4104:
	s_wait_loadcnt 0x0
	global_load_b64 v[32:33], v[34:35], off
	s_mov_b32 s0, 0
	s_wait_loadcnt 0x0
	v_cvt_i32_f64_e32 v32, v[32:33]
	s_branch .LBB55_4109
.LBB55_4105:
	s_mov_b32 s0, -1
                                        ; implicit-def: $vgpr32
	s_branch .LBB55_4127
.LBB55_4106:
	s_mov_b32 s0, -1
                                        ; implicit-def: $vgpr32
	s_branch .LBB55_4115
.LBB55_4107:
	s_mov_b32 s0, -1
                                        ; implicit-def: $vgpr32
	s_branch .LBB55_4112
.LBB55_4108:
	s_mov_b32 s0, -1
                                        ; implicit-def: $vgpr32
.LBB55_4109:
	s_delay_alu instid0(SALU_CYCLE_1)
	s_and_not1_b32 vcc_lo, exec_lo, s0
	s_cbranch_vccnz .LBB55_4111
; %bb.4110:
	global_load_b32 v11, v[34:35], off
	s_wait_loadcnt 0x0
	v_cvt_i32_f32_e32 v32, v11
.LBB55_4111:
	s_mov_b32 s0, 0
.LBB55_4112:
	s_delay_alu instid0(SALU_CYCLE_1)
	s_and_not1_b32 vcc_lo, exec_lo, s0
	s_cbranch_vccnz .LBB55_4114
; %bb.4113:
	global_load_b32 v11, v[34:35], off
	s_wait_loadcnt 0x0
	v_cvt_f32_f16_e32 v11, v11
	s_delay_alu instid0(VALU_DEP_1)
	v_cvt_i32_f32_e32 v32, v11
.LBB55_4114:
	s_mov_b32 s0, 0
.LBB55_4115:
	s_delay_alu instid0(SALU_CYCLE_1)
	s_and_not1_b32 vcc_lo, exec_lo, s0
	s_cbranch_vccnz .LBB55_4126
; %bb.4116:
	s_cmp_lt_i32 s59, 6
	s_cbranch_scc1 .LBB55_4119
; %bb.4117:
	s_cmp_gt_i32 s59, 6
	s_cbranch_scc0 .LBB55_4120
; %bb.4118:
	s_wait_loadcnt 0x0
	global_load_b64 v[32:33], v[34:35], off
	s_mov_b32 s0, 0
	s_wait_loadcnt 0x0
	v_cvt_i32_f64_e32 v32, v[32:33]
	s_branch .LBB55_4121
.LBB55_4119:
	s_mov_b32 s0, -1
                                        ; implicit-def: $vgpr32
	s_branch .LBB55_4124
.LBB55_4120:
	s_mov_b32 s0, -1
                                        ; implicit-def: $vgpr32
.LBB55_4121:
	s_delay_alu instid0(SALU_CYCLE_1)
	s_and_not1_b32 vcc_lo, exec_lo, s0
	s_cbranch_vccnz .LBB55_4123
; %bb.4122:
	global_load_b32 v11, v[34:35], off
	s_wait_loadcnt 0x0
	v_cvt_i32_f32_e32 v32, v11
.LBB55_4123:
	s_mov_b32 s0, 0
.LBB55_4124:
	s_delay_alu instid0(SALU_CYCLE_1)
	s_and_not1_b32 vcc_lo, exec_lo, s0
	s_cbranch_vccnz .LBB55_4126
; %bb.4125:
	global_load_u16 v11, v[34:35], off
	s_wait_loadcnt 0x0
	v_cvt_f32_f16_e32 v11, v11
	s_delay_alu instid0(VALU_DEP_1)
	v_cvt_i32_f32_e32 v32, v11
.LBB55_4126:
	s_mov_b32 s0, 0
.LBB55_4127:
	s_delay_alu instid0(SALU_CYCLE_1)
	s_and_not1_b32 vcc_lo, exec_lo, s0
	s_cbranch_vccnz .LBB55_4147
; %bb.4128:
	s_cmp_lt_i32 s59, 2
	s_cbranch_scc1 .LBB55_4132
; %bb.4129:
	s_cmp_lt_i32 s59, 3
	s_cbranch_scc1 .LBB55_4133
; %bb.4130:
	s_cmp_gt_i32 s59, 3
	s_cbranch_scc0 .LBB55_4134
; %bb.4131:
	s_wait_loadcnt 0x0
	global_load_b32 v32, v[34:35], off
	s_mov_b32 s0, 0
	s_branch .LBB55_4135
.LBB55_4132:
	s_mov_b32 s0, -1
                                        ; implicit-def: $vgpr32
	s_branch .LBB55_4141
.LBB55_4133:
	s_mov_b32 s0, -1
                                        ; implicit-def: $vgpr32
	s_branch .LBB55_4138
.LBB55_4134:
	s_mov_b32 s0, -1
                                        ; implicit-def: $vgpr32
.LBB55_4135:
	s_delay_alu instid0(SALU_CYCLE_1)
	s_and_not1_b32 vcc_lo, exec_lo, s0
	s_cbranch_vccnz .LBB55_4137
; %bb.4136:
	s_wait_loadcnt 0x0
	global_load_b32 v32, v[34:35], off
.LBB55_4137:
	s_mov_b32 s0, 0
.LBB55_4138:
	s_delay_alu instid0(SALU_CYCLE_1)
	s_and_not1_b32 vcc_lo, exec_lo, s0
	s_cbranch_vccnz .LBB55_4140
; %bb.4139:
	s_wait_loadcnt 0x0
	global_load_i16 v32, v[34:35], off
.LBB55_4140:
	s_mov_b32 s0, 0
.LBB55_4141:
	s_delay_alu instid0(SALU_CYCLE_1)
	s_and_not1_b32 vcc_lo, exec_lo, s0
	s_cbranch_vccnz .LBB55_4147
; %bb.4142:
	s_cmp_gt_i32 s59, 0
	s_mov_b32 s0, 0
	s_cbranch_scc0 .LBB55_4144
; %bb.4143:
	s_wait_loadcnt 0x0
	global_load_i8 v32, v[34:35], off
	s_branch .LBB55_4145
.LBB55_4144:
	s_mov_b32 s0, -1
                                        ; implicit-def: $vgpr32
.LBB55_4145:
	s_delay_alu instid0(SALU_CYCLE_1)
	s_and_not1_b32 vcc_lo, exec_lo, s0
	s_cbranch_vccnz .LBB55_4147
; %bb.4146:
	s_wait_loadcnt 0x0
	global_load_u8 v32, v[34:35], off
.LBB55_4147:
	s_mov_b32 s9, -1
.LBB55_4148:
	s_delay_alu instid0(SALU_CYCLE_1)
	s_and_not1_b32 vcc_lo, exec_lo, s9
	s_cbranch_vccnz .LBB55_4414
; %bb.4149:
	v_mov_b32_e32 v31, 0
	s_and_b32 s60, 0xffff, s50
	s_delay_alu instid0(SALU_CYCLE_1) | instskip(SKIP_1) | instid1(VALU_DEP_1)
	s_cmp_lt_i32 s60, 11
	s_wait_xcnt 0x0
	v_add_nc_u64_e32 v[34:35], s[16:17], v[30:31]
	s_cbranch_scc1 .LBB55_4156
; %bb.4150:
	s_cmp_gt_i32 s60, 25
	s_mov_b32 s1, 0
	s_cbranch_scc0 .LBB55_4157
; %bb.4151:
	s_cmp_gt_i32 s60, 28
	s_cbranch_scc0 .LBB55_4158
; %bb.4152:
	s_cmp_gt_i32 s60, 43
	;; [unrolled: 3-line block ×3, first 2 shown]
	s_cbranch_scc0 .LBB55_4161
; %bb.4154:
	s_cmp_eq_u32 s60, 46
	s_mov_b32 s24, 0
	s_cbranch_scc0 .LBB55_4164
; %bb.4155:
	global_load_b32 v11, v[34:35], off
	s_mov_b32 s0, 0
	s_mov_b32 s9, -1
	s_wait_loadcnt 0x0
	v_lshlrev_b32_e32 v11, 16, v11
	s_delay_alu instid0(VALU_DEP_1)
	v_cvt_i32_f32_e32 v30, v11
	s_branch .LBB55_4166
.LBB55_4156:
	s_mov_b32 s0, -1
	s_mov_b32 s9, 0
                                        ; implicit-def: $vgpr30
	s_branch .LBB55_4228
.LBB55_4157:
	s_mov_b32 s24, -1
	s_mov_b32 s9, 0
	s_mov_b32 s0, 0
                                        ; implicit-def: $vgpr30
	s_branch .LBB55_4193
.LBB55_4158:
	s_mov_b32 s24, -1
	s_mov_b32 s9, 0
	s_mov_b32 s0, 0
                                        ; implicit-def: $vgpr30
	s_branch .LBB55_4176
.LBB55_4159:
	s_mov_b32 s24, -1
	s_mov_b32 s9, 0
	s_mov_b32 s0, 0
                                        ; implicit-def: $vgpr30
	s_branch .LBB55_4171
.LBB55_4160:
	s_or_b32 s46, s46, exec_lo
	s_trap 2
	s_cbranch_execz .LBB55_4097
	s_branch .LBB55_4098
.LBB55_4161:
	s_mov_b32 s24, -1
	s_mov_b32 s9, 0
	s_mov_b32 s0, 0
	s_branch .LBB55_4165
.LBB55_4162:
	s_or_b32 exec_lo, exec_lo, s92
	s_branch .LBB55_1325
.LBB55_4163:
	s_or_b32 s21, s41, exec_lo
	s_trap 2
                                        ; implicit-def: $vgpr6
                                        ; implicit-def: $vgpr30
                                        ; implicit-def: $vgpr28
                                        ; implicit-def: $vgpr34
                                        ; implicit-def: $vgpr32
                                        ; implicit-def: $vgpr4
                                        ; implicit-def: $vgpr36
                                        ; implicit-def: $vgpr20
                                        ; implicit-def: $vgpr18
                                        ; implicit-def: $vgpr24
                                        ; implicit-def: $vgpr22
                                        ; implicit-def: $vgpr2
                                        ; implicit-def: $vgpr26
                                        ; implicit-def: $vgpr10
                                        ; implicit-def: $vgpr8
                                        ; implicit-def: $vgpr14
                                        ; implicit-def: $vgpr12
                                        ; implicit-def: $vgpr0
                                        ; implicit-def: $vgpr16
                                        ; implicit-def: $vgpr1
                                        ; implicit-def: $vgpr3
                                        ; implicit-def: $vgpr42
                                        ; implicit-def: $vgpr40
                                        ; implicit-def: $vgpr44
	s_branch .LBB55_3527
.LBB55_4164:
	s_mov_b32 s0, -1
	s_mov_b32 s9, 0
.LBB55_4165:
                                        ; implicit-def: $vgpr30
.LBB55_4166:
	s_and_b32 vcc_lo, exec_lo, s24
	s_cbranch_vccz .LBB55_4170
; %bb.4167:
	s_cmp_eq_u32 s60, 44
	s_cbranch_scc0 .LBB55_4169
; %bb.4168:
	global_load_u8 v11, v[34:35], off
	s_mov_b32 s0, 0
	s_mov_b32 s9, -1
	s_wait_loadcnt 0x0
	v_lshlrev_b32_e32 v13, 23, v11
	v_cmp_ne_u32_e32 vcc_lo, 0, v11
	s_delay_alu instid0(VALU_DEP_2) | instskip(NEXT) | instid1(VALU_DEP_1)
	v_cvt_i32_f32_e32 v13, v13
	v_cndmask_b32_e32 v30, 0, v13, vcc_lo
	s_branch .LBB55_4170
.LBB55_4169:
	s_mov_b32 s0, -1
                                        ; implicit-def: $vgpr30
.LBB55_4170:
	s_mov_b32 s24, 0
.LBB55_4171:
	s_delay_alu instid0(SALU_CYCLE_1)
	s_and_b32 vcc_lo, exec_lo, s24
	s_cbranch_vccz .LBB55_4175
; %bb.4172:
	s_cmp_eq_u32 s60, 29
	s_cbranch_scc0 .LBB55_4174
; %bb.4173:
	global_load_b32 v30, v[34:35], off
	s_mov_b32 s0, 0
	s_mov_b32 s9, -1
	s_branch .LBB55_4175
.LBB55_4174:
	s_mov_b32 s0, -1
                                        ; implicit-def: $vgpr30
.LBB55_4175:
	s_mov_b32 s24, 0
.LBB55_4176:
	s_delay_alu instid0(SALU_CYCLE_1)
	s_and_b32 vcc_lo, exec_lo, s24
	s_cbranch_vccz .LBB55_4192
; %bb.4177:
	s_cmp_lt_i32 s60, 27
	s_cbranch_scc1 .LBB55_4180
; %bb.4178:
	s_cmp_gt_i32 s60, 27
	s_cbranch_scc0 .LBB55_4181
; %bb.4179:
	s_wait_loadcnt 0x0
	global_load_b32 v30, v[34:35], off
	s_mov_b32 s9, 0
	s_branch .LBB55_4182
.LBB55_4180:
	s_mov_b32 s9, -1
                                        ; implicit-def: $vgpr30
	s_branch .LBB55_4185
.LBB55_4181:
	s_mov_b32 s9, -1
                                        ; implicit-def: $vgpr30
.LBB55_4182:
	s_delay_alu instid0(SALU_CYCLE_1)
	s_and_not1_b32 vcc_lo, exec_lo, s9
	s_cbranch_vccnz .LBB55_4184
; %bb.4183:
	s_wait_loadcnt 0x0
	global_load_u16 v30, v[34:35], off
.LBB55_4184:
	s_mov_b32 s9, 0
.LBB55_4185:
	s_delay_alu instid0(SALU_CYCLE_1)
	s_and_not1_b32 vcc_lo, exec_lo, s9
	s_cbranch_vccnz .LBB55_4191
; %bb.4186:
	global_load_u8 v11, v[34:35], off
	s_mov_b32 s24, 0
	s_mov_b32 s9, exec_lo
	s_wait_loadcnt 0x0
	v_cmpx_lt_i16_e32 0x7f, v11
	s_xor_b32 s9, exec_lo, s9
	s_cbranch_execz .LBB55_4203
; %bb.4187:
	v_cmp_ne_u16_e32 vcc_lo, 0x80, v11
	s_and_b32 s24, vcc_lo, exec_lo
	s_and_not1_saveexec_b32 s9, s9
	s_cbranch_execnz .LBB55_4204
.LBB55_4188:
	s_or_b32 exec_lo, exec_lo, s9
	v_mov_b32_e32 v30, 0
	s_and_saveexec_b32 s9, s24
	s_cbranch_execz .LBB55_4190
.LBB55_4189:
	v_and_b32_e32 v13, 0xffff, v11
	s_delay_alu instid0(VALU_DEP_1) | instskip(SKIP_1) | instid1(VALU_DEP_2)
	v_dual_lshlrev_b32 v11, 24, v11 :: v_dual_bitop2_b32 v15, 7, v13 bitop3:0x40
	v_bfe_u32 v21, v13, 3, 4
	v_and_b32_e32 v11, 0x80000000, v11
	s_delay_alu instid0(VALU_DEP_3) | instskip(NEXT) | instid1(VALU_DEP_3)
	v_clz_i32_u32_e32 v17, v15
	v_cmp_eq_u32_e32 vcc_lo, 0, v21
	s_delay_alu instid0(VALU_DEP_2) | instskip(NEXT) | instid1(VALU_DEP_1)
	v_min_u32_e32 v17, 32, v17
	v_subrev_nc_u32_e32 v19, 28, v17
	v_sub_nc_u32_e32 v17, 29, v17
	s_delay_alu instid0(VALU_DEP_2) | instskip(NEXT) | instid1(VALU_DEP_2)
	v_lshlrev_b32_e32 v13, v19, v13
	v_cndmask_b32_e32 v17, v21, v17, vcc_lo
	s_delay_alu instid0(VALU_DEP_2) | instskip(NEXT) | instid1(VALU_DEP_1)
	v_and_b32_e32 v13, 7, v13
	v_cndmask_b32_e32 v13, v15, v13, vcc_lo
	s_delay_alu instid0(VALU_DEP_3) | instskip(NEXT) | instid1(VALU_DEP_2)
	v_lshl_add_u32 v15, v17, 23, 0x3b800000
	v_lshlrev_b32_e32 v13, 20, v13
	s_delay_alu instid0(VALU_DEP_1) | instskip(NEXT) | instid1(VALU_DEP_1)
	v_or3_b32 v11, v11, v15, v13
	v_cvt_i32_f32_e32 v30, v11
.LBB55_4190:
	s_or_b32 exec_lo, exec_lo, s9
.LBB55_4191:
	s_mov_b32 s9, -1
.LBB55_4192:
	s_mov_b32 s24, 0
.LBB55_4193:
	s_delay_alu instid0(SALU_CYCLE_1)
	s_and_b32 vcc_lo, exec_lo, s24
	s_cbranch_vccz .LBB55_4224
; %bb.4194:
	s_cmp_gt_i32 s60, 22
	s_cbranch_scc0 .LBB55_4202
; %bb.4195:
	s_cmp_lt_i32 s60, 24
	s_cbranch_scc1 .LBB55_4205
; %bb.4196:
	s_cmp_gt_i32 s60, 24
	s_cbranch_scc0 .LBB55_4206
; %bb.4197:
	global_load_u8 v11, v[34:35], off
	s_mov_b32 s9, 0
	s_mov_b32 s1, exec_lo
	s_wait_loadcnt 0x0
	v_cmpx_lt_i16_e32 0x7f, v11
	s_xor_b32 s1, exec_lo, s1
	s_cbranch_execz .LBB55_4218
; %bb.4198:
	v_cmp_ne_u16_e32 vcc_lo, 0x80, v11
	s_and_b32 s9, vcc_lo, exec_lo
	s_and_not1_saveexec_b32 s1, s1
	s_cbranch_execnz .LBB55_4219
.LBB55_4199:
	s_or_b32 exec_lo, exec_lo, s1
	v_mov_b32_e32 v30, 0
	s_and_saveexec_b32 s1, s9
	s_cbranch_execz .LBB55_4201
.LBB55_4200:
	v_and_b32_e32 v13, 0xffff, v11
	s_delay_alu instid0(VALU_DEP_1) | instskip(SKIP_1) | instid1(VALU_DEP_2)
	v_dual_lshlrev_b32 v11, 24, v11 :: v_dual_bitop2_b32 v15, 3, v13 bitop3:0x40
	v_bfe_u32 v21, v13, 2, 5
	v_and_b32_e32 v11, 0x80000000, v11
	s_delay_alu instid0(VALU_DEP_3) | instskip(NEXT) | instid1(VALU_DEP_3)
	v_clz_i32_u32_e32 v17, v15
	v_cmp_eq_u32_e32 vcc_lo, 0, v21
	s_delay_alu instid0(VALU_DEP_2) | instskip(NEXT) | instid1(VALU_DEP_1)
	v_min_u32_e32 v17, 32, v17
	v_subrev_nc_u32_e32 v19, 29, v17
	v_sub_nc_u32_e32 v17, 30, v17
	s_delay_alu instid0(VALU_DEP_2) | instskip(NEXT) | instid1(VALU_DEP_2)
	v_lshlrev_b32_e32 v13, v19, v13
	v_cndmask_b32_e32 v17, v21, v17, vcc_lo
	s_delay_alu instid0(VALU_DEP_2) | instskip(NEXT) | instid1(VALU_DEP_1)
	v_and_b32_e32 v13, 3, v13
	v_cndmask_b32_e32 v13, v15, v13, vcc_lo
	s_delay_alu instid0(VALU_DEP_3) | instskip(NEXT) | instid1(VALU_DEP_2)
	v_lshl_add_u32 v15, v17, 23, 0x37800000
	v_lshlrev_b32_e32 v13, 21, v13
	s_delay_alu instid0(VALU_DEP_1) | instskip(NEXT) | instid1(VALU_DEP_1)
	v_or3_b32 v11, v11, v15, v13
	v_cvt_i32_f32_e32 v30, v11
.LBB55_4201:
	s_or_b32 exec_lo, exec_lo, s1
	s_mov_b32 s1, 0
	s_branch .LBB55_4207
.LBB55_4202:
	s_mov_b32 s1, -1
                                        ; implicit-def: $vgpr30
	s_branch .LBB55_4213
.LBB55_4203:
	s_and_not1_saveexec_b32 s9, s9
	s_cbranch_execz .LBB55_4188
.LBB55_4204:
	v_cmp_ne_u16_e32 vcc_lo, 0, v11
	s_and_not1_b32 s24, s24, exec_lo
	s_and_b32 s25, vcc_lo, exec_lo
	s_delay_alu instid0(SALU_CYCLE_1)
	s_or_b32 s24, s24, s25
	s_or_b32 exec_lo, exec_lo, s9
	v_mov_b32_e32 v30, 0
	s_and_saveexec_b32 s9, s24
	s_cbranch_execnz .LBB55_4189
	s_branch .LBB55_4190
.LBB55_4205:
	s_mov_b32 s1, -1
                                        ; implicit-def: $vgpr30
	s_branch .LBB55_4210
.LBB55_4206:
	s_mov_b32 s1, -1
                                        ; implicit-def: $vgpr30
.LBB55_4207:
	s_delay_alu instid0(SALU_CYCLE_1)
	s_and_b32 vcc_lo, exec_lo, s1
	s_cbranch_vccz .LBB55_4209
; %bb.4208:
	global_load_u8 v11, v[34:35], off
	s_wait_loadcnt 0x0
	v_lshlrev_b32_e32 v11, 24, v11
	s_delay_alu instid0(VALU_DEP_1) | instskip(NEXT) | instid1(VALU_DEP_1)
	v_and_b32_e32 v13, 0x7f000000, v11
	v_clz_i32_u32_e32 v15, v13
	v_add_nc_u32_e32 v19, 0x1000000, v13
	v_cmp_ne_u32_e32 vcc_lo, 0, v13
	s_delay_alu instid0(VALU_DEP_3) | instskip(NEXT) | instid1(VALU_DEP_1)
	v_min_u32_e32 v15, 32, v15
	v_sub_nc_u32_e64 v15, v15, 4 clamp
	s_delay_alu instid0(VALU_DEP_1) | instskip(NEXT) | instid1(VALU_DEP_1)
	v_dual_lshlrev_b32 v17, v15, v13 :: v_dual_lshlrev_b32 v15, 23, v15
	v_lshrrev_b32_e32 v17, 4, v17
	s_delay_alu instid0(VALU_DEP_1) | instskip(SKIP_1) | instid1(VALU_DEP_2)
	v_sub_nc_u32_e32 v15, v17, v15
	v_ashrrev_i32_e32 v17, 8, v19
	v_add_nc_u32_e32 v15, 0x3c000000, v15
	s_delay_alu instid0(VALU_DEP_1) | instskip(NEXT) | instid1(VALU_DEP_1)
	v_and_or_b32 v15, 0x7f800000, v17, v15
	v_cndmask_b32_e32 v13, 0, v15, vcc_lo
	s_delay_alu instid0(VALU_DEP_1) | instskip(NEXT) | instid1(VALU_DEP_1)
	v_and_or_b32 v11, 0x80000000, v11, v13
	v_cvt_i32_f32_e32 v30, v11
.LBB55_4209:
	s_mov_b32 s1, 0
.LBB55_4210:
	s_delay_alu instid0(SALU_CYCLE_1)
	s_and_not1_b32 vcc_lo, exec_lo, s1
	s_cbranch_vccnz .LBB55_4212
; %bb.4211:
	global_load_u8 v11, v[34:35], off
	s_wait_loadcnt 0x0
	v_lshlrev_b32_e32 v13, 25, v11
	v_lshlrev_b16 v11, 8, v11
	s_delay_alu instid0(VALU_DEP_1) | instskip(SKIP_1) | instid1(VALU_DEP_2)
	v_and_or_b32 v17, 0x7f00, v11, 0.5
	v_bfe_i32 v11, v11, 0, 16
	v_add_f32_e32 v17, -0.5, v17
	v_lshrrev_b32_e32 v15, 4, v13
	v_cmp_gt_u32_e32 vcc_lo, 0x8000000, v13
	s_delay_alu instid0(VALU_DEP_2) | instskip(NEXT) | instid1(VALU_DEP_1)
	v_or_b32_e32 v15, 0x70000000, v15
	v_mul_f32_e32 v15, 0x7800000, v15
	s_delay_alu instid0(VALU_DEP_1) | instskip(NEXT) | instid1(VALU_DEP_1)
	v_cndmask_b32_e32 v13, v15, v17, vcc_lo
	v_and_or_b32 v11, 0x80000000, v11, v13
	s_delay_alu instid0(VALU_DEP_1)
	v_cvt_i32_f32_e32 v30, v11
.LBB55_4212:
	s_mov_b32 s1, 0
	s_mov_b32 s9, -1
.LBB55_4213:
	s_and_not1_b32 vcc_lo, exec_lo, s1
	s_mov_b32 s1, 0
	s_cbranch_vccnz .LBB55_4224
; %bb.4214:
	s_cmp_gt_i32 s60, 14
	s_cbranch_scc0 .LBB55_4217
; %bb.4215:
	s_cmp_eq_u32 s60, 15
	s_cbranch_scc0 .LBB55_4220
; %bb.4216:
	global_load_u16 v11, v[34:35], off
	s_mov_b32 s0, 0
	s_mov_b32 s9, -1
	s_wait_loadcnt 0x0
	v_lshlrev_b32_e32 v11, 16, v11
	s_delay_alu instid0(VALU_DEP_1)
	v_cvt_i32_f32_e32 v30, v11
	s_branch .LBB55_4222
.LBB55_4217:
	s_mov_b32 s1, -1
	s_branch .LBB55_4221
.LBB55_4218:
	s_and_not1_saveexec_b32 s1, s1
	s_cbranch_execz .LBB55_4199
.LBB55_4219:
	v_cmp_ne_u16_e32 vcc_lo, 0, v11
	s_and_not1_b32 s9, s9, exec_lo
	s_and_b32 s24, vcc_lo, exec_lo
	s_delay_alu instid0(SALU_CYCLE_1)
	s_or_b32 s9, s9, s24
	s_or_b32 exec_lo, exec_lo, s1
	v_mov_b32_e32 v30, 0
	s_and_saveexec_b32 s1, s9
	s_cbranch_execnz .LBB55_4200
	s_branch .LBB55_4201
.LBB55_4220:
	s_mov_b32 s0, -1
.LBB55_4221:
                                        ; implicit-def: $vgpr30
.LBB55_4222:
	s_and_b32 vcc_lo, exec_lo, s1
	s_mov_b32 s1, 0
	s_cbranch_vccz .LBB55_4224
; %bb.4223:
	s_cmp_lg_u32 s60, 11
	s_mov_b32 s1, -1
	s_cselect_b32 s0, -1, 0
.LBB55_4224:
	s_delay_alu instid0(SALU_CYCLE_1)
	s_and_b32 vcc_lo, exec_lo, s0
	s_cbranch_vccnz .LBB55_4289
; %bb.4225:
	s_and_not1_b32 vcc_lo, exec_lo, s1
	s_cbranch_vccnz .LBB55_4227
.LBB55_4226:
	global_load_u8 v11, v[34:35], off
	s_mov_b32 s9, -1
	s_wait_loadcnt 0x0
	v_cmp_ne_u16_e32 vcc_lo, 0, v11
	v_cndmask_b32_e64 v30, 0, 1, vcc_lo
.LBB55_4227:
	s_mov_b32 s0, 0
.LBB55_4228:
	s_delay_alu instid0(SALU_CYCLE_1)
	s_and_b32 vcc_lo, exec_lo, s0
	s_cbranch_vccz .LBB55_4277
; %bb.4229:
	s_cmp_lt_i32 s60, 5
	s_cbranch_scc1 .LBB55_4234
; %bb.4230:
	s_cmp_lt_i32 s60, 8
	s_cbranch_scc1 .LBB55_4235
	;; [unrolled: 3-line block ×3, first 2 shown]
; %bb.4232:
	s_cmp_gt_i32 s60, 9
	s_cbranch_scc0 .LBB55_4237
; %bb.4233:
	s_wait_loadcnt 0x0
	global_load_b64 v[30:31], v[34:35], off
	s_mov_b32 s0, 0
	s_wait_loadcnt 0x0
	v_cvt_i32_f64_e32 v30, v[30:31]
	s_branch .LBB55_4238
.LBB55_4234:
	s_mov_b32 s0, -1
                                        ; implicit-def: $vgpr30
	s_branch .LBB55_4256
.LBB55_4235:
	s_mov_b32 s0, -1
                                        ; implicit-def: $vgpr30
	s_branch .LBB55_4244
.LBB55_4236:
	s_mov_b32 s0, -1
                                        ; implicit-def: $vgpr30
	s_branch .LBB55_4241
.LBB55_4237:
	s_mov_b32 s0, -1
                                        ; implicit-def: $vgpr30
.LBB55_4238:
	s_delay_alu instid0(SALU_CYCLE_1)
	s_and_not1_b32 vcc_lo, exec_lo, s0
	s_cbranch_vccnz .LBB55_4240
; %bb.4239:
	global_load_b32 v11, v[34:35], off
	s_wait_loadcnt 0x0
	v_cvt_i32_f32_e32 v30, v11
.LBB55_4240:
	s_mov_b32 s0, 0
.LBB55_4241:
	s_delay_alu instid0(SALU_CYCLE_1)
	s_and_not1_b32 vcc_lo, exec_lo, s0
	s_cbranch_vccnz .LBB55_4243
; %bb.4242:
	global_load_b32 v11, v[34:35], off
	s_wait_loadcnt 0x0
	v_cvt_f32_f16_e32 v11, v11
	s_delay_alu instid0(VALU_DEP_1)
	v_cvt_i32_f32_e32 v30, v11
.LBB55_4243:
	s_mov_b32 s0, 0
.LBB55_4244:
	s_delay_alu instid0(SALU_CYCLE_1)
	s_and_not1_b32 vcc_lo, exec_lo, s0
	s_cbranch_vccnz .LBB55_4255
; %bb.4245:
	s_cmp_lt_i32 s60, 6
	s_cbranch_scc1 .LBB55_4248
; %bb.4246:
	s_cmp_gt_i32 s60, 6
	s_cbranch_scc0 .LBB55_4249
; %bb.4247:
	s_wait_loadcnt 0x0
	global_load_b64 v[30:31], v[34:35], off
	s_mov_b32 s0, 0
	s_wait_loadcnt 0x0
	v_cvt_i32_f64_e32 v30, v[30:31]
	s_branch .LBB55_4250
.LBB55_4248:
	s_mov_b32 s0, -1
                                        ; implicit-def: $vgpr30
	s_branch .LBB55_4253
.LBB55_4249:
	s_mov_b32 s0, -1
                                        ; implicit-def: $vgpr30
.LBB55_4250:
	s_delay_alu instid0(SALU_CYCLE_1)
	s_and_not1_b32 vcc_lo, exec_lo, s0
	s_cbranch_vccnz .LBB55_4252
; %bb.4251:
	global_load_b32 v11, v[34:35], off
	s_wait_loadcnt 0x0
	v_cvt_i32_f32_e32 v30, v11
.LBB55_4252:
	s_mov_b32 s0, 0
.LBB55_4253:
	s_delay_alu instid0(SALU_CYCLE_1)
	s_and_not1_b32 vcc_lo, exec_lo, s0
	s_cbranch_vccnz .LBB55_4255
; %bb.4254:
	global_load_u16 v11, v[34:35], off
	s_wait_loadcnt 0x0
	v_cvt_f32_f16_e32 v11, v11
	s_delay_alu instid0(VALU_DEP_1)
	v_cvt_i32_f32_e32 v30, v11
.LBB55_4255:
	s_mov_b32 s0, 0
.LBB55_4256:
	s_delay_alu instid0(SALU_CYCLE_1)
	s_and_not1_b32 vcc_lo, exec_lo, s0
	s_cbranch_vccnz .LBB55_4276
; %bb.4257:
	s_cmp_lt_i32 s60, 2
	s_cbranch_scc1 .LBB55_4261
; %bb.4258:
	s_cmp_lt_i32 s60, 3
	s_cbranch_scc1 .LBB55_4262
; %bb.4259:
	s_cmp_gt_i32 s60, 3
	s_cbranch_scc0 .LBB55_4263
; %bb.4260:
	s_wait_loadcnt 0x0
	global_load_b32 v30, v[34:35], off
	s_mov_b32 s0, 0
	s_branch .LBB55_4264
.LBB55_4261:
	s_mov_b32 s0, -1
                                        ; implicit-def: $vgpr30
	s_branch .LBB55_4270
.LBB55_4262:
	s_mov_b32 s0, -1
                                        ; implicit-def: $vgpr30
	s_branch .LBB55_4267
.LBB55_4263:
	s_mov_b32 s0, -1
                                        ; implicit-def: $vgpr30
.LBB55_4264:
	s_delay_alu instid0(SALU_CYCLE_1)
	s_and_not1_b32 vcc_lo, exec_lo, s0
	s_cbranch_vccnz .LBB55_4266
; %bb.4265:
	s_wait_loadcnt 0x0
	global_load_b32 v30, v[34:35], off
.LBB55_4266:
	s_mov_b32 s0, 0
.LBB55_4267:
	s_delay_alu instid0(SALU_CYCLE_1)
	s_and_not1_b32 vcc_lo, exec_lo, s0
	s_cbranch_vccnz .LBB55_4269
; %bb.4268:
	s_wait_loadcnt 0x0
	global_load_i16 v30, v[34:35], off
.LBB55_4269:
	s_mov_b32 s0, 0
.LBB55_4270:
	s_delay_alu instid0(SALU_CYCLE_1)
	s_and_not1_b32 vcc_lo, exec_lo, s0
	s_cbranch_vccnz .LBB55_4276
; %bb.4271:
	s_cmp_gt_i32 s60, 0
	s_mov_b32 s0, 0
	s_cbranch_scc0 .LBB55_4273
; %bb.4272:
	s_wait_loadcnt 0x0
	global_load_i8 v30, v[34:35], off
	s_branch .LBB55_4274
.LBB55_4273:
	s_mov_b32 s0, -1
                                        ; implicit-def: $vgpr30
.LBB55_4274:
	s_delay_alu instid0(SALU_CYCLE_1)
	s_and_not1_b32 vcc_lo, exec_lo, s0
	s_cbranch_vccnz .LBB55_4276
; %bb.4275:
	s_wait_loadcnt 0x0
	global_load_u8 v30, v[34:35], off
.LBB55_4276:
	s_mov_b32 s9, -1
.LBB55_4277:
	s_delay_alu instid0(SALU_CYCLE_1)
	s_and_not1_b32 vcc_lo, exec_lo, s9
	s_cbranch_vccnz .LBB55_4414
; %bb.4278:
	v_mov_b32_e32 v29, 0
	s_and_b32 s61, 0xffff, s51
	s_delay_alu instid0(SALU_CYCLE_1) | instskip(NEXT) | instid1(VALU_DEP_1)
	s_cmp_lt_i32 s61, 11
	v_add_nc_u64_e32 v[28:29], s[18:19], v[28:29]
	s_cbranch_scc1 .LBB55_4285
; %bb.4279:
	s_cmp_gt_i32 s61, 25
	s_mov_b32 s1, 0
	s_cbranch_scc0 .LBB55_4286
; %bb.4280:
	s_cmp_gt_i32 s61, 28
	s_cbranch_scc0 .LBB55_4287
; %bb.4281:
	s_cmp_gt_i32 s61, 43
	;; [unrolled: 3-line block ×3, first 2 shown]
	s_cbranch_scc0 .LBB55_4290
; %bb.4283:
	s_cmp_eq_u32 s61, 46
	s_mov_b32 s24, 0
	s_cbranch_scc0 .LBB55_4292
; %bb.4284:
	global_load_b32 v11, v[28:29], off
	s_mov_b32 s0, 0
	s_mov_b32 s9, -1
	s_wait_loadcnt 0x0
	v_lshlrev_b32_e32 v11, 16, v11
	s_wait_xcnt 0x1
	s_delay_alu instid0(VALU_DEP_1)
	v_cvt_i32_f32_e32 v34, v11
	s_branch .LBB55_4294
.LBB55_4285:
	s_mov_b32 s0, -1
	s_mov_b32 s9, 0
                                        ; implicit-def: $vgpr34
	s_branch .LBB55_4356
.LBB55_4286:
	s_mov_b32 s24, -1
	s_mov_b32 s9, 0
	s_mov_b32 s0, 0
                                        ; implicit-def: $vgpr34
	s_branch .LBB55_4321
.LBB55_4287:
	s_mov_b32 s24, -1
	s_mov_b32 s9, 0
	s_mov_b32 s0, 0
                                        ; implicit-def: $vgpr34
	s_branch .LBB55_4304
.LBB55_4288:
	s_mov_b32 s24, -1
	s_mov_b32 s9, 0
	s_mov_b32 s0, 0
                                        ; implicit-def: $vgpr34
	s_branch .LBB55_4299
.LBB55_4289:
	s_or_b32 s46, s46, exec_lo
	s_trap 2
	s_cbranch_execz .LBB55_4226
	s_branch .LBB55_4227
.LBB55_4290:
	s_mov_b32 s24, -1
	s_mov_b32 s9, 0
	s_mov_b32 s0, 0
	s_branch .LBB55_4293
.LBB55_4291:
	s_or_b32 exec_lo, exec_lo, s21
	s_branch .LBB55_2085
.LBB55_4292:
	s_mov_b32 s0, -1
	s_mov_b32 s9, 0
.LBB55_4293:
                                        ; implicit-def: $vgpr34
.LBB55_4294:
	s_and_b32 vcc_lo, exec_lo, s24
	s_cbranch_vccz .LBB55_4298
; %bb.4295:
	s_cmp_eq_u32 s61, 44
	s_cbranch_scc0 .LBB55_4297
; %bb.4296:
	global_load_u8 v11, v[28:29], off
	s_mov_b32 s0, 0
	s_mov_b32 s9, -1
	s_wait_loadcnt 0x0
	v_lshlrev_b32_e32 v13, 23, v11
	v_cmp_ne_u32_e32 vcc_lo, 0, v11
	s_delay_alu instid0(VALU_DEP_2) | instskip(SKIP_1) | instid1(VALU_DEP_1)
	v_cvt_i32_f32_e32 v13, v13
	s_wait_xcnt 0x1
	v_cndmask_b32_e32 v34, 0, v13, vcc_lo
	s_branch .LBB55_4298
.LBB55_4297:
	s_mov_b32 s0, -1
                                        ; implicit-def: $vgpr34
.LBB55_4298:
	s_mov_b32 s24, 0
.LBB55_4299:
	s_delay_alu instid0(SALU_CYCLE_1)
	s_and_b32 vcc_lo, exec_lo, s24
	s_cbranch_vccz .LBB55_4303
; %bb.4300:
	s_cmp_eq_u32 s61, 29
	s_cbranch_scc0 .LBB55_4302
; %bb.4301:
	global_load_b32 v34, v[28:29], off
	s_mov_b32 s0, 0
	s_mov_b32 s9, -1
	s_branch .LBB55_4303
.LBB55_4302:
	s_mov_b32 s0, -1
                                        ; implicit-def: $vgpr34
.LBB55_4303:
	s_mov_b32 s24, 0
.LBB55_4304:
	s_delay_alu instid0(SALU_CYCLE_1)
	s_and_b32 vcc_lo, exec_lo, s24
	s_cbranch_vccz .LBB55_4320
; %bb.4305:
	s_cmp_lt_i32 s61, 27
	s_cbranch_scc1 .LBB55_4308
; %bb.4306:
	s_cmp_gt_i32 s61, 27
	s_cbranch_scc0 .LBB55_4309
; %bb.4307:
	s_wait_loadcnt 0x0
	global_load_b32 v34, v[28:29], off
	s_mov_b32 s9, 0
	s_branch .LBB55_4310
.LBB55_4308:
	s_mov_b32 s9, -1
                                        ; implicit-def: $vgpr34
	s_branch .LBB55_4313
.LBB55_4309:
	s_mov_b32 s9, -1
                                        ; implicit-def: $vgpr34
.LBB55_4310:
	s_delay_alu instid0(SALU_CYCLE_1)
	s_and_not1_b32 vcc_lo, exec_lo, s9
	s_cbranch_vccnz .LBB55_4312
; %bb.4311:
	s_wait_loadcnt 0x0
	global_load_u16 v34, v[28:29], off
.LBB55_4312:
	s_mov_b32 s9, 0
.LBB55_4313:
	s_delay_alu instid0(SALU_CYCLE_1)
	s_and_not1_b32 vcc_lo, exec_lo, s9
	s_cbranch_vccnz .LBB55_4319
; %bb.4314:
	global_load_u8 v11, v[28:29], off
	s_mov_b32 s24, 0
	s_mov_b32 s9, exec_lo
	s_wait_loadcnt 0x0
	v_cmpx_lt_i16_e32 0x7f, v11
	s_xor_b32 s9, exec_lo, s9
	s_cbranch_execz .LBB55_4331
; %bb.4315:
	v_cmp_ne_u16_e32 vcc_lo, 0x80, v11
	s_and_b32 s24, vcc_lo, exec_lo
	s_and_not1_saveexec_b32 s9, s9
	s_cbranch_execnz .LBB55_4332
.LBB55_4316:
	s_or_b32 exec_lo, exec_lo, s9
	v_mov_b32_e32 v34, 0
	s_and_saveexec_b32 s9, s24
	s_cbranch_execz .LBB55_4318
.LBB55_4317:
	v_and_b32_e32 v13, 0xffff, v11
	s_delay_alu instid0(VALU_DEP_1) | instskip(SKIP_1) | instid1(VALU_DEP_2)
	v_dual_lshlrev_b32 v11, 24, v11 :: v_dual_bitop2_b32 v15, 7, v13 bitop3:0x40
	v_bfe_u32 v21, v13, 3, 4
	v_and_b32_e32 v11, 0x80000000, v11
	s_delay_alu instid0(VALU_DEP_3) | instskip(NEXT) | instid1(VALU_DEP_3)
	v_clz_i32_u32_e32 v17, v15
	v_cmp_eq_u32_e32 vcc_lo, 0, v21
	s_delay_alu instid0(VALU_DEP_2) | instskip(NEXT) | instid1(VALU_DEP_1)
	v_min_u32_e32 v17, 32, v17
	v_subrev_nc_u32_e32 v19, 28, v17
	v_sub_nc_u32_e32 v17, 29, v17
	s_delay_alu instid0(VALU_DEP_2) | instskip(NEXT) | instid1(VALU_DEP_2)
	v_lshlrev_b32_e32 v13, v19, v13
	v_cndmask_b32_e32 v17, v21, v17, vcc_lo
	s_delay_alu instid0(VALU_DEP_2) | instskip(NEXT) | instid1(VALU_DEP_1)
	v_and_b32_e32 v13, 7, v13
	v_cndmask_b32_e32 v13, v15, v13, vcc_lo
	s_delay_alu instid0(VALU_DEP_3) | instskip(NEXT) | instid1(VALU_DEP_2)
	v_lshl_add_u32 v15, v17, 23, 0x3b800000
	v_lshlrev_b32_e32 v13, 20, v13
	s_delay_alu instid0(VALU_DEP_1) | instskip(NEXT) | instid1(VALU_DEP_1)
	v_or3_b32 v11, v11, v15, v13
	v_cvt_i32_f32_e32 v34, v11
.LBB55_4318:
	s_or_b32 exec_lo, exec_lo, s9
.LBB55_4319:
	s_mov_b32 s9, -1
.LBB55_4320:
	s_mov_b32 s24, 0
.LBB55_4321:
	s_delay_alu instid0(SALU_CYCLE_1)
	s_and_b32 vcc_lo, exec_lo, s24
	s_cbranch_vccz .LBB55_4352
; %bb.4322:
	s_cmp_gt_i32 s61, 22
	s_cbranch_scc0 .LBB55_4330
; %bb.4323:
	s_cmp_lt_i32 s61, 24
	s_cbranch_scc1 .LBB55_4333
; %bb.4324:
	s_cmp_gt_i32 s61, 24
	s_cbranch_scc0 .LBB55_4334
; %bb.4325:
	global_load_u8 v11, v[28:29], off
	s_mov_b32 s9, 0
	s_mov_b32 s1, exec_lo
	s_wait_loadcnt 0x0
	v_cmpx_lt_i16_e32 0x7f, v11
	s_xor_b32 s1, exec_lo, s1
	s_cbranch_execz .LBB55_4346
; %bb.4326:
	v_cmp_ne_u16_e32 vcc_lo, 0x80, v11
	s_and_b32 s9, vcc_lo, exec_lo
	s_and_not1_saveexec_b32 s1, s1
	s_cbranch_execnz .LBB55_4347
.LBB55_4327:
	s_or_b32 exec_lo, exec_lo, s1
	v_mov_b32_e32 v34, 0
	s_and_saveexec_b32 s1, s9
	s_cbranch_execz .LBB55_4329
.LBB55_4328:
	v_and_b32_e32 v13, 0xffff, v11
	s_delay_alu instid0(VALU_DEP_1) | instskip(SKIP_1) | instid1(VALU_DEP_2)
	v_dual_lshlrev_b32 v11, 24, v11 :: v_dual_bitop2_b32 v15, 3, v13 bitop3:0x40
	v_bfe_u32 v21, v13, 2, 5
	v_and_b32_e32 v11, 0x80000000, v11
	s_delay_alu instid0(VALU_DEP_3) | instskip(NEXT) | instid1(VALU_DEP_3)
	v_clz_i32_u32_e32 v17, v15
	v_cmp_eq_u32_e32 vcc_lo, 0, v21
	s_delay_alu instid0(VALU_DEP_2) | instskip(NEXT) | instid1(VALU_DEP_1)
	v_min_u32_e32 v17, 32, v17
	v_subrev_nc_u32_e32 v19, 29, v17
	v_sub_nc_u32_e32 v17, 30, v17
	s_delay_alu instid0(VALU_DEP_2) | instskip(NEXT) | instid1(VALU_DEP_2)
	v_lshlrev_b32_e32 v13, v19, v13
	v_cndmask_b32_e32 v17, v21, v17, vcc_lo
	s_delay_alu instid0(VALU_DEP_2) | instskip(NEXT) | instid1(VALU_DEP_1)
	v_and_b32_e32 v13, 3, v13
	v_cndmask_b32_e32 v13, v15, v13, vcc_lo
	s_delay_alu instid0(VALU_DEP_3) | instskip(NEXT) | instid1(VALU_DEP_2)
	v_lshl_add_u32 v15, v17, 23, 0x37800000
	v_lshlrev_b32_e32 v13, 21, v13
	s_delay_alu instid0(VALU_DEP_1) | instskip(NEXT) | instid1(VALU_DEP_1)
	v_or3_b32 v11, v11, v15, v13
	v_cvt_i32_f32_e32 v34, v11
.LBB55_4329:
	s_or_b32 exec_lo, exec_lo, s1
	s_mov_b32 s1, 0
	s_branch .LBB55_4335
.LBB55_4330:
	s_mov_b32 s1, -1
                                        ; implicit-def: $vgpr34
	s_branch .LBB55_4341
.LBB55_4331:
	s_and_not1_saveexec_b32 s9, s9
	s_cbranch_execz .LBB55_4316
.LBB55_4332:
	v_cmp_ne_u16_e32 vcc_lo, 0, v11
	s_and_not1_b32 s24, s24, exec_lo
	s_and_b32 s25, vcc_lo, exec_lo
	s_delay_alu instid0(SALU_CYCLE_1)
	s_or_b32 s24, s24, s25
	s_or_b32 exec_lo, exec_lo, s9
	v_mov_b32_e32 v34, 0
	s_and_saveexec_b32 s9, s24
	s_cbranch_execnz .LBB55_4317
	s_branch .LBB55_4318
.LBB55_4333:
	s_mov_b32 s1, -1
                                        ; implicit-def: $vgpr34
	s_branch .LBB55_4338
.LBB55_4334:
	s_mov_b32 s1, -1
                                        ; implicit-def: $vgpr34
.LBB55_4335:
	s_delay_alu instid0(SALU_CYCLE_1)
	s_and_b32 vcc_lo, exec_lo, s1
	s_cbranch_vccz .LBB55_4337
; %bb.4336:
	global_load_u8 v11, v[28:29], off
	s_wait_loadcnt 0x0
	v_lshlrev_b32_e32 v11, 24, v11
	s_delay_alu instid0(VALU_DEP_1) | instskip(NEXT) | instid1(VALU_DEP_1)
	v_and_b32_e32 v13, 0x7f000000, v11
	v_clz_i32_u32_e32 v15, v13
	v_add_nc_u32_e32 v19, 0x1000000, v13
	v_cmp_ne_u32_e32 vcc_lo, 0, v13
	s_delay_alu instid0(VALU_DEP_3) | instskip(NEXT) | instid1(VALU_DEP_1)
	v_min_u32_e32 v15, 32, v15
	v_sub_nc_u32_e64 v15, v15, 4 clamp
	s_delay_alu instid0(VALU_DEP_1) | instskip(NEXT) | instid1(VALU_DEP_1)
	v_dual_lshlrev_b32 v17, v15, v13 :: v_dual_lshlrev_b32 v15, 23, v15
	v_lshrrev_b32_e32 v17, 4, v17
	s_delay_alu instid0(VALU_DEP_1) | instskip(SKIP_1) | instid1(VALU_DEP_2)
	v_sub_nc_u32_e32 v15, v17, v15
	v_ashrrev_i32_e32 v17, 8, v19
	v_add_nc_u32_e32 v15, 0x3c000000, v15
	s_delay_alu instid0(VALU_DEP_1) | instskip(NEXT) | instid1(VALU_DEP_1)
	v_and_or_b32 v15, 0x7f800000, v17, v15
	v_cndmask_b32_e32 v13, 0, v15, vcc_lo
	s_delay_alu instid0(VALU_DEP_1) | instskip(SKIP_1) | instid1(VALU_DEP_1)
	v_and_or_b32 v11, 0x80000000, v11, v13
	s_wait_xcnt 0x1
	v_cvt_i32_f32_e32 v34, v11
.LBB55_4337:
	s_mov_b32 s1, 0
.LBB55_4338:
	s_delay_alu instid0(SALU_CYCLE_1)
	s_and_not1_b32 vcc_lo, exec_lo, s1
	s_cbranch_vccnz .LBB55_4340
; %bb.4339:
	global_load_u8 v11, v[28:29], off
	s_wait_loadcnt 0x0
	v_lshlrev_b32_e32 v13, 25, v11
	v_lshlrev_b16 v11, 8, v11
	s_delay_alu instid0(VALU_DEP_1) | instskip(SKIP_1) | instid1(VALU_DEP_2)
	v_and_or_b32 v17, 0x7f00, v11, 0.5
	v_bfe_i32 v11, v11, 0, 16
	v_add_f32_e32 v17, -0.5, v17
	v_lshrrev_b32_e32 v15, 4, v13
	v_cmp_gt_u32_e32 vcc_lo, 0x8000000, v13
	s_delay_alu instid0(VALU_DEP_2) | instskip(NEXT) | instid1(VALU_DEP_1)
	v_or_b32_e32 v15, 0x70000000, v15
	v_mul_f32_e32 v15, 0x7800000, v15
	s_delay_alu instid0(VALU_DEP_1) | instskip(NEXT) | instid1(VALU_DEP_1)
	v_cndmask_b32_e32 v13, v15, v17, vcc_lo
	v_and_or_b32 v11, 0x80000000, v11, v13
	s_wait_xcnt 0x1
	s_delay_alu instid0(VALU_DEP_1)
	v_cvt_i32_f32_e32 v34, v11
.LBB55_4340:
	s_mov_b32 s1, 0
	s_mov_b32 s9, -1
.LBB55_4341:
	s_and_not1_b32 vcc_lo, exec_lo, s1
	s_mov_b32 s1, 0
	s_cbranch_vccnz .LBB55_4352
; %bb.4342:
	s_cmp_gt_i32 s61, 14
	s_cbranch_scc0 .LBB55_4345
; %bb.4343:
	s_cmp_eq_u32 s61, 15
	s_cbranch_scc0 .LBB55_4348
; %bb.4344:
	global_load_u16 v11, v[28:29], off
	s_mov_b32 s0, 0
	s_mov_b32 s9, -1
	s_wait_loadcnt 0x0
	v_lshlrev_b32_e32 v11, 16, v11
	s_wait_xcnt 0x1
	s_delay_alu instid0(VALU_DEP_1)
	v_cvt_i32_f32_e32 v34, v11
	s_branch .LBB55_4350
.LBB55_4345:
	s_mov_b32 s1, -1
	s_branch .LBB55_4349
.LBB55_4346:
	s_and_not1_saveexec_b32 s1, s1
	s_cbranch_execz .LBB55_4327
.LBB55_4347:
	v_cmp_ne_u16_e32 vcc_lo, 0, v11
	s_and_not1_b32 s9, s9, exec_lo
	s_and_b32 s24, vcc_lo, exec_lo
	s_delay_alu instid0(SALU_CYCLE_1)
	s_or_b32 s9, s9, s24
	s_or_b32 exec_lo, exec_lo, s1
	v_mov_b32_e32 v34, 0
	s_and_saveexec_b32 s1, s9
	s_cbranch_execnz .LBB55_4328
	s_branch .LBB55_4329
.LBB55_4348:
	s_mov_b32 s0, -1
.LBB55_4349:
                                        ; implicit-def: $vgpr34
.LBB55_4350:
	s_and_b32 vcc_lo, exec_lo, s1
	s_mov_b32 s1, 0
	s_cbranch_vccz .LBB55_4352
; %bb.4351:
	s_cmp_lg_u32 s61, 11
	s_mov_b32 s1, -1
	s_cselect_b32 s0, -1, 0
.LBB55_4352:
	s_delay_alu instid0(SALU_CYCLE_1)
	s_and_b32 vcc_lo, exec_lo, s0
	s_cbranch_vccnz .LBB55_4440
; %bb.4353:
	s_and_not1_b32 vcc_lo, exec_lo, s1
	s_cbranch_vccnz .LBB55_4355
.LBB55_4354:
	global_load_u8 v11, v[28:29], off
	s_mov_b32 s9, -1
	s_wait_loadcnt 0x0
	v_cmp_ne_u16_e32 vcc_lo, 0, v11
	s_wait_xcnt 0x1
	v_cndmask_b32_e64 v34, 0, 1, vcc_lo
.LBB55_4355:
	s_mov_b32 s0, 0
.LBB55_4356:
	s_delay_alu instid0(SALU_CYCLE_1)
	s_and_b32 vcc_lo, exec_lo, s0
	s_cbranch_vccz .LBB55_4405
; %bb.4357:
	s_cmp_lt_i32 s61, 5
	s_cbranch_scc1 .LBB55_4362
; %bb.4358:
	s_cmp_lt_i32 s61, 8
	s_cbranch_scc1 .LBB55_4363
	;; [unrolled: 3-line block ×3, first 2 shown]
; %bb.4360:
	s_cmp_gt_i32 s61, 9
	s_cbranch_scc0 .LBB55_4365
; %bb.4361:
	s_wait_loadcnt 0x0
	global_load_b64 v[34:35], v[28:29], off
	s_mov_b32 s0, 0
	s_wait_loadcnt 0x0
	v_cvt_i32_f64_e32 v34, v[34:35]
	s_branch .LBB55_4366
.LBB55_4362:
	s_mov_b32 s0, -1
                                        ; implicit-def: $vgpr34
	s_branch .LBB55_4384
.LBB55_4363:
	s_mov_b32 s0, -1
                                        ; implicit-def: $vgpr34
	s_branch .LBB55_4372
.LBB55_4364:
	s_mov_b32 s0, -1
                                        ; implicit-def: $vgpr34
	s_branch .LBB55_4369
.LBB55_4365:
	s_mov_b32 s0, -1
                                        ; implicit-def: $vgpr34
.LBB55_4366:
	s_delay_alu instid0(SALU_CYCLE_1)
	s_and_not1_b32 vcc_lo, exec_lo, s0
	s_cbranch_vccnz .LBB55_4368
; %bb.4367:
	global_load_b32 v11, v[28:29], off
	s_wait_loadcnt 0x0
	s_wait_xcnt 0x1
	v_cvt_i32_f32_e32 v34, v11
.LBB55_4368:
	s_mov_b32 s0, 0
.LBB55_4369:
	s_delay_alu instid0(SALU_CYCLE_1)
	s_and_not1_b32 vcc_lo, exec_lo, s0
	s_cbranch_vccnz .LBB55_4371
; %bb.4370:
	global_load_b32 v11, v[28:29], off
	s_wait_loadcnt 0x0
	v_cvt_f32_f16_e32 v11, v11
	s_wait_xcnt 0x1
	s_delay_alu instid0(VALU_DEP_1)
	v_cvt_i32_f32_e32 v34, v11
.LBB55_4371:
	s_mov_b32 s0, 0
.LBB55_4372:
	s_delay_alu instid0(SALU_CYCLE_1)
	s_and_not1_b32 vcc_lo, exec_lo, s0
	s_cbranch_vccnz .LBB55_4383
; %bb.4373:
	s_cmp_lt_i32 s61, 6
	s_cbranch_scc1 .LBB55_4376
; %bb.4374:
	s_cmp_gt_i32 s61, 6
	s_cbranch_scc0 .LBB55_4377
; %bb.4375:
	s_wait_loadcnt 0x0
	global_load_b64 v[34:35], v[28:29], off
	s_mov_b32 s0, 0
	s_wait_loadcnt 0x0
	v_cvt_i32_f64_e32 v34, v[34:35]
	s_branch .LBB55_4378
.LBB55_4376:
	s_mov_b32 s0, -1
                                        ; implicit-def: $vgpr34
	s_branch .LBB55_4381
.LBB55_4377:
	s_mov_b32 s0, -1
                                        ; implicit-def: $vgpr34
.LBB55_4378:
	s_delay_alu instid0(SALU_CYCLE_1)
	s_and_not1_b32 vcc_lo, exec_lo, s0
	s_cbranch_vccnz .LBB55_4380
; %bb.4379:
	global_load_b32 v11, v[28:29], off
	s_wait_loadcnt 0x0
	s_wait_xcnt 0x1
	v_cvt_i32_f32_e32 v34, v11
.LBB55_4380:
	s_mov_b32 s0, 0
.LBB55_4381:
	s_delay_alu instid0(SALU_CYCLE_1)
	s_and_not1_b32 vcc_lo, exec_lo, s0
	s_cbranch_vccnz .LBB55_4383
; %bb.4382:
	global_load_u16 v11, v[28:29], off
	s_wait_loadcnt 0x0
	v_cvt_f32_f16_e32 v11, v11
	s_wait_xcnt 0x1
	s_delay_alu instid0(VALU_DEP_1)
	v_cvt_i32_f32_e32 v34, v11
.LBB55_4383:
	s_mov_b32 s0, 0
.LBB55_4384:
	s_delay_alu instid0(SALU_CYCLE_1)
	s_and_not1_b32 vcc_lo, exec_lo, s0
	s_cbranch_vccnz .LBB55_4404
; %bb.4385:
	s_cmp_lt_i32 s61, 2
	s_cbranch_scc1 .LBB55_4389
; %bb.4386:
	s_cmp_lt_i32 s61, 3
	s_cbranch_scc1 .LBB55_4390
; %bb.4387:
	s_cmp_gt_i32 s61, 3
	s_cbranch_scc0 .LBB55_4391
; %bb.4388:
	s_wait_loadcnt 0x0
	global_load_b32 v34, v[28:29], off
	s_mov_b32 s0, 0
	s_branch .LBB55_4392
.LBB55_4389:
	s_mov_b32 s0, -1
                                        ; implicit-def: $vgpr34
	s_branch .LBB55_4398
.LBB55_4390:
	s_mov_b32 s0, -1
                                        ; implicit-def: $vgpr34
	s_branch .LBB55_4395
.LBB55_4391:
	s_mov_b32 s0, -1
                                        ; implicit-def: $vgpr34
.LBB55_4392:
	s_delay_alu instid0(SALU_CYCLE_1)
	s_and_not1_b32 vcc_lo, exec_lo, s0
	s_cbranch_vccnz .LBB55_4394
; %bb.4393:
	s_wait_loadcnt 0x0
	global_load_b32 v34, v[28:29], off
.LBB55_4394:
	s_mov_b32 s0, 0
.LBB55_4395:
	s_delay_alu instid0(SALU_CYCLE_1)
	s_and_not1_b32 vcc_lo, exec_lo, s0
	s_cbranch_vccnz .LBB55_4397
; %bb.4396:
	s_wait_loadcnt 0x0
	global_load_i16 v34, v[28:29], off
.LBB55_4397:
	s_mov_b32 s0, 0
.LBB55_4398:
	s_delay_alu instid0(SALU_CYCLE_1)
	s_and_not1_b32 vcc_lo, exec_lo, s0
	s_cbranch_vccnz .LBB55_4404
; %bb.4399:
	s_cmp_gt_i32 s61, 0
	s_mov_b32 s0, 0
	s_cbranch_scc0 .LBB55_4401
; %bb.4400:
	s_wait_loadcnt 0x0
	global_load_i8 v34, v[28:29], off
	s_branch .LBB55_4402
.LBB55_4401:
	s_mov_b32 s0, -1
                                        ; implicit-def: $vgpr34
.LBB55_4402:
	s_delay_alu instid0(SALU_CYCLE_1)
	s_and_not1_b32 vcc_lo, exec_lo, s0
	s_cbranch_vccnz .LBB55_4404
; %bb.4403:
	s_wait_loadcnt 0x0
	global_load_u8 v34, v[28:29], off
.LBB55_4404:
	s_mov_b32 s9, -1
.LBB55_4405:
	s_delay_alu instid0(SALU_CYCLE_1)
	s_and_not1_b32 vcc_lo, exec_lo, s9
	s_cbranch_vccnz .LBB55_4414
; %bb.4406:
	s_mov_b32 s0, exec_lo
	s_wait_loadcnt 0x0
	v_cmpx_ne_u32_e64 v7, v1
	s_xor_b32 s0, exec_lo, s0
	s_cbranch_execnz .LBB55_4574
.LBB55_4407:
	s_or_saveexec_b32 s49, s0
	s_mov_b32 s1, 0
	s_mov_b32 s9, 0
                                        ; implicit-def: $vgpr38_vgpr39
                                        ; implicit-def: $sgpr0
	s_xor_b32 exec_lo, exec_lo, s49
	s_cbranch_execz .LBB55_5085
; %bb.4408:
	s_mov_b32 s50, s46
	s_mov_b32 s0, exec_lo
	v_cmpx_ne_u32_e64 v9, v3
	s_xor_b32 s0, exec_lo, s0
	s_cbranch_execnz .LBB55_4702
; %bb.4409:
	s_or_saveexec_b32 s51, s0
                                        ; implicit-def: $vgpr38_vgpr39
                                        ; implicit-def: $sgpr0
	s_delay_alu instid0(SALU_CYCLE_1)
	s_xor_b32 exec_lo, exec_lo, s51
	s_cbranch_execz .LBB55_5084
.LBB55_4410:
	v_sub_nc_u32_e32 v7, v30, v32
	s_mov_b32 s52, s50
	s_delay_alu instid0(VALU_DEP_1) | instskip(SKIP_2) | instid1(SALU_CYCLE_1)
	v_cmp_gt_i32_e32 vcc_lo, v1, v7
	v_cmp_lt_i32_e64 s0, s20, v7
	s_or_b32 s0, vcc_lo, s0
	s_and_saveexec_b32 s1, s0
	s_delay_alu instid0(SALU_CYCLE_1)
	s_xor_b32 s0, exec_lo, s1
	s_cbranch_execnz .LBB55_4830
; %bb.4411:
	s_or_saveexec_b32 s53, s0
	s_mov_b32 s1, 0
                                        ; implicit-def: $vgpr38_vgpr39
                                        ; implicit-def: $sgpr0
	s_xor_b32 exec_lo, exec_lo, s53
	s_cbranch_execz .LBB55_5083
.LBB55_4412:
	v_cmp_ne_u32_e32 vcc_lo, 1, v5
	v_mov_b64_e32 v[28:29], 0
	s_cbranch_vccnz .LBB55_4425
; %bb.4413:
	v_dual_mov_b32 v36, 0 :: v_dual_ashrrev_i32 v35, 31, v34
	s_load_b128 s[28:31], s[2:3], 0x298
	v_mov_b64_e32 v[28:29], 0
	s_mov_b32 s9, s1
	s_delay_alu instid0(VALU_DEP_2)
	v_mul_u64_e32 v[34:35], s[10:11], v[34:35]
	s_lshl_b64 s[34:35], s[8:9], 3
	s_mov_b64 s[24:25], 0xffffffff
	s_mov_b32 s9, s47
	s_wait_kmcnt 0x0
	s_add_nc_u64 s[26:27], s[28:29], s[34:35]
	s_add_nc_u64 s[28:29], s[30:31], s[34:35]
	s_branch .LBB55_4421
.LBB55_4414:
	s_mov_b32 s1, 0
	s_mov_b32 s9, 0
                                        ; implicit-def: $vgpr38_vgpr39
                                        ; implicit-def: $sgpr0
.LBB55_4415:
	s_wait_xcnt 0x0
	s_and_not1_b32 s2, s44, exec_lo
	s_and_b32 s3, s46, exec_lo
	s_and_b32 s9, s9, exec_lo
	;; [unrolled: 1-line block ×3, first 2 shown]
	s_or_b32 s44, s2, s3
.LBB55_4416:
	s_or_b32 exec_lo, exec_lo, s45
	s_wait_xcnt 0x0
	s_and_not1_b32 s2, s21, exec_lo
	s_and_b32 s3, s44, exec_lo
	s_and_b32 s8, s9, exec_lo
	;; [unrolled: 1-line block ×3, first 2 shown]
	s_or_b32 s21, s2, s3
.LBB55_4417:
	s_or_b32 exec_lo, exec_lo, s43
	s_delay_alu instid0(SALU_CYCLE_1)
	s_and_not1_b32 s2, s41, exec_lo
	s_and_b32 s3, s21, exec_lo
	s_and_b32 s8, s8, exec_lo
	;; [unrolled: 1-line block ×3, first 2 shown]
	s_or_b32 s41, s2, s3
.LBB55_4418:
	s_or_b32 exec_lo, exec_lo, s42
	s_delay_alu instid0(SALU_CYCLE_1)
	s_and_not1_b32 s2, s33, exec_lo
	s_and_b32 s3, s41, exec_lo
	s_and_b32 s8, s8, exec_lo
	;; [unrolled: 1-line block ×3, first 2 shown]
	s_or_b32 s33, s2, s3
.LBB55_4419:
	s_or_b32 exec_lo, exec_lo, s40
	s_branch .LBB55_3531
.LBB55_4420:                            ;   in Loop: Header=BB55_4421 Depth=1
	s_or_b32 exec_lo, exec_lo, s0
	global_load_b64 v[40:41], v36, s[28:29]
	v_mul_u64_e32 v[42:43], s[30:31], v[38:39]
	s_add_co_i32 s9, s9, -1
	s_add_nc_u64 s[26:27], s[26:27], -8
	s_cmp_eq_u32 s9, 0
	s_wait_xcnt 0x0
	s_add_nc_u64 s[28:29], s[28:29], -8
	s_delay_alu instid0(VALU_DEP_1) | instskip(SKIP_1) | instid1(VALU_DEP_1)
	v_sub_nc_u64_e32 v[34:35], v[34:35], v[42:43]
	s_wait_loadcnt 0x0
	v_mad_nc_u64_u32 v[28:29], v34, v40, v[28:29]
	s_delay_alu instid0(VALU_DEP_1) | instskip(NEXT) | instid1(VALU_DEP_1)
	v_mad_u32 v7, v35, v40, v29
	v_mad_u32 v29, v34, v41, v7
	v_mov_b64_e32 v[34:35], v[38:39]
	s_cbranch_scc1 .LBB55_4425
.LBB55_4421:                            ; =>This Inner Loop Header: Depth=1
	global_load_b64 v[38:39], v36, s[26:27]
	s_mov_b32 s0, exec_lo
	s_wait_loadcnt 0x0
	v_or_b32_e32 v37, v35, v39
	v_readfirstlane_b32 s30, v38
	v_readfirstlane_b32 s31, v39
                                        ; implicit-def: $vgpr38_vgpr39
	s_wait_xcnt 0x0
	s_delay_alu instid0(VALU_DEP_3)
	v_cmpx_ne_u64_e32 0, v[36:37]
	s_xor_b32 s54, exec_lo, s0
	s_cbranch_execz .LBB55_4423
; %bb.4422:                             ;   in Loop: Header=BB55_4421 Depth=1
	s_ashr_i32 s34, s31, 31
	v_dual_mov_b32 v43, v36 :: v_dual_ashrrev_i32 v38, 31, v35
	s_mov_b32 s35, s34
	s_delay_alu instid0(SALU_CYCLE_1) | instskip(NEXT) | instid1(VALU_DEP_1)
	s_add_nc_u64 s[36:37], s[30:31], s[34:35]
	v_mov_b32_e32 v39, v38
	s_xor_b64 s[36:37], s[36:37], s[34:35]
	s_delay_alu instid0(SALU_CYCLE_1)
	s_cvt_f32_u32 s0, s36
	s_cvt_f32_u32 s35, s37
	s_sub_nc_u64 s[64:65], 0, s[36:37]
	v_add_nc_u64_e32 v[40:41], v[34:35], v[38:39]
	v_mov_b32_e32 v47, v36
	s_fmamk_f32 s0, s35, 0x4f800000, s0
	s_delay_alu instid0(SALU_CYCLE_3) | instskip(NEXT) | instid1(VALU_DEP_2)
	v_s_rcp_f32 s0, s0
	v_xor_b32_e32 v42, v40, v38
	s_delay_alu instid0(VALU_DEP_3) | instskip(NEXT) | instid1(TRANS32_DEP_1)
	v_dual_mov_b32 v51, v36 :: v_dual_bitop2_b32 v46, v41, v38 bitop3:0x14
	s_mul_f32 s0, s0, 0x5f7ffffc
	s_delay_alu instid0(SALU_CYCLE_3) | instskip(NEXT) | instid1(SALU_CYCLE_3)
	s_mul_f32 s35, s0, 0x2f800000
	s_trunc_f32 s35, s35
	s_delay_alu instid0(SALU_CYCLE_3) | instskip(SKIP_1) | instid1(SALU_CYCLE_2)
	s_fmamk_f32 s0, s35, 0xcf800000, s0
	s_cvt_u32_f32 s63, s35
	s_cvt_u32_f32 s62, s0
	s_delay_alu instid0(SALU_CYCLE_3) | instskip(NEXT) | instid1(SALU_CYCLE_1)
	s_mul_u64 s[66:67], s[64:65], s[62:63]
	s_mul_hi_u32 s69, s62, s67
	s_mul_i32 s68, s62, s67
	s_mul_hi_u32 s0, s62, s66
	s_mul_i32 s55, s63, s66
	s_add_nc_u64 s[68:69], s[0:1], s[68:69]
	s_mul_hi_u32 s35, s63, s66
	s_mul_hi_u32 s56, s63, s67
	s_add_co_u32 s0, s68, s55
	s_add_co_ci_u32 s0, s69, s35
	s_mul_i32 s66, s63, s67
	s_add_co_ci_u32 s67, s56, 0
	s_delay_alu instid0(SALU_CYCLE_1) | instskip(NEXT) | instid1(SALU_CYCLE_1)
	s_add_nc_u64 s[66:67], s[0:1], s[66:67]
	s_add_co_u32 s62, s62, s66
	s_cselect_b32 s0, -1, 0
	s_delay_alu instid0(SALU_CYCLE_1) | instskip(SKIP_1) | instid1(SALU_CYCLE_1)
	s_cmp_lg_u32 s0, 0
	s_add_co_ci_u32 s63, s63, s67
	s_mul_u64 s[64:65], s[64:65], s[62:63]
	s_delay_alu instid0(SALU_CYCLE_1)
	s_mul_hi_u32 s67, s62, s65
	s_mul_i32 s66, s62, s65
	s_mul_hi_u32 s0, s62, s64
	s_mul_i32 s55, s63, s64
	s_add_nc_u64 s[66:67], s[0:1], s[66:67]
	s_mul_hi_u32 s35, s63, s64
	s_mul_hi_u32 s56, s63, s65
	s_add_co_u32 s0, s66, s55
	s_add_co_ci_u32 s0, s67, s35
	s_mul_i32 s64, s63, s65
	s_add_co_ci_u32 s65, s56, 0
	s_delay_alu instid0(SALU_CYCLE_1) | instskip(NEXT) | instid1(SALU_CYCLE_1)
	s_add_nc_u64 s[64:65], s[0:1], s[64:65]
	s_add_co_u32 s56, s62, s64
	s_cselect_b32 s0, -1, 0
	v_mul_hi_u32 v50, v42, s56
	s_cmp_lg_u32 s0, 0
	s_add_co_ci_u32 s0, s63, s65
	s_and_b64 s[62:63], s[56:57], s[24:25]
	v_mul_u64_e32 v[44:45], s[0:1], v[42:43]
	v_mul_u64_e32 v[40:41], s[62:63], v[46:47]
	;; [unrolled: 1-line block ×3, first 2 shown]
	s_delay_alu instid0(VALU_DEP_3) | instskip(NEXT) | instid1(VALU_DEP_1)
	v_add_nc_u64_e32 v[44:45], v[50:51], v[44:45]
	v_add_co_u32 v7, vcc_lo, v44, v40
	s_delay_alu instid0(VALU_DEP_2) | instskip(NEXT) | instid1(VALU_DEP_4)
	v_add_co_ci_u32_e32 v50, vcc_lo, v45, v41, vcc_lo
	v_add_co_ci_u32_e32 v49, vcc_lo, 0, v49, vcc_lo
	s_delay_alu instid0(VALU_DEP_1) | instskip(NEXT) | instid1(VALU_DEP_1)
	v_add_nc_u64_e32 v[40:41], v[50:51], v[48:49]
	v_mul_u64_e32 v[44:45], s[36:37], v[40:41]
	s_delay_alu instid0(VALU_DEP_1) | instskip(NEXT) | instid1(VALU_DEP_2)
	v_sub_nc_u32_e32 v7, v46, v45
	v_sub_co_u32 v9, vcc_lo, v42, v44
	s_delay_alu instid0(VALU_DEP_1) | instskip(NEXT) | instid1(VALU_DEP_3)
	v_sub_co_ci_u32_e64 v13, null, v46, v45, vcc_lo
	v_subrev_co_ci_u32_e64 v7, null, s37, v7, vcc_lo
	s_delay_alu instid0(VALU_DEP_3) | instskip(SKIP_1) | instid1(VALU_DEP_3)
	v_sub_co_u32 v11, s0, v9, s36
	v_add_nc_u64_e32 v[42:43], 2, v[40:41]
	v_subrev_co_ci_u32_e64 v7, null, 0, v7, s0
	s_delay_alu instid0(VALU_DEP_3) | instskip(SKIP_2) | instid1(VALU_DEP_4)
	v_cmp_le_u32_e32 vcc_lo, s36, v11
	v_add_nc_u64_e32 v[44:45], 1, v[40:41]
	v_cndmask_b32_e64 v11, 0, -1, vcc_lo
	v_cmp_le_u32_e32 vcc_lo, s37, v7
	v_cndmask_b32_e64 v15, 0, -1, vcc_lo
	v_cmp_le_u32_e32 vcc_lo, s36, v9
	;; [unrolled: 2-line block ×3, first 2 shown]
	v_cndmask_b32_e64 v17, 0, -1, vcc_lo
	v_cmp_eq_u32_e32 vcc_lo, s37, v7
	v_cndmask_b32_e32 v7, v15, v11, vcc_lo
	v_cmp_eq_u32_e32 vcc_lo, s37, v13
	s_delay_alu instid0(VALU_DEP_4) | instskip(NEXT) | instid1(VALU_DEP_3)
	v_cndmask_b32_e32 v9, v17, v9, vcc_lo
	v_cmp_ne_u32_e32 vcc_lo, 0, v7
	s_delay_alu instid0(VALU_DEP_2) | instskip(SKIP_1) | instid1(VALU_DEP_1)
	v_cmp_ne_u32_e64 s0, 0, v9
	v_dual_cndmask_b32 v7, v45, v43, vcc_lo :: v_dual_cndmask_b32 v9, v44, v42, vcc_lo
	v_dual_cndmask_b32 v7, v41, v7, s0 :: v_dual_bitop2_b32 v38, s34, v38 bitop3:0x14
	s_delay_alu instid0(VALU_DEP_1) | instskip(NEXT) | instid1(VALU_DEP_2)
	v_dual_cndmask_b32 v9, v40, v9, s0 :: v_dual_mov_b32 v39, v38
	v_xor_b32_e32 v41, v7, v38
	s_delay_alu instid0(VALU_DEP_2) | instskip(NEXT) | instid1(VALU_DEP_1)
	v_xor_b32_e32 v40, v9, v38
	v_sub_nc_u64_e32 v[38:39], v[40:41], v[38:39]
.LBB55_4423:                            ;   in Loop: Header=BB55_4421 Depth=1
	s_and_not1_saveexec_b32 s0, s54
	s_cbranch_execz .LBB55_4420
; %bb.4424:                             ;   in Loop: Header=BB55_4421 Depth=1
	v_cvt_f32_u32_e32 v7, s30
	s_sub_co_i32 s34, 0, s30
	v_mov_b32_e32 v39, v36
	s_delay_alu instid0(VALU_DEP_2) | instskip(SKIP_1) | instid1(TRANS32_DEP_1)
	v_rcp_iflag_f32_e32 v7, v7
	v_nop
	v_mul_f32_e32 v7, 0x4f7ffffe, v7
	s_delay_alu instid0(VALU_DEP_1) | instskip(NEXT) | instid1(VALU_DEP_1)
	v_cvt_u32_f32_e32 v7, v7
	v_mul_lo_u32 v9, s34, v7
	s_delay_alu instid0(VALU_DEP_1) | instskip(NEXT) | instid1(VALU_DEP_1)
	v_mul_hi_u32 v9, v7, v9
	v_add_nc_u32_e32 v7, v7, v9
	s_delay_alu instid0(VALU_DEP_1) | instskip(NEXT) | instid1(VALU_DEP_1)
	v_mul_hi_u32 v7, v34, v7
	v_mul_lo_u32 v9, v7, s30
	s_delay_alu instid0(VALU_DEP_1) | instskip(NEXT) | instid1(VALU_DEP_1)
	v_sub_nc_u32_e32 v9, v34, v9
	v_subrev_nc_u32_e32 v13, s30, v9
	v_cmp_le_u32_e32 vcc_lo, s30, v9
	s_delay_alu instid0(VALU_DEP_2) | instskip(NEXT) | instid1(VALU_DEP_1)
	v_dual_add_nc_u32 v11, 1, v7 :: v_dual_cndmask_b32 v9, v9, v13, vcc_lo
	v_cndmask_b32_e32 v7, v7, v11, vcc_lo
	s_delay_alu instid0(VALU_DEP_2) | instskip(NEXT) | instid1(VALU_DEP_2)
	v_cmp_le_u32_e32 vcc_lo, s30, v9
	v_add_nc_u32_e32 v11, 1, v7
	s_delay_alu instid0(VALU_DEP_1)
	v_cndmask_b32_e32 v38, v7, v11, vcc_lo
	s_branch .LBB55_4420
.LBB55_4425:
	s_mov_b32 s24, -1
	s_mov_b32 s54, s52
	s_mov_b32 s0, exec_lo
	v_cmpx_gt_i32_e64 v30, v32
	s_cbranch_execz .LBB55_4432
; %bb.4426:
	s_delay_alu instid0(VALU_DEP_2) | instskip(SKIP_3) | instid1(VALU_DEP_1)
	v_lshlrev_b64_e32 v[28:29], 2, v[28:29]
	v_dual_ashrrev_i32 v33, 31, v32 :: v_dual_ashrrev_i32 v31, 31, v30
	s_mov_b32 s9, 0
	s_xor_b32 s24, s48, -1
                                        ; implicit-def: $sgpr1
                                        ; implicit-def: $sgpr26
                                        ; implicit-def: $sgpr25
	v_lshl_add_u64 v[32:33], v[32:33], 2, v[28:29]
	s_wait_kmcnt 0x0
	v_add_nc_u64_e32 v[34:35], s[22:23], v[28:29]
	s_delay_alu instid0(VALU_DEP_2) | instskip(NEXT) | instid1(VALU_DEP_2)
	v_add_nc_u64_e32 v[32:33], s[22:23], v[32:33]
	v_lshl_add_u64 v[30:31], v[30:31], 2, v[34:35]
	s_delay_alu instid0(VALU_DEP_2)
	v_add_nc_u64_e32 v[28:29], 4, v[32:33]
	s_branch .LBB55_4428
.LBB55_4427:                            ;   in Loop: Header=BB55_4428 Depth=1
	s_or_b32 exec_lo, exec_lo, s27
	s_xor_b32 s27, s25, -1
	s_and_b32 s28, exec_lo, s26
	s_delay_alu instid0(SALU_CYCLE_1) | instskip(SKIP_2) | instid1(SALU_CYCLE_1)
	s_or_b32 s9, s28, s9
	s_and_not1_b32 s1, s1, exec_lo
	s_and_b32 s27, s27, exec_lo
	s_or_b32 s1, s1, s27
	s_and_not1_b32 exec_lo, exec_lo, s9
	s_cbranch_execz .LBB55_4430
.LBB55_4428:                            ; =>This Inner Loop Header: Depth=1
	s_or_b32 s25, s25, exec_lo
	s_or_b32 s26, s26, exec_lo
	s_mov_b32 s27, exec_lo
	s_delay_alu instid0(VALU_DEP_1)
	v_cmpx_lt_u64_e64 v[28:29], v[30:31]
	s_cbranch_execz .LBB55_4427
; %bb.4429:                             ;   in Loop: Header=BB55_4428 Depth=1
	global_load_b64 v[32:33], v[28:29], off offset:-4
	s_wait_xcnt 0x0
	v_add_nc_u64_e32 v[28:29], 4, v[28:29]
	s_and_not1_b32 s26, s26, exec_lo
	s_and_not1_b32 s25, s25, exec_lo
	s_wait_loadcnt 0x0
	v_cmp_ge_i32_e32 vcc_lo, v32, v33
	s_or_b32 s28, s24, vcc_lo
	s_delay_alu instid0(SALU_CYCLE_1) | instskip(NEXT) | instid1(SALU_CYCLE_1)
	s_and_b32 s28, s28, exec_lo
	s_or_b32 s26, s26, s28
	s_branch .LBB55_4427
.LBB55_4430:
	s_or_b32 exec_lo, exec_lo, s9
	s_mov_b32 s9, -1
	s_mov_b32 s24, s52
	s_and_saveexec_b32 s25, s1
	s_delay_alu instid0(SALU_CYCLE_1)
	s_xor_b32 s1, exec_lo, s25
	s_cbranch_execnz .LBB55_4445
.LBB55_4431:
	s_or_b32 exec_lo, exec_lo, s1
	s_delay_alu instid0(SALU_CYCLE_1) | instskip(SKIP_1) | instid1(SALU_CYCLE_1)
	s_and_not1_b32 s1, s52, exec_lo
	s_and_b32 s24, s24, exec_lo
	s_or_b32 s54, s1, s24
	s_or_not1_b32 s24, s9, exec_lo
.LBB55_4432:
	s_or_b32 exec_lo, exec_lo, s0
	s_mov_b32 s1, 0
	s_mov_b32 s9, 0
                                        ; implicit-def: $vgpr38_vgpr39
                                        ; implicit-def: $sgpr0
	s_and_saveexec_b32 s55, s24
	s_cbranch_execz .LBB55_5082
; %bb.4433:
	v_mov_b32_e32 v27, 0
	s_cmp_lt_i32 s57, 11
	s_delay_alu instid0(VALU_DEP_1)
	v_add_nc_u64_e32 v[26:27], s[6:7], v[26:27]
	s_cbranch_scc1 .LBB55_4441
; %bb.4434:
	s_cmp_gt_i32 s57, 25
	s_cbranch_scc0 .LBB55_4442
; %bb.4435:
	s_cmp_gt_i32 s57, 28
	s_cbranch_scc0 .LBB55_4443
	;; [unrolled: 3-line block ×4, first 2 shown]
; %bb.4438:
	s_cmp_eq_u32 s57, 46
	s_mov_b32 s24, 0
	s_cbranch_scc0 .LBB55_4447
; %bb.4439:
	global_load_b32 v7, v[26:27], off
	s_mov_b32 s0, 0
	s_mov_b32 s9, -1
	s_wait_loadcnt 0x0
	v_lshlrev_b32_e32 v7, 16, v7
	s_delay_alu instid0(VALU_DEP_1)
	v_cvt_i32_f32_e32 v7, v7
	s_branch .LBB55_4449
.LBB55_4440:
	s_or_b32 s46, s46, exec_lo
	s_trap 2
	s_cbranch_execz .LBB55_4354
	s_branch .LBB55_4355
.LBB55_4441:
	s_mov_b32 s0, -1
	s_mov_b32 s56, s54
                                        ; implicit-def: $vgpr7
	s_branch .LBB55_4511
.LBB55_4442:
	s_mov_b32 s24, -1
	s_mov_b32 s0, 0
                                        ; implicit-def: $vgpr7
	s_branch .LBB55_4476
.LBB55_4443:
	s_mov_b32 s24, -1
	s_mov_b32 s0, 0
                                        ; implicit-def: $vgpr7
	s_branch .LBB55_4459
.LBB55_4444:
	s_mov_b32 s24, -1
	s_mov_b32 s0, 0
                                        ; implicit-def: $vgpr7
	s_branch .LBB55_4454
.LBB55_4445:
	s_or_b32 s24, s52, exec_lo
	s_xor_b32 s9, exec_lo, -1
	s_trap 2
	s_branch .LBB55_4431
.LBB55_4446:
	s_mov_b32 s24, -1
	s_mov_b32 s0, 0
	s_branch .LBB55_4448
.LBB55_4447:
	s_mov_b32 s0, -1
.LBB55_4448:
                                        ; implicit-def: $vgpr7
.LBB55_4449:
	s_and_b32 vcc_lo, exec_lo, s24
	s_cbranch_vccz .LBB55_4453
; %bb.4450:
	s_cmp_eq_u32 s57, 44
	s_cbranch_scc0 .LBB55_4452
; %bb.4451:
	global_load_u8 v7, v[26:27], off
	s_mov_b32 s0, 0
	s_mov_b32 s9, -1
	s_wait_loadcnt 0x0
	v_lshlrev_b32_e32 v9, 23, v7
	v_cmp_ne_u32_e32 vcc_lo, 0, v7
	s_delay_alu instid0(VALU_DEP_2) | instskip(NEXT) | instid1(VALU_DEP_1)
	v_cvt_i32_f32_e32 v9, v9
	v_cndmask_b32_e32 v7, 0, v9, vcc_lo
	s_branch .LBB55_4453
.LBB55_4452:
	s_mov_b32 s0, -1
                                        ; implicit-def: $vgpr7
.LBB55_4453:
	s_mov_b32 s24, 0
.LBB55_4454:
	s_delay_alu instid0(SALU_CYCLE_1)
	s_and_b32 vcc_lo, exec_lo, s24
	s_cbranch_vccz .LBB55_4458
; %bb.4455:
	s_cmp_eq_u32 s57, 29
	s_cbranch_scc0 .LBB55_4457
; %bb.4456:
	global_load_b32 v7, v[26:27], off
	s_mov_b32 s0, 0
	s_mov_b32 s9, -1
	s_branch .LBB55_4458
.LBB55_4457:
	s_mov_b32 s0, -1
                                        ; implicit-def: $vgpr7
.LBB55_4458:
	s_mov_b32 s24, 0
.LBB55_4459:
	s_delay_alu instid0(SALU_CYCLE_1)
	s_and_b32 vcc_lo, exec_lo, s24
	s_cbranch_vccz .LBB55_4475
; %bb.4460:
	s_cmp_lt_i32 s57, 27
	s_cbranch_scc1 .LBB55_4463
; %bb.4461:
	s_cmp_gt_i32 s57, 27
	s_cbranch_scc0 .LBB55_4464
; %bb.4462:
	s_wait_loadcnt 0x0
	global_load_b32 v7, v[26:27], off
	s_mov_b32 s9, 0
	s_branch .LBB55_4465
.LBB55_4463:
	s_mov_b32 s9, -1
                                        ; implicit-def: $vgpr7
	s_branch .LBB55_4468
.LBB55_4464:
	s_mov_b32 s9, -1
                                        ; implicit-def: $vgpr7
.LBB55_4465:
	s_delay_alu instid0(SALU_CYCLE_1)
	s_and_not1_b32 vcc_lo, exec_lo, s9
	s_cbranch_vccnz .LBB55_4467
; %bb.4466:
	s_wait_loadcnt 0x0
	global_load_u16 v7, v[26:27], off
.LBB55_4467:
	s_mov_b32 s9, 0
.LBB55_4468:
	s_delay_alu instid0(SALU_CYCLE_1)
	s_and_not1_b32 vcc_lo, exec_lo, s9
	s_cbranch_vccnz .LBB55_4474
; %bb.4469:
	global_load_u8 v9, v[26:27], off
	s_mov_b32 s24, 0
	s_mov_b32 s9, exec_lo
	s_wait_loadcnt 0x0
	v_cmpx_lt_i16_e32 0x7f, v9
	s_xor_b32 s9, exec_lo, s9
	s_cbranch_execz .LBB55_4486
; %bb.4470:
	v_cmp_ne_u16_e32 vcc_lo, 0x80, v9
	s_and_b32 s24, vcc_lo, exec_lo
	s_and_not1_saveexec_b32 s9, s9
	s_cbranch_execnz .LBB55_4487
.LBB55_4471:
	s_or_b32 exec_lo, exec_lo, s9
	v_mov_b32_e32 v7, 0
	s_and_saveexec_b32 s9, s24
	s_cbranch_execz .LBB55_4473
.LBB55_4472:
	v_and_b32_e32 v7, 0xffff, v9
	s_delay_alu instid0(VALU_DEP_1) | instskip(SKIP_1) | instid1(VALU_DEP_2)
	v_and_b32_e32 v11, 7, v7
	v_bfe_u32 v17, v7, 3, 4
	v_clz_i32_u32_e32 v13, v11
	s_delay_alu instid0(VALU_DEP_2) | instskip(NEXT) | instid1(VALU_DEP_2)
	v_cmp_eq_u32_e32 vcc_lo, 0, v17
	v_min_u32_e32 v13, 32, v13
	s_delay_alu instid0(VALU_DEP_1) | instskip(NEXT) | instid1(VALU_DEP_1)
	v_subrev_nc_u32_e32 v15, 28, v13
	v_dual_lshlrev_b32 v7, v15, v7 :: v_dual_sub_nc_u32 v13, 29, v13
	s_delay_alu instid0(VALU_DEP_1) | instskip(NEXT) | instid1(VALU_DEP_1)
	v_dual_lshlrev_b32 v9, 24, v9 :: v_dual_bitop2_b32 v7, 7, v7 bitop3:0x40
	v_dual_cndmask_b32 v7, v11, v7, vcc_lo :: v_dual_cndmask_b32 v13, v17, v13, vcc_lo
	s_delay_alu instid0(VALU_DEP_2) | instskip(NEXT) | instid1(VALU_DEP_2)
	v_and_b32_e32 v9, 0x80000000, v9
	v_lshlrev_b32_e32 v7, 20, v7
	s_delay_alu instid0(VALU_DEP_3) | instskip(NEXT) | instid1(VALU_DEP_1)
	v_lshl_add_u32 v11, v13, 23, 0x3b800000
	v_or3_b32 v7, v9, v11, v7
	s_delay_alu instid0(VALU_DEP_1)
	v_cvt_i32_f32_e32 v7, v7
.LBB55_4473:
	s_or_b32 exec_lo, exec_lo, s9
.LBB55_4474:
	s_mov_b32 s9, -1
.LBB55_4475:
	s_mov_b32 s24, 0
.LBB55_4476:
	s_delay_alu instid0(SALU_CYCLE_1)
	s_and_b32 vcc_lo, exec_lo, s24
	s_cbranch_vccz .LBB55_4507
; %bb.4477:
	s_cmp_gt_i32 s57, 22
	s_cbranch_scc0 .LBB55_4485
; %bb.4478:
	s_cmp_lt_i32 s57, 24
	s_cbranch_scc1 .LBB55_4488
; %bb.4479:
	s_cmp_gt_i32 s57, 24
	s_cbranch_scc0 .LBB55_4489
; %bb.4480:
	global_load_u8 v9, v[26:27], off
	s_mov_b32 s9, 0
	s_mov_b32 s1, exec_lo
	s_wait_loadcnt 0x0
	v_cmpx_lt_i16_e32 0x7f, v9
	s_xor_b32 s1, exec_lo, s1
	s_cbranch_execz .LBB55_4501
; %bb.4481:
	v_cmp_ne_u16_e32 vcc_lo, 0x80, v9
	s_and_b32 s9, vcc_lo, exec_lo
	s_and_not1_saveexec_b32 s1, s1
	s_cbranch_execnz .LBB55_4502
.LBB55_4482:
	s_or_b32 exec_lo, exec_lo, s1
	v_mov_b32_e32 v7, 0
	s_and_saveexec_b32 s1, s9
	s_cbranch_execz .LBB55_4484
.LBB55_4483:
	v_and_b32_e32 v7, 0xffff, v9
	s_delay_alu instid0(VALU_DEP_1) | instskip(SKIP_1) | instid1(VALU_DEP_2)
	v_and_b32_e32 v11, 3, v7
	v_bfe_u32 v17, v7, 2, 5
	v_clz_i32_u32_e32 v13, v11
	s_delay_alu instid0(VALU_DEP_2) | instskip(NEXT) | instid1(VALU_DEP_2)
	v_cmp_eq_u32_e32 vcc_lo, 0, v17
	v_min_u32_e32 v13, 32, v13
	s_delay_alu instid0(VALU_DEP_1) | instskip(NEXT) | instid1(VALU_DEP_1)
	v_subrev_nc_u32_e32 v15, 29, v13
	v_dual_lshlrev_b32 v7, v15, v7 :: v_dual_sub_nc_u32 v13, 30, v13
	s_delay_alu instid0(VALU_DEP_1) | instskip(NEXT) | instid1(VALU_DEP_1)
	v_dual_lshlrev_b32 v9, 24, v9 :: v_dual_bitop2_b32 v7, 3, v7 bitop3:0x40
	v_dual_cndmask_b32 v7, v11, v7, vcc_lo :: v_dual_cndmask_b32 v13, v17, v13, vcc_lo
	s_delay_alu instid0(VALU_DEP_2) | instskip(NEXT) | instid1(VALU_DEP_2)
	v_and_b32_e32 v9, 0x80000000, v9
	v_lshlrev_b32_e32 v7, 21, v7
	s_delay_alu instid0(VALU_DEP_3) | instskip(NEXT) | instid1(VALU_DEP_1)
	v_lshl_add_u32 v11, v13, 23, 0x37800000
	v_or3_b32 v7, v9, v11, v7
	s_delay_alu instid0(VALU_DEP_1)
	v_cvt_i32_f32_e32 v7, v7
.LBB55_4484:
	s_or_b32 exec_lo, exec_lo, s1
	s_mov_b32 s1, 0
	s_branch .LBB55_4490
.LBB55_4485:
	s_mov_b32 s1, -1
                                        ; implicit-def: $vgpr7
	s_branch .LBB55_4496
.LBB55_4486:
	s_and_not1_saveexec_b32 s9, s9
	s_cbranch_execz .LBB55_4471
.LBB55_4487:
	v_cmp_ne_u16_e32 vcc_lo, 0, v9
	s_and_not1_b32 s24, s24, exec_lo
	s_and_b32 s25, vcc_lo, exec_lo
	s_delay_alu instid0(SALU_CYCLE_1)
	s_or_b32 s24, s24, s25
	s_or_b32 exec_lo, exec_lo, s9
	v_mov_b32_e32 v7, 0
	s_and_saveexec_b32 s9, s24
	s_cbranch_execnz .LBB55_4472
	s_branch .LBB55_4473
.LBB55_4488:
	s_mov_b32 s1, -1
                                        ; implicit-def: $vgpr7
	s_branch .LBB55_4493
.LBB55_4489:
	s_mov_b32 s1, -1
                                        ; implicit-def: $vgpr7
.LBB55_4490:
	s_delay_alu instid0(SALU_CYCLE_1)
	s_and_b32 vcc_lo, exec_lo, s1
	s_cbranch_vccz .LBB55_4492
; %bb.4491:
	s_wait_loadcnt 0x0
	global_load_u8 v7, v[26:27], off
	s_wait_loadcnt 0x0
	v_lshlrev_b32_e32 v7, 24, v7
	s_delay_alu instid0(VALU_DEP_1) | instskip(NEXT) | instid1(VALU_DEP_1)
	v_and_b32_e32 v9, 0x7f000000, v7
	v_clz_i32_u32_e32 v11, v9
	v_add_nc_u32_e32 v15, 0x1000000, v9
	v_cmp_ne_u32_e32 vcc_lo, 0, v9
	s_delay_alu instid0(VALU_DEP_3) | instskip(NEXT) | instid1(VALU_DEP_1)
	v_min_u32_e32 v11, 32, v11
	v_sub_nc_u32_e64 v11, v11, 4 clamp
	s_delay_alu instid0(VALU_DEP_1) | instskip(NEXT) | instid1(VALU_DEP_1)
	v_dual_lshlrev_b32 v13, v11, v9 :: v_dual_lshlrev_b32 v11, 23, v11
	v_lshrrev_b32_e32 v13, 4, v13
	s_delay_alu instid0(VALU_DEP_1) | instskip(SKIP_1) | instid1(VALU_DEP_2)
	v_sub_nc_u32_e32 v11, v13, v11
	v_ashrrev_i32_e32 v13, 8, v15
	v_add_nc_u32_e32 v11, 0x3c000000, v11
	s_delay_alu instid0(VALU_DEP_1) | instskip(NEXT) | instid1(VALU_DEP_1)
	v_and_or_b32 v11, 0x7f800000, v13, v11
	v_cndmask_b32_e32 v9, 0, v11, vcc_lo
	s_delay_alu instid0(VALU_DEP_1) | instskip(NEXT) | instid1(VALU_DEP_1)
	v_and_or_b32 v7, 0x80000000, v7, v9
	v_cvt_i32_f32_e32 v7, v7
.LBB55_4492:
	s_mov_b32 s1, 0
.LBB55_4493:
	s_delay_alu instid0(SALU_CYCLE_1)
	s_and_not1_b32 vcc_lo, exec_lo, s1
	s_cbranch_vccnz .LBB55_4495
; %bb.4494:
	s_wait_loadcnt 0x0
	global_load_u8 v7, v[26:27], off
	s_wait_loadcnt 0x0
	v_lshlrev_b32_e32 v9, 25, v7
	v_lshlrev_b16 v7, 8, v7
	s_delay_alu instid0(VALU_DEP_1) | instskip(SKIP_1) | instid1(VALU_DEP_2)
	v_and_or_b32 v13, 0x7f00, v7, 0.5
	v_bfe_i32 v7, v7, 0, 16
	v_add_f32_e32 v13, -0.5, v13
	v_lshrrev_b32_e32 v11, 4, v9
	v_cmp_gt_u32_e32 vcc_lo, 0x8000000, v9
	s_delay_alu instid0(VALU_DEP_2) | instskip(NEXT) | instid1(VALU_DEP_1)
	v_or_b32_e32 v11, 0x70000000, v11
	v_mul_f32_e32 v11, 0x7800000, v11
	s_delay_alu instid0(VALU_DEP_1) | instskip(NEXT) | instid1(VALU_DEP_1)
	v_cndmask_b32_e32 v9, v11, v13, vcc_lo
	v_and_or_b32 v7, 0x80000000, v7, v9
	s_delay_alu instid0(VALU_DEP_1)
	v_cvt_i32_f32_e32 v7, v7
.LBB55_4495:
	s_mov_b32 s1, 0
	s_mov_b32 s9, -1
.LBB55_4496:
	s_and_not1_b32 vcc_lo, exec_lo, s1
	s_mov_b32 s1, 0
	s_cbranch_vccnz .LBB55_4507
; %bb.4497:
	s_cmp_gt_i32 s57, 14
	s_cbranch_scc0 .LBB55_4500
; %bb.4498:
	s_cmp_eq_u32 s57, 15
	s_cbranch_scc0 .LBB55_4503
; %bb.4499:
	s_wait_loadcnt 0x0
	global_load_u16 v7, v[26:27], off
	s_mov_b32 s0, 0
	s_mov_b32 s9, -1
	s_wait_loadcnt 0x0
	v_lshlrev_b32_e32 v7, 16, v7
	s_delay_alu instid0(VALU_DEP_1)
	v_cvt_i32_f32_e32 v7, v7
	s_branch .LBB55_4505
.LBB55_4500:
	s_mov_b32 s1, -1
	s_branch .LBB55_4504
.LBB55_4501:
	s_and_not1_saveexec_b32 s1, s1
	s_cbranch_execz .LBB55_4482
.LBB55_4502:
	v_cmp_ne_u16_e32 vcc_lo, 0, v9
	s_and_not1_b32 s9, s9, exec_lo
	s_and_b32 s24, vcc_lo, exec_lo
	s_delay_alu instid0(SALU_CYCLE_1)
	s_or_b32 s9, s9, s24
	s_or_b32 exec_lo, exec_lo, s1
	v_mov_b32_e32 v7, 0
	s_and_saveexec_b32 s1, s9
	s_cbranch_execnz .LBB55_4483
	s_branch .LBB55_4484
.LBB55_4503:
	s_mov_b32 s0, -1
.LBB55_4504:
                                        ; implicit-def: $vgpr7
.LBB55_4505:
	s_and_b32 vcc_lo, exec_lo, s1
	s_mov_b32 s1, 0
	s_cbranch_vccz .LBB55_4507
; %bb.4506:
	s_cmp_lg_u32 s57, 11
	s_mov_b32 s1, -1
	s_cselect_b32 s0, -1, 0
.LBB55_4507:
	s_delay_alu instid0(SALU_CYCLE_1)
	s_and_b32 vcc_lo, exec_lo, s0
	s_mov_b32 s56, s54
	s_cbranch_vccnz .LBB55_4572
; %bb.4508:
	s_and_not1_b32 vcc_lo, exec_lo, s1
	s_cbranch_vccnz .LBB55_4510
.LBB55_4509:
	s_wait_loadcnt 0x0
	global_load_u8 v7, v[26:27], off
	s_mov_b32 s9, -1
	s_wait_loadcnt 0x0
	v_cmp_ne_u16_e32 vcc_lo, 0, v7
	v_cndmask_b32_e64 v7, 0, 1, vcc_lo
.LBB55_4510:
	s_mov_b32 s0, 0
.LBB55_4511:
	s_delay_alu instid0(SALU_CYCLE_1)
	s_and_b32 vcc_lo, exec_lo, s0
	s_cbranch_vccz .LBB55_4560
; %bb.4512:
	s_cmp_lt_i32 s57, 5
	s_cbranch_scc1 .LBB55_4517
; %bb.4513:
	s_cmp_lt_i32 s57, 8
	s_cbranch_scc1 .LBB55_4518
	;; [unrolled: 3-line block ×3, first 2 shown]
; %bb.4515:
	s_cmp_gt_i32 s57, 9
	s_cbranch_scc0 .LBB55_4520
; %bb.4516:
	global_load_b64 v[28:29], v[26:27], off
	s_mov_b32 s0, 0
	s_wait_loadcnt 0x0
	v_cvt_i32_f64_e32 v7, v[28:29]
	s_branch .LBB55_4521
.LBB55_4517:
	s_mov_b32 s0, -1
                                        ; implicit-def: $vgpr7
	s_branch .LBB55_4539
.LBB55_4518:
	s_mov_b32 s0, -1
                                        ; implicit-def: $vgpr7
	s_branch .LBB55_4527
.LBB55_4519:
	s_mov_b32 s0, -1
                                        ; implicit-def: $vgpr7
	s_branch .LBB55_4524
.LBB55_4520:
	s_mov_b32 s0, -1
                                        ; implicit-def: $vgpr7
.LBB55_4521:
	s_delay_alu instid0(SALU_CYCLE_1)
	s_and_not1_b32 vcc_lo, exec_lo, s0
	s_cbranch_vccnz .LBB55_4523
; %bb.4522:
	s_wait_loadcnt 0x0
	global_load_b32 v7, v[26:27], off
	s_wait_loadcnt 0x0
	v_cvt_i32_f32_e32 v7, v7
.LBB55_4523:
	s_mov_b32 s0, 0
.LBB55_4524:
	s_delay_alu instid0(SALU_CYCLE_1)
	s_and_not1_b32 vcc_lo, exec_lo, s0
	s_cbranch_vccnz .LBB55_4526
; %bb.4525:
	s_wait_loadcnt 0x0
	global_load_b32 v7, v[26:27], off
	s_wait_loadcnt 0x0
	v_cvt_f32_f16_e32 v7, v7
	s_delay_alu instid0(VALU_DEP_1)
	v_cvt_i32_f32_e32 v7, v7
.LBB55_4526:
	s_mov_b32 s0, 0
.LBB55_4527:
	s_delay_alu instid0(SALU_CYCLE_1)
	s_and_not1_b32 vcc_lo, exec_lo, s0
	s_cbranch_vccnz .LBB55_4538
; %bb.4528:
	s_cmp_lt_i32 s57, 6
	s_cbranch_scc1 .LBB55_4531
; %bb.4529:
	s_cmp_gt_i32 s57, 6
	s_cbranch_scc0 .LBB55_4532
; %bb.4530:
	global_load_b64 v[28:29], v[26:27], off
	s_mov_b32 s0, 0
	s_wait_loadcnt 0x0
	v_cvt_i32_f64_e32 v7, v[28:29]
	s_branch .LBB55_4533
.LBB55_4531:
	s_mov_b32 s0, -1
                                        ; implicit-def: $vgpr7
	s_branch .LBB55_4536
.LBB55_4532:
	s_mov_b32 s0, -1
                                        ; implicit-def: $vgpr7
.LBB55_4533:
	s_delay_alu instid0(SALU_CYCLE_1)
	s_and_not1_b32 vcc_lo, exec_lo, s0
	s_cbranch_vccnz .LBB55_4535
; %bb.4534:
	s_wait_loadcnt 0x0
	global_load_b32 v7, v[26:27], off
	s_wait_loadcnt 0x0
	v_cvt_i32_f32_e32 v7, v7
.LBB55_4535:
	s_mov_b32 s0, 0
.LBB55_4536:
	s_delay_alu instid0(SALU_CYCLE_1)
	s_and_not1_b32 vcc_lo, exec_lo, s0
	s_cbranch_vccnz .LBB55_4538
; %bb.4537:
	s_wait_loadcnt 0x0
	global_load_u16 v7, v[26:27], off
	s_wait_loadcnt 0x0
	v_cvt_f32_f16_e32 v7, v7
	s_delay_alu instid0(VALU_DEP_1)
	v_cvt_i32_f32_e32 v7, v7
.LBB55_4538:
	s_mov_b32 s0, 0
.LBB55_4539:
	s_delay_alu instid0(SALU_CYCLE_1)
	s_and_not1_b32 vcc_lo, exec_lo, s0
	s_cbranch_vccnz .LBB55_4559
; %bb.4540:
	s_cmp_lt_i32 s57, 2
	s_cbranch_scc1 .LBB55_4544
; %bb.4541:
	s_cmp_lt_i32 s57, 3
	s_cbranch_scc1 .LBB55_4545
; %bb.4542:
	s_cmp_gt_i32 s57, 3
	s_cbranch_scc0 .LBB55_4546
; %bb.4543:
	s_wait_loadcnt 0x0
	global_load_b32 v7, v[26:27], off
	s_mov_b32 s0, 0
	s_branch .LBB55_4547
.LBB55_4544:
	s_mov_b32 s0, -1
                                        ; implicit-def: $vgpr7
	s_branch .LBB55_4553
.LBB55_4545:
	s_mov_b32 s0, -1
                                        ; implicit-def: $vgpr7
	s_branch .LBB55_4550
.LBB55_4546:
	s_mov_b32 s0, -1
                                        ; implicit-def: $vgpr7
.LBB55_4547:
	s_delay_alu instid0(SALU_CYCLE_1)
	s_and_not1_b32 vcc_lo, exec_lo, s0
	s_cbranch_vccnz .LBB55_4549
; %bb.4548:
	s_wait_loadcnt 0x0
	global_load_b32 v7, v[26:27], off
.LBB55_4549:
	s_mov_b32 s0, 0
.LBB55_4550:
	s_delay_alu instid0(SALU_CYCLE_1)
	s_and_not1_b32 vcc_lo, exec_lo, s0
	s_cbranch_vccnz .LBB55_4552
; %bb.4551:
	s_wait_loadcnt 0x0
	global_load_i16 v7, v[26:27], off
.LBB55_4552:
	s_mov_b32 s0, 0
.LBB55_4553:
	s_delay_alu instid0(SALU_CYCLE_1)
	s_and_not1_b32 vcc_lo, exec_lo, s0
	s_cbranch_vccnz .LBB55_4559
; %bb.4554:
	s_cmp_gt_i32 s57, 0
	s_mov_b32 s0, 0
	s_cbranch_scc0 .LBB55_4556
; %bb.4555:
	s_wait_loadcnt 0x0
	global_load_i8 v7, v[26:27], off
	s_branch .LBB55_4557
.LBB55_4556:
	s_mov_b32 s0, -1
                                        ; implicit-def: $vgpr7
.LBB55_4557:
	s_delay_alu instid0(SALU_CYCLE_1)
	s_and_not1_b32 vcc_lo, exec_lo, s0
	s_cbranch_vccnz .LBB55_4559
; %bb.4558:
	s_wait_loadcnt 0x0
	global_load_u8 v7, v[26:27], off
.LBB55_4559:
	s_mov_b32 s9, -1
.LBB55_4560:
	s_delay_alu instid0(SALU_CYCLE_1)
	s_and_not1_b32 vcc_lo, exec_lo, s9
	s_cbranch_vccnz .LBB55_5080
; %bb.4561:
	v_mov_b32_e32 v25, 0
	s_cmp_lt_i32 s58, 11
	s_delay_alu instid0(VALU_DEP_1)
	v_add_nc_u64_e32 v[24:25], s[12:13], v[24:25]
	s_cbranch_scc1 .LBB55_4568
; %bb.4562:
	s_cmp_gt_i32 s58, 25
	s_mov_b32 s1, 0
	s_cbranch_scc0 .LBB55_4569
; %bb.4563:
	s_cmp_gt_i32 s58, 28
	s_cbranch_scc0 .LBB55_4570
; %bb.4564:
	s_cmp_gt_i32 s58, 43
	;; [unrolled: 3-line block ×3, first 2 shown]
	s_cbranch_scc0 .LBB55_4573
; %bb.4566:
	s_cmp_eq_u32 s58, 46
	s_mov_b32 s24, 0
	s_cbranch_scc0 .LBB55_4575
; %bb.4567:
	global_load_b32 v9, v[24:25], off
	s_mov_b32 s0, 0
	s_mov_b32 s9, -1
	s_wait_loadcnt 0x0
	v_lshlrev_b32_e32 v9, 16, v9
	s_delay_alu instid0(VALU_DEP_1)
	v_cvt_i32_f32_e32 v9, v9
	s_branch .LBB55_4577
.LBB55_4568:
	s_mov_b32 s0, -1
	s_mov_b32 s9, 0
                                        ; implicit-def: $vgpr9
	s_branch .LBB55_4639
.LBB55_4569:
	s_mov_b32 s24, -1
	s_mov_b32 s9, 0
	s_mov_b32 s0, 0
                                        ; implicit-def: $vgpr9
	s_branch .LBB55_4604
.LBB55_4570:
	s_mov_b32 s24, -1
	s_mov_b32 s9, 0
	s_mov_b32 s0, 0
                                        ; implicit-def: $vgpr9
	s_branch .LBB55_4587
.LBB55_4571:
	s_mov_b32 s24, -1
	s_mov_b32 s9, 0
	s_mov_b32 s0, 0
                                        ; implicit-def: $vgpr9
	s_branch .LBB55_4582
.LBB55_4572:
	s_or_b32 s56, s54, exec_lo
	s_trap 2
	s_cbranch_execz .LBB55_4509
	s_branch .LBB55_4510
.LBB55_4573:
	s_mov_b32 s24, -1
	s_mov_b32 s9, 0
	s_mov_b32 s0, 0
	s_branch .LBB55_4576
.LBB55_4574:
	s_or_b32 s46, s46, exec_lo
	s_trap 2
                                        ; implicit-def: $vgpr9
                                        ; implicit-def: $vgpr32
                                        ; implicit-def: $vgpr30
                                        ; implicit-def: $vgpr34
                                        ; implicit-def: $vgpr5
                                        ; implicit-def: $vgpr6
                                        ; implicit-def: $vgpr4
                                        ; implicit-def: $vgpr20
                                        ; implicit-def: $vgpr18
                                        ; implicit-def: $vgpr24
                                        ; implicit-def: $vgpr22
                                        ; implicit-def: $vgpr2
                                        ; implicit-def: $vgpr26
                                        ; implicit-def: $vgpr10
                                        ; implicit-def: $vgpr8
                                        ; implicit-def: $vgpr14
                                        ; implicit-def: $vgpr12
                                        ; implicit-def: $vgpr0
                                        ; implicit-def: $vgpr16
                                        ; implicit-def: $vgpr1
                                        ; implicit-def: $vgpr3
	s_branch .LBB55_4407
.LBB55_4575:
	s_mov_b32 s0, -1
	s_mov_b32 s9, 0
.LBB55_4576:
                                        ; implicit-def: $vgpr9
.LBB55_4577:
	s_and_b32 vcc_lo, exec_lo, s24
	s_cbranch_vccz .LBB55_4581
; %bb.4578:
	s_cmp_eq_u32 s58, 44
	s_cbranch_scc0 .LBB55_4580
; %bb.4579:
	global_load_u8 v9, v[24:25], off
	s_mov_b32 s0, 0
	s_mov_b32 s9, -1
	s_wait_loadcnt 0x0
	v_lshlrev_b32_e32 v11, 23, v9
	v_cmp_ne_u32_e32 vcc_lo, 0, v9
	s_delay_alu instid0(VALU_DEP_2) | instskip(NEXT) | instid1(VALU_DEP_1)
	v_cvt_i32_f32_e32 v11, v11
	v_cndmask_b32_e32 v9, 0, v11, vcc_lo
	s_branch .LBB55_4581
.LBB55_4580:
	s_mov_b32 s0, -1
                                        ; implicit-def: $vgpr9
.LBB55_4581:
	s_mov_b32 s24, 0
.LBB55_4582:
	s_delay_alu instid0(SALU_CYCLE_1)
	s_and_b32 vcc_lo, exec_lo, s24
	s_cbranch_vccz .LBB55_4586
; %bb.4583:
	s_cmp_eq_u32 s58, 29
	s_cbranch_scc0 .LBB55_4585
; %bb.4584:
	global_load_b32 v9, v[24:25], off
	s_mov_b32 s0, 0
	s_mov_b32 s9, -1
	s_branch .LBB55_4586
.LBB55_4585:
	s_mov_b32 s0, -1
                                        ; implicit-def: $vgpr9
.LBB55_4586:
	s_mov_b32 s24, 0
.LBB55_4587:
	s_delay_alu instid0(SALU_CYCLE_1)
	s_and_b32 vcc_lo, exec_lo, s24
	s_cbranch_vccz .LBB55_4603
; %bb.4588:
	s_cmp_lt_i32 s58, 27
	s_cbranch_scc1 .LBB55_4591
; %bb.4589:
	s_cmp_gt_i32 s58, 27
	s_cbranch_scc0 .LBB55_4592
; %bb.4590:
	s_wait_loadcnt 0x0
	global_load_b32 v9, v[24:25], off
	s_mov_b32 s9, 0
	s_branch .LBB55_4593
.LBB55_4591:
	s_mov_b32 s9, -1
                                        ; implicit-def: $vgpr9
	s_branch .LBB55_4596
.LBB55_4592:
	s_mov_b32 s9, -1
                                        ; implicit-def: $vgpr9
.LBB55_4593:
	s_delay_alu instid0(SALU_CYCLE_1)
	s_and_not1_b32 vcc_lo, exec_lo, s9
	s_cbranch_vccnz .LBB55_4595
; %bb.4594:
	s_wait_loadcnt 0x0
	global_load_u16 v9, v[24:25], off
.LBB55_4595:
	s_mov_b32 s9, 0
.LBB55_4596:
	s_delay_alu instid0(SALU_CYCLE_1)
	s_and_not1_b32 vcc_lo, exec_lo, s9
	s_cbranch_vccnz .LBB55_4602
; %bb.4597:
	global_load_u8 v11, v[24:25], off
	s_mov_b32 s24, 0
	s_mov_b32 s9, exec_lo
	s_wait_loadcnt 0x0
	v_cmpx_lt_i16_e32 0x7f, v11
	s_xor_b32 s9, exec_lo, s9
	s_cbranch_execz .LBB55_4614
; %bb.4598:
	v_cmp_ne_u16_e32 vcc_lo, 0x80, v11
	s_and_b32 s24, vcc_lo, exec_lo
	s_and_not1_saveexec_b32 s9, s9
	s_cbranch_execnz .LBB55_4615
.LBB55_4599:
	s_or_b32 exec_lo, exec_lo, s9
	v_mov_b32_e32 v9, 0
	s_and_saveexec_b32 s9, s24
	s_cbranch_execz .LBB55_4601
.LBB55_4600:
	v_and_b32_e32 v9, 0xffff, v11
	s_delay_alu instid0(VALU_DEP_1) | instskip(SKIP_1) | instid1(VALU_DEP_2)
	v_and_b32_e32 v13, 7, v9
	v_bfe_u32 v19, v9, 3, 4
	v_clz_i32_u32_e32 v15, v13
	s_delay_alu instid0(VALU_DEP_2) | instskip(NEXT) | instid1(VALU_DEP_2)
	v_cmp_eq_u32_e32 vcc_lo, 0, v19
	v_min_u32_e32 v15, 32, v15
	s_delay_alu instid0(VALU_DEP_1) | instskip(NEXT) | instid1(VALU_DEP_1)
	v_subrev_nc_u32_e32 v17, 28, v15
	v_dual_lshlrev_b32 v9, v17, v9 :: v_dual_sub_nc_u32 v15, 29, v15
	s_delay_alu instid0(VALU_DEP_1) | instskip(NEXT) | instid1(VALU_DEP_1)
	v_dual_lshlrev_b32 v11, 24, v11 :: v_dual_bitop2_b32 v9, 7, v9 bitop3:0x40
	v_dual_cndmask_b32 v9, v13, v9, vcc_lo :: v_dual_cndmask_b32 v15, v19, v15, vcc_lo
	s_delay_alu instid0(VALU_DEP_2) | instskip(NEXT) | instid1(VALU_DEP_2)
	v_and_b32_e32 v11, 0x80000000, v11
	v_lshlrev_b32_e32 v9, 20, v9
	s_delay_alu instid0(VALU_DEP_3) | instskip(NEXT) | instid1(VALU_DEP_1)
	v_lshl_add_u32 v13, v15, 23, 0x3b800000
	v_or3_b32 v9, v11, v13, v9
	s_delay_alu instid0(VALU_DEP_1)
	v_cvt_i32_f32_e32 v9, v9
.LBB55_4601:
	s_or_b32 exec_lo, exec_lo, s9
.LBB55_4602:
	s_mov_b32 s9, -1
.LBB55_4603:
	s_mov_b32 s24, 0
.LBB55_4604:
	s_delay_alu instid0(SALU_CYCLE_1)
	s_and_b32 vcc_lo, exec_lo, s24
	s_cbranch_vccz .LBB55_4635
; %bb.4605:
	s_cmp_gt_i32 s58, 22
	s_cbranch_scc0 .LBB55_4613
; %bb.4606:
	s_cmp_lt_i32 s58, 24
	s_cbranch_scc1 .LBB55_4616
; %bb.4607:
	s_cmp_gt_i32 s58, 24
	s_cbranch_scc0 .LBB55_4617
; %bb.4608:
	global_load_u8 v11, v[24:25], off
	s_mov_b32 s9, 0
	s_mov_b32 s1, exec_lo
	s_wait_loadcnt 0x0
	v_cmpx_lt_i16_e32 0x7f, v11
	s_xor_b32 s1, exec_lo, s1
	s_cbranch_execz .LBB55_4629
; %bb.4609:
	v_cmp_ne_u16_e32 vcc_lo, 0x80, v11
	s_and_b32 s9, vcc_lo, exec_lo
	s_and_not1_saveexec_b32 s1, s1
	s_cbranch_execnz .LBB55_4630
.LBB55_4610:
	s_or_b32 exec_lo, exec_lo, s1
	v_mov_b32_e32 v9, 0
	s_and_saveexec_b32 s1, s9
	s_cbranch_execz .LBB55_4612
.LBB55_4611:
	v_and_b32_e32 v9, 0xffff, v11
	s_delay_alu instid0(VALU_DEP_1) | instskip(SKIP_1) | instid1(VALU_DEP_2)
	v_and_b32_e32 v13, 3, v9
	v_bfe_u32 v19, v9, 2, 5
	v_clz_i32_u32_e32 v15, v13
	s_delay_alu instid0(VALU_DEP_2) | instskip(NEXT) | instid1(VALU_DEP_2)
	v_cmp_eq_u32_e32 vcc_lo, 0, v19
	v_min_u32_e32 v15, 32, v15
	s_delay_alu instid0(VALU_DEP_1) | instskip(NEXT) | instid1(VALU_DEP_1)
	v_subrev_nc_u32_e32 v17, 29, v15
	v_dual_lshlrev_b32 v9, v17, v9 :: v_dual_sub_nc_u32 v15, 30, v15
	s_delay_alu instid0(VALU_DEP_1) | instskip(NEXT) | instid1(VALU_DEP_1)
	v_dual_lshlrev_b32 v11, 24, v11 :: v_dual_bitop2_b32 v9, 3, v9 bitop3:0x40
	v_dual_cndmask_b32 v9, v13, v9, vcc_lo :: v_dual_cndmask_b32 v15, v19, v15, vcc_lo
	s_delay_alu instid0(VALU_DEP_2) | instskip(NEXT) | instid1(VALU_DEP_2)
	v_and_b32_e32 v11, 0x80000000, v11
	v_lshlrev_b32_e32 v9, 21, v9
	s_delay_alu instid0(VALU_DEP_3) | instskip(NEXT) | instid1(VALU_DEP_1)
	v_lshl_add_u32 v13, v15, 23, 0x37800000
	v_or3_b32 v9, v11, v13, v9
	s_delay_alu instid0(VALU_DEP_1)
	v_cvt_i32_f32_e32 v9, v9
.LBB55_4612:
	s_or_b32 exec_lo, exec_lo, s1
	s_mov_b32 s1, 0
	s_branch .LBB55_4618
.LBB55_4613:
	s_mov_b32 s1, -1
                                        ; implicit-def: $vgpr9
	s_branch .LBB55_4624
.LBB55_4614:
	s_and_not1_saveexec_b32 s9, s9
	s_cbranch_execz .LBB55_4599
.LBB55_4615:
	v_cmp_ne_u16_e32 vcc_lo, 0, v11
	s_and_not1_b32 s24, s24, exec_lo
	s_and_b32 s25, vcc_lo, exec_lo
	s_delay_alu instid0(SALU_CYCLE_1)
	s_or_b32 s24, s24, s25
	s_or_b32 exec_lo, exec_lo, s9
	v_mov_b32_e32 v9, 0
	s_and_saveexec_b32 s9, s24
	s_cbranch_execnz .LBB55_4600
	s_branch .LBB55_4601
.LBB55_4616:
	s_mov_b32 s1, -1
                                        ; implicit-def: $vgpr9
	s_branch .LBB55_4621
.LBB55_4617:
	s_mov_b32 s1, -1
                                        ; implicit-def: $vgpr9
.LBB55_4618:
	s_delay_alu instid0(SALU_CYCLE_1)
	s_and_b32 vcc_lo, exec_lo, s1
	s_cbranch_vccz .LBB55_4620
; %bb.4619:
	s_wait_loadcnt 0x0
	global_load_u8 v9, v[24:25], off
	s_wait_loadcnt 0x0
	v_lshlrev_b32_e32 v9, 24, v9
	s_delay_alu instid0(VALU_DEP_1) | instskip(NEXT) | instid1(VALU_DEP_1)
	v_and_b32_e32 v11, 0x7f000000, v9
	v_clz_i32_u32_e32 v13, v11
	v_add_nc_u32_e32 v17, 0x1000000, v11
	v_cmp_ne_u32_e32 vcc_lo, 0, v11
	s_delay_alu instid0(VALU_DEP_3) | instskip(NEXT) | instid1(VALU_DEP_1)
	v_min_u32_e32 v13, 32, v13
	v_sub_nc_u32_e64 v13, v13, 4 clamp
	s_delay_alu instid0(VALU_DEP_1) | instskip(NEXT) | instid1(VALU_DEP_1)
	v_dual_lshlrev_b32 v15, v13, v11 :: v_dual_lshlrev_b32 v13, 23, v13
	v_lshrrev_b32_e32 v15, 4, v15
	s_delay_alu instid0(VALU_DEP_1) | instskip(SKIP_1) | instid1(VALU_DEP_2)
	v_sub_nc_u32_e32 v13, v15, v13
	v_ashrrev_i32_e32 v15, 8, v17
	v_add_nc_u32_e32 v13, 0x3c000000, v13
	s_delay_alu instid0(VALU_DEP_1) | instskip(NEXT) | instid1(VALU_DEP_1)
	v_and_or_b32 v13, 0x7f800000, v15, v13
	v_cndmask_b32_e32 v11, 0, v13, vcc_lo
	s_delay_alu instid0(VALU_DEP_1) | instskip(NEXT) | instid1(VALU_DEP_1)
	v_and_or_b32 v9, 0x80000000, v9, v11
	v_cvt_i32_f32_e32 v9, v9
.LBB55_4620:
	s_mov_b32 s1, 0
.LBB55_4621:
	s_delay_alu instid0(SALU_CYCLE_1)
	s_and_not1_b32 vcc_lo, exec_lo, s1
	s_cbranch_vccnz .LBB55_4623
; %bb.4622:
	s_wait_loadcnt 0x0
	global_load_u8 v9, v[24:25], off
	s_wait_loadcnt 0x0
	v_lshlrev_b32_e32 v11, 25, v9
	v_lshlrev_b16 v9, 8, v9
	s_delay_alu instid0(VALU_DEP_1) | instskip(SKIP_1) | instid1(VALU_DEP_2)
	v_and_or_b32 v15, 0x7f00, v9, 0.5
	v_bfe_i32 v9, v9, 0, 16
	v_add_f32_e32 v15, -0.5, v15
	v_lshrrev_b32_e32 v13, 4, v11
	v_cmp_gt_u32_e32 vcc_lo, 0x8000000, v11
	s_delay_alu instid0(VALU_DEP_2) | instskip(NEXT) | instid1(VALU_DEP_1)
	v_or_b32_e32 v13, 0x70000000, v13
	v_mul_f32_e32 v13, 0x7800000, v13
	s_delay_alu instid0(VALU_DEP_1) | instskip(NEXT) | instid1(VALU_DEP_1)
	v_cndmask_b32_e32 v11, v13, v15, vcc_lo
	v_and_or_b32 v9, 0x80000000, v9, v11
	s_delay_alu instid0(VALU_DEP_1)
	v_cvt_i32_f32_e32 v9, v9
.LBB55_4623:
	s_mov_b32 s1, 0
	s_mov_b32 s9, -1
.LBB55_4624:
	s_and_not1_b32 vcc_lo, exec_lo, s1
	s_mov_b32 s1, 0
	s_cbranch_vccnz .LBB55_4635
; %bb.4625:
	s_cmp_gt_i32 s58, 14
	s_cbranch_scc0 .LBB55_4628
; %bb.4626:
	s_cmp_eq_u32 s58, 15
	s_cbranch_scc0 .LBB55_4631
; %bb.4627:
	s_wait_loadcnt 0x0
	global_load_u16 v9, v[24:25], off
	s_mov_b32 s0, 0
	s_mov_b32 s9, -1
	s_wait_loadcnt 0x0
	v_lshlrev_b32_e32 v9, 16, v9
	s_delay_alu instid0(VALU_DEP_1)
	v_cvt_i32_f32_e32 v9, v9
	s_branch .LBB55_4633
.LBB55_4628:
	s_mov_b32 s1, -1
	s_branch .LBB55_4632
.LBB55_4629:
	s_and_not1_saveexec_b32 s1, s1
	s_cbranch_execz .LBB55_4610
.LBB55_4630:
	v_cmp_ne_u16_e32 vcc_lo, 0, v11
	s_and_not1_b32 s9, s9, exec_lo
	s_and_b32 s24, vcc_lo, exec_lo
	s_delay_alu instid0(SALU_CYCLE_1)
	s_or_b32 s9, s9, s24
	s_or_b32 exec_lo, exec_lo, s1
	v_mov_b32_e32 v9, 0
	s_and_saveexec_b32 s1, s9
	s_cbranch_execnz .LBB55_4611
	s_branch .LBB55_4612
.LBB55_4631:
	s_mov_b32 s0, -1
.LBB55_4632:
                                        ; implicit-def: $vgpr9
.LBB55_4633:
	s_and_b32 vcc_lo, exec_lo, s1
	s_mov_b32 s1, 0
	s_cbranch_vccz .LBB55_4635
; %bb.4634:
	s_cmp_lg_u32 s58, 11
	s_mov_b32 s1, -1
	s_cselect_b32 s0, -1, 0
.LBB55_4635:
	s_delay_alu instid0(SALU_CYCLE_1)
	s_and_b32 vcc_lo, exec_lo, s0
	s_cbranch_vccnz .LBB55_4700
; %bb.4636:
	s_and_not1_b32 vcc_lo, exec_lo, s1
	s_cbranch_vccnz .LBB55_4638
.LBB55_4637:
	s_wait_loadcnt 0x0
	global_load_u8 v9, v[24:25], off
	s_mov_b32 s9, -1
	s_wait_loadcnt 0x0
	v_cmp_ne_u16_e32 vcc_lo, 0, v9
	v_cndmask_b32_e64 v9, 0, 1, vcc_lo
.LBB55_4638:
	s_mov_b32 s0, 0
.LBB55_4639:
	s_delay_alu instid0(SALU_CYCLE_1)
	s_and_b32 vcc_lo, exec_lo, s0
	s_cbranch_vccz .LBB55_4688
; %bb.4640:
	s_cmp_lt_i32 s58, 5
	s_cbranch_scc1 .LBB55_4645
; %bb.4641:
	s_cmp_lt_i32 s58, 8
	s_cbranch_scc1 .LBB55_4646
	;; [unrolled: 3-line block ×3, first 2 shown]
; %bb.4643:
	s_cmp_gt_i32 s58, 9
	s_cbranch_scc0 .LBB55_4648
; %bb.4644:
	global_load_b64 v[26:27], v[24:25], off
	s_mov_b32 s0, 0
	s_wait_loadcnt 0x0
	v_cvt_i32_f64_e32 v9, v[26:27]
	s_branch .LBB55_4649
.LBB55_4645:
	s_mov_b32 s0, -1
                                        ; implicit-def: $vgpr9
	s_branch .LBB55_4667
.LBB55_4646:
	s_mov_b32 s0, -1
                                        ; implicit-def: $vgpr9
	s_branch .LBB55_4655
.LBB55_4647:
	s_mov_b32 s0, -1
                                        ; implicit-def: $vgpr9
	s_branch .LBB55_4652
.LBB55_4648:
	s_mov_b32 s0, -1
                                        ; implicit-def: $vgpr9
.LBB55_4649:
	s_delay_alu instid0(SALU_CYCLE_1)
	s_and_not1_b32 vcc_lo, exec_lo, s0
	s_cbranch_vccnz .LBB55_4651
; %bb.4650:
	s_wait_loadcnt 0x0
	global_load_b32 v9, v[24:25], off
	s_wait_loadcnt 0x0
	v_cvt_i32_f32_e32 v9, v9
.LBB55_4651:
	s_mov_b32 s0, 0
.LBB55_4652:
	s_delay_alu instid0(SALU_CYCLE_1)
	s_and_not1_b32 vcc_lo, exec_lo, s0
	s_cbranch_vccnz .LBB55_4654
; %bb.4653:
	s_wait_loadcnt 0x0
	global_load_b32 v9, v[24:25], off
	s_wait_loadcnt 0x0
	v_cvt_f32_f16_e32 v9, v9
	s_delay_alu instid0(VALU_DEP_1)
	v_cvt_i32_f32_e32 v9, v9
.LBB55_4654:
	s_mov_b32 s0, 0
.LBB55_4655:
	s_delay_alu instid0(SALU_CYCLE_1)
	s_and_not1_b32 vcc_lo, exec_lo, s0
	s_cbranch_vccnz .LBB55_4666
; %bb.4656:
	s_cmp_lt_i32 s58, 6
	s_cbranch_scc1 .LBB55_4659
; %bb.4657:
	s_cmp_gt_i32 s58, 6
	s_cbranch_scc0 .LBB55_4660
; %bb.4658:
	global_load_b64 v[26:27], v[24:25], off
	s_mov_b32 s0, 0
	s_wait_loadcnt 0x0
	v_cvt_i32_f64_e32 v9, v[26:27]
	s_branch .LBB55_4661
.LBB55_4659:
	s_mov_b32 s0, -1
                                        ; implicit-def: $vgpr9
	s_branch .LBB55_4664
.LBB55_4660:
	s_mov_b32 s0, -1
                                        ; implicit-def: $vgpr9
.LBB55_4661:
	s_delay_alu instid0(SALU_CYCLE_1)
	s_and_not1_b32 vcc_lo, exec_lo, s0
	s_cbranch_vccnz .LBB55_4663
; %bb.4662:
	s_wait_loadcnt 0x0
	global_load_b32 v9, v[24:25], off
	s_wait_loadcnt 0x0
	v_cvt_i32_f32_e32 v9, v9
.LBB55_4663:
	s_mov_b32 s0, 0
.LBB55_4664:
	s_delay_alu instid0(SALU_CYCLE_1)
	s_and_not1_b32 vcc_lo, exec_lo, s0
	s_cbranch_vccnz .LBB55_4666
; %bb.4665:
	s_wait_loadcnt 0x0
	global_load_u16 v9, v[24:25], off
	s_wait_loadcnt 0x0
	v_cvt_f32_f16_e32 v9, v9
	s_delay_alu instid0(VALU_DEP_1)
	v_cvt_i32_f32_e32 v9, v9
.LBB55_4666:
	s_mov_b32 s0, 0
.LBB55_4667:
	s_delay_alu instid0(SALU_CYCLE_1)
	s_and_not1_b32 vcc_lo, exec_lo, s0
	s_cbranch_vccnz .LBB55_4687
; %bb.4668:
	s_cmp_lt_i32 s58, 2
	s_cbranch_scc1 .LBB55_4672
; %bb.4669:
	s_cmp_lt_i32 s58, 3
	s_cbranch_scc1 .LBB55_4673
; %bb.4670:
	s_cmp_gt_i32 s58, 3
	s_cbranch_scc0 .LBB55_4674
; %bb.4671:
	s_wait_loadcnt 0x0
	global_load_b32 v9, v[24:25], off
	s_mov_b32 s0, 0
	s_branch .LBB55_4675
.LBB55_4672:
	s_mov_b32 s0, -1
                                        ; implicit-def: $vgpr9
	s_branch .LBB55_4681
.LBB55_4673:
	s_mov_b32 s0, -1
                                        ; implicit-def: $vgpr9
	s_branch .LBB55_4678
.LBB55_4674:
	s_mov_b32 s0, -1
                                        ; implicit-def: $vgpr9
.LBB55_4675:
	s_delay_alu instid0(SALU_CYCLE_1)
	s_and_not1_b32 vcc_lo, exec_lo, s0
	s_cbranch_vccnz .LBB55_4677
; %bb.4676:
	s_wait_loadcnt 0x0
	global_load_b32 v9, v[24:25], off
.LBB55_4677:
	s_mov_b32 s0, 0
.LBB55_4678:
	s_delay_alu instid0(SALU_CYCLE_1)
	s_and_not1_b32 vcc_lo, exec_lo, s0
	s_cbranch_vccnz .LBB55_4680
; %bb.4679:
	s_wait_loadcnt 0x0
	global_load_i16 v9, v[24:25], off
.LBB55_4680:
	s_mov_b32 s0, 0
.LBB55_4681:
	s_delay_alu instid0(SALU_CYCLE_1)
	s_and_not1_b32 vcc_lo, exec_lo, s0
	s_cbranch_vccnz .LBB55_4687
; %bb.4682:
	s_cmp_gt_i32 s58, 0
	s_mov_b32 s0, 0
	s_cbranch_scc0 .LBB55_4684
; %bb.4683:
	s_wait_loadcnt 0x0
	global_load_i8 v9, v[24:25], off
	s_branch .LBB55_4685
.LBB55_4684:
	s_mov_b32 s0, -1
                                        ; implicit-def: $vgpr9
.LBB55_4685:
	s_delay_alu instid0(SALU_CYCLE_1)
	s_and_not1_b32 vcc_lo, exec_lo, s0
	s_cbranch_vccnz .LBB55_4687
; %bb.4686:
	s_wait_loadcnt 0x0
	global_load_u8 v9, v[24:25], off
.LBB55_4687:
	s_mov_b32 s9, -1
.LBB55_4688:
	s_delay_alu instid0(SALU_CYCLE_1)
	s_and_not1_b32 vcc_lo, exec_lo, s9
	s_cbranch_vccnz .LBB55_5080
; %bb.4689:
	v_mov_b32_e32 v23, 0
	s_cmp_lt_i32 s59, 11
	s_wait_xcnt 0x0
	s_delay_alu instid0(VALU_DEP_1)
	v_add_nc_u64_e32 v[24:25], s[14:15], v[22:23]
	s_cbranch_scc1 .LBB55_4696
; %bb.4690:
	s_cmp_gt_i32 s59, 25
	s_mov_b32 s1, 0
	s_cbranch_scc0 .LBB55_4697
; %bb.4691:
	s_cmp_gt_i32 s59, 28
	s_cbranch_scc0 .LBB55_4698
; %bb.4692:
	s_cmp_gt_i32 s59, 43
	s_cbranch_scc0 .LBB55_4699
; %bb.4693:
	s_cmp_gt_i32 s59, 45
	s_cbranch_scc0 .LBB55_4701
; %bb.4694:
	s_cmp_eq_u32 s59, 46
	s_mov_b32 s24, 0
	s_cbranch_scc0 .LBB55_4703
; %bb.4695:
	global_load_b32 v11, v[24:25], off
	s_mov_b32 s0, 0
	s_mov_b32 s9, -1
	s_wait_loadcnt 0x0
	v_lshlrev_b32_e32 v11, 16, v11
	s_delay_alu instid0(VALU_DEP_1)
	v_cvt_i32_f32_e32 v22, v11
	s_branch .LBB55_4705
.LBB55_4696:
	s_mov_b32 s0, -1
	s_mov_b32 s9, 0
                                        ; implicit-def: $vgpr22
	s_branch .LBB55_4767
.LBB55_4697:
	s_mov_b32 s24, -1
	s_mov_b32 s9, 0
	s_mov_b32 s0, 0
                                        ; implicit-def: $vgpr22
	s_branch .LBB55_4732
.LBB55_4698:
	s_mov_b32 s24, -1
	s_mov_b32 s9, 0
	s_mov_b32 s0, 0
                                        ; implicit-def: $vgpr22
	s_branch .LBB55_4715
.LBB55_4699:
	s_mov_b32 s24, -1
	s_mov_b32 s9, 0
	s_mov_b32 s0, 0
                                        ; implicit-def: $vgpr22
	s_branch .LBB55_4710
.LBB55_4700:
	s_or_b32 s56, s56, exec_lo
	s_trap 2
	s_cbranch_execz .LBB55_4637
	s_branch .LBB55_4638
.LBB55_4701:
	s_mov_b32 s24, -1
	s_mov_b32 s9, 0
	s_mov_b32 s0, 0
	s_branch .LBB55_4704
.LBB55_4702:
	s_or_b32 s50, s46, exec_lo
	s_trap 2
                                        ; implicit-def: $vgpr32
                                        ; implicit-def: $vgpr30
                                        ; implicit-def: $vgpr34
                                        ; implicit-def: $vgpr5
                                        ; implicit-def: $vgpr6
                                        ; implicit-def: $vgpr4
                                        ; implicit-def: $vgpr20
                                        ; implicit-def: $vgpr18
                                        ; implicit-def: $vgpr24
                                        ; implicit-def: $vgpr22
                                        ; implicit-def: $vgpr2
                                        ; implicit-def: $vgpr26
                                        ; implicit-def: $vgpr10
                                        ; implicit-def: $vgpr8
                                        ; implicit-def: $vgpr14
                                        ; implicit-def: $vgpr12
                                        ; implicit-def: $vgpr0
                                        ; implicit-def: $vgpr16
                                        ; implicit-def: $vgpr1
                                        ; implicit-def: $vgpr3
	s_or_saveexec_b32 s51, s0
                                        ; implicit-def: $vgpr38_vgpr39
                                        ; implicit-def: $sgpr0
	s_delay_alu instid0(SALU_CYCLE_1)
	s_xor_b32 exec_lo, exec_lo, s51
	s_cbranch_execz .LBB55_5084
	s_branch .LBB55_4410
.LBB55_4703:
	s_mov_b32 s0, -1
	s_mov_b32 s9, 0
.LBB55_4704:
                                        ; implicit-def: $vgpr22
.LBB55_4705:
	s_and_b32 vcc_lo, exec_lo, s24
	s_cbranch_vccz .LBB55_4709
; %bb.4706:
	s_cmp_eq_u32 s59, 44
	s_cbranch_scc0 .LBB55_4708
; %bb.4707:
	global_load_u8 v11, v[24:25], off
	s_mov_b32 s0, 0
	s_mov_b32 s9, -1
	s_wait_loadcnt 0x0
	v_lshlrev_b32_e32 v13, 23, v11
	v_cmp_ne_u32_e32 vcc_lo, 0, v11
	s_delay_alu instid0(VALU_DEP_2) | instskip(NEXT) | instid1(VALU_DEP_1)
	v_cvt_i32_f32_e32 v13, v13
	v_cndmask_b32_e32 v22, 0, v13, vcc_lo
	s_branch .LBB55_4709
.LBB55_4708:
	s_mov_b32 s0, -1
                                        ; implicit-def: $vgpr22
.LBB55_4709:
	s_mov_b32 s24, 0
.LBB55_4710:
	s_delay_alu instid0(SALU_CYCLE_1)
	s_and_b32 vcc_lo, exec_lo, s24
	s_cbranch_vccz .LBB55_4714
; %bb.4711:
	s_cmp_eq_u32 s59, 29
	s_cbranch_scc0 .LBB55_4713
; %bb.4712:
	global_load_b32 v22, v[24:25], off
	s_mov_b32 s0, 0
	s_mov_b32 s9, -1
	s_branch .LBB55_4714
.LBB55_4713:
	s_mov_b32 s0, -1
                                        ; implicit-def: $vgpr22
.LBB55_4714:
	s_mov_b32 s24, 0
.LBB55_4715:
	s_delay_alu instid0(SALU_CYCLE_1)
	s_and_b32 vcc_lo, exec_lo, s24
	s_cbranch_vccz .LBB55_4731
; %bb.4716:
	s_cmp_lt_i32 s59, 27
	s_cbranch_scc1 .LBB55_4719
; %bb.4717:
	s_cmp_gt_i32 s59, 27
	s_cbranch_scc0 .LBB55_4720
; %bb.4718:
	s_wait_loadcnt 0x0
	global_load_b32 v22, v[24:25], off
	s_mov_b32 s9, 0
	s_branch .LBB55_4721
.LBB55_4719:
	s_mov_b32 s9, -1
                                        ; implicit-def: $vgpr22
	s_branch .LBB55_4724
.LBB55_4720:
	s_mov_b32 s9, -1
                                        ; implicit-def: $vgpr22
.LBB55_4721:
	s_delay_alu instid0(SALU_CYCLE_1)
	s_and_not1_b32 vcc_lo, exec_lo, s9
	s_cbranch_vccnz .LBB55_4723
; %bb.4722:
	s_wait_loadcnt 0x0
	global_load_u16 v22, v[24:25], off
.LBB55_4723:
	s_mov_b32 s9, 0
.LBB55_4724:
	s_delay_alu instid0(SALU_CYCLE_1)
	s_and_not1_b32 vcc_lo, exec_lo, s9
	s_cbranch_vccnz .LBB55_4730
; %bb.4725:
	global_load_u8 v11, v[24:25], off
	s_mov_b32 s24, 0
	s_mov_b32 s9, exec_lo
	s_wait_loadcnt 0x0
	v_cmpx_lt_i16_e32 0x7f, v11
	s_xor_b32 s9, exec_lo, s9
	s_cbranch_execz .LBB55_4742
; %bb.4726:
	v_cmp_ne_u16_e32 vcc_lo, 0x80, v11
	s_and_b32 s24, vcc_lo, exec_lo
	s_and_not1_saveexec_b32 s9, s9
	s_cbranch_execnz .LBB55_4743
.LBB55_4727:
	s_or_b32 exec_lo, exec_lo, s9
	v_mov_b32_e32 v22, 0
	s_and_saveexec_b32 s9, s24
	s_cbranch_execz .LBB55_4729
.LBB55_4728:
	v_and_b32_e32 v13, 0xffff, v11
	s_delay_alu instid0(VALU_DEP_1) | instskip(SKIP_1) | instid1(VALU_DEP_2)
	v_dual_lshlrev_b32 v11, 24, v11 :: v_dual_bitop2_b32 v15, 7, v13 bitop3:0x40
	v_bfe_u32 v21, v13, 3, 4
	v_and_b32_e32 v11, 0x80000000, v11
	s_delay_alu instid0(VALU_DEP_3) | instskip(NEXT) | instid1(VALU_DEP_3)
	v_clz_i32_u32_e32 v17, v15
	v_cmp_eq_u32_e32 vcc_lo, 0, v21
	s_delay_alu instid0(VALU_DEP_2) | instskip(NEXT) | instid1(VALU_DEP_1)
	v_min_u32_e32 v17, 32, v17
	v_subrev_nc_u32_e32 v19, 28, v17
	v_sub_nc_u32_e32 v17, 29, v17
	s_delay_alu instid0(VALU_DEP_2) | instskip(NEXT) | instid1(VALU_DEP_2)
	v_lshlrev_b32_e32 v13, v19, v13
	v_cndmask_b32_e32 v17, v21, v17, vcc_lo
	s_delay_alu instid0(VALU_DEP_2) | instskip(NEXT) | instid1(VALU_DEP_1)
	v_and_b32_e32 v13, 7, v13
	v_cndmask_b32_e32 v13, v15, v13, vcc_lo
	s_delay_alu instid0(VALU_DEP_3) | instskip(NEXT) | instid1(VALU_DEP_2)
	v_lshl_add_u32 v15, v17, 23, 0x3b800000
	v_lshlrev_b32_e32 v13, 20, v13
	s_delay_alu instid0(VALU_DEP_1) | instskip(NEXT) | instid1(VALU_DEP_1)
	v_or3_b32 v11, v11, v15, v13
	v_cvt_i32_f32_e32 v22, v11
.LBB55_4729:
	s_or_b32 exec_lo, exec_lo, s9
.LBB55_4730:
	s_mov_b32 s9, -1
.LBB55_4731:
	s_mov_b32 s24, 0
.LBB55_4732:
	s_delay_alu instid0(SALU_CYCLE_1)
	s_and_b32 vcc_lo, exec_lo, s24
	s_cbranch_vccz .LBB55_4763
; %bb.4733:
	s_cmp_gt_i32 s59, 22
	s_cbranch_scc0 .LBB55_4741
; %bb.4734:
	s_cmp_lt_i32 s59, 24
	s_cbranch_scc1 .LBB55_4744
; %bb.4735:
	s_cmp_gt_i32 s59, 24
	s_cbranch_scc0 .LBB55_4745
; %bb.4736:
	global_load_u8 v11, v[24:25], off
	s_mov_b32 s9, 0
	s_mov_b32 s1, exec_lo
	s_wait_loadcnt 0x0
	v_cmpx_lt_i16_e32 0x7f, v11
	s_xor_b32 s1, exec_lo, s1
	s_cbranch_execz .LBB55_4757
; %bb.4737:
	v_cmp_ne_u16_e32 vcc_lo, 0x80, v11
	s_and_b32 s9, vcc_lo, exec_lo
	s_and_not1_saveexec_b32 s1, s1
	s_cbranch_execnz .LBB55_4758
.LBB55_4738:
	s_or_b32 exec_lo, exec_lo, s1
	v_mov_b32_e32 v22, 0
	s_and_saveexec_b32 s1, s9
	s_cbranch_execz .LBB55_4740
.LBB55_4739:
	v_and_b32_e32 v13, 0xffff, v11
	s_delay_alu instid0(VALU_DEP_1) | instskip(SKIP_1) | instid1(VALU_DEP_2)
	v_dual_lshlrev_b32 v11, 24, v11 :: v_dual_bitop2_b32 v15, 3, v13 bitop3:0x40
	v_bfe_u32 v21, v13, 2, 5
	v_and_b32_e32 v11, 0x80000000, v11
	s_delay_alu instid0(VALU_DEP_3) | instskip(NEXT) | instid1(VALU_DEP_3)
	v_clz_i32_u32_e32 v17, v15
	v_cmp_eq_u32_e32 vcc_lo, 0, v21
	s_delay_alu instid0(VALU_DEP_2) | instskip(NEXT) | instid1(VALU_DEP_1)
	v_min_u32_e32 v17, 32, v17
	v_subrev_nc_u32_e32 v19, 29, v17
	v_sub_nc_u32_e32 v17, 30, v17
	s_delay_alu instid0(VALU_DEP_2) | instskip(NEXT) | instid1(VALU_DEP_2)
	v_lshlrev_b32_e32 v13, v19, v13
	v_cndmask_b32_e32 v17, v21, v17, vcc_lo
	s_delay_alu instid0(VALU_DEP_2) | instskip(NEXT) | instid1(VALU_DEP_1)
	v_and_b32_e32 v13, 3, v13
	v_cndmask_b32_e32 v13, v15, v13, vcc_lo
	s_delay_alu instid0(VALU_DEP_3) | instskip(NEXT) | instid1(VALU_DEP_2)
	v_lshl_add_u32 v15, v17, 23, 0x37800000
	v_lshlrev_b32_e32 v13, 21, v13
	s_delay_alu instid0(VALU_DEP_1) | instskip(NEXT) | instid1(VALU_DEP_1)
	v_or3_b32 v11, v11, v15, v13
	v_cvt_i32_f32_e32 v22, v11
.LBB55_4740:
	s_or_b32 exec_lo, exec_lo, s1
	s_mov_b32 s1, 0
	s_branch .LBB55_4746
.LBB55_4741:
	s_mov_b32 s1, -1
                                        ; implicit-def: $vgpr22
	s_branch .LBB55_4752
.LBB55_4742:
	s_and_not1_saveexec_b32 s9, s9
	s_cbranch_execz .LBB55_4727
.LBB55_4743:
	v_cmp_ne_u16_e32 vcc_lo, 0, v11
	s_and_not1_b32 s24, s24, exec_lo
	s_and_b32 s25, vcc_lo, exec_lo
	s_delay_alu instid0(SALU_CYCLE_1)
	s_or_b32 s24, s24, s25
	s_or_b32 exec_lo, exec_lo, s9
	v_mov_b32_e32 v22, 0
	s_and_saveexec_b32 s9, s24
	s_cbranch_execnz .LBB55_4728
	s_branch .LBB55_4729
.LBB55_4744:
	s_mov_b32 s1, -1
                                        ; implicit-def: $vgpr22
	s_branch .LBB55_4749
.LBB55_4745:
	s_mov_b32 s1, -1
                                        ; implicit-def: $vgpr22
.LBB55_4746:
	s_delay_alu instid0(SALU_CYCLE_1)
	s_and_b32 vcc_lo, exec_lo, s1
	s_cbranch_vccz .LBB55_4748
; %bb.4747:
	global_load_u8 v11, v[24:25], off
	s_wait_loadcnt 0x0
	v_lshlrev_b32_e32 v11, 24, v11
	s_delay_alu instid0(VALU_DEP_1) | instskip(NEXT) | instid1(VALU_DEP_1)
	v_and_b32_e32 v13, 0x7f000000, v11
	v_clz_i32_u32_e32 v15, v13
	v_add_nc_u32_e32 v19, 0x1000000, v13
	v_cmp_ne_u32_e32 vcc_lo, 0, v13
	s_delay_alu instid0(VALU_DEP_3) | instskip(NEXT) | instid1(VALU_DEP_1)
	v_min_u32_e32 v15, 32, v15
	v_sub_nc_u32_e64 v15, v15, 4 clamp
	s_delay_alu instid0(VALU_DEP_1) | instskip(NEXT) | instid1(VALU_DEP_1)
	v_dual_lshlrev_b32 v17, v15, v13 :: v_dual_lshlrev_b32 v15, 23, v15
	v_lshrrev_b32_e32 v17, 4, v17
	s_delay_alu instid0(VALU_DEP_1) | instskip(SKIP_1) | instid1(VALU_DEP_2)
	v_sub_nc_u32_e32 v15, v17, v15
	v_ashrrev_i32_e32 v17, 8, v19
	v_add_nc_u32_e32 v15, 0x3c000000, v15
	s_delay_alu instid0(VALU_DEP_1) | instskip(NEXT) | instid1(VALU_DEP_1)
	v_and_or_b32 v15, 0x7f800000, v17, v15
	v_cndmask_b32_e32 v13, 0, v15, vcc_lo
	s_delay_alu instid0(VALU_DEP_1) | instskip(NEXT) | instid1(VALU_DEP_1)
	v_and_or_b32 v11, 0x80000000, v11, v13
	v_cvt_i32_f32_e32 v22, v11
.LBB55_4748:
	s_mov_b32 s1, 0
.LBB55_4749:
	s_delay_alu instid0(SALU_CYCLE_1)
	s_and_not1_b32 vcc_lo, exec_lo, s1
	s_cbranch_vccnz .LBB55_4751
; %bb.4750:
	global_load_u8 v11, v[24:25], off
	s_wait_loadcnt 0x0
	v_lshlrev_b32_e32 v13, 25, v11
	v_lshlrev_b16 v11, 8, v11
	s_delay_alu instid0(VALU_DEP_1) | instskip(SKIP_1) | instid1(VALU_DEP_2)
	v_and_or_b32 v17, 0x7f00, v11, 0.5
	v_bfe_i32 v11, v11, 0, 16
	v_add_f32_e32 v17, -0.5, v17
	v_lshrrev_b32_e32 v15, 4, v13
	v_cmp_gt_u32_e32 vcc_lo, 0x8000000, v13
	s_delay_alu instid0(VALU_DEP_2) | instskip(NEXT) | instid1(VALU_DEP_1)
	v_or_b32_e32 v15, 0x70000000, v15
	v_mul_f32_e32 v15, 0x7800000, v15
	s_delay_alu instid0(VALU_DEP_1) | instskip(NEXT) | instid1(VALU_DEP_1)
	v_cndmask_b32_e32 v13, v15, v17, vcc_lo
	v_and_or_b32 v11, 0x80000000, v11, v13
	s_delay_alu instid0(VALU_DEP_1)
	v_cvt_i32_f32_e32 v22, v11
.LBB55_4751:
	s_mov_b32 s1, 0
	s_mov_b32 s9, -1
.LBB55_4752:
	s_and_not1_b32 vcc_lo, exec_lo, s1
	s_mov_b32 s1, 0
	s_cbranch_vccnz .LBB55_4763
; %bb.4753:
	s_cmp_gt_i32 s59, 14
	s_cbranch_scc0 .LBB55_4756
; %bb.4754:
	s_cmp_eq_u32 s59, 15
	s_cbranch_scc0 .LBB55_4759
; %bb.4755:
	global_load_u16 v11, v[24:25], off
	s_mov_b32 s0, 0
	s_mov_b32 s9, -1
	s_wait_loadcnt 0x0
	v_lshlrev_b32_e32 v11, 16, v11
	s_delay_alu instid0(VALU_DEP_1)
	v_cvt_i32_f32_e32 v22, v11
	s_branch .LBB55_4761
.LBB55_4756:
	s_mov_b32 s1, -1
	s_branch .LBB55_4760
.LBB55_4757:
	s_and_not1_saveexec_b32 s1, s1
	s_cbranch_execz .LBB55_4738
.LBB55_4758:
	v_cmp_ne_u16_e32 vcc_lo, 0, v11
	s_and_not1_b32 s9, s9, exec_lo
	s_and_b32 s24, vcc_lo, exec_lo
	s_delay_alu instid0(SALU_CYCLE_1)
	s_or_b32 s9, s9, s24
	s_or_b32 exec_lo, exec_lo, s1
	v_mov_b32_e32 v22, 0
	s_and_saveexec_b32 s1, s9
	s_cbranch_execnz .LBB55_4739
	s_branch .LBB55_4740
.LBB55_4759:
	s_mov_b32 s0, -1
.LBB55_4760:
                                        ; implicit-def: $vgpr22
.LBB55_4761:
	s_and_b32 vcc_lo, exec_lo, s1
	s_mov_b32 s1, 0
	s_cbranch_vccz .LBB55_4763
; %bb.4762:
	s_cmp_lg_u32 s59, 11
	s_mov_b32 s1, -1
	s_cselect_b32 s0, -1, 0
.LBB55_4763:
	s_delay_alu instid0(SALU_CYCLE_1)
	s_and_b32 vcc_lo, exec_lo, s0
	s_cbranch_vccnz .LBB55_4828
; %bb.4764:
	s_and_not1_b32 vcc_lo, exec_lo, s1
	s_cbranch_vccnz .LBB55_4766
.LBB55_4765:
	global_load_u8 v11, v[24:25], off
	s_mov_b32 s9, -1
	s_wait_loadcnt 0x0
	v_cmp_ne_u16_e32 vcc_lo, 0, v11
	v_cndmask_b32_e64 v22, 0, 1, vcc_lo
.LBB55_4766:
	s_mov_b32 s0, 0
.LBB55_4767:
	s_delay_alu instid0(SALU_CYCLE_1)
	s_and_b32 vcc_lo, exec_lo, s0
	s_cbranch_vccz .LBB55_4816
; %bb.4768:
	s_cmp_lt_i32 s59, 5
	s_cbranch_scc1 .LBB55_4773
; %bb.4769:
	s_cmp_lt_i32 s59, 8
	s_cbranch_scc1 .LBB55_4774
	;; [unrolled: 3-line block ×3, first 2 shown]
; %bb.4771:
	s_cmp_gt_i32 s59, 9
	s_cbranch_scc0 .LBB55_4776
; %bb.4772:
	s_wait_loadcnt 0x0
	global_load_b64 v[22:23], v[24:25], off
	s_mov_b32 s0, 0
	s_wait_loadcnt 0x0
	v_cvt_i32_f64_e32 v22, v[22:23]
	s_branch .LBB55_4777
.LBB55_4773:
	s_mov_b32 s0, -1
                                        ; implicit-def: $vgpr22
	s_branch .LBB55_4795
.LBB55_4774:
	s_mov_b32 s0, -1
                                        ; implicit-def: $vgpr22
	s_branch .LBB55_4783
.LBB55_4775:
	s_mov_b32 s0, -1
                                        ; implicit-def: $vgpr22
	s_branch .LBB55_4780
.LBB55_4776:
	s_mov_b32 s0, -1
                                        ; implicit-def: $vgpr22
.LBB55_4777:
	s_delay_alu instid0(SALU_CYCLE_1)
	s_and_not1_b32 vcc_lo, exec_lo, s0
	s_cbranch_vccnz .LBB55_4779
; %bb.4778:
	global_load_b32 v11, v[24:25], off
	s_wait_loadcnt 0x0
	v_cvt_i32_f32_e32 v22, v11
.LBB55_4779:
	s_mov_b32 s0, 0
.LBB55_4780:
	s_delay_alu instid0(SALU_CYCLE_1)
	s_and_not1_b32 vcc_lo, exec_lo, s0
	s_cbranch_vccnz .LBB55_4782
; %bb.4781:
	global_load_b32 v11, v[24:25], off
	s_wait_loadcnt 0x0
	v_cvt_f32_f16_e32 v11, v11
	s_delay_alu instid0(VALU_DEP_1)
	v_cvt_i32_f32_e32 v22, v11
.LBB55_4782:
	s_mov_b32 s0, 0
.LBB55_4783:
	s_delay_alu instid0(SALU_CYCLE_1)
	s_and_not1_b32 vcc_lo, exec_lo, s0
	s_cbranch_vccnz .LBB55_4794
; %bb.4784:
	s_cmp_lt_i32 s59, 6
	s_cbranch_scc1 .LBB55_4787
; %bb.4785:
	s_cmp_gt_i32 s59, 6
	s_cbranch_scc0 .LBB55_4788
; %bb.4786:
	s_wait_loadcnt 0x0
	global_load_b64 v[22:23], v[24:25], off
	s_mov_b32 s0, 0
	s_wait_loadcnt 0x0
	v_cvt_i32_f64_e32 v22, v[22:23]
	s_branch .LBB55_4789
.LBB55_4787:
	s_mov_b32 s0, -1
                                        ; implicit-def: $vgpr22
	s_branch .LBB55_4792
.LBB55_4788:
	s_mov_b32 s0, -1
                                        ; implicit-def: $vgpr22
.LBB55_4789:
	s_delay_alu instid0(SALU_CYCLE_1)
	s_and_not1_b32 vcc_lo, exec_lo, s0
	s_cbranch_vccnz .LBB55_4791
; %bb.4790:
	global_load_b32 v11, v[24:25], off
	s_wait_loadcnt 0x0
	v_cvt_i32_f32_e32 v22, v11
.LBB55_4791:
	s_mov_b32 s0, 0
.LBB55_4792:
	s_delay_alu instid0(SALU_CYCLE_1)
	s_and_not1_b32 vcc_lo, exec_lo, s0
	s_cbranch_vccnz .LBB55_4794
; %bb.4793:
	global_load_u16 v11, v[24:25], off
	s_wait_loadcnt 0x0
	v_cvt_f32_f16_e32 v11, v11
	s_delay_alu instid0(VALU_DEP_1)
	v_cvt_i32_f32_e32 v22, v11
.LBB55_4794:
	s_mov_b32 s0, 0
.LBB55_4795:
	s_delay_alu instid0(SALU_CYCLE_1)
	s_and_not1_b32 vcc_lo, exec_lo, s0
	s_cbranch_vccnz .LBB55_4815
; %bb.4796:
	s_cmp_lt_i32 s59, 2
	s_cbranch_scc1 .LBB55_4800
; %bb.4797:
	s_cmp_lt_i32 s59, 3
	s_cbranch_scc1 .LBB55_4801
; %bb.4798:
	s_cmp_gt_i32 s59, 3
	s_cbranch_scc0 .LBB55_4802
; %bb.4799:
	s_wait_loadcnt 0x0
	global_load_b32 v22, v[24:25], off
	s_mov_b32 s0, 0
	s_branch .LBB55_4803
.LBB55_4800:
	s_mov_b32 s0, -1
                                        ; implicit-def: $vgpr22
	s_branch .LBB55_4809
.LBB55_4801:
	s_mov_b32 s0, -1
                                        ; implicit-def: $vgpr22
	s_branch .LBB55_4806
.LBB55_4802:
	s_mov_b32 s0, -1
                                        ; implicit-def: $vgpr22
.LBB55_4803:
	s_delay_alu instid0(SALU_CYCLE_1)
	s_and_not1_b32 vcc_lo, exec_lo, s0
	s_cbranch_vccnz .LBB55_4805
; %bb.4804:
	s_wait_loadcnt 0x0
	global_load_b32 v22, v[24:25], off
.LBB55_4805:
	s_mov_b32 s0, 0
.LBB55_4806:
	s_delay_alu instid0(SALU_CYCLE_1)
	s_and_not1_b32 vcc_lo, exec_lo, s0
	s_cbranch_vccnz .LBB55_4808
; %bb.4807:
	s_wait_loadcnt 0x0
	global_load_i16 v22, v[24:25], off
.LBB55_4808:
	s_mov_b32 s0, 0
.LBB55_4809:
	s_delay_alu instid0(SALU_CYCLE_1)
	s_and_not1_b32 vcc_lo, exec_lo, s0
	s_cbranch_vccnz .LBB55_4815
; %bb.4810:
	s_cmp_gt_i32 s59, 0
	s_mov_b32 s0, 0
	s_cbranch_scc0 .LBB55_4812
; %bb.4811:
	s_wait_loadcnt 0x0
	global_load_i8 v22, v[24:25], off
	s_branch .LBB55_4813
.LBB55_4812:
	s_mov_b32 s0, -1
                                        ; implicit-def: $vgpr22
.LBB55_4813:
	s_delay_alu instid0(SALU_CYCLE_1)
	s_and_not1_b32 vcc_lo, exec_lo, s0
	s_cbranch_vccnz .LBB55_4815
; %bb.4814:
	s_wait_loadcnt 0x0
	global_load_u8 v22, v[24:25], off
.LBB55_4815:
	s_mov_b32 s9, -1
.LBB55_4816:
	s_delay_alu instid0(SALU_CYCLE_1)
	s_and_not1_b32 vcc_lo, exec_lo, s9
	s_cbranch_vccnz .LBB55_5080
; %bb.4817:
	v_mov_b32_e32 v21, 0
	s_cmp_lt_i32 s60, 11
	s_wait_xcnt 0x0
	s_delay_alu instid0(VALU_DEP_1)
	v_add_nc_u64_e32 v[24:25], s[16:17], v[20:21]
	s_cbranch_scc1 .LBB55_4824
; %bb.4818:
	s_cmp_gt_i32 s60, 25
	s_mov_b32 s1, 0
	s_cbranch_scc0 .LBB55_4825
; %bb.4819:
	s_cmp_gt_i32 s60, 28
	s_cbranch_scc0 .LBB55_4826
; %bb.4820:
	s_cmp_gt_i32 s60, 43
	;; [unrolled: 3-line block ×3, first 2 shown]
	s_cbranch_scc0 .LBB55_4829
; %bb.4822:
	s_cmp_eq_u32 s60, 46
	s_mov_b32 s24, 0
	s_cbranch_scc0 .LBB55_4831
; %bb.4823:
	global_load_b32 v11, v[24:25], off
	s_mov_b32 s0, 0
	s_mov_b32 s9, -1
	s_wait_loadcnt 0x0
	v_lshlrev_b32_e32 v11, 16, v11
	s_delay_alu instid0(VALU_DEP_1)
	v_cvt_i32_f32_e32 v20, v11
	s_branch .LBB55_4833
.LBB55_4824:
	s_mov_b32 s0, -1
	s_mov_b32 s9, 0
                                        ; implicit-def: $vgpr20
	s_branch .LBB55_4895
.LBB55_4825:
	s_mov_b32 s24, -1
	s_mov_b32 s9, 0
	s_mov_b32 s0, 0
                                        ; implicit-def: $vgpr20
	s_branch .LBB55_4860
.LBB55_4826:
	s_mov_b32 s24, -1
	s_mov_b32 s9, 0
	s_mov_b32 s0, 0
                                        ; implicit-def: $vgpr20
	s_branch .LBB55_4843
.LBB55_4827:
	s_mov_b32 s24, -1
	s_mov_b32 s9, 0
	s_mov_b32 s0, 0
                                        ; implicit-def: $vgpr20
	s_branch .LBB55_4838
.LBB55_4828:
	s_or_b32 s56, s56, exec_lo
	s_trap 2
	s_cbranch_execz .LBB55_4765
	s_branch .LBB55_4766
.LBB55_4829:
	s_mov_b32 s24, -1
	s_mov_b32 s9, 0
	s_mov_b32 s0, 0
	s_branch .LBB55_4832
.LBB55_4830:
	s_or_b32 s52, s50, exec_lo
	s_trap 2
                                        ; implicit-def: $vgpr32
                                        ; implicit-def: $vgpr30
                                        ; implicit-def: $vgpr34
                                        ; implicit-def: $vgpr5
                                        ; implicit-def: $vgpr6
                                        ; implicit-def: $vgpr4
                                        ; implicit-def: $vgpr20
                                        ; implicit-def: $vgpr18
                                        ; implicit-def: $vgpr24
                                        ; implicit-def: $vgpr22
                                        ; implicit-def: $vgpr2
                                        ; implicit-def: $vgpr26
                                        ; implicit-def: $vgpr10
                                        ; implicit-def: $vgpr8
                                        ; implicit-def: $vgpr14
                                        ; implicit-def: $vgpr12
                                        ; implicit-def: $vgpr0
                                        ; implicit-def: $vgpr16
                                        ; implicit-def: $vgpr1
                                        ; implicit-def: $vgpr3
	s_or_saveexec_b32 s53, s0
	s_mov_b32 s1, 0
                                        ; implicit-def: $vgpr38_vgpr39
                                        ; implicit-def: $sgpr0
	s_xor_b32 exec_lo, exec_lo, s53
	s_cbranch_execz .LBB55_5083
	s_branch .LBB55_4412
.LBB55_4831:
	s_mov_b32 s0, -1
	s_mov_b32 s9, 0
.LBB55_4832:
                                        ; implicit-def: $vgpr20
.LBB55_4833:
	s_and_b32 vcc_lo, exec_lo, s24
	s_cbranch_vccz .LBB55_4837
; %bb.4834:
	s_cmp_eq_u32 s60, 44
	s_cbranch_scc0 .LBB55_4836
; %bb.4835:
	global_load_u8 v11, v[24:25], off
	s_mov_b32 s0, 0
	s_mov_b32 s9, -1
	s_wait_loadcnt 0x0
	v_lshlrev_b32_e32 v13, 23, v11
	v_cmp_ne_u32_e32 vcc_lo, 0, v11
	s_delay_alu instid0(VALU_DEP_2) | instskip(NEXT) | instid1(VALU_DEP_1)
	v_cvt_i32_f32_e32 v13, v13
	v_cndmask_b32_e32 v20, 0, v13, vcc_lo
	s_branch .LBB55_4837
.LBB55_4836:
	s_mov_b32 s0, -1
                                        ; implicit-def: $vgpr20
.LBB55_4837:
	s_mov_b32 s24, 0
.LBB55_4838:
	s_delay_alu instid0(SALU_CYCLE_1)
	s_and_b32 vcc_lo, exec_lo, s24
	s_cbranch_vccz .LBB55_4842
; %bb.4839:
	s_cmp_eq_u32 s60, 29
	s_cbranch_scc0 .LBB55_4841
; %bb.4840:
	global_load_b32 v20, v[24:25], off
	s_mov_b32 s0, 0
	s_mov_b32 s9, -1
	s_branch .LBB55_4842
.LBB55_4841:
	s_mov_b32 s0, -1
                                        ; implicit-def: $vgpr20
.LBB55_4842:
	s_mov_b32 s24, 0
.LBB55_4843:
	s_delay_alu instid0(SALU_CYCLE_1)
	s_and_b32 vcc_lo, exec_lo, s24
	s_cbranch_vccz .LBB55_4859
; %bb.4844:
	s_cmp_lt_i32 s60, 27
	s_cbranch_scc1 .LBB55_4847
; %bb.4845:
	s_cmp_gt_i32 s60, 27
	s_cbranch_scc0 .LBB55_4848
; %bb.4846:
	s_wait_loadcnt 0x0
	global_load_b32 v20, v[24:25], off
	s_mov_b32 s9, 0
	s_branch .LBB55_4849
.LBB55_4847:
	s_mov_b32 s9, -1
                                        ; implicit-def: $vgpr20
	s_branch .LBB55_4852
.LBB55_4848:
	s_mov_b32 s9, -1
                                        ; implicit-def: $vgpr20
.LBB55_4849:
	s_delay_alu instid0(SALU_CYCLE_1)
	s_and_not1_b32 vcc_lo, exec_lo, s9
	s_cbranch_vccnz .LBB55_4851
; %bb.4850:
	s_wait_loadcnt 0x0
	global_load_u16 v20, v[24:25], off
.LBB55_4851:
	s_mov_b32 s9, 0
.LBB55_4852:
	s_delay_alu instid0(SALU_CYCLE_1)
	s_and_not1_b32 vcc_lo, exec_lo, s9
	s_cbranch_vccnz .LBB55_4858
; %bb.4853:
	global_load_u8 v11, v[24:25], off
	s_mov_b32 s24, 0
	s_mov_b32 s9, exec_lo
	s_wait_loadcnt 0x0
	v_cmpx_lt_i16_e32 0x7f, v11
	s_xor_b32 s9, exec_lo, s9
	s_cbranch_execz .LBB55_4870
; %bb.4854:
	v_cmp_ne_u16_e32 vcc_lo, 0x80, v11
	s_and_b32 s24, vcc_lo, exec_lo
	s_and_not1_saveexec_b32 s9, s9
	s_cbranch_execnz .LBB55_4871
.LBB55_4855:
	s_or_b32 exec_lo, exec_lo, s9
	v_mov_b32_e32 v20, 0
	s_and_saveexec_b32 s9, s24
	s_cbranch_execz .LBB55_4857
.LBB55_4856:
	v_and_b32_e32 v13, 0xffff, v11
	s_delay_alu instid0(VALU_DEP_1) | instskip(SKIP_1) | instid1(VALU_DEP_2)
	v_dual_lshlrev_b32 v11, 24, v11 :: v_dual_bitop2_b32 v15, 7, v13 bitop3:0x40
	v_bfe_u32 v20, v13, 3, 4
	v_and_b32_e32 v11, 0x80000000, v11
	s_delay_alu instid0(VALU_DEP_3) | instskip(NEXT) | instid1(VALU_DEP_3)
	v_clz_i32_u32_e32 v17, v15
	v_cmp_eq_u32_e32 vcc_lo, 0, v20
	s_delay_alu instid0(VALU_DEP_2) | instskip(NEXT) | instid1(VALU_DEP_1)
	v_min_u32_e32 v17, 32, v17
	v_subrev_nc_u32_e32 v19, 28, v17
	v_sub_nc_u32_e32 v17, 29, v17
	s_delay_alu instid0(VALU_DEP_2) | instskip(NEXT) | instid1(VALU_DEP_2)
	v_lshlrev_b32_e32 v13, v19, v13
	v_cndmask_b32_e32 v17, v20, v17, vcc_lo
	s_delay_alu instid0(VALU_DEP_2) | instskip(NEXT) | instid1(VALU_DEP_1)
	v_and_b32_e32 v13, 7, v13
	v_cndmask_b32_e32 v13, v15, v13, vcc_lo
	s_delay_alu instid0(VALU_DEP_3) | instskip(NEXT) | instid1(VALU_DEP_2)
	v_lshl_add_u32 v15, v17, 23, 0x3b800000
	v_lshlrev_b32_e32 v13, 20, v13
	s_delay_alu instid0(VALU_DEP_1) | instskip(NEXT) | instid1(VALU_DEP_1)
	v_or3_b32 v11, v11, v15, v13
	v_cvt_i32_f32_e32 v20, v11
.LBB55_4857:
	s_or_b32 exec_lo, exec_lo, s9
.LBB55_4858:
	s_mov_b32 s9, -1
.LBB55_4859:
	s_mov_b32 s24, 0
.LBB55_4860:
	s_delay_alu instid0(SALU_CYCLE_1)
	s_and_b32 vcc_lo, exec_lo, s24
	s_cbranch_vccz .LBB55_4891
; %bb.4861:
	s_cmp_gt_i32 s60, 22
	s_cbranch_scc0 .LBB55_4869
; %bb.4862:
	s_cmp_lt_i32 s60, 24
	s_cbranch_scc1 .LBB55_4872
; %bb.4863:
	s_cmp_gt_i32 s60, 24
	s_cbranch_scc0 .LBB55_4873
; %bb.4864:
	global_load_u8 v11, v[24:25], off
	s_mov_b32 s9, 0
	s_mov_b32 s1, exec_lo
	s_wait_loadcnt 0x0
	v_cmpx_lt_i16_e32 0x7f, v11
	s_xor_b32 s1, exec_lo, s1
	s_cbranch_execz .LBB55_4885
; %bb.4865:
	v_cmp_ne_u16_e32 vcc_lo, 0x80, v11
	s_and_b32 s9, vcc_lo, exec_lo
	s_and_not1_saveexec_b32 s1, s1
	s_cbranch_execnz .LBB55_4886
.LBB55_4866:
	s_or_b32 exec_lo, exec_lo, s1
	v_mov_b32_e32 v20, 0
	s_and_saveexec_b32 s1, s9
	s_cbranch_execz .LBB55_4868
.LBB55_4867:
	v_and_b32_e32 v13, 0xffff, v11
	s_delay_alu instid0(VALU_DEP_1) | instskip(SKIP_1) | instid1(VALU_DEP_2)
	v_dual_lshlrev_b32 v11, 24, v11 :: v_dual_bitop2_b32 v15, 3, v13 bitop3:0x40
	v_bfe_u32 v20, v13, 2, 5
	v_and_b32_e32 v11, 0x80000000, v11
	s_delay_alu instid0(VALU_DEP_3) | instskip(NEXT) | instid1(VALU_DEP_3)
	v_clz_i32_u32_e32 v17, v15
	v_cmp_eq_u32_e32 vcc_lo, 0, v20
	s_delay_alu instid0(VALU_DEP_2) | instskip(NEXT) | instid1(VALU_DEP_1)
	v_min_u32_e32 v17, 32, v17
	v_subrev_nc_u32_e32 v19, 29, v17
	v_sub_nc_u32_e32 v17, 30, v17
	s_delay_alu instid0(VALU_DEP_2) | instskip(NEXT) | instid1(VALU_DEP_2)
	v_lshlrev_b32_e32 v13, v19, v13
	v_cndmask_b32_e32 v17, v20, v17, vcc_lo
	s_delay_alu instid0(VALU_DEP_2) | instskip(NEXT) | instid1(VALU_DEP_1)
	v_and_b32_e32 v13, 3, v13
	v_cndmask_b32_e32 v13, v15, v13, vcc_lo
	s_delay_alu instid0(VALU_DEP_3) | instskip(NEXT) | instid1(VALU_DEP_2)
	v_lshl_add_u32 v15, v17, 23, 0x37800000
	v_lshlrev_b32_e32 v13, 21, v13
	s_delay_alu instid0(VALU_DEP_1) | instskip(NEXT) | instid1(VALU_DEP_1)
	v_or3_b32 v11, v11, v15, v13
	v_cvt_i32_f32_e32 v20, v11
.LBB55_4868:
	s_or_b32 exec_lo, exec_lo, s1
	s_mov_b32 s1, 0
	s_branch .LBB55_4874
.LBB55_4869:
	s_mov_b32 s1, -1
                                        ; implicit-def: $vgpr20
	s_branch .LBB55_4880
.LBB55_4870:
	s_and_not1_saveexec_b32 s9, s9
	s_cbranch_execz .LBB55_4855
.LBB55_4871:
	v_cmp_ne_u16_e32 vcc_lo, 0, v11
	s_and_not1_b32 s24, s24, exec_lo
	s_and_b32 s25, vcc_lo, exec_lo
	s_delay_alu instid0(SALU_CYCLE_1)
	s_or_b32 s24, s24, s25
	s_or_b32 exec_lo, exec_lo, s9
	v_mov_b32_e32 v20, 0
	s_and_saveexec_b32 s9, s24
	s_cbranch_execnz .LBB55_4856
	s_branch .LBB55_4857
.LBB55_4872:
	s_mov_b32 s1, -1
                                        ; implicit-def: $vgpr20
	s_branch .LBB55_4877
.LBB55_4873:
	s_mov_b32 s1, -1
                                        ; implicit-def: $vgpr20
.LBB55_4874:
	s_delay_alu instid0(SALU_CYCLE_1)
	s_and_b32 vcc_lo, exec_lo, s1
	s_cbranch_vccz .LBB55_4876
; %bb.4875:
	global_load_u8 v11, v[24:25], off
	s_wait_loadcnt 0x0
	v_lshlrev_b32_e32 v11, 24, v11
	s_delay_alu instid0(VALU_DEP_1) | instskip(NEXT) | instid1(VALU_DEP_1)
	v_and_b32_e32 v13, 0x7f000000, v11
	v_clz_i32_u32_e32 v15, v13
	v_add_nc_u32_e32 v19, 0x1000000, v13
	v_cmp_ne_u32_e32 vcc_lo, 0, v13
	s_delay_alu instid0(VALU_DEP_3) | instskip(NEXT) | instid1(VALU_DEP_1)
	v_min_u32_e32 v15, 32, v15
	v_sub_nc_u32_e64 v15, v15, 4 clamp
	s_delay_alu instid0(VALU_DEP_1) | instskip(NEXT) | instid1(VALU_DEP_1)
	v_dual_lshlrev_b32 v17, v15, v13 :: v_dual_lshlrev_b32 v15, 23, v15
	v_lshrrev_b32_e32 v17, 4, v17
	s_delay_alu instid0(VALU_DEP_1) | instskip(SKIP_1) | instid1(VALU_DEP_2)
	v_sub_nc_u32_e32 v15, v17, v15
	v_ashrrev_i32_e32 v17, 8, v19
	v_add_nc_u32_e32 v15, 0x3c000000, v15
	s_delay_alu instid0(VALU_DEP_1) | instskip(NEXT) | instid1(VALU_DEP_1)
	v_and_or_b32 v15, 0x7f800000, v17, v15
	v_cndmask_b32_e32 v13, 0, v15, vcc_lo
	s_delay_alu instid0(VALU_DEP_1) | instskip(NEXT) | instid1(VALU_DEP_1)
	v_and_or_b32 v11, 0x80000000, v11, v13
	v_cvt_i32_f32_e32 v20, v11
.LBB55_4876:
	s_mov_b32 s1, 0
.LBB55_4877:
	s_delay_alu instid0(SALU_CYCLE_1)
	s_and_not1_b32 vcc_lo, exec_lo, s1
	s_cbranch_vccnz .LBB55_4879
; %bb.4878:
	global_load_u8 v11, v[24:25], off
	s_wait_loadcnt 0x0
	v_lshlrev_b32_e32 v13, 25, v11
	v_lshlrev_b16 v11, 8, v11
	s_delay_alu instid0(VALU_DEP_1) | instskip(SKIP_1) | instid1(VALU_DEP_2)
	v_and_or_b32 v17, 0x7f00, v11, 0.5
	v_bfe_i32 v11, v11, 0, 16
	v_add_f32_e32 v17, -0.5, v17
	v_lshrrev_b32_e32 v15, 4, v13
	v_cmp_gt_u32_e32 vcc_lo, 0x8000000, v13
	s_delay_alu instid0(VALU_DEP_2) | instskip(NEXT) | instid1(VALU_DEP_1)
	v_or_b32_e32 v15, 0x70000000, v15
	v_mul_f32_e32 v15, 0x7800000, v15
	s_delay_alu instid0(VALU_DEP_1) | instskip(NEXT) | instid1(VALU_DEP_1)
	v_cndmask_b32_e32 v13, v15, v17, vcc_lo
	v_and_or_b32 v11, 0x80000000, v11, v13
	s_delay_alu instid0(VALU_DEP_1)
	v_cvt_i32_f32_e32 v20, v11
.LBB55_4879:
	s_mov_b32 s1, 0
	s_mov_b32 s9, -1
.LBB55_4880:
	s_and_not1_b32 vcc_lo, exec_lo, s1
	s_mov_b32 s1, 0
	s_cbranch_vccnz .LBB55_4891
; %bb.4881:
	s_cmp_gt_i32 s60, 14
	s_cbranch_scc0 .LBB55_4884
; %bb.4882:
	s_cmp_eq_u32 s60, 15
	s_cbranch_scc0 .LBB55_4887
; %bb.4883:
	global_load_u16 v11, v[24:25], off
	s_mov_b32 s0, 0
	s_mov_b32 s9, -1
	s_wait_loadcnt 0x0
	v_lshlrev_b32_e32 v11, 16, v11
	s_delay_alu instid0(VALU_DEP_1)
	v_cvt_i32_f32_e32 v20, v11
	s_branch .LBB55_4889
.LBB55_4884:
	s_mov_b32 s1, -1
	s_branch .LBB55_4888
.LBB55_4885:
	s_and_not1_saveexec_b32 s1, s1
	s_cbranch_execz .LBB55_4866
.LBB55_4886:
	v_cmp_ne_u16_e32 vcc_lo, 0, v11
	s_and_not1_b32 s9, s9, exec_lo
	s_and_b32 s24, vcc_lo, exec_lo
	s_delay_alu instid0(SALU_CYCLE_1)
	s_or_b32 s9, s9, s24
	s_or_b32 exec_lo, exec_lo, s1
	v_mov_b32_e32 v20, 0
	s_and_saveexec_b32 s1, s9
	s_cbranch_execnz .LBB55_4867
	s_branch .LBB55_4868
.LBB55_4887:
	s_mov_b32 s0, -1
.LBB55_4888:
                                        ; implicit-def: $vgpr20
.LBB55_4889:
	s_and_b32 vcc_lo, exec_lo, s1
	s_mov_b32 s1, 0
	s_cbranch_vccz .LBB55_4891
; %bb.4890:
	s_cmp_lg_u32 s60, 11
	s_mov_b32 s1, -1
	s_cselect_b32 s0, -1, 0
.LBB55_4891:
	s_delay_alu instid0(SALU_CYCLE_1)
	s_and_b32 vcc_lo, exec_lo, s0
	s_cbranch_vccnz .LBB55_4956
; %bb.4892:
	s_and_not1_b32 vcc_lo, exec_lo, s1
	s_cbranch_vccnz .LBB55_4894
.LBB55_4893:
	global_load_u8 v11, v[24:25], off
	s_mov_b32 s9, -1
	s_wait_loadcnt 0x0
	v_cmp_ne_u16_e32 vcc_lo, 0, v11
	v_cndmask_b32_e64 v20, 0, 1, vcc_lo
.LBB55_4894:
	s_mov_b32 s0, 0
.LBB55_4895:
	s_delay_alu instid0(SALU_CYCLE_1)
	s_and_b32 vcc_lo, exec_lo, s0
	s_cbranch_vccz .LBB55_4944
; %bb.4896:
	s_cmp_lt_i32 s60, 5
	s_cbranch_scc1 .LBB55_4901
; %bb.4897:
	s_cmp_lt_i32 s60, 8
	s_cbranch_scc1 .LBB55_4902
	;; [unrolled: 3-line block ×3, first 2 shown]
; %bb.4899:
	s_cmp_gt_i32 s60, 9
	s_cbranch_scc0 .LBB55_4904
; %bb.4900:
	s_wait_loadcnt 0x0
	global_load_b64 v[20:21], v[24:25], off
	s_mov_b32 s0, 0
	s_wait_loadcnt 0x0
	v_cvt_i32_f64_e32 v20, v[20:21]
	s_branch .LBB55_4905
.LBB55_4901:
	s_mov_b32 s0, -1
                                        ; implicit-def: $vgpr20
	s_branch .LBB55_4923
.LBB55_4902:
	s_mov_b32 s0, -1
                                        ; implicit-def: $vgpr20
	s_branch .LBB55_4911
.LBB55_4903:
	s_mov_b32 s0, -1
                                        ; implicit-def: $vgpr20
	s_branch .LBB55_4908
.LBB55_4904:
	s_mov_b32 s0, -1
                                        ; implicit-def: $vgpr20
.LBB55_4905:
	s_delay_alu instid0(SALU_CYCLE_1)
	s_and_not1_b32 vcc_lo, exec_lo, s0
	s_cbranch_vccnz .LBB55_4907
; %bb.4906:
	global_load_b32 v11, v[24:25], off
	s_wait_loadcnt 0x0
	v_cvt_i32_f32_e32 v20, v11
.LBB55_4907:
	s_mov_b32 s0, 0
.LBB55_4908:
	s_delay_alu instid0(SALU_CYCLE_1)
	s_and_not1_b32 vcc_lo, exec_lo, s0
	s_cbranch_vccnz .LBB55_4910
; %bb.4909:
	global_load_b32 v11, v[24:25], off
	s_wait_loadcnt 0x0
	v_cvt_f32_f16_e32 v11, v11
	s_delay_alu instid0(VALU_DEP_1)
	v_cvt_i32_f32_e32 v20, v11
.LBB55_4910:
	s_mov_b32 s0, 0
.LBB55_4911:
	s_delay_alu instid0(SALU_CYCLE_1)
	s_and_not1_b32 vcc_lo, exec_lo, s0
	s_cbranch_vccnz .LBB55_4922
; %bb.4912:
	s_cmp_lt_i32 s60, 6
	s_cbranch_scc1 .LBB55_4915
; %bb.4913:
	s_cmp_gt_i32 s60, 6
	s_cbranch_scc0 .LBB55_4916
; %bb.4914:
	s_wait_loadcnt 0x0
	global_load_b64 v[20:21], v[24:25], off
	s_mov_b32 s0, 0
	s_wait_loadcnt 0x0
	v_cvt_i32_f64_e32 v20, v[20:21]
	s_branch .LBB55_4917
.LBB55_4915:
	s_mov_b32 s0, -1
                                        ; implicit-def: $vgpr20
	s_branch .LBB55_4920
.LBB55_4916:
	s_mov_b32 s0, -1
                                        ; implicit-def: $vgpr20
.LBB55_4917:
	s_delay_alu instid0(SALU_CYCLE_1)
	s_and_not1_b32 vcc_lo, exec_lo, s0
	s_cbranch_vccnz .LBB55_4919
; %bb.4918:
	global_load_b32 v11, v[24:25], off
	s_wait_loadcnt 0x0
	v_cvt_i32_f32_e32 v20, v11
.LBB55_4919:
	s_mov_b32 s0, 0
.LBB55_4920:
	s_delay_alu instid0(SALU_CYCLE_1)
	s_and_not1_b32 vcc_lo, exec_lo, s0
	s_cbranch_vccnz .LBB55_4922
; %bb.4921:
	global_load_u16 v11, v[24:25], off
	s_wait_loadcnt 0x0
	v_cvt_f32_f16_e32 v11, v11
	s_delay_alu instid0(VALU_DEP_1)
	v_cvt_i32_f32_e32 v20, v11
.LBB55_4922:
	s_mov_b32 s0, 0
.LBB55_4923:
	s_delay_alu instid0(SALU_CYCLE_1)
	s_and_not1_b32 vcc_lo, exec_lo, s0
	s_cbranch_vccnz .LBB55_4943
; %bb.4924:
	s_cmp_lt_i32 s60, 2
	s_cbranch_scc1 .LBB55_4928
; %bb.4925:
	s_cmp_lt_i32 s60, 3
	s_cbranch_scc1 .LBB55_4929
; %bb.4926:
	s_cmp_gt_i32 s60, 3
	s_cbranch_scc0 .LBB55_4930
; %bb.4927:
	s_wait_loadcnt 0x0
	global_load_b32 v20, v[24:25], off
	s_mov_b32 s0, 0
	s_branch .LBB55_4931
.LBB55_4928:
	s_mov_b32 s0, -1
                                        ; implicit-def: $vgpr20
	s_branch .LBB55_4937
.LBB55_4929:
	s_mov_b32 s0, -1
                                        ; implicit-def: $vgpr20
	s_branch .LBB55_4934
.LBB55_4930:
	s_mov_b32 s0, -1
                                        ; implicit-def: $vgpr20
.LBB55_4931:
	s_delay_alu instid0(SALU_CYCLE_1)
	s_and_not1_b32 vcc_lo, exec_lo, s0
	s_cbranch_vccnz .LBB55_4933
; %bb.4932:
	s_wait_loadcnt 0x0
	global_load_b32 v20, v[24:25], off
.LBB55_4933:
	s_mov_b32 s0, 0
.LBB55_4934:
	s_delay_alu instid0(SALU_CYCLE_1)
	s_and_not1_b32 vcc_lo, exec_lo, s0
	s_cbranch_vccnz .LBB55_4936
; %bb.4935:
	s_wait_loadcnt 0x0
	global_load_i16 v20, v[24:25], off
.LBB55_4936:
	s_mov_b32 s0, 0
.LBB55_4937:
	s_delay_alu instid0(SALU_CYCLE_1)
	s_and_not1_b32 vcc_lo, exec_lo, s0
	s_cbranch_vccnz .LBB55_4943
; %bb.4938:
	s_cmp_gt_i32 s60, 0
	s_mov_b32 s0, 0
	s_cbranch_scc0 .LBB55_4940
; %bb.4939:
	s_wait_loadcnt 0x0
	global_load_i8 v20, v[24:25], off
	s_branch .LBB55_4941
.LBB55_4940:
	s_mov_b32 s0, -1
                                        ; implicit-def: $vgpr20
.LBB55_4941:
	s_delay_alu instid0(SALU_CYCLE_1)
	s_and_not1_b32 vcc_lo, exec_lo, s0
	s_cbranch_vccnz .LBB55_4943
; %bb.4942:
	s_wait_loadcnt 0x0
	global_load_u8 v20, v[24:25], off
.LBB55_4943:
	s_mov_b32 s9, -1
.LBB55_4944:
	s_delay_alu instid0(SALU_CYCLE_1)
	s_and_not1_b32 vcc_lo, exec_lo, s9
	s_cbranch_vccnz .LBB55_5080
; %bb.4945:
	v_mov_b32_e32 v19, 0
	s_cmp_lt_i32 s61, 11
	s_delay_alu instid0(VALU_DEP_1)
	v_add_nc_u64_e32 v[18:19], s[18:19], v[18:19]
	s_cbranch_scc1 .LBB55_4952
; %bb.4946:
	s_cmp_gt_i32 s61, 25
	s_mov_b32 s1, 0
	s_cbranch_scc0 .LBB55_4953
; %bb.4947:
	s_cmp_gt_i32 s61, 28
	s_cbranch_scc0 .LBB55_4954
; %bb.4948:
	s_cmp_gt_i32 s61, 43
	s_cbranch_scc0 .LBB55_4955
; %bb.4949:
	s_cmp_gt_i32 s61, 45
	s_cbranch_scc0 .LBB55_4957
; %bb.4950:
	s_cmp_eq_u32 s61, 46
	s_mov_b32 s24, 0
	s_cbranch_scc0 .LBB55_4958
; %bb.4951:
	global_load_b32 v11, v[18:19], off
	s_mov_b32 s0, 0
	s_mov_b32 s9, -1
	s_wait_loadcnt 0x0
	v_lshlrev_b32_e32 v11, 16, v11
	s_wait_xcnt 0x1
	s_delay_alu instid0(VALU_DEP_1)
	v_cvt_i32_f32_e32 v24, v11
	s_branch .LBB55_4960
.LBB55_4952:
	s_mov_b32 s0, -1
	s_mov_b32 s9, 0
                                        ; implicit-def: $vgpr24
	s_branch .LBB55_5022
.LBB55_4953:
	s_mov_b32 s24, -1
	s_mov_b32 s9, 0
	s_mov_b32 s0, 0
                                        ; implicit-def: $vgpr24
	s_branch .LBB55_4987
.LBB55_4954:
	s_mov_b32 s24, -1
	s_mov_b32 s9, 0
	s_mov_b32 s0, 0
                                        ; implicit-def: $vgpr24
	s_branch .LBB55_4970
.LBB55_4955:
	s_mov_b32 s24, -1
	s_mov_b32 s9, 0
	s_mov_b32 s0, 0
                                        ; implicit-def: $vgpr24
	s_branch .LBB55_4965
.LBB55_4956:
	s_or_b32 s56, s56, exec_lo
	s_trap 2
	s_cbranch_execz .LBB55_4893
	s_branch .LBB55_4894
.LBB55_4957:
	s_mov_b32 s24, -1
	s_mov_b32 s9, 0
	s_mov_b32 s0, 0
	s_branch .LBB55_4959
.LBB55_4958:
	s_mov_b32 s0, -1
	s_mov_b32 s9, 0
.LBB55_4959:
                                        ; implicit-def: $vgpr24
.LBB55_4960:
	s_and_b32 vcc_lo, exec_lo, s24
	s_cbranch_vccz .LBB55_4964
; %bb.4961:
	s_cmp_eq_u32 s61, 44
	s_cbranch_scc0 .LBB55_4963
; %bb.4962:
	global_load_u8 v11, v[18:19], off
	s_mov_b32 s0, 0
	s_mov_b32 s9, -1
	s_wait_loadcnt 0x0
	v_lshlrev_b32_e32 v13, 23, v11
	v_cmp_ne_u32_e32 vcc_lo, 0, v11
	s_delay_alu instid0(VALU_DEP_2) | instskip(SKIP_1) | instid1(VALU_DEP_1)
	v_cvt_i32_f32_e32 v13, v13
	s_wait_xcnt 0x1
	v_cndmask_b32_e32 v24, 0, v13, vcc_lo
	s_branch .LBB55_4964
.LBB55_4963:
	s_mov_b32 s0, -1
                                        ; implicit-def: $vgpr24
.LBB55_4964:
	s_mov_b32 s24, 0
.LBB55_4965:
	s_delay_alu instid0(SALU_CYCLE_1)
	s_and_b32 vcc_lo, exec_lo, s24
	s_cbranch_vccz .LBB55_4969
; %bb.4966:
	s_cmp_eq_u32 s61, 29
	s_cbranch_scc0 .LBB55_4968
; %bb.4967:
	global_load_b32 v24, v[18:19], off
	s_mov_b32 s0, 0
	s_mov_b32 s9, -1
	s_branch .LBB55_4969
.LBB55_4968:
	s_mov_b32 s0, -1
                                        ; implicit-def: $vgpr24
.LBB55_4969:
	s_mov_b32 s24, 0
.LBB55_4970:
	s_delay_alu instid0(SALU_CYCLE_1)
	s_and_b32 vcc_lo, exec_lo, s24
	s_cbranch_vccz .LBB55_4986
; %bb.4971:
	s_cmp_lt_i32 s61, 27
	s_cbranch_scc1 .LBB55_4974
; %bb.4972:
	s_cmp_gt_i32 s61, 27
	s_cbranch_scc0 .LBB55_4975
; %bb.4973:
	s_wait_loadcnt 0x0
	global_load_b32 v24, v[18:19], off
	s_mov_b32 s9, 0
	s_branch .LBB55_4976
.LBB55_4974:
	s_mov_b32 s9, -1
                                        ; implicit-def: $vgpr24
	s_branch .LBB55_4979
.LBB55_4975:
	s_mov_b32 s9, -1
                                        ; implicit-def: $vgpr24
.LBB55_4976:
	s_delay_alu instid0(SALU_CYCLE_1)
	s_and_not1_b32 vcc_lo, exec_lo, s9
	s_cbranch_vccnz .LBB55_4978
; %bb.4977:
	s_wait_loadcnt 0x0
	global_load_u16 v24, v[18:19], off
.LBB55_4978:
	s_mov_b32 s9, 0
.LBB55_4979:
	s_delay_alu instid0(SALU_CYCLE_1)
	s_and_not1_b32 vcc_lo, exec_lo, s9
	s_cbranch_vccnz .LBB55_4985
; %bb.4980:
	global_load_u8 v11, v[18:19], off
	s_mov_b32 s24, 0
	s_mov_b32 s9, exec_lo
	s_wait_loadcnt 0x0
	v_cmpx_lt_i16_e32 0x7f, v11
	s_xor_b32 s9, exec_lo, s9
	s_cbranch_execz .LBB55_4997
; %bb.4981:
	v_cmp_ne_u16_e32 vcc_lo, 0x80, v11
	s_and_b32 s24, vcc_lo, exec_lo
	s_and_not1_saveexec_b32 s9, s9
	s_cbranch_execnz .LBB55_4998
.LBB55_4982:
	s_or_b32 exec_lo, exec_lo, s9
	v_mov_b32_e32 v24, 0
	s_and_saveexec_b32 s9, s24
	s_cbranch_execz .LBB55_4984
.LBB55_4983:
	v_and_b32_e32 v13, 0xffff, v11
	s_delay_alu instid0(VALU_DEP_1) | instskip(SKIP_1) | instid1(VALU_DEP_2)
	v_dual_lshlrev_b32 v11, 24, v11 :: v_dual_bitop2_b32 v15, 7, v13 bitop3:0x40
	v_bfe_u32 v23, v13, 3, 4
	v_and_b32_e32 v11, 0x80000000, v11
	s_delay_alu instid0(VALU_DEP_3) | instskip(NEXT) | instid1(VALU_DEP_3)
	v_clz_i32_u32_e32 v17, v15
	v_cmp_eq_u32_e32 vcc_lo, 0, v23
	s_delay_alu instid0(VALU_DEP_2) | instskip(NEXT) | instid1(VALU_DEP_1)
	v_min_u32_e32 v17, 32, v17
	v_subrev_nc_u32_e32 v21, 28, v17
	v_sub_nc_u32_e32 v17, 29, v17
	s_delay_alu instid0(VALU_DEP_2) | instskip(NEXT) | instid1(VALU_DEP_2)
	v_lshlrev_b32_e32 v13, v21, v13
	v_cndmask_b32_e32 v17, v23, v17, vcc_lo
	s_delay_alu instid0(VALU_DEP_2) | instskip(NEXT) | instid1(VALU_DEP_1)
	v_and_b32_e32 v13, 7, v13
	v_cndmask_b32_e32 v13, v15, v13, vcc_lo
	s_delay_alu instid0(VALU_DEP_3) | instskip(NEXT) | instid1(VALU_DEP_2)
	v_lshl_add_u32 v15, v17, 23, 0x3b800000
	v_lshlrev_b32_e32 v13, 20, v13
	s_delay_alu instid0(VALU_DEP_1) | instskip(NEXT) | instid1(VALU_DEP_1)
	v_or3_b32 v11, v11, v15, v13
	v_cvt_i32_f32_e32 v24, v11
.LBB55_4984:
	s_or_b32 exec_lo, exec_lo, s9
.LBB55_4985:
	s_mov_b32 s9, -1
.LBB55_4986:
	s_mov_b32 s24, 0
.LBB55_4987:
	s_delay_alu instid0(SALU_CYCLE_1)
	s_and_b32 vcc_lo, exec_lo, s24
	s_cbranch_vccz .LBB55_5018
; %bb.4988:
	s_cmp_gt_i32 s61, 22
	s_cbranch_scc0 .LBB55_4996
; %bb.4989:
	s_cmp_lt_i32 s61, 24
	s_cbranch_scc1 .LBB55_4999
; %bb.4990:
	s_cmp_gt_i32 s61, 24
	s_cbranch_scc0 .LBB55_5000
; %bb.4991:
	global_load_u8 v11, v[18:19], off
	s_mov_b32 s9, 0
	s_mov_b32 s1, exec_lo
	s_wait_loadcnt 0x0
	v_cmpx_lt_i16_e32 0x7f, v11
	s_xor_b32 s1, exec_lo, s1
	s_cbranch_execz .LBB55_5012
; %bb.4992:
	v_cmp_ne_u16_e32 vcc_lo, 0x80, v11
	s_and_b32 s9, vcc_lo, exec_lo
	s_and_not1_saveexec_b32 s1, s1
	s_cbranch_execnz .LBB55_5013
.LBB55_4993:
	s_or_b32 exec_lo, exec_lo, s1
	v_mov_b32_e32 v24, 0
	s_and_saveexec_b32 s1, s9
	s_cbranch_execz .LBB55_4995
.LBB55_4994:
	v_and_b32_e32 v13, 0xffff, v11
	s_delay_alu instid0(VALU_DEP_1) | instskip(SKIP_1) | instid1(VALU_DEP_2)
	v_dual_lshlrev_b32 v11, 24, v11 :: v_dual_bitop2_b32 v15, 3, v13 bitop3:0x40
	v_bfe_u32 v23, v13, 2, 5
	v_and_b32_e32 v11, 0x80000000, v11
	s_delay_alu instid0(VALU_DEP_3) | instskip(NEXT) | instid1(VALU_DEP_3)
	v_clz_i32_u32_e32 v17, v15
	v_cmp_eq_u32_e32 vcc_lo, 0, v23
	s_delay_alu instid0(VALU_DEP_2) | instskip(NEXT) | instid1(VALU_DEP_1)
	v_min_u32_e32 v17, 32, v17
	v_subrev_nc_u32_e32 v21, 29, v17
	v_sub_nc_u32_e32 v17, 30, v17
	s_delay_alu instid0(VALU_DEP_2) | instskip(NEXT) | instid1(VALU_DEP_2)
	v_lshlrev_b32_e32 v13, v21, v13
	v_cndmask_b32_e32 v17, v23, v17, vcc_lo
	s_delay_alu instid0(VALU_DEP_2) | instskip(NEXT) | instid1(VALU_DEP_1)
	v_and_b32_e32 v13, 3, v13
	v_cndmask_b32_e32 v13, v15, v13, vcc_lo
	s_delay_alu instid0(VALU_DEP_3) | instskip(NEXT) | instid1(VALU_DEP_2)
	v_lshl_add_u32 v15, v17, 23, 0x37800000
	v_lshlrev_b32_e32 v13, 21, v13
	s_delay_alu instid0(VALU_DEP_1) | instskip(NEXT) | instid1(VALU_DEP_1)
	v_or3_b32 v11, v11, v15, v13
	v_cvt_i32_f32_e32 v24, v11
.LBB55_4995:
	s_or_b32 exec_lo, exec_lo, s1
	s_mov_b32 s1, 0
	s_branch .LBB55_5001
.LBB55_4996:
	s_mov_b32 s1, -1
                                        ; implicit-def: $vgpr24
	s_branch .LBB55_5007
.LBB55_4997:
	s_and_not1_saveexec_b32 s9, s9
	s_cbranch_execz .LBB55_4982
.LBB55_4998:
	v_cmp_ne_u16_e32 vcc_lo, 0, v11
	s_and_not1_b32 s24, s24, exec_lo
	s_and_b32 s25, vcc_lo, exec_lo
	s_delay_alu instid0(SALU_CYCLE_1)
	s_or_b32 s24, s24, s25
	s_or_b32 exec_lo, exec_lo, s9
	v_mov_b32_e32 v24, 0
	s_and_saveexec_b32 s9, s24
	s_cbranch_execnz .LBB55_4983
	s_branch .LBB55_4984
.LBB55_4999:
	s_mov_b32 s1, -1
                                        ; implicit-def: $vgpr24
	s_branch .LBB55_5004
.LBB55_5000:
	s_mov_b32 s1, -1
                                        ; implicit-def: $vgpr24
.LBB55_5001:
	s_delay_alu instid0(SALU_CYCLE_1)
	s_and_b32 vcc_lo, exec_lo, s1
	s_cbranch_vccz .LBB55_5003
; %bb.5002:
	global_load_u8 v11, v[18:19], off
	s_wait_loadcnt 0x0
	v_lshlrev_b32_e32 v11, 24, v11
	s_delay_alu instid0(VALU_DEP_1) | instskip(NEXT) | instid1(VALU_DEP_1)
	v_and_b32_e32 v13, 0x7f000000, v11
	v_clz_i32_u32_e32 v15, v13
	v_add_nc_u32_e32 v21, 0x1000000, v13
	v_cmp_ne_u32_e32 vcc_lo, 0, v13
	s_delay_alu instid0(VALU_DEP_3) | instskip(NEXT) | instid1(VALU_DEP_1)
	v_min_u32_e32 v15, 32, v15
	v_sub_nc_u32_e64 v15, v15, 4 clamp
	s_delay_alu instid0(VALU_DEP_1) | instskip(NEXT) | instid1(VALU_DEP_1)
	v_dual_lshlrev_b32 v17, v15, v13 :: v_dual_lshlrev_b32 v15, 23, v15
	v_lshrrev_b32_e32 v17, 4, v17
	s_delay_alu instid0(VALU_DEP_1) | instskip(NEXT) | instid1(VALU_DEP_1)
	v_dual_sub_nc_u32 v15, v17, v15 :: v_dual_ashrrev_i32 v17, 8, v21
	v_add_nc_u32_e32 v15, 0x3c000000, v15
	s_delay_alu instid0(VALU_DEP_1) | instskip(NEXT) | instid1(VALU_DEP_1)
	v_and_or_b32 v15, 0x7f800000, v17, v15
	v_cndmask_b32_e32 v13, 0, v15, vcc_lo
	s_delay_alu instid0(VALU_DEP_1) | instskip(SKIP_1) | instid1(VALU_DEP_1)
	v_and_or_b32 v11, 0x80000000, v11, v13
	s_wait_xcnt 0x1
	v_cvt_i32_f32_e32 v24, v11
.LBB55_5003:
	s_mov_b32 s1, 0
.LBB55_5004:
	s_delay_alu instid0(SALU_CYCLE_1)
	s_and_not1_b32 vcc_lo, exec_lo, s1
	s_cbranch_vccnz .LBB55_5006
; %bb.5005:
	global_load_u8 v11, v[18:19], off
	s_wait_loadcnt 0x0
	v_lshlrev_b32_e32 v13, 25, v11
	v_lshlrev_b16 v11, 8, v11
	s_delay_alu instid0(VALU_DEP_1) | instskip(SKIP_1) | instid1(VALU_DEP_2)
	v_and_or_b32 v17, 0x7f00, v11, 0.5
	v_bfe_i32 v11, v11, 0, 16
	v_add_f32_e32 v17, -0.5, v17
	v_lshrrev_b32_e32 v15, 4, v13
	v_cmp_gt_u32_e32 vcc_lo, 0x8000000, v13
	s_delay_alu instid0(VALU_DEP_2) | instskip(NEXT) | instid1(VALU_DEP_1)
	v_or_b32_e32 v15, 0x70000000, v15
	v_mul_f32_e32 v15, 0x7800000, v15
	s_delay_alu instid0(VALU_DEP_1) | instskip(NEXT) | instid1(VALU_DEP_1)
	v_cndmask_b32_e32 v13, v15, v17, vcc_lo
	v_and_or_b32 v11, 0x80000000, v11, v13
	s_wait_xcnt 0x1
	s_delay_alu instid0(VALU_DEP_1)
	v_cvt_i32_f32_e32 v24, v11
.LBB55_5006:
	s_mov_b32 s1, 0
	s_mov_b32 s9, -1
.LBB55_5007:
	s_and_not1_b32 vcc_lo, exec_lo, s1
	s_mov_b32 s1, 0
	s_cbranch_vccnz .LBB55_5018
; %bb.5008:
	s_cmp_gt_i32 s61, 14
	s_cbranch_scc0 .LBB55_5011
; %bb.5009:
	s_cmp_eq_u32 s61, 15
	s_cbranch_scc0 .LBB55_5014
; %bb.5010:
	global_load_u16 v11, v[18:19], off
	s_mov_b32 s0, 0
	s_mov_b32 s9, -1
	s_wait_loadcnt 0x0
	v_lshlrev_b32_e32 v11, 16, v11
	s_wait_xcnt 0x1
	s_delay_alu instid0(VALU_DEP_1)
	v_cvt_i32_f32_e32 v24, v11
	s_branch .LBB55_5016
.LBB55_5011:
	s_mov_b32 s1, -1
	s_branch .LBB55_5015
.LBB55_5012:
	s_and_not1_saveexec_b32 s1, s1
	s_cbranch_execz .LBB55_4993
.LBB55_5013:
	v_cmp_ne_u16_e32 vcc_lo, 0, v11
	s_and_not1_b32 s9, s9, exec_lo
	s_and_b32 s24, vcc_lo, exec_lo
	s_delay_alu instid0(SALU_CYCLE_1)
	s_or_b32 s9, s9, s24
	s_or_b32 exec_lo, exec_lo, s1
	v_mov_b32_e32 v24, 0
	s_and_saveexec_b32 s1, s9
	s_cbranch_execnz .LBB55_4994
	s_branch .LBB55_4995
.LBB55_5014:
	s_mov_b32 s0, -1
.LBB55_5015:
                                        ; implicit-def: $vgpr24
.LBB55_5016:
	s_and_b32 vcc_lo, exec_lo, s1
	s_mov_b32 s1, 0
	s_cbranch_vccz .LBB55_5018
; %bb.5017:
	s_cmp_lg_u32 s61, 11
	s_mov_b32 s1, -1
	s_cselect_b32 s0, -1, 0
.LBB55_5018:
	s_delay_alu instid0(SALU_CYCLE_1)
	s_and_b32 vcc_lo, exec_lo, s0
	s_cbranch_vccnz .LBB55_5106
; %bb.5019:
	s_and_not1_b32 vcc_lo, exec_lo, s1
	s_cbranch_vccnz .LBB55_5021
.LBB55_5020:
	global_load_u8 v11, v[18:19], off
	s_mov_b32 s9, -1
	s_wait_loadcnt 0x0
	v_cmp_ne_u16_e32 vcc_lo, 0, v11
	s_wait_xcnt 0x1
	v_cndmask_b32_e64 v24, 0, 1, vcc_lo
.LBB55_5021:
	s_mov_b32 s0, 0
.LBB55_5022:
	s_delay_alu instid0(SALU_CYCLE_1)
	s_and_b32 vcc_lo, exec_lo, s0
	s_cbranch_vccz .LBB55_5071
; %bb.5023:
	s_cmp_lt_i32 s61, 5
	s_cbranch_scc1 .LBB55_5028
; %bb.5024:
	s_cmp_lt_i32 s61, 8
	s_cbranch_scc1 .LBB55_5029
	;; [unrolled: 3-line block ×3, first 2 shown]
; %bb.5026:
	s_cmp_gt_i32 s61, 9
	s_cbranch_scc0 .LBB55_5031
; %bb.5027:
	s_wait_loadcnt 0x0
	global_load_b64 v[24:25], v[18:19], off
	s_mov_b32 s0, 0
	s_wait_loadcnt 0x0
	v_cvt_i32_f64_e32 v24, v[24:25]
	s_branch .LBB55_5032
.LBB55_5028:
	s_mov_b32 s0, -1
                                        ; implicit-def: $vgpr24
	s_branch .LBB55_5050
.LBB55_5029:
	s_mov_b32 s0, -1
                                        ; implicit-def: $vgpr24
	s_branch .LBB55_5038
.LBB55_5030:
	s_mov_b32 s0, -1
                                        ; implicit-def: $vgpr24
	s_branch .LBB55_5035
.LBB55_5031:
	s_mov_b32 s0, -1
                                        ; implicit-def: $vgpr24
.LBB55_5032:
	s_delay_alu instid0(SALU_CYCLE_1)
	s_and_not1_b32 vcc_lo, exec_lo, s0
	s_cbranch_vccnz .LBB55_5034
; %bb.5033:
	global_load_b32 v11, v[18:19], off
	s_wait_loadcnt 0x0
	s_wait_xcnt 0x1
	v_cvt_i32_f32_e32 v24, v11
.LBB55_5034:
	s_mov_b32 s0, 0
.LBB55_5035:
	s_delay_alu instid0(SALU_CYCLE_1)
	s_and_not1_b32 vcc_lo, exec_lo, s0
	s_cbranch_vccnz .LBB55_5037
; %bb.5036:
	global_load_b32 v11, v[18:19], off
	s_wait_loadcnt 0x0
	v_cvt_f32_f16_e32 v11, v11
	s_wait_xcnt 0x1
	s_delay_alu instid0(VALU_DEP_1)
	v_cvt_i32_f32_e32 v24, v11
.LBB55_5037:
	s_mov_b32 s0, 0
.LBB55_5038:
	s_delay_alu instid0(SALU_CYCLE_1)
	s_and_not1_b32 vcc_lo, exec_lo, s0
	s_cbranch_vccnz .LBB55_5049
; %bb.5039:
	s_cmp_lt_i32 s61, 6
	s_cbranch_scc1 .LBB55_5042
; %bb.5040:
	s_cmp_gt_i32 s61, 6
	s_cbranch_scc0 .LBB55_5043
; %bb.5041:
	s_wait_loadcnt 0x0
	global_load_b64 v[24:25], v[18:19], off
	s_mov_b32 s0, 0
	s_wait_loadcnt 0x0
	v_cvt_i32_f64_e32 v24, v[24:25]
	s_branch .LBB55_5044
.LBB55_5042:
	s_mov_b32 s0, -1
                                        ; implicit-def: $vgpr24
	s_branch .LBB55_5047
.LBB55_5043:
	s_mov_b32 s0, -1
                                        ; implicit-def: $vgpr24
.LBB55_5044:
	s_delay_alu instid0(SALU_CYCLE_1)
	s_and_not1_b32 vcc_lo, exec_lo, s0
	s_cbranch_vccnz .LBB55_5046
; %bb.5045:
	global_load_b32 v11, v[18:19], off
	s_wait_loadcnt 0x0
	s_wait_xcnt 0x1
	v_cvt_i32_f32_e32 v24, v11
.LBB55_5046:
	s_mov_b32 s0, 0
.LBB55_5047:
	s_delay_alu instid0(SALU_CYCLE_1)
	s_and_not1_b32 vcc_lo, exec_lo, s0
	s_cbranch_vccnz .LBB55_5049
; %bb.5048:
	global_load_u16 v11, v[18:19], off
	s_wait_loadcnt 0x0
	v_cvt_f32_f16_e32 v11, v11
	s_wait_xcnt 0x1
	s_delay_alu instid0(VALU_DEP_1)
	v_cvt_i32_f32_e32 v24, v11
.LBB55_5049:
	s_mov_b32 s0, 0
.LBB55_5050:
	s_delay_alu instid0(SALU_CYCLE_1)
	s_and_not1_b32 vcc_lo, exec_lo, s0
	s_cbranch_vccnz .LBB55_5070
; %bb.5051:
	s_cmp_lt_i32 s61, 2
	s_cbranch_scc1 .LBB55_5055
; %bb.5052:
	s_cmp_lt_i32 s61, 3
	s_cbranch_scc1 .LBB55_5056
; %bb.5053:
	s_cmp_gt_i32 s61, 3
	s_cbranch_scc0 .LBB55_5057
; %bb.5054:
	s_wait_loadcnt 0x0
	global_load_b32 v24, v[18:19], off
	s_mov_b32 s0, 0
	s_branch .LBB55_5058
.LBB55_5055:
	s_mov_b32 s0, -1
                                        ; implicit-def: $vgpr24
	s_branch .LBB55_5064
.LBB55_5056:
	s_mov_b32 s0, -1
                                        ; implicit-def: $vgpr24
	s_branch .LBB55_5061
.LBB55_5057:
	s_mov_b32 s0, -1
                                        ; implicit-def: $vgpr24
.LBB55_5058:
	s_delay_alu instid0(SALU_CYCLE_1)
	s_and_not1_b32 vcc_lo, exec_lo, s0
	s_cbranch_vccnz .LBB55_5060
; %bb.5059:
	s_wait_loadcnt 0x0
	global_load_b32 v24, v[18:19], off
.LBB55_5060:
	s_mov_b32 s0, 0
.LBB55_5061:
	s_delay_alu instid0(SALU_CYCLE_1)
	s_and_not1_b32 vcc_lo, exec_lo, s0
	s_cbranch_vccnz .LBB55_5063
; %bb.5062:
	s_wait_loadcnt 0x0
	global_load_i16 v24, v[18:19], off
.LBB55_5063:
	s_mov_b32 s0, 0
.LBB55_5064:
	s_delay_alu instid0(SALU_CYCLE_1)
	s_and_not1_b32 vcc_lo, exec_lo, s0
	s_cbranch_vccnz .LBB55_5070
; %bb.5065:
	s_cmp_gt_i32 s61, 0
	s_mov_b32 s0, 0
	s_cbranch_scc0 .LBB55_5067
; %bb.5066:
	s_wait_loadcnt 0x0
	global_load_i8 v24, v[18:19], off
	s_branch .LBB55_5068
.LBB55_5067:
	s_mov_b32 s0, -1
                                        ; implicit-def: $vgpr24
.LBB55_5068:
	s_delay_alu instid0(SALU_CYCLE_1)
	s_and_not1_b32 vcc_lo, exec_lo, s0
	s_cbranch_vccnz .LBB55_5070
; %bb.5069:
	s_wait_loadcnt 0x0
	global_load_u8 v24, v[18:19], off
.LBB55_5070:
	s_mov_b32 s9, -1
.LBB55_5071:
	s_delay_alu instid0(SALU_CYCLE_1)
	s_and_not1_b32 vcc_lo, exec_lo, s9
	s_cbranch_vccnz .LBB55_5080
; %bb.5072:
	s_mov_b32 s0, exec_lo
	s_wait_loadcnt 0x0
	v_cmpx_ne_u32_e64 v7, v1
	s_xor_b32 s0, exec_lo, s0
	s_cbranch_execnz .LBB55_5240
.LBB55_5073:
	s_or_saveexec_b32 s62, s0
	s_mov_b32 s1, 0
	s_mov_b32 s9, 0
                                        ; implicit-def: $vgpr38_vgpr39
                                        ; implicit-def: $sgpr0
	s_xor_b32 exec_lo, exec_lo, s62
	s_cbranch_execz .LBB55_5751
; %bb.5074:
	s_mov_b32 s63, s56
	s_mov_b32 s0, exec_lo
	v_cmpx_ne_u32_e64 v9, v3
	s_xor_b32 s0, exec_lo, s0
	s_cbranch_execnz .LBB55_5368
; %bb.5075:
	s_or_saveexec_b32 s64, s0
                                        ; implicit-def: $vgpr38_vgpr39
                                        ; implicit-def: $sgpr0
	s_delay_alu instid0(SALU_CYCLE_1)
	s_xor_b32 exec_lo, exec_lo, s64
	s_cbranch_execz .LBB55_5750
.LBB55_5076:
	v_sub_nc_u32_e32 v7, v20, v22
	s_mov_b32 s65, s63
	s_delay_alu instid0(VALU_DEP_1) | instskip(SKIP_2) | instid1(SALU_CYCLE_1)
	v_cmp_gt_i32_e32 vcc_lo, v1, v7
	v_cmp_lt_i32_e64 s0, s20, v7
	s_or_b32 s0, vcc_lo, s0
	s_and_saveexec_b32 s1, s0
	s_delay_alu instid0(SALU_CYCLE_1)
	s_xor_b32 s0, exec_lo, s1
	s_cbranch_execnz .LBB55_5496
.LBB55_5077:
	s_or_saveexec_b32 s66, s0
	s_mov_b32 s1, 0
	s_mov_b32 s24, 0
                                        ; implicit-def: $vgpr38_vgpr39
                                        ; implicit-def: $sgpr0
	s_xor_b32 exec_lo, exec_lo, s66
	s_cbranch_execz .LBB55_5749
; %bb.5078:
	v_cmp_ne_u32_e32 vcc_lo, 1, v5
	v_mov_b64_e32 v[18:19], 0
	s_cbranch_vccnz .LBB55_5091
; %bb.5079:
	v_dual_mov_b32 v26, 0 :: v_dual_ashrrev_i32 v25, 31, v24
	s_load_b128 s[28:31], s[2:3], 0x298
	v_mov_b64_e32 v[18:19], 0
	s_mov_b32 s9, s1
	s_delay_alu instid0(VALU_DEP_2)
	v_mul_u64_e32 v[24:25], s[10:11], v[24:25]
	s_lshl_b64 s[34:35], s[8:9], 3
	s_mov_b64 s[24:25], 0xffffffff
	s_mov_b32 s9, s47
	s_wait_kmcnt 0x0
	s_add_nc_u64 s[26:27], s[28:29], s[34:35]
	s_add_nc_u64 s[28:29], s[30:31], s[34:35]
	s_branch .LBB55_5087
.LBB55_5080:
	s_mov_b32 s1, 0
	s_mov_b32 s9, 0
                                        ; implicit-def: $vgpr38_vgpr39
                                        ; implicit-def: $sgpr0
.LBB55_5081:
	s_and_not1_b32 s2, s54, exec_lo
	s_and_b32 s3, s56, exec_lo
	s_and_b32 s9, s9, exec_lo
	;; [unrolled: 1-line block ×3, first 2 shown]
	s_or_b32 s54, s2, s3
.LBB55_5082:
	s_wait_xcnt 0x0
	s_or_b32 exec_lo, exec_lo, s55
	s_delay_alu instid0(SALU_CYCLE_1)
	s_and_not1_b32 s2, s52, exec_lo
	s_and_b32 s3, s54, exec_lo
	s_and_b32 s9, s9, exec_lo
	;; [unrolled: 1-line block ×3, first 2 shown]
	s_or_b32 s52, s2, s3
.LBB55_5083:
	s_or_b32 exec_lo, exec_lo, s53
	s_delay_alu instid0(SALU_CYCLE_1)
	s_and_not1_b32 s2, s50, exec_lo
	s_and_b32 s3, s52, exec_lo
	s_and_b32 s9, s9, exec_lo
	;; [unrolled: 1-line block ×3, first 2 shown]
	s_or_b32 s50, s2, s3
.LBB55_5084:
	s_or_b32 exec_lo, exec_lo, s51
	s_delay_alu instid0(SALU_CYCLE_1)
	s_and_not1_b32 s2, s46, exec_lo
	s_and_b32 s3, s50, exec_lo
	s_and_b32 s9, s9, exec_lo
	;; [unrolled: 1-line block ×3, first 2 shown]
	s_or_b32 s46, s2, s3
.LBB55_5085:
	s_or_b32 exec_lo, exec_lo, s49
	s_branch .LBB55_4415
.LBB55_5086:                            ;   in Loop: Header=BB55_5087 Depth=1
	s_or_b32 exec_lo, exec_lo, s0
	global_load_b64 v[30:31], v26, s[28:29]
	v_mul_u64_e32 v[32:33], s[30:31], v[28:29]
	s_add_co_i32 s9, s9, -1
	s_add_nc_u64 s[26:27], s[26:27], -8
	s_cmp_eq_u32 s9, 0
	s_wait_xcnt 0x0
	s_add_nc_u64 s[28:29], s[28:29], -8
	s_delay_alu instid0(VALU_DEP_1) | instskip(SKIP_1) | instid1(VALU_DEP_1)
	v_sub_nc_u64_e32 v[24:25], v[24:25], v[32:33]
	s_wait_loadcnt 0x0
	v_mad_nc_u64_u32 v[18:19], v24, v30, v[18:19]
	s_delay_alu instid0(VALU_DEP_1) | instskip(NEXT) | instid1(VALU_DEP_1)
	v_mad_u32 v7, v25, v30, v19
	v_mad_u32 v19, v24, v31, v7
	v_mov_b64_e32 v[24:25], v[28:29]
	s_cbranch_scc1 .LBB55_5091
.LBB55_5087:                            ; =>This Inner Loop Header: Depth=1
	global_load_b64 v[28:29], v26, s[26:27]
	s_mov_b32 s0, exec_lo
	s_wait_loadcnt 0x0
	v_or_b32_e32 v27, v25, v29
	v_readfirstlane_b32 s30, v28
	v_readfirstlane_b32 s31, v29
                                        ; implicit-def: $vgpr28_vgpr29
	s_wait_xcnt 0x0
	s_delay_alu instid0(VALU_DEP_3)
	v_cmpx_ne_u64_e32 0, v[26:27]
	s_xor_b32 s67, exec_lo, s0
	s_cbranch_execz .LBB55_5089
; %bb.5088:                             ;   in Loop: Header=BB55_5087 Depth=1
	s_ashr_i32 s34, s31, 31
	v_dual_mov_b32 v33, v26 :: v_dual_ashrrev_i32 v28, 31, v25
	s_mov_b32 s35, s34
	s_delay_alu instid0(SALU_CYCLE_1) | instskip(NEXT) | instid1(VALU_DEP_1)
	s_add_nc_u64 s[36:37], s[30:31], s[34:35]
	v_mov_b32_e32 v29, v28
	s_xor_b64 s[36:37], s[36:37], s[34:35]
	s_delay_alu instid0(SALU_CYCLE_1)
	s_cvt_f32_u32 s0, s36
	s_cvt_f32_u32 s35, s37
	s_sub_nc_u64 s[70:71], 0, s[36:37]
	v_add_nc_u64_e32 v[30:31], v[24:25], v[28:29]
	v_mov_b32_e32 v37, v26
	s_fmamk_f32 s0, s35, 0x4f800000, s0
	s_delay_alu instid0(SALU_CYCLE_3) | instskip(NEXT) | instid1(VALU_DEP_2)
	v_s_rcp_f32 s0, s0
	v_xor_b32_e32 v32, v30, v28
	s_delay_alu instid0(VALU_DEP_3) | instskip(NEXT) | instid1(TRANS32_DEP_1)
	v_dual_mov_b32 v41, v26 :: v_dual_bitop2_b32 v36, v31, v28 bitop3:0x14
	s_mul_f32 s0, s0, 0x5f7ffffc
	s_delay_alu instid0(SALU_CYCLE_3) | instskip(NEXT) | instid1(SALU_CYCLE_3)
	s_mul_f32 s35, s0, 0x2f800000
	s_trunc_f32 s35, s35
	s_delay_alu instid0(SALU_CYCLE_3) | instskip(SKIP_1) | instid1(SALU_CYCLE_2)
	s_fmamk_f32 s0, s35, 0xcf800000, s0
	s_cvt_u32_f32 s69, s35
	s_cvt_u32_f32 s68, s0
	s_delay_alu instid0(SALU_CYCLE_3) | instskip(NEXT) | instid1(SALU_CYCLE_1)
	s_mul_u64 s[72:73], s[70:71], s[68:69]
	s_mul_hi_u32 s75, s68, s73
	s_mul_i32 s74, s68, s73
	s_mul_hi_u32 s0, s68, s72
	s_mul_i32 s76, s69, s72
	s_add_nc_u64 s[74:75], s[0:1], s[74:75]
	s_mul_hi_u32 s35, s69, s72
	s_mul_hi_u32 s77, s69, s73
	s_add_co_u32 s0, s74, s76
	s_add_co_ci_u32 s0, s75, s35
	s_mul_i32 s72, s69, s73
	s_add_co_ci_u32 s73, s77, 0
	s_delay_alu instid0(SALU_CYCLE_1) | instskip(NEXT) | instid1(SALU_CYCLE_1)
	s_add_nc_u64 s[72:73], s[0:1], s[72:73]
	s_add_co_u32 s68, s68, s72
	s_cselect_b32 s0, -1, 0
	s_delay_alu instid0(SALU_CYCLE_1) | instskip(SKIP_1) | instid1(SALU_CYCLE_1)
	s_cmp_lg_u32 s0, 0
	s_add_co_ci_u32 s69, s69, s73
	s_mul_u64 s[70:71], s[70:71], s[68:69]
	s_delay_alu instid0(SALU_CYCLE_1)
	s_mul_hi_u32 s73, s68, s71
	s_mul_i32 s72, s68, s71
	s_mul_hi_u32 s0, s68, s70
	s_mul_i32 s74, s69, s70
	s_add_nc_u64 s[72:73], s[0:1], s[72:73]
	s_mul_hi_u32 s35, s69, s70
	s_mul_hi_u32 s75, s69, s71
	s_add_co_u32 s0, s72, s74
	s_add_co_ci_u32 s0, s73, s35
	s_mul_i32 s70, s69, s71
	s_add_co_ci_u32 s71, s75, 0
	s_delay_alu instid0(SALU_CYCLE_1) | instskip(NEXT) | instid1(SALU_CYCLE_1)
	s_add_nc_u64 s[70:71], s[0:1], s[70:71]
	s_add_co_u32 s68, s68, s70
	s_cselect_b32 s0, -1, 0
	v_mul_hi_u32 v40, v32, s68
	s_cmp_lg_u32 s0, 0
	s_add_co_ci_u32 s0, s69, s71
	s_and_b64 s[70:71], s[68:69], s[24:25]
	v_mul_u64_e32 v[34:35], s[0:1], v[32:33]
	v_mul_u64_e32 v[30:31], s[70:71], v[36:37]
	;; [unrolled: 1-line block ×3, first 2 shown]
	s_delay_alu instid0(VALU_DEP_3) | instskip(NEXT) | instid1(VALU_DEP_1)
	v_add_nc_u64_e32 v[34:35], v[40:41], v[34:35]
	v_add_co_u32 v7, vcc_lo, v34, v30
	s_delay_alu instid0(VALU_DEP_2) | instskip(NEXT) | instid1(VALU_DEP_4)
	v_add_co_ci_u32_e32 v40, vcc_lo, v35, v31, vcc_lo
	v_add_co_ci_u32_e32 v39, vcc_lo, 0, v39, vcc_lo
	s_delay_alu instid0(VALU_DEP_1) | instskip(NEXT) | instid1(VALU_DEP_1)
	v_add_nc_u64_e32 v[30:31], v[40:41], v[38:39]
	v_mul_u64_e32 v[34:35], s[36:37], v[30:31]
	s_delay_alu instid0(VALU_DEP_1) | instskip(NEXT) | instid1(VALU_DEP_2)
	v_sub_nc_u32_e32 v7, v36, v35
	v_sub_co_u32 v9, vcc_lo, v32, v34
	s_delay_alu instid0(VALU_DEP_1) | instskip(NEXT) | instid1(VALU_DEP_3)
	v_sub_co_ci_u32_e64 v13, null, v36, v35, vcc_lo
	v_subrev_co_ci_u32_e64 v7, null, s37, v7, vcc_lo
	s_delay_alu instid0(VALU_DEP_3) | instskip(SKIP_1) | instid1(VALU_DEP_3)
	v_sub_co_u32 v11, s0, v9, s36
	v_add_nc_u64_e32 v[32:33], 2, v[30:31]
	v_subrev_co_ci_u32_e64 v7, null, 0, v7, s0
	s_delay_alu instid0(VALU_DEP_3) | instskip(SKIP_2) | instid1(VALU_DEP_4)
	v_cmp_le_u32_e32 vcc_lo, s36, v11
	v_add_nc_u64_e32 v[34:35], 1, v[30:31]
	v_cndmask_b32_e64 v11, 0, -1, vcc_lo
	v_cmp_le_u32_e32 vcc_lo, s37, v7
	v_cndmask_b32_e64 v15, 0, -1, vcc_lo
	v_cmp_le_u32_e32 vcc_lo, s36, v9
	;; [unrolled: 2-line block ×3, first 2 shown]
	v_cndmask_b32_e64 v17, 0, -1, vcc_lo
	v_cmp_eq_u32_e32 vcc_lo, s37, v7
	v_cndmask_b32_e32 v7, v15, v11, vcc_lo
	v_cmp_eq_u32_e32 vcc_lo, s37, v13
	s_delay_alu instid0(VALU_DEP_4) | instskip(NEXT) | instid1(VALU_DEP_3)
	v_cndmask_b32_e32 v9, v17, v9, vcc_lo
	v_cmp_ne_u32_e32 vcc_lo, 0, v7
	s_delay_alu instid0(VALU_DEP_2) | instskip(SKIP_1) | instid1(VALU_DEP_1)
	v_cmp_ne_u32_e64 s0, 0, v9
	v_dual_cndmask_b32 v7, v35, v33, vcc_lo :: v_dual_cndmask_b32 v9, v34, v32, vcc_lo
	v_dual_cndmask_b32 v7, v31, v7, s0 :: v_dual_bitop2_b32 v28, s34, v28 bitop3:0x14
	s_delay_alu instid0(VALU_DEP_1) | instskip(NEXT) | instid1(VALU_DEP_2)
	v_dual_cndmask_b32 v9, v30, v9, s0 :: v_dual_mov_b32 v29, v28
	v_xor_b32_e32 v31, v7, v28
	s_delay_alu instid0(VALU_DEP_2) | instskip(NEXT) | instid1(VALU_DEP_1)
	v_xor_b32_e32 v30, v9, v28
	v_sub_nc_u64_e32 v[28:29], v[30:31], v[28:29]
.LBB55_5089:                            ;   in Loop: Header=BB55_5087 Depth=1
	s_and_not1_saveexec_b32 s0, s67
	s_cbranch_execz .LBB55_5086
; %bb.5090:                             ;   in Loop: Header=BB55_5087 Depth=1
	v_cvt_f32_u32_e32 v7, s30
	s_sub_co_i32 s34, 0, s30
	v_mov_b32_e32 v29, v26
	s_delay_alu instid0(VALU_DEP_2) | instskip(SKIP_1) | instid1(TRANS32_DEP_1)
	v_rcp_iflag_f32_e32 v7, v7
	v_nop
	v_mul_f32_e32 v7, 0x4f7ffffe, v7
	s_delay_alu instid0(VALU_DEP_1) | instskip(NEXT) | instid1(VALU_DEP_1)
	v_cvt_u32_f32_e32 v7, v7
	v_mul_lo_u32 v9, s34, v7
	s_delay_alu instid0(VALU_DEP_1) | instskip(NEXT) | instid1(VALU_DEP_1)
	v_mul_hi_u32 v9, v7, v9
	v_add_nc_u32_e32 v7, v7, v9
	s_delay_alu instid0(VALU_DEP_1) | instskip(NEXT) | instid1(VALU_DEP_1)
	v_mul_hi_u32 v7, v24, v7
	v_mul_lo_u32 v9, v7, s30
	s_delay_alu instid0(VALU_DEP_1) | instskip(NEXT) | instid1(VALU_DEP_1)
	v_sub_nc_u32_e32 v9, v24, v9
	v_subrev_nc_u32_e32 v13, s30, v9
	v_cmp_le_u32_e32 vcc_lo, s30, v9
	s_delay_alu instid0(VALU_DEP_2) | instskip(NEXT) | instid1(VALU_DEP_1)
	v_dual_add_nc_u32 v11, 1, v7 :: v_dual_cndmask_b32 v9, v9, v13, vcc_lo
	v_cndmask_b32_e32 v7, v7, v11, vcc_lo
	s_delay_alu instid0(VALU_DEP_2) | instskip(NEXT) | instid1(VALU_DEP_2)
	v_cmp_le_u32_e32 vcc_lo, s30, v9
	v_add_nc_u32_e32 v11, 1, v7
	s_delay_alu instid0(VALU_DEP_1)
	v_cndmask_b32_e32 v28, v7, v11, vcc_lo
	s_branch .LBB55_5086
.LBB55_5091:
	s_mov_b32 s25, -1
	s_mov_b32 s1, s65
	s_mov_b32 s0, exec_lo
	v_cmpx_gt_i32_e64 v20, v22
	s_cbranch_execz .LBB55_5098
; %bb.5092:
	s_delay_alu instid0(VALU_DEP_2) | instskip(SKIP_3) | instid1(VALU_DEP_1)
	v_lshlrev_b64_e32 v[18:19], 2, v[18:19]
	v_dual_ashrrev_i32 v23, 31, v22 :: v_dual_ashrrev_i32 v21, 31, v20
	s_mov_b32 s9, 0
	s_xor_b32 s24, s48, -1
                                        ; implicit-def: $sgpr1
                                        ; implicit-def: $sgpr26
                                        ; implicit-def: $sgpr25
	v_lshl_add_u64 v[22:23], v[22:23], 2, v[18:19]
	s_wait_kmcnt 0x0
	v_add_nc_u64_e32 v[24:25], s[22:23], v[18:19]
	s_delay_alu instid0(VALU_DEP_2) | instskip(NEXT) | instid1(VALU_DEP_2)
	v_add_nc_u64_e32 v[22:23], s[22:23], v[22:23]
	v_lshl_add_u64 v[20:21], v[20:21], 2, v[24:25]
	s_delay_alu instid0(VALU_DEP_2)
	v_add_nc_u64_e32 v[18:19], 4, v[22:23]
	s_branch .LBB55_5094
.LBB55_5093:                            ;   in Loop: Header=BB55_5094 Depth=1
	s_or_b32 exec_lo, exec_lo, s27
	s_xor_b32 s27, s25, -1
	s_and_b32 s28, exec_lo, s26
	s_delay_alu instid0(SALU_CYCLE_1) | instskip(SKIP_2) | instid1(SALU_CYCLE_1)
	s_or_b32 s9, s28, s9
	s_and_not1_b32 s1, s1, exec_lo
	s_and_b32 s27, s27, exec_lo
	s_or_b32 s1, s1, s27
	s_and_not1_b32 exec_lo, exec_lo, s9
	s_cbranch_execz .LBB55_5096
.LBB55_5094:                            ; =>This Inner Loop Header: Depth=1
	s_or_b32 s25, s25, exec_lo
	s_or_b32 s26, s26, exec_lo
	s_mov_b32 s27, exec_lo
	s_delay_alu instid0(VALU_DEP_1)
	v_cmpx_lt_u64_e64 v[18:19], v[20:21]
	s_cbranch_execz .LBB55_5093
; %bb.5095:                             ;   in Loop: Header=BB55_5094 Depth=1
	global_load_b64 v[22:23], v[18:19], off offset:-4
	s_wait_xcnt 0x0
	v_add_nc_u64_e32 v[18:19], 4, v[18:19]
	s_and_not1_b32 s26, s26, exec_lo
	s_and_not1_b32 s25, s25, exec_lo
	s_wait_loadcnt 0x0
	v_cmp_ge_i32_e32 vcc_lo, v22, v23
	s_or_b32 s28, s24, vcc_lo
	s_delay_alu instid0(SALU_CYCLE_1) | instskip(NEXT) | instid1(SALU_CYCLE_1)
	s_and_b32 s28, s28, exec_lo
	s_or_b32 s26, s26, s28
	s_branch .LBB55_5093
.LBB55_5096:
	s_or_b32 exec_lo, exec_lo, s9
	s_mov_b32 s9, -1
	s_mov_b32 s24, s65
	s_and_saveexec_b32 s25, s1
	s_delay_alu instid0(SALU_CYCLE_1)
	s_xor_b32 s1, exec_lo, s25
	s_cbranch_execnz .LBB55_5111
.LBB55_5097:
	s_or_b32 exec_lo, exec_lo, s1
	s_delay_alu instid0(SALU_CYCLE_1)
	s_and_not1_b32 s1, s65, exec_lo
	s_and_b32 s24, s24, exec_lo
	s_or_not1_b32 s25, s9, exec_lo
	s_or_b32 s1, s1, s24
.LBB55_5098:
	s_or_b32 exec_lo, exec_lo, s0
	s_mov_b32 s9, 0
	s_mov_b32 s26, 0
                                        ; implicit-def: $vgpr38_vgpr39
                                        ; implicit-def: $sgpr0
	s_and_saveexec_b32 s24, s25
	s_cbranch_execz .LBB55_5748
; %bb.5099:
	v_mov_b32_e32 v17, 0
	s_cmp_lt_i32 s57, 11
	s_delay_alu instid0(VALU_DEP_1)
	v_add_nc_u64_e32 v[16:17], s[6:7], v[16:17]
	s_cbranch_scc1 .LBB55_5107
; %bb.5100:
	s_cmp_gt_i32 s57, 25
	s_mov_b32 s6, 0
	s_cbranch_scc0 .LBB55_5108
; %bb.5101:
	s_cmp_gt_i32 s57, 28
	s_cbranch_scc0 .LBB55_5109
; %bb.5102:
	s_cmp_gt_i32 s57, 43
	;; [unrolled: 3-line block ×3, first 2 shown]
	s_cbranch_scc0 .LBB55_5112
; %bb.5104:
	s_cmp_eq_u32 s57, 46
	s_cbranch_scc0 .LBB55_5113
; %bb.5105:
	global_load_b32 v7, v[16:17], off
	s_mov_b32 s0, 0
	s_mov_b32 s7, -1
	s_wait_loadcnt 0x0
	v_lshlrev_b32_e32 v7, 16, v7
	s_delay_alu instid0(VALU_DEP_1)
	v_cvt_i32_f32_e32 v7, v7
	s_branch .LBB55_5115
.LBB55_5106:
	s_or_b32 s56, s56, exec_lo
	s_trap 2
	s_cbranch_execz .LBB55_5020
	s_branch .LBB55_5021
.LBB55_5107:
	s_mov_b32 s0, -1
	s_mov_b32 s7, 0
	s_mov_b32 s25, s1
                                        ; implicit-def: $vgpr7
	s_branch .LBB55_5177
.LBB55_5108:
	s_mov_b32 s9, -1
	s_mov_b32 s7, 0
	s_mov_b32 s0, 0
                                        ; implicit-def: $vgpr7
	s_branch .LBB55_5142
.LBB55_5109:
	s_mov_b32 s9, -1
	s_mov_b32 s7, 0
	s_mov_b32 s0, 0
                                        ; implicit-def: $vgpr7
	s_branch .LBB55_5125
.LBB55_5110:
	s_mov_b32 s9, -1
	s_mov_b32 s7, 0
	s_mov_b32 s0, 0
                                        ; implicit-def: $vgpr7
	s_branch .LBB55_5120
.LBB55_5111:
	s_or_b32 s24, s65, exec_lo
	s_xor_b32 s9, exec_lo, -1
	s_trap 2
	s_branch .LBB55_5097
.LBB55_5112:
	s_mov_b32 s9, -1
	s_mov_b32 s7, 0
	s_mov_b32 s0, 0
	s_branch .LBB55_5114
.LBB55_5113:
	s_mov_b32 s0, -1
	s_mov_b32 s7, 0
.LBB55_5114:
                                        ; implicit-def: $vgpr7
.LBB55_5115:
	s_and_b32 vcc_lo, exec_lo, s9
	s_cbranch_vccz .LBB55_5119
; %bb.5116:
	s_cmp_eq_u32 s57, 44
	s_cbranch_scc0 .LBB55_5118
; %bb.5117:
	global_load_u8 v7, v[16:17], off
	s_mov_b32 s0, 0
	s_mov_b32 s7, -1
	s_wait_loadcnt 0x0
	v_lshlrev_b32_e32 v9, 23, v7
	v_cmp_ne_u32_e32 vcc_lo, 0, v7
	s_delay_alu instid0(VALU_DEP_2) | instskip(NEXT) | instid1(VALU_DEP_1)
	v_cvt_i32_f32_e32 v9, v9
	v_cndmask_b32_e32 v7, 0, v9, vcc_lo
	s_branch .LBB55_5119
.LBB55_5118:
	s_mov_b32 s0, -1
                                        ; implicit-def: $vgpr7
.LBB55_5119:
	s_mov_b32 s9, 0
.LBB55_5120:
	s_delay_alu instid0(SALU_CYCLE_1)
	s_and_b32 vcc_lo, exec_lo, s9
	s_cbranch_vccz .LBB55_5124
; %bb.5121:
	s_cmp_eq_u32 s57, 29
	s_cbranch_scc0 .LBB55_5123
; %bb.5122:
	global_load_b32 v7, v[16:17], off
	s_mov_b32 s0, 0
	s_mov_b32 s7, -1
	s_branch .LBB55_5124
.LBB55_5123:
	s_mov_b32 s0, -1
                                        ; implicit-def: $vgpr7
.LBB55_5124:
	s_mov_b32 s9, 0
.LBB55_5125:
	s_delay_alu instid0(SALU_CYCLE_1)
	s_and_b32 vcc_lo, exec_lo, s9
	s_cbranch_vccz .LBB55_5141
; %bb.5126:
	s_cmp_lt_i32 s57, 27
	s_cbranch_scc1 .LBB55_5129
; %bb.5127:
	s_cmp_gt_i32 s57, 27
	s_cbranch_scc0 .LBB55_5130
; %bb.5128:
	s_wait_loadcnt 0x0
	global_load_b32 v7, v[16:17], off
	s_mov_b32 s7, 0
	s_branch .LBB55_5131
.LBB55_5129:
	s_mov_b32 s7, -1
                                        ; implicit-def: $vgpr7
	s_branch .LBB55_5134
.LBB55_5130:
	s_mov_b32 s7, -1
                                        ; implicit-def: $vgpr7
.LBB55_5131:
	s_delay_alu instid0(SALU_CYCLE_1)
	s_and_not1_b32 vcc_lo, exec_lo, s7
	s_cbranch_vccnz .LBB55_5133
; %bb.5132:
	s_wait_loadcnt 0x0
	global_load_u16 v7, v[16:17], off
.LBB55_5133:
	s_mov_b32 s7, 0
.LBB55_5134:
	s_delay_alu instid0(SALU_CYCLE_1)
	s_and_not1_b32 vcc_lo, exec_lo, s7
	s_cbranch_vccnz .LBB55_5140
; %bb.5135:
	global_load_u8 v9, v[16:17], off
	s_mov_b32 s9, 0
	s_mov_b32 s7, exec_lo
	s_wait_loadcnt 0x0
	v_cmpx_lt_i16_e32 0x7f, v9
	s_xor_b32 s7, exec_lo, s7
	s_cbranch_execz .LBB55_5152
; %bb.5136:
	v_cmp_ne_u16_e32 vcc_lo, 0x80, v9
	s_and_b32 s9, vcc_lo, exec_lo
	s_and_not1_saveexec_b32 s7, s7
	s_cbranch_execnz .LBB55_5153
.LBB55_5137:
	s_or_b32 exec_lo, exec_lo, s7
	v_mov_b32_e32 v7, 0
	s_and_saveexec_b32 s7, s9
	s_cbranch_execz .LBB55_5139
.LBB55_5138:
	v_and_b32_e32 v7, 0xffff, v9
	s_delay_alu instid0(VALU_DEP_1) | instskip(SKIP_1) | instid1(VALU_DEP_2)
	v_and_b32_e32 v11, 7, v7
	v_bfe_u32 v18, v7, 3, 4
	v_clz_i32_u32_e32 v13, v11
	s_delay_alu instid0(VALU_DEP_2) | instskip(NEXT) | instid1(VALU_DEP_2)
	v_cmp_eq_u32_e32 vcc_lo, 0, v18
	v_min_u32_e32 v13, 32, v13
	s_delay_alu instid0(VALU_DEP_1) | instskip(NEXT) | instid1(VALU_DEP_1)
	v_subrev_nc_u32_e32 v15, 28, v13
	v_dual_lshlrev_b32 v7, v15, v7 :: v_dual_sub_nc_u32 v13, 29, v13
	s_delay_alu instid0(VALU_DEP_1) | instskip(NEXT) | instid1(VALU_DEP_1)
	v_dual_lshlrev_b32 v9, 24, v9 :: v_dual_bitop2_b32 v7, 7, v7 bitop3:0x40
	v_dual_cndmask_b32 v7, v11, v7, vcc_lo :: v_dual_cndmask_b32 v13, v18, v13, vcc_lo
	s_delay_alu instid0(VALU_DEP_2) | instskip(NEXT) | instid1(VALU_DEP_2)
	v_and_b32_e32 v9, 0x80000000, v9
	v_lshlrev_b32_e32 v7, 20, v7
	s_delay_alu instid0(VALU_DEP_3) | instskip(NEXT) | instid1(VALU_DEP_1)
	v_lshl_add_u32 v11, v13, 23, 0x3b800000
	v_or3_b32 v7, v9, v11, v7
	s_delay_alu instid0(VALU_DEP_1)
	v_cvt_i32_f32_e32 v7, v7
.LBB55_5139:
	s_or_b32 exec_lo, exec_lo, s7
.LBB55_5140:
	s_mov_b32 s7, -1
.LBB55_5141:
	s_mov_b32 s9, 0
.LBB55_5142:
	s_delay_alu instid0(SALU_CYCLE_1)
	s_and_b32 vcc_lo, exec_lo, s9
	s_cbranch_vccz .LBB55_5173
; %bb.5143:
	s_cmp_gt_i32 s57, 22
	s_cbranch_scc0 .LBB55_5151
; %bb.5144:
	s_cmp_lt_i32 s57, 24
	s_cbranch_scc1 .LBB55_5154
; %bb.5145:
	s_cmp_gt_i32 s57, 24
	s_cbranch_scc0 .LBB55_5155
; %bb.5146:
	global_load_u8 v9, v[16:17], off
	s_mov_b32 s7, 0
	s_mov_b32 s6, exec_lo
	s_wait_loadcnt 0x0
	v_cmpx_lt_i16_e32 0x7f, v9
	s_xor_b32 s6, exec_lo, s6
	s_cbranch_execz .LBB55_5167
; %bb.5147:
	v_cmp_ne_u16_e32 vcc_lo, 0x80, v9
	s_and_b32 s7, vcc_lo, exec_lo
	s_and_not1_saveexec_b32 s6, s6
	s_cbranch_execnz .LBB55_5168
.LBB55_5148:
	s_or_b32 exec_lo, exec_lo, s6
	v_mov_b32_e32 v7, 0
	s_and_saveexec_b32 s6, s7
	s_cbranch_execz .LBB55_5150
.LBB55_5149:
	v_and_b32_e32 v7, 0xffff, v9
	s_delay_alu instid0(VALU_DEP_1) | instskip(SKIP_1) | instid1(VALU_DEP_2)
	v_and_b32_e32 v11, 3, v7
	v_bfe_u32 v18, v7, 2, 5
	v_clz_i32_u32_e32 v13, v11
	s_delay_alu instid0(VALU_DEP_2) | instskip(NEXT) | instid1(VALU_DEP_2)
	v_cmp_eq_u32_e32 vcc_lo, 0, v18
	v_min_u32_e32 v13, 32, v13
	s_delay_alu instid0(VALU_DEP_1) | instskip(NEXT) | instid1(VALU_DEP_1)
	v_subrev_nc_u32_e32 v15, 29, v13
	v_dual_lshlrev_b32 v7, v15, v7 :: v_dual_sub_nc_u32 v13, 30, v13
	s_delay_alu instid0(VALU_DEP_1) | instskip(NEXT) | instid1(VALU_DEP_1)
	v_dual_lshlrev_b32 v9, 24, v9 :: v_dual_bitop2_b32 v7, 3, v7 bitop3:0x40
	v_dual_cndmask_b32 v7, v11, v7, vcc_lo :: v_dual_cndmask_b32 v13, v18, v13, vcc_lo
	s_delay_alu instid0(VALU_DEP_2) | instskip(NEXT) | instid1(VALU_DEP_2)
	v_and_b32_e32 v9, 0x80000000, v9
	v_lshlrev_b32_e32 v7, 21, v7
	s_delay_alu instid0(VALU_DEP_3) | instskip(NEXT) | instid1(VALU_DEP_1)
	v_lshl_add_u32 v11, v13, 23, 0x37800000
	v_or3_b32 v7, v9, v11, v7
	s_delay_alu instid0(VALU_DEP_1)
	v_cvt_i32_f32_e32 v7, v7
.LBB55_5150:
	s_or_b32 exec_lo, exec_lo, s6
	s_mov_b32 s6, 0
	s_branch .LBB55_5156
.LBB55_5151:
	s_mov_b32 s6, -1
                                        ; implicit-def: $vgpr7
	s_branch .LBB55_5162
.LBB55_5152:
	s_and_not1_saveexec_b32 s7, s7
	s_cbranch_execz .LBB55_5137
.LBB55_5153:
	v_cmp_ne_u16_e32 vcc_lo, 0, v9
	s_and_not1_b32 s9, s9, exec_lo
	s_and_b32 s25, vcc_lo, exec_lo
	s_delay_alu instid0(SALU_CYCLE_1)
	s_or_b32 s9, s9, s25
	s_or_b32 exec_lo, exec_lo, s7
	v_mov_b32_e32 v7, 0
	s_and_saveexec_b32 s7, s9
	s_cbranch_execnz .LBB55_5138
	s_branch .LBB55_5139
.LBB55_5154:
	s_mov_b32 s6, -1
                                        ; implicit-def: $vgpr7
	s_branch .LBB55_5159
.LBB55_5155:
	s_mov_b32 s6, -1
                                        ; implicit-def: $vgpr7
.LBB55_5156:
	s_delay_alu instid0(SALU_CYCLE_1)
	s_and_b32 vcc_lo, exec_lo, s6
	s_cbranch_vccz .LBB55_5158
; %bb.5157:
	s_wait_loadcnt 0x0
	global_load_u8 v7, v[16:17], off
	s_wait_loadcnt 0x0
	v_lshlrev_b32_e32 v7, 24, v7
	s_delay_alu instid0(VALU_DEP_1) | instskip(NEXT) | instid1(VALU_DEP_1)
	v_and_b32_e32 v9, 0x7f000000, v7
	v_clz_i32_u32_e32 v11, v9
	v_add_nc_u32_e32 v15, 0x1000000, v9
	v_cmp_ne_u32_e32 vcc_lo, 0, v9
	s_delay_alu instid0(VALU_DEP_3) | instskip(NEXT) | instid1(VALU_DEP_1)
	v_min_u32_e32 v11, 32, v11
	v_sub_nc_u32_e64 v11, v11, 4 clamp
	s_delay_alu instid0(VALU_DEP_1) | instskip(NEXT) | instid1(VALU_DEP_1)
	v_dual_lshlrev_b32 v13, v11, v9 :: v_dual_lshlrev_b32 v11, 23, v11
	v_lshrrev_b32_e32 v13, 4, v13
	s_delay_alu instid0(VALU_DEP_1) | instskip(SKIP_1) | instid1(VALU_DEP_2)
	v_sub_nc_u32_e32 v11, v13, v11
	v_ashrrev_i32_e32 v13, 8, v15
	v_add_nc_u32_e32 v11, 0x3c000000, v11
	s_delay_alu instid0(VALU_DEP_1) | instskip(NEXT) | instid1(VALU_DEP_1)
	v_and_or_b32 v11, 0x7f800000, v13, v11
	v_cndmask_b32_e32 v9, 0, v11, vcc_lo
	s_delay_alu instid0(VALU_DEP_1) | instskip(NEXT) | instid1(VALU_DEP_1)
	v_and_or_b32 v7, 0x80000000, v7, v9
	v_cvt_i32_f32_e32 v7, v7
.LBB55_5158:
	s_mov_b32 s6, 0
.LBB55_5159:
	s_delay_alu instid0(SALU_CYCLE_1)
	s_and_not1_b32 vcc_lo, exec_lo, s6
	s_cbranch_vccnz .LBB55_5161
; %bb.5160:
	s_wait_loadcnt 0x0
	global_load_u8 v7, v[16:17], off
	s_wait_loadcnt 0x0
	v_lshlrev_b32_e32 v9, 25, v7
	v_lshlrev_b16 v7, 8, v7
	s_delay_alu instid0(VALU_DEP_1) | instskip(SKIP_1) | instid1(VALU_DEP_2)
	v_and_or_b32 v13, 0x7f00, v7, 0.5
	v_bfe_i32 v7, v7, 0, 16
	v_add_f32_e32 v13, -0.5, v13
	v_lshrrev_b32_e32 v11, 4, v9
	v_cmp_gt_u32_e32 vcc_lo, 0x8000000, v9
	s_delay_alu instid0(VALU_DEP_2) | instskip(NEXT) | instid1(VALU_DEP_1)
	v_or_b32_e32 v11, 0x70000000, v11
	v_mul_f32_e32 v11, 0x7800000, v11
	s_delay_alu instid0(VALU_DEP_1) | instskip(NEXT) | instid1(VALU_DEP_1)
	v_cndmask_b32_e32 v9, v11, v13, vcc_lo
	v_and_or_b32 v7, 0x80000000, v7, v9
	s_delay_alu instid0(VALU_DEP_1)
	v_cvt_i32_f32_e32 v7, v7
.LBB55_5161:
	s_mov_b32 s6, 0
	s_mov_b32 s7, -1
.LBB55_5162:
	s_and_not1_b32 vcc_lo, exec_lo, s6
	s_mov_b32 s6, 0
	s_cbranch_vccnz .LBB55_5173
; %bb.5163:
	s_cmp_gt_i32 s57, 14
	s_cbranch_scc0 .LBB55_5166
; %bb.5164:
	s_cmp_eq_u32 s57, 15
	s_cbranch_scc0 .LBB55_5169
; %bb.5165:
	s_wait_loadcnt 0x0
	global_load_u16 v7, v[16:17], off
	s_mov_b32 s0, 0
	s_mov_b32 s7, -1
	s_wait_loadcnt 0x0
	v_lshlrev_b32_e32 v7, 16, v7
	s_delay_alu instid0(VALU_DEP_1)
	v_cvt_i32_f32_e32 v7, v7
	s_branch .LBB55_5171
.LBB55_5166:
	s_mov_b32 s6, -1
	s_branch .LBB55_5170
.LBB55_5167:
	s_and_not1_saveexec_b32 s6, s6
	s_cbranch_execz .LBB55_5148
.LBB55_5168:
	v_cmp_ne_u16_e32 vcc_lo, 0, v9
	s_and_not1_b32 s7, s7, exec_lo
	s_and_b32 s9, vcc_lo, exec_lo
	s_delay_alu instid0(SALU_CYCLE_1)
	s_or_b32 s7, s7, s9
	s_or_b32 exec_lo, exec_lo, s6
	v_mov_b32_e32 v7, 0
	s_and_saveexec_b32 s6, s7
	s_cbranch_execnz .LBB55_5149
	s_branch .LBB55_5150
.LBB55_5169:
	s_mov_b32 s0, -1
.LBB55_5170:
                                        ; implicit-def: $vgpr7
.LBB55_5171:
	s_and_b32 vcc_lo, exec_lo, s6
	s_mov_b32 s6, 0
	s_cbranch_vccz .LBB55_5173
; %bb.5172:
	s_cmp_lg_u32 s57, 11
	s_mov_b32 s6, -1
	s_cselect_b32 s0, -1, 0
.LBB55_5173:
	s_delay_alu instid0(SALU_CYCLE_1)
	s_and_b32 vcc_lo, exec_lo, s0
	s_mov_b32 s25, s1
	s_cbranch_vccnz .LBB55_5238
; %bb.5174:
	s_and_not1_b32 vcc_lo, exec_lo, s6
	s_cbranch_vccnz .LBB55_5176
.LBB55_5175:
	s_wait_loadcnt 0x0
	global_load_u8 v7, v[16:17], off
	s_mov_b32 s7, -1
	s_wait_loadcnt 0x0
	v_cmp_ne_u16_e32 vcc_lo, 0, v7
	v_cndmask_b32_e64 v7, 0, 1, vcc_lo
.LBB55_5176:
	s_mov_b32 s0, 0
.LBB55_5177:
	s_delay_alu instid0(SALU_CYCLE_1)
	s_and_b32 vcc_lo, exec_lo, s0
	s_cbranch_vccz .LBB55_5226
; %bb.5178:
	s_cmp_lt_i32 s57, 5
	s_cbranch_scc1 .LBB55_5183
; %bb.5179:
	s_cmp_lt_i32 s57, 8
	s_cbranch_scc1 .LBB55_5184
	;; [unrolled: 3-line block ×3, first 2 shown]
; %bb.5181:
	s_cmp_gt_i32 s57, 9
	s_cbranch_scc0 .LBB55_5186
; %bb.5182:
	global_load_b64 v[18:19], v[16:17], off
	s_mov_b32 s0, 0
	s_wait_loadcnt 0x0
	v_cvt_i32_f64_e32 v7, v[18:19]
	s_branch .LBB55_5187
.LBB55_5183:
	s_mov_b32 s0, -1
                                        ; implicit-def: $vgpr7
	s_branch .LBB55_5205
.LBB55_5184:
	s_mov_b32 s0, -1
                                        ; implicit-def: $vgpr7
	s_branch .LBB55_5193
.LBB55_5185:
	s_mov_b32 s0, -1
                                        ; implicit-def: $vgpr7
	s_branch .LBB55_5190
.LBB55_5186:
	s_mov_b32 s0, -1
                                        ; implicit-def: $vgpr7
.LBB55_5187:
	s_delay_alu instid0(SALU_CYCLE_1)
	s_and_not1_b32 vcc_lo, exec_lo, s0
	s_cbranch_vccnz .LBB55_5189
; %bb.5188:
	s_wait_loadcnt 0x0
	global_load_b32 v7, v[16:17], off
	s_wait_loadcnt 0x0
	v_cvt_i32_f32_e32 v7, v7
.LBB55_5189:
	s_mov_b32 s0, 0
.LBB55_5190:
	s_delay_alu instid0(SALU_CYCLE_1)
	s_and_not1_b32 vcc_lo, exec_lo, s0
	s_cbranch_vccnz .LBB55_5192
; %bb.5191:
	s_wait_loadcnt 0x0
	global_load_b32 v7, v[16:17], off
	s_wait_loadcnt 0x0
	v_cvt_f32_f16_e32 v7, v7
	s_delay_alu instid0(VALU_DEP_1)
	v_cvt_i32_f32_e32 v7, v7
.LBB55_5192:
	s_mov_b32 s0, 0
.LBB55_5193:
	s_delay_alu instid0(SALU_CYCLE_1)
	s_and_not1_b32 vcc_lo, exec_lo, s0
	s_cbranch_vccnz .LBB55_5204
; %bb.5194:
	s_cmp_lt_i32 s57, 6
	s_cbranch_scc1 .LBB55_5197
; %bb.5195:
	s_cmp_gt_i32 s57, 6
	s_cbranch_scc0 .LBB55_5198
; %bb.5196:
	global_load_b64 v[18:19], v[16:17], off
	s_mov_b32 s0, 0
	s_wait_loadcnt 0x0
	v_cvt_i32_f64_e32 v7, v[18:19]
	s_branch .LBB55_5199
.LBB55_5197:
	s_mov_b32 s0, -1
                                        ; implicit-def: $vgpr7
	s_branch .LBB55_5202
.LBB55_5198:
	s_mov_b32 s0, -1
                                        ; implicit-def: $vgpr7
.LBB55_5199:
	s_delay_alu instid0(SALU_CYCLE_1)
	s_and_not1_b32 vcc_lo, exec_lo, s0
	s_cbranch_vccnz .LBB55_5201
; %bb.5200:
	s_wait_loadcnt 0x0
	global_load_b32 v7, v[16:17], off
	s_wait_loadcnt 0x0
	v_cvt_i32_f32_e32 v7, v7
.LBB55_5201:
	s_mov_b32 s0, 0
.LBB55_5202:
	s_delay_alu instid0(SALU_CYCLE_1)
	s_and_not1_b32 vcc_lo, exec_lo, s0
	s_cbranch_vccnz .LBB55_5204
; %bb.5203:
	s_wait_loadcnt 0x0
	global_load_u16 v7, v[16:17], off
	s_wait_loadcnt 0x0
	v_cvt_f32_f16_e32 v7, v7
	s_delay_alu instid0(VALU_DEP_1)
	v_cvt_i32_f32_e32 v7, v7
.LBB55_5204:
	s_mov_b32 s0, 0
.LBB55_5205:
	s_delay_alu instid0(SALU_CYCLE_1)
	s_and_not1_b32 vcc_lo, exec_lo, s0
	s_cbranch_vccnz .LBB55_5225
; %bb.5206:
	s_cmp_lt_i32 s57, 2
	s_cbranch_scc1 .LBB55_5210
; %bb.5207:
	s_cmp_lt_i32 s57, 3
	s_cbranch_scc1 .LBB55_5211
; %bb.5208:
	s_cmp_gt_i32 s57, 3
	s_cbranch_scc0 .LBB55_5212
; %bb.5209:
	s_wait_loadcnt 0x0
	global_load_b32 v7, v[16:17], off
	s_mov_b32 s0, 0
	s_branch .LBB55_5213
.LBB55_5210:
	s_mov_b32 s0, -1
                                        ; implicit-def: $vgpr7
	s_branch .LBB55_5219
.LBB55_5211:
	s_mov_b32 s0, -1
                                        ; implicit-def: $vgpr7
	s_branch .LBB55_5216
.LBB55_5212:
	s_mov_b32 s0, -1
                                        ; implicit-def: $vgpr7
.LBB55_5213:
	s_delay_alu instid0(SALU_CYCLE_1)
	s_and_not1_b32 vcc_lo, exec_lo, s0
	s_cbranch_vccnz .LBB55_5215
; %bb.5214:
	s_wait_loadcnt 0x0
	global_load_b32 v7, v[16:17], off
.LBB55_5215:
	s_mov_b32 s0, 0
.LBB55_5216:
	s_delay_alu instid0(SALU_CYCLE_1)
	s_and_not1_b32 vcc_lo, exec_lo, s0
	s_cbranch_vccnz .LBB55_5218
; %bb.5217:
	s_wait_loadcnt 0x0
	global_load_i16 v7, v[16:17], off
.LBB55_5218:
	s_mov_b32 s0, 0
.LBB55_5219:
	s_delay_alu instid0(SALU_CYCLE_1)
	s_and_not1_b32 vcc_lo, exec_lo, s0
	s_cbranch_vccnz .LBB55_5225
; %bb.5220:
	s_cmp_gt_i32 s57, 0
	s_mov_b32 s0, 0
	s_cbranch_scc0 .LBB55_5222
; %bb.5221:
	s_wait_loadcnt 0x0
	global_load_i8 v7, v[16:17], off
	s_branch .LBB55_5223
.LBB55_5222:
	s_mov_b32 s0, -1
                                        ; implicit-def: $vgpr7
.LBB55_5223:
	s_delay_alu instid0(SALU_CYCLE_1)
	s_and_not1_b32 vcc_lo, exec_lo, s0
	s_cbranch_vccnz .LBB55_5225
; %bb.5224:
	s_wait_loadcnt 0x0
	global_load_u8 v7, v[16:17], off
.LBB55_5225:
	s_mov_b32 s7, -1
.LBB55_5226:
	s_delay_alu instid0(SALU_CYCLE_1)
	s_and_not1_b32 vcc_lo, exec_lo, s7
	s_cbranch_vccnz .LBB55_5746
; %bb.5227:
	v_mov_b32_e32 v15, 0
	s_cmp_lt_i32 s58, 11
	s_delay_alu instid0(VALU_DEP_1)
	v_add_nc_u64_e32 v[14:15], s[12:13], v[14:15]
	s_cbranch_scc1 .LBB55_5234
; %bb.5228:
	s_cmp_gt_i32 s58, 25
	s_mov_b32 s6, 0
	s_cbranch_scc0 .LBB55_5235
; %bb.5229:
	s_cmp_gt_i32 s58, 28
	s_cbranch_scc0 .LBB55_5236
; %bb.5230:
	s_cmp_gt_i32 s58, 43
	;; [unrolled: 3-line block ×3, first 2 shown]
	s_cbranch_scc0 .LBB55_5239
; %bb.5232:
	s_cmp_eq_u32 s58, 46
	s_mov_b32 s9, 0
	s_cbranch_scc0 .LBB55_5241
; %bb.5233:
	global_load_b32 v9, v[14:15], off
	s_mov_b32 s0, 0
	s_mov_b32 s7, -1
	s_wait_loadcnt 0x0
	v_lshlrev_b32_e32 v9, 16, v9
	s_wait_xcnt 0x1
	s_delay_alu instid0(VALU_DEP_1)
	v_cvt_i32_f32_e32 v16, v9
	s_branch .LBB55_5243
.LBB55_5234:
	s_mov_b32 s0, -1
	s_mov_b32 s7, 0
                                        ; implicit-def: $vgpr16
	s_branch .LBB55_5305
.LBB55_5235:
	s_mov_b32 s9, -1
	s_mov_b32 s7, 0
	s_mov_b32 s0, 0
                                        ; implicit-def: $vgpr16
	s_branch .LBB55_5270
.LBB55_5236:
	s_mov_b32 s9, -1
	s_mov_b32 s7, 0
	s_mov_b32 s0, 0
                                        ; implicit-def: $vgpr16
	s_branch .LBB55_5253
.LBB55_5237:
	s_mov_b32 s9, -1
	s_mov_b32 s7, 0
	s_mov_b32 s0, 0
                                        ; implicit-def: $vgpr16
	s_branch .LBB55_5248
.LBB55_5238:
	s_or_b32 s25, s1, exec_lo
	s_trap 2
	s_cbranch_execz .LBB55_5175
	s_branch .LBB55_5176
.LBB55_5239:
	s_mov_b32 s9, -1
	s_mov_b32 s7, 0
	s_mov_b32 s0, 0
	s_branch .LBB55_5242
.LBB55_5240:
	s_or_b32 s56, s56, exec_lo
	s_trap 2
                                        ; implicit-def: $vgpr9
                                        ; implicit-def: $vgpr22
                                        ; implicit-def: $vgpr20
                                        ; implicit-def: $vgpr24
                                        ; implicit-def: $vgpr5
                                        ; implicit-def: $vgpr6
                                        ; implicit-def: $vgpr4
                                        ; implicit-def: $vgpr2
                                        ; implicit-def: $vgpr10
                                        ; implicit-def: $vgpr8
                                        ; implicit-def: $vgpr14
                                        ; implicit-def: $vgpr12
                                        ; implicit-def: $vgpr0
                                        ; implicit-def: $vgpr16
                                        ; implicit-def: $vgpr1
                                        ; implicit-def: $vgpr3
	s_branch .LBB55_5073
.LBB55_5241:
	s_mov_b32 s0, -1
	s_mov_b32 s7, 0
.LBB55_5242:
                                        ; implicit-def: $vgpr16
.LBB55_5243:
	s_and_b32 vcc_lo, exec_lo, s9
	s_cbranch_vccz .LBB55_5247
; %bb.5244:
	s_cmp_eq_u32 s58, 44
	s_cbranch_scc0 .LBB55_5246
; %bb.5245:
	global_load_u8 v9, v[14:15], off
	s_mov_b32 s0, 0
	s_mov_b32 s7, -1
	s_wait_loadcnt 0x0
	v_lshlrev_b32_e32 v11, 23, v9
	v_cmp_ne_u32_e32 vcc_lo, 0, v9
	s_delay_alu instid0(VALU_DEP_2) | instskip(SKIP_1) | instid1(VALU_DEP_1)
	v_cvt_i32_f32_e32 v11, v11
	s_wait_xcnt 0x1
	v_cndmask_b32_e32 v16, 0, v11, vcc_lo
	s_branch .LBB55_5247
.LBB55_5246:
	s_mov_b32 s0, -1
                                        ; implicit-def: $vgpr16
.LBB55_5247:
	s_mov_b32 s9, 0
.LBB55_5248:
	s_delay_alu instid0(SALU_CYCLE_1)
	s_and_b32 vcc_lo, exec_lo, s9
	s_cbranch_vccz .LBB55_5252
; %bb.5249:
	s_cmp_eq_u32 s58, 29
	s_cbranch_scc0 .LBB55_5251
; %bb.5250:
	global_load_b32 v16, v[14:15], off
	s_mov_b32 s0, 0
	s_mov_b32 s7, -1
	s_branch .LBB55_5252
.LBB55_5251:
	s_mov_b32 s0, -1
                                        ; implicit-def: $vgpr16
.LBB55_5252:
	s_mov_b32 s9, 0
.LBB55_5253:
	s_delay_alu instid0(SALU_CYCLE_1)
	s_and_b32 vcc_lo, exec_lo, s9
	s_cbranch_vccz .LBB55_5269
; %bb.5254:
	s_cmp_lt_i32 s58, 27
	s_cbranch_scc1 .LBB55_5257
; %bb.5255:
	s_cmp_gt_i32 s58, 27
	s_cbranch_scc0 .LBB55_5258
; %bb.5256:
	s_wait_loadcnt 0x0
	global_load_b32 v16, v[14:15], off
	s_mov_b32 s7, 0
	s_branch .LBB55_5259
.LBB55_5257:
	s_mov_b32 s7, -1
                                        ; implicit-def: $vgpr16
	s_branch .LBB55_5262
.LBB55_5258:
	s_mov_b32 s7, -1
                                        ; implicit-def: $vgpr16
.LBB55_5259:
	s_delay_alu instid0(SALU_CYCLE_1)
	s_and_not1_b32 vcc_lo, exec_lo, s7
	s_cbranch_vccnz .LBB55_5261
; %bb.5260:
	s_wait_loadcnt 0x0
	global_load_u16 v16, v[14:15], off
.LBB55_5261:
	s_mov_b32 s7, 0
.LBB55_5262:
	s_delay_alu instid0(SALU_CYCLE_1)
	s_and_not1_b32 vcc_lo, exec_lo, s7
	s_cbranch_vccnz .LBB55_5268
; %bb.5263:
	global_load_u8 v9, v[14:15], off
	s_mov_b32 s9, 0
	s_mov_b32 s7, exec_lo
	s_wait_loadcnt 0x0
	v_cmpx_lt_i16_e32 0x7f, v9
	s_xor_b32 s7, exec_lo, s7
	s_cbranch_execz .LBB55_5280
; %bb.5264:
	v_cmp_ne_u16_e32 vcc_lo, 0x80, v9
	s_and_b32 s9, vcc_lo, exec_lo
	s_and_not1_saveexec_b32 s7, s7
	s_cbranch_execnz .LBB55_5281
.LBB55_5265:
	s_or_b32 exec_lo, exec_lo, s7
	v_mov_b32_e32 v16, 0
	s_and_saveexec_b32 s7, s9
	s_cbranch_execz .LBB55_5267
.LBB55_5266:
	v_and_b32_e32 v11, 0xffff, v9
	s_delay_alu instid0(VALU_DEP_1) | instskip(SKIP_1) | instid1(VALU_DEP_2)
	v_and_b32_e32 v13, 7, v11
	v_bfe_u32 v18, v11, 3, 4
	v_clz_i32_u32_e32 v16, v13
	s_delay_alu instid0(VALU_DEP_2) | instskip(NEXT) | instid1(VALU_DEP_2)
	v_cmp_eq_u32_e32 vcc_lo, 0, v18
	v_min_u32_e32 v16, 32, v16
	s_delay_alu instid0(VALU_DEP_1) | instskip(NEXT) | instid1(VALU_DEP_1)
	v_subrev_nc_u32_e32 v17, 28, v16
	v_dual_lshlrev_b32 v11, v17, v11 :: v_dual_sub_nc_u32 v16, 29, v16
	s_delay_alu instid0(VALU_DEP_1) | instskip(NEXT) | instid1(VALU_DEP_1)
	v_dual_lshlrev_b32 v9, 24, v9 :: v_dual_bitop2_b32 v11, 7, v11 bitop3:0x40
	v_dual_cndmask_b32 v16, v18, v16 :: v_dual_cndmask_b32 v11, v13, v11
	s_delay_alu instid0(VALU_DEP_2) | instskip(NEXT) | instid1(VALU_DEP_2)
	v_and_b32_e32 v9, 0x80000000, v9
	v_lshl_add_u32 v13, v16, 23, 0x3b800000
	s_delay_alu instid0(VALU_DEP_3) | instskip(NEXT) | instid1(VALU_DEP_1)
	v_lshlrev_b32_e32 v11, 20, v11
	v_or3_b32 v9, v9, v13, v11
	s_delay_alu instid0(VALU_DEP_1)
	v_cvt_i32_f32_e32 v16, v9
.LBB55_5267:
	s_or_b32 exec_lo, exec_lo, s7
.LBB55_5268:
	s_mov_b32 s7, -1
.LBB55_5269:
	s_mov_b32 s9, 0
.LBB55_5270:
	s_delay_alu instid0(SALU_CYCLE_1)
	s_and_b32 vcc_lo, exec_lo, s9
	s_cbranch_vccz .LBB55_5301
; %bb.5271:
	s_cmp_gt_i32 s58, 22
	s_cbranch_scc0 .LBB55_5279
; %bb.5272:
	s_cmp_lt_i32 s58, 24
	s_cbranch_scc1 .LBB55_5282
; %bb.5273:
	s_cmp_gt_i32 s58, 24
	s_cbranch_scc0 .LBB55_5283
; %bb.5274:
	global_load_u8 v9, v[14:15], off
	s_mov_b32 s7, 0
	s_mov_b32 s6, exec_lo
	s_wait_loadcnt 0x0
	v_cmpx_lt_i16_e32 0x7f, v9
	s_xor_b32 s6, exec_lo, s6
	s_cbranch_execz .LBB55_5295
; %bb.5275:
	v_cmp_ne_u16_e32 vcc_lo, 0x80, v9
	s_and_b32 s7, vcc_lo, exec_lo
	s_and_not1_saveexec_b32 s6, s6
	s_cbranch_execnz .LBB55_5296
.LBB55_5276:
	s_or_b32 exec_lo, exec_lo, s6
	v_mov_b32_e32 v16, 0
	s_and_saveexec_b32 s6, s7
	s_cbranch_execz .LBB55_5278
.LBB55_5277:
	v_and_b32_e32 v11, 0xffff, v9
	s_delay_alu instid0(VALU_DEP_1) | instskip(SKIP_1) | instid1(VALU_DEP_2)
	v_and_b32_e32 v13, 3, v11
	v_bfe_u32 v18, v11, 2, 5
	v_clz_i32_u32_e32 v16, v13
	s_delay_alu instid0(VALU_DEP_2) | instskip(NEXT) | instid1(VALU_DEP_2)
	v_cmp_eq_u32_e32 vcc_lo, 0, v18
	v_min_u32_e32 v16, 32, v16
	s_delay_alu instid0(VALU_DEP_1) | instskip(NEXT) | instid1(VALU_DEP_1)
	v_subrev_nc_u32_e32 v17, 29, v16
	v_dual_lshlrev_b32 v11, v17, v11 :: v_dual_sub_nc_u32 v16, 30, v16
	s_delay_alu instid0(VALU_DEP_1) | instskip(NEXT) | instid1(VALU_DEP_1)
	v_dual_lshlrev_b32 v9, 24, v9 :: v_dual_bitop2_b32 v11, 3, v11 bitop3:0x40
	v_dual_cndmask_b32 v16, v18, v16 :: v_dual_cndmask_b32 v11, v13, v11
	s_delay_alu instid0(VALU_DEP_2) | instskip(NEXT) | instid1(VALU_DEP_2)
	v_and_b32_e32 v9, 0x80000000, v9
	v_lshl_add_u32 v13, v16, 23, 0x37800000
	s_delay_alu instid0(VALU_DEP_3) | instskip(NEXT) | instid1(VALU_DEP_1)
	v_lshlrev_b32_e32 v11, 21, v11
	v_or3_b32 v9, v9, v13, v11
	s_delay_alu instid0(VALU_DEP_1)
	v_cvt_i32_f32_e32 v16, v9
.LBB55_5278:
	s_or_b32 exec_lo, exec_lo, s6
	s_mov_b32 s6, 0
	s_branch .LBB55_5284
.LBB55_5279:
	s_mov_b32 s6, -1
                                        ; implicit-def: $vgpr16
	s_branch .LBB55_5290
.LBB55_5280:
	s_and_not1_saveexec_b32 s7, s7
	s_cbranch_execz .LBB55_5265
.LBB55_5281:
	v_cmp_ne_u16_e32 vcc_lo, 0, v9
	s_and_not1_b32 s9, s9, exec_lo
	s_and_b32 s12, vcc_lo, exec_lo
	s_delay_alu instid0(SALU_CYCLE_1)
	s_or_b32 s9, s9, s12
	s_or_b32 exec_lo, exec_lo, s7
	v_mov_b32_e32 v16, 0
	s_and_saveexec_b32 s7, s9
	s_cbranch_execnz .LBB55_5266
	s_branch .LBB55_5267
.LBB55_5282:
	s_mov_b32 s6, -1
                                        ; implicit-def: $vgpr16
	s_branch .LBB55_5287
.LBB55_5283:
	s_mov_b32 s6, -1
                                        ; implicit-def: $vgpr16
.LBB55_5284:
	s_delay_alu instid0(SALU_CYCLE_1)
	s_and_b32 vcc_lo, exec_lo, s6
	s_cbranch_vccz .LBB55_5286
; %bb.5285:
	global_load_u8 v9, v[14:15], off
	s_wait_loadcnt 0x0
	v_lshlrev_b32_e32 v9, 24, v9
	s_delay_alu instid0(VALU_DEP_1) | instskip(NEXT) | instid1(VALU_DEP_1)
	v_and_b32_e32 v11, 0x7f000000, v9
	v_clz_i32_u32_e32 v13, v11
	s_wait_xcnt 0x1
	v_add_nc_u32_e32 v17, 0x1000000, v11
	v_cmp_ne_u32_e32 vcc_lo, 0, v11
	s_delay_alu instid0(VALU_DEP_3) | instskip(NEXT) | instid1(VALU_DEP_1)
	v_min_u32_e32 v13, 32, v13
	v_sub_nc_u32_e64 v13, v13, 4 clamp
	s_delay_alu instid0(VALU_DEP_1) | instskip(NEXT) | instid1(VALU_DEP_1)
	v_dual_lshlrev_b32 v16, v13, v11 :: v_dual_lshlrev_b32 v13, 23, v13
	v_lshrrev_b32_e32 v16, 4, v16
	s_delay_alu instid0(VALU_DEP_1) | instskip(SKIP_1) | instid1(VALU_DEP_2)
	v_sub_nc_u32_e32 v13, v16, v13
	v_ashrrev_i32_e32 v16, 8, v17
	v_add_nc_u32_e32 v13, 0x3c000000, v13
	s_delay_alu instid0(VALU_DEP_1) | instskip(NEXT) | instid1(VALU_DEP_1)
	v_and_or_b32 v13, 0x7f800000, v16, v13
	v_cndmask_b32_e32 v11, 0, v13, vcc_lo
	s_delay_alu instid0(VALU_DEP_1) | instskip(NEXT) | instid1(VALU_DEP_1)
	v_and_or_b32 v9, 0x80000000, v9, v11
	v_cvt_i32_f32_e32 v16, v9
.LBB55_5286:
	s_mov_b32 s6, 0
.LBB55_5287:
	s_delay_alu instid0(SALU_CYCLE_1)
	s_and_not1_b32 vcc_lo, exec_lo, s6
	s_cbranch_vccnz .LBB55_5289
; %bb.5288:
	global_load_u8 v9, v[14:15], off
	s_wait_loadcnt 0x0
	v_lshlrev_b32_e32 v11, 25, v9
	v_lshlrev_b16 v9, 8, v9
	s_wait_xcnt 0x1
	s_delay_alu instid0(VALU_DEP_1) | instskip(SKIP_1) | instid1(VALU_DEP_2)
	v_and_or_b32 v16, 0x7f00, v9, 0.5
	v_bfe_i32 v9, v9, 0, 16
	v_dual_add_f32 v16, -0.5, v16 :: v_dual_lshrrev_b32 v13, 4, v11
	v_cmp_gt_u32_e32 vcc_lo, 0x8000000, v11
	s_delay_alu instid0(VALU_DEP_2) | instskip(NEXT) | instid1(VALU_DEP_1)
	v_or_b32_e32 v13, 0x70000000, v13
	v_mul_f32_e32 v13, 0x7800000, v13
	s_delay_alu instid0(VALU_DEP_1) | instskip(NEXT) | instid1(VALU_DEP_1)
	v_cndmask_b32_e32 v11, v13, v16, vcc_lo
	v_and_or_b32 v9, 0x80000000, v9, v11
	s_delay_alu instid0(VALU_DEP_1)
	v_cvt_i32_f32_e32 v16, v9
.LBB55_5289:
	s_mov_b32 s6, 0
	s_mov_b32 s7, -1
.LBB55_5290:
	s_and_not1_b32 vcc_lo, exec_lo, s6
	s_mov_b32 s6, 0
	s_cbranch_vccnz .LBB55_5301
; %bb.5291:
	s_cmp_gt_i32 s58, 14
	s_cbranch_scc0 .LBB55_5294
; %bb.5292:
	s_cmp_eq_u32 s58, 15
	s_cbranch_scc0 .LBB55_5297
; %bb.5293:
	global_load_u16 v9, v[14:15], off
	s_mov_b32 s0, 0
	s_mov_b32 s7, -1
	s_wait_loadcnt 0x0
	v_lshlrev_b32_e32 v9, 16, v9
	s_wait_xcnt 0x1
	s_delay_alu instid0(VALU_DEP_1)
	v_cvt_i32_f32_e32 v16, v9
	s_branch .LBB55_5299
.LBB55_5294:
	s_mov_b32 s6, -1
	s_branch .LBB55_5298
.LBB55_5295:
	s_and_not1_saveexec_b32 s6, s6
	s_cbranch_execz .LBB55_5276
.LBB55_5296:
	v_cmp_ne_u16_e32 vcc_lo, 0, v9
	s_and_not1_b32 s7, s7, exec_lo
	s_and_b32 s9, vcc_lo, exec_lo
	s_delay_alu instid0(SALU_CYCLE_1)
	s_or_b32 s7, s7, s9
	s_or_b32 exec_lo, exec_lo, s6
	v_mov_b32_e32 v16, 0
	s_and_saveexec_b32 s6, s7
	s_cbranch_execnz .LBB55_5277
	s_branch .LBB55_5278
.LBB55_5297:
	s_mov_b32 s0, -1
.LBB55_5298:
                                        ; implicit-def: $vgpr16
.LBB55_5299:
	s_and_b32 vcc_lo, exec_lo, s6
	s_mov_b32 s6, 0
	s_cbranch_vccz .LBB55_5301
; %bb.5300:
	s_cmp_lg_u32 s58, 11
	s_mov_b32 s6, -1
	s_cselect_b32 s0, -1, 0
.LBB55_5301:
	s_delay_alu instid0(SALU_CYCLE_1)
	s_and_b32 vcc_lo, exec_lo, s0
	s_cbranch_vccnz .LBB55_5366
; %bb.5302:
	s_and_not1_b32 vcc_lo, exec_lo, s6
	s_cbranch_vccnz .LBB55_5304
.LBB55_5303:
	global_load_u8 v9, v[14:15], off
	s_mov_b32 s7, -1
	s_wait_loadcnt 0x0
	v_cmp_ne_u16_e32 vcc_lo, 0, v9
	s_wait_xcnt 0x1
	v_cndmask_b32_e64 v16, 0, 1, vcc_lo
.LBB55_5304:
	s_mov_b32 s0, 0
.LBB55_5305:
	s_delay_alu instid0(SALU_CYCLE_1)
	s_and_b32 vcc_lo, exec_lo, s0
	s_cbranch_vccz .LBB55_5354
; %bb.5306:
	s_cmp_lt_i32 s58, 5
	s_cbranch_scc1 .LBB55_5311
; %bb.5307:
	s_cmp_lt_i32 s58, 8
	s_cbranch_scc1 .LBB55_5312
	;; [unrolled: 3-line block ×3, first 2 shown]
; %bb.5309:
	s_cmp_gt_i32 s58, 9
	s_cbranch_scc0 .LBB55_5314
; %bb.5310:
	s_wait_loadcnt 0x0
	global_load_b64 v[16:17], v[14:15], off
	s_mov_b32 s0, 0
	s_wait_loadcnt 0x0
	v_cvt_i32_f64_e32 v16, v[16:17]
	s_branch .LBB55_5315
.LBB55_5311:
	s_mov_b32 s0, -1
                                        ; implicit-def: $vgpr16
	s_branch .LBB55_5333
.LBB55_5312:
	s_mov_b32 s0, -1
                                        ; implicit-def: $vgpr16
	s_branch .LBB55_5321
.LBB55_5313:
	s_mov_b32 s0, -1
                                        ; implicit-def: $vgpr16
	s_branch .LBB55_5318
.LBB55_5314:
	s_mov_b32 s0, -1
                                        ; implicit-def: $vgpr16
.LBB55_5315:
	s_delay_alu instid0(SALU_CYCLE_1)
	s_and_not1_b32 vcc_lo, exec_lo, s0
	s_cbranch_vccnz .LBB55_5317
; %bb.5316:
	global_load_b32 v9, v[14:15], off
	s_wait_loadcnt 0x0
	s_wait_xcnt 0x1
	v_cvt_i32_f32_e32 v16, v9
.LBB55_5317:
	s_mov_b32 s0, 0
.LBB55_5318:
	s_delay_alu instid0(SALU_CYCLE_1)
	s_and_not1_b32 vcc_lo, exec_lo, s0
	s_cbranch_vccnz .LBB55_5320
; %bb.5319:
	global_load_b32 v9, v[14:15], off
	s_wait_loadcnt 0x0
	v_cvt_f32_f16_e32 v9, v9
	s_wait_xcnt 0x1
	s_delay_alu instid0(VALU_DEP_1)
	v_cvt_i32_f32_e32 v16, v9
.LBB55_5320:
	s_mov_b32 s0, 0
.LBB55_5321:
	s_delay_alu instid0(SALU_CYCLE_1)
	s_and_not1_b32 vcc_lo, exec_lo, s0
	s_cbranch_vccnz .LBB55_5332
; %bb.5322:
	s_cmp_lt_i32 s58, 6
	s_cbranch_scc1 .LBB55_5325
; %bb.5323:
	s_cmp_gt_i32 s58, 6
	s_cbranch_scc0 .LBB55_5326
; %bb.5324:
	s_wait_loadcnt 0x0
	global_load_b64 v[16:17], v[14:15], off
	s_mov_b32 s0, 0
	s_wait_loadcnt 0x0
	v_cvt_i32_f64_e32 v16, v[16:17]
	s_branch .LBB55_5327
.LBB55_5325:
	s_mov_b32 s0, -1
                                        ; implicit-def: $vgpr16
	s_branch .LBB55_5330
.LBB55_5326:
	s_mov_b32 s0, -1
                                        ; implicit-def: $vgpr16
.LBB55_5327:
	s_delay_alu instid0(SALU_CYCLE_1)
	s_and_not1_b32 vcc_lo, exec_lo, s0
	s_cbranch_vccnz .LBB55_5329
; %bb.5328:
	global_load_b32 v9, v[14:15], off
	s_wait_loadcnt 0x0
	s_wait_xcnt 0x1
	v_cvt_i32_f32_e32 v16, v9
.LBB55_5329:
	s_mov_b32 s0, 0
.LBB55_5330:
	s_delay_alu instid0(SALU_CYCLE_1)
	s_and_not1_b32 vcc_lo, exec_lo, s0
	s_cbranch_vccnz .LBB55_5332
; %bb.5331:
	global_load_u16 v9, v[14:15], off
	s_wait_loadcnt 0x0
	v_cvt_f32_f16_e32 v9, v9
	s_wait_xcnt 0x1
	s_delay_alu instid0(VALU_DEP_1)
	v_cvt_i32_f32_e32 v16, v9
.LBB55_5332:
	s_mov_b32 s0, 0
.LBB55_5333:
	s_delay_alu instid0(SALU_CYCLE_1)
	s_and_not1_b32 vcc_lo, exec_lo, s0
	s_cbranch_vccnz .LBB55_5353
; %bb.5334:
	s_cmp_lt_i32 s58, 2
	s_cbranch_scc1 .LBB55_5338
; %bb.5335:
	s_cmp_lt_i32 s58, 3
	s_cbranch_scc1 .LBB55_5339
; %bb.5336:
	s_cmp_gt_i32 s58, 3
	s_cbranch_scc0 .LBB55_5340
; %bb.5337:
	s_wait_loadcnt 0x0
	global_load_b32 v16, v[14:15], off
	s_mov_b32 s0, 0
	s_branch .LBB55_5341
.LBB55_5338:
	s_mov_b32 s0, -1
                                        ; implicit-def: $vgpr16
	s_branch .LBB55_5347
.LBB55_5339:
	s_mov_b32 s0, -1
                                        ; implicit-def: $vgpr16
	s_branch .LBB55_5344
.LBB55_5340:
	s_mov_b32 s0, -1
                                        ; implicit-def: $vgpr16
.LBB55_5341:
	s_delay_alu instid0(SALU_CYCLE_1)
	s_and_not1_b32 vcc_lo, exec_lo, s0
	s_cbranch_vccnz .LBB55_5343
; %bb.5342:
	s_wait_loadcnt 0x0
	global_load_b32 v16, v[14:15], off
.LBB55_5343:
	s_mov_b32 s0, 0
.LBB55_5344:
	s_delay_alu instid0(SALU_CYCLE_1)
	s_and_not1_b32 vcc_lo, exec_lo, s0
	s_cbranch_vccnz .LBB55_5346
; %bb.5345:
	s_wait_loadcnt 0x0
	global_load_i16 v16, v[14:15], off
.LBB55_5346:
	s_mov_b32 s0, 0
.LBB55_5347:
	s_delay_alu instid0(SALU_CYCLE_1)
	s_and_not1_b32 vcc_lo, exec_lo, s0
	s_cbranch_vccnz .LBB55_5353
; %bb.5348:
	s_cmp_gt_i32 s58, 0
	s_mov_b32 s0, 0
	s_cbranch_scc0 .LBB55_5350
; %bb.5349:
	s_wait_loadcnt 0x0
	global_load_i8 v16, v[14:15], off
	s_branch .LBB55_5351
.LBB55_5350:
	s_mov_b32 s0, -1
                                        ; implicit-def: $vgpr16
.LBB55_5351:
	s_delay_alu instid0(SALU_CYCLE_1)
	s_and_not1_b32 vcc_lo, exec_lo, s0
	s_cbranch_vccnz .LBB55_5353
; %bb.5352:
	s_wait_loadcnt 0x0
	global_load_u8 v16, v[14:15], off
.LBB55_5353:
	s_mov_b32 s7, -1
.LBB55_5354:
	s_delay_alu instid0(SALU_CYCLE_1)
	s_and_not1_b32 vcc_lo, exec_lo, s7
	s_cbranch_vccnz .LBB55_5746
; %bb.5355:
	v_mov_b32_e32 v13, 0
	s_cmp_lt_i32 s59, 11
	s_wait_xcnt 0x0
	s_delay_alu instid0(VALU_DEP_1)
	v_add_nc_u64_e32 v[14:15], s[14:15], v[12:13]
	s_cbranch_scc1 .LBB55_5362
; %bb.5356:
	s_cmp_gt_i32 s59, 25
	s_mov_b32 s6, 0
	s_cbranch_scc0 .LBB55_5363
; %bb.5357:
	s_cmp_gt_i32 s59, 28
	s_cbranch_scc0 .LBB55_5364
; %bb.5358:
	s_cmp_gt_i32 s59, 43
	s_cbranch_scc0 .LBB55_5365
; %bb.5359:
	s_cmp_gt_i32 s59, 45
	s_cbranch_scc0 .LBB55_5367
; %bb.5360:
	s_cmp_eq_u32 s59, 46
	s_mov_b32 s9, 0
	s_cbranch_scc0 .LBB55_5369
; %bb.5361:
	global_load_b32 v9, v[14:15], off
	s_mov_b32 s0, 0
	s_mov_b32 s7, -1
	s_wait_loadcnt 0x0
	v_lshlrev_b32_e32 v9, 16, v9
	s_delay_alu instid0(VALU_DEP_1)
	v_cvt_i32_f32_e32 v12, v9
	s_branch .LBB55_5371
.LBB55_5362:
	s_mov_b32 s0, -1
	s_mov_b32 s7, 0
                                        ; implicit-def: $vgpr12
	s_branch .LBB55_5433
.LBB55_5363:
	s_mov_b32 s9, -1
	s_mov_b32 s7, 0
	s_mov_b32 s0, 0
                                        ; implicit-def: $vgpr12
	s_branch .LBB55_5398
.LBB55_5364:
	s_mov_b32 s9, -1
	s_mov_b32 s7, 0
	s_mov_b32 s0, 0
                                        ; implicit-def: $vgpr12
	s_branch .LBB55_5381
.LBB55_5365:
	s_mov_b32 s9, -1
	s_mov_b32 s7, 0
	s_mov_b32 s0, 0
                                        ; implicit-def: $vgpr12
	s_branch .LBB55_5376
.LBB55_5366:
	s_or_b32 s25, s25, exec_lo
	s_trap 2
	s_cbranch_execz .LBB55_5303
	s_branch .LBB55_5304
.LBB55_5367:
	s_mov_b32 s9, -1
	s_mov_b32 s7, 0
	s_mov_b32 s0, 0
	s_branch .LBB55_5370
.LBB55_5368:
	s_or_b32 s63, s56, exec_lo
	s_trap 2
                                        ; implicit-def: $vgpr22
                                        ; implicit-def: $vgpr20
                                        ; implicit-def: $vgpr24
                                        ; implicit-def: $vgpr5
                                        ; implicit-def: $vgpr6
                                        ; implicit-def: $vgpr4
                                        ; implicit-def: $vgpr2
                                        ; implicit-def: $vgpr10
                                        ; implicit-def: $vgpr8
                                        ; implicit-def: $vgpr14
                                        ; implicit-def: $vgpr12
                                        ; implicit-def: $vgpr0
                                        ; implicit-def: $vgpr16
                                        ; implicit-def: $vgpr1
                                        ; implicit-def: $vgpr3
	s_or_saveexec_b32 s64, s0
                                        ; implicit-def: $vgpr38_vgpr39
                                        ; implicit-def: $sgpr0
	s_delay_alu instid0(SALU_CYCLE_1)
	s_xor_b32 exec_lo, exec_lo, s64
	s_cbranch_execz .LBB55_5750
	s_branch .LBB55_5076
.LBB55_5369:
	s_mov_b32 s0, -1
	s_mov_b32 s7, 0
.LBB55_5370:
                                        ; implicit-def: $vgpr12
.LBB55_5371:
	s_and_b32 vcc_lo, exec_lo, s9
	s_cbranch_vccz .LBB55_5375
; %bb.5372:
	s_cmp_eq_u32 s59, 44
	s_cbranch_scc0 .LBB55_5374
; %bb.5373:
	global_load_u8 v9, v[14:15], off
	s_mov_b32 s0, 0
	s_mov_b32 s7, -1
	s_wait_loadcnt 0x0
	v_lshlrev_b32_e32 v11, 23, v9
	v_cmp_ne_u32_e32 vcc_lo, 0, v9
	s_delay_alu instid0(VALU_DEP_2) | instskip(NEXT) | instid1(VALU_DEP_1)
	v_cvt_i32_f32_e32 v11, v11
	v_cndmask_b32_e32 v12, 0, v11, vcc_lo
	s_branch .LBB55_5375
.LBB55_5374:
	s_mov_b32 s0, -1
                                        ; implicit-def: $vgpr12
.LBB55_5375:
	s_mov_b32 s9, 0
.LBB55_5376:
	s_delay_alu instid0(SALU_CYCLE_1)
	s_and_b32 vcc_lo, exec_lo, s9
	s_cbranch_vccz .LBB55_5380
; %bb.5377:
	s_cmp_eq_u32 s59, 29
	s_cbranch_scc0 .LBB55_5379
; %bb.5378:
	global_load_b32 v12, v[14:15], off
	s_mov_b32 s0, 0
	s_mov_b32 s7, -1
	s_branch .LBB55_5380
.LBB55_5379:
	s_mov_b32 s0, -1
                                        ; implicit-def: $vgpr12
.LBB55_5380:
	s_mov_b32 s9, 0
.LBB55_5381:
	s_delay_alu instid0(SALU_CYCLE_1)
	s_and_b32 vcc_lo, exec_lo, s9
	s_cbranch_vccz .LBB55_5397
; %bb.5382:
	s_cmp_lt_i32 s59, 27
	s_cbranch_scc1 .LBB55_5385
; %bb.5383:
	s_cmp_gt_i32 s59, 27
	s_cbranch_scc0 .LBB55_5386
; %bb.5384:
	s_wait_loadcnt 0x0
	global_load_b32 v12, v[14:15], off
	s_mov_b32 s7, 0
	s_branch .LBB55_5387
.LBB55_5385:
	s_mov_b32 s7, -1
                                        ; implicit-def: $vgpr12
	s_branch .LBB55_5390
.LBB55_5386:
	s_mov_b32 s7, -1
                                        ; implicit-def: $vgpr12
.LBB55_5387:
	s_delay_alu instid0(SALU_CYCLE_1)
	s_and_not1_b32 vcc_lo, exec_lo, s7
	s_cbranch_vccnz .LBB55_5389
; %bb.5388:
	s_wait_loadcnt 0x0
	global_load_u16 v12, v[14:15], off
.LBB55_5389:
	s_mov_b32 s7, 0
.LBB55_5390:
	s_delay_alu instid0(SALU_CYCLE_1)
	s_and_not1_b32 vcc_lo, exec_lo, s7
	s_cbranch_vccnz .LBB55_5396
; %bb.5391:
	global_load_u8 v9, v[14:15], off
	s_mov_b32 s9, 0
	s_mov_b32 s7, exec_lo
	s_wait_loadcnt 0x0
	v_cmpx_lt_i16_e32 0x7f, v9
	s_xor_b32 s7, exec_lo, s7
	s_cbranch_execz .LBB55_5408
; %bb.5392:
	v_cmp_ne_u16_e32 vcc_lo, 0x80, v9
	s_and_b32 s9, vcc_lo, exec_lo
	s_and_not1_saveexec_b32 s7, s7
	s_cbranch_execnz .LBB55_5409
.LBB55_5393:
	s_or_b32 exec_lo, exec_lo, s7
	v_mov_b32_e32 v12, 0
	s_and_saveexec_b32 s7, s9
	s_cbranch_execz .LBB55_5395
.LBB55_5394:
	v_and_b32_e32 v11, 0xffff, v9
	s_delay_alu instid0(VALU_DEP_1) | instskip(SKIP_1) | instid1(VALU_DEP_2)
	v_and_b32_e32 v12, 7, v11
	v_bfe_u32 v18, v11, 3, 4
	v_clz_i32_u32_e32 v13, v12
	s_delay_alu instid0(VALU_DEP_2) | instskip(NEXT) | instid1(VALU_DEP_2)
	v_cmp_eq_u32_e32 vcc_lo, 0, v18
	v_min_u32_e32 v13, 32, v13
	s_delay_alu instid0(VALU_DEP_1) | instskip(NEXT) | instid1(VALU_DEP_1)
	v_subrev_nc_u32_e32 v17, 28, v13
	v_dual_lshlrev_b32 v11, v17, v11 :: v_dual_sub_nc_u32 v13, 29, v13
	s_delay_alu instid0(VALU_DEP_1) | instskip(NEXT) | instid1(VALU_DEP_1)
	v_dual_lshlrev_b32 v9, 24, v9 :: v_dual_bitop2_b32 v11, 7, v11 bitop3:0x40
	v_dual_cndmask_b32 v11, v12, v11, vcc_lo :: v_dual_cndmask_b32 v13, v18, v13, vcc_lo
	s_delay_alu instid0(VALU_DEP_2) | instskip(NEXT) | instid1(VALU_DEP_2)
	v_and_b32_e32 v9, 0x80000000, v9
	v_lshlrev_b32_e32 v11, 20, v11
	s_delay_alu instid0(VALU_DEP_3) | instskip(NEXT) | instid1(VALU_DEP_1)
	v_lshl_add_u32 v12, v13, 23, 0x3b800000
	v_or3_b32 v9, v9, v12, v11
	s_delay_alu instid0(VALU_DEP_1)
	v_cvt_i32_f32_e32 v12, v9
.LBB55_5395:
	s_or_b32 exec_lo, exec_lo, s7
.LBB55_5396:
	s_mov_b32 s7, -1
.LBB55_5397:
	s_mov_b32 s9, 0
.LBB55_5398:
	s_delay_alu instid0(SALU_CYCLE_1)
	s_and_b32 vcc_lo, exec_lo, s9
	s_cbranch_vccz .LBB55_5429
; %bb.5399:
	s_cmp_gt_i32 s59, 22
	s_cbranch_scc0 .LBB55_5407
; %bb.5400:
	s_cmp_lt_i32 s59, 24
	s_cbranch_scc1 .LBB55_5410
; %bb.5401:
	s_cmp_gt_i32 s59, 24
	s_cbranch_scc0 .LBB55_5411
; %bb.5402:
	global_load_u8 v9, v[14:15], off
	s_mov_b32 s7, 0
	s_mov_b32 s6, exec_lo
	s_wait_loadcnt 0x0
	v_cmpx_lt_i16_e32 0x7f, v9
	s_xor_b32 s6, exec_lo, s6
	s_cbranch_execz .LBB55_5423
; %bb.5403:
	v_cmp_ne_u16_e32 vcc_lo, 0x80, v9
	s_and_b32 s7, vcc_lo, exec_lo
	s_and_not1_saveexec_b32 s6, s6
	s_cbranch_execnz .LBB55_5424
.LBB55_5404:
	s_or_b32 exec_lo, exec_lo, s6
	v_mov_b32_e32 v12, 0
	s_and_saveexec_b32 s6, s7
	s_cbranch_execz .LBB55_5406
.LBB55_5405:
	v_and_b32_e32 v11, 0xffff, v9
	s_delay_alu instid0(VALU_DEP_1) | instskip(SKIP_1) | instid1(VALU_DEP_2)
	v_and_b32_e32 v12, 3, v11
	v_bfe_u32 v18, v11, 2, 5
	v_clz_i32_u32_e32 v13, v12
	s_delay_alu instid0(VALU_DEP_2) | instskip(NEXT) | instid1(VALU_DEP_2)
	v_cmp_eq_u32_e32 vcc_lo, 0, v18
	v_min_u32_e32 v13, 32, v13
	s_delay_alu instid0(VALU_DEP_1) | instskip(NEXT) | instid1(VALU_DEP_1)
	v_subrev_nc_u32_e32 v17, 29, v13
	v_dual_lshlrev_b32 v11, v17, v11 :: v_dual_sub_nc_u32 v13, 30, v13
	s_delay_alu instid0(VALU_DEP_1) | instskip(NEXT) | instid1(VALU_DEP_1)
	v_dual_lshlrev_b32 v9, 24, v9 :: v_dual_bitop2_b32 v11, 3, v11 bitop3:0x40
	v_dual_cndmask_b32 v11, v12, v11, vcc_lo :: v_dual_cndmask_b32 v13, v18, v13, vcc_lo
	s_delay_alu instid0(VALU_DEP_2) | instskip(NEXT) | instid1(VALU_DEP_2)
	v_and_b32_e32 v9, 0x80000000, v9
	v_lshlrev_b32_e32 v11, 21, v11
	s_delay_alu instid0(VALU_DEP_3) | instskip(NEXT) | instid1(VALU_DEP_1)
	v_lshl_add_u32 v12, v13, 23, 0x37800000
	v_or3_b32 v9, v9, v12, v11
	s_delay_alu instid0(VALU_DEP_1)
	v_cvt_i32_f32_e32 v12, v9
.LBB55_5406:
	s_or_b32 exec_lo, exec_lo, s6
	s_mov_b32 s6, 0
	s_branch .LBB55_5412
.LBB55_5407:
	s_mov_b32 s6, -1
                                        ; implicit-def: $vgpr12
	s_branch .LBB55_5418
.LBB55_5408:
	s_and_not1_saveexec_b32 s7, s7
	s_cbranch_execz .LBB55_5393
.LBB55_5409:
	v_cmp_ne_u16_e32 vcc_lo, 0, v9
	s_and_not1_b32 s9, s9, exec_lo
	s_and_b32 s12, vcc_lo, exec_lo
	s_delay_alu instid0(SALU_CYCLE_1)
	s_or_b32 s9, s9, s12
	s_or_b32 exec_lo, exec_lo, s7
	v_mov_b32_e32 v12, 0
	s_and_saveexec_b32 s7, s9
	s_cbranch_execnz .LBB55_5394
	s_branch .LBB55_5395
.LBB55_5410:
	s_mov_b32 s6, -1
                                        ; implicit-def: $vgpr12
	s_branch .LBB55_5415
.LBB55_5411:
	s_mov_b32 s6, -1
                                        ; implicit-def: $vgpr12
.LBB55_5412:
	s_delay_alu instid0(SALU_CYCLE_1)
	s_and_b32 vcc_lo, exec_lo, s6
	s_cbranch_vccz .LBB55_5414
; %bb.5413:
	global_load_u8 v9, v[14:15], off
	s_wait_loadcnt 0x0
	v_lshlrev_b32_e32 v9, 24, v9
	s_delay_alu instid0(VALU_DEP_1) | instskip(NEXT) | instid1(VALU_DEP_1)
	v_and_b32_e32 v11, 0x7f000000, v9
	v_clz_i32_u32_e32 v12, v11
	v_add_nc_u32_e32 v17, 0x1000000, v11
	v_cmp_ne_u32_e32 vcc_lo, 0, v11
	s_delay_alu instid0(VALU_DEP_3) | instskip(NEXT) | instid1(VALU_DEP_1)
	v_min_u32_e32 v12, 32, v12
	v_sub_nc_u32_e64 v12, v12, 4 clamp
	s_delay_alu instid0(VALU_DEP_1) | instskip(NEXT) | instid1(VALU_DEP_1)
	v_dual_lshlrev_b32 v13, v12, v11 :: v_dual_lshlrev_b32 v12, 23, v12
	v_lshrrev_b32_e32 v13, 4, v13
	s_delay_alu instid0(VALU_DEP_1) | instskip(NEXT) | instid1(VALU_DEP_1)
	v_dual_sub_nc_u32 v12, v13, v12 :: v_dual_ashrrev_i32 v13, 8, v17
	v_add_nc_u32_e32 v12, 0x3c000000, v12
	s_delay_alu instid0(VALU_DEP_1) | instskip(NEXT) | instid1(VALU_DEP_1)
	v_and_or_b32 v12, 0x7f800000, v13, v12
	v_cndmask_b32_e32 v11, 0, v12, vcc_lo
	s_delay_alu instid0(VALU_DEP_1) | instskip(NEXT) | instid1(VALU_DEP_1)
	v_and_or_b32 v9, 0x80000000, v9, v11
	v_cvt_i32_f32_e32 v12, v9
.LBB55_5414:
	s_mov_b32 s6, 0
.LBB55_5415:
	s_delay_alu instid0(SALU_CYCLE_1)
	s_and_not1_b32 vcc_lo, exec_lo, s6
	s_cbranch_vccnz .LBB55_5417
; %bb.5416:
	global_load_u8 v9, v[14:15], off
	s_wait_loadcnt 0x0
	v_lshlrev_b32_e32 v11, 25, v9
	v_lshlrev_b16 v9, 8, v9
	s_delay_alu instid0(VALU_DEP_1) | instskip(NEXT) | instid1(VALU_DEP_3)
	v_and_or_b32 v13, 0x7f00, v9, 0.5
	v_lshrrev_b32_e32 v12, 4, v11
	v_bfe_i32 v9, v9, 0, 16
	s_delay_alu instid0(VALU_DEP_3) | instskip(NEXT) | instid1(VALU_DEP_3)
	v_add_f32_e32 v13, -0.5, v13
	v_or_b32_e32 v12, 0x70000000, v12
	s_delay_alu instid0(VALU_DEP_1) | instskip(SKIP_1) | instid1(VALU_DEP_2)
	v_mul_f32_e32 v12, 0x7800000, v12
	v_cmp_gt_u32_e32 vcc_lo, 0x8000000, v11
	v_cndmask_b32_e32 v11, v12, v13, vcc_lo
	s_delay_alu instid0(VALU_DEP_1) | instskip(NEXT) | instid1(VALU_DEP_1)
	v_and_or_b32 v9, 0x80000000, v9, v11
	v_cvt_i32_f32_e32 v12, v9
.LBB55_5417:
	s_mov_b32 s6, 0
	s_mov_b32 s7, -1
.LBB55_5418:
	s_and_not1_b32 vcc_lo, exec_lo, s6
	s_mov_b32 s6, 0
	s_cbranch_vccnz .LBB55_5429
; %bb.5419:
	s_cmp_gt_i32 s59, 14
	s_cbranch_scc0 .LBB55_5422
; %bb.5420:
	s_cmp_eq_u32 s59, 15
	s_cbranch_scc0 .LBB55_5425
; %bb.5421:
	global_load_u16 v9, v[14:15], off
	s_mov_b32 s0, 0
	s_mov_b32 s7, -1
	s_wait_loadcnt 0x0
	v_lshlrev_b32_e32 v9, 16, v9
	s_delay_alu instid0(VALU_DEP_1)
	v_cvt_i32_f32_e32 v12, v9
	s_branch .LBB55_5427
.LBB55_5422:
	s_mov_b32 s6, -1
	s_branch .LBB55_5426
.LBB55_5423:
	s_and_not1_saveexec_b32 s6, s6
	s_cbranch_execz .LBB55_5404
.LBB55_5424:
	v_cmp_ne_u16_e32 vcc_lo, 0, v9
	s_and_not1_b32 s7, s7, exec_lo
	s_and_b32 s9, vcc_lo, exec_lo
	s_delay_alu instid0(SALU_CYCLE_1)
	s_or_b32 s7, s7, s9
	s_or_b32 exec_lo, exec_lo, s6
	v_mov_b32_e32 v12, 0
	s_and_saveexec_b32 s6, s7
	s_cbranch_execnz .LBB55_5405
	s_branch .LBB55_5406
.LBB55_5425:
	s_mov_b32 s0, -1
.LBB55_5426:
                                        ; implicit-def: $vgpr12
.LBB55_5427:
	s_and_b32 vcc_lo, exec_lo, s6
	s_mov_b32 s6, 0
	s_cbranch_vccz .LBB55_5429
; %bb.5428:
	s_cmp_lg_u32 s59, 11
	s_mov_b32 s6, -1
	s_cselect_b32 s0, -1, 0
.LBB55_5429:
	s_delay_alu instid0(SALU_CYCLE_1)
	s_and_b32 vcc_lo, exec_lo, s0
	s_cbranch_vccnz .LBB55_5494
; %bb.5430:
	s_and_not1_b32 vcc_lo, exec_lo, s6
	s_cbranch_vccnz .LBB55_5432
.LBB55_5431:
	global_load_u8 v9, v[14:15], off
	s_mov_b32 s7, -1
	s_wait_loadcnt 0x0
	v_cmp_ne_u16_e32 vcc_lo, 0, v9
	v_cndmask_b32_e64 v12, 0, 1, vcc_lo
.LBB55_5432:
	s_mov_b32 s0, 0
.LBB55_5433:
	s_delay_alu instid0(SALU_CYCLE_1)
	s_and_b32 vcc_lo, exec_lo, s0
	s_cbranch_vccz .LBB55_5482
; %bb.5434:
	s_cmp_lt_i32 s59, 5
	s_cbranch_scc1 .LBB55_5439
; %bb.5435:
	s_cmp_lt_i32 s59, 8
	s_cbranch_scc1 .LBB55_5440
; %bb.5436:
	s_cmp_lt_i32 s59, 9
	s_cbranch_scc1 .LBB55_5441
; %bb.5437:
	s_cmp_gt_i32 s59, 9
	s_cbranch_scc0 .LBB55_5442
; %bb.5438:
	s_wait_loadcnt 0x0
	global_load_b64 v[12:13], v[14:15], off
	s_mov_b32 s0, 0
	s_wait_loadcnt 0x0
	v_cvt_i32_f64_e32 v12, v[12:13]
	s_branch .LBB55_5443
.LBB55_5439:
	s_mov_b32 s0, -1
                                        ; implicit-def: $vgpr12
	s_branch .LBB55_5461
.LBB55_5440:
	s_mov_b32 s0, -1
                                        ; implicit-def: $vgpr12
	s_branch .LBB55_5449
.LBB55_5441:
	s_mov_b32 s0, -1
                                        ; implicit-def: $vgpr12
	s_branch .LBB55_5446
.LBB55_5442:
	s_mov_b32 s0, -1
                                        ; implicit-def: $vgpr12
.LBB55_5443:
	s_delay_alu instid0(SALU_CYCLE_1)
	s_and_not1_b32 vcc_lo, exec_lo, s0
	s_cbranch_vccnz .LBB55_5445
; %bb.5444:
	global_load_b32 v9, v[14:15], off
	s_wait_loadcnt 0x0
	v_cvt_i32_f32_e32 v12, v9
.LBB55_5445:
	s_mov_b32 s0, 0
.LBB55_5446:
	s_delay_alu instid0(SALU_CYCLE_1)
	s_and_not1_b32 vcc_lo, exec_lo, s0
	s_cbranch_vccnz .LBB55_5448
; %bb.5447:
	global_load_b32 v9, v[14:15], off
	s_wait_loadcnt 0x0
	v_cvt_f32_f16_e32 v9, v9
	s_delay_alu instid0(VALU_DEP_1)
	v_cvt_i32_f32_e32 v12, v9
.LBB55_5448:
	s_mov_b32 s0, 0
.LBB55_5449:
	s_delay_alu instid0(SALU_CYCLE_1)
	s_and_not1_b32 vcc_lo, exec_lo, s0
	s_cbranch_vccnz .LBB55_5460
; %bb.5450:
	s_cmp_lt_i32 s59, 6
	s_cbranch_scc1 .LBB55_5453
; %bb.5451:
	s_cmp_gt_i32 s59, 6
	s_cbranch_scc0 .LBB55_5454
; %bb.5452:
	s_wait_loadcnt 0x0
	global_load_b64 v[12:13], v[14:15], off
	s_mov_b32 s0, 0
	s_wait_loadcnt 0x0
	v_cvt_i32_f64_e32 v12, v[12:13]
	s_branch .LBB55_5455
.LBB55_5453:
	s_mov_b32 s0, -1
                                        ; implicit-def: $vgpr12
	s_branch .LBB55_5458
.LBB55_5454:
	s_mov_b32 s0, -1
                                        ; implicit-def: $vgpr12
.LBB55_5455:
	s_delay_alu instid0(SALU_CYCLE_1)
	s_and_not1_b32 vcc_lo, exec_lo, s0
	s_cbranch_vccnz .LBB55_5457
; %bb.5456:
	global_load_b32 v9, v[14:15], off
	s_wait_loadcnt 0x0
	v_cvt_i32_f32_e32 v12, v9
.LBB55_5457:
	s_mov_b32 s0, 0
.LBB55_5458:
	s_delay_alu instid0(SALU_CYCLE_1)
	s_and_not1_b32 vcc_lo, exec_lo, s0
	s_cbranch_vccnz .LBB55_5460
; %bb.5459:
	global_load_u16 v9, v[14:15], off
	s_wait_loadcnt 0x0
	v_cvt_f32_f16_e32 v9, v9
	s_delay_alu instid0(VALU_DEP_1)
	v_cvt_i32_f32_e32 v12, v9
.LBB55_5460:
	s_mov_b32 s0, 0
.LBB55_5461:
	s_delay_alu instid0(SALU_CYCLE_1)
	s_and_not1_b32 vcc_lo, exec_lo, s0
	s_cbranch_vccnz .LBB55_5481
; %bb.5462:
	s_cmp_lt_i32 s59, 2
	s_cbranch_scc1 .LBB55_5466
; %bb.5463:
	s_cmp_lt_i32 s59, 3
	s_cbranch_scc1 .LBB55_5467
; %bb.5464:
	s_cmp_gt_i32 s59, 3
	s_cbranch_scc0 .LBB55_5468
; %bb.5465:
	s_wait_loadcnt 0x0
	global_load_b32 v12, v[14:15], off
	s_mov_b32 s0, 0
	s_branch .LBB55_5469
.LBB55_5466:
	s_mov_b32 s0, -1
                                        ; implicit-def: $vgpr12
	s_branch .LBB55_5475
.LBB55_5467:
	s_mov_b32 s0, -1
                                        ; implicit-def: $vgpr12
	s_branch .LBB55_5472
.LBB55_5468:
	s_mov_b32 s0, -1
                                        ; implicit-def: $vgpr12
.LBB55_5469:
	s_delay_alu instid0(SALU_CYCLE_1)
	s_and_not1_b32 vcc_lo, exec_lo, s0
	s_cbranch_vccnz .LBB55_5471
; %bb.5470:
	s_wait_loadcnt 0x0
	global_load_b32 v12, v[14:15], off
.LBB55_5471:
	s_mov_b32 s0, 0
.LBB55_5472:
	s_delay_alu instid0(SALU_CYCLE_1)
	s_and_not1_b32 vcc_lo, exec_lo, s0
	s_cbranch_vccnz .LBB55_5474
; %bb.5473:
	s_wait_loadcnt 0x0
	global_load_i16 v12, v[14:15], off
.LBB55_5474:
	s_mov_b32 s0, 0
.LBB55_5475:
	s_delay_alu instid0(SALU_CYCLE_1)
	s_and_not1_b32 vcc_lo, exec_lo, s0
	s_cbranch_vccnz .LBB55_5481
; %bb.5476:
	s_cmp_gt_i32 s59, 0
	s_mov_b32 s0, 0
	s_cbranch_scc0 .LBB55_5478
; %bb.5477:
	s_wait_loadcnt 0x0
	global_load_i8 v12, v[14:15], off
	s_branch .LBB55_5479
.LBB55_5478:
	s_mov_b32 s0, -1
                                        ; implicit-def: $vgpr12
.LBB55_5479:
	s_delay_alu instid0(SALU_CYCLE_1)
	s_and_not1_b32 vcc_lo, exec_lo, s0
	s_cbranch_vccnz .LBB55_5481
; %bb.5480:
	s_wait_loadcnt 0x0
	global_load_u8 v12, v[14:15], off
.LBB55_5481:
	s_mov_b32 s7, -1
.LBB55_5482:
	s_delay_alu instid0(SALU_CYCLE_1)
	s_and_not1_b32 vcc_lo, exec_lo, s7
	s_cbranch_vccnz .LBB55_5746
; %bb.5483:
	v_mov_b32_e32 v11, 0
	s_cmp_lt_i32 s60, 11
	s_wait_xcnt 0x0
	s_delay_alu instid0(VALU_DEP_1)
	v_add_nc_u64_e32 v[14:15], s[16:17], v[10:11]
	s_cbranch_scc1 .LBB55_5490
; %bb.5484:
	s_cmp_gt_i32 s60, 25
	s_mov_b32 s6, 0
	s_cbranch_scc0 .LBB55_5491
; %bb.5485:
	s_cmp_gt_i32 s60, 28
	s_cbranch_scc0 .LBB55_5492
; %bb.5486:
	s_cmp_gt_i32 s60, 43
	;; [unrolled: 3-line block ×3, first 2 shown]
	s_cbranch_scc0 .LBB55_5495
; %bb.5488:
	s_cmp_eq_u32 s60, 46
	s_mov_b32 s9, 0
	s_cbranch_scc0 .LBB55_5497
; %bb.5489:
	global_load_b32 v9, v[14:15], off
	s_mov_b32 s0, 0
	s_mov_b32 s7, -1
	s_wait_loadcnt 0x0
	v_lshlrev_b32_e32 v9, 16, v9
	s_delay_alu instid0(VALU_DEP_1)
	v_cvt_i32_f32_e32 v10, v9
	s_branch .LBB55_5499
.LBB55_5490:
	s_mov_b32 s0, -1
	s_mov_b32 s7, 0
                                        ; implicit-def: $vgpr10
	s_branch .LBB55_5561
.LBB55_5491:
	s_mov_b32 s9, -1
	s_mov_b32 s7, 0
	s_mov_b32 s0, 0
                                        ; implicit-def: $vgpr10
	s_branch .LBB55_5526
.LBB55_5492:
	s_mov_b32 s9, -1
	s_mov_b32 s7, 0
	s_mov_b32 s0, 0
                                        ; implicit-def: $vgpr10
	s_branch .LBB55_5509
.LBB55_5493:
	s_mov_b32 s9, -1
	s_mov_b32 s7, 0
	s_mov_b32 s0, 0
                                        ; implicit-def: $vgpr10
	s_branch .LBB55_5504
.LBB55_5494:
	s_or_b32 s25, s25, exec_lo
	s_trap 2
	s_cbranch_execz .LBB55_5431
	s_branch .LBB55_5432
.LBB55_5495:
	s_mov_b32 s9, -1
	s_mov_b32 s7, 0
	s_mov_b32 s0, 0
	s_branch .LBB55_5498
.LBB55_5496:
	s_or_b32 s65, s63, exec_lo
	s_trap 2
                                        ; implicit-def: $vgpr22
                                        ; implicit-def: $vgpr20
                                        ; implicit-def: $vgpr24
                                        ; implicit-def: $vgpr5
                                        ; implicit-def: $vgpr6
                                        ; implicit-def: $vgpr4
                                        ; implicit-def: $vgpr2
                                        ; implicit-def: $vgpr10
                                        ; implicit-def: $vgpr8
                                        ; implicit-def: $vgpr14
                                        ; implicit-def: $vgpr12
                                        ; implicit-def: $vgpr0
                                        ; implicit-def: $vgpr16
                                        ; implicit-def: $vgpr1
                                        ; implicit-def: $vgpr3
	s_branch .LBB55_5077
.LBB55_5497:
	s_mov_b32 s0, -1
	s_mov_b32 s7, 0
.LBB55_5498:
                                        ; implicit-def: $vgpr10
.LBB55_5499:
	s_and_b32 vcc_lo, exec_lo, s9
	s_cbranch_vccz .LBB55_5503
; %bb.5500:
	s_cmp_eq_u32 s60, 44
	s_cbranch_scc0 .LBB55_5502
; %bb.5501:
	global_load_u8 v9, v[14:15], off
	s_mov_b32 s0, 0
	s_mov_b32 s7, -1
	s_wait_loadcnt 0x0
	v_lshlrev_b32_e32 v10, 23, v9
	v_cmp_ne_u32_e32 vcc_lo, 0, v9
	s_delay_alu instid0(VALU_DEP_2) | instskip(NEXT) | instid1(VALU_DEP_1)
	v_cvt_i32_f32_e32 v10, v10
	v_cndmask_b32_e32 v10, 0, v10, vcc_lo
	s_branch .LBB55_5503
.LBB55_5502:
	s_mov_b32 s0, -1
                                        ; implicit-def: $vgpr10
.LBB55_5503:
	s_mov_b32 s9, 0
.LBB55_5504:
	s_delay_alu instid0(SALU_CYCLE_1)
	s_and_b32 vcc_lo, exec_lo, s9
	s_cbranch_vccz .LBB55_5508
; %bb.5505:
	s_cmp_eq_u32 s60, 29
	s_cbranch_scc0 .LBB55_5507
; %bb.5506:
	global_load_b32 v10, v[14:15], off
	s_mov_b32 s0, 0
	s_mov_b32 s7, -1
	s_branch .LBB55_5508
.LBB55_5507:
	s_mov_b32 s0, -1
                                        ; implicit-def: $vgpr10
.LBB55_5508:
	s_mov_b32 s9, 0
.LBB55_5509:
	s_delay_alu instid0(SALU_CYCLE_1)
	s_and_b32 vcc_lo, exec_lo, s9
	s_cbranch_vccz .LBB55_5525
; %bb.5510:
	s_cmp_lt_i32 s60, 27
	s_cbranch_scc1 .LBB55_5513
; %bb.5511:
	s_cmp_gt_i32 s60, 27
	s_cbranch_scc0 .LBB55_5514
; %bb.5512:
	s_wait_loadcnt 0x0
	global_load_b32 v10, v[14:15], off
	s_mov_b32 s7, 0
	s_branch .LBB55_5515
.LBB55_5513:
	s_mov_b32 s7, -1
                                        ; implicit-def: $vgpr10
	s_branch .LBB55_5518
.LBB55_5514:
	s_mov_b32 s7, -1
                                        ; implicit-def: $vgpr10
.LBB55_5515:
	s_delay_alu instid0(SALU_CYCLE_1)
	s_and_not1_b32 vcc_lo, exec_lo, s7
	s_cbranch_vccnz .LBB55_5517
; %bb.5516:
	s_wait_loadcnt 0x0
	global_load_u16 v10, v[14:15], off
.LBB55_5517:
	s_mov_b32 s7, 0
.LBB55_5518:
	s_delay_alu instid0(SALU_CYCLE_1)
	s_and_not1_b32 vcc_lo, exec_lo, s7
	s_cbranch_vccnz .LBB55_5524
; %bb.5519:
	global_load_u8 v9, v[14:15], off
	s_mov_b32 s9, 0
	s_mov_b32 s7, exec_lo
	s_wait_loadcnt 0x0
	v_cmpx_lt_i16_e32 0x7f, v9
	s_xor_b32 s7, exec_lo, s7
	s_cbranch_execz .LBB55_5536
; %bb.5520:
	v_cmp_ne_u16_e32 vcc_lo, 0x80, v9
	s_and_b32 s9, vcc_lo, exec_lo
	s_and_not1_saveexec_b32 s7, s7
	s_cbranch_execnz .LBB55_5537
.LBB55_5521:
	s_or_b32 exec_lo, exec_lo, s7
	v_mov_b32_e32 v10, 0
	s_and_saveexec_b32 s7, s9
	s_cbranch_execz .LBB55_5523
.LBB55_5522:
	v_and_b32_e32 v10, 0xffff, v9
	s_delay_alu instid0(VALU_DEP_1) | instskip(SKIP_1) | instid1(VALU_DEP_2)
	v_and_b32_e32 v11, 7, v10
	v_bfe_u32 v18, v10, 3, 4
	v_clz_i32_u32_e32 v13, v11
	s_delay_alu instid0(VALU_DEP_2) | instskip(NEXT) | instid1(VALU_DEP_2)
	v_cmp_eq_u32_e32 vcc_lo, 0, v18
	v_min_u32_e32 v13, 32, v13
	s_delay_alu instid0(VALU_DEP_1) | instskip(NEXT) | instid1(VALU_DEP_1)
	v_subrev_nc_u32_e32 v17, 28, v13
	v_dual_lshlrev_b32 v10, v17, v10 :: v_dual_sub_nc_u32 v13, 29, v13
	s_delay_alu instid0(VALU_DEP_1) | instskip(NEXT) | instid1(VALU_DEP_1)
	v_dual_lshlrev_b32 v9, 24, v9 :: v_dual_bitop2_b32 v10, 7, v10 bitop3:0x40
	v_dual_cndmask_b32 v10, v11, v10 :: v_dual_cndmask_b32 v13, v18, v13
	s_delay_alu instid0(VALU_DEP_2) | instskip(NEXT) | instid1(VALU_DEP_2)
	v_and_b32_e32 v9, 0x80000000, v9
	v_lshlrev_b32_e32 v10, 20, v10
	s_delay_alu instid0(VALU_DEP_3) | instskip(NEXT) | instid1(VALU_DEP_1)
	v_lshl_add_u32 v11, v13, 23, 0x3b800000
	v_or3_b32 v9, v9, v11, v10
	s_delay_alu instid0(VALU_DEP_1)
	v_cvt_i32_f32_e32 v10, v9
.LBB55_5523:
	s_or_b32 exec_lo, exec_lo, s7
.LBB55_5524:
	s_mov_b32 s7, -1
.LBB55_5525:
	s_mov_b32 s9, 0
.LBB55_5526:
	s_delay_alu instid0(SALU_CYCLE_1)
	s_and_b32 vcc_lo, exec_lo, s9
	s_cbranch_vccz .LBB55_5557
; %bb.5527:
	s_cmp_gt_i32 s60, 22
	s_cbranch_scc0 .LBB55_5535
; %bb.5528:
	s_cmp_lt_i32 s60, 24
	s_cbranch_scc1 .LBB55_5538
; %bb.5529:
	s_cmp_gt_i32 s60, 24
	s_cbranch_scc0 .LBB55_5539
; %bb.5530:
	global_load_u8 v9, v[14:15], off
	s_mov_b32 s7, 0
	s_mov_b32 s6, exec_lo
	s_wait_loadcnt 0x0
	v_cmpx_lt_i16_e32 0x7f, v9
	s_xor_b32 s6, exec_lo, s6
	s_cbranch_execz .LBB55_5551
; %bb.5531:
	v_cmp_ne_u16_e32 vcc_lo, 0x80, v9
	s_and_b32 s7, vcc_lo, exec_lo
	s_and_not1_saveexec_b32 s6, s6
	s_cbranch_execnz .LBB55_5552
.LBB55_5532:
	s_or_b32 exec_lo, exec_lo, s6
	v_mov_b32_e32 v10, 0
	s_and_saveexec_b32 s6, s7
	s_cbranch_execz .LBB55_5534
.LBB55_5533:
	v_and_b32_e32 v10, 0xffff, v9
	s_delay_alu instid0(VALU_DEP_1) | instskip(SKIP_1) | instid1(VALU_DEP_2)
	v_and_b32_e32 v11, 3, v10
	v_bfe_u32 v18, v10, 2, 5
	v_clz_i32_u32_e32 v13, v11
	s_delay_alu instid0(VALU_DEP_2) | instskip(NEXT) | instid1(VALU_DEP_2)
	v_cmp_eq_u32_e32 vcc_lo, 0, v18
	v_min_u32_e32 v13, 32, v13
	s_delay_alu instid0(VALU_DEP_1) | instskip(NEXT) | instid1(VALU_DEP_1)
	v_subrev_nc_u32_e32 v17, 29, v13
	v_dual_lshlrev_b32 v10, v17, v10 :: v_dual_sub_nc_u32 v13, 30, v13
	s_delay_alu instid0(VALU_DEP_1) | instskip(NEXT) | instid1(VALU_DEP_1)
	v_dual_lshlrev_b32 v9, 24, v9 :: v_dual_bitop2_b32 v10, 3, v10 bitop3:0x40
	v_dual_cndmask_b32 v10, v11, v10 :: v_dual_cndmask_b32 v13, v18, v13
	s_delay_alu instid0(VALU_DEP_2) | instskip(NEXT) | instid1(VALU_DEP_2)
	v_and_b32_e32 v9, 0x80000000, v9
	v_lshlrev_b32_e32 v10, 21, v10
	s_delay_alu instid0(VALU_DEP_3) | instskip(NEXT) | instid1(VALU_DEP_1)
	v_lshl_add_u32 v11, v13, 23, 0x37800000
	v_or3_b32 v9, v9, v11, v10
	s_delay_alu instid0(VALU_DEP_1)
	v_cvt_i32_f32_e32 v10, v9
.LBB55_5534:
	s_or_b32 exec_lo, exec_lo, s6
	s_mov_b32 s6, 0
	s_branch .LBB55_5540
.LBB55_5535:
	s_mov_b32 s6, -1
                                        ; implicit-def: $vgpr10
	s_branch .LBB55_5546
.LBB55_5536:
	s_and_not1_saveexec_b32 s7, s7
	s_cbranch_execz .LBB55_5521
.LBB55_5537:
	v_cmp_ne_u16_e32 vcc_lo, 0, v9
	s_and_not1_b32 s9, s9, exec_lo
	s_and_b32 s12, vcc_lo, exec_lo
	s_delay_alu instid0(SALU_CYCLE_1)
	s_or_b32 s9, s9, s12
	s_or_b32 exec_lo, exec_lo, s7
	v_mov_b32_e32 v10, 0
	s_and_saveexec_b32 s7, s9
	s_cbranch_execnz .LBB55_5522
	s_branch .LBB55_5523
.LBB55_5538:
	s_mov_b32 s6, -1
                                        ; implicit-def: $vgpr10
	s_branch .LBB55_5543
.LBB55_5539:
	s_mov_b32 s6, -1
                                        ; implicit-def: $vgpr10
.LBB55_5540:
	s_delay_alu instid0(SALU_CYCLE_1)
	s_and_b32 vcc_lo, exec_lo, s6
	s_cbranch_vccz .LBB55_5542
; %bb.5541:
	global_load_u8 v9, v[14:15], off
	s_wait_loadcnt 0x0
	v_lshlrev_b32_e32 v9, 24, v9
	s_delay_alu instid0(VALU_DEP_1) | instskip(NEXT) | instid1(VALU_DEP_1)
	v_and_b32_e32 v10, 0x7f000000, v9
	v_clz_i32_u32_e32 v11, v10
	v_cmp_ne_u32_e32 vcc_lo, 0, v10
	v_add_nc_u32_e32 v17, 0x1000000, v10
	s_delay_alu instid0(VALU_DEP_3) | instskip(NEXT) | instid1(VALU_DEP_1)
	v_min_u32_e32 v11, 32, v11
	v_sub_nc_u32_e64 v11, v11, 4 clamp
	s_delay_alu instid0(VALU_DEP_1) | instskip(NEXT) | instid1(VALU_DEP_1)
	v_dual_lshlrev_b32 v13, v11, v10 :: v_dual_lshlrev_b32 v11, 23, v11
	v_lshrrev_b32_e32 v13, 4, v13
	s_delay_alu instid0(VALU_DEP_1) | instskip(NEXT) | instid1(VALU_DEP_1)
	v_dual_sub_nc_u32 v11, v13, v11 :: v_dual_ashrrev_i32 v13, 8, v17
	v_add_nc_u32_e32 v11, 0x3c000000, v11
	s_delay_alu instid0(VALU_DEP_1) | instskip(NEXT) | instid1(VALU_DEP_1)
	v_and_or_b32 v11, 0x7f800000, v13, v11
	v_cndmask_b32_e32 v10, 0, v11, vcc_lo
	s_delay_alu instid0(VALU_DEP_1) | instskip(NEXT) | instid1(VALU_DEP_1)
	v_and_or_b32 v9, 0x80000000, v9, v10
	v_cvt_i32_f32_e32 v10, v9
.LBB55_5542:
	s_mov_b32 s6, 0
.LBB55_5543:
	s_delay_alu instid0(SALU_CYCLE_1)
	s_and_not1_b32 vcc_lo, exec_lo, s6
	s_cbranch_vccnz .LBB55_5545
; %bb.5544:
	global_load_u8 v9, v[14:15], off
	s_wait_loadcnt 0x0
	v_lshlrev_b32_e32 v10, 25, v9
	v_lshlrev_b16 v9, 8, v9
	s_delay_alu instid0(VALU_DEP_1) | instskip(NEXT) | instid1(VALU_DEP_3)
	v_and_or_b32 v13, 0x7f00, v9, 0.5
	v_lshrrev_b32_e32 v11, 4, v10
	v_bfe_i32 v9, v9, 0, 16
	s_delay_alu instid0(VALU_DEP_3) | instskip(NEXT) | instid1(VALU_DEP_3)
	v_add_f32_e32 v13, -0.5, v13
	v_or_b32_e32 v11, 0x70000000, v11
	s_delay_alu instid0(VALU_DEP_1) | instskip(SKIP_1) | instid1(VALU_DEP_2)
	v_mul_f32_e32 v11, 0x7800000, v11
	v_cmp_gt_u32_e32 vcc_lo, 0x8000000, v10
	v_cndmask_b32_e32 v10, v11, v13, vcc_lo
	s_delay_alu instid0(VALU_DEP_1) | instskip(NEXT) | instid1(VALU_DEP_1)
	v_and_or_b32 v9, 0x80000000, v9, v10
	v_cvt_i32_f32_e32 v10, v9
.LBB55_5545:
	s_mov_b32 s6, 0
	s_mov_b32 s7, -1
.LBB55_5546:
	s_and_not1_b32 vcc_lo, exec_lo, s6
	s_mov_b32 s6, 0
	s_cbranch_vccnz .LBB55_5557
; %bb.5547:
	s_cmp_gt_i32 s60, 14
	s_cbranch_scc0 .LBB55_5550
; %bb.5548:
	s_cmp_eq_u32 s60, 15
	s_cbranch_scc0 .LBB55_5553
; %bb.5549:
	global_load_u16 v9, v[14:15], off
	s_mov_b32 s0, 0
	s_mov_b32 s7, -1
	s_wait_loadcnt 0x0
	v_lshlrev_b32_e32 v9, 16, v9
	s_delay_alu instid0(VALU_DEP_1)
	v_cvt_i32_f32_e32 v10, v9
	s_branch .LBB55_5555
.LBB55_5550:
	s_mov_b32 s6, -1
	s_branch .LBB55_5554
.LBB55_5551:
	s_and_not1_saveexec_b32 s6, s6
	s_cbranch_execz .LBB55_5532
.LBB55_5552:
	v_cmp_ne_u16_e32 vcc_lo, 0, v9
	s_and_not1_b32 s7, s7, exec_lo
	s_and_b32 s9, vcc_lo, exec_lo
	s_delay_alu instid0(SALU_CYCLE_1)
	s_or_b32 s7, s7, s9
	s_or_b32 exec_lo, exec_lo, s6
	v_mov_b32_e32 v10, 0
	s_and_saveexec_b32 s6, s7
	s_cbranch_execnz .LBB55_5533
	s_branch .LBB55_5534
.LBB55_5553:
	s_mov_b32 s0, -1
.LBB55_5554:
                                        ; implicit-def: $vgpr10
.LBB55_5555:
	s_and_b32 vcc_lo, exec_lo, s6
	s_mov_b32 s6, 0
	s_cbranch_vccz .LBB55_5557
; %bb.5556:
	s_cmp_lg_u32 s60, 11
	s_mov_b32 s6, -1
	s_cselect_b32 s0, -1, 0
.LBB55_5557:
	s_delay_alu instid0(SALU_CYCLE_1)
	s_and_b32 vcc_lo, exec_lo, s0
	s_cbranch_vccnz .LBB55_5622
; %bb.5558:
	s_and_not1_b32 vcc_lo, exec_lo, s6
	s_cbranch_vccnz .LBB55_5560
.LBB55_5559:
	global_load_u8 v9, v[14:15], off
	s_mov_b32 s7, -1
	s_wait_loadcnt 0x0
	v_cmp_ne_u16_e32 vcc_lo, 0, v9
	v_cndmask_b32_e64 v10, 0, 1, vcc_lo
.LBB55_5560:
	s_mov_b32 s0, 0
.LBB55_5561:
	s_delay_alu instid0(SALU_CYCLE_1)
	s_and_b32 vcc_lo, exec_lo, s0
	s_cbranch_vccz .LBB55_5610
; %bb.5562:
	s_cmp_lt_i32 s60, 5
	s_cbranch_scc1 .LBB55_5567
; %bb.5563:
	s_cmp_lt_i32 s60, 8
	s_cbranch_scc1 .LBB55_5568
	;; [unrolled: 3-line block ×3, first 2 shown]
; %bb.5565:
	s_cmp_gt_i32 s60, 9
	s_cbranch_scc0 .LBB55_5570
; %bb.5566:
	s_wait_loadcnt 0x0
	global_load_b64 v[10:11], v[14:15], off
	s_mov_b32 s0, 0
	s_wait_loadcnt 0x0
	v_cvt_i32_f64_e32 v10, v[10:11]
	s_branch .LBB55_5571
.LBB55_5567:
	s_mov_b32 s0, -1
                                        ; implicit-def: $vgpr10
	s_branch .LBB55_5589
.LBB55_5568:
	s_mov_b32 s0, -1
                                        ; implicit-def: $vgpr10
	s_branch .LBB55_5577
.LBB55_5569:
	s_mov_b32 s0, -1
                                        ; implicit-def: $vgpr10
	s_branch .LBB55_5574
.LBB55_5570:
	s_mov_b32 s0, -1
                                        ; implicit-def: $vgpr10
.LBB55_5571:
	s_delay_alu instid0(SALU_CYCLE_1)
	s_and_not1_b32 vcc_lo, exec_lo, s0
	s_cbranch_vccnz .LBB55_5573
; %bb.5572:
	global_load_b32 v9, v[14:15], off
	s_wait_loadcnt 0x0
	v_cvt_i32_f32_e32 v10, v9
.LBB55_5573:
	s_mov_b32 s0, 0
.LBB55_5574:
	s_delay_alu instid0(SALU_CYCLE_1)
	s_and_not1_b32 vcc_lo, exec_lo, s0
	s_cbranch_vccnz .LBB55_5576
; %bb.5575:
	global_load_b32 v9, v[14:15], off
	s_wait_loadcnt 0x0
	v_cvt_f32_f16_e32 v9, v9
	s_delay_alu instid0(VALU_DEP_1)
	v_cvt_i32_f32_e32 v10, v9
.LBB55_5576:
	s_mov_b32 s0, 0
.LBB55_5577:
	s_delay_alu instid0(SALU_CYCLE_1)
	s_and_not1_b32 vcc_lo, exec_lo, s0
	s_cbranch_vccnz .LBB55_5588
; %bb.5578:
	s_cmp_lt_i32 s60, 6
	s_cbranch_scc1 .LBB55_5581
; %bb.5579:
	s_cmp_gt_i32 s60, 6
	s_cbranch_scc0 .LBB55_5582
; %bb.5580:
	s_wait_loadcnt 0x0
	global_load_b64 v[10:11], v[14:15], off
	s_mov_b32 s0, 0
	s_wait_loadcnt 0x0
	v_cvt_i32_f64_e32 v10, v[10:11]
	s_branch .LBB55_5583
.LBB55_5581:
	s_mov_b32 s0, -1
                                        ; implicit-def: $vgpr10
	s_branch .LBB55_5586
.LBB55_5582:
	s_mov_b32 s0, -1
                                        ; implicit-def: $vgpr10
.LBB55_5583:
	s_delay_alu instid0(SALU_CYCLE_1)
	s_and_not1_b32 vcc_lo, exec_lo, s0
	s_cbranch_vccnz .LBB55_5585
; %bb.5584:
	global_load_b32 v9, v[14:15], off
	s_wait_loadcnt 0x0
	v_cvt_i32_f32_e32 v10, v9
.LBB55_5585:
	s_mov_b32 s0, 0
.LBB55_5586:
	s_delay_alu instid0(SALU_CYCLE_1)
	s_and_not1_b32 vcc_lo, exec_lo, s0
	s_cbranch_vccnz .LBB55_5588
; %bb.5587:
	global_load_u16 v9, v[14:15], off
	s_wait_loadcnt 0x0
	v_cvt_f32_f16_e32 v9, v9
	s_delay_alu instid0(VALU_DEP_1)
	v_cvt_i32_f32_e32 v10, v9
.LBB55_5588:
	s_mov_b32 s0, 0
.LBB55_5589:
	s_delay_alu instid0(SALU_CYCLE_1)
	s_and_not1_b32 vcc_lo, exec_lo, s0
	s_cbranch_vccnz .LBB55_5609
; %bb.5590:
	s_cmp_lt_i32 s60, 2
	s_cbranch_scc1 .LBB55_5594
; %bb.5591:
	s_cmp_lt_i32 s60, 3
	s_cbranch_scc1 .LBB55_5595
; %bb.5592:
	s_cmp_gt_i32 s60, 3
	s_cbranch_scc0 .LBB55_5596
; %bb.5593:
	s_wait_loadcnt 0x0
	global_load_b32 v10, v[14:15], off
	s_mov_b32 s0, 0
	s_branch .LBB55_5597
.LBB55_5594:
	s_mov_b32 s0, -1
                                        ; implicit-def: $vgpr10
	s_branch .LBB55_5603
.LBB55_5595:
	s_mov_b32 s0, -1
                                        ; implicit-def: $vgpr10
	s_branch .LBB55_5600
.LBB55_5596:
	s_mov_b32 s0, -1
                                        ; implicit-def: $vgpr10
.LBB55_5597:
	s_delay_alu instid0(SALU_CYCLE_1)
	s_and_not1_b32 vcc_lo, exec_lo, s0
	s_cbranch_vccnz .LBB55_5599
; %bb.5598:
	s_wait_loadcnt 0x0
	global_load_b32 v10, v[14:15], off
.LBB55_5599:
	s_mov_b32 s0, 0
.LBB55_5600:
	s_delay_alu instid0(SALU_CYCLE_1)
	s_and_not1_b32 vcc_lo, exec_lo, s0
	s_cbranch_vccnz .LBB55_5602
; %bb.5601:
	s_wait_loadcnt 0x0
	global_load_i16 v10, v[14:15], off
.LBB55_5602:
	s_mov_b32 s0, 0
.LBB55_5603:
	s_delay_alu instid0(SALU_CYCLE_1)
	s_and_not1_b32 vcc_lo, exec_lo, s0
	s_cbranch_vccnz .LBB55_5609
; %bb.5604:
	s_cmp_gt_i32 s60, 0
	s_mov_b32 s0, 0
	s_cbranch_scc0 .LBB55_5606
; %bb.5605:
	s_wait_loadcnt 0x0
	global_load_i8 v10, v[14:15], off
	s_branch .LBB55_5607
.LBB55_5606:
	s_mov_b32 s0, -1
                                        ; implicit-def: $vgpr10
.LBB55_5607:
	s_delay_alu instid0(SALU_CYCLE_1)
	s_and_not1_b32 vcc_lo, exec_lo, s0
	s_cbranch_vccnz .LBB55_5609
; %bb.5608:
	s_wait_loadcnt 0x0
	global_load_u8 v10, v[14:15], off
.LBB55_5609:
	s_mov_b32 s7, -1
.LBB55_5610:
	s_delay_alu instid0(SALU_CYCLE_1)
	s_and_not1_b32 vcc_lo, exec_lo, s7
	s_cbranch_vccnz .LBB55_5746
; %bb.5611:
	v_mov_b32_e32 v9, 0
	s_cmp_lt_i32 s61, 11
	s_delay_alu instid0(VALU_DEP_1)
	v_add_nc_u64_e32 v[8:9], s[18:19], v[8:9]
	s_cbranch_scc1 .LBB55_5618
; %bb.5612:
	s_cmp_gt_i32 s61, 25
	s_mov_b32 s6, 0
	s_cbranch_scc0 .LBB55_5619
; %bb.5613:
	s_cmp_gt_i32 s61, 28
	s_cbranch_scc0 .LBB55_5620
; %bb.5614:
	s_cmp_gt_i32 s61, 43
	;; [unrolled: 3-line block ×3, first 2 shown]
	s_cbranch_scc0 .LBB55_5623
; %bb.5616:
	s_cmp_eq_u32 s61, 46
	s_mov_b32 s9, 0
	s_cbranch_scc0 .LBB55_5624
; %bb.5617:
	global_load_b32 v11, v[8:9], off
	s_mov_b32 s0, 0
	s_mov_b32 s7, -1
	s_wait_loadcnt 0x0
	v_lshlrev_b32_e32 v11, 16, v11
	s_wait_xcnt 0x1
	s_delay_alu instid0(VALU_DEP_1)
	v_cvt_i32_f32_e32 v14, v11
	s_branch .LBB55_5626
.LBB55_5618:
	s_mov_b32 s0, -1
	s_mov_b32 s7, 0
                                        ; implicit-def: $vgpr14
	s_branch .LBB55_5688
.LBB55_5619:
	s_mov_b32 s9, -1
	s_mov_b32 s7, 0
	s_mov_b32 s0, 0
                                        ; implicit-def: $vgpr14
	s_branch .LBB55_5653
.LBB55_5620:
	s_mov_b32 s9, -1
	s_mov_b32 s7, 0
	s_mov_b32 s0, 0
                                        ; implicit-def: $vgpr14
	s_branch .LBB55_5636
.LBB55_5621:
	s_mov_b32 s9, -1
	s_mov_b32 s7, 0
	s_mov_b32 s0, 0
                                        ; implicit-def: $vgpr14
	s_branch .LBB55_5631
.LBB55_5622:
	s_or_b32 s25, s25, exec_lo
	s_trap 2
	s_cbranch_execz .LBB55_5559
	s_branch .LBB55_5560
.LBB55_5623:
	s_mov_b32 s9, -1
	s_mov_b32 s7, 0
	s_mov_b32 s0, 0
	s_branch .LBB55_5625
.LBB55_5624:
	s_mov_b32 s0, -1
	s_mov_b32 s7, 0
.LBB55_5625:
                                        ; implicit-def: $vgpr14
.LBB55_5626:
	s_and_b32 vcc_lo, exec_lo, s9
	s_cbranch_vccz .LBB55_5630
; %bb.5627:
	s_cmp_eq_u32 s61, 44
	s_cbranch_scc0 .LBB55_5629
; %bb.5628:
	global_load_u8 v11, v[8:9], off
	s_mov_b32 s0, 0
	s_mov_b32 s7, -1
	s_wait_loadcnt 0x0
	v_lshlrev_b32_e32 v13, 23, v11
	v_cmp_ne_u32_e32 vcc_lo, 0, v11
	s_delay_alu instid0(VALU_DEP_2) | instskip(SKIP_1) | instid1(VALU_DEP_1)
	v_cvt_i32_f32_e32 v13, v13
	s_wait_xcnt 0x1
	v_cndmask_b32_e32 v14, 0, v13, vcc_lo
	s_branch .LBB55_5630
.LBB55_5629:
	s_mov_b32 s0, -1
                                        ; implicit-def: $vgpr14
.LBB55_5630:
	s_mov_b32 s9, 0
.LBB55_5631:
	s_delay_alu instid0(SALU_CYCLE_1)
	s_and_b32 vcc_lo, exec_lo, s9
	s_cbranch_vccz .LBB55_5635
; %bb.5632:
	s_cmp_eq_u32 s61, 29
	s_cbranch_scc0 .LBB55_5634
; %bb.5633:
	global_load_b32 v14, v[8:9], off
	s_mov_b32 s0, 0
	s_mov_b32 s7, -1
	s_branch .LBB55_5635
.LBB55_5634:
	s_mov_b32 s0, -1
                                        ; implicit-def: $vgpr14
.LBB55_5635:
	s_mov_b32 s9, 0
.LBB55_5636:
	s_delay_alu instid0(SALU_CYCLE_1)
	s_and_b32 vcc_lo, exec_lo, s9
	s_cbranch_vccz .LBB55_5652
; %bb.5637:
	s_cmp_lt_i32 s61, 27
	s_cbranch_scc1 .LBB55_5640
; %bb.5638:
	s_cmp_gt_i32 s61, 27
	s_cbranch_scc0 .LBB55_5641
; %bb.5639:
	s_wait_loadcnt 0x0
	global_load_b32 v14, v[8:9], off
	s_mov_b32 s7, 0
	s_branch .LBB55_5642
.LBB55_5640:
	s_mov_b32 s7, -1
                                        ; implicit-def: $vgpr14
	s_branch .LBB55_5645
.LBB55_5641:
	s_mov_b32 s7, -1
                                        ; implicit-def: $vgpr14
.LBB55_5642:
	s_delay_alu instid0(SALU_CYCLE_1)
	s_and_not1_b32 vcc_lo, exec_lo, s7
	s_cbranch_vccnz .LBB55_5644
; %bb.5643:
	s_wait_loadcnt 0x0
	global_load_u16 v14, v[8:9], off
.LBB55_5644:
	s_mov_b32 s7, 0
.LBB55_5645:
	s_delay_alu instid0(SALU_CYCLE_1)
	s_and_not1_b32 vcc_lo, exec_lo, s7
	s_cbranch_vccnz .LBB55_5651
; %bb.5646:
	global_load_u8 v11, v[8:9], off
	s_mov_b32 s9, 0
	s_mov_b32 s7, exec_lo
	s_wait_loadcnt 0x0
	v_cmpx_lt_i16_e32 0x7f, v11
	s_xor_b32 s7, exec_lo, s7
	s_cbranch_execz .LBB55_5663
; %bb.5647:
	v_cmp_ne_u16_e32 vcc_lo, 0x80, v11
	s_and_b32 s9, vcc_lo, exec_lo
	s_and_not1_saveexec_b32 s7, s7
	s_cbranch_execnz .LBB55_5664
.LBB55_5648:
	s_or_b32 exec_lo, exec_lo, s7
	v_mov_b32_e32 v14, 0
	s_and_saveexec_b32 s7, s9
	s_cbranch_execz .LBB55_5650
.LBB55_5649:
	v_and_b32_e32 v13, 0xffff, v11
	s_delay_alu instid0(VALU_DEP_1) | instskip(SKIP_1) | instid1(VALU_DEP_2)
	v_and_b32_e32 v14, 7, v13
	v_bfe_u32 v18, v13, 3, 4
	v_clz_i32_u32_e32 v15, v14
	s_delay_alu instid0(VALU_DEP_2) | instskip(NEXT) | instid1(VALU_DEP_2)
	v_cmp_eq_u32_e32 vcc_lo, 0, v18
	v_min_u32_e32 v15, 32, v15
	s_delay_alu instid0(VALU_DEP_1) | instskip(NEXT) | instid1(VALU_DEP_1)
	v_subrev_nc_u32_e32 v17, 28, v15
	v_dual_lshlrev_b32 v13, v17, v13 :: v_dual_sub_nc_u32 v15, 29, v15
	s_delay_alu instid0(VALU_DEP_1) | instskip(NEXT) | instid1(VALU_DEP_1)
	v_dual_lshlrev_b32 v11, 24, v11 :: v_dual_bitop2_b32 v13, 7, v13 bitop3:0x40
	v_cndmask_b32_e32 v13, v14, v13, vcc_lo
	s_delay_alu instid0(VALU_DEP_3) | instskip(NEXT) | instid1(VALU_DEP_3)
	v_cndmask_b32_e32 v15, v18, v15, vcc_lo
	v_and_b32_e32 v11, 0x80000000, v11
	s_delay_alu instid0(VALU_DEP_3) | instskip(NEXT) | instid1(VALU_DEP_3)
	v_lshlrev_b32_e32 v13, 20, v13
	v_lshl_add_u32 v14, v15, 23, 0x3b800000
	s_delay_alu instid0(VALU_DEP_1) | instskip(NEXT) | instid1(VALU_DEP_1)
	v_or3_b32 v11, v11, v14, v13
	v_cvt_i32_f32_e32 v14, v11
.LBB55_5650:
	s_or_b32 exec_lo, exec_lo, s7
.LBB55_5651:
	s_mov_b32 s7, -1
.LBB55_5652:
	s_mov_b32 s9, 0
.LBB55_5653:
	s_delay_alu instid0(SALU_CYCLE_1)
	s_and_b32 vcc_lo, exec_lo, s9
	s_cbranch_vccz .LBB55_5684
; %bb.5654:
	s_cmp_gt_i32 s61, 22
	s_cbranch_scc0 .LBB55_5662
; %bb.5655:
	s_cmp_lt_i32 s61, 24
	s_cbranch_scc1 .LBB55_5665
; %bb.5656:
	s_cmp_gt_i32 s61, 24
	s_cbranch_scc0 .LBB55_5666
; %bb.5657:
	global_load_u8 v11, v[8:9], off
	s_mov_b32 s7, 0
	s_mov_b32 s6, exec_lo
	s_wait_loadcnt 0x0
	v_cmpx_lt_i16_e32 0x7f, v11
	s_xor_b32 s6, exec_lo, s6
	s_cbranch_execz .LBB55_5678
; %bb.5658:
	v_cmp_ne_u16_e32 vcc_lo, 0x80, v11
	s_and_b32 s7, vcc_lo, exec_lo
	s_and_not1_saveexec_b32 s6, s6
	s_cbranch_execnz .LBB55_5679
.LBB55_5659:
	s_or_b32 exec_lo, exec_lo, s6
	v_mov_b32_e32 v14, 0
	s_and_saveexec_b32 s6, s7
	s_cbranch_execz .LBB55_5661
.LBB55_5660:
	v_and_b32_e32 v13, 0xffff, v11
	s_delay_alu instid0(VALU_DEP_1) | instskip(SKIP_1) | instid1(VALU_DEP_2)
	v_and_b32_e32 v14, 3, v13
	v_bfe_u32 v18, v13, 2, 5
	v_clz_i32_u32_e32 v15, v14
	s_delay_alu instid0(VALU_DEP_2) | instskip(NEXT) | instid1(VALU_DEP_2)
	v_cmp_eq_u32_e32 vcc_lo, 0, v18
	v_min_u32_e32 v15, 32, v15
	s_delay_alu instid0(VALU_DEP_1) | instskip(NEXT) | instid1(VALU_DEP_1)
	v_subrev_nc_u32_e32 v17, 29, v15
	v_dual_lshlrev_b32 v13, v17, v13 :: v_dual_sub_nc_u32 v15, 30, v15
	s_delay_alu instid0(VALU_DEP_1) | instskip(NEXT) | instid1(VALU_DEP_1)
	v_dual_lshlrev_b32 v11, 24, v11 :: v_dual_bitop2_b32 v13, 3, v13 bitop3:0x40
	v_cndmask_b32_e32 v13, v14, v13, vcc_lo
	s_delay_alu instid0(VALU_DEP_3) | instskip(NEXT) | instid1(VALU_DEP_3)
	v_cndmask_b32_e32 v15, v18, v15, vcc_lo
	v_and_b32_e32 v11, 0x80000000, v11
	s_delay_alu instid0(VALU_DEP_3) | instskip(NEXT) | instid1(VALU_DEP_3)
	v_lshlrev_b32_e32 v13, 21, v13
	v_lshl_add_u32 v14, v15, 23, 0x37800000
	s_delay_alu instid0(VALU_DEP_1) | instskip(NEXT) | instid1(VALU_DEP_1)
	v_or3_b32 v11, v11, v14, v13
	v_cvt_i32_f32_e32 v14, v11
.LBB55_5661:
	s_or_b32 exec_lo, exec_lo, s6
	s_mov_b32 s6, 0
	s_branch .LBB55_5667
.LBB55_5662:
	s_mov_b32 s6, -1
                                        ; implicit-def: $vgpr14
	s_branch .LBB55_5673
.LBB55_5663:
	s_and_not1_saveexec_b32 s7, s7
	s_cbranch_execz .LBB55_5648
.LBB55_5664:
	v_cmp_ne_u16_e32 vcc_lo, 0, v11
	s_and_not1_b32 s9, s9, exec_lo
	s_and_b32 s12, vcc_lo, exec_lo
	s_delay_alu instid0(SALU_CYCLE_1)
	s_or_b32 s9, s9, s12
	s_or_b32 exec_lo, exec_lo, s7
	v_mov_b32_e32 v14, 0
	s_and_saveexec_b32 s7, s9
	s_cbranch_execnz .LBB55_5649
	s_branch .LBB55_5650
.LBB55_5665:
	s_mov_b32 s6, -1
                                        ; implicit-def: $vgpr14
	s_branch .LBB55_5670
.LBB55_5666:
	s_mov_b32 s6, -1
                                        ; implicit-def: $vgpr14
.LBB55_5667:
	s_delay_alu instid0(SALU_CYCLE_1)
	s_and_b32 vcc_lo, exec_lo, s6
	s_cbranch_vccz .LBB55_5669
; %bb.5668:
	global_load_u8 v11, v[8:9], off
	s_wait_loadcnt 0x0
	v_lshlrev_b32_e32 v11, 24, v11
	s_delay_alu instid0(VALU_DEP_1) | instskip(SKIP_1) | instid1(VALU_DEP_1)
	v_and_b32_e32 v13, 0x7f000000, v11
	s_wait_xcnt 0x1
	v_clz_i32_u32_e32 v14, v13
	v_add_nc_u32_e32 v17, 0x1000000, v13
	v_cmp_ne_u32_e32 vcc_lo, 0, v13
	s_delay_alu instid0(VALU_DEP_3) | instskip(NEXT) | instid1(VALU_DEP_1)
	v_min_u32_e32 v14, 32, v14
	v_sub_nc_u32_e64 v14, v14, 4 clamp
	s_delay_alu instid0(VALU_DEP_1) | instskip(NEXT) | instid1(VALU_DEP_1)
	v_dual_lshlrev_b32 v15, v14, v13 :: v_dual_lshlrev_b32 v14, 23, v14
	v_lshrrev_b32_e32 v15, 4, v15
	s_delay_alu instid0(VALU_DEP_1) | instskip(NEXT) | instid1(VALU_DEP_1)
	v_dual_sub_nc_u32 v14, v15, v14 :: v_dual_ashrrev_i32 v15, 8, v17
	v_add_nc_u32_e32 v14, 0x3c000000, v14
	s_delay_alu instid0(VALU_DEP_1) | instskip(NEXT) | instid1(VALU_DEP_1)
	v_and_or_b32 v14, 0x7f800000, v15, v14
	v_cndmask_b32_e32 v13, 0, v14, vcc_lo
	s_delay_alu instid0(VALU_DEP_1) | instskip(NEXT) | instid1(VALU_DEP_1)
	v_and_or_b32 v11, 0x80000000, v11, v13
	v_cvt_i32_f32_e32 v14, v11
.LBB55_5669:
	s_mov_b32 s6, 0
.LBB55_5670:
	s_delay_alu instid0(SALU_CYCLE_1)
	s_and_not1_b32 vcc_lo, exec_lo, s6
	s_cbranch_vccnz .LBB55_5672
; %bb.5671:
	global_load_u8 v11, v[8:9], off
	s_wait_loadcnt 0x0
	v_lshlrev_b32_e32 v13, 25, v11
	v_lshlrev_b16 v11, 8, v11
	s_wait_xcnt 0x1
	s_delay_alu instid0(VALU_DEP_1) | instskip(NEXT) | instid1(VALU_DEP_3)
	v_and_or_b32 v15, 0x7f00, v11, 0.5
	v_lshrrev_b32_e32 v14, 4, v13
	v_bfe_i32 v11, v11, 0, 16
	s_delay_alu instid0(VALU_DEP_3) | instskip(NEXT) | instid1(VALU_DEP_3)
	v_add_f32_e32 v15, -0.5, v15
	v_or_b32_e32 v14, 0x70000000, v14
	s_delay_alu instid0(VALU_DEP_1) | instskip(SKIP_1) | instid1(VALU_DEP_2)
	v_mul_f32_e32 v14, 0x7800000, v14
	v_cmp_gt_u32_e32 vcc_lo, 0x8000000, v13
	v_cndmask_b32_e32 v13, v14, v15, vcc_lo
	s_delay_alu instid0(VALU_DEP_1) | instskip(NEXT) | instid1(VALU_DEP_1)
	v_and_or_b32 v11, 0x80000000, v11, v13
	v_cvt_i32_f32_e32 v14, v11
.LBB55_5672:
	s_mov_b32 s6, 0
	s_mov_b32 s7, -1
.LBB55_5673:
	s_and_not1_b32 vcc_lo, exec_lo, s6
	s_mov_b32 s6, 0
	s_cbranch_vccnz .LBB55_5684
; %bb.5674:
	s_cmp_gt_i32 s61, 14
	s_cbranch_scc0 .LBB55_5677
; %bb.5675:
	s_cmp_eq_u32 s61, 15
	s_cbranch_scc0 .LBB55_5680
; %bb.5676:
	global_load_u16 v11, v[8:9], off
	s_mov_b32 s0, 0
	s_mov_b32 s7, -1
	s_wait_loadcnt 0x0
	v_lshlrev_b32_e32 v11, 16, v11
	s_wait_xcnt 0x1
	s_delay_alu instid0(VALU_DEP_1)
	v_cvt_i32_f32_e32 v14, v11
	s_branch .LBB55_5682
.LBB55_5677:
	s_mov_b32 s6, -1
	s_branch .LBB55_5681
.LBB55_5678:
	s_and_not1_saveexec_b32 s6, s6
	s_cbranch_execz .LBB55_5659
.LBB55_5679:
	v_cmp_ne_u16_e32 vcc_lo, 0, v11
	s_and_not1_b32 s7, s7, exec_lo
	s_and_b32 s9, vcc_lo, exec_lo
	s_delay_alu instid0(SALU_CYCLE_1)
	s_or_b32 s7, s7, s9
	s_or_b32 exec_lo, exec_lo, s6
	v_mov_b32_e32 v14, 0
	s_and_saveexec_b32 s6, s7
	s_cbranch_execnz .LBB55_5660
	s_branch .LBB55_5661
.LBB55_5680:
	s_mov_b32 s0, -1
.LBB55_5681:
                                        ; implicit-def: $vgpr14
.LBB55_5682:
	s_and_b32 vcc_lo, exec_lo, s6
	s_mov_b32 s6, 0
	s_cbranch_vccz .LBB55_5684
; %bb.5683:
	s_cmp_lg_u32 s61, 11
	s_mov_b32 s6, -1
	s_cselect_b32 s0, -1, 0
.LBB55_5684:
	s_delay_alu instid0(SALU_CYCLE_1)
	s_and_b32 vcc_lo, exec_lo, s0
	s_cbranch_vccnz .LBB55_5813
; %bb.5685:
	s_and_not1_b32 vcc_lo, exec_lo, s6
	s_cbranch_vccnz .LBB55_5687
.LBB55_5686:
	global_load_u8 v11, v[8:9], off
	s_mov_b32 s7, -1
	s_wait_loadcnt 0x0
	v_cmp_ne_u16_e32 vcc_lo, 0, v11
	s_wait_xcnt 0x1
	v_cndmask_b32_e64 v14, 0, 1, vcc_lo
.LBB55_5687:
	s_mov_b32 s0, 0
.LBB55_5688:
	s_delay_alu instid0(SALU_CYCLE_1)
	s_and_b32 vcc_lo, exec_lo, s0
	s_cbranch_vccz .LBB55_5737
; %bb.5689:
	s_cmp_lt_i32 s61, 5
	s_cbranch_scc1 .LBB55_5694
; %bb.5690:
	s_cmp_lt_i32 s61, 8
	s_cbranch_scc1 .LBB55_5695
	;; [unrolled: 3-line block ×3, first 2 shown]
; %bb.5692:
	s_cmp_gt_i32 s61, 9
	s_cbranch_scc0 .LBB55_5697
; %bb.5693:
	s_wait_loadcnt 0x0
	global_load_b64 v[14:15], v[8:9], off
	s_mov_b32 s0, 0
	s_wait_loadcnt 0x0
	v_cvt_i32_f64_e32 v14, v[14:15]
	s_branch .LBB55_5698
.LBB55_5694:
	s_mov_b32 s0, -1
                                        ; implicit-def: $vgpr14
	s_branch .LBB55_5716
.LBB55_5695:
	s_mov_b32 s0, -1
                                        ; implicit-def: $vgpr14
	s_branch .LBB55_5704
.LBB55_5696:
	s_mov_b32 s0, -1
                                        ; implicit-def: $vgpr14
	s_branch .LBB55_5701
.LBB55_5697:
	s_mov_b32 s0, -1
                                        ; implicit-def: $vgpr14
.LBB55_5698:
	s_delay_alu instid0(SALU_CYCLE_1)
	s_and_not1_b32 vcc_lo, exec_lo, s0
	s_cbranch_vccnz .LBB55_5700
; %bb.5699:
	global_load_b32 v11, v[8:9], off
	s_wait_loadcnt 0x0
	s_wait_xcnt 0x1
	v_cvt_i32_f32_e32 v14, v11
.LBB55_5700:
	s_mov_b32 s0, 0
.LBB55_5701:
	s_delay_alu instid0(SALU_CYCLE_1)
	s_and_not1_b32 vcc_lo, exec_lo, s0
	s_cbranch_vccnz .LBB55_5703
; %bb.5702:
	global_load_b32 v11, v[8:9], off
	s_wait_loadcnt 0x0
	v_cvt_f32_f16_e32 v11, v11
	s_wait_xcnt 0x1
	s_delay_alu instid0(VALU_DEP_1)
	v_cvt_i32_f32_e32 v14, v11
.LBB55_5703:
	s_mov_b32 s0, 0
.LBB55_5704:
	s_delay_alu instid0(SALU_CYCLE_1)
	s_and_not1_b32 vcc_lo, exec_lo, s0
	s_cbranch_vccnz .LBB55_5715
; %bb.5705:
	s_cmp_lt_i32 s61, 6
	s_cbranch_scc1 .LBB55_5708
; %bb.5706:
	s_cmp_gt_i32 s61, 6
	s_cbranch_scc0 .LBB55_5709
; %bb.5707:
	s_wait_loadcnt 0x0
	global_load_b64 v[14:15], v[8:9], off
	s_mov_b32 s0, 0
	s_wait_loadcnt 0x0
	v_cvt_i32_f64_e32 v14, v[14:15]
	s_branch .LBB55_5710
.LBB55_5708:
	s_mov_b32 s0, -1
                                        ; implicit-def: $vgpr14
	s_branch .LBB55_5713
.LBB55_5709:
	s_mov_b32 s0, -1
                                        ; implicit-def: $vgpr14
.LBB55_5710:
	s_delay_alu instid0(SALU_CYCLE_1)
	s_and_not1_b32 vcc_lo, exec_lo, s0
	s_cbranch_vccnz .LBB55_5712
; %bb.5711:
	global_load_b32 v11, v[8:9], off
	s_wait_loadcnt 0x0
	s_wait_xcnt 0x1
	v_cvt_i32_f32_e32 v14, v11
.LBB55_5712:
	s_mov_b32 s0, 0
.LBB55_5713:
	s_delay_alu instid0(SALU_CYCLE_1)
	s_and_not1_b32 vcc_lo, exec_lo, s0
	s_cbranch_vccnz .LBB55_5715
; %bb.5714:
	global_load_u16 v11, v[8:9], off
	s_wait_loadcnt 0x0
	v_cvt_f32_f16_e32 v11, v11
	s_wait_xcnt 0x1
	s_delay_alu instid0(VALU_DEP_1)
	v_cvt_i32_f32_e32 v14, v11
.LBB55_5715:
	s_mov_b32 s0, 0
.LBB55_5716:
	s_delay_alu instid0(SALU_CYCLE_1)
	s_and_not1_b32 vcc_lo, exec_lo, s0
	s_cbranch_vccnz .LBB55_5736
; %bb.5717:
	s_cmp_lt_i32 s61, 2
	s_cbranch_scc1 .LBB55_5721
; %bb.5718:
	s_cmp_lt_i32 s61, 3
	s_cbranch_scc1 .LBB55_5722
; %bb.5719:
	s_cmp_gt_i32 s61, 3
	s_cbranch_scc0 .LBB55_5723
; %bb.5720:
	s_wait_loadcnt 0x0
	global_load_b32 v14, v[8:9], off
	s_mov_b32 s0, 0
	s_branch .LBB55_5724
.LBB55_5721:
	s_mov_b32 s0, -1
                                        ; implicit-def: $vgpr14
	s_branch .LBB55_5730
.LBB55_5722:
	s_mov_b32 s0, -1
                                        ; implicit-def: $vgpr14
	s_branch .LBB55_5727
.LBB55_5723:
	s_mov_b32 s0, -1
                                        ; implicit-def: $vgpr14
.LBB55_5724:
	s_delay_alu instid0(SALU_CYCLE_1)
	s_and_not1_b32 vcc_lo, exec_lo, s0
	s_cbranch_vccnz .LBB55_5726
; %bb.5725:
	s_wait_loadcnt 0x0
	global_load_b32 v14, v[8:9], off
.LBB55_5726:
	s_mov_b32 s0, 0
.LBB55_5727:
	s_delay_alu instid0(SALU_CYCLE_1)
	s_and_not1_b32 vcc_lo, exec_lo, s0
	s_cbranch_vccnz .LBB55_5729
; %bb.5728:
	s_wait_loadcnt 0x0
	global_load_i16 v14, v[8:9], off
.LBB55_5729:
	s_mov_b32 s0, 0
.LBB55_5730:
	s_delay_alu instid0(SALU_CYCLE_1)
	s_and_not1_b32 vcc_lo, exec_lo, s0
	s_cbranch_vccnz .LBB55_5736
; %bb.5731:
	s_cmp_gt_i32 s61, 0
	s_mov_b32 s0, 0
	s_cbranch_scc0 .LBB55_5733
; %bb.5732:
	s_wait_loadcnt 0x0
	global_load_i8 v14, v[8:9], off
	s_branch .LBB55_5734
.LBB55_5733:
	s_mov_b32 s0, -1
                                        ; implicit-def: $vgpr14
.LBB55_5734:
	s_delay_alu instid0(SALU_CYCLE_1)
	s_and_not1_b32 vcc_lo, exec_lo, s0
	s_cbranch_vccnz .LBB55_5736
; %bb.5735:
	s_wait_loadcnt 0x0
	global_load_u8 v14, v[8:9], off
.LBB55_5736:
	s_mov_b32 s7, -1
.LBB55_5737:
	s_delay_alu instid0(SALU_CYCLE_1)
	s_and_not1_b32 vcc_lo, exec_lo, s7
	s_cbranch_vccnz .LBB55_5746
; %bb.5738:
	s_mov_b32 s0, exec_lo
	s_wait_loadcnt 0x0
	v_cmpx_ne_u32_e64 v7, v1
	s_xor_b32 s0, exec_lo, s0
	s_cbranch_execnz .LBB55_6089
.LBB55_5739:
	s_or_saveexec_b32 s26, s0
	s_mov_b32 s6, 0
	s_mov_b32 s7, 0
                                        ; implicit-def: $vgpr38_vgpr39
                                        ; implicit-def: $sgpr0
	s_xor_b32 exec_lo, exec_lo, s26
	s_cbranch_execz .LBB55_6084
; %bb.5740:
	s_mov_b32 s27, s25
	s_mov_b32 s0, exec_lo
	v_cmpx_ne_u32_e64 v16, v3
	s_xor_b32 s0, exec_lo, s0
	s_cbranch_execnz .LBB55_6091
; %bb.5741:
	s_or_saveexec_b32 s28, s0
                                        ; implicit-def: $vgpr38_vgpr39
                                        ; implicit-def: $sgpr0
	s_delay_alu instid0(SALU_CYCLE_1)
	s_xor_b32 exec_lo, exec_lo, s28
	s_cbranch_execz .LBB55_6083
.LBB55_5742:
	v_sub_nc_u32_e32 v3, v10, v12
	s_delay_alu instid0(VALU_DEP_1) | instskip(SKIP_3) | instid1(SALU_CYCLE_1)
	v_cmp_gt_i32_e32 vcc_lo, v1, v3
	v_cmp_lt_i32_e64 s0, s20, v3
	s_mov_b32 s20, s27
	s_or_b32 s0, vcc_lo, s0
	s_and_saveexec_b32 s6, s0
	s_delay_alu instid0(SALU_CYCLE_1)
	s_xor_b32 s0, exec_lo, s6
	s_cbranch_execnz .LBB55_6093
; %bb.5743:
	s_or_saveexec_b32 s29, s0
	s_mov_b32 s6, 0
                                        ; implicit-def: $vgpr38_vgpr39
                                        ; implicit-def: $sgpr0
	s_xor_b32 exec_lo, exec_lo, s29
	s_cbranch_execz .LBB55_6082
.LBB55_5744:
	v_cmp_ne_u32_e32 vcc_lo, 1, v5
	v_mov_b64_e32 v[8:9], 0
	s_cbranch_vccnz .LBB55_5757
; %bb.5745:
	v_dual_mov_b32 v16, 0 :: v_dual_ashrrev_i32 v15, 31, v14
	s_load_b128 s[12:15], s[2:3], 0x298
	v_mov_b64_e32 v[8:9], 0
	s_mov_b32 s9, 0
	s_delay_alu instid0(VALU_DEP_2)
	v_mul_u64_e32 v[14:15], s[10:11], v[14:15]
	s_lshl_b64 s[16:17], s[8:9], 3
	s_mov_b64 s[6:7], 0xffffffff
	s_wait_kmcnt 0x0
	s_add_nc_u64 s[10:11], s[12:13], s[16:17]
	s_add_nc_u64 s[12:13], s[14:15], s[16:17]
	s_branch .LBB55_5753
.LBB55_5746:
	s_mov_b32 s6, 0
	s_mov_b32 s7, 0
                                        ; implicit-def: $vgpr38_vgpr39
                                        ; implicit-def: $sgpr0
.LBB55_5747:
	s_and_not1_b32 s1, s1, exec_lo
	s_and_b32 s2, s25, exec_lo
	s_and_b32 s26, s7, exec_lo
	;; [unrolled: 1-line block ×3, first 2 shown]
	s_or_b32 s1, s1, s2
.LBB55_5748:
	s_wait_xcnt 0x0
	s_or_b32 exec_lo, exec_lo, s24
	s_delay_alu instid0(SALU_CYCLE_1)
	s_and_not1_b32 s2, s65, exec_lo
	s_and_b32 s3, s1, exec_lo
	s_and_b32 s24, s26, exec_lo
	;; [unrolled: 1-line block ×3, first 2 shown]
	s_or_b32 s65, s2, s3
.LBB55_5749:
	s_or_b32 exec_lo, exec_lo, s66
	s_delay_alu instid0(SALU_CYCLE_1)
	s_and_not1_b32 s2, s63, exec_lo
	s_and_b32 s3, s65, exec_lo
	s_and_b32 s9, s24, exec_lo
	;; [unrolled: 1-line block ×3, first 2 shown]
	s_or_b32 s63, s2, s3
.LBB55_5750:
	s_or_b32 exec_lo, exec_lo, s64
	s_delay_alu instid0(SALU_CYCLE_1)
	s_and_not1_b32 s2, s56, exec_lo
	s_and_b32 s3, s63, exec_lo
	s_and_b32 s9, s9, exec_lo
	;; [unrolled: 1-line block ×3, first 2 shown]
	s_or_b32 s56, s2, s3
.LBB55_5751:
	s_or_b32 exec_lo, exec_lo, s62
	s_branch .LBB55_5081
.LBB55_5752:                            ;   in Loop: Header=BB55_5753 Depth=1
	s_or_b32 exec_lo, exec_lo, s0
	global_load_b64 v[20:21], v16, s[12:13]
	v_mul_u64_e32 v[22:23], s[14:15], v[18:19]
	s_add_co_i32 s47, s47, -1
	s_add_nc_u64 s[10:11], s[10:11], -8
	s_cmp_eq_u32 s47, 0
	s_wait_xcnt 0x0
	s_add_nc_u64 s[12:13], s[12:13], -8
	s_delay_alu instid0(VALU_DEP_1) | instskip(SKIP_1) | instid1(VALU_DEP_1)
	v_sub_nc_u64_e32 v[14:15], v[14:15], v[22:23]
	s_wait_loadcnt 0x0
	v_mad_nc_u64_u32 v[8:9], v14, v20, v[8:9]
	s_delay_alu instid0(VALU_DEP_1) | instskip(NEXT) | instid1(VALU_DEP_1)
	v_mad_u32 v1, v15, v20, v9
	v_mad_u32 v9, v14, v21, v1
	v_mov_b64_e32 v[14:15], v[18:19]
	s_cbranch_scc1 .LBB55_5757
.LBB55_5753:                            ; =>This Inner Loop Header: Depth=1
	global_load_b64 v[18:19], v16, s[10:11]
	s_mov_b32 s0, exec_lo
	s_wait_loadcnt 0x0
	v_or_b32_e32 v17, v15, v19
	v_readfirstlane_b32 s14, v18
	v_readfirstlane_b32 s15, v19
                                        ; implicit-def: $vgpr18_vgpr19
	s_wait_xcnt 0x0
	s_delay_alu instid0(VALU_DEP_3)
	v_cmpx_ne_u64_e32 0, v[16:17]
	s_xor_b32 s30, exec_lo, s0
	s_cbranch_execz .LBB55_5755
; %bb.5754:                             ;   in Loop: Header=BB55_5753 Depth=1
	s_ashr_i32 s16, s15, 31
	v_dual_mov_b32 v23, v16 :: v_dual_ashrrev_i32 v18, 31, v15
	s_mov_b32 s17, s16
	s_delay_alu instid0(SALU_CYCLE_1) | instskip(NEXT) | instid1(VALU_DEP_1)
	s_add_nc_u64 s[18:19], s[14:15], s[16:17]
	v_mov_b32_e32 v19, v18
	s_xor_b64 s[18:19], s[18:19], s[16:17]
	s_delay_alu instid0(SALU_CYCLE_1)
	s_cvt_f32_u32 s0, s18
	s_cvt_f32_u32 s8, s19
	s_sub_nc_u64 s[36:37], 0, s[18:19]
	v_add_nc_u64_e32 v[20:21], v[14:15], v[18:19]
	v_mov_b32_e32 v27, v16
	s_fmamk_f32 s0, s8, 0x4f800000, s0
	s_delay_alu instid0(SALU_CYCLE_3) | instskip(NEXT) | instid1(VALU_DEP_2)
	v_s_rcp_f32 s0, s0
	v_xor_b32_e32 v22, v20, v18
	s_delay_alu instid0(VALU_DEP_3) | instskip(NEXT) | instid1(TRANS32_DEP_1)
	v_dual_mov_b32 v31, v16 :: v_dual_bitop2_b32 v26, v21, v18 bitop3:0x14
	s_mul_f32 s0, s0, 0x5f7ffffc
	s_delay_alu instid0(SALU_CYCLE_3) | instskip(NEXT) | instid1(SALU_CYCLE_3)
	s_mul_f32 s8, s0, 0x2f800000
	s_trunc_f32 s8, s8
	s_delay_alu instid0(SALU_CYCLE_3) | instskip(SKIP_1) | instid1(SALU_CYCLE_2)
	s_fmamk_f32 s0, s8, 0xcf800000, s0
	s_cvt_u32_f32 s35, s8
	s_cvt_u32_f32 s34, s0
	s_delay_alu instid0(SALU_CYCLE_3) | instskip(NEXT) | instid1(SALU_CYCLE_1)
	s_mul_u64 s[58:59], s[36:37], s[34:35]
	s_mul_hi_u32 s61, s34, s59
	s_mul_i32 s60, s34, s59
	s_mul_hi_u32 s8, s34, s58
	s_mul_i32 s17, s35, s58
	s_add_nc_u64 s[60:61], s[8:9], s[60:61]
	s_mul_hi_u32 s0, s35, s58
	s_mul_hi_u32 s31, s35, s59
	s_add_co_u32 s8, s60, s17
	s_add_co_ci_u32 s8, s61, s0
	s_mul_i32 s58, s35, s59
	s_add_co_ci_u32 s59, s31, 0
	s_delay_alu instid0(SALU_CYCLE_1) | instskip(NEXT) | instid1(SALU_CYCLE_1)
	s_add_nc_u64 s[58:59], s[8:9], s[58:59]
	s_add_co_u32 s34, s34, s58
	s_cselect_b32 s0, -1, 0
	s_delay_alu instid0(SALU_CYCLE_1) | instskip(SKIP_1) | instid1(SALU_CYCLE_1)
	s_cmp_lg_u32 s0, 0
	s_add_co_ci_u32 s35, s35, s59
	s_mul_u64 s[36:37], s[36:37], s[34:35]
	s_delay_alu instid0(SALU_CYCLE_1)
	s_mul_hi_u32 s59, s34, s37
	s_mul_i32 s58, s34, s37
	s_mul_hi_u32 s8, s34, s36
	s_mul_i32 s17, s35, s36
	s_add_nc_u64 s[58:59], s[8:9], s[58:59]
	s_mul_hi_u32 s0, s35, s36
	s_mul_hi_u32 s31, s35, s37
	s_add_co_u32 s8, s58, s17
	s_add_co_ci_u32 s8, s59, s0
	s_mul_i32 s36, s35, s37
	s_add_co_ci_u32 s37, s31, 0
	s_delay_alu instid0(SALU_CYCLE_1) | instskip(NEXT) | instid1(SALU_CYCLE_1)
	s_add_nc_u64 s[36:37], s[8:9], s[36:37]
	s_add_co_u32 s0, s34, s36
	s_cselect_b32 s8, -1, 0
	v_mul_hi_u32 v30, v22, s0
	s_cmp_lg_u32 s8, 0
	s_add_co_ci_u32 s8, s35, s37
	s_and_b64 s[34:35], s[0:1], s[6:7]
	v_mul_u64_e32 v[24:25], s[8:9], v[22:23]
	v_mul_u64_e32 v[20:21], s[34:35], v[26:27]
	;; [unrolled: 1-line block ×3, first 2 shown]
	s_delay_alu instid0(VALU_DEP_3) | instskip(NEXT) | instid1(VALU_DEP_1)
	v_add_nc_u64_e32 v[24:25], v[30:31], v[24:25]
	v_add_co_u32 v1, vcc_lo, v24, v20
	s_delay_alu instid0(VALU_DEP_2) | instskip(NEXT) | instid1(VALU_DEP_4)
	v_add_co_ci_u32_e32 v30, vcc_lo, v25, v21, vcc_lo
	v_add_co_ci_u32_e32 v29, vcc_lo, 0, v29, vcc_lo
	s_delay_alu instid0(VALU_DEP_1) | instskip(NEXT) | instid1(VALU_DEP_1)
	v_add_nc_u64_e32 v[20:21], v[30:31], v[28:29]
	v_mul_u64_e32 v[24:25], s[18:19], v[20:21]
	s_delay_alu instid0(VALU_DEP_1) | instskip(NEXT) | instid1(VALU_DEP_2)
	v_sub_nc_u32_e32 v1, v26, v25
	v_sub_co_u32 v3, vcc_lo, v22, v24
	s_delay_alu instid0(VALU_DEP_1) | instskip(NEXT) | instid1(VALU_DEP_3)
	v_sub_co_ci_u32_e64 v7, null, v26, v25, vcc_lo
	v_subrev_co_ci_u32_e64 v1, null, s19, v1, vcc_lo
	s_delay_alu instid0(VALU_DEP_3) | instskip(SKIP_1) | instid1(VALU_DEP_3)
	v_sub_co_u32 v5, s0, v3, s18
	v_add_nc_u64_e32 v[22:23], 2, v[20:21]
	v_subrev_co_ci_u32_e64 v1, null, 0, v1, s0
	s_delay_alu instid0(VALU_DEP_3) | instskip(SKIP_2) | instid1(VALU_DEP_4)
	v_cmp_le_u32_e32 vcc_lo, s18, v5
	v_add_nc_u64_e32 v[24:25], 1, v[20:21]
	v_cndmask_b32_e64 v5, 0, -1, vcc_lo
	v_cmp_le_u32_e32 vcc_lo, s19, v1
	v_cndmask_b32_e64 v11, 0, -1, vcc_lo
	v_cmp_le_u32_e32 vcc_lo, s18, v3
	;; [unrolled: 2-line block ×3, first 2 shown]
	v_cndmask_b32_e64 v13, 0, -1, vcc_lo
	v_cmp_eq_u32_e32 vcc_lo, s19, v1
	v_cndmask_b32_e32 v1, v11, v5, vcc_lo
	v_cmp_eq_u32_e32 vcc_lo, s19, v7
	s_delay_alu instid0(VALU_DEP_4) | instskip(NEXT) | instid1(VALU_DEP_3)
	v_cndmask_b32_e32 v3, v13, v3, vcc_lo
	v_cmp_ne_u32_e32 vcc_lo, 0, v1
	s_delay_alu instid0(VALU_DEP_2) | instskip(SKIP_1) | instid1(VALU_DEP_1)
	v_cmp_ne_u32_e64 s0, 0, v3
	v_dual_cndmask_b32 v1, v25, v23, vcc_lo :: v_dual_cndmask_b32 v3, v24, v22, vcc_lo
	v_dual_cndmask_b32 v1, v21, v1, s0 :: v_dual_bitop2_b32 v18, s16, v18 bitop3:0x14
	s_delay_alu instid0(VALU_DEP_1) | instskip(NEXT) | instid1(VALU_DEP_2)
	v_dual_cndmask_b32 v3, v20, v3, s0 :: v_dual_mov_b32 v19, v18
	v_xor_b32_e32 v21, v1, v18
	s_delay_alu instid0(VALU_DEP_2) | instskip(NEXT) | instid1(VALU_DEP_1)
	v_xor_b32_e32 v20, v3, v18
	v_sub_nc_u64_e32 v[18:19], v[20:21], v[18:19]
.LBB55_5755:                            ;   in Loop: Header=BB55_5753 Depth=1
	s_and_not1_saveexec_b32 s0, s30
	s_cbranch_execz .LBB55_5752
; %bb.5756:                             ;   in Loop: Header=BB55_5753 Depth=1
	v_cvt_f32_u32_e32 v1, s14
	s_sub_co_i32 s8, 0, s14
	v_mov_b32_e32 v19, v16
	s_delay_alu instid0(VALU_DEP_2) | instskip(SKIP_1) | instid1(TRANS32_DEP_1)
	v_rcp_iflag_f32_e32 v1, v1
	v_nop
	v_mul_f32_e32 v1, 0x4f7ffffe, v1
	s_delay_alu instid0(VALU_DEP_1) | instskip(NEXT) | instid1(VALU_DEP_1)
	v_cvt_u32_f32_e32 v1, v1
	v_mul_lo_u32 v3, s8, v1
	s_delay_alu instid0(VALU_DEP_1) | instskip(NEXT) | instid1(VALU_DEP_1)
	v_mul_hi_u32 v3, v1, v3
	v_add_nc_u32_e32 v1, v1, v3
	s_delay_alu instid0(VALU_DEP_1) | instskip(NEXT) | instid1(VALU_DEP_1)
	v_mul_hi_u32 v1, v14, v1
	v_mul_lo_u32 v3, v1, s14
	s_delay_alu instid0(VALU_DEP_1) | instskip(NEXT) | instid1(VALU_DEP_1)
	v_sub_nc_u32_e32 v3, v14, v3
	v_subrev_nc_u32_e32 v7, s14, v3
	v_cmp_le_u32_e32 vcc_lo, s14, v3
	s_delay_alu instid0(VALU_DEP_2) | instskip(NEXT) | instid1(VALU_DEP_1)
	v_dual_add_nc_u32 v5, 1, v1 :: v_dual_cndmask_b32 v3, v3, v7, vcc_lo
	v_cndmask_b32_e32 v1, v1, v5, vcc_lo
	s_delay_alu instid0(VALU_DEP_2) | instskip(NEXT) | instid1(VALU_DEP_2)
	v_cmp_le_u32_e32 vcc_lo, s14, v3
	v_add_nc_u32_e32 v5, 1, v1
	s_delay_alu instid0(VALU_DEP_1)
	v_cndmask_b32_e32 v18, v1, v5, vcc_lo
	s_branch .LBB55_5752
.LBB55_5757:
	s_mov_b32 s10, -1
	s_mov_b32 s6, s20
	s_mov_b32 s0, exec_lo
	v_cmpx_gt_i32_e64 v10, v12
	s_cbranch_execz .LBB55_5764
; %bb.5758:
	s_delay_alu instid0(VALU_DEP_2) | instskip(SKIP_3) | instid1(VALU_DEP_1)
	v_lshlrev_b64_e32 v[8:9], 2, v[8:9]
	v_dual_ashrrev_i32 v13, 31, v12 :: v_dual_ashrrev_i32 v11, 31, v10
	s_mov_b32 s7, 0
	s_xor_b32 s8, s48, -1
                                        ; implicit-def: $sgpr6
                                        ; implicit-def: $sgpr10
                                        ; implicit-def: $sgpr9
	v_lshl_add_u64 v[12:13], v[12:13], 2, v[8:9]
	s_wait_kmcnt 0x0
	v_add_nc_u64_e32 v[14:15], s[22:23], v[8:9]
	s_delay_alu instid0(VALU_DEP_2) | instskip(NEXT) | instid1(VALU_DEP_2)
	v_add_nc_u64_e32 v[12:13], s[22:23], v[12:13]
	v_lshl_add_u64 v[10:11], v[10:11], 2, v[14:15]
	s_delay_alu instid0(VALU_DEP_2)
	v_add_nc_u64_e32 v[8:9], 4, v[12:13]
	s_branch .LBB55_5760
.LBB55_5759:                            ;   in Loop: Header=BB55_5760 Depth=1
	s_or_b32 exec_lo, exec_lo, s11
	s_xor_b32 s11, s9, -1
	s_and_b32 s12, exec_lo, s10
	s_delay_alu instid0(SALU_CYCLE_1) | instskip(SKIP_2) | instid1(SALU_CYCLE_1)
	s_or_b32 s7, s12, s7
	s_and_not1_b32 s6, s6, exec_lo
	s_and_b32 s11, s11, exec_lo
	s_or_b32 s6, s6, s11
	s_and_not1_b32 exec_lo, exec_lo, s7
	s_cbranch_execz .LBB55_5762
.LBB55_5760:                            ; =>This Inner Loop Header: Depth=1
	s_or_b32 s9, s9, exec_lo
	s_or_b32 s10, s10, exec_lo
	s_mov_b32 s11, exec_lo
	s_delay_alu instid0(VALU_DEP_1)
	v_cmpx_lt_u64_e64 v[8:9], v[10:11]
	s_cbranch_execz .LBB55_5759
; %bb.5761:                             ;   in Loop: Header=BB55_5760 Depth=1
	global_load_b64 v[12:13], v[8:9], off offset:-4
	s_wait_xcnt 0x0
	v_add_nc_u64_e32 v[8:9], 4, v[8:9]
	s_and_not1_b32 s10, s10, exec_lo
	s_and_not1_b32 s9, s9, exec_lo
	s_wait_loadcnt 0x0
	v_cmp_ge_i32_e32 vcc_lo, v12, v13
	s_or_b32 s12, s8, vcc_lo
	s_delay_alu instid0(SALU_CYCLE_1) | instskip(NEXT) | instid1(SALU_CYCLE_1)
	s_and_b32 s12, s12, exec_lo
	s_or_b32 s10, s10, s12
	s_branch .LBB55_5759
.LBB55_5762:
	s_or_b32 exec_lo, exec_lo, s7
	s_mov_b32 s7, -1
	s_mov_b32 s8, s20
	s_and_saveexec_b32 s9, s6
	s_delay_alu instid0(SALU_CYCLE_1)
	s_xor_b32 s6, exec_lo, s9
	s_cbranch_execnz .LBB55_6086
.LBB55_5763:
	s_or_b32 exec_lo, exec_lo, s6
	s_delay_alu instid0(SALU_CYCLE_1)
	s_and_not1_b32 s6, s20, exec_lo
	s_and_b32 s8, s8, exec_lo
	s_or_not1_b32 s10, s7, exec_lo
	s_or_b32 s6, s6, s8
.LBB55_5764:
	s_or_b32 exec_lo, exec_lo, s0
	s_mov_b32 s8, 0
	s_mov_b32 s9, 0
                                        ; implicit-def: $vgpr38_vgpr39
                                        ; implicit-def: $sgpr0
	s_and_saveexec_b32 s7, s10
	s_cbranch_execz .LBB55_6081
; %bb.5765:
	s_load_b32 s0, s[2:3], 0x2b0
	v_mov_b32_e32 v7, 0
	s_delay_alu instid0(VALU_DEP_1) | instskip(SKIP_2) | instid1(SALU_CYCLE_1)
	v_add_nc_u64_e32 v[6:7], s[4:5], v[6:7]
	s_wait_kmcnt 0x0
	s_and_b32 s0, s0, 0xff
	s_cmp_lt_i32 s0, 11
	s_cbranch_scc1 .LBB55_5814
; %bb.5766:
	s_and_b32 s2, 0xffff, s0
	s_mov_b32 s10, -1
	s_cmp_gt_i32 s2, 25
	s_mov_b32 s3, 0
	s_cbranch_scc0 .LBB55_5791
; %bb.5767:
	s_cmp_gt_i32 s2, 28
	s_cbranch_scc0 .LBB55_5780
; %bb.5768:
	s_cmp_gt_i32 s2, 43
	;; [unrolled: 3-line block ×3, first 2 shown]
	s_cbranch_scc0 .LBB55_5772
; %bb.5770:
	s_mov_b32 s3, -1
	s_mov_b32 s10, 0
	s_cmp_eq_u32 s2, 46
	s_cbranch_scc0 .LBB55_5772
; %bb.5771:
	v_mov_b32_e32 v1, 0
	s_mov_b32 s3, 0
	s_mov_b32 s8, -1
	global_store_b32 v[6:7], v1, off
.LBB55_5772:
	s_and_b32 vcc_lo, exec_lo, s10
	s_cbranch_vccz .LBB55_5775
; %bb.5773:
	s_cmp_eq_u32 s2, 44
	s_mov_b32 s3, -1
	s_cbranch_scc0 .LBB55_5775
; %bb.5774:
	s_wait_xcnt 0x0
	v_mov_b32_e32 v1, 0
	s_mov_b32 s3, 0
	s_mov_b32 s8, -1
	global_store_b8 v[6:7], v1, off
.LBB55_5775:
	s_mov_b32 s10, 0
.LBB55_5776:
	s_delay_alu instid0(SALU_CYCLE_1)
	s_and_b32 vcc_lo, exec_lo, s10
	s_cbranch_vccz .LBB55_5779
; %bb.5777:
	s_cmp_eq_u32 s2, 29
	s_mov_b32 s3, -1
	s_cbranch_scc0 .LBB55_5779
; %bb.5778:
	v_mov_b64_e32 v[8:9], 0
	s_mov_b32 s3, 0
	s_mov_b32 s8, -1
	global_store_b64 v[6:7], v[8:9], off
.LBB55_5779:
	s_mov_b32 s10, 0
.LBB55_5780:
	s_delay_alu instid0(SALU_CYCLE_1)
	s_and_b32 vcc_lo, exec_lo, s10
	s_cbranch_vccz .LBB55_5790
; %bb.5781:
	s_cmp_lt_i32 s2, 27
	s_mov_b32 s8, -1
	s_cbranch_scc1 .LBB55_5787
; %bb.5782:
	s_cmp_gt_i32 s2, 27
	s_cbranch_scc0 .LBB55_5784
; %bb.5783:
	s_wait_xcnt 0x0
	v_mov_b32_e32 v1, 0
	s_mov_b32 s8, 0
	global_store_b32 v[6:7], v1, off
.LBB55_5784:
	s_and_not1_b32 vcc_lo, exec_lo, s8
	s_cbranch_vccnz .LBB55_5786
; %bb.5785:
	s_wait_xcnt 0x0
	v_mov_b32_e32 v1, 0
	global_store_b16 v[6:7], v1, off
.LBB55_5786:
	s_mov_b32 s8, 0
.LBB55_5787:
	s_delay_alu instid0(SALU_CYCLE_1)
	s_and_not1_b32 vcc_lo, exec_lo, s8
	s_cbranch_vccnz .LBB55_5789
; %bb.5788:
	s_wait_xcnt 0x0
	v_mov_b32_e32 v1, 0
	global_store_b8 v[6:7], v1, off
.LBB55_5789:
	s_mov_b32 s8, -1
.LBB55_5790:
	s_mov_b32 s10, 0
.LBB55_5791:
	s_delay_alu instid0(SALU_CYCLE_1)
	s_and_b32 vcc_lo, exec_lo, s10
	s_cbranch_vccz .LBB55_5809
; %bb.5792:
	s_cmp_gt_i32 s2, 22
	s_mov_b32 s9, -1
	s_cbranch_scc0 .LBB55_5802
; %bb.5793:
	s_cmp_lt_i32 s2, 24
	s_mov_b32 s8, -1
	s_cbranch_scc1 .LBB55_5799
; %bb.5794:
	s_cmp_gt_i32 s2, 24
	s_cbranch_scc0 .LBB55_5796
; %bb.5795:
	s_wait_xcnt 0x0
	v_mov_b32_e32 v1, 0
	s_mov_b32 s8, 0
	global_store_b8 v[6:7], v1, off
.LBB55_5796:
	s_and_not1_b32 vcc_lo, exec_lo, s8
	s_cbranch_vccnz .LBB55_5798
; %bb.5797:
	s_wait_xcnt 0x0
	v_mov_b32_e32 v1, 0
	global_store_b8 v[6:7], v1, off
.LBB55_5798:
	s_mov_b32 s8, 0
.LBB55_5799:
	s_delay_alu instid0(SALU_CYCLE_1)
	s_and_not1_b32 vcc_lo, exec_lo, s8
	s_cbranch_vccnz .LBB55_5801
; %bb.5800:
	s_wait_xcnt 0x0
	v_mov_b32_e32 v1, 0
	global_store_b8 v[6:7], v1, off
.LBB55_5801:
	s_mov_b32 s9, 0
	s_mov_b32 s8, -1
.LBB55_5802:
	s_and_not1_b32 vcc_lo, exec_lo, s9
	s_mov_b32 s9, 0
	s_cbranch_vccnz .LBB55_5809
; %bb.5803:
	s_cmp_gt_i32 s2, 14
	s_mov_b32 s9, -1
	s_cbranch_scc0 .LBB55_5807
; %bb.5804:
	s_cmp_eq_u32 s2, 15
	s_mov_b32 s3, -1
	s_cbranch_scc0 .LBB55_5806
; %bb.5805:
	s_wait_xcnt 0x0
	v_mov_b32_e32 v1, 0
	s_mov_b32 s3, 0
	s_mov_b32 s8, -1
	global_store_b16 v[6:7], v1, off
.LBB55_5806:
	s_mov_b32 s9, 0
.LBB55_5807:
	s_delay_alu instid0(SALU_CYCLE_1)
	s_and_b32 vcc_lo, exec_lo, s9
	s_mov_b32 s9, 0
	s_cbranch_vccz .LBB55_5809
; %bb.5808:
	s_cmp_lg_u32 s2, 11
	s_mov_b32 s9, -1
	s_cselect_b32 s3, -1, 0
.LBB55_5809:
	s_delay_alu instid0(SALU_CYCLE_1)
	s_and_b32 vcc_lo, exec_lo, s3
	s_mov_b32 s2, s6
	s_cbranch_vccnz .LBB55_6087
; %bb.5810:
	s_and_not1_b32 vcc_lo, exec_lo, s9
	s_cbranch_vccnz .LBB55_5812
.LBB55_5811:
	s_wait_xcnt 0x0
	v_mov_b32_e32 v1, 0
	s_mov_b32 s8, -1
	global_store_b8 v[6:7], v1, off
.LBB55_5812:
	s_mov_b32 s3, 0
	s_branch .LBB55_5815
.LBB55_5813:
	s_or_b32 s25, s25, exec_lo
	s_trap 2
	s_cbranch_execz .LBB55_5686
	s_branch .LBB55_5687
.LBB55_5814:
	s_mov_b32 s3, -1
	s_mov_b32 s2, s6
.LBB55_5815:
	s_and_b32 vcc_lo, exec_lo, s3
	s_cbranch_vccz .LBB55_5854
; %bb.5816:
	s_and_b32 s3, 0xffff, s0
	s_mov_b32 s8, -1
	s_cmp_lt_i32 s3, 5
	s_cbranch_scc1 .LBB55_5837
; %bb.5817:
	s_cmp_lt_i32 s3, 8
	s_cbranch_scc1 .LBB55_5827
; %bb.5818:
	s_cmp_lt_i32 s3, 9
	s_cbranch_scc1 .LBB55_5824
; %bb.5819:
	s_cmp_gt_i32 s3, 9
	s_cbranch_scc0 .LBB55_5821
; %bb.5820:
	s_wait_xcnt 0x0
	v_mov_b32_e32 v8, 0
	s_mov_b32 s8, 0
	s_delay_alu instid0(VALU_DEP_1)
	v_dual_mov_b32 v9, v8 :: v_dual_mov_b32 v10, v8
	v_mov_b32_e32 v11, v8
	global_store_b128 v[6:7], v[8:11], off
.LBB55_5821:
	s_and_not1_b32 vcc_lo, exec_lo, s8
	s_cbranch_vccnz .LBB55_5823
; %bb.5822:
	s_wait_xcnt 0x0
	v_mov_b64_e32 v[8:9], 0
	global_store_b64 v[6:7], v[8:9], off
.LBB55_5823:
	s_mov_b32 s8, 0
.LBB55_5824:
	s_delay_alu instid0(SALU_CYCLE_1)
	s_and_not1_b32 vcc_lo, exec_lo, s8
	s_cbranch_vccnz .LBB55_5826
; %bb.5825:
	s_wait_xcnt 0x0
	v_mov_b32_e32 v1, 0
	global_store_b32 v[6:7], v1, off
.LBB55_5826:
	s_mov_b32 s8, 0
.LBB55_5827:
	s_delay_alu instid0(SALU_CYCLE_1)
	s_and_not1_b32 vcc_lo, exec_lo, s8
	s_cbranch_vccnz .LBB55_5836
; %bb.5828:
	s_cmp_lt_i32 s3, 6
	s_mov_b32 s8, -1
	s_cbranch_scc1 .LBB55_5834
; %bb.5829:
	s_cmp_gt_i32 s3, 6
	s_cbranch_scc0 .LBB55_5831
; %bb.5830:
	s_wait_xcnt 0x0
	v_mov_b64_e32 v[8:9], 0
	s_mov_b32 s8, 0
	global_store_b64 v[6:7], v[8:9], off
.LBB55_5831:
	s_and_not1_b32 vcc_lo, exec_lo, s8
	s_cbranch_vccnz .LBB55_5833
; %bb.5832:
	s_wait_xcnt 0x0
	v_mov_b32_e32 v1, 0
	global_store_b32 v[6:7], v1, off
.LBB55_5833:
	s_mov_b32 s8, 0
.LBB55_5834:
	s_delay_alu instid0(SALU_CYCLE_1)
	s_and_not1_b32 vcc_lo, exec_lo, s8
	s_cbranch_vccnz .LBB55_5836
; %bb.5835:
	s_wait_xcnt 0x0
	v_mov_b32_e32 v1, 0
	global_store_b16 v[6:7], v1, off
.LBB55_5836:
	s_mov_b32 s8, 0
.LBB55_5837:
	s_delay_alu instid0(SALU_CYCLE_1)
	s_and_not1_b32 vcc_lo, exec_lo, s8
	s_cbranch_vccnz .LBB55_5853
; %bb.5838:
	s_cmp_lt_i32 s3, 2
	s_mov_b32 s8, -1
	s_cbranch_scc1 .LBB55_5848
; %bb.5839:
	s_cmp_lt_i32 s3, 3
	s_cbranch_scc1 .LBB55_5845
; %bb.5840:
	s_cmp_gt_i32 s3, 3
	s_cbranch_scc0 .LBB55_5842
; %bb.5841:
	s_wait_xcnt 0x0
	v_mov_b64_e32 v[8:9], 0
	s_mov_b32 s8, 0
	global_store_b64 v[6:7], v[8:9], off
.LBB55_5842:
	s_and_not1_b32 vcc_lo, exec_lo, s8
	s_cbranch_vccnz .LBB55_5844
; %bb.5843:
	s_wait_xcnt 0x0
	v_mov_b32_e32 v1, 0
	global_store_b32 v[6:7], v1, off
.LBB55_5844:
	s_mov_b32 s8, 0
.LBB55_5845:
	s_delay_alu instid0(SALU_CYCLE_1)
	s_and_not1_b32 vcc_lo, exec_lo, s8
	s_cbranch_vccnz .LBB55_5847
; %bb.5846:
	s_wait_xcnt 0x0
	v_mov_b32_e32 v1, 0
	global_store_b16 v[6:7], v1, off
.LBB55_5847:
	s_mov_b32 s8, 0
.LBB55_5848:
	s_delay_alu instid0(SALU_CYCLE_1)
	s_and_not1_b32 vcc_lo, exec_lo, s8
	s_cbranch_vccnz .LBB55_5853
; %bb.5849:
	s_cmp_gt_i32 s3, 0
	s_mov_b32 s3, -1
	s_cbranch_scc0 .LBB55_5851
; %bb.5850:
	s_wait_xcnt 0x0
	v_mov_b32_e32 v1, 0
	s_mov_b32 s3, 0
	global_store_b8 v[6:7], v1, off
.LBB55_5851:
	s_and_not1_b32 vcc_lo, exec_lo, s3
	s_cbranch_vccnz .LBB55_5853
; %bb.5852:
	s_wait_xcnt 0x0
	v_mov_b32_e32 v1, 0
	global_store_b8 v[6:7], v1, off
.LBB55_5853:
	s_mov_b32 s8, -1
.LBB55_5854:
	s_delay_alu instid0(SALU_CYCLE_1)
	s_and_not1_b32 vcc_lo, exec_lo, s8
	s_cbranch_vccnz .LBB55_6079
; %bb.5855:
	v_mov_b32_e32 v5, 0
	s_and_b32 s3, 0xffff, s0
	s_delay_alu instid0(SALU_CYCLE_1) | instskip(NEXT) | instid1(VALU_DEP_1)
	s_cmp_lt_i32 s3, 11
	v_add_nc_u64_e32 v[4:5], s[4:5], v[4:5]
	s_cbranch_scc1 .LBB55_5903
; %bb.5856:
	s_mov_b32 s11, -1
	s_mov_b32 s10, 0
	s_cmp_gt_i32 s3, 25
	s_mov_b32 s9, 0
	s_mov_b32 s8, 0
	s_cbranch_scc0 .LBB55_5881
; %bb.5857:
	s_cmp_gt_i32 s3, 28
	s_cbranch_scc0 .LBB55_5870
; %bb.5858:
	s_cmp_gt_i32 s3, 43
	;; [unrolled: 3-line block ×3, first 2 shown]
	s_cbranch_scc0 .LBB55_5862
; %bb.5860:
	s_mov_b32 s8, -1
	s_mov_b32 s11, 0
	s_cmp_eq_u32 s3, 46
	s_cbranch_scc0 .LBB55_5862
; %bb.5861:
	s_wait_xcnt 0x0
	v_mov_b32_e32 v1, 0
	s_mov_b32 s8, 0
	s_mov_b32 s9, -1
	global_store_b32 v[4:5], v1, off
.LBB55_5862:
	s_and_b32 vcc_lo, exec_lo, s11
	s_cbranch_vccz .LBB55_5865
; %bb.5863:
	s_cmp_eq_u32 s3, 44
	s_mov_b32 s8, -1
	s_cbranch_scc0 .LBB55_5865
; %bb.5864:
	s_wait_xcnt 0x0
	v_mov_b32_e32 v1, 0
	s_mov_b32 s8, 0
	s_mov_b32 s9, -1
	global_store_b8 v[4:5], v1, off
.LBB55_5865:
	s_mov_b32 s11, 0
.LBB55_5866:
	s_delay_alu instid0(SALU_CYCLE_1)
	s_and_b32 vcc_lo, exec_lo, s11
	s_cbranch_vccz .LBB55_5869
; %bb.5867:
	s_cmp_eq_u32 s3, 29
	s_mov_b32 s8, -1
	s_cbranch_scc0 .LBB55_5869
; %bb.5868:
	s_wait_xcnt 0x0
	v_mov_b64_e32 v[6:7], 0
	s_mov_b32 s8, 0
	s_mov_b32 s9, -1
	global_store_b64 v[4:5], v[6:7], off
.LBB55_5869:
	s_mov_b32 s11, 0
.LBB55_5870:
	s_delay_alu instid0(SALU_CYCLE_1)
	s_and_b32 vcc_lo, exec_lo, s11
	s_cbranch_vccz .LBB55_5880
; %bb.5871:
	s_cmp_lt_i32 s3, 27
	s_mov_b32 s9, -1
	s_cbranch_scc1 .LBB55_5877
; %bb.5872:
	s_cmp_gt_i32 s3, 27
	s_cbranch_scc0 .LBB55_5874
; %bb.5873:
	s_wait_xcnt 0x0
	v_mov_b32_e32 v1, 0
	s_mov_b32 s9, 0
	global_store_b32 v[4:5], v1, off
.LBB55_5874:
	s_and_not1_b32 vcc_lo, exec_lo, s9
	s_cbranch_vccnz .LBB55_5876
; %bb.5875:
	s_wait_xcnt 0x0
	v_mov_b32_e32 v1, 0
	global_store_b16 v[4:5], v1, off
.LBB55_5876:
	s_mov_b32 s9, 0
.LBB55_5877:
	s_delay_alu instid0(SALU_CYCLE_1)
	s_and_not1_b32 vcc_lo, exec_lo, s9
	s_cbranch_vccnz .LBB55_5879
; %bb.5878:
	s_wait_xcnt 0x0
	v_mov_b32_e32 v1, 0
	global_store_b8 v[4:5], v1, off
.LBB55_5879:
	s_mov_b32 s9, -1
.LBB55_5880:
	s_mov_b32 s11, 0
.LBB55_5881:
	s_delay_alu instid0(SALU_CYCLE_1)
	s_and_b32 vcc_lo, exec_lo, s11
	s_cbranch_vccz .LBB55_5899
; %bb.5882:
	s_cmp_gt_i32 s3, 22
	s_mov_b32 s10, -1
	s_cbranch_scc0 .LBB55_5892
; %bb.5883:
	s_cmp_lt_i32 s3, 24
	s_mov_b32 s9, -1
	s_cbranch_scc1 .LBB55_5889
; %bb.5884:
	s_cmp_gt_i32 s3, 24
	s_cbranch_scc0 .LBB55_5886
; %bb.5885:
	s_wait_xcnt 0x0
	v_mov_b32_e32 v1, 0
	s_mov_b32 s9, 0
	global_store_b8 v[4:5], v1, off
.LBB55_5886:
	s_and_not1_b32 vcc_lo, exec_lo, s9
	s_cbranch_vccnz .LBB55_5888
; %bb.5887:
	s_wait_xcnt 0x0
	v_mov_b32_e32 v1, 0
	global_store_b8 v[4:5], v1, off
.LBB55_5888:
	s_mov_b32 s9, 0
.LBB55_5889:
	s_delay_alu instid0(SALU_CYCLE_1)
	s_and_not1_b32 vcc_lo, exec_lo, s9
	s_cbranch_vccnz .LBB55_5891
; %bb.5890:
	s_wait_xcnt 0x0
	v_mov_b32_e32 v1, 0
	global_store_b8 v[4:5], v1, off
.LBB55_5891:
	s_mov_b32 s10, 0
	s_mov_b32 s9, -1
.LBB55_5892:
	s_and_not1_b32 vcc_lo, exec_lo, s10
	s_mov_b32 s10, 0
	s_cbranch_vccnz .LBB55_5899
; %bb.5893:
	s_cmp_gt_i32 s3, 14
	s_mov_b32 s10, -1
	s_cbranch_scc0 .LBB55_5897
; %bb.5894:
	s_cmp_eq_u32 s3, 15
	s_mov_b32 s8, -1
	s_cbranch_scc0 .LBB55_5896
; %bb.5895:
	s_wait_xcnt 0x0
	v_mov_b32_e32 v1, 0
	s_mov_b32 s8, 0
	s_mov_b32 s9, -1
	global_store_b16 v[4:5], v1, off
.LBB55_5896:
	s_mov_b32 s10, 0
.LBB55_5897:
	s_delay_alu instid0(SALU_CYCLE_1)
	s_and_b32 vcc_lo, exec_lo, s10
	s_mov_b32 s10, 0
	s_cbranch_vccz .LBB55_5899
; %bb.5898:
	s_cmp_lg_u32 s3, 11
	s_mov_b32 s10, -1
	s_cselect_b32 s8, -1, 0
.LBB55_5899:
	s_delay_alu instid0(SALU_CYCLE_1)
	s_and_b32 vcc_lo, exec_lo, s8
	s_cbranch_vccnz .LBB55_6088
; %bb.5900:
	s_and_not1_b32 vcc_lo, exec_lo, s10
	s_cbranch_vccnz .LBB55_5902
.LBB55_5901:
	s_wait_xcnt 0x0
	v_mov_b32_e32 v1, 0
	s_mov_b32 s9, -1
	global_store_b8 v[4:5], v1, off
.LBB55_5902:
	s_mov_b32 s8, 0
	s_branch .LBB55_5904
.LBB55_5903:
	s_mov_b32 s8, -1
	s_mov_b32 s9, 0
.LBB55_5904:
	s_and_b32 vcc_lo, exec_lo, s8
	s_cbranch_vccz .LBB55_5943
; %bb.5905:
	s_cmp_lt_i32 s3, 5
	s_mov_b32 s8, -1
	s_cbranch_scc1 .LBB55_5926
; %bb.5906:
	s_cmp_lt_i32 s3, 8
	s_cbranch_scc1 .LBB55_5916
; %bb.5907:
	s_cmp_lt_i32 s3, 9
	s_cbranch_scc1 .LBB55_5913
; %bb.5908:
	s_cmp_gt_i32 s3, 9
	s_cbranch_scc0 .LBB55_5910
; %bb.5909:
	s_wait_xcnt 0x0
	v_mov_b32_e32 v6, 0
	s_mov_b32 s8, 0
	s_delay_alu instid0(VALU_DEP_1)
	v_dual_mov_b32 v7, v6 :: v_dual_mov_b32 v8, v6
	v_mov_b32_e32 v9, v6
	global_store_b128 v[4:5], v[6:9], off
.LBB55_5910:
	s_and_not1_b32 vcc_lo, exec_lo, s8
	s_cbranch_vccnz .LBB55_5912
; %bb.5911:
	s_wait_xcnt 0x0
	v_mov_b64_e32 v[6:7], 0
	global_store_b64 v[4:5], v[6:7], off
.LBB55_5912:
	s_mov_b32 s8, 0
.LBB55_5913:
	s_delay_alu instid0(SALU_CYCLE_1)
	s_and_not1_b32 vcc_lo, exec_lo, s8
	s_cbranch_vccnz .LBB55_5915
; %bb.5914:
	s_wait_xcnt 0x0
	v_mov_b32_e32 v1, 0
	global_store_b32 v[4:5], v1, off
.LBB55_5915:
	s_mov_b32 s8, 0
.LBB55_5916:
	s_delay_alu instid0(SALU_CYCLE_1)
	s_and_not1_b32 vcc_lo, exec_lo, s8
	s_cbranch_vccnz .LBB55_5925
; %bb.5917:
	s_cmp_lt_i32 s3, 6
	s_mov_b32 s8, -1
	s_cbranch_scc1 .LBB55_5923
; %bb.5918:
	s_cmp_gt_i32 s3, 6
	s_cbranch_scc0 .LBB55_5920
; %bb.5919:
	s_wait_xcnt 0x0
	v_mov_b64_e32 v[6:7], 0
	s_mov_b32 s8, 0
	global_store_b64 v[4:5], v[6:7], off
.LBB55_5920:
	s_and_not1_b32 vcc_lo, exec_lo, s8
	s_cbranch_vccnz .LBB55_5922
; %bb.5921:
	s_wait_xcnt 0x0
	v_mov_b32_e32 v1, 0
	global_store_b32 v[4:5], v1, off
.LBB55_5922:
	s_mov_b32 s8, 0
.LBB55_5923:
	s_delay_alu instid0(SALU_CYCLE_1)
	s_and_not1_b32 vcc_lo, exec_lo, s8
	s_cbranch_vccnz .LBB55_5925
; %bb.5924:
	s_wait_xcnt 0x0
	v_mov_b32_e32 v1, 0
	global_store_b16 v[4:5], v1, off
.LBB55_5925:
	s_mov_b32 s8, 0
.LBB55_5926:
	s_delay_alu instid0(SALU_CYCLE_1)
	s_and_not1_b32 vcc_lo, exec_lo, s8
	s_cbranch_vccnz .LBB55_5942
; %bb.5927:
	s_cmp_lt_i32 s3, 2
	s_mov_b32 s8, -1
	s_cbranch_scc1 .LBB55_5937
; %bb.5928:
	s_cmp_lt_i32 s3, 3
	s_cbranch_scc1 .LBB55_5934
; %bb.5929:
	s_cmp_gt_i32 s3, 3
	s_cbranch_scc0 .LBB55_5931
; %bb.5930:
	s_wait_xcnt 0x0
	v_mov_b64_e32 v[6:7], 0
	s_mov_b32 s8, 0
	global_store_b64 v[4:5], v[6:7], off
.LBB55_5931:
	s_and_not1_b32 vcc_lo, exec_lo, s8
	s_cbranch_vccnz .LBB55_5933
; %bb.5932:
	s_wait_xcnt 0x0
	v_mov_b32_e32 v1, 0
	global_store_b32 v[4:5], v1, off
.LBB55_5933:
	s_mov_b32 s8, 0
.LBB55_5934:
	s_delay_alu instid0(SALU_CYCLE_1)
	s_and_not1_b32 vcc_lo, exec_lo, s8
	s_cbranch_vccnz .LBB55_5936
; %bb.5935:
	s_wait_xcnt 0x0
	v_mov_b32_e32 v1, 0
	global_store_b16 v[4:5], v1, off
.LBB55_5936:
	s_mov_b32 s8, 0
.LBB55_5937:
	s_delay_alu instid0(SALU_CYCLE_1)
	s_and_not1_b32 vcc_lo, exec_lo, s8
	s_cbranch_vccnz .LBB55_5942
; %bb.5938:
	s_cmp_gt_i32 s3, 0
	s_mov_b32 s8, -1
	s_cbranch_scc0 .LBB55_5940
; %bb.5939:
	s_wait_xcnt 0x0
	v_mov_b32_e32 v1, 0
	s_mov_b32 s8, 0
	global_store_b8 v[4:5], v1, off
.LBB55_5940:
	s_and_not1_b32 vcc_lo, exec_lo, s8
	s_cbranch_vccnz .LBB55_5942
; %bb.5941:
	s_wait_xcnt 0x0
	v_mov_b32_e32 v1, 0
	global_store_b8 v[4:5], v1, off
.LBB55_5942:
	s_mov_b32 s9, -1
.LBB55_5943:
	s_delay_alu instid0(SALU_CYCLE_1)
	s_and_not1_b32 vcc_lo, exec_lo, s9
	s_cbranch_vccnz .LBB55_6079
; %bb.5944:
	v_mov_b32_e32 v3, 0
	s_cmp_lt_i32 s3, 11
	s_delay_alu instid0(VALU_DEP_1)
	v_add_nc_u64_e32 v[2:3], s[4:5], v[2:3]
	s_cbranch_scc1 .LBB55_5992
; %bb.5945:
	s_mov_b32 s11, -1
	s_mov_b32 s10, 0
	s_cmp_gt_i32 s3, 25
	s_mov_b32 s9, 0
	s_mov_b32 s8, 0
	s_cbranch_scc0 .LBB55_5970
; %bb.5946:
	s_cmp_gt_i32 s3, 28
	s_cbranch_scc0 .LBB55_5959
; %bb.5947:
	s_cmp_gt_i32 s3, 43
	;; [unrolled: 3-line block ×3, first 2 shown]
	s_cbranch_scc0 .LBB55_5951
; %bb.5949:
	s_mov_b32 s8, -1
	s_mov_b32 s11, 0
	s_cmp_eq_u32 s3, 46
	s_cbranch_scc0 .LBB55_5951
; %bb.5950:
	s_wait_xcnt 0x0
	v_mov_b32_e32 v1, 0
	s_mov_b32 s8, 0
	s_mov_b32 s9, -1
	global_store_b32 v[2:3], v1, off
.LBB55_5951:
	s_and_b32 vcc_lo, exec_lo, s11
	s_cbranch_vccz .LBB55_5954
; %bb.5952:
	s_cmp_eq_u32 s3, 44
	s_mov_b32 s8, -1
	s_cbranch_scc0 .LBB55_5954
; %bb.5953:
	s_wait_xcnt 0x0
	v_mov_b32_e32 v1, 0
	s_mov_b32 s8, 0
	s_mov_b32 s9, -1
	global_store_b8 v[2:3], v1, off
.LBB55_5954:
	s_mov_b32 s11, 0
.LBB55_5955:
	s_delay_alu instid0(SALU_CYCLE_1)
	s_and_b32 vcc_lo, exec_lo, s11
	s_cbranch_vccz .LBB55_5958
; %bb.5956:
	s_cmp_eq_u32 s3, 29
	s_mov_b32 s8, -1
	s_cbranch_scc0 .LBB55_5958
; %bb.5957:
	s_wait_xcnt 0x0
	v_mov_b64_e32 v[4:5], 0
	s_mov_b32 s8, 0
	s_mov_b32 s9, -1
	global_store_b64 v[2:3], v[4:5], off
.LBB55_5958:
	s_mov_b32 s11, 0
.LBB55_5959:
	s_delay_alu instid0(SALU_CYCLE_1)
	s_and_b32 vcc_lo, exec_lo, s11
	s_cbranch_vccz .LBB55_5969
; %bb.5960:
	s_cmp_lt_i32 s3, 27
	s_mov_b32 s9, -1
	s_cbranch_scc1 .LBB55_5966
; %bb.5961:
	s_cmp_gt_i32 s3, 27
	s_cbranch_scc0 .LBB55_5963
; %bb.5962:
	s_wait_xcnt 0x0
	v_mov_b32_e32 v1, 0
	s_mov_b32 s9, 0
	global_store_b32 v[2:3], v1, off
.LBB55_5963:
	s_and_not1_b32 vcc_lo, exec_lo, s9
	s_cbranch_vccnz .LBB55_5965
; %bb.5964:
	s_wait_xcnt 0x0
	v_mov_b32_e32 v1, 0
	global_store_b16 v[2:3], v1, off
.LBB55_5965:
	s_mov_b32 s9, 0
.LBB55_5966:
	s_delay_alu instid0(SALU_CYCLE_1)
	s_and_not1_b32 vcc_lo, exec_lo, s9
	s_cbranch_vccnz .LBB55_5968
; %bb.5967:
	s_wait_xcnt 0x0
	v_mov_b32_e32 v1, 0
	global_store_b8 v[2:3], v1, off
.LBB55_5968:
	s_mov_b32 s9, -1
.LBB55_5969:
	s_mov_b32 s11, 0
.LBB55_5970:
	s_delay_alu instid0(SALU_CYCLE_1)
	s_and_b32 vcc_lo, exec_lo, s11
	s_cbranch_vccz .LBB55_5988
; %bb.5971:
	s_cmp_gt_i32 s3, 22
	s_mov_b32 s10, -1
	s_cbranch_scc0 .LBB55_5981
; %bb.5972:
	s_cmp_lt_i32 s3, 24
	s_mov_b32 s9, -1
	s_cbranch_scc1 .LBB55_5978
; %bb.5973:
	s_cmp_gt_i32 s3, 24
	s_cbranch_scc0 .LBB55_5975
; %bb.5974:
	s_wait_xcnt 0x0
	v_mov_b32_e32 v1, 0
	s_mov_b32 s9, 0
	global_store_b8 v[2:3], v1, off
.LBB55_5975:
	s_and_not1_b32 vcc_lo, exec_lo, s9
	s_cbranch_vccnz .LBB55_5977
; %bb.5976:
	s_wait_xcnt 0x0
	v_mov_b32_e32 v1, 0
	global_store_b8 v[2:3], v1, off
.LBB55_5977:
	s_mov_b32 s9, 0
.LBB55_5978:
	s_delay_alu instid0(SALU_CYCLE_1)
	s_and_not1_b32 vcc_lo, exec_lo, s9
	s_cbranch_vccnz .LBB55_5980
; %bb.5979:
	s_wait_xcnt 0x0
	v_mov_b32_e32 v1, 0
	global_store_b8 v[2:3], v1, off
.LBB55_5980:
	s_mov_b32 s10, 0
	s_mov_b32 s9, -1
.LBB55_5981:
	s_and_not1_b32 vcc_lo, exec_lo, s10
	s_mov_b32 s10, 0
	s_cbranch_vccnz .LBB55_5988
; %bb.5982:
	s_cmp_gt_i32 s3, 14
	s_mov_b32 s10, -1
	s_cbranch_scc0 .LBB55_5986
; %bb.5983:
	s_cmp_eq_u32 s3, 15
	s_mov_b32 s8, -1
	s_cbranch_scc0 .LBB55_5985
; %bb.5984:
	s_wait_xcnt 0x0
	v_mov_b32_e32 v1, 0
	s_mov_b32 s8, 0
	s_mov_b32 s9, -1
	global_store_b16 v[2:3], v1, off
.LBB55_5985:
	s_mov_b32 s10, 0
.LBB55_5986:
	s_delay_alu instid0(SALU_CYCLE_1)
	s_and_b32 vcc_lo, exec_lo, s10
	s_mov_b32 s10, 0
	s_cbranch_vccz .LBB55_5988
; %bb.5987:
	s_cmp_lg_u32 s3, 11
	s_mov_b32 s10, -1
	s_cselect_b32 s8, -1, 0
.LBB55_5988:
	s_delay_alu instid0(SALU_CYCLE_1)
	s_and_b32 vcc_lo, exec_lo, s8
	s_cbranch_vccnz .LBB55_6090
; %bb.5989:
	s_and_not1_b32 vcc_lo, exec_lo, s10
	s_cbranch_vccnz .LBB55_5991
.LBB55_5990:
	s_wait_xcnt 0x0
	v_mov_b32_e32 v1, 0
	s_mov_b32 s9, -1
	global_store_b8 v[2:3], v1, off
.LBB55_5991:
	s_mov_b32 s8, 0
	s_branch .LBB55_5993
.LBB55_5992:
	s_mov_b32 s8, -1
	s_mov_b32 s9, 0
.LBB55_5993:
	s_and_b32 vcc_lo, exec_lo, s8
	s_cbranch_vccz .LBB55_6032
; %bb.5994:
	s_cmp_lt_i32 s3, 5
	s_mov_b32 s8, -1
	s_cbranch_scc1 .LBB55_6015
; %bb.5995:
	s_cmp_lt_i32 s3, 8
	s_cbranch_scc1 .LBB55_6005
; %bb.5996:
	s_cmp_lt_i32 s3, 9
	s_cbranch_scc1 .LBB55_6002
; %bb.5997:
	s_cmp_gt_i32 s3, 9
	s_cbranch_scc0 .LBB55_5999
; %bb.5998:
	s_wait_xcnt 0x0
	v_mov_b32_e32 v4, 0
	s_mov_b32 s8, 0
	s_delay_alu instid0(VALU_DEP_1)
	v_dual_mov_b32 v5, v4 :: v_dual_mov_b32 v6, v4
	v_mov_b32_e32 v7, v4
	global_store_b128 v[2:3], v[4:7], off
.LBB55_5999:
	s_and_not1_b32 vcc_lo, exec_lo, s8
	s_cbranch_vccnz .LBB55_6001
; %bb.6000:
	s_wait_xcnt 0x0
	v_mov_b64_e32 v[4:5], 0
	global_store_b64 v[2:3], v[4:5], off
.LBB55_6001:
	s_mov_b32 s8, 0
.LBB55_6002:
	s_delay_alu instid0(SALU_CYCLE_1)
	s_and_not1_b32 vcc_lo, exec_lo, s8
	s_cbranch_vccnz .LBB55_6004
; %bb.6003:
	s_wait_xcnt 0x0
	v_mov_b32_e32 v1, 0
	global_store_b32 v[2:3], v1, off
.LBB55_6004:
	s_mov_b32 s8, 0
.LBB55_6005:
	s_delay_alu instid0(SALU_CYCLE_1)
	s_and_not1_b32 vcc_lo, exec_lo, s8
	s_cbranch_vccnz .LBB55_6014
; %bb.6006:
	s_cmp_lt_i32 s3, 6
	s_mov_b32 s8, -1
	s_cbranch_scc1 .LBB55_6012
; %bb.6007:
	s_cmp_gt_i32 s3, 6
	s_cbranch_scc0 .LBB55_6009
; %bb.6008:
	s_wait_xcnt 0x0
	v_mov_b64_e32 v[4:5], 0
	s_mov_b32 s8, 0
	global_store_b64 v[2:3], v[4:5], off
.LBB55_6009:
	s_and_not1_b32 vcc_lo, exec_lo, s8
	s_cbranch_vccnz .LBB55_6011
; %bb.6010:
	s_wait_xcnt 0x0
	v_mov_b32_e32 v1, 0
	global_store_b32 v[2:3], v1, off
.LBB55_6011:
	s_mov_b32 s8, 0
.LBB55_6012:
	s_delay_alu instid0(SALU_CYCLE_1)
	s_and_not1_b32 vcc_lo, exec_lo, s8
	s_cbranch_vccnz .LBB55_6014
; %bb.6013:
	s_wait_xcnt 0x0
	v_mov_b32_e32 v1, 0
	global_store_b16 v[2:3], v1, off
.LBB55_6014:
	s_mov_b32 s8, 0
.LBB55_6015:
	s_delay_alu instid0(SALU_CYCLE_1)
	s_and_not1_b32 vcc_lo, exec_lo, s8
	s_cbranch_vccnz .LBB55_6031
; %bb.6016:
	s_cmp_lt_i32 s3, 2
	s_mov_b32 s8, -1
	s_cbranch_scc1 .LBB55_6026
; %bb.6017:
	s_cmp_lt_i32 s3, 3
	s_cbranch_scc1 .LBB55_6023
; %bb.6018:
	s_cmp_gt_i32 s3, 3
	s_cbranch_scc0 .LBB55_6020
; %bb.6019:
	s_wait_xcnt 0x0
	v_mov_b64_e32 v[4:5], 0
	s_mov_b32 s8, 0
	global_store_b64 v[2:3], v[4:5], off
.LBB55_6020:
	s_and_not1_b32 vcc_lo, exec_lo, s8
	s_cbranch_vccnz .LBB55_6022
; %bb.6021:
	s_wait_xcnt 0x0
	v_mov_b32_e32 v1, 0
	global_store_b32 v[2:3], v1, off
.LBB55_6022:
	s_mov_b32 s8, 0
.LBB55_6023:
	s_delay_alu instid0(SALU_CYCLE_1)
	s_and_not1_b32 vcc_lo, exec_lo, s8
	s_cbranch_vccnz .LBB55_6025
; %bb.6024:
	s_wait_xcnt 0x0
	v_mov_b32_e32 v1, 0
	global_store_b16 v[2:3], v1, off
.LBB55_6025:
	s_mov_b32 s8, 0
.LBB55_6026:
	s_delay_alu instid0(SALU_CYCLE_1)
	s_and_not1_b32 vcc_lo, exec_lo, s8
	s_cbranch_vccnz .LBB55_6031
; %bb.6027:
	s_cmp_gt_i32 s3, 0
	s_mov_b32 s8, -1
	s_cbranch_scc0 .LBB55_6029
; %bb.6028:
	s_wait_xcnt 0x0
	v_mov_b32_e32 v1, 0
	s_mov_b32 s8, 0
	global_store_b8 v[2:3], v1, off
.LBB55_6029:
	s_and_not1_b32 vcc_lo, exec_lo, s8
	s_cbranch_vccnz .LBB55_6031
; %bb.6030:
	s_wait_xcnt 0x0
	v_mov_b32_e32 v1, 0
	global_store_b8 v[2:3], v1, off
.LBB55_6031:
	s_mov_b32 s9, -1
.LBB55_6032:
	s_delay_alu instid0(SALU_CYCLE_1)
	s_and_not1_b32 vcc_lo, exec_lo, s9
	s_cbranch_vccnz .LBB55_6079
; %bb.6033:
	s_wait_xcnt 0x0
	v_mov_b32_e32 v1, 0
	s_cmp_lt_i32 s3, 11
	s_delay_alu instid0(VALU_DEP_1)
	v_add_nc_u64_e32 v[38:39], s[4:5], v[0:1]
	s_cbranch_scc1 .LBB55_6085
; %bb.6034:
	s_mov_b32 s8, -1
	s_mov_b32 s4, 0
	s_cmp_gt_i32 s3, 25
	s_mov_b32 s5, 0
	s_cbranch_scc0 .LBB55_6059
; %bb.6035:
	s_cmp_gt_i32 s3, 28
	s_cbranch_scc0 .LBB55_6049
; %bb.6036:
	s_cmp_gt_i32 s3, 43
	;; [unrolled: 3-line block ×3, first 2 shown]
	s_cbranch_scc0 .LBB55_6041
; %bb.6038:
	s_cmp_eq_u32 s3, 46
	s_mov_b32 s5, -1
	s_cbranch_scc0 .LBB55_6040
; %bb.6039:
	v_mov_b32_e32 v0, 0
	s_mov_b32 s5, 0
	global_store_b32 v[38:39], v0, off
.LBB55_6040:
	s_mov_b32 s8, 0
.LBB55_6041:
	s_delay_alu instid0(SALU_CYCLE_1)
	s_and_b32 vcc_lo, exec_lo, s8
	s_cbranch_vccz .LBB55_6044
; %bb.6042:
	s_cmp_eq_u32 s3, 44
	s_mov_b32 s5, -1
	s_cbranch_scc0 .LBB55_6044
; %bb.6043:
	s_wait_xcnt 0x0
	v_mov_b32_e32 v0, 0
	s_mov_b32 s5, 0
	global_store_b8 v[38:39], v0, off
.LBB55_6044:
	s_mov_b32 s8, 0
.LBB55_6045:
	s_delay_alu instid0(SALU_CYCLE_1)
	s_and_b32 vcc_lo, exec_lo, s8
	s_cbranch_vccz .LBB55_6048
; %bb.6046:
	s_cmp_eq_u32 s3, 29
	s_mov_b32 s5, -1
	s_cbranch_scc0 .LBB55_6048
; %bb.6047:
	s_wait_xcnt 0x0
	v_mov_b64_e32 v[0:1], 0
	s_mov_b32 s5, 0
	global_store_b64 v[38:39], v[0:1], off
.LBB55_6048:
	s_mov_b32 s8, 0
.LBB55_6049:
	s_delay_alu instid0(SALU_CYCLE_1)
	s_and_b32 vcc_lo, exec_lo, s8
	s_cbranch_vccz .LBB55_6058
; %bb.6050:
	s_cmp_lt_i32 s3, 27
	s_mov_b32 s8, -1
	s_cbranch_scc1 .LBB55_6056
; %bb.6051:
	s_cmp_gt_i32 s3, 27
	s_cbranch_scc0 .LBB55_6053
; %bb.6052:
	s_wait_xcnt 0x0
	v_mov_b32_e32 v0, 0
	s_mov_b32 s8, 0
	global_store_b32 v[38:39], v0, off
.LBB55_6053:
	s_and_not1_b32 vcc_lo, exec_lo, s8
	s_cbranch_vccnz .LBB55_6055
; %bb.6054:
	s_wait_xcnt 0x0
	v_mov_b32_e32 v0, 0
	global_store_b16 v[38:39], v0, off
.LBB55_6055:
	s_mov_b32 s8, 0
.LBB55_6056:
	s_delay_alu instid0(SALU_CYCLE_1)
	s_and_not1_b32 vcc_lo, exec_lo, s8
	s_cbranch_vccnz .LBB55_6058
; %bb.6057:
	s_wait_xcnt 0x0
	v_mov_b32_e32 v0, 0
	global_store_b8 v[38:39], v0, off
.LBB55_6058:
	s_mov_b32 s8, 0
.LBB55_6059:
	s_delay_alu instid0(SALU_CYCLE_1)
	s_and_b32 vcc_lo, exec_lo, s8
	s_cbranch_vccz .LBB55_6077
; %bb.6060:
	s_cmp_gt_i32 s3, 22
	s_mov_b32 s4, -1
	s_cbranch_scc0 .LBB55_6070
; %bb.6061:
	s_cmp_lt_i32 s3, 24
	s_cbranch_scc1 .LBB55_6067
; %bb.6062:
	s_cmp_gt_i32 s3, 24
	s_cbranch_scc0 .LBB55_6064
; %bb.6063:
	s_wait_xcnt 0x0
	v_mov_b32_e32 v0, 0
	s_mov_b32 s4, 0
	global_store_b8 v[38:39], v0, off
.LBB55_6064:
	s_and_not1_b32 vcc_lo, exec_lo, s4
	s_cbranch_vccnz .LBB55_6066
; %bb.6065:
	s_wait_xcnt 0x0
	v_mov_b32_e32 v0, 0
	global_store_b8 v[38:39], v0, off
.LBB55_6066:
	s_mov_b32 s4, 0
.LBB55_6067:
	s_delay_alu instid0(SALU_CYCLE_1)
	s_and_not1_b32 vcc_lo, exec_lo, s4
	s_cbranch_vccnz .LBB55_6069
; %bb.6068:
	s_wait_xcnt 0x0
	v_mov_b32_e32 v0, 0
	global_store_b8 v[38:39], v0, off
.LBB55_6069:
	s_mov_b32 s4, 0
.LBB55_6070:
	s_delay_alu instid0(SALU_CYCLE_1)
	s_and_not1_b32 vcc_lo, exec_lo, s4
	s_mov_b32 s4, 0
	s_cbranch_vccnz .LBB55_6077
; %bb.6071:
	s_cmp_gt_i32 s3, 14
	s_mov_b32 s4, -1
	s_cbranch_scc0 .LBB55_6075
; %bb.6072:
	s_cmp_eq_u32 s3, 15
	s_mov_b32 s5, -1
	s_cbranch_scc0 .LBB55_6074
; %bb.6073:
	s_wait_xcnt 0x0
	v_mov_b32_e32 v0, 0
	s_mov_b32 s5, 0
	global_store_b16 v[38:39], v0, off
.LBB55_6074:
	s_mov_b32 s4, 0
.LBB55_6075:
	s_delay_alu instid0(SALU_CYCLE_1)
	s_and_b32 vcc_lo, exec_lo, s4
	s_mov_b32 s4, 0
	s_cbranch_vccz .LBB55_6077
; %bb.6076:
	s_cmp_lg_u32 s3, 11
	s_mov_b32 s4, -1
	s_cselect_b32 s5, -1, 0
.LBB55_6077:
	s_delay_alu instid0(SALU_CYCLE_1)
	s_and_b32 vcc_lo, exec_lo, s5
	s_cbranch_vccnz .LBB55_6092
.LBB55_6078:
	s_mov_b32 s3, 0
	s_branch .LBB55_6080
.LBB55_6079:
	s_mov_b32 s3, 0
	s_mov_b32 s4, 0
                                        ; implicit-def: $vgpr38_vgpr39
                                        ; implicit-def: $sgpr0
.LBB55_6080:
	s_and_b32 s9, s3, exec_lo
	s_and_not1_b32 s3, s6, exec_lo
	s_and_b32 s2, s2, exec_lo
	s_and_b32 s8, s4, exec_lo
	s_or_b32 s6, s3, s2
.LBB55_6081:
	s_wait_xcnt 0x0
	s_or_b32 exec_lo, exec_lo, s7
	s_delay_alu instid0(SALU_CYCLE_1)
	s_and_not1_b32 s2, s20, exec_lo
	s_and_b32 s3, s6, exec_lo
	s_and_b32 s7, s9, exec_lo
	;; [unrolled: 1-line block ×3, first 2 shown]
	s_or_b32 s20, s2, s3
.LBB55_6082:
	s_or_b32 exec_lo, exec_lo, s29
	s_delay_alu instid0(SALU_CYCLE_1)
	s_and_not1_b32 s2, s27, exec_lo
	s_and_b32 s3, s20, exec_lo
	s_and_b32 s7, s7, exec_lo
	;; [unrolled: 1-line block ×3, first 2 shown]
	s_or_b32 s27, s2, s3
.LBB55_6083:
	s_or_b32 exec_lo, exec_lo, s28
	s_delay_alu instid0(SALU_CYCLE_1)
	s_and_not1_b32 s2, s25, exec_lo
	s_and_b32 s3, s27, exec_lo
	s_and_b32 s7, s7, exec_lo
	;; [unrolled: 1-line block ×3, first 2 shown]
	s_or_b32 s25, s2, s3
.LBB55_6084:
	s_or_b32 exec_lo, exec_lo, s26
	s_branch .LBB55_5747
.LBB55_6085:
	s_mov_b32 s4, 0
	s_mov_b32 s3, -1
	s_branch .LBB55_6080
.LBB55_6086:
	s_or_b32 s8, s20, exec_lo
	s_xor_b32 s7, exec_lo, -1
	s_trap 2
	s_branch .LBB55_5763
.LBB55_6087:
	s_or_b32 s2, s6, exec_lo
	s_trap 2
	s_cbranch_execz .LBB55_5811
	s_branch .LBB55_5812
.LBB55_6088:
	s_or_b32 s2, s2, exec_lo
	s_trap 2
	s_cbranch_execz .LBB55_5901
	s_branch .LBB55_5902
.LBB55_6089:
	s_or_b32 s25, s25, exec_lo
	s_trap 2
                                        ; implicit-def: $vgpr16
                                        ; implicit-def: $vgpr12
                                        ; implicit-def: $vgpr10
                                        ; implicit-def: $vgpr14
                                        ; implicit-def: $vgpr5
                                        ; implicit-def: $vgpr6
                                        ; implicit-def: $vgpr4
                                        ; implicit-def: $vgpr2
                                        ; implicit-def: $vgpr0
                                        ; implicit-def: $vgpr1
                                        ; implicit-def: $vgpr3
	s_branch .LBB55_5739
.LBB55_6090:
	s_or_b32 s2, s2, exec_lo
	s_trap 2
	s_cbranch_execz .LBB55_5990
	s_branch .LBB55_5991
.LBB55_6091:
	s_or_b32 s27, s25, exec_lo
	s_trap 2
                                        ; implicit-def: $vgpr12
                                        ; implicit-def: $vgpr10
                                        ; implicit-def: $vgpr14
                                        ; implicit-def: $vgpr5
                                        ; implicit-def: $vgpr6
                                        ; implicit-def: $vgpr4
                                        ; implicit-def: $vgpr2
                                        ; implicit-def: $vgpr0
                                        ; implicit-def: $vgpr1
	s_or_saveexec_b32 s28, s0
                                        ; implicit-def: $vgpr38_vgpr39
                                        ; implicit-def: $sgpr0
	s_delay_alu instid0(SALU_CYCLE_1)
	s_xor_b32 exec_lo, exec_lo, s28
	s_cbranch_execz .LBB55_6083
	s_branch .LBB55_5742
.LBB55_6092:
	s_mov_b32 s4, 0
	s_or_b32 s2, s2, exec_lo
	s_trap 2
	s_branch .LBB55_6078
.LBB55_6093:
	s_or_b32 s20, s27, exec_lo
	s_trap 2
                                        ; implicit-def: $vgpr10
                                        ; implicit-def: $vgpr12
                                        ; implicit-def: $vgpr5
                                        ; implicit-def: $vgpr0
                                        ; implicit-def: $vgpr6
                                        ; implicit-def: $vgpr4
                                        ; implicit-def: $vgpr14
                                        ; implicit-def: $vgpr2
	s_or_saveexec_b32 s29, s0
	s_mov_b32 s6, 0
                                        ; implicit-def: $vgpr38_vgpr39
                                        ; implicit-def: $sgpr0
	s_xor_b32 exec_lo, exec_lo, s29
	s_cbranch_execz .LBB55_6082
	s_branch .LBB55_5744
	.section	.rodata,"a",@progbits
	.p2align	6, 0x0
	.amdhsa_kernel _ZN2at6native32elementwise_kernel_manual_unrollILi128ELi4EZNS0_15gpu_kernel_implIZZZNS0_12_GLOBAL__N_142_validate_compressed_sparse_indices_kernelILNS3_8CDimNameE0ENS3_18CUDAKernelLauncherENS3_14EmptyVecKernelENS3_8DummyVecELm0EEEvRKNS_6TensorESB_lllENKUlvE1_clEvENKUlvE_clEvEUliiiiiE_EEvRNS_18TensorIteratorBaseERKT_EUlibE0_EEviT1_
		.amdhsa_group_segment_fixed_size 0
		.amdhsa_private_segment_fixed_size 0
		.amdhsa_kernarg_size 704
		.amdhsa_user_sgpr_count 2
		.amdhsa_user_sgpr_dispatch_ptr 0
		.amdhsa_user_sgpr_queue_ptr 0
		.amdhsa_user_sgpr_kernarg_segment_ptr 1
		.amdhsa_user_sgpr_dispatch_id 0
		.amdhsa_user_sgpr_kernarg_preload_length 0
		.amdhsa_user_sgpr_kernarg_preload_offset 0
		.amdhsa_user_sgpr_private_segment_size 0
		.amdhsa_wavefront_size32 1
		.amdhsa_uses_dynamic_stack 0
		.amdhsa_enable_private_segment 0
		.amdhsa_system_sgpr_workgroup_id_x 1
		.amdhsa_system_sgpr_workgroup_id_y 0
		.amdhsa_system_sgpr_workgroup_id_z 0
		.amdhsa_system_sgpr_workgroup_info 0
		.amdhsa_system_vgpr_workitem_id 0
		.amdhsa_next_free_vgpr 62
		.amdhsa_next_free_sgpr 105
		.amdhsa_named_barrier_count 0
		.amdhsa_reserve_vcc 1
		.amdhsa_float_round_mode_32 0
		.amdhsa_float_round_mode_16_64 0
		.amdhsa_float_denorm_mode_32 3
		.amdhsa_float_denorm_mode_16_64 3
		.amdhsa_fp16_overflow 0
		.amdhsa_memory_ordered 1
		.amdhsa_forward_progress 1
		.amdhsa_inst_pref_size 255
		.amdhsa_round_robin_scheduling 0
		.amdhsa_exception_fp_ieee_invalid_op 0
		.amdhsa_exception_fp_denorm_src 0
		.amdhsa_exception_fp_ieee_div_zero 0
		.amdhsa_exception_fp_ieee_overflow 0
		.amdhsa_exception_fp_ieee_underflow 0
		.amdhsa_exception_fp_ieee_inexact 0
		.amdhsa_exception_int_div_zero 0
	.end_amdhsa_kernel
	.section	.text._ZN2at6native32elementwise_kernel_manual_unrollILi128ELi4EZNS0_15gpu_kernel_implIZZZNS0_12_GLOBAL__N_142_validate_compressed_sparse_indices_kernelILNS3_8CDimNameE0ENS3_18CUDAKernelLauncherENS3_14EmptyVecKernelENS3_8DummyVecELm0EEEvRKNS_6TensorESB_lllENKUlvE1_clEvENKUlvE_clEvEUliiiiiE_EEvRNS_18TensorIteratorBaseERKT_EUlibE0_EEviT1_,"axG",@progbits,_ZN2at6native32elementwise_kernel_manual_unrollILi128ELi4EZNS0_15gpu_kernel_implIZZZNS0_12_GLOBAL__N_142_validate_compressed_sparse_indices_kernelILNS3_8CDimNameE0ENS3_18CUDAKernelLauncherENS3_14EmptyVecKernelENS3_8DummyVecELm0EEEvRKNS_6TensorESB_lllENKUlvE1_clEvENKUlvE_clEvEUliiiiiE_EEvRNS_18TensorIteratorBaseERKT_EUlibE0_EEviT1_,comdat
.Lfunc_end55:
	.size	_ZN2at6native32elementwise_kernel_manual_unrollILi128ELi4EZNS0_15gpu_kernel_implIZZZNS0_12_GLOBAL__N_142_validate_compressed_sparse_indices_kernelILNS3_8CDimNameE0ENS3_18CUDAKernelLauncherENS3_14EmptyVecKernelENS3_8DummyVecELm0EEEvRKNS_6TensorESB_lllENKUlvE1_clEvENKUlvE_clEvEUliiiiiE_EEvRNS_18TensorIteratorBaseERKT_EUlibE0_EEviT1_, .Lfunc_end55-_ZN2at6native32elementwise_kernel_manual_unrollILi128ELi4EZNS0_15gpu_kernel_implIZZZNS0_12_GLOBAL__N_142_validate_compressed_sparse_indices_kernelILNS3_8CDimNameE0ENS3_18CUDAKernelLauncherENS3_14EmptyVecKernelENS3_8DummyVecELm0EEEvRKNS_6TensorESB_lllENKUlvE1_clEvENKUlvE_clEvEUliiiiiE_EEvRNS_18TensorIteratorBaseERKT_EUlibE0_EEviT1_
                                        ; -- End function
	.set _ZN2at6native32elementwise_kernel_manual_unrollILi128ELi4EZNS0_15gpu_kernel_implIZZZNS0_12_GLOBAL__N_142_validate_compressed_sparse_indices_kernelILNS3_8CDimNameE0ENS3_18CUDAKernelLauncherENS3_14EmptyVecKernelENS3_8DummyVecELm0EEEvRKNS_6TensorESB_lllENKUlvE1_clEvENKUlvE_clEvEUliiiiiE_EEvRNS_18TensorIteratorBaseERKT_EUlibE0_EEviT1_.num_vgpr, 62
	.set _ZN2at6native32elementwise_kernel_manual_unrollILi128ELi4EZNS0_15gpu_kernel_implIZZZNS0_12_GLOBAL__N_142_validate_compressed_sparse_indices_kernelILNS3_8CDimNameE0ENS3_18CUDAKernelLauncherENS3_14EmptyVecKernelENS3_8DummyVecELm0EEEvRKNS_6TensorESB_lllENKUlvE1_clEvENKUlvE_clEvEUliiiiiE_EEvRNS_18TensorIteratorBaseERKT_EUlibE0_EEviT1_.num_agpr, 0
	.set _ZN2at6native32elementwise_kernel_manual_unrollILi128ELi4EZNS0_15gpu_kernel_implIZZZNS0_12_GLOBAL__N_142_validate_compressed_sparse_indices_kernelILNS3_8CDimNameE0ENS3_18CUDAKernelLauncherENS3_14EmptyVecKernelENS3_8DummyVecELm0EEEvRKNS_6TensorESB_lllENKUlvE1_clEvENKUlvE_clEvEUliiiiiE_EEvRNS_18TensorIteratorBaseERKT_EUlibE0_EEviT1_.numbered_sgpr, 105
	.set _ZN2at6native32elementwise_kernel_manual_unrollILi128ELi4EZNS0_15gpu_kernel_implIZZZNS0_12_GLOBAL__N_142_validate_compressed_sparse_indices_kernelILNS3_8CDimNameE0ENS3_18CUDAKernelLauncherENS3_14EmptyVecKernelENS3_8DummyVecELm0EEEvRKNS_6TensorESB_lllENKUlvE1_clEvENKUlvE_clEvEUliiiiiE_EEvRNS_18TensorIteratorBaseERKT_EUlibE0_EEviT1_.num_named_barrier, 0
	.set _ZN2at6native32elementwise_kernel_manual_unrollILi128ELi4EZNS0_15gpu_kernel_implIZZZNS0_12_GLOBAL__N_142_validate_compressed_sparse_indices_kernelILNS3_8CDimNameE0ENS3_18CUDAKernelLauncherENS3_14EmptyVecKernelENS3_8DummyVecELm0EEEvRKNS_6TensorESB_lllENKUlvE1_clEvENKUlvE_clEvEUliiiiiE_EEvRNS_18TensorIteratorBaseERKT_EUlibE0_EEviT1_.private_seg_size, 0
	.set _ZN2at6native32elementwise_kernel_manual_unrollILi128ELi4EZNS0_15gpu_kernel_implIZZZNS0_12_GLOBAL__N_142_validate_compressed_sparse_indices_kernelILNS3_8CDimNameE0ENS3_18CUDAKernelLauncherENS3_14EmptyVecKernelENS3_8DummyVecELm0EEEvRKNS_6TensorESB_lllENKUlvE1_clEvENKUlvE_clEvEUliiiiiE_EEvRNS_18TensorIteratorBaseERKT_EUlibE0_EEviT1_.uses_vcc, 1
	.set _ZN2at6native32elementwise_kernel_manual_unrollILi128ELi4EZNS0_15gpu_kernel_implIZZZNS0_12_GLOBAL__N_142_validate_compressed_sparse_indices_kernelILNS3_8CDimNameE0ENS3_18CUDAKernelLauncherENS3_14EmptyVecKernelENS3_8DummyVecELm0EEEvRKNS_6TensorESB_lllENKUlvE1_clEvENKUlvE_clEvEUliiiiiE_EEvRNS_18TensorIteratorBaseERKT_EUlibE0_EEviT1_.uses_flat_scratch, 0
	.set _ZN2at6native32elementwise_kernel_manual_unrollILi128ELi4EZNS0_15gpu_kernel_implIZZZNS0_12_GLOBAL__N_142_validate_compressed_sparse_indices_kernelILNS3_8CDimNameE0ENS3_18CUDAKernelLauncherENS3_14EmptyVecKernelENS3_8DummyVecELm0EEEvRKNS_6TensorESB_lllENKUlvE1_clEvENKUlvE_clEvEUliiiiiE_EEvRNS_18TensorIteratorBaseERKT_EUlibE0_EEviT1_.has_dyn_sized_stack, 0
	.set _ZN2at6native32elementwise_kernel_manual_unrollILi128ELi4EZNS0_15gpu_kernel_implIZZZNS0_12_GLOBAL__N_142_validate_compressed_sparse_indices_kernelILNS3_8CDimNameE0ENS3_18CUDAKernelLauncherENS3_14EmptyVecKernelENS3_8DummyVecELm0EEEvRKNS_6TensorESB_lllENKUlvE1_clEvENKUlvE_clEvEUliiiiiE_EEvRNS_18TensorIteratorBaseERKT_EUlibE0_EEviT1_.has_recursion, 0
	.set _ZN2at6native32elementwise_kernel_manual_unrollILi128ELi4EZNS0_15gpu_kernel_implIZZZNS0_12_GLOBAL__N_142_validate_compressed_sparse_indices_kernelILNS3_8CDimNameE0ENS3_18CUDAKernelLauncherENS3_14EmptyVecKernelENS3_8DummyVecELm0EEEvRKNS_6TensorESB_lllENKUlvE1_clEvENKUlvE_clEvEUliiiiiE_EEvRNS_18TensorIteratorBaseERKT_EUlibE0_EEviT1_.has_indirect_call, 0
	.section	.AMDGPU.csdata,"",@progbits
; Kernel info:
; codeLenInByte = 114412
; TotalNumSgprs: 107
; NumVgprs: 62
; ScratchSize: 0
; MemoryBound: 1
; FloatMode: 240
; IeeeMode: 1
; LDSByteSize: 0 bytes/workgroup (compile time only)
; SGPRBlocks: 0
; VGPRBlocks: 3
; NumSGPRsForWavesPerEU: 107
; NumVGPRsForWavesPerEU: 62
; NamedBarCnt: 0
; Occupancy: 16
; WaveLimiterHint : 1
; COMPUTE_PGM_RSRC2:SCRATCH_EN: 0
; COMPUTE_PGM_RSRC2:USER_SGPR: 2
; COMPUTE_PGM_RSRC2:TRAP_HANDLER: 0
; COMPUTE_PGM_RSRC2:TGID_X_EN: 1
; COMPUTE_PGM_RSRC2:TGID_Y_EN: 0
; COMPUTE_PGM_RSRC2:TGID_Z_EN: 0
; COMPUTE_PGM_RSRC2:TIDIG_COMP_CNT: 0
	.section	.text._ZN2at6native29vectorized_elementwise_kernelILi16EZZZNS0_12_GLOBAL__N_142_validate_compressed_sparse_indices_kernelILNS2_8CDimNameE0ENS2_18CUDAKernelLauncherENS2_14EmptyVecKernelENS2_8DummyVecELm0EEEvRKNS_6TensorESA_lllENKUlvE1_clEvENKUlvE0_clEvEUllllllE_St5arrayIPcLm6EEEEviT0_T1_,"axG",@progbits,_ZN2at6native29vectorized_elementwise_kernelILi16EZZZNS0_12_GLOBAL__N_142_validate_compressed_sparse_indices_kernelILNS2_8CDimNameE0ENS2_18CUDAKernelLauncherENS2_14EmptyVecKernelENS2_8DummyVecELm0EEEvRKNS_6TensorESA_lllENKUlvE1_clEvENKUlvE0_clEvEUllllllE_St5arrayIPcLm6EEEEviT0_T1_,comdat
	.globl	_ZN2at6native29vectorized_elementwise_kernelILi16EZZZNS0_12_GLOBAL__N_142_validate_compressed_sparse_indices_kernelILNS2_8CDimNameE0ENS2_18CUDAKernelLauncherENS2_14EmptyVecKernelENS2_8DummyVecELm0EEEvRKNS_6TensorESA_lllENKUlvE1_clEvENKUlvE0_clEvEUllllllE_St5arrayIPcLm6EEEEviT0_T1_ ; -- Begin function _ZN2at6native29vectorized_elementwise_kernelILi16EZZZNS0_12_GLOBAL__N_142_validate_compressed_sparse_indices_kernelILNS2_8CDimNameE0ENS2_18CUDAKernelLauncherENS2_14EmptyVecKernelENS2_8DummyVecELm0EEEvRKNS_6TensorESA_lllENKUlvE1_clEvENKUlvE0_clEvEUllllllE_St5arrayIPcLm6EEEEviT0_T1_
	.p2align	8
	.type	_ZN2at6native29vectorized_elementwise_kernelILi16EZZZNS0_12_GLOBAL__N_142_validate_compressed_sparse_indices_kernelILNS2_8CDimNameE0ENS2_18CUDAKernelLauncherENS2_14EmptyVecKernelENS2_8DummyVecELm0EEEvRKNS_6TensorESA_lllENKUlvE1_clEvENKUlvE0_clEvEUllllllE_St5arrayIPcLm6EEEEviT0_T1_,@function
_ZN2at6native29vectorized_elementwise_kernelILi16EZZZNS0_12_GLOBAL__N_142_validate_compressed_sparse_indices_kernelILNS2_8CDimNameE0ENS2_18CUDAKernelLauncherENS2_14EmptyVecKernelENS2_8DummyVecELm0EEEvRKNS_6TensorESA_lllENKUlvE1_clEvENKUlvE0_clEvEUllllllE_St5arrayIPcLm6EEEEviT0_T1_: ; @_ZN2at6native29vectorized_elementwise_kernelILi16EZZZNS0_12_GLOBAL__N_142_validate_compressed_sparse_indices_kernelILNS2_8CDimNameE0ENS2_18CUDAKernelLauncherENS2_14EmptyVecKernelENS2_8DummyVecELm0EEEvRKNS_6TensorESA_lllENKUlvE1_clEvENKUlvE0_clEvEUllllllE_St5arrayIPcLm6EEEEviT0_T1_
; %bb.0:
	s_clause 0x3
	s_load_b32 s3, s[0:1], 0x0
	s_load_b512 s[4:19], s[0:1], 0x8
	s_load_b64 s[28:29], s[0:1], 0x68
	s_load_b256 s[20:27], s[0:1], 0x48
	s_wait_xcnt 0x0
	s_bfe_u32 s0, ttmp6, 0x4000c
	s_and_b32 s1, ttmp6, 15
	s_add_co_i32 s0, s0, 1
	s_getreg_b32 s2, hwreg(HW_REG_IB_STS2, 6, 4)
	s_mul_i32 s0, ttmp9, s0
	s_mov_b32 s33, 0
	s_add_co_i32 s1, s1, s0
	s_cmp_eq_u32 s2, 0
	s_get_pc_i64 s[30:31]
	s_add_nc_u64 s[30:31], s[30:31], .str.1@rel64+4
	s_cselect_b32 s0, ttmp9, s1
	s_delay_alu instid0(SALU_CYCLE_1)
	s_lshl_b32 s2, s0, 10
	s_mov_b32 s0, -1
	s_wait_kmcnt 0x0
	s_sub_co_i32 s11, s3, s2
	s_mov_b32 s3, 0
	s_cmp_gt_i32 s11, 0x3ff
	s_cbranch_scc0 .LBB56_77
; %bb.1:
	s_cmp_eq_u64 s[30:31], 0
	s_cselect_b32 s0, -1, 0
	s_cmp_lg_u64 s[30:31], 0
	s_cbranch_scc0 .LBB56_75
; %bb.2:
	s_ashr_i32 s3, s2, 31
	v_lshlrev_b32_e32 v36, 5, v0
	s_lshl_b64 s[34:35], s[2:3], 3
	s_mov_b32 s0, -1
	s_add_nc_u64 s[38:39], s[20:21], s[34:35]
	s_mov_b32 s3, 0
	global_load_b64 v[2:3], v36, s[38:39]
	s_mov_b32 s50, exec_lo
	s_wait_loadcnt 0x0
	v_cmpx_eq_u64_e64 s[4:5], v[2:3]
	s_cbranch_execz .LBB56_74
; %bb.3:
	s_add_nc_u64 s[0:1], s[22:23], s[34:35]
	s_get_pc_i64 s[36:37]
	s_add_nc_u64 s[36:37], s[36:37], .str.2@rel64+4
	s_clause 0x1
	global_load_b128 v[32:35], v36, s[0:1]
	global_load_b128 v[26:29], v36, s[0:1] offset:16
	s_cmp_lg_u64 s[36:37], 0
	v_mov_b32_e32 v37, 0
	s_wait_xcnt 0x0
	s_cselect_b32 s1, -1, 0
	s_mov_b32 s40, -1
	s_mov_b32 s0, 0
	s_mov_b32 s37, 0
	;; [unrolled: 1-line block ×3, first 2 shown]
                                        ; implicit-def: $sgpr51
                                        ; implicit-def: $sgpr52
                                        ; implicit-def: $sgpr36
                                        ; implicit-def: $sgpr55
                                        ; implicit-def: $vgpr18_vgpr19_vgpr20_vgpr21_vgpr22_vgpr23_vgpr24_vgpr25
                                        ; implicit-def: $vgpr2_vgpr3_vgpr4_vgpr5_vgpr6_vgpr7_vgpr8_vgpr9
                                        ; implicit-def: $vgpr10_vgpr11_vgpr12_vgpr13_vgpr14_vgpr15_vgpr16_vgpr17
	s_wait_loadcnt 0x1
	v_cmp_eq_u64_e32 vcc_lo, s[8:9], v[32:33]
	s_and_b32 s41, s1, vcc_lo
	s_mov_b32 s1, 0
	s_and_saveexec_b32 s53, s41
	s_cbranch_execz .LBB56_66
; %bb.4:
	s_add_nc_u64 s[0:1], s[26:27], s[34:35]
	s_add_nc_u64 s[36:37], s[24:25], s[34:35]
	s_clause 0x3
	global_load_b128 v[10:13], v36, s[0:1]
	global_load_b128 v[30:33], v36, s[36:37]
	global_load_b128 v[14:17], v36, s[36:37] offset:16
	global_load_b128 v[6:9], v36, s[0:1] offset:16
	s_get_pc_i64 s[42:43]
	s_add_nc_u64 s[42:43], s[42:43], .str.3@rel64+4
	s_wait_xcnt 0x1
	s_mov_b32 s37, -1
	s_cmp_lg_u64 s[42:43], 0
	s_mov_b32 s40, 0
	s_wait_xcnt 0x0
	s_cselect_b32 s1, -1, 0
	s_mov_b32 s41, 0
	s_mov_b32 s42, 0
                                        ; implicit-def: $sgpr51
                                        ; implicit-def: $sgpr52
                                        ; implicit-def: $sgpr36
                                        ; implicit-def: $vgpr18_vgpr19_vgpr20_vgpr21_vgpr22_vgpr23_vgpr24_vgpr25
	s_wait_loadcnt 0x2
	v_sub_nc_u64_e32 v[2:3], v[10:11], v[30:31]
	s_delay_alu instid0(VALU_DEP_1) | instskip(SKIP_2) | instid1(SALU_CYCLE_1)
	v_cmp_le_i64_e32 vcc_lo, s[4:5], v[2:3]
	v_cmp_ge_i64_e64 s0, s[6:7], v[2:3]
	s_and_b32 s0, vcc_lo, s0
	s_and_b32 s0, s1, s0
	s_mov_b32 s1, 0
	s_and_saveexec_b32 s54, s0
	s_cbranch_execz .LBB56_65
; %bb.5:
	v_add_nc_u64_e32 v[40:41], s[38:39], v[36:37]
	s_add_nc_u64 s[0:1], s[28:29], s[34:35]
	s_add_co_i32 s36, s10, -1
	s_clause 0x1
	global_load_b64 v[38:39], v[40:41], off offset:24
	global_load_b128 v[2:5], v[40:41], off offset:8
	s_clause 0x1
	global_load_b128 v[22:25], v36, s[0:1] offset:16
	global_load_b128 v[18:21], v36, s[0:1]
	s_wait_xcnt 0x0
	v_cmp_gt_i64_e64 s0, s[8:9], 0
	s_cmp_gt_i32 s36, -1
	v_mov_b64_e32 v[40:41], 0
	s_cselect_b32 s1, -1, 0
	s_delay_alu instid0(SALU_CYCLE_1) | instskip(NEXT) | instid1(SALU_CYCLE_1)
	s_and_b32 s52, s0, s1
	s_and_not1_b32 vcc_lo, exec_lo, s52
	s_cbranch_vccnz .LBB56_12
; %bb.6:
	s_wait_loadcnt 0x0
	v_mul_u64_e32 v[42:43], s[8:9], v[18:19]
	s_mov_b32 s1, 0
	v_mov_b64_e32 v[40:41], 0
	s_mov_b32 s37, s1
	v_mov_b32_e32 v18, 0
	s_lshl_b64 s[42:43], s[36:37], 3
	s_mov_b64 s[38:39], 0xffffffff
	s_add_nc_u64 s[40:41], s[12:13], s[42:43]
	s_add_nc_u64 s[42:43], s[14:15], s[42:43]
	s_mov_b32 s37, s10
	s_branch .LBB56_8
.LBB56_7:                               ;   in Loop: Header=BB56_8 Depth=1
	s_or_b32 exec_lo, exec_lo, s0
	s_delay_alu instid0(VALU_DEP_1)
	v_mul_u64_e32 v[46:47], s[44:45], v[44:45]
	s_load_b64 s[44:45], s[42:43], 0x0
	s_add_co_i32 s37, s37, -1
	s_add_nc_u64 s[40:41], s[40:41], -8
	s_cmp_eq_u32 s37, 0
	s_wait_xcnt 0x0
	s_add_nc_u64 s[42:43], s[42:43], -8
	s_delay_alu instid0(VALU_DEP_1) | instskip(SKIP_1) | instid1(VALU_DEP_1)
	v_sub_nc_u64_e32 v[42:43], v[42:43], v[46:47]
	s_wait_kmcnt 0x0
	v_mad_nc_u64_u32 v[40:41], v42, s44, v[40:41]
	s_delay_alu instid0(VALU_DEP_1) | instskip(NEXT) | instid1(VALU_DEP_1)
	v_mad_u32 v1, v43, s44, v41
	v_mad_u32 v41, v42, s45, v1
	v_mov_b64_e32 v[42:43], v[44:45]
	s_cbranch_scc1 .LBB56_12
.LBB56_8:                               ; =>This Inner Loop Header: Depth=1
	s_load_b64 s[44:45], s[40:41], 0x0
                                        ; implicit-def: $vgpr44_vgpr45
	s_mov_b32 s0, exec_lo
	s_wait_kmcnt 0x0
	s_delay_alu instid0(VALU_DEP_1) | instskip(NEXT) | instid1(VALU_DEP_1)
	v_or_b32_e32 v19, s45, v43
	v_cmpx_ne_u64_e32 0, v[18:19]
	s_xor_b32 s51, exec_lo, s0
	s_cbranch_execz .LBB56_10
; %bb.9:                                ;   in Loop: Header=BB56_8 Depth=1
	s_ashr_i32 s46, s45, 31
	v_dual_mov_b32 v49, v18 :: v_dual_ashrrev_i32 v44, 31, v43
	s_mov_b32 s47, s46
	s_delay_alu instid0(SALU_CYCLE_1) | instskip(NEXT) | instid1(VALU_DEP_1)
	s_add_nc_u64 s[48:49], s[44:45], s[46:47]
	v_mov_b32_e32 v45, v44
	s_xor_b64 s[48:49], s[48:49], s[46:47]
	s_delay_alu instid0(SALU_CYCLE_1)
	s_cvt_f32_u32 s0, s48
	s_cvt_f32_u32 s47, s49
	s_sub_nc_u64 s[58:59], 0, s[48:49]
	v_add_nc_u64_e32 v[46:47], v[42:43], v[44:45]
	v_mov_b32_e32 v53, v18
	s_fmamk_f32 s0, s47, 0x4f800000, s0
	s_delay_alu instid0(SALU_CYCLE_3) | instskip(NEXT) | instid1(VALU_DEP_2)
	v_s_rcp_f32 s0, s0
	v_xor_b32_e32 v48, v46, v44
	s_delay_alu instid0(VALU_DEP_3) | instskip(NEXT) | instid1(TRANS32_DEP_1)
	v_dual_mov_b32 v57, v18 :: v_dual_bitop2_b32 v52, v47, v44 bitop3:0x14
	s_mul_f32 s0, s0, 0x5f7ffffc
	s_delay_alu instid0(SALU_CYCLE_3) | instskip(NEXT) | instid1(SALU_CYCLE_3)
	s_mul_f32 s47, s0, 0x2f800000
	s_trunc_f32 s47, s47
	s_delay_alu instid0(SALU_CYCLE_3) | instskip(SKIP_1) | instid1(SALU_CYCLE_2)
	s_fmamk_f32 s0, s47, 0xcf800000, s0
	s_cvt_u32_f32 s57, s47
	s_cvt_u32_f32 s56, s0
	s_delay_alu instid0(SALU_CYCLE_3) | instskip(NEXT) | instid1(SALU_CYCLE_1)
	s_mul_u64 s[60:61], s[58:59], s[56:57]
	s_mul_hi_u32 s63, s56, s61
	s_mul_i32 s62, s56, s61
	s_mul_hi_u32 s0, s56, s60
	s_mul_i32 s55, s57, s60
	s_add_nc_u64 s[62:63], s[0:1], s[62:63]
	s_mul_hi_u32 s47, s57, s60
	s_mul_hi_u32 s64, s57, s61
	s_add_co_u32 s0, s62, s55
	s_add_co_ci_u32 s0, s63, s47
	s_mul_i32 s60, s57, s61
	s_add_co_ci_u32 s61, s64, 0
	s_delay_alu instid0(SALU_CYCLE_1) | instskip(NEXT) | instid1(SALU_CYCLE_1)
	s_add_nc_u64 s[60:61], s[0:1], s[60:61]
	s_add_co_u32 s56, s56, s60
	s_cselect_b32 s0, -1, 0
	s_delay_alu instid0(SALU_CYCLE_1) | instskip(SKIP_1) | instid1(SALU_CYCLE_1)
	s_cmp_lg_u32 s0, 0
	s_add_co_ci_u32 s57, s57, s61
	s_mul_u64 s[58:59], s[58:59], s[56:57]
	s_delay_alu instid0(SALU_CYCLE_1)
	s_mul_hi_u32 s61, s56, s59
	s_mul_i32 s60, s56, s59
	s_mul_hi_u32 s0, s56, s58
	s_mul_i32 s55, s57, s58
	s_add_nc_u64 s[60:61], s[0:1], s[60:61]
	s_mul_hi_u32 s47, s57, s58
	s_mul_hi_u32 s62, s57, s59
	s_add_co_u32 s0, s60, s55
	s_add_co_ci_u32 s0, s61, s47
	s_mul_i32 s58, s57, s59
	s_add_co_ci_u32 s59, s62, 0
	s_delay_alu instid0(SALU_CYCLE_1) | instskip(NEXT) | instid1(SALU_CYCLE_1)
	s_add_nc_u64 s[58:59], s[0:1], s[58:59]
	s_add_co_u32 s56, s56, s58
	s_cselect_b32 s0, -1, 0
	v_mul_hi_u32 v56, v48, s56
	s_cmp_lg_u32 s0, 0
	s_add_co_ci_u32 s0, s57, s59
	s_and_b64 s[58:59], s[56:57], s[38:39]
	v_mul_u64_e32 v[50:51], s[0:1], v[48:49]
	v_mul_u64_e32 v[46:47], s[58:59], v[52:53]
	;; [unrolled: 1-line block ×3, first 2 shown]
	s_delay_alu instid0(VALU_DEP_3) | instskip(NEXT) | instid1(VALU_DEP_1)
	v_add_nc_u64_e32 v[50:51], v[56:57], v[50:51]
	v_add_co_u32 v1, vcc_lo, v50, v46
	s_delay_alu instid0(VALU_DEP_2) | instskip(NEXT) | instid1(VALU_DEP_4)
	v_add_co_ci_u32_e32 v56, vcc_lo, v51, v47, vcc_lo
	v_add_co_ci_u32_e32 v55, vcc_lo, 0, v55, vcc_lo
	s_delay_alu instid0(VALU_DEP_1) | instskip(NEXT) | instid1(VALU_DEP_1)
	v_add_nc_u64_e32 v[46:47], v[56:57], v[54:55]
	v_mul_u64_e32 v[50:51], s[48:49], v[46:47]
	s_delay_alu instid0(VALU_DEP_1) | instskip(NEXT) | instid1(VALU_DEP_2)
	v_sub_nc_u32_e32 v1, v52, v51
	v_sub_co_u32 v19, vcc_lo, v48, v50
	s_delay_alu instid0(VALU_DEP_1) | instskip(NEXT) | instid1(VALU_DEP_3)
	v_sub_co_ci_u32_e64 v45, null, v52, v51, vcc_lo
	v_subrev_co_ci_u32_e64 v1, null, s49, v1, vcc_lo
	s_delay_alu instid0(VALU_DEP_3) | instskip(SKIP_1) | instid1(VALU_DEP_3)
	v_sub_co_u32 v37, s0, v19, s48
	v_add_nc_u64_e32 v[50:51], 1, v[46:47]
	v_subrev_co_ci_u32_e64 v1, null, 0, v1, s0
	s_delay_alu instid0(VALU_DEP_3) | instskip(SKIP_1) | instid1(VALU_DEP_3)
	v_cmp_le_u32_e32 vcc_lo, s48, v37
	v_cndmask_b32_e64 v37, 0, -1, vcc_lo
	v_cmp_le_u32_e32 vcc_lo, s49, v1
	v_cndmask_b32_e64 v48, 0, -1, vcc_lo
	;; [unrolled: 2-line block ×4, first 2 shown]
	v_cmp_eq_u32_e32 vcc_lo, s49, v1
	v_cndmask_b32_e32 v1, v48, v37, vcc_lo
	v_cmp_eq_u32_e32 vcc_lo, s49, v45
	v_add_nc_u64_e32 v[48:49], 2, v[46:47]
	v_cndmask_b32_e32 v19, v52, v19, vcc_lo
	s_delay_alu instid0(VALU_DEP_4) | instskip(NEXT) | instid1(VALU_DEP_3)
	v_cmp_ne_u32_e32 vcc_lo, 0, v1
	v_cndmask_b32_e32 v1, v51, v49, vcc_lo
	s_delay_alu instid0(VALU_DEP_3) | instskip(SKIP_1) | instid1(VALU_DEP_2)
	v_cmp_ne_u32_e64 s0, 0, v19
	v_cndmask_b32_e32 v19, v50, v48, vcc_lo
	v_dual_cndmask_b32 v1, v47, v1, s0 :: v_dual_bitop2_b32 v44, s46, v44 bitop3:0x14
	s_delay_alu instid0(VALU_DEP_1) | instskip(NEXT) | instid1(VALU_DEP_2)
	v_dual_cndmask_b32 v19, v46, v19, s0 :: v_dual_mov_b32 v45, v44
	v_xor_b32_e32 v47, v1, v44
	s_delay_alu instid0(VALU_DEP_2) | instskip(NEXT) | instid1(VALU_DEP_1)
	v_xor_b32_e32 v46, v19, v44
	v_sub_nc_u64_e32 v[44:45], v[46:47], v[44:45]
.LBB56_10:                              ;   in Loop: Header=BB56_8 Depth=1
	s_and_not1_saveexec_b32 s0, s51
	s_cbranch_execz .LBB56_7
; %bb.11:                               ;   in Loop: Header=BB56_8 Depth=1
	v_cvt_f32_u32_e32 v1, s44
	s_sub_co_i32 s46, 0, s44
	v_mov_b32_e32 v45, v18
	s_delay_alu instid0(VALU_DEP_2) | instskip(SKIP_1) | instid1(TRANS32_DEP_1)
	v_rcp_iflag_f32_e32 v1, v1
	v_nop
	v_mul_f32_e32 v1, 0x4f7ffffe, v1
	s_delay_alu instid0(VALU_DEP_1) | instskip(NEXT) | instid1(VALU_DEP_1)
	v_cvt_u32_f32_e32 v1, v1
	v_mul_lo_u32 v19, s46, v1
	s_delay_alu instid0(VALU_DEP_1) | instskip(NEXT) | instid1(VALU_DEP_1)
	v_mul_hi_u32 v19, v1, v19
	v_add_nc_u32_e32 v1, v1, v19
	s_delay_alu instid0(VALU_DEP_1) | instskip(NEXT) | instid1(VALU_DEP_1)
	v_mul_hi_u32 v1, v42, v1
	v_mul_lo_u32 v19, v1, s44
	s_delay_alu instid0(VALU_DEP_1) | instskip(NEXT) | instid1(VALU_DEP_1)
	v_sub_nc_u32_e32 v19, v42, v19
	v_subrev_nc_u32_e32 v44, s44, v19
	v_cmp_le_u32_e32 vcc_lo, s44, v19
	s_delay_alu instid0(VALU_DEP_2) | instskip(NEXT) | instid1(VALU_DEP_1)
	v_dual_add_nc_u32 v37, 1, v1 :: v_dual_cndmask_b32 v19, v19, v44, vcc_lo
	v_cndmask_b32_e32 v1, v1, v37, vcc_lo
	s_delay_alu instid0(VALU_DEP_2) | instskip(NEXT) | instid1(VALU_DEP_2)
	v_cmp_le_u32_e32 vcc_lo, s44, v19
	v_add_nc_u32_e32 v37, 1, v1
	s_delay_alu instid0(VALU_DEP_1)
	v_cndmask_b32_e32 v44, v1, v37, vcc_lo
	s_branch .LBB56_7
.LBB56_12:
	s_get_pc_i64 s[0:1]
	s_add_nc_u64 s[0:1], s[0:1], .str.4@rel64+4
	s_mov_b32 s37, -1
	s_cmp_lg_u64 s[0:1], 0
	s_mov_b32 s0, 0
	s_cselect_b32 s51, -1, 0
	s_mov_b32 s55, 0
	s_mov_b32 s1, exec_lo
	v_cmpx_gt_i64_e64 v[10:11], v[30:31]
	s_cbranch_execz .LBB56_18
; %bb.13:
	s_wait_loadcnt 0x0
	v_lshlrev_b64_e32 v[18:19], 3, v[40:41]
	s_mov_b32 s37, 0
	s_xor_b32 s39, s51, -1
                                        ; implicit-def: $sgpr38
                                        ; implicit-def: $sgpr41
                                        ; implicit-def: $sgpr40
	s_delay_alu instid0(VALU_DEP_1) | instskip(SKIP_1) | instid1(VALU_DEP_2)
	v_lshl_add_u64 v[30:31], v[30:31], 3, v[18:19]
	v_add_nc_u64_e32 v[40:41], s[16:17], v[18:19]
	v_add_nc_u64_e32 v[30:31], s[16:17], v[30:31]
	s_delay_alu instid0(VALU_DEP_2) | instskip(NEXT) | instid1(VALU_DEP_2)
	v_lshl_add_u64 v[10:11], v[10:11], 3, v[40:41]
	v_add_nc_u64_e32 v[18:19], 8, v[30:31]
	s_branch .LBB56_15
.LBB56_14:                              ;   in Loop: Header=BB56_15 Depth=1
	s_or_b32 exec_lo, exec_lo, s42
	s_delay_alu instid0(SALU_CYCLE_1) | instskip(NEXT) | instid1(SALU_CYCLE_1)
	s_and_b32 s42, exec_lo, s41
	s_or_b32 s37, s42, s37
	s_and_not1_b32 s38, s38, exec_lo
	s_and_b32 s42, s40, exec_lo
	s_delay_alu instid0(SALU_CYCLE_1)
	s_or_b32 s38, s38, s42
	s_and_not1_b32 exec_lo, exec_lo, s37
	s_cbranch_execz .LBB56_17
.LBB56_15:                              ; =>This Inner Loop Header: Depth=1
	s_or_b32 s40, s40, exec_lo
	s_or_b32 s41, s41, exec_lo
	s_mov_b32 s42, exec_lo
	s_delay_alu instid0(VALU_DEP_1)
	v_cmpx_lt_u64_e64 v[18:19], v[10:11]
	s_cbranch_execz .LBB56_14
; %bb.16:                               ;   in Loop: Header=BB56_15 Depth=1
	global_load_b128 v[40:43], v[18:19], off offset:-8
	s_wait_xcnt 0x0
	v_add_nc_u64_e32 v[18:19], 8, v[18:19]
	s_and_not1_b32 s41, s41, exec_lo
	s_and_not1_b32 s40, s40, exec_lo
	s_wait_loadcnt 0x0
	v_cmp_ge_i64_e32 vcc_lo, v[40:41], v[42:43]
	s_or_b32 s43, s39, vcc_lo
	s_delay_alu instid0(SALU_CYCLE_1) | instskip(NEXT) | instid1(SALU_CYCLE_1)
	s_and_b32 s43, s43, exec_lo
	s_or_b32 s41, s41, s43
	s_branch .LBB56_14
.LBB56_17:
	s_or_b32 exec_lo, exec_lo, s37
	s_delay_alu instid0(SALU_CYCLE_1)
	s_mov_b32 s55, exec_lo
	s_or_not1_b32 s37, s38, exec_lo
.LBB56_18:
	s_or_b32 exec_lo, exec_lo, s1
	s_mov_b32 s38, 0
	s_mov_b32 s39, 0
	;; [unrolled: 1-line block ×3, first 2 shown]
	s_and_saveexec_b32 s56, s37
	s_cbranch_execz .LBB56_64
; %bb.19:
	s_mov_b32 s0, 0
	s_mov_b32 s1, -1
	s_mov_b32 s37, 0
	s_mov_b32 s57, exec_lo
	s_wait_loadcnt 0x2
	v_cmpx_eq_u64_e64 s[4:5], v[2:3]
	s_cbranch_execz .LBB56_63
; %bb.20:
	s_mov_b32 s0, -1
	s_mov_b32 s40, 0
	s_mov_b32 s41, 0
	s_mov_b32 s58, exec_lo
	v_cmpx_eq_u64_e64 s[8:9], v[34:35]
	s_cbranch_execz .LBB56_62
; %bb.21:
	v_sub_nc_u64_e32 v[2:3], v[12:13], v[32:33]
	s_mov_b32 s37, -1
	s_mov_b32 s1, 0
	s_delay_alu instid0(VALU_DEP_1) | instskip(SKIP_2) | instid1(SALU_CYCLE_1)
	v_cmp_le_i64_e32 vcc_lo, s[4:5], v[2:3]
	v_cmp_ge_i64_e64 s0, s[6:7], v[2:3]
	s_and_b32 s0, vcc_lo, s0
	s_and_saveexec_b32 s59, s0
	s_cbranch_execz .LBB56_61
; %bb.22:
	v_mov_b64_e32 v[2:3], 0
	s_and_not1_b32 vcc_lo, exec_lo, s52
	s_cbranch_vccnz .LBB56_29
; %bb.23:
	s_wait_loadcnt 0x0
	v_mul_u64_e32 v[18:19], s[8:9], v[20:21]
	v_mov_b64_e32 v[2:3], 0
	s_mov_b32 s37, s1
	v_mov_b32_e32 v10, 0
	s_lshl_b64 s[42:43], s[36:37], 3
	s_mov_b64 s[38:39], 0xffffffff
	s_add_nc_u64 s[40:41], s[12:13], s[42:43]
	s_add_nc_u64 s[42:43], s[14:15], s[42:43]
	s_mov_b32 s37, s10
	s_branch .LBB56_25
.LBB56_24:                              ;   in Loop: Header=BB56_25 Depth=1
	s_or_b32 exec_lo, exec_lo, s0
	s_delay_alu instid0(VALU_DEP_1)
	v_mul_u64_e32 v[30:31], s[44:45], v[20:21]
	s_load_b64 s[44:45], s[42:43], 0x0
	s_add_co_i32 s37, s37, -1
	s_add_nc_u64 s[40:41], s[40:41], -8
	s_cmp_lg_u32 s37, 0
	s_wait_xcnt 0x0
	s_add_nc_u64 s[42:43], s[42:43], -8
	s_delay_alu instid0(VALU_DEP_1) | instskip(SKIP_1) | instid1(VALU_DEP_1)
	v_sub_nc_u64_e32 v[18:19], v[18:19], v[30:31]
	s_wait_kmcnt 0x0
	v_mad_nc_u64_u32 v[2:3], v18, s44, v[2:3]
	s_delay_alu instid0(VALU_DEP_1) | instskip(NEXT) | instid1(VALU_DEP_1)
	v_mad_u32 v1, v19, s44, v3
	v_mad_u32 v3, v18, s45, v1
	v_mov_b64_e32 v[18:19], v[20:21]
	s_cbranch_scc0 .LBB56_29
.LBB56_25:                              ; =>This Inner Loop Header: Depth=1
	s_load_b64 s[44:45], s[40:41], 0x0
                                        ; implicit-def: $vgpr20_vgpr21
	s_mov_b32 s0, exec_lo
	s_wait_kmcnt 0x0
	s_delay_alu instid0(VALU_DEP_1) | instskip(NEXT) | instid1(VALU_DEP_1)
	v_or_b32_e32 v11, s45, v19
	v_cmpx_ne_u64_e32 0, v[10:11]
	s_xor_b32 s60, exec_lo, s0
	s_cbranch_execz .LBB56_27
; %bb.26:                               ;   in Loop: Header=BB56_25 Depth=1
	s_ashr_i32 s46, s45, 31
	v_dual_mov_b32 v35, v10 :: v_dual_ashrrev_i32 v20, 31, v19
	s_mov_b32 s47, s46
	v_mov_b32_e32 v47, v10
	s_add_nc_u64 s[48:49], s[44:45], s[46:47]
	s_delay_alu instid0(VALU_DEP_2) | instskip(SKIP_1) | instid1(SALU_CYCLE_1)
	v_mov_b32_e32 v21, v20
	s_xor_b64 s[48:49], s[48:49], s[46:47]
	s_cvt_f32_u32 s0, s48
	s_cvt_f32_u32 s47, s49
	s_sub_nc_u64 s[64:65], 0, s[48:49]
	v_add_nc_u64_e32 v[30:31], v[18:19], v[20:21]
	v_mov_b32_e32 v43, v10
	s_fmamk_f32 s0, s47, 0x4f800000, s0
	s_delay_alu instid0(SALU_CYCLE_3) | instskip(NEXT) | instid1(VALU_DEP_2)
	v_s_rcp_f32 s0, s0
	v_xor_b32_e32 v34, v30, v20
	s_delay_alu instid0(VALU_DEP_3) | instskip(NEXT) | instid1(TRANS32_DEP_1)
	v_xor_b32_e32 v42, v31, v20
	s_mul_f32 s0, s0, 0x5f7ffffc
	s_delay_alu instid0(SALU_CYCLE_3) | instskip(NEXT) | instid1(SALU_CYCLE_3)
	s_mul_f32 s47, s0, 0x2f800000
	s_trunc_f32 s47, s47
	s_delay_alu instid0(SALU_CYCLE_3) | instskip(SKIP_1) | instid1(SALU_CYCLE_2)
	s_fmamk_f32 s0, s47, 0xcf800000, s0
	s_cvt_u32_f32 s63, s47
	s_cvt_u32_f32 s62, s0
	s_delay_alu instid0(SALU_CYCLE_3) | instskip(NEXT) | instid1(SALU_CYCLE_1)
	s_mul_u64 s[66:67], s[64:65], s[62:63]
	s_mul_hi_u32 s69, s62, s67
	s_mul_i32 s68, s62, s67
	s_mul_hi_u32 s0, s62, s66
	s_mul_i32 s61, s63, s66
	s_add_nc_u64 s[68:69], s[0:1], s[68:69]
	s_mul_hi_u32 s47, s63, s66
	s_mul_hi_u32 s70, s63, s67
	s_add_co_u32 s0, s68, s61
	s_add_co_ci_u32 s0, s69, s47
	s_mul_i32 s66, s63, s67
	s_add_co_ci_u32 s67, s70, 0
	s_delay_alu instid0(SALU_CYCLE_1) | instskip(NEXT) | instid1(SALU_CYCLE_1)
	s_add_nc_u64 s[66:67], s[0:1], s[66:67]
	s_add_co_u32 s62, s62, s66
	s_cselect_b32 s0, -1, 0
	s_delay_alu instid0(SALU_CYCLE_1) | instskip(SKIP_1) | instid1(SALU_CYCLE_1)
	s_cmp_lg_u32 s0, 0
	s_add_co_ci_u32 s63, s63, s67
	s_mul_u64 s[64:65], s[64:65], s[62:63]
	s_delay_alu instid0(SALU_CYCLE_1)
	s_mul_hi_u32 s67, s62, s65
	s_mul_i32 s66, s62, s65
	s_mul_hi_u32 s0, s62, s64
	s_mul_i32 s61, s63, s64
	s_add_nc_u64 s[66:67], s[0:1], s[66:67]
	s_mul_hi_u32 s47, s63, s64
	s_mul_hi_u32 s68, s63, s65
	s_add_co_u32 s0, s66, s61
	s_add_co_ci_u32 s0, s67, s47
	s_mul_i32 s64, s63, s65
	s_add_co_ci_u32 s65, s68, 0
	s_delay_alu instid0(SALU_CYCLE_1) | instskip(NEXT) | instid1(SALU_CYCLE_1)
	s_add_nc_u64 s[64:65], s[0:1], s[64:65]
	s_add_co_u32 s62, s62, s64
	s_cselect_b32 s0, -1, 0
	v_mul_hi_u32 v46, v34, s62
	s_cmp_lg_u32 s0, 0
	s_add_co_ci_u32 s0, s63, s65
	s_and_b64 s[64:65], s[62:63], s[38:39]
	v_mul_u64_e32 v[40:41], s[0:1], v[34:35]
	v_mul_u64_e32 v[30:31], s[64:65], v[42:43]
	;; [unrolled: 1-line block ×3, first 2 shown]
	s_delay_alu instid0(VALU_DEP_3) | instskip(NEXT) | instid1(VALU_DEP_1)
	v_add_nc_u64_e32 v[40:41], v[46:47], v[40:41]
	v_add_co_u32 v1, vcc_lo, v40, v30
	s_delay_alu instid0(VALU_DEP_2) | instskip(NEXT) | instid1(VALU_DEP_4)
	v_add_co_ci_u32_e32 v46, vcc_lo, v41, v31, vcc_lo
	v_add_co_ci_u32_e32 v45, vcc_lo, 0, v45, vcc_lo
	s_delay_alu instid0(VALU_DEP_1) | instskip(NEXT) | instid1(VALU_DEP_1)
	v_add_nc_u64_e32 v[30:31], v[46:47], v[44:45]
	v_mul_u64_e32 v[40:41], s[48:49], v[30:31]
	s_delay_alu instid0(VALU_DEP_1) | instskip(NEXT) | instid1(VALU_DEP_2)
	v_sub_nc_u32_e32 v1, v42, v41
	v_sub_co_u32 v11, vcc_lo, v34, v40
	s_delay_alu instid0(VALU_DEP_1) | instskip(NEXT) | instid1(VALU_DEP_3)
	v_sub_co_ci_u32_e64 v37, null, v42, v41, vcc_lo
	v_subrev_co_ci_u32_e64 v1, null, s49, v1, vcc_lo
	s_delay_alu instid0(VALU_DEP_3) | instskip(SKIP_1) | instid1(VALU_DEP_3)
	v_sub_co_u32 v21, s0, v11, s48
	v_add_nc_u64_e32 v[40:41], 1, v[30:31]
	v_subrev_co_ci_u32_e64 v1, null, 0, v1, s0
	s_delay_alu instid0(VALU_DEP_3) | instskip(SKIP_1) | instid1(VALU_DEP_3)
	v_cmp_le_u32_e32 vcc_lo, s48, v21
	v_cndmask_b32_e64 v21, 0, -1, vcc_lo
	v_cmp_le_u32_e32 vcc_lo, s49, v1
	v_cndmask_b32_e64 v34, 0, -1, vcc_lo
	;; [unrolled: 2-line block ×4, first 2 shown]
	v_cmp_eq_u32_e32 vcc_lo, s49, v1
	v_cndmask_b32_e32 v1, v34, v21, vcc_lo
	v_cmp_eq_u32_e32 vcc_lo, s49, v37
	v_add_nc_u64_e32 v[34:35], 2, v[30:31]
	v_cndmask_b32_e32 v11, v42, v11, vcc_lo
	s_delay_alu instid0(VALU_DEP_4) | instskip(NEXT) | instid1(VALU_DEP_2)
	v_cmp_ne_u32_e32 vcc_lo, 0, v1
	v_cmp_ne_u32_e64 s0, 0, v11
	s_delay_alu instid0(VALU_DEP_4) | instskip(NEXT) | instid1(VALU_DEP_1)
	v_dual_cndmask_b32 v1, v41, v35, vcc_lo :: v_dual_cndmask_b32 v11, v40, v34, vcc_lo
	v_dual_cndmask_b32 v1, v31, v1, s0 :: v_dual_bitop2_b32 v20, s46, v20 bitop3:0x14
	s_delay_alu instid0(VALU_DEP_1) | instskip(NEXT) | instid1(VALU_DEP_2)
	v_dual_cndmask_b32 v11, v30, v11, s0 :: v_dual_mov_b32 v21, v20
	v_xor_b32_e32 v31, v1, v20
	s_delay_alu instid0(VALU_DEP_2) | instskip(NEXT) | instid1(VALU_DEP_1)
	v_xor_b32_e32 v30, v11, v20
	v_sub_nc_u64_e32 v[20:21], v[30:31], v[20:21]
.LBB56_27:                              ;   in Loop: Header=BB56_25 Depth=1
	s_and_not1_saveexec_b32 s0, s60
	s_cbranch_execz .LBB56_24
; %bb.28:                               ;   in Loop: Header=BB56_25 Depth=1
	v_cvt_f32_u32_e32 v1, s44
	s_sub_co_i32 s46, 0, s44
	s_delay_alu instid0(VALU_DEP_1) | instskip(SKIP_1) | instid1(TRANS32_DEP_1)
	v_rcp_iflag_f32_e32 v1, v1
	v_nop
	v_mul_f32_e32 v1, 0x4f7ffffe, v1
	s_delay_alu instid0(VALU_DEP_1) | instskip(NEXT) | instid1(VALU_DEP_1)
	v_cvt_u32_f32_e32 v1, v1
	v_mul_lo_u32 v11, s46, v1
	s_delay_alu instid0(VALU_DEP_1) | instskip(NEXT) | instid1(VALU_DEP_1)
	v_mul_hi_u32 v11, v1, v11
	v_add_nc_u32_e32 v1, v1, v11
	s_delay_alu instid0(VALU_DEP_1) | instskip(NEXT) | instid1(VALU_DEP_1)
	v_mul_hi_u32 v1, v18, v1
	v_mul_lo_u32 v11, v1, s44
	s_delay_alu instid0(VALU_DEP_1) | instskip(NEXT) | instid1(VALU_DEP_1)
	v_dual_add_nc_u32 v20, 1, v1 :: v_dual_sub_nc_u32 v11, v18, v11
	v_subrev_nc_u32_e32 v21, s44, v11
	v_cmp_le_u32_e32 vcc_lo, s44, v11
	s_delay_alu instid0(VALU_DEP_2) | instskip(NEXT) | instid1(VALU_DEP_4)
	v_dual_cndmask_b32 v11, v11, v21, vcc_lo :: v_dual_mov_b32 v21, v10
	v_cndmask_b32_e32 v1, v1, v20, vcc_lo
	s_delay_alu instid0(VALU_DEP_2) | instskip(NEXT) | instid1(VALU_DEP_2)
	v_cmp_le_u32_e32 vcc_lo, s44, v11
	v_add_nc_u32_e32 v20, 1, v1
	s_delay_alu instid0(VALU_DEP_1)
	v_cndmask_b32_e32 v20, v1, v20, vcc_lo
	s_branch .LBB56_24
.LBB56_29:
	s_mov_b32 s37, -1
	s_mov_b32 s0, 0
	s_mov_b32 s60, 0
	s_mov_b32 s1, exec_lo
	v_cmpx_gt_i64_e64 v[12:13], v[32:33]
	s_cbranch_execz .LBB56_35
; %bb.30:
	s_delay_alu instid0(VALU_DEP_2) | instskip(SKIP_2) | instid1(VALU_DEP_1)
	v_lshlrev_b64_e32 v[2:3], 3, v[2:3]
	s_mov_b32 s37, 0
	s_xor_b32 s39, s51, -1
                                        ; implicit-def: $sgpr38
                                        ; implicit-def: $sgpr41
                                        ; implicit-def: $sgpr40
	v_lshl_add_u64 v[10:11], v[32:33], 3, v[2:3]
	s_wait_loadcnt 0x0
	v_add_nc_u64_e32 v[18:19], s[16:17], v[2:3]
	s_delay_alu instid0(VALU_DEP_2) | instskip(NEXT) | instid1(VALU_DEP_1)
	v_add_nc_u64_e32 v[10:11], s[16:17], v[10:11]
	v_add_nc_u64_e32 v[2:3], 8, v[10:11]
	s_delay_alu instid0(VALU_DEP_3)
	v_lshl_add_u64 v[10:11], v[12:13], 3, v[18:19]
	s_branch .LBB56_32
.LBB56_31:                              ;   in Loop: Header=BB56_32 Depth=1
	s_or_b32 exec_lo, exec_lo, s42
	s_delay_alu instid0(SALU_CYCLE_1) | instskip(NEXT) | instid1(SALU_CYCLE_1)
	s_and_b32 s42, exec_lo, s41
	s_or_b32 s37, s42, s37
	s_and_not1_b32 s38, s38, exec_lo
	s_and_b32 s42, s40, exec_lo
	s_delay_alu instid0(SALU_CYCLE_1)
	s_or_b32 s38, s38, s42
	s_and_not1_b32 exec_lo, exec_lo, s37
	s_cbranch_execz .LBB56_34
.LBB56_32:                              ; =>This Inner Loop Header: Depth=1
	s_or_b32 s40, s40, exec_lo
	s_or_b32 s41, s41, exec_lo
	s_mov_b32 s42, exec_lo
	s_delay_alu instid0(VALU_DEP_2)
	v_cmpx_lt_u64_e64 v[2:3], v[10:11]
	s_cbranch_execz .LBB56_31
; %bb.33:                               ;   in Loop: Header=BB56_32 Depth=1
	global_load_b128 v[18:21], v[2:3], off offset:-8
	s_and_not1_b32 s41, s41, exec_lo
	s_wait_xcnt 0x0
	v_add_nc_u64_e32 v[2:3], 8, v[2:3]
	s_and_not1_b32 s40, s40, exec_lo
	s_wait_loadcnt 0x0
	v_cmp_ge_i64_e32 vcc_lo, v[18:19], v[20:21]
	s_or_b32 s43, s39, vcc_lo
	s_delay_alu instid0(SALU_CYCLE_1) | instskip(NEXT) | instid1(SALU_CYCLE_1)
	s_and_b32 s43, s43, exec_lo
	s_or_b32 s41, s41, s43
	s_branch .LBB56_31
.LBB56_34:
	s_or_b32 exec_lo, exec_lo, s37
	s_delay_alu instid0(SALU_CYCLE_1)
	s_mov_b32 s60, exec_lo
	s_or_not1_b32 s37, s38, exec_lo
.LBB56_35:
	s_or_b32 exec_lo, exec_lo, s1
	s_mov_b32 s1, 0
	s_mov_b32 s38, 0
	;; [unrolled: 1-line block ×3, first 2 shown]
	s_and_saveexec_b32 s61, s37
	s_cbranch_execz .LBB56_60
; %bb.36:
	s_mov_b32 s0, 0
	s_mov_b32 s1, -1
	s_mov_b32 s37, 0
	s_mov_b32 s62, exec_lo
	v_cmpx_eq_u64_e64 s[4:5], v[4:5]
	s_cbranch_execz .LBB56_59
; %bb.37:
	s_mov_b32 s0, -1
	s_mov_b32 s40, 0
	s_mov_b32 s41, 0
	s_mov_b32 s63, exec_lo
	v_cmpx_eq_u64_e64 s[8:9], v[26:27]
	s_cbranch_execz .LBB56_58
; %bb.38:
	v_sub_nc_u64_e32 v[2:3], v[6:7], v[14:15]
	s_mov_b32 s37, -1
	s_mov_b32 s1, 0
	s_delay_alu instid0(VALU_DEP_1) | instskip(SKIP_2) | instid1(SALU_CYCLE_1)
	v_cmp_le_i64_e32 vcc_lo, s[4:5], v[2:3]
	v_cmp_ge_i64_e64 s0, s[6:7], v[2:3]
	s_and_b32 s0, vcc_lo, s0
	s_and_saveexec_b32 s64, s0
	s_cbranch_execz .LBB56_57
; %bb.39:
	v_mov_b64_e32 v[2:3], 0
	s_and_not1_b32 vcc_lo, exec_lo, s52
	s_cbranch_vccnz .LBB56_46
; %bb.40:
	s_wait_loadcnt 0x1
	v_mul_u64_e32 v[10:11], s[8:9], v[22:23]
	v_mov_b64_e32 v[2:3], 0
	s_mov_b32 s37, s1
	v_mov_b32_e32 v4, 0
	s_lshl_b64 s[42:43], s[36:37], 3
	s_mov_b64 s[38:39], 0xffffffff
	s_add_nc_u64 s[40:41], s[12:13], s[42:43]
	s_add_nc_u64 s[42:43], s[14:15], s[42:43]
	s_mov_b32 s37, s10
	s_branch .LBB56_42
.LBB56_41:                              ;   in Loop: Header=BB56_42 Depth=1
	s_or_b32 exec_lo, exec_lo, s0
	s_wait_loadcnt 0x0
	s_delay_alu instid0(VALU_DEP_1)
	v_mul_u64_e32 v[18:19], s[44:45], v[12:13]
	s_load_b64 s[44:45], s[42:43], 0x0
	s_add_co_i32 s37, s37, -1
	s_add_nc_u64 s[40:41], s[40:41], -8
	s_cmp_lg_u32 s37, 0
	s_wait_xcnt 0x0
	s_add_nc_u64 s[42:43], s[42:43], -8
	s_delay_alu instid0(VALU_DEP_1) | instskip(SKIP_1) | instid1(VALU_DEP_1)
	v_sub_nc_u64_e32 v[10:11], v[10:11], v[18:19]
	s_wait_kmcnt 0x0
	v_mad_nc_u64_u32 v[2:3], v10, s44, v[2:3]
	s_delay_alu instid0(VALU_DEP_1) | instskip(NEXT) | instid1(VALU_DEP_1)
	v_mad_u32 v1, v11, s44, v3
	v_mad_u32 v3, v10, s45, v1
	v_mov_b64_e32 v[10:11], v[12:13]
	s_cbranch_scc0 .LBB56_46
.LBB56_42:                              ; =>This Inner Loop Header: Depth=1
	s_load_b64 s[44:45], s[40:41], 0x0
                                        ; implicit-def: $vgpr12_vgpr13
	s_mov_b32 s0, exec_lo
	s_wait_kmcnt 0x0
	s_delay_alu instid0(VALU_DEP_1) | instskip(NEXT) | instid1(VALU_DEP_1)
	v_or_b32_e32 v5, s45, v11
	v_cmpx_ne_u64_e32 0, v[4:5]
	s_xor_b32 s65, exec_lo, s0
	s_cbranch_execz .LBB56_44
; %bb.43:                               ;   in Loop: Header=BB56_42 Depth=1
	s_ashr_i32 s46, s45, 31
	s_wait_loadcnt 0x0
	v_dual_mov_b32 v21, v4 :: v_dual_ashrrev_i32 v12, 31, v11
	s_mov_b32 s47, s46
	s_delay_alu instid0(SALU_CYCLE_1) | instskip(NEXT) | instid1(VALU_DEP_1)
	s_add_nc_u64 s[48:49], s[44:45], s[46:47]
	v_mov_b32_e32 v13, v12
	s_xor_b64 s[48:49], s[48:49], s[46:47]
	s_delay_alu instid0(SALU_CYCLE_1)
	s_cvt_f32_u32 s0, s48
	s_cvt_f32_u32 s47, s49
	s_sub_nc_u64 s[68:69], 0, s[48:49]
	v_add_nc_u64_e32 v[18:19], v[10:11], v[12:13]
	v_mov_b32_e32 v27, v4
	s_fmamk_f32 s0, s47, 0x4f800000, s0
	s_delay_alu instid0(SALU_CYCLE_3) | instskip(NEXT) | instid1(VALU_DEP_2)
	v_s_rcp_f32 s0, s0
	v_xor_b32_e32 v20, v18, v12
	s_delay_alu instid0(VALU_DEP_3) | instskip(SKIP_1) | instid1(TRANS32_DEP_1)
	v_dual_mov_b32 v33, v4 :: v_dual_bitop2_b32 v26, v19, v12 bitop3:0x14
	v_xor_b32_e32 v12, s46, v12
	s_mul_f32 s0, s0, 0x5f7ffffc
	s_delay_alu instid0(SALU_CYCLE_3) | instskip(NEXT) | instid1(SALU_CYCLE_3)
	s_mul_f32 s47, s0, 0x2f800000
	s_trunc_f32 s47, s47
	s_delay_alu instid0(SALU_CYCLE_3) | instskip(SKIP_1) | instid1(SALU_CYCLE_2)
	s_fmamk_f32 s0, s47, 0xcf800000, s0
	s_cvt_u32_f32 s67, s47
	s_cvt_u32_f32 s66, s0
	s_delay_alu instid0(SALU_CYCLE_3) | instskip(NEXT) | instid1(SALU_CYCLE_1)
	s_mul_u64 s[70:71], s[68:69], s[66:67]
	s_mul_hi_u32 s73, s66, s71
	s_mul_i32 s72, s66, s71
	s_mul_hi_u32 s0, s66, s70
	s_mul_i32 s74, s67, s70
	s_add_nc_u64 s[72:73], s[0:1], s[72:73]
	s_mul_hi_u32 s47, s67, s70
	s_mul_hi_u32 s75, s67, s71
	s_add_co_u32 s0, s72, s74
	s_add_co_ci_u32 s0, s73, s47
	s_mul_i32 s70, s67, s71
	s_add_co_ci_u32 s71, s75, 0
	s_delay_alu instid0(SALU_CYCLE_1) | instskip(NEXT) | instid1(SALU_CYCLE_1)
	s_add_nc_u64 s[70:71], s[0:1], s[70:71]
	s_add_co_u32 s66, s66, s70
	s_cselect_b32 s0, -1, 0
	s_delay_alu instid0(SALU_CYCLE_1) | instskip(SKIP_1) | instid1(SALU_CYCLE_1)
	s_cmp_lg_u32 s0, 0
	s_add_co_ci_u32 s67, s67, s71
	s_mul_u64 s[68:69], s[68:69], s[66:67]
	s_delay_alu instid0(SALU_CYCLE_1)
	s_mul_hi_u32 s71, s66, s69
	s_mul_i32 s70, s66, s69
	s_mul_hi_u32 s0, s66, s68
	s_mul_i32 s72, s67, s68
	s_add_nc_u64 s[70:71], s[0:1], s[70:71]
	s_mul_hi_u32 s47, s67, s68
	s_mul_hi_u32 s73, s67, s69
	s_add_co_u32 s0, s70, s72
	s_add_co_ci_u32 s0, s71, s47
	s_mul_i32 s68, s67, s69
	s_add_co_ci_u32 s69, s73, 0
	s_delay_alu instid0(SALU_CYCLE_1) | instskip(NEXT) | instid1(SALU_CYCLE_1)
	s_add_nc_u64 s[68:69], s[0:1], s[68:69]
	s_add_co_u32 s66, s66, s68
	s_cselect_b32 s0, -1, 0
	v_mul_hi_u32 v32, v20, s66
	s_cmp_lg_u32 s0, 0
	s_add_co_ci_u32 s0, s67, s69
	s_and_b64 s[68:69], s[66:67], s[38:39]
	v_mul_u64_e32 v[22:23], s[0:1], v[20:21]
	v_mul_u64_e32 v[18:19], s[68:69], v[26:27]
	;; [unrolled: 1-line block ×3, first 2 shown]
	s_delay_alu instid0(VALU_DEP_3) | instskip(NEXT) | instid1(VALU_DEP_1)
	v_add_nc_u64_e32 v[22:23], v[32:33], v[22:23]
	v_add_co_u32 v1, vcc_lo, v22, v18
	s_delay_alu instid0(VALU_DEP_2) | instskip(NEXT) | instid1(VALU_DEP_4)
	v_add_co_ci_u32_e32 v32, vcc_lo, v23, v19, vcc_lo
	v_add_co_ci_u32_e32 v31, vcc_lo, 0, v31, vcc_lo
	s_delay_alu instid0(VALU_DEP_1) | instskip(NEXT) | instid1(VALU_DEP_1)
	v_add_nc_u64_e32 v[18:19], v[32:33], v[30:31]
	v_mul_u64_e32 v[22:23], s[48:49], v[18:19]
	s_delay_alu instid0(VALU_DEP_1) | instskip(NEXT) | instid1(VALU_DEP_2)
	v_sub_nc_u32_e32 v1, v26, v23
	v_sub_co_u32 v5, vcc_lo, v20, v22
	s_delay_alu instid0(VALU_DEP_1) | instskip(NEXT) | instid1(VALU_DEP_3)
	v_sub_co_ci_u32_e64 v26, null, v26, v23, vcc_lo
	v_subrev_co_ci_u32_e64 v1, null, s49, v1, vcc_lo
	s_delay_alu instid0(VALU_DEP_3) | instskip(SKIP_1) | instid1(VALU_DEP_3)
	v_sub_co_u32 v13, s0, v5, s48
	v_add_nc_u64_e32 v[22:23], 1, v[18:19]
	v_subrev_co_ci_u32_e64 v1, null, 0, v1, s0
	s_delay_alu instid0(VALU_DEP_3) | instskip(SKIP_1) | instid1(VALU_DEP_3)
	v_cmp_le_u32_e32 vcc_lo, s48, v13
	v_cndmask_b32_e64 v13, 0, -1, vcc_lo
	v_cmp_le_u32_e32 vcc_lo, s49, v1
	v_cndmask_b32_e64 v20, 0, -1, vcc_lo
	;; [unrolled: 2-line block ×4, first 2 shown]
	v_cmp_eq_u32_e32 vcc_lo, s49, v1
	v_cndmask_b32_e32 v1, v20, v13, vcc_lo
	v_cmp_eq_u32_e32 vcc_lo, s49, v26
	v_add_nc_u64_e32 v[20:21], 2, v[18:19]
	v_dual_mov_b32 v13, v12 :: v_dual_cndmask_b32 v5, v27, v5, vcc_lo
	s_delay_alu instid0(VALU_DEP_4) | instskip(NEXT) | instid1(VALU_DEP_2)
	v_cmp_ne_u32_e32 vcc_lo, 0, v1
	v_cmp_ne_u32_e64 s0, 0, v5
	s_delay_alu instid0(VALU_DEP_4) | instskip(NEXT) | instid1(VALU_DEP_1)
	v_dual_cndmask_b32 v1, v23, v21, vcc_lo :: v_dual_cndmask_b32 v5, v22, v20, vcc_lo
	v_cndmask_b32_e64 v5, v18, v5, s0
	s_delay_alu instid0(VALU_DEP_1) | instskip(NEXT) | instid1(VALU_DEP_1)
	v_dual_cndmask_b32 v1, v19, v1, s0 :: v_dual_bitop2_b32 v18, v5, v12 bitop3:0x14
	v_xor_b32_e32 v19, v1, v12
	s_delay_alu instid0(VALU_DEP_1)
	v_sub_nc_u64_e32 v[12:13], v[18:19], v[12:13]
.LBB56_44:                              ;   in Loop: Header=BB56_42 Depth=1
	s_and_not1_saveexec_b32 s0, s65
	s_cbranch_execz .LBB56_41
; %bb.45:                               ;   in Loop: Header=BB56_42 Depth=1
	v_cvt_f32_u32_e32 v1, s44
	s_sub_co_i32 s46, 0, s44
	s_delay_alu instid0(VALU_DEP_1) | instskip(SKIP_1) | instid1(TRANS32_DEP_1)
	v_rcp_iflag_f32_e32 v1, v1
	v_nop
	v_mul_f32_e32 v1, 0x4f7ffffe, v1
	s_delay_alu instid0(VALU_DEP_1) | instskip(NEXT) | instid1(VALU_DEP_1)
	v_cvt_u32_f32_e32 v1, v1
	v_mul_lo_u32 v5, s46, v1
	s_delay_alu instid0(VALU_DEP_1) | instskip(NEXT) | instid1(VALU_DEP_1)
	v_mul_hi_u32 v5, v1, v5
	v_add_nc_u32_e32 v1, v1, v5
	s_delay_alu instid0(VALU_DEP_1) | instskip(NEXT) | instid1(VALU_DEP_1)
	v_mul_hi_u32 v1, v10, v1
	v_mul_lo_u32 v5, v1, s44
	v_add_nc_u32_e32 v12, 1, v1
	s_delay_alu instid0(VALU_DEP_2) | instskip(NEXT) | instid1(VALU_DEP_1)
	v_sub_nc_u32_e32 v5, v10, v5
	v_subrev_nc_u32_e32 v13, s44, v5
	v_cmp_le_u32_e32 vcc_lo, s44, v5
	s_delay_alu instid0(VALU_DEP_2) | instskip(SKIP_1) | instid1(VALU_DEP_2)
	v_dual_cndmask_b32 v5, v5, v13, vcc_lo :: v_dual_mov_b32 v13, v4
	v_cndmask_b32_e32 v1, v1, v12, vcc_lo
	v_cmp_le_u32_e32 vcc_lo, s44, v5
	s_delay_alu instid0(VALU_DEP_2) | instskip(NEXT) | instid1(VALU_DEP_1)
	v_add_nc_u32_e32 v12, 1, v1
	v_cndmask_b32_e32 v12, v1, v12, vcc_lo
	s_branch .LBB56_41
.LBB56_46:
	s_mov_b32 s38, -1
	s_mov_b32 s0, 0
	s_mov_b32 s37, 0
	s_mov_b32 s1, exec_lo
	v_cmpx_gt_i64_e64 v[6:7], v[14:15]
	s_cbranch_execz .LBB56_52
; %bb.47:
	s_delay_alu instid0(VALU_DEP_2) | instskip(SKIP_1) | instid1(VALU_DEP_1)
	v_lshlrev_b64_e32 v[2:3], 3, v[2:3]
	s_xor_b32 s39, s51, -1
                                        ; implicit-def: $sgpr38
                                        ; implicit-def: $sgpr41
                                        ; implicit-def: $sgpr40
	v_lshl_add_u64 v[4:5], v[14:15], 3, v[2:3]
	v_add_nc_u64_e32 v[10:11], s[16:17], v[2:3]
	s_delay_alu instid0(VALU_DEP_2) | instskip(NEXT) | instid1(VALU_DEP_1)
	v_add_nc_u64_e32 v[4:5], s[16:17], v[4:5]
	v_add_nc_u64_e32 v[2:3], 8, v[4:5]
	s_delay_alu instid0(VALU_DEP_3)
	v_lshl_add_u64 v[4:5], v[6:7], 3, v[10:11]
	s_branch .LBB56_49
.LBB56_48:                              ;   in Loop: Header=BB56_49 Depth=1
	s_or_b32 exec_lo, exec_lo, s42
	s_delay_alu instid0(SALU_CYCLE_1) | instskip(NEXT) | instid1(SALU_CYCLE_1)
	s_and_b32 s42, exec_lo, s41
	s_or_b32 s37, s42, s37
	s_and_not1_b32 s38, s38, exec_lo
	s_and_b32 s42, s40, exec_lo
	s_delay_alu instid0(SALU_CYCLE_1)
	s_or_b32 s38, s38, s42
	s_and_not1_b32 exec_lo, exec_lo, s37
	s_cbranch_execz .LBB56_51
.LBB56_49:                              ; =>This Inner Loop Header: Depth=1
	s_or_b32 s40, s40, exec_lo
	s_or_b32 s41, s41, exec_lo
	s_mov_b32 s42, exec_lo
	s_delay_alu instid0(VALU_DEP_2)
	v_cmpx_lt_u64_e64 v[2:3], v[4:5]
	s_cbranch_execz .LBB56_48
; %bb.50:                               ;   in Loop: Header=BB56_49 Depth=1
	global_load_b128 v[10:13], v[2:3], off offset:-8
	s_and_not1_b32 s41, s41, exec_lo
	s_wait_xcnt 0x0
	v_add_nc_u64_e32 v[2:3], 8, v[2:3]
	s_and_not1_b32 s40, s40, exec_lo
	s_wait_loadcnt 0x0
	v_cmp_ge_i64_e32 vcc_lo, v[10:11], v[12:13]
	s_or_b32 s43, s39, vcc_lo
	s_delay_alu instid0(SALU_CYCLE_1) | instskip(NEXT) | instid1(SALU_CYCLE_1)
	s_and_b32 s43, s43, exec_lo
	s_or_b32 s41, s41, s43
	s_branch .LBB56_48
.LBB56_51:
	s_or_b32 exec_lo, exec_lo, s37
	s_delay_alu instid0(SALU_CYCLE_1)
	s_mov_b32 s37, exec_lo
	s_or_not1_b32 s38, s38, exec_lo
.LBB56_52:
	s_or_b32 exec_lo, exec_lo, s1
	s_mov_b32 s41, 0
	s_mov_b32 s39, 0
	s_and_saveexec_b32 s1, s38
	s_cbranch_execz .LBB56_56
; %bb.53:
	s_mov_b32 s38, 0
	s_mov_b32 s39, -1
	s_mov_b32 s0, 0
	s_mov_b32 s40, exec_lo
	v_cmpx_eq_u64_e64 s[4:5], v[38:39]
	s_xor_b32 s40, exec_lo, s40
; %bb.54:
	v_cmp_ne_u64_e32 vcc_lo, s[8:9], v[28:29]
	s_mov_b32 s0, exec_lo
	s_xor_b32 s39, exec_lo, -1
	s_and_b32 s38, vcc_lo, exec_lo
; %bb.55:
	s_or_b32 exec_lo, exec_lo, s40
	s_delay_alu instid0(SALU_CYCLE_1)
	s_and_b32 s39, s39, exec_lo
	s_and_not1_b32 s37, s37, exec_lo
	s_and_b32 s41, s0, exec_lo
	s_and_b32 s0, s38, exec_lo
.LBB56_56:
	s_or_b32 exec_lo, exec_lo, s1
	s_delay_alu instid0(SALU_CYCLE_1)
	s_and_b32 s40, s39, exec_lo
	s_and_b32 s39, s37, exec_lo
	s_xor_b32 s37, exec_lo, -1
	s_and_b32 s38, s41, exec_lo
	s_and_b32 s1, s0, exec_lo
.LBB56_57:
	s_or_b32 exec_lo, exec_lo, s64
	s_delay_alu instid0(SALU_CYCLE_1)
	s_and_b32 s41, s40, exec_lo
	s_and_b32 s39, s39, exec_lo
	;; [unrolled: 1-line block ×4, first 2 shown]
	s_or_not1_b32 s0, s1, exec_lo
.LBB56_58:
	s_or_b32 exec_lo, exec_lo, s63
	s_delay_alu instid0(SALU_CYCLE_1)
	s_or_not1_b32 s1, s41, exec_lo
	s_and_b32 s39, s39, exec_lo
	s_and_b32 s38, s40, exec_lo
	;; [unrolled: 1-line block ×4, first 2 shown]
.LBB56_59:
	s_or_b32 exec_lo, exec_lo, s62
	s_delay_alu instid0(SALU_CYCLE_1)
	s_and_not1_b32 s40, s60, exec_lo
	s_and_b32 s41, s39, exec_lo
	s_and_b32 s39, s1, exec_lo
	s_or_b32 s60, s40, s41
	s_and_b32 s38, s38, exec_lo
	s_and_b32 s1, s37, exec_lo
	;; [unrolled: 1-line block ×3, first 2 shown]
.LBB56_60:
	s_or_b32 exec_lo, exec_lo, s61
	s_delay_alu instid0(SALU_CYCLE_1)
	s_and_b32 s40, s39, exec_lo
	s_and_b32 s39, s60, exec_lo
	s_or_not1_b32 s37, s38, exec_lo
	s_and_b32 s38, s1, exec_lo
	s_and_b32 s1, s0, exec_lo
.LBB56_61:
	s_or_b32 exec_lo, exec_lo, s59
	s_delay_alu instid0(SALU_CYCLE_1)
	s_and_b32 s41, s40, exec_lo
	s_and_b32 s39, s39, exec_lo
	s_and_b32 s40, s37, exec_lo
	s_and_b32 s37, s38, exec_lo
	s_or_not1_b32 s0, s1, exec_lo
.LBB56_62:
	s_or_b32 exec_lo, exec_lo, s58
	s_delay_alu instid0(SALU_CYCLE_1)
	s_or_not1_b32 s1, s41, exec_lo
	s_and_b32 s39, s39, exec_lo
	s_and_b32 s38, s40, exec_lo
	;; [unrolled: 1-line block ×4, first 2 shown]
.LBB56_63:
	s_or_b32 exec_lo, exec_lo, s57
	s_delay_alu instid0(SALU_CYCLE_1)
	s_and_not1_b32 s40, s55, exec_lo
	s_and_b32 s39, s39, exec_lo
	s_and_b32 s1, s1, exec_lo
	s_or_b32 s55, s40, s39
	s_and_b32 s39, s38, exec_lo
	s_and_b32 s38, s37, exec_lo
	;; [unrolled: 1-line block ×3, first 2 shown]
.LBB56_64:
	s_or_b32 exec_lo, exec_lo, s56
	s_delay_alu instid0(SALU_CYCLE_1)
	s_and_b32 s1, s1, exec_lo
	s_and_b32 s42, s55, exec_lo
	s_or_not1_b32 s37, s39, exec_lo
	s_and_b32 s41, s38, exec_lo
	s_and_b32 s40, s0, exec_lo
.LBB56_65:
	s_or_b32 exec_lo, exec_lo, s54
	s_delay_alu instid0(SALU_CYCLE_1)
	s_and_b32 s1, s1, exec_lo
	s_and_b32 s54, s42, exec_lo
	s_and_b32 s37, s37, exec_lo
	s_and_b32 s0, s41, exec_lo
	s_or_not1_b32 s40, s40, exec_lo
	s_mov_b32 s55, s10
.LBB56_66:
	s_or_b32 exec_lo, exec_lo, s53
	s_and_saveexec_b32 s38, s40
	s_cbranch_execnz .LBB56_215
.LBB56_67:
	s_or_b32 exec_lo, exec_lo, s38
	s_mov_b32 s38, 0
	s_and_saveexec_b32 s39, s0
	s_delay_alu instid0(SALU_CYCLE_1)
	s_xor_b32 s39, exec_lo, s39
	s_cbranch_execnz .LBB56_141
; %bb.68:
	s_or_b32 exec_lo, exec_lo, s39
	s_and_saveexec_b32 s0, s37
	s_cbranch_execnz .LBB56_142
.LBB56_69:
	s_or_b32 exec_lo, exec_lo, s0
	s_mov_b32 s0, 0
	s_and_saveexec_b32 s53, s38
	s_cbranch_execnz .LBB56_143
.LBB56_70:
	s_or_b32 exec_lo, exec_lo, s53
	s_and_saveexec_b32 s36, s54
	s_cbranch_execnz .LBB56_178
.LBB56_71:
	s_or_b32 exec_lo, exec_lo, s36
	s_and_saveexec_b32 s36, s0
	s_delay_alu instid0(SALU_CYCLE_1)
	s_xor_b32 s0, exec_lo, s36
	s_cbranch_execz .LBB56_73
.LBB56_72:
	s_mov_b32 s36, 0
	s_add_nc_u64 s[34:35], s[18:19], s[34:35]
	s_mov_b32 s37, s36
	s_mov_b32 s38, s36
	;; [unrolled: 1-line block ×3, first 2 shown]
	s_wait_loadcnt 0x2
	v_mov_b64_e32 v[2:3], s[36:37]
	v_mov_b64_e32 v[4:5], s[38:39]
	s_clause 0x1
	global_store_b128 v36, v[2:5], s[34:35]
	global_store_b128 v36, v[2:5], s[34:35] offset:16
.LBB56_73:
	s_wait_xcnt 0x0
	s_or_b32 exec_lo, exec_lo, s0
	s_delay_alu instid0(SALU_CYCLE_1)
	s_and_b32 s3, s3, exec_lo
	s_or_not1_b32 s0, s1, exec_lo
.LBB56_74:
	s_or_b32 exec_lo, exec_lo, s50
.LBB56_75:
	s_and_saveexec_b32 s1, s0
	s_delay_alu instid0(SALU_CYCLE_1)
	s_xor_b32 s0, exec_lo, s1
	s_cbranch_execnz .LBB56_213
.LBB56_76:
	s_or_b32 exec_lo, exec_lo, s0
	s_mov_b32 s0, 0
.LBB56_77:
	s_delay_alu instid0(SALU_CYCLE_1)
	s_and_b32 vcc_lo, exec_lo, s0
	s_cbranch_vccz .LBB56_97
; %bb.78:
	s_wait_loadcnt 0x0
	v_mov_b64_e32 v[28:29], 0
	v_mov_b64_e32 v[40:41], 0
	;; [unrolled: 1-line block ×6, first 2 shown]
	v_cmp_gt_i32_e64 s0, s11, v0
	v_or_b32_e32 v1, 0x100, v0
	v_mov_b32_e32 v42, v0
	s_and_saveexec_b32 s1, s0
	s_cbranch_execz .LBB56_80
; %bb.79:
	v_or_b32_e32 v2, s2, v0
	v_or_b32_e32 v42, 0x100, v0
	s_clause 0x4
	global_load_b64 v[40:41], v2, s[20:21] scale_offset
	global_load_b64 v[36:37], v2, s[22:23] scale_offset
	;; [unrolled: 1-line block ×5, first 2 shown]
.LBB56_80:
	s_wait_xcnt 0x0
	s_or_b32 exec_lo, exec_lo, s1
	v_mov_b64_e32 v[30:31], 0
	v_mov_b64_e32 v[24:25], 0
	;; [unrolled: 1-line block ×4, first 2 shown]
	s_mov_b32 s1, exec_lo
	v_cmpx_gt_i32_e64 s11, v42
	s_cbranch_execz .LBB56_82
; %bb.81:
	v_add_nc_u32_e32 v2, s2, v42
	v_add_nc_u32_e32 v42, 0x100, v42
	s_clause 0x4
	global_load_b64 v[28:29], v2, s[20:21] scale_offset
	global_load_b64 v[30:31], v2, s[22:23] scale_offset
	;; [unrolled: 1-line block ×5, first 2 shown]
.LBB56_82:
	s_wait_xcnt 0x0
	s_or_b32 exec_lo, exec_lo, s1
	v_mov_b64_e32 v[10:11], 0
	v_mov_b64_e32 v[20:21], 0
	;; [unrolled: 1-line block ×6, first 2 shown]
	s_mov_b32 s1, exec_lo
	v_cmpx_gt_i32_e64 s11, v42
	s_cbranch_execz .LBB56_84
; %bb.83:
	v_add_nc_u32_e32 v2, s2, v42
	v_add_nc_u32_e32 v42, 0x100, v42
	s_clause 0x4
	global_load_b64 v[20:21], v2, s[20:21] scale_offset
	global_load_b64 v[18:19], v2, s[22:23] scale_offset
	;; [unrolled: 1-line block ×5, first 2 shown]
.LBB56_84:
	s_wait_xcnt 0x0
	s_or_b32 exec_lo, exec_lo, s1
	v_mov_b64_e32 v[8:9], 0
	v_mov_b64_e32 v[4:5], 0
	;; [unrolled: 1-line block ×4, first 2 shown]
	s_mov_b32 s1, exec_lo
	v_cmpx_gt_i32_e64 s11, v42
	s_cbranch_execz .LBB56_86
; %bb.85:
	v_add_nc_u32_e32 v42, s2, v42
	s_clause 0x4
	global_load_b64 v[10:11], v42, s[20:21] scale_offset
	global_load_b64 v[8:9], v42, s[22:23] scale_offset
	;; [unrolled: 1-line block ×5, first 2 shown]
.LBB56_86:
	s_wait_xcnt 0x0
	s_or_b32 exec_lo, exec_lo, s1
	s_get_pc_i64 s[20:21]
	s_add_nc_u64 s[20:21], s[20:21], .str.2@rel64+4
	s_cmp_lg_u64 s[30:31], 0
	s_get_pc_i64 s[22:23]
	s_add_nc_u64 s[22:23], s[22:23], .str.3@rel64+4
	s_cselect_b32 s43, -1, 0
	s_cmp_lg_u64 s[20:21], 0
	s_mov_b32 s1, -1
	s_cselect_b32 s41, -1, 0
	s_cmp_lg_u64 s[22:23], 0
	s_get_pc_i64 s[22:23]
	s_add_nc_u64 s[22:23], s[22:23], .str.4@rel64+4
	s_cselect_b32 s40, -1, 0
	s_add_co_i32 s20, s10, -1
	s_mov_b32 s48, 0
	s_cmp_gt_i32 s20, -1
	s_mov_b32 s46, 0
	s_cselect_b32 s39, -1, 0
	s_cmp_lg_u64 s[22:23], 0
	s_mov_b32 s45, 0
	s_cselect_b32 s38, -1, 0
	s_mov_b32 s44, 0
	s_mov_b32 s42, 0
	s_and_saveexec_b32 s33, s0
	s_cbranch_execnz .LBB56_106
; %bb.87:
	s_or_b32 exec_lo, exec_lo, s33
	s_mov_b32 s33, 0
	s_and_saveexec_b32 s47, s1
	s_cbranch_execnz .LBB56_160
.LBB56_88:
	s_or_b32 exec_lo, exec_lo, s47
	s_and_saveexec_b32 s1, s46
	s_cbranch_execnz .LBB56_212
.LBB56_89:
	s_or_b32 exec_lo, exec_lo, s1
	s_mov_b32 s1, 0
	s_and_saveexec_b32 s21, s48
	s_delay_alu instid0(SALU_CYCLE_1)
	s_xor_b32 s21, exec_lo, s21
	s_cbranch_execz .LBB56_91
; %bb.90:
	s_wait_loadcnt 0x3
	v_cmp_ne_u64_e32 vcc_lo, s[8:9], v[8:9]
	s_xor_b32 s22, s41, -1
	s_and_not1_b32 s23, s45, exec_lo
	s_mov_b32 s1, exec_lo
	s_or_b32 s22, s22, vcc_lo
	s_delay_alu instid0(SALU_CYCLE_1) | instskip(NEXT) | instid1(SALU_CYCLE_1)
	s_and_b32 s22, s22, exec_lo
	s_or_b32 s45, s23, s22
.LBB56_91:
	s_or_b32 exec_lo, exec_lo, s21
	s_and_saveexec_b32 s21, s45
	s_cbranch_execnz .LBB56_214
.LBB56_92:
	s_or_b32 exec_lo, exec_lo, s21
	s_mov_b32 s21, 0
	s_and_saveexec_b32 s22, s1
	s_delay_alu instid0(SALU_CYCLE_1)
	s_xor_b32 s22, exec_lo, s22
	s_cbranch_execnz .LBB56_116
; %bb.93:
	s_or_b32 exec_lo, exec_lo, s22
	s_and_saveexec_b32 s1, s44
	s_cbranch_execnz .LBB56_117
.LBB56_94:
	s_or_b32 exec_lo, exec_lo, s1
	s_and_saveexec_b32 s24, s21
	s_cbranch_execnz .LBB56_118
.LBB56_95:
	s_or_b32 exec_lo, exec_lo, s24
	s_and_saveexec_b32 s1, s42
	s_cbranch_execnz .LBB56_140
.LBB56_96:
	s_or_b32 exec_lo, exec_lo, s1
	s_and_saveexec_b32 s1, s3
	s_cbranch_execnz .LBB56_98
	s_branch .LBB56_99
.LBB56_97:
                                        ; implicit-def: $sgpr0
                                        ; implicit-def: $vgpr1
                                        ; implicit-def: $vgpr0
	s_and_saveexec_b32 s1, s3
.LBB56_98:
	; divergent unreachable
.LBB56_99:
	s_delay_alu instid0(SALU_CYCLE_1) | instskip(SKIP_1) | instid1(SALU_CYCLE_1)
	s_or_b32 exec_lo, exec_lo, s1
	s_and_saveexec_b32 s1, s33
	s_xor_b32 s1, exec_lo, s1
	s_cbranch_execz .LBB56_105
; %bb.100:
	s_and_saveexec_b32 s1, s0
	s_delay_alu instid0(SALU_CYCLE_1)
	s_xor_b32 s0, exec_lo, s1
	s_cbranch_execnz .LBB56_125
; %bb.101:
	s_or_b32 exec_lo, exec_lo, s0
	s_delay_alu instid0(SALU_CYCLE_1)
	s_mov_b32 s0, exec_lo
	v_cmpx_gt_i32_e64 s11, v0
	s_cbranch_execnz .LBB56_126
.LBB56_102:
	s_or_b32 exec_lo, exec_lo, s0
	s_delay_alu instid0(SALU_CYCLE_1)
	s_mov_b32 s0, exec_lo
	v_cmpx_gt_i32_e64 s11, v0
	s_cbranch_execnz .LBB56_127
.LBB56_103:
	s_or_b32 exec_lo, exec_lo, s0
	s_delay_alu instid0(SALU_CYCLE_1)
	s_mov_b32 s0, exec_lo
	v_cmpx_gt_i32_e64 s11, v0
	s_cbranch_execz .LBB56_105
.LBB56_104:
	s_wait_loadcnt 0x1
	v_mov_b64_e32 v[2:3], 0
	v_add_nc_u32_e32 v0, s2, v0
	global_store_b64 v0, v[2:3], s[18:19] scale_offset
.LBB56_105:
	s_endpgm
.LBB56_106:
	s_wait_loadcnt 0x4
	v_cmp_eq_u64_e32 vcc_lo, s[4:5], v[40:41]
	s_mov_b32 s21, -1
	s_mov_b32 s1, 0
	s_mov_b32 s22, 0
	;; [unrolled: 1-line block ×4, first 2 shown]
	s_and_b32 s25, s43, vcc_lo
	s_delay_alu instid0(SALU_CYCLE_1)
	s_and_saveexec_b32 s42, s25
	s_cbranch_execz .LBB56_159
; %bb.107:
	s_wait_loadcnt 0x3
	v_cmp_eq_u64_e32 vcc_lo, s[8:9], v[36:37]
	s_and_b32 s24, s41, vcc_lo
	s_delay_alu instid0(SALU_CYCLE_1)
	s_and_saveexec_b32 s44, s24
	s_cbranch_execz .LBB56_158
; %bb.108:
	s_wait_loadcnt 0x1
	v_sub_nc_u64_e32 v[36:37], v[32:33], v[34:35]
	s_delay_alu instid0(VALU_DEP_1)
	v_cmp_le_i64_e32 vcc_lo, s[4:5], v[36:37]
	v_cmp_ge_i64_e64 s1, s[6:7], v[36:37]
	s_and_b32 s22, vcc_lo, s1
	s_mov_b32 s1, 0
	s_and_b32 s23, s40, s22
	s_mov_b32 s22, 0
	s_and_saveexec_b32 s45, s23
	s_cbranch_execz .LBB56_157
; %bb.109:
	v_cmp_lt_i64_e64 s1, s[8:9], 1
	v_mov_b64_e32 v[36:37], 0
	s_xor_b32 s21, s39, -1
	s_delay_alu instid0(SALU_CYCLE_1) | instskip(NEXT) | instid1(SALU_CYCLE_1)
	s_or_b32 s1, s1, s21
	s_and_b32 vcc_lo, exec_lo, s1
	s_cbranch_vccnz .LBB56_133
; %bb.110:
	s_wait_loadcnt 0x0
	v_mul_u64_e32 v[40:41], s[8:9], v[38:39]
	s_mov_b32 s23, 0
	v_mov_b64_e32 v[36:37], 0
	s_mov_b32 s21, s23
	v_mov_b32_e32 v38, 0
	s_lshl_b64 s[28:29], s[20:21], 3
	s_mov_b64 s[24:25], 0xffffffff
	s_add_nc_u64 s[26:27], s[12:13], s[28:29]
	s_add_nc_u64 s[28:29], s[14:15], s[28:29]
	s_mov_b32 s21, s10
	s_branch .LBB56_112
.LBB56_111:                             ;   in Loop: Header=BB56_112 Depth=1
	s_or_b32 exec_lo, exec_lo, s1
	s_delay_alu instid0(VALU_DEP_1)
	v_mul_u64_e32 v[44:45], s[30:31], v[42:43]
	s_load_b64 s[30:31], s[28:29], 0x0
	s_add_co_i32 s21, s21, -1
	s_add_nc_u64 s[26:27], s[26:27], -8
	s_cmp_eq_u32 s21, 0
	s_wait_xcnt 0x0
	s_add_nc_u64 s[28:29], s[28:29], -8
	s_delay_alu instid0(VALU_DEP_1) | instskip(SKIP_1) | instid1(VALU_DEP_1)
	v_sub_nc_u64_e32 v[40:41], v[40:41], v[44:45]
	s_wait_kmcnt 0x0
	v_mad_nc_u64_u32 v[36:37], v40, s30, v[36:37]
	s_delay_alu instid0(VALU_DEP_1) | instskip(NEXT) | instid1(VALU_DEP_1)
	v_mad_u32 v37, v41, s30, v37
	v_mad_u32 v37, v40, s31, v37
	v_mov_b64_e32 v[40:41], v[42:43]
	s_cbranch_scc1 .LBB56_133
.LBB56_112:                             ; =>This Inner Loop Header: Depth=1
	s_load_b64 s[30:31], s[26:27], 0x0
                                        ; implicit-def: $vgpr42_vgpr43
	s_mov_b32 s1, exec_lo
	s_wait_kmcnt 0x0
	s_delay_alu instid0(VALU_DEP_1) | instskip(NEXT) | instid1(VALU_DEP_1)
	v_or_b32_e32 v39, s31, v41
	v_cmpx_ne_u64_e32 0, v[38:39]
	s_xor_b32 s46, exec_lo, s1
	s_cbranch_execz .LBB56_114
; %bb.113:                              ;   in Loop: Header=BB56_112 Depth=1
	s_ashr_i32 s34, s31, 31
	v_dual_mov_b32 v47, v38 :: v_dual_ashrrev_i32 v42, 31, v41
	s_mov_b32 s35, s34
	v_mov_b32_e32 v55, v38
	s_add_nc_u64 s[36:37], s[30:31], s[34:35]
	s_delay_alu instid0(VALU_DEP_2) | instskip(SKIP_1) | instid1(SALU_CYCLE_1)
	v_mov_b32_e32 v43, v42
	s_xor_b64 s[36:37], s[36:37], s[34:35]
	s_cvt_f32_u32 s1, s36
	s_cvt_f32_u32 s22, s37
	s_sub_nc_u64 s[52:53], 0, s[36:37]
	v_add_nc_u64_e32 v[44:45], v[40:41], v[42:43]
	v_mov_b32_e32 v51, v38
	s_fmamk_f32 s1, s22, 0x4f800000, s1
	s_delay_alu instid0(SALU_CYCLE_3) | instskip(NEXT) | instid1(VALU_DEP_2)
	v_s_rcp_f32 s1, s1
	v_xor_b32_e32 v46, v44, v42
	s_delay_alu instid0(VALU_DEP_3) | instskip(NEXT) | instid1(TRANS32_DEP_1)
	v_xor_b32_e32 v50, v45, v42
	s_mul_f32 s1, s1, 0x5f7ffffc
	s_delay_alu instid0(SALU_CYCLE_3) | instskip(NEXT) | instid1(SALU_CYCLE_3)
	s_mul_f32 s22, s1, 0x2f800000
	s_trunc_f32 s22, s22
	s_delay_alu instid0(SALU_CYCLE_3) | instskip(SKIP_1) | instid1(SALU_CYCLE_2)
	s_fmamk_f32 s1, s22, 0xcf800000, s1
	s_cvt_u32_f32 s51, s22
	s_cvt_u32_f32 s50, s1
	s_delay_alu instid0(SALU_CYCLE_3) | instskip(NEXT) | instid1(SALU_CYCLE_1)
	s_mul_u64 s[54:55], s[52:53], s[50:51]
	s_mul_hi_u32 s57, s50, s55
	s_mul_i32 s56, s50, s55
	s_mul_hi_u32 s22, s50, s54
	s_mul_i32 s35, s51, s54
	s_add_nc_u64 s[56:57], s[22:23], s[56:57]
	s_mul_hi_u32 s1, s51, s54
	s_mul_hi_u32 s47, s51, s55
	s_add_co_u32 s22, s56, s35
	s_add_co_ci_u32 s22, s57, s1
	s_mul_i32 s54, s51, s55
	s_add_co_ci_u32 s55, s47, 0
	s_delay_alu instid0(SALU_CYCLE_1) | instskip(NEXT) | instid1(SALU_CYCLE_1)
	s_add_nc_u64 s[54:55], s[22:23], s[54:55]
	s_add_co_u32 s50, s50, s54
	s_cselect_b32 s1, -1, 0
	s_delay_alu instid0(SALU_CYCLE_1) | instskip(SKIP_1) | instid1(SALU_CYCLE_1)
	s_cmp_lg_u32 s1, 0
	s_add_co_ci_u32 s51, s51, s55
	s_mul_u64 s[52:53], s[52:53], s[50:51]
	s_delay_alu instid0(SALU_CYCLE_1)
	s_mul_hi_u32 s55, s50, s53
	s_mul_i32 s54, s50, s53
	s_mul_hi_u32 s22, s50, s52
	s_mul_i32 s35, s51, s52
	s_add_nc_u64 s[54:55], s[22:23], s[54:55]
	s_mul_hi_u32 s1, s51, s52
	s_mul_hi_u32 s47, s51, s53
	s_add_co_u32 s22, s54, s35
	s_add_co_ci_u32 s22, s55, s1
	s_mul_i32 s52, s51, s53
	s_add_co_ci_u32 s53, s47, 0
	s_delay_alu instid0(SALU_CYCLE_1) | instskip(NEXT) | instid1(SALU_CYCLE_1)
	s_add_nc_u64 s[52:53], s[22:23], s[52:53]
	s_add_co_u32 s50, s50, s52
	s_cselect_b32 s1, -1, 0
	v_mul_hi_u32 v54, v46, s50
	s_cmp_lg_u32 s1, 0
	s_add_co_ci_u32 s22, s51, s53
	s_and_b64 s[52:53], s[50:51], s[24:25]
	v_mul_u64_e32 v[48:49], s[22:23], v[46:47]
	v_mul_u64_e32 v[44:45], s[52:53], v[50:51]
	;; [unrolled: 1-line block ×3, first 2 shown]
	s_delay_alu instid0(VALU_DEP_3) | instskip(NEXT) | instid1(VALU_DEP_1)
	v_add_nc_u64_e32 v[48:49], v[54:55], v[48:49]
	v_add_co_u32 v39, vcc_lo, v48, v44
	s_delay_alu instid0(VALU_DEP_2) | instskip(NEXT) | instid1(VALU_DEP_4)
	v_add_co_ci_u32_e32 v54, vcc_lo, v49, v45, vcc_lo
	v_add_co_ci_u32_e32 v53, vcc_lo, 0, v53, vcc_lo
	s_delay_alu instid0(VALU_DEP_1) | instskip(NEXT) | instid1(VALU_DEP_1)
	v_add_nc_u64_e32 v[44:45], v[54:55], v[52:53]
	v_mul_u64_e32 v[48:49], s[36:37], v[44:45]
	s_delay_alu instid0(VALU_DEP_1) | instskip(NEXT) | instid1(VALU_DEP_2)
	v_sub_nc_u32_e32 v39, v50, v49
	v_sub_co_u32 v43, vcc_lo, v46, v48
	s_delay_alu instid0(VALU_DEP_1) | instskip(NEXT) | instid1(VALU_DEP_3)
	v_sub_co_ci_u32_e64 v50, null, v50, v49, vcc_lo
	v_subrev_co_ci_u32_e64 v39, null, s37, v39, vcc_lo
	s_delay_alu instid0(VALU_DEP_3) | instskip(SKIP_1) | instid1(VALU_DEP_3)
	v_sub_co_u32 v46, s1, v43, s36
	v_add_nc_u64_e32 v[48:49], 1, v[44:45]
	v_subrev_co_ci_u32_e64 v39, null, 0, v39, s1
	s_delay_alu instid0(VALU_DEP_3) | instskip(SKIP_1) | instid1(VALU_DEP_3)
	v_cmp_le_u32_e32 vcc_lo, s36, v46
	v_cndmask_b32_e64 v46, 0, -1, vcc_lo
	v_cmp_le_u32_e32 vcc_lo, s37, v39
	v_cndmask_b32_e64 v47, 0, -1, vcc_lo
	;; [unrolled: 2-line block ×4, first 2 shown]
	v_cmp_eq_u32_e32 vcc_lo, s37, v39
	v_cndmask_b32_e32 v39, v47, v46, vcc_lo
	v_cmp_eq_u32_e32 vcc_lo, s37, v50
	v_add_nc_u64_e32 v[46:47], 2, v[44:45]
	v_cndmask_b32_e32 v43, v51, v43, vcc_lo
	s_delay_alu instid0(VALU_DEP_4) | instskip(NEXT) | instid1(VALU_DEP_2)
	v_cmp_ne_u32_e32 vcc_lo, 0, v39
	v_cmp_ne_u32_e64 s1, 0, v43
	s_delay_alu instid0(VALU_DEP_4) | instskip(NEXT) | instid1(VALU_DEP_1)
	v_dual_cndmask_b32 v39, v49, v47, vcc_lo :: v_dual_cndmask_b32 v43, v48, v46, vcc_lo
	v_dual_cndmask_b32 v39, v45, v39, s1 :: v_dual_bitop2_b32 v42, s34, v42 bitop3:0x14
	s_delay_alu instid0(VALU_DEP_1) | instskip(NEXT) | instid1(VALU_DEP_2)
	v_dual_cndmask_b32 v44, v44, v43, s1 :: v_dual_mov_b32 v43, v42
	v_xor_b32_e32 v45, v39, v42
	s_delay_alu instid0(VALU_DEP_2) | instskip(NEXT) | instid1(VALU_DEP_1)
	v_xor_b32_e32 v44, v44, v42
	v_sub_nc_u64_e32 v[42:43], v[44:45], v[42:43]
.LBB56_114:                             ;   in Loop: Header=BB56_112 Depth=1
	s_and_not1_saveexec_b32 s1, s46
	s_cbranch_execz .LBB56_111
; %bb.115:                              ;   in Loop: Header=BB56_112 Depth=1
	v_cvt_f32_u32_e32 v39, s30
	s_sub_co_i32 s22, 0, s30
	s_delay_alu instid0(VALU_DEP_1) | instskip(SKIP_1) | instid1(TRANS32_DEP_1)
	v_rcp_iflag_f32_e32 v39, v39
	v_nop
	v_mul_f32_e32 v39, 0x4f7ffffe, v39
	s_delay_alu instid0(VALU_DEP_1) | instskip(NEXT) | instid1(VALU_DEP_1)
	v_cvt_u32_f32_e32 v39, v39
	v_mul_lo_u32 v42, s22, v39
	s_delay_alu instid0(VALU_DEP_1) | instskip(NEXT) | instid1(VALU_DEP_1)
	v_mul_hi_u32 v42, v39, v42
	v_add_nc_u32_e32 v39, v39, v42
	s_delay_alu instid0(VALU_DEP_1) | instskip(NEXT) | instid1(VALU_DEP_1)
	v_mul_hi_u32 v39, v40, v39
	v_mul_lo_u32 v42, v39, s30
	s_delay_alu instid0(VALU_DEP_1) | instskip(NEXT) | instid1(VALU_DEP_1)
	v_dual_add_nc_u32 v43, 1, v39 :: v_dual_sub_nc_u32 v42, v40, v42
	v_subrev_nc_u32_e32 v44, s30, v42
	v_cmp_le_u32_e32 vcc_lo, s30, v42
	s_delay_alu instid0(VALU_DEP_2) | instskip(NEXT) | instid1(VALU_DEP_1)
	v_dual_cndmask_b32 v42, v42, v44 :: v_dual_cndmask_b32 v39, v39, v43
	v_cmp_le_u32_e32 vcc_lo, s30, v42
	s_delay_alu instid0(VALU_DEP_2) | instskip(NEXT) | instid1(VALU_DEP_1)
	v_add_nc_u32_e32 v43, 1, v39
	v_dual_cndmask_b32 v42, v39, v43 :: v_dual_mov_b32 v43, v38
	s_branch .LBB56_111
.LBB56_116:
	s_wait_loadcnt 0x1
	v_sub_nc_u64_e32 v[8:9], v[2:3], v[4:5]
	s_mov_b32 s21, exec_lo
	s_delay_alu instid0(VALU_DEP_1) | instskip(SKIP_3) | instid1(SALU_CYCLE_1)
	v_cmp_le_i64_e32 vcc_lo, s[4:5], v[8:9]
	v_cmp_ge_i64_e64 s1, s[6:7], v[8:9]
	s_and_not1_b32 s4, s44, exec_lo
	s_and_b32 s1, vcc_lo, s1
	s_and_b32 s1, s40, s1
	s_delay_alu instid0(SALU_CYCLE_1) | instskip(NEXT) | instid1(SALU_CYCLE_1)
	s_xor_b32 s1, s1, -1
	s_and_b32 s1, s1, exec_lo
	s_delay_alu instid0(SALU_CYCLE_1)
	s_or_b32 s44, s4, s1
	s_or_b32 exec_lo, exec_lo, s22
	s_and_saveexec_b32 s1, s44
	s_cbranch_execz .LBB56_94
.LBB56_117:
	s_or_b32 s3, s3, exec_lo
	s_and_not1_b32 s21, s21, exec_lo
	s_trap 2
	s_or_b32 exec_lo, exec_lo, s1
	s_and_saveexec_b32 s24, s21
	s_cbranch_execz .LBB56_95
.LBB56_118:
	v_cmp_lt_i64_e64 s1, s[8:9], 1
	s_wait_loadcnt 0x3
	v_mov_b64_e32 v[8:9], 0
	s_xor_b32 s4, s39, -1
	s_delay_alu instid0(SALU_CYCLE_1) | instskip(NEXT) | instid1(SALU_CYCLE_1)
	s_or_b32 s1, s1, s4
	s_and_b32 vcc_lo, exec_lo, s1
	s_cbranch_vccnz .LBB56_128
; %bb.119:
	s_wait_loadcnt 0x0
	v_mul_u64_e32 v[10:11], s[8:9], v[6:7]
	v_mov_b64_e32 v[8:9], 0
	s_mov_b32 s21, 0
	v_mov_b32_e32 v6, 0
	s_lshl_b64 s[8:9], s[20:21], 3
	s_mov_b64 s[4:5], 0xffffffff
	s_add_nc_u64 s[6:7], s[12:13], s[8:9]
	s_add_nc_u64 s[8:9], s[14:15], s[8:9]
	s_branch .LBB56_121
.LBB56_120:                             ;   in Loop: Header=BB56_121 Depth=1
	s_or_b32 exec_lo, exec_lo, s1
	s_delay_alu instid0(VALU_DEP_1)
	v_mul_u64_e32 v[14:15], s[12:13], v[12:13]
	s_load_b64 s[12:13], s[8:9], 0x0
	s_add_co_i32 s10, s10, -1
	s_add_nc_u64 s[6:7], s[6:7], -8
	s_cmp_lg_u32 s10, 0
	s_wait_xcnt 0x0
	s_add_nc_u64 s[8:9], s[8:9], -8
	s_delay_alu instid0(VALU_DEP_1) | instskip(SKIP_1) | instid1(VALU_DEP_1)
	v_sub_nc_u64_e32 v[10:11], v[10:11], v[14:15]
	s_wait_kmcnt 0x0
	v_mad_nc_u64_u32 v[8:9], v10, s12, v[8:9]
	s_delay_alu instid0(VALU_DEP_1) | instskip(NEXT) | instid1(VALU_DEP_1)
	v_mad_u32 v7, v11, s12, v9
	v_mad_u32 v9, v10, s13, v7
	v_mov_b64_e32 v[10:11], v[12:13]
	s_cbranch_scc0 .LBB56_128
.LBB56_121:                             ; =>This Inner Loop Header: Depth=1
	s_load_b64 s[12:13], s[6:7], 0x0
                                        ; implicit-def: $vgpr12_vgpr13
	s_mov_b32 s1, exec_lo
	s_wait_kmcnt 0x0
	s_delay_alu instid0(VALU_DEP_1) | instskip(NEXT) | instid1(VALU_DEP_1)
	v_or_b32_e32 v7, s13, v11
	v_cmpx_ne_u64_e32 0, v[6:7]
	s_xor_b32 s25, exec_lo, s1
	s_cbranch_execz .LBB56_123
; %bb.122:                              ;   in Loop: Header=BB56_121 Depth=1
	s_ashr_i32 s14, s13, 31
	v_dual_mov_b32 v17, v6 :: v_dual_ashrrev_i32 v12, 31, v11
	s_mov_b32 s15, s14
	s_delay_alu instid0(SALU_CYCLE_1) | instskip(NEXT) | instid1(VALU_DEP_1)
	s_add_nc_u64 s[22:23], s[12:13], s[14:15]
	v_mov_b32_e32 v13, v12
	s_xor_b64 s[22:23], s[22:23], s[14:15]
	s_delay_alu instid0(SALU_CYCLE_1)
	s_cvt_f32_u32 s1, s22
	s_cvt_f32_u32 s15, s23
	s_sub_nc_u64 s[28:29], 0, s[22:23]
	v_add_nc_u64_e32 v[14:15], v[10:11], v[12:13]
	v_mov_b32_e32 v21, v6
	s_fmamk_f32 s1, s15, 0x4f800000, s1
	s_delay_alu instid0(SALU_CYCLE_3) | instskip(NEXT) | instid1(VALU_DEP_2)
	v_s_rcp_f32 s1, s1
	v_xor_b32_e32 v16, v14, v12
	s_delay_alu instid0(VALU_DEP_3) | instskip(SKIP_1) | instid1(TRANS32_DEP_1)
	v_dual_mov_b32 v25, v6 :: v_dual_bitop2_b32 v20, v15, v12 bitop3:0x14
	v_xor_b32_e32 v12, s14, v12
	s_mul_f32 s1, s1, 0x5f7ffffc
	s_delay_alu instid0(SALU_CYCLE_3) | instskip(NEXT) | instid1(SALU_CYCLE_3)
	s_mul_f32 s15, s1, 0x2f800000
	s_trunc_f32 s15, s15
	s_delay_alu instid0(SALU_CYCLE_3) | instskip(SKIP_1) | instid1(SALU_CYCLE_2)
	s_fmamk_f32 s1, s15, 0xcf800000, s1
	s_cvt_u32_f32 s27, s15
	s_cvt_u32_f32 s26, s1
	s_delay_alu instid0(SALU_CYCLE_3) | instskip(NEXT) | instid1(SALU_CYCLE_1)
	s_mul_u64 s[30:31], s[28:29], s[26:27]
	s_mul_hi_u32 s35, s26, s31
	s_mul_i32 s34, s26, s31
	s_mul_hi_u32 s20, s26, s30
	s_mul_i32 s15, s27, s30
	s_add_nc_u64 s[34:35], s[20:21], s[34:35]
	s_mul_hi_u32 s1, s27, s30
	s_mul_hi_u32 s36, s27, s31
	s_add_co_u32 s15, s34, s15
	s_add_co_ci_u32 s20, s35, s1
	s_mul_i32 s30, s27, s31
	s_add_co_ci_u32 s31, s36, 0
	s_delay_alu instid0(SALU_CYCLE_1) | instskip(NEXT) | instid1(SALU_CYCLE_1)
	s_add_nc_u64 s[30:31], s[20:21], s[30:31]
	s_add_co_u32 s26, s26, s30
	s_cselect_b32 s1, -1, 0
	s_delay_alu instid0(SALU_CYCLE_1) | instskip(SKIP_1) | instid1(SALU_CYCLE_1)
	s_cmp_lg_u32 s1, 0
	s_add_co_ci_u32 s27, s27, s31
	s_mul_u64 s[28:29], s[28:29], s[26:27]
	s_delay_alu instid0(SALU_CYCLE_1)
	s_mul_hi_u32 s31, s26, s29
	s_mul_i32 s30, s26, s29
	s_mul_hi_u32 s20, s26, s28
	s_mul_i32 s15, s27, s28
	s_add_nc_u64 s[30:31], s[20:21], s[30:31]
	s_mul_hi_u32 s1, s27, s28
	s_mul_hi_u32 s34, s27, s29
	s_add_co_u32 s15, s30, s15
	s_add_co_ci_u32 s20, s31, s1
	s_mul_i32 s28, s27, s29
	s_add_co_ci_u32 s29, s34, 0
	s_delay_alu instid0(SALU_CYCLE_1) | instskip(NEXT) | instid1(SALU_CYCLE_1)
	s_add_nc_u64 s[28:29], s[20:21], s[28:29]
	s_add_co_u32 s26, s26, s28
	s_cselect_b32 s1, -1, 0
	v_mul_hi_u32 v24, v16, s26
	s_cmp_lg_u32 s1, 0
	s_add_co_ci_u32 s20, s27, s29
	s_and_b64 s[28:29], s[26:27], s[4:5]
	v_mul_u64_e32 v[18:19], s[20:21], v[16:17]
	v_mul_u64_e32 v[14:15], s[28:29], v[20:21]
	;; [unrolled: 1-line block ×3, first 2 shown]
	s_delay_alu instid0(VALU_DEP_3) | instskip(NEXT) | instid1(VALU_DEP_1)
	v_add_nc_u64_e32 v[18:19], v[24:25], v[18:19]
	v_add_co_u32 v7, vcc_lo, v18, v14
	s_delay_alu instid0(VALU_DEP_2) | instskip(NEXT) | instid1(VALU_DEP_4)
	v_add_co_ci_u32_e32 v24, vcc_lo, v19, v15, vcc_lo
	v_add_co_ci_u32_e32 v23, vcc_lo, 0, v23, vcc_lo
	s_delay_alu instid0(VALU_DEP_1) | instskip(NEXT) | instid1(VALU_DEP_1)
	v_add_nc_u64_e32 v[14:15], v[24:25], v[22:23]
	v_mul_u64_e32 v[18:19], s[22:23], v[14:15]
	s_delay_alu instid0(VALU_DEP_1) | instskip(NEXT) | instid1(VALU_DEP_2)
	v_sub_nc_u32_e32 v7, v20, v19
	v_sub_co_u32 v13, vcc_lo, v16, v18
	s_delay_alu instid0(VALU_DEP_1) | instskip(NEXT) | instid1(VALU_DEP_3)
	v_sub_co_ci_u32_e64 v20, null, v20, v19, vcc_lo
	v_subrev_co_ci_u32_e64 v7, null, s23, v7, vcc_lo
	s_delay_alu instid0(VALU_DEP_3) | instskip(SKIP_1) | instid1(VALU_DEP_3)
	v_sub_co_u32 v16, s1, v13, s22
	v_add_nc_u64_e32 v[18:19], 1, v[14:15]
	v_subrev_co_ci_u32_e64 v7, null, 0, v7, s1
	s_delay_alu instid0(VALU_DEP_3) | instskip(SKIP_1) | instid1(VALU_DEP_3)
	v_cmp_le_u32_e32 vcc_lo, s22, v16
	v_cndmask_b32_e64 v16, 0, -1, vcc_lo
	v_cmp_le_u32_e32 vcc_lo, s23, v7
	v_cndmask_b32_e64 v17, 0, -1, vcc_lo
	;; [unrolled: 2-line block ×4, first 2 shown]
	v_cmp_eq_u32_e32 vcc_lo, s23, v7
	v_cndmask_b32_e32 v7, v17, v16, vcc_lo
	v_cmp_eq_u32_e32 vcc_lo, s23, v20
	v_add_nc_u64_e32 v[16:17], 2, v[14:15]
	v_cndmask_b32_e32 v13, v21, v13, vcc_lo
	s_delay_alu instid0(VALU_DEP_4) | instskip(NEXT) | instid1(VALU_DEP_2)
	v_cmp_ne_u32_e32 vcc_lo, 0, v7
	v_cmp_ne_u32_e64 s1, 0, v13
	s_delay_alu instid0(VALU_DEP_4) | instskip(NEXT) | instid1(VALU_DEP_1)
	v_dual_cndmask_b32 v7, v19, v17, vcc_lo :: v_dual_cndmask_b32 v13, v18, v16, vcc_lo
	v_dual_cndmask_b32 v14, v14, v13, s1 :: v_dual_mov_b32 v13, v12
	s_delay_alu instid0(VALU_DEP_1) | instskip(NEXT) | instid1(VALU_DEP_1)
	v_dual_cndmask_b32 v7, v15, v7, s1 :: v_dual_bitop2_b32 v14, v14, v12 bitop3:0x14
	v_xor_b32_e32 v15, v7, v12
	s_delay_alu instid0(VALU_DEP_1)
	v_sub_nc_u64_e32 v[12:13], v[14:15], v[12:13]
.LBB56_123:                             ;   in Loop: Header=BB56_121 Depth=1
	s_and_not1_saveexec_b32 s1, s25
	s_cbranch_execz .LBB56_120
; %bb.124:                              ;   in Loop: Header=BB56_121 Depth=1
	v_cvt_f32_u32_e32 v7, s12
	s_sub_co_i32 s14, 0, s12
	s_delay_alu instid0(VALU_DEP_1) | instskip(SKIP_1) | instid1(TRANS32_DEP_1)
	v_rcp_iflag_f32_e32 v7, v7
	v_nop
	v_mul_f32_e32 v7, 0x4f7ffffe, v7
	s_delay_alu instid0(VALU_DEP_1) | instskip(NEXT) | instid1(VALU_DEP_1)
	v_cvt_u32_f32_e32 v7, v7
	v_mul_lo_u32 v12, s14, v7
	s_delay_alu instid0(VALU_DEP_1) | instskip(NEXT) | instid1(VALU_DEP_1)
	v_mul_hi_u32 v12, v7, v12
	v_add_nc_u32_e32 v7, v7, v12
	s_delay_alu instid0(VALU_DEP_1) | instskip(NEXT) | instid1(VALU_DEP_1)
	v_mul_hi_u32 v7, v10, v7
	v_mul_lo_u32 v12, v7, s12
	s_delay_alu instid0(VALU_DEP_1) | instskip(NEXT) | instid1(VALU_DEP_1)
	v_dual_add_nc_u32 v13, 1, v7 :: v_dual_sub_nc_u32 v12, v10, v12
	v_subrev_nc_u32_e32 v14, s12, v12
	v_cmp_le_u32_e32 vcc_lo, s12, v12
	s_delay_alu instid0(VALU_DEP_2) | instskip(NEXT) | instid1(VALU_DEP_1)
	v_dual_cndmask_b32 v12, v12, v14 :: v_dual_cndmask_b32 v7, v7, v13
	v_cmp_le_u32_e32 vcc_lo, s12, v12
	s_delay_alu instid0(VALU_DEP_2) | instskip(NEXT) | instid1(VALU_DEP_1)
	v_add_nc_u32_e32 v13, 1, v7
	v_dual_cndmask_b32 v12, v7, v13 :: v_dual_mov_b32 v13, v6
	s_branch .LBB56_120
.LBB56_125:
	s_wait_loadcnt 0x1
	v_mov_b64_e32 v[2:3], 0
	v_dual_mov_b32 v0, v1 :: v_dual_bitop2_b32 v4, s2, v0 bitop3:0x54
	global_store_b64 v4, v[2:3], s[18:19] scale_offset
	s_wait_xcnt 0x0
	s_or_b32 exec_lo, exec_lo, s0
	s_delay_alu instid0(SALU_CYCLE_1)
	s_mov_b32 s0, exec_lo
	v_cmpx_gt_i32_e64 s11, v0
	s_cbranch_execz .LBB56_102
.LBB56_126:
	s_wait_loadcnt 0x1
	v_mov_b64_e32 v[2:3], 0
	v_add_nc_u32_e32 v1, s2, v0
	v_add_nc_u32_e32 v0, 0x100, v0
	global_store_b64 v1, v[2:3], s[18:19] scale_offset
	s_wait_xcnt 0x0
	s_or_b32 exec_lo, exec_lo, s0
	s_delay_alu instid0(SALU_CYCLE_1)
	s_mov_b32 s0, exec_lo
	v_cmpx_gt_i32_e64 s11, v0
	s_cbranch_execz .LBB56_103
.LBB56_127:
	s_wait_loadcnt 0x1
	v_mov_b64_e32 v[2:3], 0
	v_add_nc_u32_e32 v1, s2, v0
	v_add_nc_u32_e32 v0, 0x100, v0
	global_store_b64 v1, v[2:3], s[18:19] scale_offset
	s_wait_xcnt 0x0
	s_or_b32 exec_lo, exec_lo, s0
	s_delay_alu instid0(SALU_CYCLE_1)
	s_mov_b32 s0, exec_lo
	v_cmpx_gt_i32_e64 s11, v0
	s_cbranch_execnz .LBB56_104
	s_branch .LBB56_105
.LBB56_128:
	s_mov_b32 s4, s42
	s_mov_b32 s1, exec_lo
	s_wait_loadcnt 0x1
	v_cmpx_gt_i64_e64 v[2:3], v[4:5]
	s_cbranch_execz .LBB56_139
; %bb.129:
	s_wait_loadcnt 0x0
	s_delay_alu instid0(VALU_DEP_2) | instskip(SKIP_2) | instid1(VALU_DEP_1)
	v_lshlrev_b64_e32 v[6:7], 3, v[8:9]
	s_mov_b32 s4, 0
	s_xor_b32 s6, s38, -1
                                        ; implicit-def: $sgpr5
                                        ; implicit-def: $sgpr8
                                        ; implicit-def: $sgpr7
	v_lshl_add_u64 v[4:5], v[4:5], 3, v[6:7]
	v_add_nc_u64_e32 v[6:7], s[16:17], v[6:7]
	s_delay_alu instid0(VALU_DEP_2) | instskip(NEXT) | instid1(VALU_DEP_2)
	v_add_nc_u64_e32 v[4:5], s[16:17], v[4:5]
	v_lshl_add_u64 v[2:3], v[2:3], 3, v[6:7]
	s_delay_alu instid0(VALU_DEP_2)
	v_add_nc_u64_e32 v[4:5], 8, v[4:5]
	s_branch .LBB56_131
.LBB56_130:                             ;   in Loop: Header=BB56_131 Depth=1
	s_or_b32 exec_lo, exec_lo, s9
	s_xor_b32 s9, s7, -1
	s_and_b32 s10, exec_lo, s8
	s_delay_alu instid0(SALU_CYCLE_1) | instskip(SKIP_2) | instid1(SALU_CYCLE_1)
	s_or_b32 s4, s10, s4
	s_and_not1_b32 s5, s5, exec_lo
	s_and_b32 s9, s9, exec_lo
	s_or_b32 s5, s5, s9
	s_and_not1_b32 exec_lo, exec_lo, s4
	s_cbranch_execz .LBB56_138
.LBB56_131:                             ; =>This Inner Loop Header: Depth=1
	s_or_b32 s7, s7, exec_lo
	s_or_b32 s8, s8, exec_lo
	s_mov_b32 s9, exec_lo
	s_delay_alu instid0(VALU_DEP_1)
	v_cmpx_lt_u64_e64 v[4:5], v[2:3]
	s_cbranch_execz .LBB56_130
; %bb.132:                              ;   in Loop: Header=BB56_131 Depth=1
	global_load_b128 v[6:9], v[4:5], off offset:-8
	s_wait_xcnt 0x0
	v_add_nc_u64_e32 v[4:5], 8, v[4:5]
	s_and_not1_b32 s8, s8, exec_lo
	s_and_not1_b32 s7, s7, exec_lo
	s_wait_loadcnt 0x0
	v_cmp_ge_i64_e32 vcc_lo, v[6:7], v[8:9]
	s_or_b32 s10, s6, vcc_lo
	s_delay_alu instid0(SALU_CYCLE_1) | instskip(NEXT) | instid1(SALU_CYCLE_1)
	s_and_b32 s10, s10, exec_lo
	s_or_b32 s8, s8, s10
	s_branch .LBB56_130
.LBB56_133:
	s_mov_b32 s23, -1
	s_mov_b32 s21, 0
	s_mov_b32 s1, exec_lo
	v_cmpx_gt_i64_e64 v[32:33], v[34:35]
	s_cbranch_execz .LBB56_156
; %bb.134:
	s_delay_alu instid0(VALU_DEP_2) | instskip(SKIP_1) | instid1(VALU_DEP_1)
	v_lshlrev_b64_e32 v[36:37], 3, v[36:37]
	s_xor_b32 s23, s38, -1
                                        ; implicit-def: $sgpr22
                                        ; implicit-def: $sgpr25
                                        ; implicit-def: $sgpr24
	v_lshl_add_u64 v[34:35], v[34:35], 3, v[36:37]
	v_add_nc_u64_e32 v[36:37], s[16:17], v[36:37]
	s_delay_alu instid0(VALU_DEP_2) | instskip(NEXT) | instid1(VALU_DEP_2)
	v_add_nc_u64_e32 v[34:35], s[16:17], v[34:35]
	v_lshl_add_u64 v[32:33], v[32:33], 3, v[36:37]
	s_delay_alu instid0(VALU_DEP_2)
	v_add_nc_u64_e32 v[34:35], 8, v[34:35]
	s_branch .LBB56_136
.LBB56_135:                             ;   in Loop: Header=BB56_136 Depth=1
	s_or_b32 exec_lo, exec_lo, s26
	s_delay_alu instid0(SALU_CYCLE_1) | instskip(NEXT) | instid1(SALU_CYCLE_1)
	s_and_b32 s26, exec_lo, s25
	s_or_b32 s21, s26, s21
	s_and_not1_b32 s22, s22, exec_lo
	s_and_b32 s26, s24, exec_lo
	s_delay_alu instid0(SALU_CYCLE_1)
	s_or_b32 s22, s22, s26
	s_and_not1_b32 exec_lo, exec_lo, s21
	s_cbranch_execz .LBB56_155
.LBB56_136:                             ; =>This Inner Loop Header: Depth=1
	s_or_b32 s24, s24, exec_lo
	s_or_b32 s25, s25, exec_lo
	s_mov_b32 s26, exec_lo
	s_delay_alu instid0(VALU_DEP_1)
	v_cmpx_lt_u64_e64 v[34:35], v[32:33]
	s_cbranch_execz .LBB56_135
; %bb.137:                              ;   in Loop: Header=BB56_136 Depth=1
	s_wait_loadcnt 0x0
	global_load_b128 v[36:39], v[34:35], off offset:-8
	s_wait_xcnt 0x0
	v_add_nc_u64_e32 v[34:35], 8, v[34:35]
	s_and_not1_b32 s25, s25, exec_lo
	s_and_not1_b32 s24, s24, exec_lo
	s_wait_loadcnt 0x0
	v_cmp_ge_i64_e32 vcc_lo, v[36:37], v[38:39]
	s_or_b32 s27, s23, vcc_lo
	s_delay_alu instid0(SALU_CYCLE_1) | instskip(NEXT) | instid1(SALU_CYCLE_1)
	s_and_b32 s27, s27, exec_lo
	s_or_b32 s25, s25, s27
	s_branch .LBB56_135
.LBB56_138:
	s_or_b32 exec_lo, exec_lo, s4
	s_delay_alu instid0(SALU_CYCLE_1) | instskip(SKIP_1) | instid1(SALU_CYCLE_1)
	s_and_not1_b32 s4, s42, exec_lo
	s_and_b32 s5, s5, exec_lo
	s_or_b32 s4, s4, s5
.LBB56_139:
	s_or_b32 exec_lo, exec_lo, s1
	s_delay_alu instid0(SALU_CYCLE_1)
	s_and_not1_b32 s1, s42, exec_lo
	s_and_b32 s4, s4, exec_lo
	s_or_b32 s33, s33, exec_lo
	s_or_b32 s42, s1, s4
	s_or_b32 exec_lo, exec_lo, s24
	s_and_saveexec_b32 s1, s42
	s_cbranch_execz .LBB56_96
.LBB56_140:
	s_and_not1_b32 s33, s33, exec_lo
	s_or_b32 s3, s3, exec_lo
	s_trap 2
	s_or_b32 exec_lo, exec_lo, s1
	s_and_saveexec_b32 s1, s3
	s_cbranch_execnz .LBB56_98
	s_branch .LBB56_99
.LBB56_141:
	s_wait_loadcnt 0x0
	v_sub_nc_u64_e32 v[2:3], v[8:9], v[16:17]
	s_and_not1_b32 s37, s37, exec_lo
	s_mov_b32 s38, exec_lo
	s_delay_alu instid0(VALU_DEP_1) | instskip(SKIP_2) | instid1(SALU_CYCLE_1)
	v_cmp_gt_i64_e32 vcc_lo, s[4:5], v[2:3]
	v_cmp_lt_i64_e64 s0, s[6:7], v[2:3]
	s_or_b32 s0, vcc_lo, s0
	s_and_b32 s0, s0, exec_lo
	s_delay_alu instid0(SALU_CYCLE_1)
	s_or_b32 s37, s37, s0
	s_or_b32 exec_lo, exec_lo, s39
	s_and_saveexec_b32 s0, s37
	s_cbranch_execz .LBB56_69
.LBB56_142:
	s_or_b32 s3, s3, exec_lo
	s_and_not1_b32 s38, s38, exec_lo
	s_trap 2
	s_or_b32 exec_lo, exec_lo, s0
	s_mov_b32 s0, 0
	s_and_saveexec_b32 s53, s38
	s_cbranch_execz .LBB56_70
.LBB56_143:
	s_wait_loadcnt 0x2
	v_mov_b64_e32 v[2:3], 0
	s_and_not1_b32 vcc_lo, exec_lo, s52
	s_cbranch_vccnz .LBB56_150
; %bb.144:
	s_wait_loadcnt 0x0
	v_mul_u64_e32 v[6:7], s[8:9], v[24:25]
	v_mov_b64_e32 v[2:3], 0
	s_mov_b32 s37, 0
	v_mov_b32_e32 v4, 0
	s_lshl_b64 s[42:43], s[36:37], 3
	s_mov_b64 s[38:39], 0xffffffff
	s_add_nc_u64 s[40:41], s[12:13], s[42:43]
	s_add_nc_u64 s[42:43], s[14:15], s[42:43]
	s_branch .LBB56_146
.LBB56_145:                             ;   in Loop: Header=BB56_146 Depth=1
	s_or_b32 exec_lo, exec_lo, s0
	s_delay_alu instid0(VALU_DEP_1)
	v_mul_u64_e32 v[12:13], s[44:45], v[10:11]
	s_load_b64 s[44:45], s[42:43], 0x0
	s_add_co_i32 s55, s55, -1
	s_add_nc_u64 s[40:41], s[40:41], -8
	s_cmp_lg_u32 s55, 0
	s_wait_xcnt 0x0
	s_add_nc_u64 s[42:43], s[42:43], -8
	s_delay_alu instid0(VALU_DEP_1) | instskip(SKIP_1) | instid1(VALU_DEP_1)
	v_sub_nc_u64_e32 v[6:7], v[6:7], v[12:13]
	s_wait_kmcnt 0x0
	v_mad_nc_u64_u32 v[2:3], v6, s44, v[2:3]
	s_delay_alu instid0(VALU_DEP_1) | instskip(NEXT) | instid1(VALU_DEP_1)
	v_mad_u32 v1, v7, s44, v3
	v_mad_u32 v3, v6, s45, v1
	v_mov_b64_e32 v[6:7], v[10:11]
	s_cbranch_scc0 .LBB56_150
.LBB56_146:                             ; =>This Inner Loop Header: Depth=1
	s_load_b64 s[44:45], s[40:41], 0x0
                                        ; implicit-def: $vgpr10_vgpr11
	s_mov_b32 s0, exec_lo
	s_wait_kmcnt 0x0
	s_delay_alu instid0(VALU_DEP_1) | instskip(NEXT) | instid1(VALU_DEP_1)
	v_or_b32_e32 v5, s45, v7
	v_cmpx_ne_u64_e32 0, v[4:5]
	s_xor_b32 s52, exec_lo, s0
	s_cbranch_execz .LBB56_148
; %bb.147:                              ;   in Loop: Header=BB56_146 Depth=1
	s_ashr_i32 s46, s45, 31
	v_dual_mov_b32 v15, v4 :: v_dual_ashrrev_i32 v10, 31, v7
	s_mov_b32 s47, s46
	v_mov_b32_e32 v25, v4
	s_add_nc_u64 s[48:49], s[44:45], s[46:47]
	s_delay_alu instid0(VALU_DEP_2) | instskip(SKIP_1) | instid1(SALU_CYCLE_1)
	v_mov_b32_e32 v11, v10
	s_xor_b64 s[48:49], s[48:49], s[46:47]
	s_cvt_f32_u32 s0, s48
	s_cvt_f32_u32 s36, s49
	s_sub_nc_u64 s[58:59], 0, s[48:49]
	v_add_nc_u64_e32 v[12:13], v[6:7], v[10:11]
	v_mov_b32_e32 v21, v4
	s_fmamk_f32 s0, s36, 0x4f800000, s0
	s_delay_alu instid0(SALU_CYCLE_3) | instskip(NEXT) | instid1(VALU_DEP_2)
	v_s_rcp_f32 s0, s0
	v_xor_b32_e32 v14, v12, v10
	s_delay_alu instid0(VALU_DEP_3) | instskip(NEXT) | instid1(TRANS32_DEP_1)
	v_xor_b32_e32 v20, v13, v10
	s_mul_f32 s0, s0, 0x5f7ffffc
	s_delay_alu instid0(SALU_CYCLE_3) | instskip(NEXT) | instid1(SALU_CYCLE_3)
	s_mul_f32 s36, s0, 0x2f800000
	s_trunc_f32 s36, s36
	s_delay_alu instid0(SALU_CYCLE_3) | instskip(SKIP_1) | instid1(SALU_CYCLE_2)
	s_fmamk_f32 s0, s36, 0xcf800000, s0
	s_cvt_u32_f32 s57, s36
	s_cvt_u32_f32 s56, s0
	s_delay_alu instid0(SALU_CYCLE_3) | instskip(NEXT) | instid1(SALU_CYCLE_1)
	s_mul_u64 s[60:61], s[58:59], s[56:57]
	s_mul_hi_u32 s63, s56, s61
	s_mul_i32 s62, s56, s61
	s_mul_hi_u32 s36, s56, s60
	s_mul_i32 s47, s57, s60
	s_add_nc_u64 s[62:63], s[36:37], s[62:63]
	s_mul_hi_u32 s0, s57, s60
	s_mul_hi_u32 s64, s57, s61
	s_add_co_u32 s36, s62, s47
	s_add_co_ci_u32 s36, s63, s0
	s_mul_i32 s60, s57, s61
	s_add_co_ci_u32 s61, s64, 0
	s_delay_alu instid0(SALU_CYCLE_1) | instskip(NEXT) | instid1(SALU_CYCLE_1)
	s_add_nc_u64 s[60:61], s[36:37], s[60:61]
	s_add_co_u32 s56, s56, s60
	s_cselect_b32 s0, -1, 0
	s_delay_alu instid0(SALU_CYCLE_1) | instskip(SKIP_1) | instid1(SALU_CYCLE_1)
	s_cmp_lg_u32 s0, 0
	s_add_co_ci_u32 s57, s57, s61
	s_mul_u64 s[58:59], s[58:59], s[56:57]
	s_delay_alu instid0(SALU_CYCLE_1)
	s_mul_hi_u32 s61, s56, s59
	s_mul_i32 s60, s56, s59
	s_mul_hi_u32 s36, s56, s58
	s_mul_i32 s47, s57, s58
	s_add_nc_u64 s[60:61], s[36:37], s[60:61]
	s_mul_hi_u32 s0, s57, s58
	s_mul_hi_u32 s62, s57, s59
	s_add_co_u32 s36, s60, s47
	s_add_co_ci_u32 s36, s61, s0
	s_mul_i32 s58, s57, s59
	s_add_co_ci_u32 s59, s62, 0
	s_delay_alu instid0(SALU_CYCLE_1) | instskip(NEXT) | instid1(SALU_CYCLE_1)
	s_add_nc_u64 s[58:59], s[36:37], s[58:59]
	s_add_co_u32 s0, s56, s58
	s_cselect_b32 s36, -1, 0
	v_mul_hi_u32 v24, v14, s0
	s_cmp_lg_u32 s36, 0
	s_add_co_ci_u32 s36, s57, s59
	s_and_b64 s[56:57], s[0:1], s[38:39]
	v_mul_u64_e32 v[18:19], s[36:37], v[14:15]
	v_mul_u64_e32 v[12:13], s[56:57], v[20:21]
	;; [unrolled: 1-line block ×3, first 2 shown]
	s_delay_alu instid0(VALU_DEP_3) | instskip(NEXT) | instid1(VALU_DEP_1)
	v_add_nc_u64_e32 v[18:19], v[24:25], v[18:19]
	v_add_co_u32 v1, vcc_lo, v18, v12
	s_delay_alu instid0(VALU_DEP_2) | instskip(NEXT) | instid1(VALU_DEP_4)
	v_add_co_ci_u32_e32 v24, vcc_lo, v19, v13, vcc_lo
	v_add_co_ci_u32_e32 v23, vcc_lo, 0, v23, vcc_lo
	s_delay_alu instid0(VALU_DEP_1) | instskip(NEXT) | instid1(VALU_DEP_1)
	v_add_nc_u64_e32 v[12:13], v[24:25], v[22:23]
	v_mul_u64_e32 v[18:19], s[48:49], v[12:13]
	s_delay_alu instid0(VALU_DEP_1) | instskip(NEXT) | instid1(VALU_DEP_2)
	v_sub_nc_u32_e32 v1, v20, v19
	v_sub_co_u32 v5, vcc_lo, v14, v18
	s_delay_alu instid0(VALU_DEP_1) | instskip(NEXT) | instid1(VALU_DEP_3)
	v_sub_co_ci_u32_e64 v20, null, v20, v19, vcc_lo
	v_subrev_co_ci_u32_e64 v1, null, s49, v1, vcc_lo
	s_delay_alu instid0(VALU_DEP_3) | instskip(SKIP_1) | instid1(VALU_DEP_3)
	v_sub_co_u32 v11, s0, v5, s48
	v_add_nc_u64_e32 v[18:19], 1, v[12:13]
	v_subrev_co_ci_u32_e64 v1, null, 0, v1, s0
	s_delay_alu instid0(VALU_DEP_3) | instskip(SKIP_1) | instid1(VALU_DEP_3)
	v_cmp_le_u32_e32 vcc_lo, s48, v11
	v_cndmask_b32_e64 v11, 0, -1, vcc_lo
	v_cmp_le_u32_e32 vcc_lo, s49, v1
	v_cndmask_b32_e64 v14, 0, -1, vcc_lo
	;; [unrolled: 2-line block ×4, first 2 shown]
	v_cmp_eq_u32_e32 vcc_lo, s49, v1
	v_cndmask_b32_e32 v1, v14, v11, vcc_lo
	v_cmp_eq_u32_e32 vcc_lo, s49, v20
	v_add_nc_u64_e32 v[14:15], 2, v[12:13]
	v_cndmask_b32_e32 v5, v21, v5, vcc_lo
	s_delay_alu instid0(VALU_DEP_4) | instskip(NEXT) | instid1(VALU_DEP_2)
	v_cmp_ne_u32_e32 vcc_lo, 0, v1
	v_cmp_ne_u32_e64 s0, 0, v5
	s_delay_alu instid0(VALU_DEP_4) | instskip(NEXT) | instid1(VALU_DEP_1)
	v_dual_cndmask_b32 v1, v19, v15, vcc_lo :: v_dual_cndmask_b32 v5, v18, v14, vcc_lo
	v_dual_cndmask_b32 v1, v13, v1, s0 :: v_dual_bitop2_b32 v10, s46, v10 bitop3:0x14
	s_delay_alu instid0(VALU_DEP_1) | instskip(NEXT) | instid1(VALU_DEP_2)
	v_dual_cndmask_b32 v5, v12, v5, s0 :: v_dual_mov_b32 v11, v10
	v_xor_b32_e32 v13, v1, v10
	s_delay_alu instid0(VALU_DEP_2) | instskip(NEXT) | instid1(VALU_DEP_1)
	v_xor_b32_e32 v12, v5, v10
	v_sub_nc_u64_e32 v[10:11], v[12:13], v[10:11]
.LBB56_148:                             ;   in Loop: Header=BB56_146 Depth=1
	s_and_not1_saveexec_b32 s0, s52
	s_cbranch_execz .LBB56_145
; %bb.149:                              ;   in Loop: Header=BB56_146 Depth=1
	v_cvt_f32_u32_e32 v1, s44
	s_sub_co_i32 s36, 0, s44
	s_delay_alu instid0(VALU_DEP_1) | instskip(SKIP_1) | instid1(TRANS32_DEP_1)
	v_rcp_iflag_f32_e32 v1, v1
	v_nop
	v_mul_f32_e32 v1, 0x4f7ffffe, v1
	s_delay_alu instid0(VALU_DEP_1) | instskip(NEXT) | instid1(VALU_DEP_1)
	v_cvt_u32_f32_e32 v1, v1
	v_mul_lo_u32 v5, s36, v1
	s_delay_alu instid0(VALU_DEP_1) | instskip(NEXT) | instid1(VALU_DEP_1)
	v_mul_hi_u32 v5, v1, v5
	v_add_nc_u32_e32 v1, v1, v5
	s_delay_alu instid0(VALU_DEP_1) | instskip(NEXT) | instid1(VALU_DEP_1)
	v_mul_hi_u32 v1, v6, v1
	v_mul_lo_u32 v5, v1, s44
	s_delay_alu instid0(VALU_DEP_1) | instskip(NEXT) | instid1(VALU_DEP_1)
	v_sub_nc_u32_e32 v5, v6, v5
	v_subrev_nc_u32_e32 v11, s44, v5
	v_cmp_le_u32_e32 vcc_lo, s44, v5
	s_delay_alu instid0(VALU_DEP_2) | instskip(NEXT) | instid1(VALU_DEP_1)
	v_dual_cndmask_b32 v5, v5, v11 :: v_dual_add_nc_u32 v10, 1, v1
	v_dual_cndmask_b32 v1, v1, v10, vcc_lo :: v_dual_mov_b32 v11, v4
	s_delay_alu instid0(VALU_DEP_2) | instskip(NEXT) | instid1(VALU_DEP_2)
	v_cmp_le_u32_e32 vcc_lo, s44, v5
	v_add_nc_u32_e32 v10, 1, v1
	s_delay_alu instid0(VALU_DEP_1)
	v_cndmask_b32_e32 v10, v1, v10, vcc_lo
	s_branch .LBB56_145
.LBB56_150:
	s_mov_b32 s36, s54
	s_mov_b32 s0, exec_lo
	s_wait_loadcnt 0x0
	v_cmpx_gt_i64_e64 v[8:9], v[16:17]
	s_cbranch_execz .LBB56_177
; %bb.151:
	s_delay_alu instid0(VALU_DEP_2) | instskip(SKIP_2) | instid1(VALU_DEP_1)
	v_lshlrev_b64_e32 v[2:3], 3, v[2:3]
	s_mov_b32 s36, 0
	s_xor_b32 s38, s51, -1
                                        ; implicit-def: $sgpr37
                                        ; implicit-def: $sgpr40
                                        ; implicit-def: $sgpr39
	v_lshl_add_u64 v[4:5], v[16:17], 3, v[2:3]
	v_add_nc_u64_e32 v[6:7], s[16:17], v[2:3]
	s_delay_alu instid0(VALU_DEP_2) | instskip(NEXT) | instid1(VALU_DEP_1)
	v_add_nc_u64_e32 v[4:5], s[16:17], v[4:5]
	v_add_nc_u64_e32 v[2:3], 8, v[4:5]
	s_delay_alu instid0(VALU_DEP_3)
	v_lshl_add_u64 v[4:5], v[8:9], 3, v[6:7]
	s_branch .LBB56_153
.LBB56_152:                             ;   in Loop: Header=BB56_153 Depth=1
	s_or_b32 exec_lo, exec_lo, s41
	s_xor_b32 s41, s39, -1
	s_and_b32 s42, exec_lo, s40
	s_delay_alu instid0(SALU_CYCLE_1) | instskip(SKIP_2) | instid1(SALU_CYCLE_1)
	s_or_b32 s36, s42, s36
	s_and_not1_b32 s37, s37, exec_lo
	s_and_b32 s41, s41, exec_lo
	s_or_b32 s37, s37, s41
	s_and_not1_b32 exec_lo, exec_lo, s36
	s_cbranch_execz .LBB56_176
.LBB56_153:                             ; =>This Inner Loop Header: Depth=1
	s_or_b32 s39, s39, exec_lo
	s_or_b32 s40, s40, exec_lo
	s_mov_b32 s41, exec_lo
	s_delay_alu instid0(VALU_DEP_2)
	v_cmpx_lt_u64_e64 v[2:3], v[4:5]
	s_cbranch_execz .LBB56_152
; %bb.154:                              ;   in Loop: Header=BB56_153 Depth=1
	global_load_b128 v[6:9], v[2:3], off offset:-8
	s_wait_xcnt 0x0
	v_add_nc_u64_e32 v[2:3], 8, v[2:3]
	s_and_not1_b32 s40, s40, exec_lo
	s_and_not1_b32 s39, s39, exec_lo
	s_wait_loadcnt 0x0
	v_cmp_ge_i64_e32 vcc_lo, v[6:7], v[8:9]
	s_or_b32 s42, s38, vcc_lo
	s_delay_alu instid0(SALU_CYCLE_1) | instskip(NEXT) | instid1(SALU_CYCLE_1)
	s_and_b32 s42, s42, exec_lo
	s_or_b32 s40, s40, s42
	s_branch .LBB56_152
.LBB56_155:
	s_or_b32 exec_lo, exec_lo, s21
	s_delay_alu instid0(SALU_CYCLE_1)
	s_mov_b32 s21, exec_lo
	s_or_not1_b32 s23, s22, exec_lo
.LBB56_156:
	s_or_b32 exec_lo, exec_lo, s1
	s_delay_alu instid0(SALU_CYCLE_1)
	s_and_b32 s22, s21, exec_lo
	s_xor_b32 s21, exec_lo, -1
	s_and_b32 s1, s23, exec_lo
.LBB56_157:
	s_or_b32 exec_lo, exec_lo, s45
	s_delay_alu instid0(SALU_CYCLE_1)
	s_and_b32 s23, s22, exec_lo
	s_and_b32 s22, s21, exec_lo
	s_xor_b32 s21, exec_lo, -1
	s_and_b32 s1, s1, exec_lo
.LBB56_158:
	s_or_b32 exec_lo, exec_lo, s44
	s_delay_alu instid0(SALU_CYCLE_1)
	s_and_b32 s24, s23, exec_lo
	s_and_b32 s23, s22, exec_lo
	;; [unrolled: 1-line block ×3, first 2 shown]
	s_xor_b32 s21, exec_lo, -1
	s_and_b32 s1, s1, exec_lo
.LBB56_159:
	s_or_b32 exec_lo, exec_lo, s42
	s_delay_alu instid0(SALU_CYCLE_1)
	s_and_b32 s42, s24, exec_lo
	s_and_b32 s44, s23, exec_lo
	;; [unrolled: 1-line block ×4, first 2 shown]
	s_or_not1_b32 s1, s1, exec_lo
	s_or_b32 exec_lo, exec_lo, s33
	s_mov_b32 s33, 0
	s_and_saveexec_b32 s47, s1
	s_cbranch_execz .LBB56_88
.LBB56_160:
	s_mov_b32 s1, -1
	s_mov_b32 s52, 0
	s_mov_b32 s48, s46
	;; [unrolled: 1-line block ×4, first 2 shown]
	s_mov_b32 s51, exec_lo
	v_cmpx_gt_i32_e64 s11, v1
	s_cbranch_execz .LBB56_184
; %bb.161:
	s_wait_loadcnt 0x4
	v_cmp_eq_u64_e32 vcc_lo, s[4:5], v[28:29]
	s_mov_b32 s21, -1
	s_mov_b32 s1, 0
	s_mov_b32 s23, s45
	;; [unrolled: 1-line block ×4, first 2 shown]
	s_and_b32 s25, s43, vcc_lo
	s_delay_alu instid0(SALU_CYCLE_1)
	s_and_saveexec_b32 s33, s25
	s_cbranch_execz .LBB56_183
; %bb.162:
	s_wait_loadcnt 0x3
	v_cmp_eq_u64_e32 vcc_lo, s[8:9], v[30:31]
	s_mov_b32 s23, s44
	s_and_b32 s24, s41, vcc_lo
	s_delay_alu instid0(SALU_CYCLE_1)
	s_and_saveexec_b32 s48, s24
	s_cbranch_execz .LBB56_182
; %bb.163:
	s_wait_loadcnt 0x1
	v_sub_nc_u64_e32 v[28:29], v[22:23], v[24:25]
	s_delay_alu instid0(VALU_DEP_1)
	v_cmp_le_i64_e32 vcc_lo, s[4:5], v[28:29]
	v_cmp_ge_i64_e64 s1, s[6:7], v[28:29]
	s_and_b32 s22, vcc_lo, s1
	s_mov_b32 s1, 0
	s_and_b32 s23, s40, s22
	s_mov_b32 s22, 0
	s_and_saveexec_b32 s49, s23
	s_cbranch_execz .LBB56_181
; %bb.164:
	v_cmp_lt_i64_e64 s1, s[8:9], 1
	v_mov_b64_e32 v[28:29], 0
	s_xor_b32 s21, s39, -1
	s_delay_alu instid0(SALU_CYCLE_1) | instskip(NEXT) | instid1(SALU_CYCLE_1)
	s_or_b32 s1, s1, s21
	s_and_b32 vcc_lo, exec_lo, s1
	s_cbranch_vccnz .LBB56_171
; %bb.165:
	s_wait_loadcnt 0x0
	v_mul_u64_e32 v[30:31], s[8:9], v[26:27]
	s_mov_b32 s23, 0
	v_mov_b64_e32 v[28:29], 0
	s_mov_b32 s21, s23
	v_mov_b32_e32 v26, 0
	s_lshl_b64 s[28:29], s[20:21], 3
	s_mov_b64 s[24:25], 0xffffffff
	s_add_nc_u64 s[26:27], s[12:13], s[28:29]
	s_add_nc_u64 s[28:29], s[14:15], s[28:29]
	s_mov_b32 s21, s10
	s_branch .LBB56_167
.LBB56_166:                             ;   in Loop: Header=BB56_167 Depth=1
	s_or_b32 exec_lo, exec_lo, s1
	s_delay_alu instid0(VALU_DEP_1)
	v_mul_u64_e32 v[34:35], s[30:31], v[32:33]
	s_load_b64 s[30:31], s[28:29], 0x0
	s_add_co_i32 s21, s21, -1
	s_add_nc_u64 s[26:27], s[26:27], -8
	s_cmp_lg_u32 s21, 0
	s_wait_xcnt 0x0
	s_add_nc_u64 s[28:29], s[28:29], -8
	s_delay_alu instid0(VALU_DEP_1) | instskip(SKIP_1) | instid1(VALU_DEP_1)
	v_sub_nc_u64_e32 v[30:31], v[30:31], v[34:35]
	s_wait_kmcnt 0x0
	v_mad_nc_u64_u32 v[28:29], v30, s30, v[28:29]
	s_delay_alu instid0(VALU_DEP_1) | instskip(NEXT) | instid1(VALU_DEP_1)
	v_mad_u32 v27, v31, s30, v29
	v_mad_u32 v29, v30, s31, v27
	v_mov_b64_e32 v[30:31], v[32:33]
	s_cbranch_scc0 .LBB56_171
.LBB56_167:                             ; =>This Inner Loop Header: Depth=1
	s_load_b64 s[30:31], s[26:27], 0x0
                                        ; implicit-def: $vgpr32_vgpr33
	s_mov_b32 s1, exec_lo
	s_wait_kmcnt 0x0
	s_delay_alu instid0(VALU_DEP_1) | instskip(NEXT) | instid1(VALU_DEP_1)
	v_or_b32_e32 v27, s31, v31
	v_cmpx_ne_u64_e32 0, v[26:27]
	s_xor_b32 s50, exec_lo, s1
	s_cbranch_execz .LBB56_169
; %bb.168:                              ;   in Loop: Header=BB56_167 Depth=1
	s_ashr_i32 s34, s31, 31
	v_dual_mov_b32 v37, v26 :: v_dual_ashrrev_i32 v32, 31, v31
	s_mov_b32 s35, s34
	s_delay_alu instid0(SALU_CYCLE_1) | instskip(NEXT) | instid1(VALU_DEP_1)
	s_add_nc_u64 s[36:37], s[30:31], s[34:35]
	v_mov_b32_e32 v33, v32
	s_xor_b64 s[36:37], s[36:37], s[34:35]
	s_delay_alu instid0(SALU_CYCLE_1)
	s_cvt_f32_u32 s1, s36
	s_cvt_f32_u32 s22, s37
	s_sub_nc_u64 s[56:57], 0, s[36:37]
	v_add_nc_u64_e32 v[34:35], v[30:31], v[32:33]
	v_mov_b32_e32 v41, v26
	s_fmamk_f32 s1, s22, 0x4f800000, s1
	s_delay_alu instid0(SALU_CYCLE_3) | instskip(NEXT) | instid1(VALU_DEP_2)
	v_s_rcp_f32 s1, s1
	v_xor_b32_e32 v36, v34, v32
	s_delay_alu instid0(VALU_DEP_3) | instskip(SKIP_1) | instid1(TRANS32_DEP_1)
	v_dual_mov_b32 v45, v26 :: v_dual_bitop2_b32 v40, v35, v32 bitop3:0x14
	v_xor_b32_e32 v32, s34, v32
	s_mul_f32 s1, s1, 0x5f7ffffc
	s_delay_alu instid0(SALU_CYCLE_3) | instskip(NEXT) | instid1(SALU_CYCLE_3)
	s_mul_f32 s22, s1, 0x2f800000
	s_trunc_f32 s22, s22
	s_delay_alu instid0(SALU_CYCLE_3) | instskip(SKIP_1) | instid1(SALU_CYCLE_2)
	s_fmamk_f32 s1, s22, 0xcf800000, s1
	s_cvt_u32_f32 s55, s22
	s_cvt_u32_f32 s54, s1
	s_delay_alu instid0(SALU_CYCLE_3) | instskip(NEXT) | instid1(SALU_CYCLE_1)
	s_mul_u64 s[58:59], s[56:57], s[54:55]
	s_mul_hi_u32 s61, s54, s59
	s_mul_i32 s60, s54, s59
	s_mul_hi_u32 s22, s54, s58
	s_mul_i32 s35, s55, s58
	s_add_nc_u64 s[60:61], s[22:23], s[60:61]
	s_mul_hi_u32 s1, s55, s58
	s_mul_hi_u32 s53, s55, s59
	s_add_co_u32 s22, s60, s35
	s_add_co_ci_u32 s22, s61, s1
	s_mul_i32 s58, s55, s59
	s_add_co_ci_u32 s59, s53, 0
	s_delay_alu instid0(SALU_CYCLE_1) | instskip(NEXT) | instid1(SALU_CYCLE_1)
	s_add_nc_u64 s[58:59], s[22:23], s[58:59]
	s_add_co_u32 s54, s54, s58
	s_cselect_b32 s1, -1, 0
	s_delay_alu instid0(SALU_CYCLE_1) | instskip(SKIP_1) | instid1(SALU_CYCLE_1)
	s_cmp_lg_u32 s1, 0
	s_add_co_ci_u32 s55, s55, s59
	s_mul_u64 s[56:57], s[56:57], s[54:55]
	s_delay_alu instid0(SALU_CYCLE_1)
	s_mul_hi_u32 s59, s54, s57
	s_mul_i32 s58, s54, s57
	s_mul_hi_u32 s22, s54, s56
	s_mul_i32 s35, s55, s56
	s_add_nc_u64 s[58:59], s[22:23], s[58:59]
	s_mul_hi_u32 s1, s55, s56
	s_mul_hi_u32 s53, s55, s57
	s_add_co_u32 s22, s58, s35
	s_add_co_ci_u32 s22, s59, s1
	s_mul_i32 s56, s55, s57
	s_add_co_ci_u32 s57, s53, 0
	s_delay_alu instid0(SALU_CYCLE_1) | instskip(NEXT) | instid1(SALU_CYCLE_1)
	s_add_nc_u64 s[56:57], s[22:23], s[56:57]
	s_add_co_u32 s54, s54, s56
	s_cselect_b32 s1, -1, 0
	v_mul_hi_u32 v44, v36, s54
	s_cmp_lg_u32 s1, 0
	s_add_co_ci_u32 s22, s55, s57
	s_and_b64 s[56:57], s[54:55], s[24:25]
	v_mul_u64_e32 v[38:39], s[22:23], v[36:37]
	v_mul_u64_e32 v[34:35], s[56:57], v[40:41]
	;; [unrolled: 1-line block ×3, first 2 shown]
	s_delay_alu instid0(VALU_DEP_3) | instskip(NEXT) | instid1(VALU_DEP_1)
	v_add_nc_u64_e32 v[38:39], v[44:45], v[38:39]
	v_add_co_u32 v27, vcc_lo, v38, v34
	s_delay_alu instid0(VALU_DEP_2) | instskip(NEXT) | instid1(VALU_DEP_4)
	v_add_co_ci_u32_e32 v44, vcc_lo, v39, v35, vcc_lo
	v_add_co_ci_u32_e32 v43, vcc_lo, 0, v43, vcc_lo
	s_delay_alu instid0(VALU_DEP_1) | instskip(NEXT) | instid1(VALU_DEP_1)
	v_add_nc_u64_e32 v[34:35], v[44:45], v[42:43]
	v_mul_u64_e32 v[38:39], s[36:37], v[34:35]
	s_delay_alu instid0(VALU_DEP_1) | instskip(NEXT) | instid1(VALU_DEP_2)
	v_sub_nc_u32_e32 v27, v40, v39
	v_sub_co_u32 v33, vcc_lo, v36, v38
	s_delay_alu instid0(VALU_DEP_1) | instskip(NEXT) | instid1(VALU_DEP_3)
	v_sub_co_ci_u32_e64 v40, null, v40, v39, vcc_lo
	v_subrev_co_ci_u32_e64 v27, null, s37, v27, vcc_lo
	s_delay_alu instid0(VALU_DEP_3) | instskip(SKIP_1) | instid1(VALU_DEP_3)
	v_sub_co_u32 v36, s1, v33, s36
	v_add_nc_u64_e32 v[38:39], 1, v[34:35]
	v_subrev_co_ci_u32_e64 v27, null, 0, v27, s1
	s_delay_alu instid0(VALU_DEP_3) | instskip(SKIP_1) | instid1(VALU_DEP_3)
	v_cmp_le_u32_e32 vcc_lo, s36, v36
	v_cndmask_b32_e64 v36, 0, -1, vcc_lo
	v_cmp_le_u32_e32 vcc_lo, s37, v27
	v_cndmask_b32_e64 v37, 0, -1, vcc_lo
	;; [unrolled: 2-line block ×4, first 2 shown]
	v_cmp_eq_u32_e32 vcc_lo, s37, v27
	v_cndmask_b32_e32 v27, v37, v36, vcc_lo
	v_cmp_eq_u32_e32 vcc_lo, s37, v40
	v_add_nc_u64_e32 v[36:37], 2, v[34:35]
	v_cndmask_b32_e32 v33, v41, v33, vcc_lo
	s_delay_alu instid0(VALU_DEP_4) | instskip(NEXT) | instid1(VALU_DEP_2)
	v_cmp_ne_u32_e32 vcc_lo, 0, v27
	v_cmp_ne_u32_e64 s1, 0, v33
	s_delay_alu instid0(VALU_DEP_4) | instskip(NEXT) | instid1(VALU_DEP_1)
	v_dual_cndmask_b32 v27, v39, v37, vcc_lo :: v_dual_cndmask_b32 v33, v38, v36, vcc_lo
	v_dual_cndmask_b32 v34, v34, v33, s1 :: v_dual_mov_b32 v33, v32
	s_delay_alu instid0(VALU_DEP_1) | instskip(NEXT) | instid1(VALU_DEP_1)
	v_dual_cndmask_b32 v27, v35, v27, s1 :: v_dual_bitop2_b32 v34, v34, v32 bitop3:0x14
	v_xor_b32_e32 v35, v27, v32
	s_delay_alu instid0(VALU_DEP_1)
	v_sub_nc_u64_e32 v[32:33], v[34:35], v[32:33]
.LBB56_169:                             ;   in Loop: Header=BB56_167 Depth=1
	s_and_not1_saveexec_b32 s1, s50
	s_cbranch_execz .LBB56_166
; %bb.170:                              ;   in Loop: Header=BB56_167 Depth=1
	v_cvt_f32_u32_e32 v27, s30
	s_sub_co_i32 s22, 0, s30
	s_delay_alu instid0(VALU_DEP_1) | instskip(SKIP_1) | instid1(TRANS32_DEP_1)
	v_rcp_iflag_f32_e32 v27, v27
	v_nop
	v_mul_f32_e32 v27, 0x4f7ffffe, v27
	s_delay_alu instid0(VALU_DEP_1) | instskip(NEXT) | instid1(VALU_DEP_1)
	v_cvt_u32_f32_e32 v27, v27
	v_mul_lo_u32 v32, s22, v27
	s_delay_alu instid0(VALU_DEP_1) | instskip(NEXT) | instid1(VALU_DEP_1)
	v_mul_hi_u32 v32, v27, v32
	v_add_nc_u32_e32 v27, v27, v32
	s_delay_alu instid0(VALU_DEP_1) | instskip(NEXT) | instid1(VALU_DEP_1)
	v_mul_hi_u32 v27, v30, v27
	v_mul_lo_u32 v32, v27, s30
	s_delay_alu instid0(VALU_DEP_1) | instskip(NEXT) | instid1(VALU_DEP_1)
	v_dual_add_nc_u32 v33, 1, v27 :: v_dual_sub_nc_u32 v32, v30, v32
	v_subrev_nc_u32_e32 v34, s30, v32
	v_cmp_le_u32_e32 vcc_lo, s30, v32
	s_delay_alu instid0(VALU_DEP_2) | instskip(NEXT) | instid1(VALU_DEP_1)
	v_dual_cndmask_b32 v32, v32, v34 :: v_dual_cndmask_b32 v27, v27, v33
	v_cmp_le_u32_e32 vcc_lo, s30, v32
	s_delay_alu instid0(VALU_DEP_2) | instskip(NEXT) | instid1(VALU_DEP_1)
	v_add_nc_u32_e32 v33, 1, v27
	v_dual_cndmask_b32 v32, v27, v33 :: v_dual_mov_b32 v33, v26
	s_branch .LBB56_166
.LBB56_171:
	s_mov_b32 s23, -1
	s_mov_b32 s21, 0
	s_mov_b32 s1, exec_lo
	v_cmpx_gt_i64_e64 v[22:23], v[24:25]
	s_cbranch_execz .LBB56_180
; %bb.172:
	s_wait_loadcnt 0x0
	s_delay_alu instid0(VALU_DEP_2) | instskip(SKIP_1) | instid1(VALU_DEP_1)
	v_lshlrev_b64_e32 v[26:27], 3, v[28:29]
	s_xor_b32 s23, s38, -1
                                        ; implicit-def: $sgpr22
                                        ; implicit-def: $sgpr25
                                        ; implicit-def: $sgpr24
	v_lshl_add_u64 v[24:25], v[24:25], 3, v[26:27]
	v_add_nc_u64_e32 v[26:27], s[16:17], v[26:27]
	s_delay_alu instid0(VALU_DEP_2) | instskip(NEXT) | instid1(VALU_DEP_2)
	v_add_nc_u64_e32 v[24:25], s[16:17], v[24:25]
	v_lshl_add_u64 v[22:23], v[22:23], 3, v[26:27]
	s_delay_alu instid0(VALU_DEP_2)
	v_add_nc_u64_e32 v[24:25], 8, v[24:25]
	s_branch .LBB56_174
.LBB56_173:                             ;   in Loop: Header=BB56_174 Depth=1
	s_or_b32 exec_lo, exec_lo, s26
	s_delay_alu instid0(SALU_CYCLE_1) | instskip(NEXT) | instid1(SALU_CYCLE_1)
	s_and_b32 s26, exec_lo, s25
	s_or_b32 s21, s26, s21
	s_and_not1_b32 s22, s22, exec_lo
	s_and_b32 s26, s24, exec_lo
	s_delay_alu instid0(SALU_CYCLE_1)
	s_or_b32 s22, s22, s26
	s_and_not1_b32 exec_lo, exec_lo, s21
	s_cbranch_execz .LBB56_179
.LBB56_174:                             ; =>This Inner Loop Header: Depth=1
	s_or_b32 s24, s24, exec_lo
	s_or_b32 s25, s25, exec_lo
	s_mov_b32 s26, exec_lo
	s_delay_alu instid0(VALU_DEP_1)
	v_cmpx_lt_u64_e64 v[24:25], v[22:23]
	s_cbranch_execz .LBB56_173
; %bb.175:                              ;   in Loop: Header=BB56_174 Depth=1
	global_load_b128 v[26:29], v[24:25], off offset:-8
	s_wait_xcnt 0x0
	v_add_nc_u64_e32 v[24:25], 8, v[24:25]
	s_and_not1_b32 s25, s25, exec_lo
	s_and_not1_b32 s24, s24, exec_lo
	s_wait_loadcnt 0x0
	v_cmp_ge_i64_e32 vcc_lo, v[26:27], v[28:29]
	s_or_b32 s27, s23, vcc_lo
	s_delay_alu instid0(SALU_CYCLE_1) | instskip(NEXT) | instid1(SALU_CYCLE_1)
	s_and_b32 s27, s27, exec_lo
	s_or_b32 s25, s25, s27
	s_branch .LBB56_173
.LBB56_176:
	s_or_b32 exec_lo, exec_lo, s36
	s_delay_alu instid0(SALU_CYCLE_1) | instskip(SKIP_1) | instid1(SALU_CYCLE_1)
	s_and_not1_b32 s36, s54, exec_lo
	s_and_b32 s37, s37, exec_lo
	s_or_b32 s36, s36, s37
.LBB56_177:
	s_or_b32 exec_lo, exec_lo, s0
	s_delay_alu instid0(SALU_CYCLE_1)
	s_and_not1_b32 s37, s54, exec_lo
	s_and_b32 s36, s36, exec_lo
	s_mov_b32 s0, exec_lo
	s_or_b32 s54, s37, s36
	s_or_b32 exec_lo, exec_lo, s53
	s_and_saveexec_b32 s36, s54
	s_cbranch_execz .LBB56_71
.LBB56_178:
	s_or_b32 s3, s3, exec_lo
	s_and_not1_b32 s0, s0, exec_lo
	s_trap 2
	s_or_b32 exec_lo, exec_lo, s36
	s_and_saveexec_b32 s36, s0
	s_delay_alu instid0(SALU_CYCLE_1)
	s_xor_b32 s0, exec_lo, s36
	s_cbranch_execnz .LBB56_72
	s_branch .LBB56_73
.LBB56_179:
	s_or_b32 exec_lo, exec_lo, s21
	s_delay_alu instid0(SALU_CYCLE_1)
	s_mov_b32 s21, exec_lo
	s_or_not1_b32 s23, s22, exec_lo
.LBB56_180:
	s_or_b32 exec_lo, exec_lo, s1
	s_delay_alu instid0(SALU_CYCLE_1)
	s_and_b32 s22, s21, exec_lo
	s_xor_b32 s21, exec_lo, -1
	s_and_b32 s1, s23, exec_lo
.LBB56_181:
	s_or_b32 exec_lo, exec_lo, s49
	s_delay_alu instid0(SALU_CYCLE_1)
	s_and_not1_b32 s23, s44, exec_lo
	s_and_b32 s21, s21, exec_lo
	s_and_b32 s22, s22, exec_lo
	s_or_b32 s23, s23, s21
	s_xor_b32 s21, exec_lo, -1
	s_and_b32 s1, s1, exec_lo
.LBB56_182:
	s_or_b32 exec_lo, exec_lo, s48
	s_delay_alu instid0(SALU_CYCLE_1)
	s_and_not1_b32 s24, s44, exec_lo
	s_and_b32 s23, s23, exec_lo
	s_and_not1_b32 s25, s45, exec_lo
	s_and_b32 s21, s21, exec_lo
	s_and_b32 s22, s22, exec_lo
	s_or_b32 s24, s24, s23
	s_or_b32 s23, s25, s21
	s_xor_b32 s21, exec_lo, -1
	s_and_b32 s1, s1, exec_lo
.LBB56_183:
	s_or_b32 exec_lo, exec_lo, s33
	s_delay_alu instid0(SALU_CYCLE_1)
	s_and_not1_b32 s25, s44, exec_lo
	s_and_b32 s24, s24, exec_lo
	s_and_b32 s33, s22, exec_lo
	s_or_b32 s49, s25, s24
	s_and_not1_b32 s22, s45, exec_lo
	s_and_b32 s23, s23, exec_lo
	s_and_not1_b32 s24, s46, exec_lo
	s_and_b32 s21, s21, exec_lo
	s_or_b32 s50, s22, s23
	s_or_b32 s48, s24, s21
	s_or_not1_b32 s1, s1, exec_lo
.LBB56_184:
	s_or_b32 exec_lo, exec_lo, s51
	s_mov_b32 s23, 0
	s_and_saveexec_b32 s51, s1
	s_cbranch_execz .LBB56_211
; %bb.185:
	s_wait_loadcnt 0x1
	v_or_b32_e32 v22, 0x200, v0
	s_mov_b32 s25, -1
	s_mov_b32 s52, 0
	s_mov_b32 s1, s48
	;; [unrolled: 1-line block ×4, first 2 shown]
	s_mov_b32 s53, exec_lo
	v_cmpx_gt_i32_e64 s11, v22
	s_cbranch_execz .LBB56_206
; %bb.186:
	v_cmp_eq_u64_e32 vcc_lo, s[4:5], v[20:21]
	s_mov_b32 s1, -1
	s_mov_b32 s24, 0
	s_mov_b32 s25, s50
	;; [unrolled: 1-line block ×4, first 2 shown]
	s_and_b32 s22, s43, vcc_lo
	s_delay_alu instid0(SALU_CYCLE_1)
	s_and_saveexec_b32 s54, s22
	s_cbranch_execz .LBB56_205
; %bb.187:
	v_cmp_eq_u64_e32 vcc_lo, s[8:9], v[18:19]
	s_mov_b32 s22, 0
	s_mov_b32 s23, s49
	s_and_b32 s21, s41, vcc_lo
	s_delay_alu instid0(SALU_CYCLE_1)
	s_and_saveexec_b32 s55, s21
	s_cbranch_execz .LBB56_204
; %bb.188:
	v_sub_nc_u64_e32 v[18:19], v[12:13], v[14:15]
	s_mov_b32 s22, -1
	s_mov_b32 s21, 0
	s_delay_alu instid0(VALU_DEP_1) | instskip(SKIP_2) | instid1(SALU_CYCLE_1)
	v_cmp_le_i64_e32 vcc_lo, s[4:5], v[18:19]
	v_cmp_ge_i64_e64 s1, s[6:7], v[18:19]
	s_and_b32 s1, vcc_lo, s1
	s_and_b32 s23, s40, s1
	s_mov_b32 s1, 0
	s_and_saveexec_b32 s56, s23
	s_cbranch_execz .LBB56_203
; %bb.189:
	v_cmp_lt_i64_e64 s1, s[8:9], 1
	v_mov_b64_e32 v[18:19], 0
	s_xor_b32 s21, s39, -1
	s_delay_alu instid0(SALU_CYCLE_1) | instskip(NEXT) | instid1(SALU_CYCLE_1)
	s_or_b32 s1, s1, s21
	s_and_b32 vcc_lo, exec_lo, s1
	s_cbranch_vccnz .LBB56_196
; %bb.190:
	s_wait_loadcnt 0x0
	v_mul_u64_e32 v[20:21], s[8:9], v[16:17]
	s_mov_b32 s23, 0
	v_mov_b64_e32 v[18:19], 0
	s_mov_b32 s21, s23
	v_mov_b32_e32 v16, 0
	s_lshl_b64 s[28:29], s[20:21], 3
	s_mov_b64 s[24:25], 0xffffffff
	s_add_nc_u64 s[26:27], s[12:13], s[28:29]
	s_add_nc_u64 s[28:29], s[14:15], s[28:29]
	s_mov_b32 s21, s10
	s_branch .LBB56_192
.LBB56_191:                             ;   in Loop: Header=BB56_192 Depth=1
	s_or_b32 exec_lo, exec_lo, s1
	s_delay_alu instid0(VALU_DEP_1)
	v_mul_u64_e32 v[24:25], s[30:31], v[22:23]
	s_load_b64 s[30:31], s[28:29], 0x0
	s_add_co_i32 s21, s21, -1
	s_add_nc_u64 s[26:27], s[26:27], -8
	s_cmp_lg_u32 s21, 0
	s_wait_xcnt 0x0
	s_add_nc_u64 s[28:29], s[28:29], -8
	s_delay_alu instid0(VALU_DEP_1) | instskip(SKIP_1) | instid1(VALU_DEP_1)
	v_sub_nc_u64_e32 v[20:21], v[20:21], v[24:25]
	s_wait_kmcnt 0x0
	v_mad_nc_u64_u32 v[18:19], v20, s30, v[18:19]
	s_delay_alu instid0(VALU_DEP_1) | instskip(NEXT) | instid1(VALU_DEP_1)
	v_mad_u32 v17, v21, s30, v19
	v_mad_u32 v19, v20, s31, v17
	v_mov_b64_e32 v[20:21], v[22:23]
	s_cbranch_scc0 .LBB56_196
.LBB56_192:                             ; =>This Inner Loop Header: Depth=1
	s_load_b64 s[30:31], s[26:27], 0x0
                                        ; implicit-def: $vgpr22_vgpr23
	s_mov_b32 s1, exec_lo
	s_wait_kmcnt 0x0
	s_delay_alu instid0(VALU_DEP_1) | instskip(NEXT) | instid1(VALU_DEP_1)
	v_or_b32_e32 v17, s31, v21
	v_cmpx_ne_u64_e32 0, v[16:17]
	s_xor_b32 s57, exec_lo, s1
	s_cbranch_execz .LBB56_194
; %bb.193:                              ;   in Loop: Header=BB56_192 Depth=1
	s_ashr_i32 s34, s31, 31
	v_dual_mov_b32 v27, v16 :: v_dual_ashrrev_i32 v22, 31, v21
	s_mov_b32 s35, s34
	s_delay_alu instid0(SALU_CYCLE_1) | instskip(NEXT) | instid1(VALU_DEP_1)
	s_add_nc_u64 s[36:37], s[30:31], s[34:35]
	v_mov_b32_e32 v23, v22
	s_xor_b64 s[36:37], s[36:37], s[34:35]
	s_delay_alu instid0(SALU_CYCLE_1)
	s_cvt_f32_u32 s1, s36
	s_cvt_f32_u32 s22, s37
	s_sub_nc_u64 s[60:61], 0, s[36:37]
	v_add_nc_u64_e32 v[24:25], v[20:21], v[22:23]
	v_mov_b32_e32 v31, v16
	s_fmamk_f32 s1, s22, 0x4f800000, s1
	s_delay_alu instid0(SALU_CYCLE_3) | instskip(NEXT) | instid1(VALU_DEP_2)
	v_s_rcp_f32 s1, s1
	v_xor_b32_e32 v26, v24, v22
	s_delay_alu instid0(VALU_DEP_3) | instskip(SKIP_1) | instid1(TRANS32_DEP_1)
	v_dual_mov_b32 v35, v16 :: v_dual_bitop2_b32 v30, v25, v22 bitop3:0x14
	v_xor_b32_e32 v22, s34, v22
	s_mul_f32 s1, s1, 0x5f7ffffc
	s_delay_alu instid0(SALU_CYCLE_3) | instskip(NEXT) | instid1(SALU_CYCLE_3)
	s_mul_f32 s22, s1, 0x2f800000
	s_trunc_f32 s22, s22
	s_delay_alu instid0(SALU_CYCLE_3) | instskip(SKIP_1) | instid1(SALU_CYCLE_2)
	s_fmamk_f32 s1, s22, 0xcf800000, s1
	s_cvt_u32_f32 s59, s22
	s_cvt_u32_f32 s58, s1
	s_delay_alu instid0(SALU_CYCLE_3) | instskip(NEXT) | instid1(SALU_CYCLE_1)
	s_mul_u64 s[62:63], s[60:61], s[58:59]
	s_mul_hi_u32 s65, s58, s63
	s_mul_i32 s64, s58, s63
	s_mul_hi_u32 s22, s58, s62
	s_mul_i32 s35, s59, s62
	s_add_nc_u64 s[64:65], s[22:23], s[64:65]
	s_mul_hi_u32 s1, s59, s62
	s_mul_hi_u32 s66, s59, s63
	s_add_co_u32 s22, s64, s35
	s_add_co_ci_u32 s22, s65, s1
	s_mul_i32 s62, s59, s63
	s_add_co_ci_u32 s63, s66, 0
	s_delay_alu instid0(SALU_CYCLE_1) | instskip(NEXT) | instid1(SALU_CYCLE_1)
	s_add_nc_u64 s[62:63], s[22:23], s[62:63]
	s_add_co_u32 s58, s58, s62
	s_cselect_b32 s1, -1, 0
	s_delay_alu instid0(SALU_CYCLE_1) | instskip(SKIP_1) | instid1(SALU_CYCLE_1)
	s_cmp_lg_u32 s1, 0
	s_add_co_ci_u32 s59, s59, s63
	s_mul_u64 s[60:61], s[60:61], s[58:59]
	s_delay_alu instid0(SALU_CYCLE_1)
	s_mul_hi_u32 s63, s58, s61
	s_mul_i32 s62, s58, s61
	s_mul_hi_u32 s22, s58, s60
	s_mul_i32 s35, s59, s60
	s_add_nc_u64 s[62:63], s[22:23], s[62:63]
	s_mul_hi_u32 s1, s59, s60
	s_mul_hi_u32 s64, s59, s61
	s_add_co_u32 s22, s62, s35
	s_add_co_ci_u32 s22, s63, s1
	s_mul_i32 s60, s59, s61
	s_add_co_ci_u32 s61, s64, 0
	s_delay_alu instid0(SALU_CYCLE_1) | instskip(NEXT) | instid1(SALU_CYCLE_1)
	s_add_nc_u64 s[60:61], s[22:23], s[60:61]
	s_add_co_u32 s58, s58, s60
	s_cselect_b32 s1, -1, 0
	v_mul_hi_u32 v34, v26, s58
	s_cmp_lg_u32 s1, 0
	s_add_co_ci_u32 s22, s59, s61
	s_and_b64 s[60:61], s[58:59], s[24:25]
	v_mul_u64_e32 v[28:29], s[22:23], v[26:27]
	v_mul_u64_e32 v[24:25], s[60:61], v[30:31]
	v_mul_u64_e32 v[32:33], s[22:23], v[30:31]
	s_delay_alu instid0(VALU_DEP_3) | instskip(NEXT) | instid1(VALU_DEP_1)
	v_add_nc_u64_e32 v[28:29], v[34:35], v[28:29]
	v_add_co_u32 v17, vcc_lo, v28, v24
	s_delay_alu instid0(VALU_DEP_2) | instskip(NEXT) | instid1(VALU_DEP_4)
	v_add_co_ci_u32_e32 v34, vcc_lo, v29, v25, vcc_lo
	v_add_co_ci_u32_e32 v33, vcc_lo, 0, v33, vcc_lo
	s_delay_alu instid0(VALU_DEP_1) | instskip(NEXT) | instid1(VALU_DEP_1)
	v_add_nc_u64_e32 v[24:25], v[34:35], v[32:33]
	v_mul_u64_e32 v[28:29], s[36:37], v[24:25]
	s_delay_alu instid0(VALU_DEP_1) | instskip(NEXT) | instid1(VALU_DEP_2)
	v_sub_nc_u32_e32 v17, v30, v29
	v_sub_co_u32 v23, vcc_lo, v26, v28
	s_delay_alu instid0(VALU_DEP_1) | instskip(NEXT) | instid1(VALU_DEP_3)
	v_sub_co_ci_u32_e64 v30, null, v30, v29, vcc_lo
	v_subrev_co_ci_u32_e64 v17, null, s37, v17, vcc_lo
	s_delay_alu instid0(VALU_DEP_3) | instskip(SKIP_1) | instid1(VALU_DEP_3)
	v_sub_co_u32 v26, s1, v23, s36
	v_add_nc_u64_e32 v[28:29], 1, v[24:25]
	v_subrev_co_ci_u32_e64 v17, null, 0, v17, s1
	s_delay_alu instid0(VALU_DEP_3) | instskip(SKIP_1) | instid1(VALU_DEP_3)
	v_cmp_le_u32_e32 vcc_lo, s36, v26
	v_cndmask_b32_e64 v26, 0, -1, vcc_lo
	v_cmp_le_u32_e32 vcc_lo, s37, v17
	v_cndmask_b32_e64 v27, 0, -1, vcc_lo
	;; [unrolled: 2-line block ×4, first 2 shown]
	v_cmp_eq_u32_e32 vcc_lo, s37, v17
	v_cndmask_b32_e32 v17, v27, v26, vcc_lo
	v_cmp_eq_u32_e32 vcc_lo, s37, v30
	v_add_nc_u64_e32 v[26:27], 2, v[24:25]
	v_cndmask_b32_e32 v23, v31, v23, vcc_lo
	s_delay_alu instid0(VALU_DEP_4) | instskip(NEXT) | instid1(VALU_DEP_2)
	v_cmp_ne_u32_e32 vcc_lo, 0, v17
	v_cmp_ne_u32_e64 s1, 0, v23
	s_delay_alu instid0(VALU_DEP_4) | instskip(NEXT) | instid1(VALU_DEP_1)
	v_dual_cndmask_b32 v17, v29, v27, vcc_lo :: v_dual_cndmask_b32 v23, v28, v26, vcc_lo
	v_dual_cndmask_b32 v24, v24, v23, s1 :: v_dual_mov_b32 v23, v22
	s_delay_alu instid0(VALU_DEP_1) | instskip(NEXT) | instid1(VALU_DEP_1)
	v_dual_cndmask_b32 v17, v25, v17, s1 :: v_dual_bitop2_b32 v24, v24, v22 bitop3:0x14
	v_xor_b32_e32 v25, v17, v22
	s_delay_alu instid0(VALU_DEP_1)
	v_sub_nc_u64_e32 v[22:23], v[24:25], v[22:23]
.LBB56_194:                             ;   in Loop: Header=BB56_192 Depth=1
	s_and_not1_saveexec_b32 s1, s57
	s_cbranch_execz .LBB56_191
; %bb.195:                              ;   in Loop: Header=BB56_192 Depth=1
	v_cvt_f32_u32_e32 v17, s30
	s_sub_co_i32 s22, 0, s30
	s_delay_alu instid0(VALU_DEP_1) | instskip(SKIP_1) | instid1(TRANS32_DEP_1)
	v_rcp_iflag_f32_e32 v17, v17
	v_nop
	v_mul_f32_e32 v17, 0x4f7ffffe, v17
	s_delay_alu instid0(VALU_DEP_1) | instskip(NEXT) | instid1(VALU_DEP_1)
	v_cvt_u32_f32_e32 v17, v17
	v_mul_lo_u32 v22, s22, v17
	s_delay_alu instid0(VALU_DEP_1) | instskip(NEXT) | instid1(VALU_DEP_1)
	v_mul_hi_u32 v22, v17, v22
	v_add_nc_u32_e32 v17, v17, v22
	s_delay_alu instid0(VALU_DEP_1) | instskip(NEXT) | instid1(VALU_DEP_1)
	v_mul_hi_u32 v17, v20, v17
	v_mul_lo_u32 v22, v17, s30
	s_delay_alu instid0(VALU_DEP_1) | instskip(NEXT) | instid1(VALU_DEP_1)
	v_dual_add_nc_u32 v23, 1, v17 :: v_dual_sub_nc_u32 v22, v20, v22
	v_subrev_nc_u32_e32 v24, s30, v22
	v_cmp_le_u32_e32 vcc_lo, s30, v22
	s_delay_alu instid0(VALU_DEP_2) | instskip(NEXT) | instid1(VALU_DEP_1)
	v_dual_cndmask_b32 v22, v22, v24 :: v_dual_cndmask_b32 v17, v17, v23
	v_cmp_le_u32_e32 vcc_lo, s30, v22
	s_delay_alu instid0(VALU_DEP_2) | instskip(NEXT) | instid1(VALU_DEP_1)
	v_add_nc_u32_e32 v23, 1, v17
	v_dual_cndmask_b32 v22, v17, v23 :: v_dual_mov_b32 v23, v16
	s_branch .LBB56_191
.LBB56_196:
	s_mov_b32 s21, -1
	s_mov_b32 s23, 0
	s_mov_b32 s1, exec_lo
	v_cmpx_gt_i64_e64 v[12:13], v[14:15]
	s_cbranch_execz .LBB56_202
; %bb.197:
	s_wait_loadcnt 0x0
	s_delay_alu instid0(VALU_DEP_2) | instskip(SKIP_2) | instid1(VALU_DEP_1)
	v_lshlrev_b64_e32 v[16:17], 3, v[18:19]
	s_mov_b32 s21, 0
	s_xor_b32 s23, s38, -1
                                        ; implicit-def: $sgpr22
                                        ; implicit-def: $sgpr25
                                        ; implicit-def: $sgpr24
	v_lshl_add_u64 v[14:15], v[14:15], 3, v[16:17]
	v_add_nc_u64_e32 v[16:17], s[16:17], v[16:17]
	s_delay_alu instid0(VALU_DEP_2) | instskip(NEXT) | instid1(VALU_DEP_2)
	v_add_nc_u64_e32 v[14:15], s[16:17], v[14:15]
	v_lshl_add_u64 v[12:13], v[12:13], 3, v[16:17]
	s_delay_alu instid0(VALU_DEP_2)
	v_add_nc_u64_e32 v[14:15], 8, v[14:15]
	s_branch .LBB56_199
.LBB56_198:                             ;   in Loop: Header=BB56_199 Depth=1
	s_or_b32 exec_lo, exec_lo, s26
	s_delay_alu instid0(SALU_CYCLE_1) | instskip(NEXT) | instid1(SALU_CYCLE_1)
	s_and_b32 s26, exec_lo, s25
	s_or_b32 s21, s26, s21
	s_and_not1_b32 s22, s22, exec_lo
	s_and_b32 s26, s24, exec_lo
	s_delay_alu instid0(SALU_CYCLE_1)
	s_or_b32 s22, s22, s26
	s_and_not1_b32 exec_lo, exec_lo, s21
	s_cbranch_execz .LBB56_201
.LBB56_199:                             ; =>This Inner Loop Header: Depth=1
	s_or_b32 s24, s24, exec_lo
	s_or_b32 s25, s25, exec_lo
	s_mov_b32 s26, exec_lo
	s_delay_alu instid0(VALU_DEP_1)
	v_cmpx_lt_u64_e64 v[14:15], v[12:13]
	s_cbranch_execz .LBB56_198
; %bb.200:                              ;   in Loop: Header=BB56_199 Depth=1
	global_load_b128 v[16:19], v[14:15], off offset:-8
	s_wait_xcnt 0x0
	v_add_nc_u64_e32 v[14:15], 8, v[14:15]
	s_and_not1_b32 s25, s25, exec_lo
	s_and_not1_b32 s24, s24, exec_lo
	s_wait_loadcnt 0x0
	v_cmp_ge_i64_e32 vcc_lo, v[16:17], v[18:19]
	s_or_b32 s27, s23, vcc_lo
	s_delay_alu instid0(SALU_CYCLE_1) | instskip(NEXT) | instid1(SALU_CYCLE_1)
	s_and_b32 s27, s27, exec_lo
	s_or_b32 s25, s25, s27
	s_branch .LBB56_198
.LBB56_201:
	s_or_b32 exec_lo, exec_lo, s21
	s_delay_alu instid0(SALU_CYCLE_1)
	s_mov_b32 s23, exec_lo
	s_or_not1_b32 s21, s22, exec_lo
.LBB56_202:
	s_or_b32 exec_lo, exec_lo, s1
	s_delay_alu instid0(SALU_CYCLE_1)
	s_and_b32 s1, s23, exec_lo
	s_xor_b32 s22, exec_lo, -1
	s_and_b32 s21, s21, exec_lo
.LBB56_203:
	s_or_b32 exec_lo, exec_lo, s56
	s_delay_alu instid0(SALU_CYCLE_1)
	s_and_not1_b32 s23, s49, exec_lo
	s_and_b32 s22, s22, exec_lo
	s_and_b32 s24, s1, exec_lo
	s_or_b32 s23, s23, s22
	s_xor_b32 s1, exec_lo, -1
	s_and_b32 s22, s21, exec_lo
.LBB56_204:
	s_or_b32 exec_lo, exec_lo, s55
	s_delay_alu instid0(SALU_CYCLE_1)
	s_and_b32 s21, s24, exec_lo
	s_and_not1_b32 s24, s49, exec_lo
	s_and_b32 s23, s23, exec_lo
	s_and_not1_b32 s25, s50, exec_lo
	s_and_b32 s1, s1, exec_lo
	s_or_b32 s23, s24, s23
	s_or_b32 s25, s25, s1
	s_xor_b32 s1, exec_lo, -1
	s_and_b32 s24, s22, exec_lo
.LBB56_205:
	s_or_b32 exec_lo, exec_lo, s54
	s_delay_alu instid0(SALU_CYCLE_1)
	s_and_not1_b32 s22, s49, exec_lo
	s_and_b32 s26, s23, exec_lo
	s_and_b32 s23, s21, exec_lo
	s_or_b32 s21, s22, s26
	s_and_not1_b32 s22, s50, exec_lo
	s_and_b32 s25, s25, exec_lo
	s_and_not1_b32 s26, s48, exec_lo
	s_and_b32 s1, s1, exec_lo
	s_or_b32 s22, s22, s25
	s_or_b32 s1, s26, s1
	s_or_not1_b32 s25, s24, exec_lo
.LBB56_206:
	s_or_b32 exec_lo, exec_lo, s53
	s_mov_b32 s26, 0
	s_and_saveexec_b32 s24, s25
	s_cbranch_execz .LBB56_210
; %bb.207:
	v_or_b32_e32 v12, 0x300, v0
	s_mov_b32 s25, 0
	s_mov_b32 s26, -1
	s_mov_b32 s27, s1
	s_mov_b32 s28, exec_lo
	v_cmpx_gt_i32_e64 s11, v12
	s_xor_b32 s28, exec_lo, s28
; %bb.208:
	v_cmp_ne_u64_e32 vcc_lo, s[4:5], v[10:11]
	s_xor_b32 s26, s43, -1
	s_and_not1_b32 s27, s1, exec_lo
	s_mov_b32 s25, exec_lo
	s_or_b32 s26, s26, vcc_lo
	s_delay_alu instid0(SALU_CYCLE_1)
	s_and_b32 s29, s26, exec_lo
	s_xor_b32 s26, exec_lo, -1
	s_or_b32 s27, s27, s29
; %bb.209:
	s_or_b32 exec_lo, exec_lo, s28
	s_delay_alu instid0(SALU_CYCLE_1)
	s_and_not1_b32 s1, s1, exec_lo
	s_and_b32 s27, s27, exec_lo
	s_and_b32 s26, s26, exec_lo
	s_and_not1_b32 s23, s23, exec_lo
	s_and_b32 s52, s25, exec_lo
	s_or_b32 s1, s1, s27
.LBB56_210:
	s_or_b32 exec_lo, exec_lo, s24
	s_delay_alu instid0(SALU_CYCLE_1)
	s_and_not1_b32 s24, s33, exec_lo
	s_and_b32 s25, s23, exec_lo
	s_and_b32 s21, s21, exec_lo
	s_or_b32 s33, s24, s25
	s_and_not1_b32 s24, s49, exec_lo
	s_and_not1_b32 s25, s50, exec_lo
	s_and_b32 s22, s22, exec_lo
	s_or_b32 s49, s24, s21
	s_and_not1_b32 s21, s48, exec_lo
	s_and_b32 s1, s1, exec_lo
	s_and_b32 s23, s26, exec_lo
	s_or_b32 s50, s25, s22
	s_and_b32 s52, s52, exec_lo
	s_or_b32 s48, s21, s1
.LBB56_211:
	s_or_b32 exec_lo, exec_lo, s51
	s_delay_alu instid0(SALU_CYCLE_1)
	s_and_not1_b32 s1, s42, exec_lo
	s_and_b32 s21, s33, exec_lo
	s_and_b32 s33, s23, exec_lo
	s_or_b32 s42, s1, s21
	s_and_not1_b32 s1, s44, exec_lo
	s_and_b32 s21, s49, exec_lo
	s_and_not1_b32 s22, s45, exec_lo
	s_and_b32 s23, s50, exec_lo
	s_or_b32 s44, s1, s21
	s_and_not1_b32 s1, s46, exec_lo
	s_and_b32 s21, s48, exec_lo
	s_or_b32 s45, s22, s23
	s_and_b32 s48, s52, exec_lo
	s_or_b32 s46, s1, s21
	s_or_b32 exec_lo, exec_lo, s47
	s_and_saveexec_b32 s1, s46
	s_cbranch_execz .LBB56_89
.LBB56_212:
	s_or_b32 s3, s3, exec_lo
	s_and_not1_b32 s48, s48, exec_lo
	s_trap 2
	s_branch .LBB56_89
.LBB56_213:
	s_or_b32 s3, s3, exec_lo
	s_trap 2
	s_branch .LBB56_76
.LBB56_214:
	s_or_b32 s3, s3, exec_lo
	s_and_not1_b32 s1, s1, exec_lo
	s_trap 2
	s_branch .LBB56_92
.LBB56_215:
	s_mov_b32 s3, exec_lo
	s_and_not1_b32 s0, s0, exec_lo
	s_trap 2
	s_branch .LBB56_67
	.section	.rodata,"a",@progbits
	.p2align	6, 0x0
	.amdhsa_kernel _ZN2at6native29vectorized_elementwise_kernelILi16EZZZNS0_12_GLOBAL__N_142_validate_compressed_sparse_indices_kernelILNS2_8CDimNameE0ENS2_18CUDAKernelLauncherENS2_14EmptyVecKernelENS2_8DummyVecELm0EEEvRKNS_6TensorESA_lllENKUlvE1_clEvENKUlvE0_clEvEUllllllE_St5arrayIPcLm6EEEEviT0_T1_
		.amdhsa_group_segment_fixed_size 0
		.amdhsa_private_segment_fixed_size 0
		.amdhsa_kernarg_size 112
		.amdhsa_user_sgpr_count 2
		.amdhsa_user_sgpr_dispatch_ptr 0
		.amdhsa_user_sgpr_queue_ptr 0
		.amdhsa_user_sgpr_kernarg_segment_ptr 1
		.amdhsa_user_sgpr_dispatch_id 0
		.amdhsa_user_sgpr_kernarg_preload_length 0
		.amdhsa_user_sgpr_kernarg_preload_offset 0
		.amdhsa_user_sgpr_private_segment_size 0
		.amdhsa_wavefront_size32 1
		.amdhsa_uses_dynamic_stack 0
		.amdhsa_enable_private_segment 0
		.amdhsa_system_sgpr_workgroup_id_x 1
		.amdhsa_system_sgpr_workgroup_id_y 0
		.amdhsa_system_sgpr_workgroup_id_z 0
		.amdhsa_system_sgpr_workgroup_info 0
		.amdhsa_system_vgpr_workitem_id 0
		.amdhsa_next_free_vgpr 58
		.amdhsa_next_free_sgpr 76
		.amdhsa_named_barrier_count 0
		.amdhsa_reserve_vcc 1
		.amdhsa_float_round_mode_32 0
		.amdhsa_float_round_mode_16_64 0
		.amdhsa_float_denorm_mode_32 3
		.amdhsa_float_denorm_mode_16_64 3
		.amdhsa_fp16_overflow 0
		.amdhsa_memory_ordered 1
		.amdhsa_forward_progress 1
		.amdhsa_inst_pref_size 103
		.amdhsa_round_robin_scheduling 0
		.amdhsa_exception_fp_ieee_invalid_op 0
		.amdhsa_exception_fp_denorm_src 0
		.amdhsa_exception_fp_ieee_div_zero 0
		.amdhsa_exception_fp_ieee_overflow 0
		.amdhsa_exception_fp_ieee_underflow 0
		.amdhsa_exception_fp_ieee_inexact 0
		.amdhsa_exception_int_div_zero 0
	.end_amdhsa_kernel
	.section	.text._ZN2at6native29vectorized_elementwise_kernelILi16EZZZNS0_12_GLOBAL__N_142_validate_compressed_sparse_indices_kernelILNS2_8CDimNameE0ENS2_18CUDAKernelLauncherENS2_14EmptyVecKernelENS2_8DummyVecELm0EEEvRKNS_6TensorESA_lllENKUlvE1_clEvENKUlvE0_clEvEUllllllE_St5arrayIPcLm6EEEEviT0_T1_,"axG",@progbits,_ZN2at6native29vectorized_elementwise_kernelILi16EZZZNS0_12_GLOBAL__N_142_validate_compressed_sparse_indices_kernelILNS2_8CDimNameE0ENS2_18CUDAKernelLauncherENS2_14EmptyVecKernelENS2_8DummyVecELm0EEEvRKNS_6TensorESA_lllENKUlvE1_clEvENKUlvE0_clEvEUllllllE_St5arrayIPcLm6EEEEviT0_T1_,comdat
.Lfunc_end56:
	.size	_ZN2at6native29vectorized_elementwise_kernelILi16EZZZNS0_12_GLOBAL__N_142_validate_compressed_sparse_indices_kernelILNS2_8CDimNameE0ENS2_18CUDAKernelLauncherENS2_14EmptyVecKernelENS2_8DummyVecELm0EEEvRKNS_6TensorESA_lllENKUlvE1_clEvENKUlvE0_clEvEUllllllE_St5arrayIPcLm6EEEEviT0_T1_, .Lfunc_end56-_ZN2at6native29vectorized_elementwise_kernelILi16EZZZNS0_12_GLOBAL__N_142_validate_compressed_sparse_indices_kernelILNS2_8CDimNameE0ENS2_18CUDAKernelLauncherENS2_14EmptyVecKernelENS2_8DummyVecELm0EEEvRKNS_6TensorESA_lllENKUlvE1_clEvENKUlvE0_clEvEUllllllE_St5arrayIPcLm6EEEEviT0_T1_
                                        ; -- End function
	.set _ZN2at6native29vectorized_elementwise_kernelILi16EZZZNS0_12_GLOBAL__N_142_validate_compressed_sparse_indices_kernelILNS2_8CDimNameE0ENS2_18CUDAKernelLauncherENS2_14EmptyVecKernelENS2_8DummyVecELm0EEEvRKNS_6TensorESA_lllENKUlvE1_clEvENKUlvE0_clEvEUllllllE_St5arrayIPcLm6EEEEviT0_T1_.num_vgpr, 58
	.set _ZN2at6native29vectorized_elementwise_kernelILi16EZZZNS0_12_GLOBAL__N_142_validate_compressed_sparse_indices_kernelILNS2_8CDimNameE0ENS2_18CUDAKernelLauncherENS2_14EmptyVecKernelENS2_8DummyVecELm0EEEvRKNS_6TensorESA_lllENKUlvE1_clEvENKUlvE0_clEvEUllllllE_St5arrayIPcLm6EEEEviT0_T1_.num_agpr, 0
	.set _ZN2at6native29vectorized_elementwise_kernelILi16EZZZNS0_12_GLOBAL__N_142_validate_compressed_sparse_indices_kernelILNS2_8CDimNameE0ENS2_18CUDAKernelLauncherENS2_14EmptyVecKernelENS2_8DummyVecELm0EEEvRKNS_6TensorESA_lllENKUlvE1_clEvENKUlvE0_clEvEUllllllE_St5arrayIPcLm6EEEEviT0_T1_.numbered_sgpr, 76
	.set _ZN2at6native29vectorized_elementwise_kernelILi16EZZZNS0_12_GLOBAL__N_142_validate_compressed_sparse_indices_kernelILNS2_8CDimNameE0ENS2_18CUDAKernelLauncherENS2_14EmptyVecKernelENS2_8DummyVecELm0EEEvRKNS_6TensorESA_lllENKUlvE1_clEvENKUlvE0_clEvEUllllllE_St5arrayIPcLm6EEEEviT0_T1_.num_named_barrier, 0
	.set _ZN2at6native29vectorized_elementwise_kernelILi16EZZZNS0_12_GLOBAL__N_142_validate_compressed_sparse_indices_kernelILNS2_8CDimNameE0ENS2_18CUDAKernelLauncherENS2_14EmptyVecKernelENS2_8DummyVecELm0EEEvRKNS_6TensorESA_lllENKUlvE1_clEvENKUlvE0_clEvEUllllllE_St5arrayIPcLm6EEEEviT0_T1_.private_seg_size, 0
	.set _ZN2at6native29vectorized_elementwise_kernelILi16EZZZNS0_12_GLOBAL__N_142_validate_compressed_sparse_indices_kernelILNS2_8CDimNameE0ENS2_18CUDAKernelLauncherENS2_14EmptyVecKernelENS2_8DummyVecELm0EEEvRKNS_6TensorESA_lllENKUlvE1_clEvENKUlvE0_clEvEUllllllE_St5arrayIPcLm6EEEEviT0_T1_.uses_vcc, 1
	.set _ZN2at6native29vectorized_elementwise_kernelILi16EZZZNS0_12_GLOBAL__N_142_validate_compressed_sparse_indices_kernelILNS2_8CDimNameE0ENS2_18CUDAKernelLauncherENS2_14EmptyVecKernelENS2_8DummyVecELm0EEEvRKNS_6TensorESA_lllENKUlvE1_clEvENKUlvE0_clEvEUllllllE_St5arrayIPcLm6EEEEviT0_T1_.uses_flat_scratch, 0
	.set _ZN2at6native29vectorized_elementwise_kernelILi16EZZZNS0_12_GLOBAL__N_142_validate_compressed_sparse_indices_kernelILNS2_8CDimNameE0ENS2_18CUDAKernelLauncherENS2_14EmptyVecKernelENS2_8DummyVecELm0EEEvRKNS_6TensorESA_lllENKUlvE1_clEvENKUlvE0_clEvEUllllllE_St5arrayIPcLm6EEEEviT0_T1_.has_dyn_sized_stack, 0
	.set _ZN2at6native29vectorized_elementwise_kernelILi16EZZZNS0_12_GLOBAL__N_142_validate_compressed_sparse_indices_kernelILNS2_8CDimNameE0ENS2_18CUDAKernelLauncherENS2_14EmptyVecKernelENS2_8DummyVecELm0EEEvRKNS_6TensorESA_lllENKUlvE1_clEvENKUlvE0_clEvEUllllllE_St5arrayIPcLm6EEEEviT0_T1_.has_recursion, 0
	.set _ZN2at6native29vectorized_elementwise_kernelILi16EZZZNS0_12_GLOBAL__N_142_validate_compressed_sparse_indices_kernelILNS2_8CDimNameE0ENS2_18CUDAKernelLauncherENS2_14EmptyVecKernelENS2_8DummyVecELm0EEEvRKNS_6TensorESA_lllENKUlvE1_clEvENKUlvE0_clEvEUllllllE_St5arrayIPcLm6EEEEviT0_T1_.has_indirect_call, 0
	.section	.AMDGPU.csdata,"",@progbits
; Kernel info:
; codeLenInByte = 13128
; TotalNumSgprs: 78
; NumVgprs: 58
; ScratchSize: 0
; MemoryBound: 1
; FloatMode: 240
; IeeeMode: 1
; LDSByteSize: 0 bytes/workgroup (compile time only)
; SGPRBlocks: 0
; VGPRBlocks: 3
; NumSGPRsForWavesPerEU: 78
; NumVGPRsForWavesPerEU: 58
; NamedBarCnt: 0
; Occupancy: 16
; WaveLimiterHint : 0
; COMPUTE_PGM_RSRC2:SCRATCH_EN: 0
; COMPUTE_PGM_RSRC2:USER_SGPR: 2
; COMPUTE_PGM_RSRC2:TRAP_HANDLER: 0
; COMPUTE_PGM_RSRC2:TGID_X_EN: 1
; COMPUTE_PGM_RSRC2:TGID_Y_EN: 0
; COMPUTE_PGM_RSRC2:TGID_Z_EN: 0
; COMPUTE_PGM_RSRC2:TIDIG_COMP_CNT: 0
	.section	.text._ZN2at6native29vectorized_elementwise_kernelILi8EZZZNS0_12_GLOBAL__N_142_validate_compressed_sparse_indices_kernelILNS2_8CDimNameE0ENS2_18CUDAKernelLauncherENS2_14EmptyVecKernelENS2_8DummyVecELm0EEEvRKNS_6TensorESA_lllENKUlvE1_clEvENKUlvE0_clEvEUllllllE_St5arrayIPcLm6EEEEviT0_T1_,"axG",@progbits,_ZN2at6native29vectorized_elementwise_kernelILi8EZZZNS0_12_GLOBAL__N_142_validate_compressed_sparse_indices_kernelILNS2_8CDimNameE0ENS2_18CUDAKernelLauncherENS2_14EmptyVecKernelENS2_8DummyVecELm0EEEvRKNS_6TensorESA_lllENKUlvE1_clEvENKUlvE0_clEvEUllllllE_St5arrayIPcLm6EEEEviT0_T1_,comdat
	.globl	_ZN2at6native29vectorized_elementwise_kernelILi8EZZZNS0_12_GLOBAL__N_142_validate_compressed_sparse_indices_kernelILNS2_8CDimNameE0ENS2_18CUDAKernelLauncherENS2_14EmptyVecKernelENS2_8DummyVecELm0EEEvRKNS_6TensorESA_lllENKUlvE1_clEvENKUlvE0_clEvEUllllllE_St5arrayIPcLm6EEEEviT0_T1_ ; -- Begin function _ZN2at6native29vectorized_elementwise_kernelILi8EZZZNS0_12_GLOBAL__N_142_validate_compressed_sparse_indices_kernelILNS2_8CDimNameE0ENS2_18CUDAKernelLauncherENS2_14EmptyVecKernelENS2_8DummyVecELm0EEEvRKNS_6TensorESA_lllENKUlvE1_clEvENKUlvE0_clEvEUllllllE_St5arrayIPcLm6EEEEviT0_T1_
	.p2align	8
	.type	_ZN2at6native29vectorized_elementwise_kernelILi8EZZZNS0_12_GLOBAL__N_142_validate_compressed_sparse_indices_kernelILNS2_8CDimNameE0ENS2_18CUDAKernelLauncherENS2_14EmptyVecKernelENS2_8DummyVecELm0EEEvRKNS_6TensorESA_lllENKUlvE1_clEvENKUlvE0_clEvEUllllllE_St5arrayIPcLm6EEEEviT0_T1_,@function
_ZN2at6native29vectorized_elementwise_kernelILi8EZZZNS0_12_GLOBAL__N_142_validate_compressed_sparse_indices_kernelILNS2_8CDimNameE0ENS2_18CUDAKernelLauncherENS2_14EmptyVecKernelENS2_8DummyVecELm0EEEvRKNS_6TensorESA_lllENKUlvE1_clEvENKUlvE0_clEvEUllllllE_St5arrayIPcLm6EEEEviT0_T1_: ; @_ZN2at6native29vectorized_elementwise_kernelILi8EZZZNS0_12_GLOBAL__N_142_validate_compressed_sparse_indices_kernelILNS2_8CDimNameE0ENS2_18CUDAKernelLauncherENS2_14EmptyVecKernelENS2_8DummyVecELm0EEEvRKNS_6TensorESA_lllENKUlvE1_clEvENKUlvE0_clEvEUllllllE_St5arrayIPcLm6EEEEviT0_T1_
; %bb.0:
	s_clause 0x3
	s_load_b32 s3, s[0:1], 0x0
	s_load_b512 s[4:19], s[0:1], 0x8
	s_load_b64 s[28:29], s[0:1], 0x68
	s_load_b256 s[20:27], s[0:1], 0x48
	s_wait_xcnt 0x0
	s_bfe_u32 s0, ttmp6, 0x4000c
	s_and_b32 s1, ttmp6, 15
	s_add_co_i32 s0, s0, 1
	s_getreg_b32 s2, hwreg(HW_REG_IB_STS2, 6, 4)
	s_mul_i32 s0, ttmp9, s0
	s_mov_b32 s33, 0
	s_add_co_i32 s1, s1, s0
	s_cmp_eq_u32 s2, 0
	s_get_pc_i64 s[30:31]
	s_add_nc_u64 s[30:31], s[30:31], .str.1@rel64+4
	s_cselect_b32 s0, ttmp9, s1
	s_delay_alu instid0(SALU_CYCLE_1)
	s_lshl_b32 s2, s0, 10
	s_mov_b32 s0, -1
	s_wait_kmcnt 0x0
	s_sub_co_i32 s11, s3, s2
	s_mov_b32 s3, 0
	s_cmp_gt_i32 s11, 0x3ff
	s_cbranch_scc0 .LBB57_77
; %bb.1:
	s_cmp_eq_u64 s[30:31], 0
	s_cselect_b32 s0, -1, 0
	s_cmp_lg_u64 s[30:31], 0
	s_cbranch_scc0 .LBB57_75
; %bb.2:
	s_ashr_i32 s3, s2, 31
	v_lshlrev_b32_e32 v36, 5, v0
	s_lshl_b64 s[34:35], s[2:3], 3
	s_mov_b32 s0, -1
	s_add_nc_u64 s[38:39], s[20:21], s[34:35]
	s_mov_b32 s3, 0
	global_load_b64 v[2:3], v36, s[38:39]
	s_mov_b32 s50, exec_lo
	s_wait_loadcnt 0x0
	v_cmpx_eq_u64_e64 s[4:5], v[2:3]
	s_cbranch_execz .LBB57_74
; %bb.3:
	s_add_nc_u64 s[0:1], s[22:23], s[34:35]
	s_get_pc_i64 s[36:37]
	s_add_nc_u64 s[36:37], s[36:37], .str.2@rel64+4
	s_clause 0x1
	global_load_b128 v[32:35], v36, s[0:1]
	global_load_b128 v[26:29], v36, s[0:1] offset:16
	s_cmp_lg_u64 s[36:37], 0
	v_mov_b32_e32 v37, 0
	s_wait_xcnt 0x0
	s_cselect_b32 s1, -1, 0
	s_mov_b32 s40, -1
	s_mov_b32 s0, 0
	s_mov_b32 s37, 0
	;; [unrolled: 1-line block ×3, first 2 shown]
                                        ; implicit-def: $sgpr51
                                        ; implicit-def: $sgpr52
                                        ; implicit-def: $sgpr36
                                        ; implicit-def: $sgpr55
                                        ; implicit-def: $vgpr18_vgpr19_vgpr20_vgpr21_vgpr22_vgpr23_vgpr24_vgpr25
                                        ; implicit-def: $vgpr2_vgpr3_vgpr4_vgpr5_vgpr6_vgpr7_vgpr8_vgpr9
                                        ; implicit-def: $vgpr10_vgpr11_vgpr12_vgpr13_vgpr14_vgpr15_vgpr16_vgpr17
	s_wait_loadcnt 0x1
	v_cmp_eq_u64_e32 vcc_lo, s[8:9], v[32:33]
	s_and_b32 s41, s1, vcc_lo
	s_mov_b32 s1, 0
	s_and_saveexec_b32 s53, s41
	s_cbranch_execz .LBB57_66
; %bb.4:
	s_add_nc_u64 s[0:1], s[26:27], s[34:35]
	s_add_nc_u64 s[36:37], s[24:25], s[34:35]
	s_clause 0x3
	global_load_b128 v[10:13], v36, s[0:1]
	global_load_b128 v[30:33], v36, s[36:37]
	global_load_b128 v[14:17], v36, s[36:37] offset:16
	global_load_b128 v[6:9], v36, s[0:1] offset:16
	s_get_pc_i64 s[42:43]
	s_add_nc_u64 s[42:43], s[42:43], .str.3@rel64+4
	s_wait_xcnt 0x1
	s_mov_b32 s37, -1
	s_cmp_lg_u64 s[42:43], 0
	s_mov_b32 s40, 0
	s_wait_xcnt 0x0
	s_cselect_b32 s1, -1, 0
	s_mov_b32 s41, 0
	s_mov_b32 s42, 0
                                        ; implicit-def: $sgpr51
                                        ; implicit-def: $sgpr52
                                        ; implicit-def: $sgpr36
                                        ; implicit-def: $vgpr18_vgpr19_vgpr20_vgpr21_vgpr22_vgpr23_vgpr24_vgpr25
	s_wait_loadcnt 0x2
	v_sub_nc_u64_e32 v[2:3], v[10:11], v[30:31]
	s_delay_alu instid0(VALU_DEP_1) | instskip(SKIP_2) | instid1(SALU_CYCLE_1)
	v_cmp_le_i64_e32 vcc_lo, s[4:5], v[2:3]
	v_cmp_ge_i64_e64 s0, s[6:7], v[2:3]
	s_and_b32 s0, vcc_lo, s0
	s_and_b32 s0, s1, s0
	s_mov_b32 s1, 0
	s_and_saveexec_b32 s54, s0
	s_cbranch_execz .LBB57_65
; %bb.5:
	v_add_nc_u64_e32 v[40:41], s[38:39], v[36:37]
	s_add_nc_u64 s[0:1], s[28:29], s[34:35]
	s_add_co_i32 s36, s10, -1
	s_clause 0x1
	global_load_b64 v[38:39], v[40:41], off offset:24
	global_load_b128 v[2:5], v[40:41], off offset:8
	s_clause 0x1
	global_load_b128 v[22:25], v36, s[0:1] offset:16
	global_load_b128 v[18:21], v36, s[0:1]
	s_wait_xcnt 0x0
	v_cmp_gt_i64_e64 s0, s[8:9], 0
	s_cmp_gt_i32 s36, -1
	v_mov_b64_e32 v[40:41], 0
	s_cselect_b32 s1, -1, 0
	s_delay_alu instid0(SALU_CYCLE_1) | instskip(NEXT) | instid1(SALU_CYCLE_1)
	s_and_b32 s52, s0, s1
	s_and_not1_b32 vcc_lo, exec_lo, s52
	s_cbranch_vccnz .LBB57_12
; %bb.6:
	s_wait_loadcnt 0x0
	v_mul_u64_e32 v[42:43], s[8:9], v[18:19]
	s_mov_b32 s1, 0
	v_mov_b64_e32 v[40:41], 0
	s_mov_b32 s37, s1
	v_mov_b32_e32 v18, 0
	s_lshl_b64 s[42:43], s[36:37], 3
	s_mov_b64 s[38:39], 0xffffffff
	s_add_nc_u64 s[40:41], s[12:13], s[42:43]
	s_add_nc_u64 s[42:43], s[14:15], s[42:43]
	s_mov_b32 s37, s10
	s_branch .LBB57_8
.LBB57_7:                               ;   in Loop: Header=BB57_8 Depth=1
	s_or_b32 exec_lo, exec_lo, s0
	s_delay_alu instid0(VALU_DEP_1)
	v_mul_u64_e32 v[46:47], s[44:45], v[44:45]
	s_load_b64 s[44:45], s[42:43], 0x0
	s_add_co_i32 s37, s37, -1
	s_add_nc_u64 s[40:41], s[40:41], -8
	s_cmp_eq_u32 s37, 0
	s_wait_xcnt 0x0
	s_add_nc_u64 s[42:43], s[42:43], -8
	s_delay_alu instid0(VALU_DEP_1) | instskip(SKIP_1) | instid1(VALU_DEP_1)
	v_sub_nc_u64_e32 v[42:43], v[42:43], v[46:47]
	s_wait_kmcnt 0x0
	v_mad_nc_u64_u32 v[40:41], v42, s44, v[40:41]
	s_delay_alu instid0(VALU_DEP_1) | instskip(NEXT) | instid1(VALU_DEP_1)
	v_mad_u32 v1, v43, s44, v41
	v_mad_u32 v41, v42, s45, v1
	v_mov_b64_e32 v[42:43], v[44:45]
	s_cbranch_scc1 .LBB57_12
.LBB57_8:                               ; =>This Inner Loop Header: Depth=1
	s_load_b64 s[44:45], s[40:41], 0x0
                                        ; implicit-def: $vgpr44_vgpr45
	s_mov_b32 s0, exec_lo
	s_wait_kmcnt 0x0
	s_delay_alu instid0(VALU_DEP_1) | instskip(NEXT) | instid1(VALU_DEP_1)
	v_or_b32_e32 v19, s45, v43
	v_cmpx_ne_u64_e32 0, v[18:19]
	s_xor_b32 s51, exec_lo, s0
	s_cbranch_execz .LBB57_10
; %bb.9:                                ;   in Loop: Header=BB57_8 Depth=1
	s_ashr_i32 s46, s45, 31
	v_dual_mov_b32 v49, v18 :: v_dual_ashrrev_i32 v44, 31, v43
	s_mov_b32 s47, s46
	s_delay_alu instid0(SALU_CYCLE_1) | instskip(NEXT) | instid1(VALU_DEP_1)
	s_add_nc_u64 s[48:49], s[44:45], s[46:47]
	v_mov_b32_e32 v45, v44
	s_xor_b64 s[48:49], s[48:49], s[46:47]
	s_delay_alu instid0(SALU_CYCLE_1)
	s_cvt_f32_u32 s0, s48
	s_cvt_f32_u32 s47, s49
	s_sub_nc_u64 s[58:59], 0, s[48:49]
	v_add_nc_u64_e32 v[46:47], v[42:43], v[44:45]
	v_mov_b32_e32 v53, v18
	s_fmamk_f32 s0, s47, 0x4f800000, s0
	s_delay_alu instid0(SALU_CYCLE_3) | instskip(NEXT) | instid1(VALU_DEP_2)
	v_s_rcp_f32 s0, s0
	v_xor_b32_e32 v48, v46, v44
	s_delay_alu instid0(VALU_DEP_3) | instskip(NEXT) | instid1(TRANS32_DEP_1)
	v_dual_mov_b32 v57, v18 :: v_dual_bitop2_b32 v52, v47, v44 bitop3:0x14
	s_mul_f32 s0, s0, 0x5f7ffffc
	s_delay_alu instid0(SALU_CYCLE_3) | instskip(NEXT) | instid1(SALU_CYCLE_3)
	s_mul_f32 s47, s0, 0x2f800000
	s_trunc_f32 s47, s47
	s_delay_alu instid0(SALU_CYCLE_3) | instskip(SKIP_1) | instid1(SALU_CYCLE_2)
	s_fmamk_f32 s0, s47, 0xcf800000, s0
	s_cvt_u32_f32 s57, s47
	s_cvt_u32_f32 s56, s0
	s_delay_alu instid0(SALU_CYCLE_3) | instskip(NEXT) | instid1(SALU_CYCLE_1)
	s_mul_u64 s[60:61], s[58:59], s[56:57]
	s_mul_hi_u32 s63, s56, s61
	s_mul_i32 s62, s56, s61
	s_mul_hi_u32 s0, s56, s60
	s_mul_i32 s55, s57, s60
	s_add_nc_u64 s[62:63], s[0:1], s[62:63]
	s_mul_hi_u32 s47, s57, s60
	s_mul_hi_u32 s64, s57, s61
	s_add_co_u32 s0, s62, s55
	s_add_co_ci_u32 s0, s63, s47
	s_mul_i32 s60, s57, s61
	s_add_co_ci_u32 s61, s64, 0
	s_delay_alu instid0(SALU_CYCLE_1) | instskip(NEXT) | instid1(SALU_CYCLE_1)
	s_add_nc_u64 s[60:61], s[0:1], s[60:61]
	s_add_co_u32 s56, s56, s60
	s_cselect_b32 s0, -1, 0
	s_delay_alu instid0(SALU_CYCLE_1) | instskip(SKIP_1) | instid1(SALU_CYCLE_1)
	s_cmp_lg_u32 s0, 0
	s_add_co_ci_u32 s57, s57, s61
	s_mul_u64 s[58:59], s[58:59], s[56:57]
	s_delay_alu instid0(SALU_CYCLE_1)
	s_mul_hi_u32 s61, s56, s59
	s_mul_i32 s60, s56, s59
	s_mul_hi_u32 s0, s56, s58
	s_mul_i32 s55, s57, s58
	s_add_nc_u64 s[60:61], s[0:1], s[60:61]
	s_mul_hi_u32 s47, s57, s58
	s_mul_hi_u32 s62, s57, s59
	s_add_co_u32 s0, s60, s55
	s_add_co_ci_u32 s0, s61, s47
	s_mul_i32 s58, s57, s59
	s_add_co_ci_u32 s59, s62, 0
	s_delay_alu instid0(SALU_CYCLE_1) | instskip(NEXT) | instid1(SALU_CYCLE_1)
	s_add_nc_u64 s[58:59], s[0:1], s[58:59]
	s_add_co_u32 s56, s56, s58
	s_cselect_b32 s0, -1, 0
	v_mul_hi_u32 v56, v48, s56
	s_cmp_lg_u32 s0, 0
	s_add_co_ci_u32 s0, s57, s59
	s_and_b64 s[58:59], s[56:57], s[38:39]
	v_mul_u64_e32 v[50:51], s[0:1], v[48:49]
	v_mul_u64_e32 v[46:47], s[58:59], v[52:53]
	;; [unrolled: 1-line block ×3, first 2 shown]
	s_delay_alu instid0(VALU_DEP_3) | instskip(NEXT) | instid1(VALU_DEP_1)
	v_add_nc_u64_e32 v[50:51], v[56:57], v[50:51]
	v_add_co_u32 v1, vcc_lo, v50, v46
	s_delay_alu instid0(VALU_DEP_2) | instskip(NEXT) | instid1(VALU_DEP_4)
	v_add_co_ci_u32_e32 v56, vcc_lo, v51, v47, vcc_lo
	v_add_co_ci_u32_e32 v55, vcc_lo, 0, v55, vcc_lo
	s_delay_alu instid0(VALU_DEP_1) | instskip(NEXT) | instid1(VALU_DEP_1)
	v_add_nc_u64_e32 v[46:47], v[56:57], v[54:55]
	v_mul_u64_e32 v[50:51], s[48:49], v[46:47]
	s_delay_alu instid0(VALU_DEP_1) | instskip(NEXT) | instid1(VALU_DEP_2)
	v_sub_nc_u32_e32 v1, v52, v51
	v_sub_co_u32 v19, vcc_lo, v48, v50
	s_delay_alu instid0(VALU_DEP_1) | instskip(NEXT) | instid1(VALU_DEP_3)
	v_sub_co_ci_u32_e64 v45, null, v52, v51, vcc_lo
	v_subrev_co_ci_u32_e64 v1, null, s49, v1, vcc_lo
	s_delay_alu instid0(VALU_DEP_3) | instskip(SKIP_1) | instid1(VALU_DEP_3)
	v_sub_co_u32 v37, s0, v19, s48
	v_add_nc_u64_e32 v[50:51], 1, v[46:47]
	v_subrev_co_ci_u32_e64 v1, null, 0, v1, s0
	s_delay_alu instid0(VALU_DEP_3) | instskip(SKIP_1) | instid1(VALU_DEP_3)
	v_cmp_le_u32_e32 vcc_lo, s48, v37
	v_cndmask_b32_e64 v37, 0, -1, vcc_lo
	v_cmp_le_u32_e32 vcc_lo, s49, v1
	v_cndmask_b32_e64 v48, 0, -1, vcc_lo
	;; [unrolled: 2-line block ×4, first 2 shown]
	v_cmp_eq_u32_e32 vcc_lo, s49, v1
	v_cndmask_b32_e32 v1, v48, v37, vcc_lo
	v_cmp_eq_u32_e32 vcc_lo, s49, v45
	v_add_nc_u64_e32 v[48:49], 2, v[46:47]
	v_cndmask_b32_e32 v19, v52, v19, vcc_lo
	s_delay_alu instid0(VALU_DEP_4) | instskip(NEXT) | instid1(VALU_DEP_3)
	v_cmp_ne_u32_e32 vcc_lo, 0, v1
	v_cndmask_b32_e32 v1, v51, v49, vcc_lo
	s_delay_alu instid0(VALU_DEP_3) | instskip(SKIP_1) | instid1(VALU_DEP_2)
	v_cmp_ne_u32_e64 s0, 0, v19
	v_cndmask_b32_e32 v19, v50, v48, vcc_lo
	v_dual_cndmask_b32 v1, v47, v1, s0 :: v_dual_bitop2_b32 v44, s46, v44 bitop3:0x14
	s_delay_alu instid0(VALU_DEP_1) | instskip(NEXT) | instid1(VALU_DEP_2)
	v_dual_cndmask_b32 v19, v46, v19, s0 :: v_dual_mov_b32 v45, v44
	v_xor_b32_e32 v47, v1, v44
	s_delay_alu instid0(VALU_DEP_2) | instskip(NEXT) | instid1(VALU_DEP_1)
	v_xor_b32_e32 v46, v19, v44
	v_sub_nc_u64_e32 v[44:45], v[46:47], v[44:45]
.LBB57_10:                              ;   in Loop: Header=BB57_8 Depth=1
	s_and_not1_saveexec_b32 s0, s51
	s_cbranch_execz .LBB57_7
; %bb.11:                               ;   in Loop: Header=BB57_8 Depth=1
	v_cvt_f32_u32_e32 v1, s44
	s_sub_co_i32 s46, 0, s44
	v_mov_b32_e32 v45, v18
	s_delay_alu instid0(VALU_DEP_2) | instskip(SKIP_1) | instid1(TRANS32_DEP_1)
	v_rcp_iflag_f32_e32 v1, v1
	v_nop
	v_mul_f32_e32 v1, 0x4f7ffffe, v1
	s_delay_alu instid0(VALU_DEP_1) | instskip(NEXT) | instid1(VALU_DEP_1)
	v_cvt_u32_f32_e32 v1, v1
	v_mul_lo_u32 v19, s46, v1
	s_delay_alu instid0(VALU_DEP_1) | instskip(NEXT) | instid1(VALU_DEP_1)
	v_mul_hi_u32 v19, v1, v19
	v_add_nc_u32_e32 v1, v1, v19
	s_delay_alu instid0(VALU_DEP_1) | instskip(NEXT) | instid1(VALU_DEP_1)
	v_mul_hi_u32 v1, v42, v1
	v_mul_lo_u32 v19, v1, s44
	s_delay_alu instid0(VALU_DEP_1) | instskip(NEXT) | instid1(VALU_DEP_1)
	v_sub_nc_u32_e32 v19, v42, v19
	v_subrev_nc_u32_e32 v44, s44, v19
	v_cmp_le_u32_e32 vcc_lo, s44, v19
	s_delay_alu instid0(VALU_DEP_2) | instskip(NEXT) | instid1(VALU_DEP_1)
	v_dual_add_nc_u32 v37, 1, v1 :: v_dual_cndmask_b32 v19, v19, v44, vcc_lo
	v_cndmask_b32_e32 v1, v1, v37, vcc_lo
	s_delay_alu instid0(VALU_DEP_2) | instskip(NEXT) | instid1(VALU_DEP_2)
	v_cmp_le_u32_e32 vcc_lo, s44, v19
	v_add_nc_u32_e32 v37, 1, v1
	s_delay_alu instid0(VALU_DEP_1)
	v_cndmask_b32_e32 v44, v1, v37, vcc_lo
	s_branch .LBB57_7
.LBB57_12:
	s_get_pc_i64 s[0:1]
	s_add_nc_u64 s[0:1], s[0:1], .str.4@rel64+4
	s_mov_b32 s37, -1
	s_cmp_lg_u64 s[0:1], 0
	s_mov_b32 s0, 0
	s_cselect_b32 s51, -1, 0
	s_mov_b32 s55, 0
	s_mov_b32 s1, exec_lo
	v_cmpx_gt_i64_e64 v[10:11], v[30:31]
	s_cbranch_execz .LBB57_18
; %bb.13:
	s_wait_loadcnt 0x0
	v_lshlrev_b64_e32 v[18:19], 3, v[40:41]
	s_mov_b32 s37, 0
	s_xor_b32 s39, s51, -1
                                        ; implicit-def: $sgpr38
                                        ; implicit-def: $sgpr41
                                        ; implicit-def: $sgpr40
	s_delay_alu instid0(VALU_DEP_1) | instskip(SKIP_1) | instid1(VALU_DEP_2)
	v_lshl_add_u64 v[30:31], v[30:31], 3, v[18:19]
	v_add_nc_u64_e32 v[40:41], s[16:17], v[18:19]
	v_add_nc_u64_e32 v[30:31], s[16:17], v[30:31]
	s_delay_alu instid0(VALU_DEP_2) | instskip(NEXT) | instid1(VALU_DEP_2)
	v_lshl_add_u64 v[10:11], v[10:11], 3, v[40:41]
	v_add_nc_u64_e32 v[18:19], 8, v[30:31]
	s_branch .LBB57_15
.LBB57_14:                              ;   in Loop: Header=BB57_15 Depth=1
	s_or_b32 exec_lo, exec_lo, s42
	s_delay_alu instid0(SALU_CYCLE_1) | instskip(NEXT) | instid1(SALU_CYCLE_1)
	s_and_b32 s42, exec_lo, s41
	s_or_b32 s37, s42, s37
	s_and_not1_b32 s38, s38, exec_lo
	s_and_b32 s42, s40, exec_lo
	s_delay_alu instid0(SALU_CYCLE_1)
	s_or_b32 s38, s38, s42
	s_and_not1_b32 exec_lo, exec_lo, s37
	s_cbranch_execz .LBB57_17
.LBB57_15:                              ; =>This Inner Loop Header: Depth=1
	s_or_b32 s40, s40, exec_lo
	s_or_b32 s41, s41, exec_lo
	s_mov_b32 s42, exec_lo
	s_delay_alu instid0(VALU_DEP_1)
	v_cmpx_lt_u64_e64 v[18:19], v[10:11]
	s_cbranch_execz .LBB57_14
; %bb.16:                               ;   in Loop: Header=BB57_15 Depth=1
	global_load_b128 v[40:43], v[18:19], off offset:-8
	s_wait_xcnt 0x0
	v_add_nc_u64_e32 v[18:19], 8, v[18:19]
	s_and_not1_b32 s41, s41, exec_lo
	s_and_not1_b32 s40, s40, exec_lo
	s_wait_loadcnt 0x0
	v_cmp_ge_i64_e32 vcc_lo, v[40:41], v[42:43]
	s_or_b32 s43, s39, vcc_lo
	s_delay_alu instid0(SALU_CYCLE_1) | instskip(NEXT) | instid1(SALU_CYCLE_1)
	s_and_b32 s43, s43, exec_lo
	s_or_b32 s41, s41, s43
	s_branch .LBB57_14
.LBB57_17:
	s_or_b32 exec_lo, exec_lo, s37
	s_delay_alu instid0(SALU_CYCLE_1)
	s_mov_b32 s55, exec_lo
	s_or_not1_b32 s37, s38, exec_lo
.LBB57_18:
	s_or_b32 exec_lo, exec_lo, s1
	s_mov_b32 s38, 0
	s_mov_b32 s39, 0
	;; [unrolled: 1-line block ×3, first 2 shown]
	s_and_saveexec_b32 s56, s37
	s_cbranch_execz .LBB57_64
; %bb.19:
	s_mov_b32 s0, 0
	s_mov_b32 s1, -1
	s_mov_b32 s37, 0
	s_mov_b32 s57, exec_lo
	s_wait_loadcnt 0x2
	v_cmpx_eq_u64_e64 s[4:5], v[2:3]
	s_cbranch_execz .LBB57_63
; %bb.20:
	s_mov_b32 s0, -1
	s_mov_b32 s40, 0
	s_mov_b32 s41, 0
	s_mov_b32 s58, exec_lo
	v_cmpx_eq_u64_e64 s[8:9], v[34:35]
	s_cbranch_execz .LBB57_62
; %bb.21:
	v_sub_nc_u64_e32 v[2:3], v[12:13], v[32:33]
	s_mov_b32 s37, -1
	s_mov_b32 s1, 0
	s_delay_alu instid0(VALU_DEP_1) | instskip(SKIP_2) | instid1(SALU_CYCLE_1)
	v_cmp_le_i64_e32 vcc_lo, s[4:5], v[2:3]
	v_cmp_ge_i64_e64 s0, s[6:7], v[2:3]
	s_and_b32 s0, vcc_lo, s0
	s_and_saveexec_b32 s59, s0
	s_cbranch_execz .LBB57_61
; %bb.22:
	v_mov_b64_e32 v[2:3], 0
	s_and_not1_b32 vcc_lo, exec_lo, s52
	s_cbranch_vccnz .LBB57_29
; %bb.23:
	s_wait_loadcnt 0x0
	v_mul_u64_e32 v[18:19], s[8:9], v[20:21]
	v_mov_b64_e32 v[2:3], 0
	s_mov_b32 s37, s1
	v_mov_b32_e32 v10, 0
	s_lshl_b64 s[42:43], s[36:37], 3
	s_mov_b64 s[38:39], 0xffffffff
	s_add_nc_u64 s[40:41], s[12:13], s[42:43]
	s_add_nc_u64 s[42:43], s[14:15], s[42:43]
	s_mov_b32 s37, s10
	s_branch .LBB57_25
.LBB57_24:                              ;   in Loop: Header=BB57_25 Depth=1
	s_or_b32 exec_lo, exec_lo, s0
	s_delay_alu instid0(VALU_DEP_1)
	v_mul_u64_e32 v[30:31], s[44:45], v[20:21]
	s_load_b64 s[44:45], s[42:43], 0x0
	s_add_co_i32 s37, s37, -1
	s_add_nc_u64 s[40:41], s[40:41], -8
	s_cmp_lg_u32 s37, 0
	s_wait_xcnt 0x0
	s_add_nc_u64 s[42:43], s[42:43], -8
	s_delay_alu instid0(VALU_DEP_1) | instskip(SKIP_1) | instid1(VALU_DEP_1)
	v_sub_nc_u64_e32 v[18:19], v[18:19], v[30:31]
	s_wait_kmcnt 0x0
	v_mad_nc_u64_u32 v[2:3], v18, s44, v[2:3]
	s_delay_alu instid0(VALU_DEP_1) | instskip(NEXT) | instid1(VALU_DEP_1)
	v_mad_u32 v1, v19, s44, v3
	v_mad_u32 v3, v18, s45, v1
	v_mov_b64_e32 v[18:19], v[20:21]
	s_cbranch_scc0 .LBB57_29
.LBB57_25:                              ; =>This Inner Loop Header: Depth=1
	s_load_b64 s[44:45], s[40:41], 0x0
                                        ; implicit-def: $vgpr20_vgpr21
	s_mov_b32 s0, exec_lo
	s_wait_kmcnt 0x0
	s_delay_alu instid0(VALU_DEP_1) | instskip(NEXT) | instid1(VALU_DEP_1)
	v_or_b32_e32 v11, s45, v19
	v_cmpx_ne_u64_e32 0, v[10:11]
	s_xor_b32 s60, exec_lo, s0
	s_cbranch_execz .LBB57_27
; %bb.26:                               ;   in Loop: Header=BB57_25 Depth=1
	s_ashr_i32 s46, s45, 31
	v_dual_mov_b32 v35, v10 :: v_dual_ashrrev_i32 v20, 31, v19
	s_mov_b32 s47, s46
	v_mov_b32_e32 v47, v10
	s_add_nc_u64 s[48:49], s[44:45], s[46:47]
	s_delay_alu instid0(VALU_DEP_2) | instskip(SKIP_1) | instid1(SALU_CYCLE_1)
	v_mov_b32_e32 v21, v20
	s_xor_b64 s[48:49], s[48:49], s[46:47]
	s_cvt_f32_u32 s0, s48
	s_cvt_f32_u32 s47, s49
	s_sub_nc_u64 s[64:65], 0, s[48:49]
	v_add_nc_u64_e32 v[30:31], v[18:19], v[20:21]
	v_mov_b32_e32 v43, v10
	s_fmamk_f32 s0, s47, 0x4f800000, s0
	s_delay_alu instid0(SALU_CYCLE_3) | instskip(NEXT) | instid1(VALU_DEP_2)
	v_s_rcp_f32 s0, s0
	v_xor_b32_e32 v34, v30, v20
	s_delay_alu instid0(VALU_DEP_3) | instskip(NEXT) | instid1(TRANS32_DEP_1)
	v_xor_b32_e32 v42, v31, v20
	s_mul_f32 s0, s0, 0x5f7ffffc
	s_delay_alu instid0(SALU_CYCLE_3) | instskip(NEXT) | instid1(SALU_CYCLE_3)
	s_mul_f32 s47, s0, 0x2f800000
	s_trunc_f32 s47, s47
	s_delay_alu instid0(SALU_CYCLE_3) | instskip(SKIP_1) | instid1(SALU_CYCLE_2)
	s_fmamk_f32 s0, s47, 0xcf800000, s0
	s_cvt_u32_f32 s63, s47
	s_cvt_u32_f32 s62, s0
	s_delay_alu instid0(SALU_CYCLE_3) | instskip(NEXT) | instid1(SALU_CYCLE_1)
	s_mul_u64 s[66:67], s[64:65], s[62:63]
	s_mul_hi_u32 s69, s62, s67
	s_mul_i32 s68, s62, s67
	s_mul_hi_u32 s0, s62, s66
	s_mul_i32 s61, s63, s66
	s_add_nc_u64 s[68:69], s[0:1], s[68:69]
	s_mul_hi_u32 s47, s63, s66
	s_mul_hi_u32 s70, s63, s67
	s_add_co_u32 s0, s68, s61
	s_add_co_ci_u32 s0, s69, s47
	s_mul_i32 s66, s63, s67
	s_add_co_ci_u32 s67, s70, 0
	s_delay_alu instid0(SALU_CYCLE_1) | instskip(NEXT) | instid1(SALU_CYCLE_1)
	s_add_nc_u64 s[66:67], s[0:1], s[66:67]
	s_add_co_u32 s62, s62, s66
	s_cselect_b32 s0, -1, 0
	s_delay_alu instid0(SALU_CYCLE_1) | instskip(SKIP_1) | instid1(SALU_CYCLE_1)
	s_cmp_lg_u32 s0, 0
	s_add_co_ci_u32 s63, s63, s67
	s_mul_u64 s[64:65], s[64:65], s[62:63]
	s_delay_alu instid0(SALU_CYCLE_1)
	s_mul_hi_u32 s67, s62, s65
	s_mul_i32 s66, s62, s65
	s_mul_hi_u32 s0, s62, s64
	s_mul_i32 s61, s63, s64
	s_add_nc_u64 s[66:67], s[0:1], s[66:67]
	s_mul_hi_u32 s47, s63, s64
	s_mul_hi_u32 s68, s63, s65
	s_add_co_u32 s0, s66, s61
	s_add_co_ci_u32 s0, s67, s47
	s_mul_i32 s64, s63, s65
	s_add_co_ci_u32 s65, s68, 0
	s_delay_alu instid0(SALU_CYCLE_1) | instskip(NEXT) | instid1(SALU_CYCLE_1)
	s_add_nc_u64 s[64:65], s[0:1], s[64:65]
	s_add_co_u32 s62, s62, s64
	s_cselect_b32 s0, -1, 0
	v_mul_hi_u32 v46, v34, s62
	s_cmp_lg_u32 s0, 0
	s_add_co_ci_u32 s0, s63, s65
	s_and_b64 s[64:65], s[62:63], s[38:39]
	v_mul_u64_e32 v[40:41], s[0:1], v[34:35]
	v_mul_u64_e32 v[30:31], s[64:65], v[42:43]
	;; [unrolled: 1-line block ×3, first 2 shown]
	s_delay_alu instid0(VALU_DEP_3) | instskip(NEXT) | instid1(VALU_DEP_1)
	v_add_nc_u64_e32 v[40:41], v[46:47], v[40:41]
	v_add_co_u32 v1, vcc_lo, v40, v30
	s_delay_alu instid0(VALU_DEP_2) | instskip(NEXT) | instid1(VALU_DEP_4)
	v_add_co_ci_u32_e32 v46, vcc_lo, v41, v31, vcc_lo
	v_add_co_ci_u32_e32 v45, vcc_lo, 0, v45, vcc_lo
	s_delay_alu instid0(VALU_DEP_1) | instskip(NEXT) | instid1(VALU_DEP_1)
	v_add_nc_u64_e32 v[30:31], v[46:47], v[44:45]
	v_mul_u64_e32 v[40:41], s[48:49], v[30:31]
	s_delay_alu instid0(VALU_DEP_1) | instskip(NEXT) | instid1(VALU_DEP_2)
	v_sub_nc_u32_e32 v1, v42, v41
	v_sub_co_u32 v11, vcc_lo, v34, v40
	s_delay_alu instid0(VALU_DEP_1) | instskip(NEXT) | instid1(VALU_DEP_3)
	v_sub_co_ci_u32_e64 v37, null, v42, v41, vcc_lo
	v_subrev_co_ci_u32_e64 v1, null, s49, v1, vcc_lo
	s_delay_alu instid0(VALU_DEP_3) | instskip(SKIP_1) | instid1(VALU_DEP_3)
	v_sub_co_u32 v21, s0, v11, s48
	v_add_nc_u64_e32 v[40:41], 1, v[30:31]
	v_subrev_co_ci_u32_e64 v1, null, 0, v1, s0
	s_delay_alu instid0(VALU_DEP_3) | instskip(SKIP_1) | instid1(VALU_DEP_3)
	v_cmp_le_u32_e32 vcc_lo, s48, v21
	v_cndmask_b32_e64 v21, 0, -1, vcc_lo
	v_cmp_le_u32_e32 vcc_lo, s49, v1
	v_cndmask_b32_e64 v34, 0, -1, vcc_lo
	;; [unrolled: 2-line block ×4, first 2 shown]
	v_cmp_eq_u32_e32 vcc_lo, s49, v1
	v_cndmask_b32_e32 v1, v34, v21, vcc_lo
	v_cmp_eq_u32_e32 vcc_lo, s49, v37
	v_add_nc_u64_e32 v[34:35], 2, v[30:31]
	v_cndmask_b32_e32 v11, v42, v11, vcc_lo
	s_delay_alu instid0(VALU_DEP_4) | instskip(NEXT) | instid1(VALU_DEP_2)
	v_cmp_ne_u32_e32 vcc_lo, 0, v1
	v_cmp_ne_u32_e64 s0, 0, v11
	s_delay_alu instid0(VALU_DEP_4) | instskip(NEXT) | instid1(VALU_DEP_1)
	v_dual_cndmask_b32 v1, v41, v35, vcc_lo :: v_dual_cndmask_b32 v11, v40, v34, vcc_lo
	v_dual_cndmask_b32 v1, v31, v1, s0 :: v_dual_bitop2_b32 v20, s46, v20 bitop3:0x14
	s_delay_alu instid0(VALU_DEP_1) | instskip(NEXT) | instid1(VALU_DEP_2)
	v_dual_cndmask_b32 v11, v30, v11, s0 :: v_dual_mov_b32 v21, v20
	v_xor_b32_e32 v31, v1, v20
	s_delay_alu instid0(VALU_DEP_2) | instskip(NEXT) | instid1(VALU_DEP_1)
	v_xor_b32_e32 v30, v11, v20
	v_sub_nc_u64_e32 v[20:21], v[30:31], v[20:21]
.LBB57_27:                              ;   in Loop: Header=BB57_25 Depth=1
	s_and_not1_saveexec_b32 s0, s60
	s_cbranch_execz .LBB57_24
; %bb.28:                               ;   in Loop: Header=BB57_25 Depth=1
	v_cvt_f32_u32_e32 v1, s44
	s_sub_co_i32 s46, 0, s44
	s_delay_alu instid0(VALU_DEP_1) | instskip(SKIP_1) | instid1(TRANS32_DEP_1)
	v_rcp_iflag_f32_e32 v1, v1
	v_nop
	v_mul_f32_e32 v1, 0x4f7ffffe, v1
	s_delay_alu instid0(VALU_DEP_1) | instskip(NEXT) | instid1(VALU_DEP_1)
	v_cvt_u32_f32_e32 v1, v1
	v_mul_lo_u32 v11, s46, v1
	s_delay_alu instid0(VALU_DEP_1) | instskip(NEXT) | instid1(VALU_DEP_1)
	v_mul_hi_u32 v11, v1, v11
	v_add_nc_u32_e32 v1, v1, v11
	s_delay_alu instid0(VALU_DEP_1) | instskip(NEXT) | instid1(VALU_DEP_1)
	v_mul_hi_u32 v1, v18, v1
	v_mul_lo_u32 v11, v1, s44
	s_delay_alu instid0(VALU_DEP_1) | instskip(NEXT) | instid1(VALU_DEP_1)
	v_dual_add_nc_u32 v20, 1, v1 :: v_dual_sub_nc_u32 v11, v18, v11
	v_subrev_nc_u32_e32 v21, s44, v11
	v_cmp_le_u32_e32 vcc_lo, s44, v11
	s_delay_alu instid0(VALU_DEP_2) | instskip(NEXT) | instid1(VALU_DEP_4)
	v_dual_cndmask_b32 v11, v11, v21, vcc_lo :: v_dual_mov_b32 v21, v10
	v_cndmask_b32_e32 v1, v1, v20, vcc_lo
	s_delay_alu instid0(VALU_DEP_2) | instskip(NEXT) | instid1(VALU_DEP_2)
	v_cmp_le_u32_e32 vcc_lo, s44, v11
	v_add_nc_u32_e32 v20, 1, v1
	s_delay_alu instid0(VALU_DEP_1)
	v_cndmask_b32_e32 v20, v1, v20, vcc_lo
	s_branch .LBB57_24
.LBB57_29:
	s_mov_b32 s37, -1
	s_mov_b32 s0, 0
	s_mov_b32 s60, 0
	s_mov_b32 s1, exec_lo
	v_cmpx_gt_i64_e64 v[12:13], v[32:33]
	s_cbranch_execz .LBB57_35
; %bb.30:
	s_delay_alu instid0(VALU_DEP_2) | instskip(SKIP_2) | instid1(VALU_DEP_1)
	v_lshlrev_b64_e32 v[2:3], 3, v[2:3]
	s_mov_b32 s37, 0
	s_xor_b32 s39, s51, -1
                                        ; implicit-def: $sgpr38
                                        ; implicit-def: $sgpr41
                                        ; implicit-def: $sgpr40
	v_lshl_add_u64 v[10:11], v[32:33], 3, v[2:3]
	s_wait_loadcnt 0x0
	v_add_nc_u64_e32 v[18:19], s[16:17], v[2:3]
	s_delay_alu instid0(VALU_DEP_2) | instskip(NEXT) | instid1(VALU_DEP_1)
	v_add_nc_u64_e32 v[10:11], s[16:17], v[10:11]
	v_add_nc_u64_e32 v[2:3], 8, v[10:11]
	s_delay_alu instid0(VALU_DEP_3)
	v_lshl_add_u64 v[10:11], v[12:13], 3, v[18:19]
	s_branch .LBB57_32
.LBB57_31:                              ;   in Loop: Header=BB57_32 Depth=1
	s_or_b32 exec_lo, exec_lo, s42
	s_delay_alu instid0(SALU_CYCLE_1) | instskip(NEXT) | instid1(SALU_CYCLE_1)
	s_and_b32 s42, exec_lo, s41
	s_or_b32 s37, s42, s37
	s_and_not1_b32 s38, s38, exec_lo
	s_and_b32 s42, s40, exec_lo
	s_delay_alu instid0(SALU_CYCLE_1)
	s_or_b32 s38, s38, s42
	s_and_not1_b32 exec_lo, exec_lo, s37
	s_cbranch_execz .LBB57_34
.LBB57_32:                              ; =>This Inner Loop Header: Depth=1
	s_or_b32 s40, s40, exec_lo
	s_or_b32 s41, s41, exec_lo
	s_mov_b32 s42, exec_lo
	s_delay_alu instid0(VALU_DEP_2)
	v_cmpx_lt_u64_e64 v[2:3], v[10:11]
	s_cbranch_execz .LBB57_31
; %bb.33:                               ;   in Loop: Header=BB57_32 Depth=1
	global_load_b128 v[18:21], v[2:3], off offset:-8
	s_and_not1_b32 s41, s41, exec_lo
	s_wait_xcnt 0x0
	v_add_nc_u64_e32 v[2:3], 8, v[2:3]
	s_and_not1_b32 s40, s40, exec_lo
	s_wait_loadcnt 0x0
	v_cmp_ge_i64_e32 vcc_lo, v[18:19], v[20:21]
	s_or_b32 s43, s39, vcc_lo
	s_delay_alu instid0(SALU_CYCLE_1) | instskip(NEXT) | instid1(SALU_CYCLE_1)
	s_and_b32 s43, s43, exec_lo
	s_or_b32 s41, s41, s43
	s_branch .LBB57_31
.LBB57_34:
	s_or_b32 exec_lo, exec_lo, s37
	s_delay_alu instid0(SALU_CYCLE_1)
	s_mov_b32 s60, exec_lo
	s_or_not1_b32 s37, s38, exec_lo
.LBB57_35:
	s_or_b32 exec_lo, exec_lo, s1
	s_mov_b32 s1, 0
	s_mov_b32 s38, 0
	s_mov_b32 s39, 0
	s_and_saveexec_b32 s61, s37
	s_cbranch_execz .LBB57_60
; %bb.36:
	s_mov_b32 s0, 0
	s_mov_b32 s1, -1
	s_mov_b32 s37, 0
	s_mov_b32 s62, exec_lo
	v_cmpx_eq_u64_e64 s[4:5], v[4:5]
	s_cbranch_execz .LBB57_59
; %bb.37:
	s_mov_b32 s0, -1
	s_mov_b32 s40, 0
	s_mov_b32 s41, 0
	s_mov_b32 s63, exec_lo
	v_cmpx_eq_u64_e64 s[8:9], v[26:27]
	s_cbranch_execz .LBB57_58
; %bb.38:
	v_sub_nc_u64_e32 v[2:3], v[6:7], v[14:15]
	s_mov_b32 s37, -1
	s_mov_b32 s1, 0
	s_delay_alu instid0(VALU_DEP_1) | instskip(SKIP_2) | instid1(SALU_CYCLE_1)
	v_cmp_le_i64_e32 vcc_lo, s[4:5], v[2:3]
	v_cmp_ge_i64_e64 s0, s[6:7], v[2:3]
	s_and_b32 s0, vcc_lo, s0
	s_and_saveexec_b32 s64, s0
	s_cbranch_execz .LBB57_57
; %bb.39:
	v_mov_b64_e32 v[2:3], 0
	s_and_not1_b32 vcc_lo, exec_lo, s52
	s_cbranch_vccnz .LBB57_46
; %bb.40:
	s_wait_loadcnt 0x1
	v_mul_u64_e32 v[10:11], s[8:9], v[22:23]
	v_mov_b64_e32 v[2:3], 0
	s_mov_b32 s37, s1
	v_mov_b32_e32 v4, 0
	s_lshl_b64 s[42:43], s[36:37], 3
	s_mov_b64 s[38:39], 0xffffffff
	s_add_nc_u64 s[40:41], s[12:13], s[42:43]
	s_add_nc_u64 s[42:43], s[14:15], s[42:43]
	s_mov_b32 s37, s10
	s_branch .LBB57_42
.LBB57_41:                              ;   in Loop: Header=BB57_42 Depth=1
	s_or_b32 exec_lo, exec_lo, s0
	s_wait_loadcnt 0x0
	s_delay_alu instid0(VALU_DEP_1)
	v_mul_u64_e32 v[18:19], s[44:45], v[12:13]
	s_load_b64 s[44:45], s[42:43], 0x0
	s_add_co_i32 s37, s37, -1
	s_add_nc_u64 s[40:41], s[40:41], -8
	s_cmp_lg_u32 s37, 0
	s_wait_xcnt 0x0
	s_add_nc_u64 s[42:43], s[42:43], -8
	s_delay_alu instid0(VALU_DEP_1) | instskip(SKIP_1) | instid1(VALU_DEP_1)
	v_sub_nc_u64_e32 v[10:11], v[10:11], v[18:19]
	s_wait_kmcnt 0x0
	v_mad_nc_u64_u32 v[2:3], v10, s44, v[2:3]
	s_delay_alu instid0(VALU_DEP_1) | instskip(NEXT) | instid1(VALU_DEP_1)
	v_mad_u32 v1, v11, s44, v3
	v_mad_u32 v3, v10, s45, v1
	v_mov_b64_e32 v[10:11], v[12:13]
	s_cbranch_scc0 .LBB57_46
.LBB57_42:                              ; =>This Inner Loop Header: Depth=1
	s_load_b64 s[44:45], s[40:41], 0x0
                                        ; implicit-def: $vgpr12_vgpr13
	s_mov_b32 s0, exec_lo
	s_wait_kmcnt 0x0
	s_delay_alu instid0(VALU_DEP_1) | instskip(NEXT) | instid1(VALU_DEP_1)
	v_or_b32_e32 v5, s45, v11
	v_cmpx_ne_u64_e32 0, v[4:5]
	s_xor_b32 s65, exec_lo, s0
	s_cbranch_execz .LBB57_44
; %bb.43:                               ;   in Loop: Header=BB57_42 Depth=1
	s_ashr_i32 s46, s45, 31
	s_wait_loadcnt 0x0
	v_dual_mov_b32 v21, v4 :: v_dual_ashrrev_i32 v12, 31, v11
	s_mov_b32 s47, s46
	s_delay_alu instid0(SALU_CYCLE_1) | instskip(NEXT) | instid1(VALU_DEP_1)
	s_add_nc_u64 s[48:49], s[44:45], s[46:47]
	v_mov_b32_e32 v13, v12
	s_xor_b64 s[48:49], s[48:49], s[46:47]
	s_delay_alu instid0(SALU_CYCLE_1)
	s_cvt_f32_u32 s0, s48
	s_cvt_f32_u32 s47, s49
	s_sub_nc_u64 s[68:69], 0, s[48:49]
	v_add_nc_u64_e32 v[18:19], v[10:11], v[12:13]
	v_mov_b32_e32 v27, v4
	s_fmamk_f32 s0, s47, 0x4f800000, s0
	s_delay_alu instid0(SALU_CYCLE_3) | instskip(NEXT) | instid1(VALU_DEP_2)
	v_s_rcp_f32 s0, s0
	v_xor_b32_e32 v20, v18, v12
	s_delay_alu instid0(VALU_DEP_3) | instskip(SKIP_1) | instid1(TRANS32_DEP_1)
	v_dual_mov_b32 v33, v4 :: v_dual_bitop2_b32 v26, v19, v12 bitop3:0x14
	v_xor_b32_e32 v12, s46, v12
	s_mul_f32 s0, s0, 0x5f7ffffc
	s_delay_alu instid0(SALU_CYCLE_3) | instskip(NEXT) | instid1(SALU_CYCLE_3)
	s_mul_f32 s47, s0, 0x2f800000
	s_trunc_f32 s47, s47
	s_delay_alu instid0(SALU_CYCLE_3) | instskip(SKIP_1) | instid1(SALU_CYCLE_2)
	s_fmamk_f32 s0, s47, 0xcf800000, s0
	s_cvt_u32_f32 s67, s47
	s_cvt_u32_f32 s66, s0
	s_delay_alu instid0(SALU_CYCLE_3) | instskip(NEXT) | instid1(SALU_CYCLE_1)
	s_mul_u64 s[70:71], s[68:69], s[66:67]
	s_mul_hi_u32 s73, s66, s71
	s_mul_i32 s72, s66, s71
	s_mul_hi_u32 s0, s66, s70
	s_mul_i32 s74, s67, s70
	s_add_nc_u64 s[72:73], s[0:1], s[72:73]
	s_mul_hi_u32 s47, s67, s70
	s_mul_hi_u32 s75, s67, s71
	s_add_co_u32 s0, s72, s74
	s_add_co_ci_u32 s0, s73, s47
	s_mul_i32 s70, s67, s71
	s_add_co_ci_u32 s71, s75, 0
	s_delay_alu instid0(SALU_CYCLE_1) | instskip(NEXT) | instid1(SALU_CYCLE_1)
	s_add_nc_u64 s[70:71], s[0:1], s[70:71]
	s_add_co_u32 s66, s66, s70
	s_cselect_b32 s0, -1, 0
	s_delay_alu instid0(SALU_CYCLE_1) | instskip(SKIP_1) | instid1(SALU_CYCLE_1)
	s_cmp_lg_u32 s0, 0
	s_add_co_ci_u32 s67, s67, s71
	s_mul_u64 s[68:69], s[68:69], s[66:67]
	s_delay_alu instid0(SALU_CYCLE_1)
	s_mul_hi_u32 s71, s66, s69
	s_mul_i32 s70, s66, s69
	s_mul_hi_u32 s0, s66, s68
	s_mul_i32 s72, s67, s68
	s_add_nc_u64 s[70:71], s[0:1], s[70:71]
	s_mul_hi_u32 s47, s67, s68
	s_mul_hi_u32 s73, s67, s69
	s_add_co_u32 s0, s70, s72
	s_add_co_ci_u32 s0, s71, s47
	s_mul_i32 s68, s67, s69
	s_add_co_ci_u32 s69, s73, 0
	s_delay_alu instid0(SALU_CYCLE_1) | instskip(NEXT) | instid1(SALU_CYCLE_1)
	s_add_nc_u64 s[68:69], s[0:1], s[68:69]
	s_add_co_u32 s66, s66, s68
	s_cselect_b32 s0, -1, 0
	v_mul_hi_u32 v32, v20, s66
	s_cmp_lg_u32 s0, 0
	s_add_co_ci_u32 s0, s67, s69
	s_and_b64 s[68:69], s[66:67], s[38:39]
	v_mul_u64_e32 v[22:23], s[0:1], v[20:21]
	v_mul_u64_e32 v[18:19], s[68:69], v[26:27]
	;; [unrolled: 1-line block ×3, first 2 shown]
	s_delay_alu instid0(VALU_DEP_3) | instskip(NEXT) | instid1(VALU_DEP_1)
	v_add_nc_u64_e32 v[22:23], v[32:33], v[22:23]
	v_add_co_u32 v1, vcc_lo, v22, v18
	s_delay_alu instid0(VALU_DEP_2) | instskip(NEXT) | instid1(VALU_DEP_4)
	v_add_co_ci_u32_e32 v32, vcc_lo, v23, v19, vcc_lo
	v_add_co_ci_u32_e32 v31, vcc_lo, 0, v31, vcc_lo
	s_delay_alu instid0(VALU_DEP_1) | instskip(NEXT) | instid1(VALU_DEP_1)
	v_add_nc_u64_e32 v[18:19], v[32:33], v[30:31]
	v_mul_u64_e32 v[22:23], s[48:49], v[18:19]
	s_delay_alu instid0(VALU_DEP_1) | instskip(NEXT) | instid1(VALU_DEP_2)
	v_sub_nc_u32_e32 v1, v26, v23
	v_sub_co_u32 v5, vcc_lo, v20, v22
	s_delay_alu instid0(VALU_DEP_1) | instskip(NEXT) | instid1(VALU_DEP_3)
	v_sub_co_ci_u32_e64 v26, null, v26, v23, vcc_lo
	v_subrev_co_ci_u32_e64 v1, null, s49, v1, vcc_lo
	s_delay_alu instid0(VALU_DEP_3) | instskip(SKIP_1) | instid1(VALU_DEP_3)
	v_sub_co_u32 v13, s0, v5, s48
	v_add_nc_u64_e32 v[22:23], 1, v[18:19]
	v_subrev_co_ci_u32_e64 v1, null, 0, v1, s0
	s_delay_alu instid0(VALU_DEP_3) | instskip(SKIP_1) | instid1(VALU_DEP_3)
	v_cmp_le_u32_e32 vcc_lo, s48, v13
	v_cndmask_b32_e64 v13, 0, -1, vcc_lo
	v_cmp_le_u32_e32 vcc_lo, s49, v1
	v_cndmask_b32_e64 v20, 0, -1, vcc_lo
	;; [unrolled: 2-line block ×4, first 2 shown]
	v_cmp_eq_u32_e32 vcc_lo, s49, v1
	v_cndmask_b32_e32 v1, v20, v13, vcc_lo
	v_cmp_eq_u32_e32 vcc_lo, s49, v26
	v_add_nc_u64_e32 v[20:21], 2, v[18:19]
	v_dual_mov_b32 v13, v12 :: v_dual_cndmask_b32 v5, v27, v5, vcc_lo
	s_delay_alu instid0(VALU_DEP_4) | instskip(NEXT) | instid1(VALU_DEP_2)
	v_cmp_ne_u32_e32 vcc_lo, 0, v1
	v_cmp_ne_u32_e64 s0, 0, v5
	s_delay_alu instid0(VALU_DEP_4) | instskip(NEXT) | instid1(VALU_DEP_1)
	v_dual_cndmask_b32 v1, v23, v21, vcc_lo :: v_dual_cndmask_b32 v5, v22, v20, vcc_lo
	v_cndmask_b32_e64 v5, v18, v5, s0
	s_delay_alu instid0(VALU_DEP_1) | instskip(NEXT) | instid1(VALU_DEP_1)
	v_dual_cndmask_b32 v1, v19, v1, s0 :: v_dual_bitop2_b32 v18, v5, v12 bitop3:0x14
	v_xor_b32_e32 v19, v1, v12
	s_delay_alu instid0(VALU_DEP_1)
	v_sub_nc_u64_e32 v[12:13], v[18:19], v[12:13]
.LBB57_44:                              ;   in Loop: Header=BB57_42 Depth=1
	s_and_not1_saveexec_b32 s0, s65
	s_cbranch_execz .LBB57_41
; %bb.45:                               ;   in Loop: Header=BB57_42 Depth=1
	v_cvt_f32_u32_e32 v1, s44
	s_sub_co_i32 s46, 0, s44
	s_delay_alu instid0(VALU_DEP_1) | instskip(SKIP_1) | instid1(TRANS32_DEP_1)
	v_rcp_iflag_f32_e32 v1, v1
	v_nop
	v_mul_f32_e32 v1, 0x4f7ffffe, v1
	s_delay_alu instid0(VALU_DEP_1) | instskip(NEXT) | instid1(VALU_DEP_1)
	v_cvt_u32_f32_e32 v1, v1
	v_mul_lo_u32 v5, s46, v1
	s_delay_alu instid0(VALU_DEP_1) | instskip(NEXT) | instid1(VALU_DEP_1)
	v_mul_hi_u32 v5, v1, v5
	v_add_nc_u32_e32 v1, v1, v5
	s_delay_alu instid0(VALU_DEP_1) | instskip(NEXT) | instid1(VALU_DEP_1)
	v_mul_hi_u32 v1, v10, v1
	v_mul_lo_u32 v5, v1, s44
	v_add_nc_u32_e32 v12, 1, v1
	s_delay_alu instid0(VALU_DEP_2) | instskip(NEXT) | instid1(VALU_DEP_1)
	v_sub_nc_u32_e32 v5, v10, v5
	v_subrev_nc_u32_e32 v13, s44, v5
	v_cmp_le_u32_e32 vcc_lo, s44, v5
	s_delay_alu instid0(VALU_DEP_2) | instskip(SKIP_1) | instid1(VALU_DEP_2)
	v_dual_cndmask_b32 v5, v5, v13, vcc_lo :: v_dual_mov_b32 v13, v4
	v_cndmask_b32_e32 v1, v1, v12, vcc_lo
	v_cmp_le_u32_e32 vcc_lo, s44, v5
	s_delay_alu instid0(VALU_DEP_2) | instskip(NEXT) | instid1(VALU_DEP_1)
	v_add_nc_u32_e32 v12, 1, v1
	v_cndmask_b32_e32 v12, v1, v12, vcc_lo
	s_branch .LBB57_41
.LBB57_46:
	s_mov_b32 s38, -1
	s_mov_b32 s0, 0
	s_mov_b32 s37, 0
	s_mov_b32 s1, exec_lo
	v_cmpx_gt_i64_e64 v[6:7], v[14:15]
	s_cbranch_execz .LBB57_52
; %bb.47:
	s_delay_alu instid0(VALU_DEP_2) | instskip(SKIP_1) | instid1(VALU_DEP_1)
	v_lshlrev_b64_e32 v[2:3], 3, v[2:3]
	s_xor_b32 s39, s51, -1
                                        ; implicit-def: $sgpr38
                                        ; implicit-def: $sgpr41
                                        ; implicit-def: $sgpr40
	v_lshl_add_u64 v[4:5], v[14:15], 3, v[2:3]
	v_add_nc_u64_e32 v[10:11], s[16:17], v[2:3]
	s_delay_alu instid0(VALU_DEP_2) | instskip(NEXT) | instid1(VALU_DEP_1)
	v_add_nc_u64_e32 v[4:5], s[16:17], v[4:5]
	v_add_nc_u64_e32 v[2:3], 8, v[4:5]
	s_delay_alu instid0(VALU_DEP_3)
	v_lshl_add_u64 v[4:5], v[6:7], 3, v[10:11]
	s_branch .LBB57_49
.LBB57_48:                              ;   in Loop: Header=BB57_49 Depth=1
	s_or_b32 exec_lo, exec_lo, s42
	s_delay_alu instid0(SALU_CYCLE_1) | instskip(NEXT) | instid1(SALU_CYCLE_1)
	s_and_b32 s42, exec_lo, s41
	s_or_b32 s37, s42, s37
	s_and_not1_b32 s38, s38, exec_lo
	s_and_b32 s42, s40, exec_lo
	s_delay_alu instid0(SALU_CYCLE_1)
	s_or_b32 s38, s38, s42
	s_and_not1_b32 exec_lo, exec_lo, s37
	s_cbranch_execz .LBB57_51
.LBB57_49:                              ; =>This Inner Loop Header: Depth=1
	s_or_b32 s40, s40, exec_lo
	s_or_b32 s41, s41, exec_lo
	s_mov_b32 s42, exec_lo
	s_delay_alu instid0(VALU_DEP_2)
	v_cmpx_lt_u64_e64 v[2:3], v[4:5]
	s_cbranch_execz .LBB57_48
; %bb.50:                               ;   in Loop: Header=BB57_49 Depth=1
	global_load_b128 v[10:13], v[2:3], off offset:-8
	s_and_not1_b32 s41, s41, exec_lo
	s_wait_xcnt 0x0
	v_add_nc_u64_e32 v[2:3], 8, v[2:3]
	s_and_not1_b32 s40, s40, exec_lo
	s_wait_loadcnt 0x0
	v_cmp_ge_i64_e32 vcc_lo, v[10:11], v[12:13]
	s_or_b32 s43, s39, vcc_lo
	s_delay_alu instid0(SALU_CYCLE_1) | instskip(NEXT) | instid1(SALU_CYCLE_1)
	s_and_b32 s43, s43, exec_lo
	s_or_b32 s41, s41, s43
	s_branch .LBB57_48
.LBB57_51:
	s_or_b32 exec_lo, exec_lo, s37
	s_delay_alu instid0(SALU_CYCLE_1)
	s_mov_b32 s37, exec_lo
	s_or_not1_b32 s38, s38, exec_lo
.LBB57_52:
	s_or_b32 exec_lo, exec_lo, s1
	s_mov_b32 s41, 0
	s_mov_b32 s39, 0
	s_and_saveexec_b32 s1, s38
	s_cbranch_execz .LBB57_56
; %bb.53:
	s_mov_b32 s38, 0
	s_mov_b32 s39, -1
	s_mov_b32 s0, 0
	s_mov_b32 s40, exec_lo
	v_cmpx_eq_u64_e64 s[4:5], v[38:39]
	s_xor_b32 s40, exec_lo, s40
; %bb.54:
	v_cmp_ne_u64_e32 vcc_lo, s[8:9], v[28:29]
	s_mov_b32 s0, exec_lo
	s_xor_b32 s39, exec_lo, -1
	s_and_b32 s38, vcc_lo, exec_lo
; %bb.55:
	s_or_b32 exec_lo, exec_lo, s40
	s_delay_alu instid0(SALU_CYCLE_1)
	s_and_b32 s39, s39, exec_lo
	s_and_not1_b32 s37, s37, exec_lo
	s_and_b32 s41, s0, exec_lo
	s_and_b32 s0, s38, exec_lo
.LBB57_56:
	s_or_b32 exec_lo, exec_lo, s1
	s_delay_alu instid0(SALU_CYCLE_1)
	s_and_b32 s40, s39, exec_lo
	s_and_b32 s39, s37, exec_lo
	s_xor_b32 s37, exec_lo, -1
	s_and_b32 s38, s41, exec_lo
	s_and_b32 s1, s0, exec_lo
.LBB57_57:
	s_or_b32 exec_lo, exec_lo, s64
	s_delay_alu instid0(SALU_CYCLE_1)
	s_and_b32 s41, s40, exec_lo
	s_and_b32 s39, s39, exec_lo
	;; [unrolled: 1-line block ×4, first 2 shown]
	s_or_not1_b32 s0, s1, exec_lo
.LBB57_58:
	s_or_b32 exec_lo, exec_lo, s63
	s_delay_alu instid0(SALU_CYCLE_1)
	s_or_not1_b32 s1, s41, exec_lo
	s_and_b32 s39, s39, exec_lo
	s_and_b32 s38, s40, exec_lo
	;; [unrolled: 1-line block ×4, first 2 shown]
.LBB57_59:
	s_or_b32 exec_lo, exec_lo, s62
	s_delay_alu instid0(SALU_CYCLE_1)
	s_and_not1_b32 s40, s60, exec_lo
	s_and_b32 s41, s39, exec_lo
	s_and_b32 s39, s1, exec_lo
	s_or_b32 s60, s40, s41
	s_and_b32 s38, s38, exec_lo
	s_and_b32 s1, s37, exec_lo
	;; [unrolled: 1-line block ×3, first 2 shown]
.LBB57_60:
	s_or_b32 exec_lo, exec_lo, s61
	s_delay_alu instid0(SALU_CYCLE_1)
	s_and_b32 s40, s39, exec_lo
	s_and_b32 s39, s60, exec_lo
	s_or_not1_b32 s37, s38, exec_lo
	s_and_b32 s38, s1, exec_lo
	s_and_b32 s1, s0, exec_lo
.LBB57_61:
	s_or_b32 exec_lo, exec_lo, s59
	s_delay_alu instid0(SALU_CYCLE_1)
	s_and_b32 s41, s40, exec_lo
	s_and_b32 s39, s39, exec_lo
	;; [unrolled: 1-line block ×4, first 2 shown]
	s_or_not1_b32 s0, s1, exec_lo
.LBB57_62:
	s_or_b32 exec_lo, exec_lo, s58
	s_delay_alu instid0(SALU_CYCLE_1)
	s_or_not1_b32 s1, s41, exec_lo
	s_and_b32 s39, s39, exec_lo
	s_and_b32 s38, s40, exec_lo
	;; [unrolled: 1-line block ×4, first 2 shown]
.LBB57_63:
	s_or_b32 exec_lo, exec_lo, s57
	s_delay_alu instid0(SALU_CYCLE_1)
	s_and_not1_b32 s40, s55, exec_lo
	s_and_b32 s39, s39, exec_lo
	s_and_b32 s1, s1, exec_lo
	s_or_b32 s55, s40, s39
	s_and_b32 s39, s38, exec_lo
	s_and_b32 s38, s37, exec_lo
	;; [unrolled: 1-line block ×3, first 2 shown]
.LBB57_64:
	s_or_b32 exec_lo, exec_lo, s56
	s_delay_alu instid0(SALU_CYCLE_1)
	s_and_b32 s1, s1, exec_lo
	s_and_b32 s42, s55, exec_lo
	s_or_not1_b32 s37, s39, exec_lo
	s_and_b32 s41, s38, exec_lo
	s_and_b32 s40, s0, exec_lo
.LBB57_65:
	s_or_b32 exec_lo, exec_lo, s54
	s_delay_alu instid0(SALU_CYCLE_1)
	s_and_b32 s1, s1, exec_lo
	s_and_b32 s54, s42, exec_lo
	;; [unrolled: 1-line block ×4, first 2 shown]
	s_or_not1_b32 s40, s40, exec_lo
	s_mov_b32 s55, s10
.LBB57_66:
	s_or_b32 exec_lo, exec_lo, s53
	s_and_saveexec_b32 s38, s40
	s_cbranch_execnz .LBB57_215
.LBB57_67:
	s_or_b32 exec_lo, exec_lo, s38
	s_mov_b32 s38, 0
	s_and_saveexec_b32 s39, s0
	s_delay_alu instid0(SALU_CYCLE_1)
	s_xor_b32 s39, exec_lo, s39
	s_cbranch_execnz .LBB57_141
; %bb.68:
	s_or_b32 exec_lo, exec_lo, s39
	s_and_saveexec_b32 s0, s37
	s_cbranch_execnz .LBB57_142
.LBB57_69:
	s_or_b32 exec_lo, exec_lo, s0
	s_mov_b32 s0, 0
	s_and_saveexec_b32 s53, s38
	s_cbranch_execnz .LBB57_143
.LBB57_70:
	s_or_b32 exec_lo, exec_lo, s53
	s_and_saveexec_b32 s36, s54
	s_cbranch_execnz .LBB57_178
.LBB57_71:
	s_or_b32 exec_lo, exec_lo, s36
	s_and_saveexec_b32 s36, s0
	s_delay_alu instid0(SALU_CYCLE_1)
	s_xor_b32 s0, exec_lo, s36
	s_cbranch_execz .LBB57_73
.LBB57_72:
	s_mov_b32 s36, 0
	s_add_nc_u64 s[34:35], s[18:19], s[34:35]
	s_mov_b32 s37, s36
	s_mov_b32 s38, s36
	;; [unrolled: 1-line block ×3, first 2 shown]
	s_wait_loadcnt 0x2
	v_mov_b64_e32 v[2:3], s[36:37]
	v_mov_b64_e32 v[4:5], s[38:39]
	s_clause 0x1
	global_store_b128 v36, v[2:5], s[34:35]
	global_store_b128 v36, v[2:5], s[34:35] offset:16
.LBB57_73:
	s_wait_xcnt 0x0
	s_or_b32 exec_lo, exec_lo, s0
	s_delay_alu instid0(SALU_CYCLE_1)
	s_and_b32 s3, s3, exec_lo
	s_or_not1_b32 s0, s1, exec_lo
.LBB57_74:
	s_or_b32 exec_lo, exec_lo, s50
.LBB57_75:
	s_and_saveexec_b32 s1, s0
	s_delay_alu instid0(SALU_CYCLE_1)
	s_xor_b32 s0, exec_lo, s1
	s_cbranch_execnz .LBB57_213
.LBB57_76:
	s_or_b32 exec_lo, exec_lo, s0
	s_mov_b32 s0, 0
.LBB57_77:
	s_delay_alu instid0(SALU_CYCLE_1)
	s_and_b32 vcc_lo, exec_lo, s0
	s_cbranch_vccz .LBB57_97
; %bb.78:
	s_wait_loadcnt 0x0
	v_mov_b64_e32 v[28:29], 0
	v_mov_b64_e32 v[40:41], 0
	;; [unrolled: 1-line block ×6, first 2 shown]
	v_cmp_gt_i32_e64 s0, s11, v0
	v_or_b32_e32 v1, 0x100, v0
	v_mov_b32_e32 v42, v0
	s_and_saveexec_b32 s1, s0
	s_cbranch_execz .LBB57_80
; %bb.79:
	v_or_b32_e32 v2, s2, v0
	v_or_b32_e32 v42, 0x100, v0
	s_clause 0x4
	global_load_b64 v[40:41], v2, s[20:21] scale_offset
	global_load_b64 v[36:37], v2, s[22:23] scale_offset
	;; [unrolled: 1-line block ×5, first 2 shown]
.LBB57_80:
	s_wait_xcnt 0x0
	s_or_b32 exec_lo, exec_lo, s1
	v_mov_b64_e32 v[30:31], 0
	v_mov_b64_e32 v[24:25], 0
	;; [unrolled: 1-line block ×4, first 2 shown]
	s_mov_b32 s1, exec_lo
	v_cmpx_gt_i32_e64 s11, v42
	s_cbranch_execz .LBB57_82
; %bb.81:
	v_add_nc_u32_e32 v2, s2, v42
	v_add_nc_u32_e32 v42, 0x100, v42
	s_clause 0x4
	global_load_b64 v[28:29], v2, s[20:21] scale_offset
	global_load_b64 v[30:31], v2, s[22:23] scale_offset
	;; [unrolled: 1-line block ×5, first 2 shown]
.LBB57_82:
	s_wait_xcnt 0x0
	s_or_b32 exec_lo, exec_lo, s1
	v_mov_b64_e32 v[10:11], 0
	v_mov_b64_e32 v[20:21], 0
	;; [unrolled: 1-line block ×6, first 2 shown]
	s_mov_b32 s1, exec_lo
	v_cmpx_gt_i32_e64 s11, v42
	s_cbranch_execz .LBB57_84
; %bb.83:
	v_add_nc_u32_e32 v2, s2, v42
	v_add_nc_u32_e32 v42, 0x100, v42
	s_clause 0x4
	global_load_b64 v[20:21], v2, s[20:21] scale_offset
	global_load_b64 v[18:19], v2, s[22:23] scale_offset
	;; [unrolled: 1-line block ×5, first 2 shown]
.LBB57_84:
	s_wait_xcnt 0x0
	s_or_b32 exec_lo, exec_lo, s1
	v_mov_b64_e32 v[8:9], 0
	v_mov_b64_e32 v[4:5], 0
	;; [unrolled: 1-line block ×4, first 2 shown]
	s_mov_b32 s1, exec_lo
	v_cmpx_gt_i32_e64 s11, v42
	s_cbranch_execz .LBB57_86
; %bb.85:
	v_add_nc_u32_e32 v42, s2, v42
	s_clause 0x4
	global_load_b64 v[10:11], v42, s[20:21] scale_offset
	global_load_b64 v[8:9], v42, s[22:23] scale_offset
	;; [unrolled: 1-line block ×5, first 2 shown]
.LBB57_86:
	s_wait_xcnt 0x0
	s_or_b32 exec_lo, exec_lo, s1
	s_get_pc_i64 s[20:21]
	s_add_nc_u64 s[20:21], s[20:21], .str.2@rel64+4
	s_cmp_lg_u64 s[30:31], 0
	s_get_pc_i64 s[22:23]
	s_add_nc_u64 s[22:23], s[22:23], .str.3@rel64+4
	s_cselect_b32 s43, -1, 0
	s_cmp_lg_u64 s[20:21], 0
	s_mov_b32 s1, -1
	s_cselect_b32 s41, -1, 0
	s_cmp_lg_u64 s[22:23], 0
	s_get_pc_i64 s[22:23]
	s_add_nc_u64 s[22:23], s[22:23], .str.4@rel64+4
	s_cselect_b32 s40, -1, 0
	s_add_co_i32 s20, s10, -1
	s_mov_b32 s48, 0
	s_cmp_gt_i32 s20, -1
	s_mov_b32 s46, 0
	s_cselect_b32 s39, -1, 0
	s_cmp_lg_u64 s[22:23], 0
	s_mov_b32 s45, 0
	s_cselect_b32 s38, -1, 0
	s_mov_b32 s44, 0
	s_mov_b32 s42, 0
	s_and_saveexec_b32 s33, s0
	s_cbranch_execnz .LBB57_106
; %bb.87:
	s_or_b32 exec_lo, exec_lo, s33
	s_mov_b32 s33, 0
	s_and_saveexec_b32 s47, s1
	s_cbranch_execnz .LBB57_160
.LBB57_88:
	s_or_b32 exec_lo, exec_lo, s47
	s_and_saveexec_b32 s1, s46
	s_cbranch_execnz .LBB57_212
.LBB57_89:
	s_or_b32 exec_lo, exec_lo, s1
	s_mov_b32 s1, 0
	s_and_saveexec_b32 s21, s48
	s_delay_alu instid0(SALU_CYCLE_1)
	s_xor_b32 s21, exec_lo, s21
	s_cbranch_execz .LBB57_91
; %bb.90:
	s_wait_loadcnt 0x3
	v_cmp_ne_u64_e32 vcc_lo, s[8:9], v[8:9]
	s_xor_b32 s22, s41, -1
	s_and_not1_b32 s23, s45, exec_lo
	s_mov_b32 s1, exec_lo
	s_or_b32 s22, s22, vcc_lo
	s_delay_alu instid0(SALU_CYCLE_1) | instskip(NEXT) | instid1(SALU_CYCLE_1)
	s_and_b32 s22, s22, exec_lo
	s_or_b32 s45, s23, s22
.LBB57_91:
	s_or_b32 exec_lo, exec_lo, s21
	s_and_saveexec_b32 s21, s45
	s_cbranch_execnz .LBB57_214
.LBB57_92:
	s_or_b32 exec_lo, exec_lo, s21
	s_mov_b32 s21, 0
	s_and_saveexec_b32 s22, s1
	s_delay_alu instid0(SALU_CYCLE_1)
	s_xor_b32 s22, exec_lo, s22
	s_cbranch_execnz .LBB57_116
; %bb.93:
	s_or_b32 exec_lo, exec_lo, s22
	s_and_saveexec_b32 s1, s44
	s_cbranch_execnz .LBB57_117
.LBB57_94:
	s_or_b32 exec_lo, exec_lo, s1
	s_and_saveexec_b32 s24, s21
	s_cbranch_execnz .LBB57_118
.LBB57_95:
	s_or_b32 exec_lo, exec_lo, s24
	s_and_saveexec_b32 s1, s42
	s_cbranch_execnz .LBB57_140
.LBB57_96:
	s_or_b32 exec_lo, exec_lo, s1
	s_and_saveexec_b32 s1, s3
	s_cbranch_execnz .LBB57_98
	s_branch .LBB57_99
.LBB57_97:
                                        ; implicit-def: $sgpr0
                                        ; implicit-def: $vgpr1
                                        ; implicit-def: $vgpr0
	s_and_saveexec_b32 s1, s3
.LBB57_98:
	; divergent unreachable
.LBB57_99:
	s_delay_alu instid0(SALU_CYCLE_1) | instskip(SKIP_1) | instid1(SALU_CYCLE_1)
	s_or_b32 exec_lo, exec_lo, s1
	s_and_saveexec_b32 s1, s33
	s_xor_b32 s1, exec_lo, s1
	s_cbranch_execz .LBB57_105
; %bb.100:
	s_and_saveexec_b32 s1, s0
	s_delay_alu instid0(SALU_CYCLE_1)
	s_xor_b32 s0, exec_lo, s1
	s_cbranch_execnz .LBB57_125
; %bb.101:
	s_or_b32 exec_lo, exec_lo, s0
	s_delay_alu instid0(SALU_CYCLE_1)
	s_mov_b32 s0, exec_lo
	v_cmpx_gt_i32_e64 s11, v0
	s_cbranch_execnz .LBB57_126
.LBB57_102:
	s_or_b32 exec_lo, exec_lo, s0
	s_delay_alu instid0(SALU_CYCLE_1)
	s_mov_b32 s0, exec_lo
	v_cmpx_gt_i32_e64 s11, v0
	s_cbranch_execnz .LBB57_127
.LBB57_103:
	s_or_b32 exec_lo, exec_lo, s0
	s_delay_alu instid0(SALU_CYCLE_1)
	s_mov_b32 s0, exec_lo
	v_cmpx_gt_i32_e64 s11, v0
	s_cbranch_execz .LBB57_105
.LBB57_104:
	s_wait_loadcnt 0x1
	v_mov_b64_e32 v[2:3], 0
	v_add_nc_u32_e32 v0, s2, v0
	global_store_b64 v0, v[2:3], s[18:19] scale_offset
.LBB57_105:
	s_endpgm
.LBB57_106:
	s_wait_loadcnt 0x4
	v_cmp_eq_u64_e32 vcc_lo, s[4:5], v[40:41]
	s_mov_b32 s21, -1
	s_mov_b32 s1, 0
	s_mov_b32 s22, 0
	;; [unrolled: 1-line block ×4, first 2 shown]
	s_and_b32 s25, s43, vcc_lo
	s_delay_alu instid0(SALU_CYCLE_1)
	s_and_saveexec_b32 s42, s25
	s_cbranch_execz .LBB57_159
; %bb.107:
	s_wait_loadcnt 0x3
	v_cmp_eq_u64_e32 vcc_lo, s[8:9], v[36:37]
	s_and_b32 s24, s41, vcc_lo
	s_delay_alu instid0(SALU_CYCLE_1)
	s_and_saveexec_b32 s44, s24
	s_cbranch_execz .LBB57_158
; %bb.108:
	s_wait_loadcnt 0x1
	v_sub_nc_u64_e32 v[36:37], v[32:33], v[34:35]
	s_delay_alu instid0(VALU_DEP_1)
	v_cmp_le_i64_e32 vcc_lo, s[4:5], v[36:37]
	v_cmp_ge_i64_e64 s1, s[6:7], v[36:37]
	s_and_b32 s22, vcc_lo, s1
	s_mov_b32 s1, 0
	s_and_b32 s23, s40, s22
	s_mov_b32 s22, 0
	s_and_saveexec_b32 s45, s23
	s_cbranch_execz .LBB57_157
; %bb.109:
	v_cmp_lt_i64_e64 s1, s[8:9], 1
	v_mov_b64_e32 v[36:37], 0
	s_xor_b32 s21, s39, -1
	s_delay_alu instid0(SALU_CYCLE_1) | instskip(NEXT) | instid1(SALU_CYCLE_1)
	s_or_b32 s1, s1, s21
	s_and_b32 vcc_lo, exec_lo, s1
	s_cbranch_vccnz .LBB57_133
; %bb.110:
	s_wait_loadcnt 0x0
	v_mul_u64_e32 v[40:41], s[8:9], v[38:39]
	s_mov_b32 s23, 0
	v_mov_b64_e32 v[36:37], 0
	s_mov_b32 s21, s23
	v_mov_b32_e32 v38, 0
	s_lshl_b64 s[28:29], s[20:21], 3
	s_mov_b64 s[24:25], 0xffffffff
	s_add_nc_u64 s[26:27], s[12:13], s[28:29]
	s_add_nc_u64 s[28:29], s[14:15], s[28:29]
	s_mov_b32 s21, s10
	s_branch .LBB57_112
.LBB57_111:                             ;   in Loop: Header=BB57_112 Depth=1
	s_or_b32 exec_lo, exec_lo, s1
	s_delay_alu instid0(VALU_DEP_1)
	v_mul_u64_e32 v[44:45], s[30:31], v[42:43]
	s_load_b64 s[30:31], s[28:29], 0x0
	s_add_co_i32 s21, s21, -1
	s_add_nc_u64 s[26:27], s[26:27], -8
	s_cmp_eq_u32 s21, 0
	s_wait_xcnt 0x0
	s_add_nc_u64 s[28:29], s[28:29], -8
	s_delay_alu instid0(VALU_DEP_1) | instskip(SKIP_1) | instid1(VALU_DEP_1)
	v_sub_nc_u64_e32 v[40:41], v[40:41], v[44:45]
	s_wait_kmcnt 0x0
	v_mad_nc_u64_u32 v[36:37], v40, s30, v[36:37]
	s_delay_alu instid0(VALU_DEP_1) | instskip(NEXT) | instid1(VALU_DEP_1)
	v_mad_u32 v37, v41, s30, v37
	v_mad_u32 v37, v40, s31, v37
	v_mov_b64_e32 v[40:41], v[42:43]
	s_cbranch_scc1 .LBB57_133
.LBB57_112:                             ; =>This Inner Loop Header: Depth=1
	s_load_b64 s[30:31], s[26:27], 0x0
                                        ; implicit-def: $vgpr42_vgpr43
	s_mov_b32 s1, exec_lo
	s_wait_kmcnt 0x0
	s_delay_alu instid0(VALU_DEP_1) | instskip(NEXT) | instid1(VALU_DEP_1)
	v_or_b32_e32 v39, s31, v41
	v_cmpx_ne_u64_e32 0, v[38:39]
	s_xor_b32 s46, exec_lo, s1
	s_cbranch_execz .LBB57_114
; %bb.113:                              ;   in Loop: Header=BB57_112 Depth=1
	s_ashr_i32 s34, s31, 31
	v_dual_mov_b32 v47, v38 :: v_dual_ashrrev_i32 v42, 31, v41
	s_mov_b32 s35, s34
	v_mov_b32_e32 v55, v38
	s_add_nc_u64 s[36:37], s[30:31], s[34:35]
	s_delay_alu instid0(VALU_DEP_2) | instskip(SKIP_1) | instid1(SALU_CYCLE_1)
	v_mov_b32_e32 v43, v42
	s_xor_b64 s[36:37], s[36:37], s[34:35]
	s_cvt_f32_u32 s1, s36
	s_cvt_f32_u32 s22, s37
	s_sub_nc_u64 s[52:53], 0, s[36:37]
	v_add_nc_u64_e32 v[44:45], v[40:41], v[42:43]
	v_mov_b32_e32 v51, v38
	s_fmamk_f32 s1, s22, 0x4f800000, s1
	s_delay_alu instid0(SALU_CYCLE_3) | instskip(NEXT) | instid1(VALU_DEP_2)
	v_s_rcp_f32 s1, s1
	v_xor_b32_e32 v46, v44, v42
	s_delay_alu instid0(VALU_DEP_3) | instskip(NEXT) | instid1(TRANS32_DEP_1)
	v_xor_b32_e32 v50, v45, v42
	s_mul_f32 s1, s1, 0x5f7ffffc
	s_delay_alu instid0(SALU_CYCLE_3) | instskip(NEXT) | instid1(SALU_CYCLE_3)
	s_mul_f32 s22, s1, 0x2f800000
	s_trunc_f32 s22, s22
	s_delay_alu instid0(SALU_CYCLE_3) | instskip(SKIP_1) | instid1(SALU_CYCLE_2)
	s_fmamk_f32 s1, s22, 0xcf800000, s1
	s_cvt_u32_f32 s51, s22
	s_cvt_u32_f32 s50, s1
	s_delay_alu instid0(SALU_CYCLE_3) | instskip(NEXT) | instid1(SALU_CYCLE_1)
	s_mul_u64 s[54:55], s[52:53], s[50:51]
	s_mul_hi_u32 s57, s50, s55
	s_mul_i32 s56, s50, s55
	s_mul_hi_u32 s22, s50, s54
	s_mul_i32 s35, s51, s54
	s_add_nc_u64 s[56:57], s[22:23], s[56:57]
	s_mul_hi_u32 s1, s51, s54
	s_mul_hi_u32 s47, s51, s55
	s_add_co_u32 s22, s56, s35
	s_add_co_ci_u32 s22, s57, s1
	s_mul_i32 s54, s51, s55
	s_add_co_ci_u32 s55, s47, 0
	s_delay_alu instid0(SALU_CYCLE_1) | instskip(NEXT) | instid1(SALU_CYCLE_1)
	s_add_nc_u64 s[54:55], s[22:23], s[54:55]
	s_add_co_u32 s50, s50, s54
	s_cselect_b32 s1, -1, 0
	s_delay_alu instid0(SALU_CYCLE_1) | instskip(SKIP_1) | instid1(SALU_CYCLE_1)
	s_cmp_lg_u32 s1, 0
	s_add_co_ci_u32 s51, s51, s55
	s_mul_u64 s[52:53], s[52:53], s[50:51]
	s_delay_alu instid0(SALU_CYCLE_1)
	s_mul_hi_u32 s55, s50, s53
	s_mul_i32 s54, s50, s53
	s_mul_hi_u32 s22, s50, s52
	s_mul_i32 s35, s51, s52
	s_add_nc_u64 s[54:55], s[22:23], s[54:55]
	s_mul_hi_u32 s1, s51, s52
	s_mul_hi_u32 s47, s51, s53
	s_add_co_u32 s22, s54, s35
	s_add_co_ci_u32 s22, s55, s1
	s_mul_i32 s52, s51, s53
	s_add_co_ci_u32 s53, s47, 0
	s_delay_alu instid0(SALU_CYCLE_1) | instskip(NEXT) | instid1(SALU_CYCLE_1)
	s_add_nc_u64 s[52:53], s[22:23], s[52:53]
	s_add_co_u32 s50, s50, s52
	s_cselect_b32 s1, -1, 0
	v_mul_hi_u32 v54, v46, s50
	s_cmp_lg_u32 s1, 0
	s_add_co_ci_u32 s22, s51, s53
	s_and_b64 s[52:53], s[50:51], s[24:25]
	v_mul_u64_e32 v[48:49], s[22:23], v[46:47]
	v_mul_u64_e32 v[44:45], s[52:53], v[50:51]
	v_mul_u64_e32 v[52:53], s[22:23], v[50:51]
	s_delay_alu instid0(VALU_DEP_3) | instskip(NEXT) | instid1(VALU_DEP_1)
	v_add_nc_u64_e32 v[48:49], v[54:55], v[48:49]
	v_add_co_u32 v39, vcc_lo, v48, v44
	s_delay_alu instid0(VALU_DEP_2) | instskip(NEXT) | instid1(VALU_DEP_4)
	v_add_co_ci_u32_e32 v54, vcc_lo, v49, v45, vcc_lo
	v_add_co_ci_u32_e32 v53, vcc_lo, 0, v53, vcc_lo
	s_delay_alu instid0(VALU_DEP_1) | instskip(NEXT) | instid1(VALU_DEP_1)
	v_add_nc_u64_e32 v[44:45], v[54:55], v[52:53]
	v_mul_u64_e32 v[48:49], s[36:37], v[44:45]
	s_delay_alu instid0(VALU_DEP_1) | instskip(NEXT) | instid1(VALU_DEP_2)
	v_sub_nc_u32_e32 v39, v50, v49
	v_sub_co_u32 v43, vcc_lo, v46, v48
	s_delay_alu instid0(VALU_DEP_1) | instskip(NEXT) | instid1(VALU_DEP_3)
	v_sub_co_ci_u32_e64 v50, null, v50, v49, vcc_lo
	v_subrev_co_ci_u32_e64 v39, null, s37, v39, vcc_lo
	s_delay_alu instid0(VALU_DEP_3) | instskip(SKIP_1) | instid1(VALU_DEP_3)
	v_sub_co_u32 v46, s1, v43, s36
	v_add_nc_u64_e32 v[48:49], 1, v[44:45]
	v_subrev_co_ci_u32_e64 v39, null, 0, v39, s1
	s_delay_alu instid0(VALU_DEP_3) | instskip(SKIP_1) | instid1(VALU_DEP_3)
	v_cmp_le_u32_e32 vcc_lo, s36, v46
	v_cndmask_b32_e64 v46, 0, -1, vcc_lo
	v_cmp_le_u32_e32 vcc_lo, s37, v39
	v_cndmask_b32_e64 v47, 0, -1, vcc_lo
	;; [unrolled: 2-line block ×4, first 2 shown]
	v_cmp_eq_u32_e32 vcc_lo, s37, v39
	v_cndmask_b32_e32 v39, v47, v46, vcc_lo
	v_cmp_eq_u32_e32 vcc_lo, s37, v50
	v_add_nc_u64_e32 v[46:47], 2, v[44:45]
	v_cndmask_b32_e32 v43, v51, v43, vcc_lo
	s_delay_alu instid0(VALU_DEP_4) | instskip(NEXT) | instid1(VALU_DEP_2)
	v_cmp_ne_u32_e32 vcc_lo, 0, v39
	v_cmp_ne_u32_e64 s1, 0, v43
	s_delay_alu instid0(VALU_DEP_4) | instskip(NEXT) | instid1(VALU_DEP_1)
	v_dual_cndmask_b32 v39, v49, v47, vcc_lo :: v_dual_cndmask_b32 v43, v48, v46, vcc_lo
	v_dual_cndmask_b32 v39, v45, v39, s1 :: v_dual_bitop2_b32 v42, s34, v42 bitop3:0x14
	s_delay_alu instid0(VALU_DEP_1) | instskip(NEXT) | instid1(VALU_DEP_2)
	v_dual_cndmask_b32 v44, v44, v43, s1 :: v_dual_mov_b32 v43, v42
	v_xor_b32_e32 v45, v39, v42
	s_delay_alu instid0(VALU_DEP_2) | instskip(NEXT) | instid1(VALU_DEP_1)
	v_xor_b32_e32 v44, v44, v42
	v_sub_nc_u64_e32 v[42:43], v[44:45], v[42:43]
.LBB57_114:                             ;   in Loop: Header=BB57_112 Depth=1
	s_and_not1_saveexec_b32 s1, s46
	s_cbranch_execz .LBB57_111
; %bb.115:                              ;   in Loop: Header=BB57_112 Depth=1
	v_cvt_f32_u32_e32 v39, s30
	s_sub_co_i32 s22, 0, s30
	s_delay_alu instid0(VALU_DEP_1) | instskip(SKIP_1) | instid1(TRANS32_DEP_1)
	v_rcp_iflag_f32_e32 v39, v39
	v_nop
	v_mul_f32_e32 v39, 0x4f7ffffe, v39
	s_delay_alu instid0(VALU_DEP_1) | instskip(NEXT) | instid1(VALU_DEP_1)
	v_cvt_u32_f32_e32 v39, v39
	v_mul_lo_u32 v42, s22, v39
	s_delay_alu instid0(VALU_DEP_1) | instskip(NEXT) | instid1(VALU_DEP_1)
	v_mul_hi_u32 v42, v39, v42
	v_add_nc_u32_e32 v39, v39, v42
	s_delay_alu instid0(VALU_DEP_1) | instskip(NEXT) | instid1(VALU_DEP_1)
	v_mul_hi_u32 v39, v40, v39
	v_mul_lo_u32 v42, v39, s30
	s_delay_alu instid0(VALU_DEP_1) | instskip(NEXT) | instid1(VALU_DEP_1)
	v_dual_add_nc_u32 v43, 1, v39 :: v_dual_sub_nc_u32 v42, v40, v42
	v_subrev_nc_u32_e32 v44, s30, v42
	v_cmp_le_u32_e32 vcc_lo, s30, v42
	s_delay_alu instid0(VALU_DEP_2) | instskip(NEXT) | instid1(VALU_DEP_1)
	v_dual_cndmask_b32 v42, v42, v44 :: v_dual_cndmask_b32 v39, v39, v43
	v_cmp_le_u32_e32 vcc_lo, s30, v42
	s_delay_alu instid0(VALU_DEP_2) | instskip(NEXT) | instid1(VALU_DEP_1)
	v_add_nc_u32_e32 v43, 1, v39
	v_dual_cndmask_b32 v42, v39, v43 :: v_dual_mov_b32 v43, v38
	s_branch .LBB57_111
.LBB57_116:
	s_wait_loadcnt 0x1
	v_sub_nc_u64_e32 v[8:9], v[2:3], v[4:5]
	s_mov_b32 s21, exec_lo
	s_delay_alu instid0(VALU_DEP_1) | instskip(SKIP_3) | instid1(SALU_CYCLE_1)
	v_cmp_le_i64_e32 vcc_lo, s[4:5], v[8:9]
	v_cmp_ge_i64_e64 s1, s[6:7], v[8:9]
	s_and_not1_b32 s4, s44, exec_lo
	s_and_b32 s1, vcc_lo, s1
	s_and_b32 s1, s40, s1
	s_delay_alu instid0(SALU_CYCLE_1) | instskip(NEXT) | instid1(SALU_CYCLE_1)
	s_xor_b32 s1, s1, -1
	s_and_b32 s1, s1, exec_lo
	s_delay_alu instid0(SALU_CYCLE_1)
	s_or_b32 s44, s4, s1
	s_or_b32 exec_lo, exec_lo, s22
	s_and_saveexec_b32 s1, s44
	s_cbranch_execz .LBB57_94
.LBB57_117:
	s_or_b32 s3, s3, exec_lo
	s_and_not1_b32 s21, s21, exec_lo
	s_trap 2
	s_or_b32 exec_lo, exec_lo, s1
	s_and_saveexec_b32 s24, s21
	s_cbranch_execz .LBB57_95
.LBB57_118:
	v_cmp_lt_i64_e64 s1, s[8:9], 1
	s_wait_loadcnt 0x3
	v_mov_b64_e32 v[8:9], 0
	s_xor_b32 s4, s39, -1
	s_delay_alu instid0(SALU_CYCLE_1) | instskip(NEXT) | instid1(SALU_CYCLE_1)
	s_or_b32 s1, s1, s4
	s_and_b32 vcc_lo, exec_lo, s1
	s_cbranch_vccnz .LBB57_128
; %bb.119:
	s_wait_loadcnt 0x0
	v_mul_u64_e32 v[10:11], s[8:9], v[6:7]
	v_mov_b64_e32 v[8:9], 0
	s_mov_b32 s21, 0
	v_mov_b32_e32 v6, 0
	s_lshl_b64 s[8:9], s[20:21], 3
	s_mov_b64 s[4:5], 0xffffffff
	s_add_nc_u64 s[6:7], s[12:13], s[8:9]
	s_add_nc_u64 s[8:9], s[14:15], s[8:9]
	s_branch .LBB57_121
.LBB57_120:                             ;   in Loop: Header=BB57_121 Depth=1
	s_or_b32 exec_lo, exec_lo, s1
	s_delay_alu instid0(VALU_DEP_1)
	v_mul_u64_e32 v[14:15], s[12:13], v[12:13]
	s_load_b64 s[12:13], s[8:9], 0x0
	s_add_co_i32 s10, s10, -1
	s_add_nc_u64 s[6:7], s[6:7], -8
	s_cmp_lg_u32 s10, 0
	s_wait_xcnt 0x0
	s_add_nc_u64 s[8:9], s[8:9], -8
	s_delay_alu instid0(VALU_DEP_1) | instskip(SKIP_1) | instid1(VALU_DEP_1)
	v_sub_nc_u64_e32 v[10:11], v[10:11], v[14:15]
	s_wait_kmcnt 0x0
	v_mad_nc_u64_u32 v[8:9], v10, s12, v[8:9]
	s_delay_alu instid0(VALU_DEP_1) | instskip(NEXT) | instid1(VALU_DEP_1)
	v_mad_u32 v7, v11, s12, v9
	v_mad_u32 v9, v10, s13, v7
	v_mov_b64_e32 v[10:11], v[12:13]
	s_cbranch_scc0 .LBB57_128
.LBB57_121:                             ; =>This Inner Loop Header: Depth=1
	s_load_b64 s[12:13], s[6:7], 0x0
                                        ; implicit-def: $vgpr12_vgpr13
	s_mov_b32 s1, exec_lo
	s_wait_kmcnt 0x0
	s_delay_alu instid0(VALU_DEP_1) | instskip(NEXT) | instid1(VALU_DEP_1)
	v_or_b32_e32 v7, s13, v11
	v_cmpx_ne_u64_e32 0, v[6:7]
	s_xor_b32 s25, exec_lo, s1
	s_cbranch_execz .LBB57_123
; %bb.122:                              ;   in Loop: Header=BB57_121 Depth=1
	s_ashr_i32 s14, s13, 31
	v_dual_mov_b32 v17, v6 :: v_dual_ashrrev_i32 v12, 31, v11
	s_mov_b32 s15, s14
	s_delay_alu instid0(SALU_CYCLE_1) | instskip(NEXT) | instid1(VALU_DEP_1)
	s_add_nc_u64 s[22:23], s[12:13], s[14:15]
	v_mov_b32_e32 v13, v12
	s_xor_b64 s[22:23], s[22:23], s[14:15]
	s_delay_alu instid0(SALU_CYCLE_1)
	s_cvt_f32_u32 s1, s22
	s_cvt_f32_u32 s15, s23
	s_sub_nc_u64 s[28:29], 0, s[22:23]
	v_add_nc_u64_e32 v[14:15], v[10:11], v[12:13]
	v_mov_b32_e32 v21, v6
	s_fmamk_f32 s1, s15, 0x4f800000, s1
	s_delay_alu instid0(SALU_CYCLE_3) | instskip(NEXT) | instid1(VALU_DEP_2)
	v_s_rcp_f32 s1, s1
	v_xor_b32_e32 v16, v14, v12
	s_delay_alu instid0(VALU_DEP_3) | instskip(SKIP_1) | instid1(TRANS32_DEP_1)
	v_dual_mov_b32 v25, v6 :: v_dual_bitop2_b32 v20, v15, v12 bitop3:0x14
	v_xor_b32_e32 v12, s14, v12
	s_mul_f32 s1, s1, 0x5f7ffffc
	s_delay_alu instid0(SALU_CYCLE_3) | instskip(NEXT) | instid1(SALU_CYCLE_3)
	s_mul_f32 s15, s1, 0x2f800000
	s_trunc_f32 s15, s15
	s_delay_alu instid0(SALU_CYCLE_3) | instskip(SKIP_1) | instid1(SALU_CYCLE_2)
	s_fmamk_f32 s1, s15, 0xcf800000, s1
	s_cvt_u32_f32 s27, s15
	s_cvt_u32_f32 s26, s1
	s_delay_alu instid0(SALU_CYCLE_3) | instskip(NEXT) | instid1(SALU_CYCLE_1)
	s_mul_u64 s[30:31], s[28:29], s[26:27]
	s_mul_hi_u32 s35, s26, s31
	s_mul_i32 s34, s26, s31
	s_mul_hi_u32 s20, s26, s30
	s_mul_i32 s15, s27, s30
	s_add_nc_u64 s[34:35], s[20:21], s[34:35]
	s_mul_hi_u32 s1, s27, s30
	s_mul_hi_u32 s36, s27, s31
	s_add_co_u32 s15, s34, s15
	s_add_co_ci_u32 s20, s35, s1
	s_mul_i32 s30, s27, s31
	s_add_co_ci_u32 s31, s36, 0
	s_delay_alu instid0(SALU_CYCLE_1) | instskip(NEXT) | instid1(SALU_CYCLE_1)
	s_add_nc_u64 s[30:31], s[20:21], s[30:31]
	s_add_co_u32 s26, s26, s30
	s_cselect_b32 s1, -1, 0
	s_delay_alu instid0(SALU_CYCLE_1) | instskip(SKIP_1) | instid1(SALU_CYCLE_1)
	s_cmp_lg_u32 s1, 0
	s_add_co_ci_u32 s27, s27, s31
	s_mul_u64 s[28:29], s[28:29], s[26:27]
	s_delay_alu instid0(SALU_CYCLE_1)
	s_mul_hi_u32 s31, s26, s29
	s_mul_i32 s30, s26, s29
	s_mul_hi_u32 s20, s26, s28
	s_mul_i32 s15, s27, s28
	s_add_nc_u64 s[30:31], s[20:21], s[30:31]
	s_mul_hi_u32 s1, s27, s28
	s_mul_hi_u32 s34, s27, s29
	s_add_co_u32 s15, s30, s15
	s_add_co_ci_u32 s20, s31, s1
	s_mul_i32 s28, s27, s29
	s_add_co_ci_u32 s29, s34, 0
	s_delay_alu instid0(SALU_CYCLE_1) | instskip(NEXT) | instid1(SALU_CYCLE_1)
	s_add_nc_u64 s[28:29], s[20:21], s[28:29]
	s_add_co_u32 s26, s26, s28
	s_cselect_b32 s1, -1, 0
	v_mul_hi_u32 v24, v16, s26
	s_cmp_lg_u32 s1, 0
	s_add_co_ci_u32 s20, s27, s29
	s_and_b64 s[28:29], s[26:27], s[4:5]
	v_mul_u64_e32 v[18:19], s[20:21], v[16:17]
	v_mul_u64_e32 v[14:15], s[28:29], v[20:21]
	v_mul_u64_e32 v[22:23], s[20:21], v[20:21]
	s_delay_alu instid0(VALU_DEP_3) | instskip(NEXT) | instid1(VALU_DEP_1)
	v_add_nc_u64_e32 v[18:19], v[24:25], v[18:19]
	v_add_co_u32 v7, vcc_lo, v18, v14
	s_delay_alu instid0(VALU_DEP_2) | instskip(NEXT) | instid1(VALU_DEP_4)
	v_add_co_ci_u32_e32 v24, vcc_lo, v19, v15, vcc_lo
	v_add_co_ci_u32_e32 v23, vcc_lo, 0, v23, vcc_lo
	s_delay_alu instid0(VALU_DEP_1) | instskip(NEXT) | instid1(VALU_DEP_1)
	v_add_nc_u64_e32 v[14:15], v[24:25], v[22:23]
	v_mul_u64_e32 v[18:19], s[22:23], v[14:15]
	s_delay_alu instid0(VALU_DEP_1) | instskip(NEXT) | instid1(VALU_DEP_2)
	v_sub_nc_u32_e32 v7, v20, v19
	v_sub_co_u32 v13, vcc_lo, v16, v18
	s_delay_alu instid0(VALU_DEP_1) | instskip(NEXT) | instid1(VALU_DEP_3)
	v_sub_co_ci_u32_e64 v20, null, v20, v19, vcc_lo
	v_subrev_co_ci_u32_e64 v7, null, s23, v7, vcc_lo
	s_delay_alu instid0(VALU_DEP_3) | instskip(SKIP_1) | instid1(VALU_DEP_3)
	v_sub_co_u32 v16, s1, v13, s22
	v_add_nc_u64_e32 v[18:19], 1, v[14:15]
	v_subrev_co_ci_u32_e64 v7, null, 0, v7, s1
	s_delay_alu instid0(VALU_DEP_3) | instskip(SKIP_1) | instid1(VALU_DEP_3)
	v_cmp_le_u32_e32 vcc_lo, s22, v16
	v_cndmask_b32_e64 v16, 0, -1, vcc_lo
	v_cmp_le_u32_e32 vcc_lo, s23, v7
	v_cndmask_b32_e64 v17, 0, -1, vcc_lo
	;; [unrolled: 2-line block ×4, first 2 shown]
	v_cmp_eq_u32_e32 vcc_lo, s23, v7
	v_cndmask_b32_e32 v7, v17, v16, vcc_lo
	v_cmp_eq_u32_e32 vcc_lo, s23, v20
	v_add_nc_u64_e32 v[16:17], 2, v[14:15]
	v_cndmask_b32_e32 v13, v21, v13, vcc_lo
	s_delay_alu instid0(VALU_DEP_4) | instskip(NEXT) | instid1(VALU_DEP_2)
	v_cmp_ne_u32_e32 vcc_lo, 0, v7
	v_cmp_ne_u32_e64 s1, 0, v13
	s_delay_alu instid0(VALU_DEP_4) | instskip(NEXT) | instid1(VALU_DEP_1)
	v_dual_cndmask_b32 v7, v19, v17, vcc_lo :: v_dual_cndmask_b32 v13, v18, v16, vcc_lo
	v_dual_cndmask_b32 v14, v14, v13, s1 :: v_dual_mov_b32 v13, v12
	s_delay_alu instid0(VALU_DEP_1) | instskip(NEXT) | instid1(VALU_DEP_1)
	v_dual_cndmask_b32 v7, v15, v7, s1 :: v_dual_bitop2_b32 v14, v14, v12 bitop3:0x14
	v_xor_b32_e32 v15, v7, v12
	s_delay_alu instid0(VALU_DEP_1)
	v_sub_nc_u64_e32 v[12:13], v[14:15], v[12:13]
.LBB57_123:                             ;   in Loop: Header=BB57_121 Depth=1
	s_and_not1_saveexec_b32 s1, s25
	s_cbranch_execz .LBB57_120
; %bb.124:                              ;   in Loop: Header=BB57_121 Depth=1
	v_cvt_f32_u32_e32 v7, s12
	s_sub_co_i32 s14, 0, s12
	s_delay_alu instid0(VALU_DEP_1) | instskip(SKIP_1) | instid1(TRANS32_DEP_1)
	v_rcp_iflag_f32_e32 v7, v7
	v_nop
	v_mul_f32_e32 v7, 0x4f7ffffe, v7
	s_delay_alu instid0(VALU_DEP_1) | instskip(NEXT) | instid1(VALU_DEP_1)
	v_cvt_u32_f32_e32 v7, v7
	v_mul_lo_u32 v12, s14, v7
	s_delay_alu instid0(VALU_DEP_1) | instskip(NEXT) | instid1(VALU_DEP_1)
	v_mul_hi_u32 v12, v7, v12
	v_add_nc_u32_e32 v7, v7, v12
	s_delay_alu instid0(VALU_DEP_1) | instskip(NEXT) | instid1(VALU_DEP_1)
	v_mul_hi_u32 v7, v10, v7
	v_mul_lo_u32 v12, v7, s12
	s_delay_alu instid0(VALU_DEP_1) | instskip(NEXT) | instid1(VALU_DEP_1)
	v_dual_add_nc_u32 v13, 1, v7 :: v_dual_sub_nc_u32 v12, v10, v12
	v_subrev_nc_u32_e32 v14, s12, v12
	v_cmp_le_u32_e32 vcc_lo, s12, v12
	s_delay_alu instid0(VALU_DEP_2) | instskip(NEXT) | instid1(VALU_DEP_1)
	v_dual_cndmask_b32 v12, v12, v14 :: v_dual_cndmask_b32 v7, v7, v13
	v_cmp_le_u32_e32 vcc_lo, s12, v12
	s_delay_alu instid0(VALU_DEP_2) | instskip(NEXT) | instid1(VALU_DEP_1)
	v_add_nc_u32_e32 v13, 1, v7
	v_dual_cndmask_b32 v12, v7, v13 :: v_dual_mov_b32 v13, v6
	s_branch .LBB57_120
.LBB57_125:
	s_wait_loadcnt 0x1
	v_mov_b64_e32 v[2:3], 0
	v_dual_mov_b32 v0, v1 :: v_dual_bitop2_b32 v4, s2, v0 bitop3:0x54
	global_store_b64 v4, v[2:3], s[18:19] scale_offset
	s_wait_xcnt 0x0
	s_or_b32 exec_lo, exec_lo, s0
	s_delay_alu instid0(SALU_CYCLE_1)
	s_mov_b32 s0, exec_lo
	v_cmpx_gt_i32_e64 s11, v0
	s_cbranch_execz .LBB57_102
.LBB57_126:
	s_wait_loadcnt 0x1
	v_mov_b64_e32 v[2:3], 0
	v_add_nc_u32_e32 v1, s2, v0
	v_add_nc_u32_e32 v0, 0x100, v0
	global_store_b64 v1, v[2:3], s[18:19] scale_offset
	s_wait_xcnt 0x0
	s_or_b32 exec_lo, exec_lo, s0
	s_delay_alu instid0(SALU_CYCLE_1)
	s_mov_b32 s0, exec_lo
	v_cmpx_gt_i32_e64 s11, v0
	s_cbranch_execz .LBB57_103
.LBB57_127:
	s_wait_loadcnt 0x1
	v_mov_b64_e32 v[2:3], 0
	v_add_nc_u32_e32 v1, s2, v0
	v_add_nc_u32_e32 v0, 0x100, v0
	global_store_b64 v1, v[2:3], s[18:19] scale_offset
	s_wait_xcnt 0x0
	s_or_b32 exec_lo, exec_lo, s0
	s_delay_alu instid0(SALU_CYCLE_1)
	s_mov_b32 s0, exec_lo
	v_cmpx_gt_i32_e64 s11, v0
	s_cbranch_execnz .LBB57_104
	s_branch .LBB57_105
.LBB57_128:
	s_mov_b32 s4, s42
	s_mov_b32 s1, exec_lo
	s_wait_loadcnt 0x1
	v_cmpx_gt_i64_e64 v[2:3], v[4:5]
	s_cbranch_execz .LBB57_139
; %bb.129:
	s_wait_loadcnt 0x0
	s_delay_alu instid0(VALU_DEP_2) | instskip(SKIP_2) | instid1(VALU_DEP_1)
	v_lshlrev_b64_e32 v[6:7], 3, v[8:9]
	s_mov_b32 s4, 0
	s_xor_b32 s6, s38, -1
                                        ; implicit-def: $sgpr5
                                        ; implicit-def: $sgpr8
                                        ; implicit-def: $sgpr7
	v_lshl_add_u64 v[4:5], v[4:5], 3, v[6:7]
	v_add_nc_u64_e32 v[6:7], s[16:17], v[6:7]
	s_delay_alu instid0(VALU_DEP_2) | instskip(NEXT) | instid1(VALU_DEP_2)
	v_add_nc_u64_e32 v[4:5], s[16:17], v[4:5]
	v_lshl_add_u64 v[2:3], v[2:3], 3, v[6:7]
	s_delay_alu instid0(VALU_DEP_2)
	v_add_nc_u64_e32 v[4:5], 8, v[4:5]
	s_branch .LBB57_131
.LBB57_130:                             ;   in Loop: Header=BB57_131 Depth=1
	s_or_b32 exec_lo, exec_lo, s9
	s_xor_b32 s9, s7, -1
	s_and_b32 s10, exec_lo, s8
	s_delay_alu instid0(SALU_CYCLE_1) | instskip(SKIP_2) | instid1(SALU_CYCLE_1)
	s_or_b32 s4, s10, s4
	s_and_not1_b32 s5, s5, exec_lo
	s_and_b32 s9, s9, exec_lo
	s_or_b32 s5, s5, s9
	s_and_not1_b32 exec_lo, exec_lo, s4
	s_cbranch_execz .LBB57_138
.LBB57_131:                             ; =>This Inner Loop Header: Depth=1
	s_or_b32 s7, s7, exec_lo
	s_or_b32 s8, s8, exec_lo
	s_mov_b32 s9, exec_lo
	s_delay_alu instid0(VALU_DEP_1)
	v_cmpx_lt_u64_e64 v[4:5], v[2:3]
	s_cbranch_execz .LBB57_130
; %bb.132:                              ;   in Loop: Header=BB57_131 Depth=1
	global_load_b128 v[6:9], v[4:5], off offset:-8
	s_wait_xcnt 0x0
	v_add_nc_u64_e32 v[4:5], 8, v[4:5]
	s_and_not1_b32 s8, s8, exec_lo
	s_and_not1_b32 s7, s7, exec_lo
	s_wait_loadcnt 0x0
	v_cmp_ge_i64_e32 vcc_lo, v[6:7], v[8:9]
	s_or_b32 s10, s6, vcc_lo
	s_delay_alu instid0(SALU_CYCLE_1) | instskip(NEXT) | instid1(SALU_CYCLE_1)
	s_and_b32 s10, s10, exec_lo
	s_or_b32 s8, s8, s10
	s_branch .LBB57_130
.LBB57_133:
	s_mov_b32 s23, -1
	s_mov_b32 s21, 0
	s_mov_b32 s1, exec_lo
	v_cmpx_gt_i64_e64 v[32:33], v[34:35]
	s_cbranch_execz .LBB57_156
; %bb.134:
	s_delay_alu instid0(VALU_DEP_2) | instskip(SKIP_1) | instid1(VALU_DEP_1)
	v_lshlrev_b64_e32 v[36:37], 3, v[36:37]
	s_xor_b32 s23, s38, -1
                                        ; implicit-def: $sgpr22
                                        ; implicit-def: $sgpr25
                                        ; implicit-def: $sgpr24
	v_lshl_add_u64 v[34:35], v[34:35], 3, v[36:37]
	v_add_nc_u64_e32 v[36:37], s[16:17], v[36:37]
	s_delay_alu instid0(VALU_DEP_2) | instskip(NEXT) | instid1(VALU_DEP_2)
	v_add_nc_u64_e32 v[34:35], s[16:17], v[34:35]
	v_lshl_add_u64 v[32:33], v[32:33], 3, v[36:37]
	s_delay_alu instid0(VALU_DEP_2)
	v_add_nc_u64_e32 v[34:35], 8, v[34:35]
	s_branch .LBB57_136
.LBB57_135:                             ;   in Loop: Header=BB57_136 Depth=1
	s_or_b32 exec_lo, exec_lo, s26
	s_delay_alu instid0(SALU_CYCLE_1) | instskip(NEXT) | instid1(SALU_CYCLE_1)
	s_and_b32 s26, exec_lo, s25
	s_or_b32 s21, s26, s21
	s_and_not1_b32 s22, s22, exec_lo
	s_and_b32 s26, s24, exec_lo
	s_delay_alu instid0(SALU_CYCLE_1)
	s_or_b32 s22, s22, s26
	s_and_not1_b32 exec_lo, exec_lo, s21
	s_cbranch_execz .LBB57_155
.LBB57_136:                             ; =>This Inner Loop Header: Depth=1
	s_or_b32 s24, s24, exec_lo
	s_or_b32 s25, s25, exec_lo
	s_mov_b32 s26, exec_lo
	s_delay_alu instid0(VALU_DEP_1)
	v_cmpx_lt_u64_e64 v[34:35], v[32:33]
	s_cbranch_execz .LBB57_135
; %bb.137:                              ;   in Loop: Header=BB57_136 Depth=1
	s_wait_loadcnt 0x0
	global_load_b128 v[36:39], v[34:35], off offset:-8
	s_wait_xcnt 0x0
	v_add_nc_u64_e32 v[34:35], 8, v[34:35]
	s_and_not1_b32 s25, s25, exec_lo
	s_and_not1_b32 s24, s24, exec_lo
	s_wait_loadcnt 0x0
	v_cmp_ge_i64_e32 vcc_lo, v[36:37], v[38:39]
	s_or_b32 s27, s23, vcc_lo
	s_delay_alu instid0(SALU_CYCLE_1) | instskip(NEXT) | instid1(SALU_CYCLE_1)
	s_and_b32 s27, s27, exec_lo
	s_or_b32 s25, s25, s27
	s_branch .LBB57_135
.LBB57_138:
	s_or_b32 exec_lo, exec_lo, s4
	s_delay_alu instid0(SALU_CYCLE_1) | instskip(SKIP_1) | instid1(SALU_CYCLE_1)
	s_and_not1_b32 s4, s42, exec_lo
	s_and_b32 s5, s5, exec_lo
	s_or_b32 s4, s4, s5
.LBB57_139:
	s_or_b32 exec_lo, exec_lo, s1
	s_delay_alu instid0(SALU_CYCLE_1)
	s_and_not1_b32 s1, s42, exec_lo
	s_and_b32 s4, s4, exec_lo
	s_or_b32 s33, s33, exec_lo
	s_or_b32 s42, s1, s4
	s_or_b32 exec_lo, exec_lo, s24
	s_and_saveexec_b32 s1, s42
	s_cbranch_execz .LBB57_96
.LBB57_140:
	s_and_not1_b32 s33, s33, exec_lo
	s_or_b32 s3, s3, exec_lo
	s_trap 2
	s_or_b32 exec_lo, exec_lo, s1
	s_and_saveexec_b32 s1, s3
	s_cbranch_execnz .LBB57_98
	s_branch .LBB57_99
.LBB57_141:
	s_wait_loadcnt 0x0
	v_sub_nc_u64_e32 v[2:3], v[8:9], v[16:17]
	s_and_not1_b32 s37, s37, exec_lo
	s_mov_b32 s38, exec_lo
	s_delay_alu instid0(VALU_DEP_1) | instskip(SKIP_2) | instid1(SALU_CYCLE_1)
	v_cmp_gt_i64_e32 vcc_lo, s[4:5], v[2:3]
	v_cmp_lt_i64_e64 s0, s[6:7], v[2:3]
	s_or_b32 s0, vcc_lo, s0
	s_and_b32 s0, s0, exec_lo
	s_delay_alu instid0(SALU_CYCLE_1)
	s_or_b32 s37, s37, s0
	s_or_b32 exec_lo, exec_lo, s39
	s_and_saveexec_b32 s0, s37
	s_cbranch_execz .LBB57_69
.LBB57_142:
	s_or_b32 s3, s3, exec_lo
	s_and_not1_b32 s38, s38, exec_lo
	s_trap 2
	s_or_b32 exec_lo, exec_lo, s0
	s_mov_b32 s0, 0
	s_and_saveexec_b32 s53, s38
	s_cbranch_execz .LBB57_70
.LBB57_143:
	s_wait_loadcnt 0x2
	v_mov_b64_e32 v[2:3], 0
	s_and_not1_b32 vcc_lo, exec_lo, s52
	s_cbranch_vccnz .LBB57_150
; %bb.144:
	s_wait_loadcnt 0x0
	v_mul_u64_e32 v[6:7], s[8:9], v[24:25]
	v_mov_b64_e32 v[2:3], 0
	s_mov_b32 s37, 0
	v_mov_b32_e32 v4, 0
	s_lshl_b64 s[42:43], s[36:37], 3
	s_mov_b64 s[38:39], 0xffffffff
	s_add_nc_u64 s[40:41], s[12:13], s[42:43]
	s_add_nc_u64 s[42:43], s[14:15], s[42:43]
	s_branch .LBB57_146
.LBB57_145:                             ;   in Loop: Header=BB57_146 Depth=1
	s_or_b32 exec_lo, exec_lo, s0
	s_delay_alu instid0(VALU_DEP_1)
	v_mul_u64_e32 v[12:13], s[44:45], v[10:11]
	s_load_b64 s[44:45], s[42:43], 0x0
	s_add_co_i32 s55, s55, -1
	s_add_nc_u64 s[40:41], s[40:41], -8
	s_cmp_lg_u32 s55, 0
	s_wait_xcnt 0x0
	s_add_nc_u64 s[42:43], s[42:43], -8
	s_delay_alu instid0(VALU_DEP_1) | instskip(SKIP_1) | instid1(VALU_DEP_1)
	v_sub_nc_u64_e32 v[6:7], v[6:7], v[12:13]
	s_wait_kmcnt 0x0
	v_mad_nc_u64_u32 v[2:3], v6, s44, v[2:3]
	s_delay_alu instid0(VALU_DEP_1) | instskip(NEXT) | instid1(VALU_DEP_1)
	v_mad_u32 v1, v7, s44, v3
	v_mad_u32 v3, v6, s45, v1
	v_mov_b64_e32 v[6:7], v[10:11]
	s_cbranch_scc0 .LBB57_150
.LBB57_146:                             ; =>This Inner Loop Header: Depth=1
	s_load_b64 s[44:45], s[40:41], 0x0
                                        ; implicit-def: $vgpr10_vgpr11
	s_mov_b32 s0, exec_lo
	s_wait_kmcnt 0x0
	s_delay_alu instid0(VALU_DEP_1) | instskip(NEXT) | instid1(VALU_DEP_1)
	v_or_b32_e32 v5, s45, v7
	v_cmpx_ne_u64_e32 0, v[4:5]
	s_xor_b32 s52, exec_lo, s0
	s_cbranch_execz .LBB57_148
; %bb.147:                              ;   in Loop: Header=BB57_146 Depth=1
	s_ashr_i32 s46, s45, 31
	v_dual_mov_b32 v15, v4 :: v_dual_ashrrev_i32 v10, 31, v7
	s_mov_b32 s47, s46
	v_mov_b32_e32 v25, v4
	s_add_nc_u64 s[48:49], s[44:45], s[46:47]
	s_delay_alu instid0(VALU_DEP_2) | instskip(SKIP_1) | instid1(SALU_CYCLE_1)
	v_mov_b32_e32 v11, v10
	s_xor_b64 s[48:49], s[48:49], s[46:47]
	s_cvt_f32_u32 s0, s48
	s_cvt_f32_u32 s36, s49
	s_sub_nc_u64 s[58:59], 0, s[48:49]
	v_add_nc_u64_e32 v[12:13], v[6:7], v[10:11]
	v_mov_b32_e32 v21, v4
	s_fmamk_f32 s0, s36, 0x4f800000, s0
	s_delay_alu instid0(SALU_CYCLE_3) | instskip(NEXT) | instid1(VALU_DEP_2)
	v_s_rcp_f32 s0, s0
	v_xor_b32_e32 v14, v12, v10
	s_delay_alu instid0(VALU_DEP_3) | instskip(NEXT) | instid1(TRANS32_DEP_1)
	v_xor_b32_e32 v20, v13, v10
	s_mul_f32 s0, s0, 0x5f7ffffc
	s_delay_alu instid0(SALU_CYCLE_3) | instskip(NEXT) | instid1(SALU_CYCLE_3)
	s_mul_f32 s36, s0, 0x2f800000
	s_trunc_f32 s36, s36
	s_delay_alu instid0(SALU_CYCLE_3) | instskip(SKIP_1) | instid1(SALU_CYCLE_2)
	s_fmamk_f32 s0, s36, 0xcf800000, s0
	s_cvt_u32_f32 s57, s36
	s_cvt_u32_f32 s56, s0
	s_delay_alu instid0(SALU_CYCLE_3) | instskip(NEXT) | instid1(SALU_CYCLE_1)
	s_mul_u64 s[60:61], s[58:59], s[56:57]
	s_mul_hi_u32 s63, s56, s61
	s_mul_i32 s62, s56, s61
	s_mul_hi_u32 s36, s56, s60
	s_mul_i32 s47, s57, s60
	s_add_nc_u64 s[62:63], s[36:37], s[62:63]
	s_mul_hi_u32 s0, s57, s60
	s_mul_hi_u32 s64, s57, s61
	s_add_co_u32 s36, s62, s47
	s_add_co_ci_u32 s36, s63, s0
	s_mul_i32 s60, s57, s61
	s_add_co_ci_u32 s61, s64, 0
	s_delay_alu instid0(SALU_CYCLE_1) | instskip(NEXT) | instid1(SALU_CYCLE_1)
	s_add_nc_u64 s[60:61], s[36:37], s[60:61]
	s_add_co_u32 s56, s56, s60
	s_cselect_b32 s0, -1, 0
	s_delay_alu instid0(SALU_CYCLE_1) | instskip(SKIP_1) | instid1(SALU_CYCLE_1)
	s_cmp_lg_u32 s0, 0
	s_add_co_ci_u32 s57, s57, s61
	s_mul_u64 s[58:59], s[58:59], s[56:57]
	s_delay_alu instid0(SALU_CYCLE_1)
	s_mul_hi_u32 s61, s56, s59
	s_mul_i32 s60, s56, s59
	s_mul_hi_u32 s36, s56, s58
	s_mul_i32 s47, s57, s58
	s_add_nc_u64 s[60:61], s[36:37], s[60:61]
	s_mul_hi_u32 s0, s57, s58
	s_mul_hi_u32 s62, s57, s59
	s_add_co_u32 s36, s60, s47
	s_add_co_ci_u32 s36, s61, s0
	s_mul_i32 s58, s57, s59
	s_add_co_ci_u32 s59, s62, 0
	s_delay_alu instid0(SALU_CYCLE_1) | instskip(NEXT) | instid1(SALU_CYCLE_1)
	s_add_nc_u64 s[58:59], s[36:37], s[58:59]
	s_add_co_u32 s0, s56, s58
	s_cselect_b32 s36, -1, 0
	v_mul_hi_u32 v24, v14, s0
	s_cmp_lg_u32 s36, 0
	s_add_co_ci_u32 s36, s57, s59
	s_and_b64 s[56:57], s[0:1], s[38:39]
	v_mul_u64_e32 v[18:19], s[36:37], v[14:15]
	v_mul_u64_e32 v[12:13], s[56:57], v[20:21]
	;; [unrolled: 1-line block ×3, first 2 shown]
	s_delay_alu instid0(VALU_DEP_3) | instskip(NEXT) | instid1(VALU_DEP_1)
	v_add_nc_u64_e32 v[18:19], v[24:25], v[18:19]
	v_add_co_u32 v1, vcc_lo, v18, v12
	s_delay_alu instid0(VALU_DEP_2) | instskip(NEXT) | instid1(VALU_DEP_4)
	v_add_co_ci_u32_e32 v24, vcc_lo, v19, v13, vcc_lo
	v_add_co_ci_u32_e32 v23, vcc_lo, 0, v23, vcc_lo
	s_delay_alu instid0(VALU_DEP_1) | instskip(NEXT) | instid1(VALU_DEP_1)
	v_add_nc_u64_e32 v[12:13], v[24:25], v[22:23]
	v_mul_u64_e32 v[18:19], s[48:49], v[12:13]
	s_delay_alu instid0(VALU_DEP_1) | instskip(NEXT) | instid1(VALU_DEP_2)
	v_sub_nc_u32_e32 v1, v20, v19
	v_sub_co_u32 v5, vcc_lo, v14, v18
	s_delay_alu instid0(VALU_DEP_1) | instskip(NEXT) | instid1(VALU_DEP_3)
	v_sub_co_ci_u32_e64 v20, null, v20, v19, vcc_lo
	v_subrev_co_ci_u32_e64 v1, null, s49, v1, vcc_lo
	s_delay_alu instid0(VALU_DEP_3) | instskip(SKIP_1) | instid1(VALU_DEP_3)
	v_sub_co_u32 v11, s0, v5, s48
	v_add_nc_u64_e32 v[18:19], 1, v[12:13]
	v_subrev_co_ci_u32_e64 v1, null, 0, v1, s0
	s_delay_alu instid0(VALU_DEP_3) | instskip(SKIP_1) | instid1(VALU_DEP_3)
	v_cmp_le_u32_e32 vcc_lo, s48, v11
	v_cndmask_b32_e64 v11, 0, -1, vcc_lo
	v_cmp_le_u32_e32 vcc_lo, s49, v1
	v_cndmask_b32_e64 v14, 0, -1, vcc_lo
	;; [unrolled: 2-line block ×4, first 2 shown]
	v_cmp_eq_u32_e32 vcc_lo, s49, v1
	v_cndmask_b32_e32 v1, v14, v11, vcc_lo
	v_cmp_eq_u32_e32 vcc_lo, s49, v20
	v_add_nc_u64_e32 v[14:15], 2, v[12:13]
	v_cndmask_b32_e32 v5, v21, v5, vcc_lo
	s_delay_alu instid0(VALU_DEP_4) | instskip(NEXT) | instid1(VALU_DEP_2)
	v_cmp_ne_u32_e32 vcc_lo, 0, v1
	v_cmp_ne_u32_e64 s0, 0, v5
	s_delay_alu instid0(VALU_DEP_4) | instskip(NEXT) | instid1(VALU_DEP_1)
	v_dual_cndmask_b32 v1, v19, v15, vcc_lo :: v_dual_cndmask_b32 v5, v18, v14, vcc_lo
	v_dual_cndmask_b32 v1, v13, v1, s0 :: v_dual_bitop2_b32 v10, s46, v10 bitop3:0x14
	s_delay_alu instid0(VALU_DEP_1) | instskip(NEXT) | instid1(VALU_DEP_2)
	v_dual_cndmask_b32 v5, v12, v5, s0 :: v_dual_mov_b32 v11, v10
	v_xor_b32_e32 v13, v1, v10
	s_delay_alu instid0(VALU_DEP_2) | instskip(NEXT) | instid1(VALU_DEP_1)
	v_xor_b32_e32 v12, v5, v10
	v_sub_nc_u64_e32 v[10:11], v[12:13], v[10:11]
.LBB57_148:                             ;   in Loop: Header=BB57_146 Depth=1
	s_and_not1_saveexec_b32 s0, s52
	s_cbranch_execz .LBB57_145
; %bb.149:                              ;   in Loop: Header=BB57_146 Depth=1
	v_cvt_f32_u32_e32 v1, s44
	s_sub_co_i32 s36, 0, s44
	s_delay_alu instid0(VALU_DEP_1) | instskip(SKIP_1) | instid1(TRANS32_DEP_1)
	v_rcp_iflag_f32_e32 v1, v1
	v_nop
	v_mul_f32_e32 v1, 0x4f7ffffe, v1
	s_delay_alu instid0(VALU_DEP_1) | instskip(NEXT) | instid1(VALU_DEP_1)
	v_cvt_u32_f32_e32 v1, v1
	v_mul_lo_u32 v5, s36, v1
	s_delay_alu instid0(VALU_DEP_1) | instskip(NEXT) | instid1(VALU_DEP_1)
	v_mul_hi_u32 v5, v1, v5
	v_add_nc_u32_e32 v1, v1, v5
	s_delay_alu instid0(VALU_DEP_1) | instskip(NEXT) | instid1(VALU_DEP_1)
	v_mul_hi_u32 v1, v6, v1
	v_mul_lo_u32 v5, v1, s44
	s_delay_alu instid0(VALU_DEP_1) | instskip(NEXT) | instid1(VALU_DEP_1)
	v_sub_nc_u32_e32 v5, v6, v5
	v_subrev_nc_u32_e32 v11, s44, v5
	v_cmp_le_u32_e32 vcc_lo, s44, v5
	s_delay_alu instid0(VALU_DEP_2) | instskip(NEXT) | instid1(VALU_DEP_1)
	v_dual_cndmask_b32 v5, v5, v11 :: v_dual_add_nc_u32 v10, 1, v1
	v_dual_cndmask_b32 v1, v1, v10, vcc_lo :: v_dual_mov_b32 v11, v4
	s_delay_alu instid0(VALU_DEP_2) | instskip(NEXT) | instid1(VALU_DEP_2)
	v_cmp_le_u32_e32 vcc_lo, s44, v5
	v_add_nc_u32_e32 v10, 1, v1
	s_delay_alu instid0(VALU_DEP_1)
	v_cndmask_b32_e32 v10, v1, v10, vcc_lo
	s_branch .LBB57_145
.LBB57_150:
	s_mov_b32 s36, s54
	s_mov_b32 s0, exec_lo
	s_wait_loadcnt 0x0
	v_cmpx_gt_i64_e64 v[8:9], v[16:17]
	s_cbranch_execz .LBB57_177
; %bb.151:
	s_delay_alu instid0(VALU_DEP_2) | instskip(SKIP_2) | instid1(VALU_DEP_1)
	v_lshlrev_b64_e32 v[2:3], 3, v[2:3]
	s_mov_b32 s36, 0
	s_xor_b32 s38, s51, -1
                                        ; implicit-def: $sgpr37
                                        ; implicit-def: $sgpr40
                                        ; implicit-def: $sgpr39
	v_lshl_add_u64 v[4:5], v[16:17], 3, v[2:3]
	v_add_nc_u64_e32 v[6:7], s[16:17], v[2:3]
	s_delay_alu instid0(VALU_DEP_2) | instskip(NEXT) | instid1(VALU_DEP_1)
	v_add_nc_u64_e32 v[4:5], s[16:17], v[4:5]
	v_add_nc_u64_e32 v[2:3], 8, v[4:5]
	s_delay_alu instid0(VALU_DEP_3)
	v_lshl_add_u64 v[4:5], v[8:9], 3, v[6:7]
	s_branch .LBB57_153
.LBB57_152:                             ;   in Loop: Header=BB57_153 Depth=1
	s_or_b32 exec_lo, exec_lo, s41
	s_xor_b32 s41, s39, -1
	s_and_b32 s42, exec_lo, s40
	s_delay_alu instid0(SALU_CYCLE_1) | instskip(SKIP_2) | instid1(SALU_CYCLE_1)
	s_or_b32 s36, s42, s36
	s_and_not1_b32 s37, s37, exec_lo
	s_and_b32 s41, s41, exec_lo
	s_or_b32 s37, s37, s41
	s_and_not1_b32 exec_lo, exec_lo, s36
	s_cbranch_execz .LBB57_176
.LBB57_153:                             ; =>This Inner Loop Header: Depth=1
	s_or_b32 s39, s39, exec_lo
	s_or_b32 s40, s40, exec_lo
	s_mov_b32 s41, exec_lo
	s_delay_alu instid0(VALU_DEP_2)
	v_cmpx_lt_u64_e64 v[2:3], v[4:5]
	s_cbranch_execz .LBB57_152
; %bb.154:                              ;   in Loop: Header=BB57_153 Depth=1
	global_load_b128 v[6:9], v[2:3], off offset:-8
	s_wait_xcnt 0x0
	v_add_nc_u64_e32 v[2:3], 8, v[2:3]
	s_and_not1_b32 s40, s40, exec_lo
	s_and_not1_b32 s39, s39, exec_lo
	s_wait_loadcnt 0x0
	v_cmp_ge_i64_e32 vcc_lo, v[6:7], v[8:9]
	s_or_b32 s42, s38, vcc_lo
	s_delay_alu instid0(SALU_CYCLE_1) | instskip(NEXT) | instid1(SALU_CYCLE_1)
	s_and_b32 s42, s42, exec_lo
	s_or_b32 s40, s40, s42
	s_branch .LBB57_152
.LBB57_155:
	s_or_b32 exec_lo, exec_lo, s21
	s_delay_alu instid0(SALU_CYCLE_1)
	s_mov_b32 s21, exec_lo
	s_or_not1_b32 s23, s22, exec_lo
.LBB57_156:
	s_or_b32 exec_lo, exec_lo, s1
	s_delay_alu instid0(SALU_CYCLE_1)
	s_and_b32 s22, s21, exec_lo
	s_xor_b32 s21, exec_lo, -1
	s_and_b32 s1, s23, exec_lo
.LBB57_157:
	s_or_b32 exec_lo, exec_lo, s45
	s_delay_alu instid0(SALU_CYCLE_1)
	s_and_b32 s23, s22, exec_lo
	s_and_b32 s22, s21, exec_lo
	s_xor_b32 s21, exec_lo, -1
	s_and_b32 s1, s1, exec_lo
.LBB57_158:
	s_or_b32 exec_lo, exec_lo, s44
	s_delay_alu instid0(SALU_CYCLE_1)
	s_and_b32 s24, s23, exec_lo
	s_and_b32 s23, s22, exec_lo
	;; [unrolled: 1-line block ×3, first 2 shown]
	s_xor_b32 s21, exec_lo, -1
	s_and_b32 s1, s1, exec_lo
.LBB57_159:
	s_or_b32 exec_lo, exec_lo, s42
	s_delay_alu instid0(SALU_CYCLE_1)
	s_and_b32 s42, s24, exec_lo
	s_and_b32 s44, s23, exec_lo
	s_and_b32 s45, s22, exec_lo
	s_and_b32 s46, s21, exec_lo
	s_or_not1_b32 s1, s1, exec_lo
	s_or_b32 exec_lo, exec_lo, s33
	s_mov_b32 s33, 0
	s_and_saveexec_b32 s47, s1
	s_cbranch_execz .LBB57_88
.LBB57_160:
	s_mov_b32 s1, -1
	s_mov_b32 s52, 0
	s_mov_b32 s48, s46
	;; [unrolled: 1-line block ×4, first 2 shown]
	s_mov_b32 s51, exec_lo
	v_cmpx_gt_i32_e64 s11, v1
	s_cbranch_execz .LBB57_184
; %bb.161:
	s_wait_loadcnt 0x4
	v_cmp_eq_u64_e32 vcc_lo, s[4:5], v[28:29]
	s_mov_b32 s21, -1
	s_mov_b32 s1, 0
	s_mov_b32 s23, s45
	;; [unrolled: 1-line block ×4, first 2 shown]
	s_and_b32 s25, s43, vcc_lo
	s_delay_alu instid0(SALU_CYCLE_1)
	s_and_saveexec_b32 s33, s25
	s_cbranch_execz .LBB57_183
; %bb.162:
	s_wait_loadcnt 0x3
	v_cmp_eq_u64_e32 vcc_lo, s[8:9], v[30:31]
	s_mov_b32 s23, s44
	s_and_b32 s24, s41, vcc_lo
	s_delay_alu instid0(SALU_CYCLE_1)
	s_and_saveexec_b32 s48, s24
	s_cbranch_execz .LBB57_182
; %bb.163:
	s_wait_loadcnt 0x1
	v_sub_nc_u64_e32 v[28:29], v[22:23], v[24:25]
	s_delay_alu instid0(VALU_DEP_1)
	v_cmp_le_i64_e32 vcc_lo, s[4:5], v[28:29]
	v_cmp_ge_i64_e64 s1, s[6:7], v[28:29]
	s_and_b32 s22, vcc_lo, s1
	s_mov_b32 s1, 0
	s_and_b32 s23, s40, s22
	s_mov_b32 s22, 0
	s_and_saveexec_b32 s49, s23
	s_cbranch_execz .LBB57_181
; %bb.164:
	v_cmp_lt_i64_e64 s1, s[8:9], 1
	v_mov_b64_e32 v[28:29], 0
	s_xor_b32 s21, s39, -1
	s_delay_alu instid0(SALU_CYCLE_1) | instskip(NEXT) | instid1(SALU_CYCLE_1)
	s_or_b32 s1, s1, s21
	s_and_b32 vcc_lo, exec_lo, s1
	s_cbranch_vccnz .LBB57_171
; %bb.165:
	s_wait_loadcnt 0x0
	v_mul_u64_e32 v[30:31], s[8:9], v[26:27]
	s_mov_b32 s23, 0
	v_mov_b64_e32 v[28:29], 0
	s_mov_b32 s21, s23
	v_mov_b32_e32 v26, 0
	s_lshl_b64 s[28:29], s[20:21], 3
	s_mov_b64 s[24:25], 0xffffffff
	s_add_nc_u64 s[26:27], s[12:13], s[28:29]
	s_add_nc_u64 s[28:29], s[14:15], s[28:29]
	s_mov_b32 s21, s10
	s_branch .LBB57_167
.LBB57_166:                             ;   in Loop: Header=BB57_167 Depth=1
	s_or_b32 exec_lo, exec_lo, s1
	s_delay_alu instid0(VALU_DEP_1)
	v_mul_u64_e32 v[34:35], s[30:31], v[32:33]
	s_load_b64 s[30:31], s[28:29], 0x0
	s_add_co_i32 s21, s21, -1
	s_add_nc_u64 s[26:27], s[26:27], -8
	s_cmp_lg_u32 s21, 0
	s_wait_xcnt 0x0
	s_add_nc_u64 s[28:29], s[28:29], -8
	s_delay_alu instid0(VALU_DEP_1) | instskip(SKIP_1) | instid1(VALU_DEP_1)
	v_sub_nc_u64_e32 v[30:31], v[30:31], v[34:35]
	s_wait_kmcnt 0x0
	v_mad_nc_u64_u32 v[28:29], v30, s30, v[28:29]
	s_delay_alu instid0(VALU_DEP_1) | instskip(NEXT) | instid1(VALU_DEP_1)
	v_mad_u32 v27, v31, s30, v29
	v_mad_u32 v29, v30, s31, v27
	v_mov_b64_e32 v[30:31], v[32:33]
	s_cbranch_scc0 .LBB57_171
.LBB57_167:                             ; =>This Inner Loop Header: Depth=1
	s_load_b64 s[30:31], s[26:27], 0x0
                                        ; implicit-def: $vgpr32_vgpr33
	s_mov_b32 s1, exec_lo
	s_wait_kmcnt 0x0
	s_delay_alu instid0(VALU_DEP_1) | instskip(NEXT) | instid1(VALU_DEP_1)
	v_or_b32_e32 v27, s31, v31
	v_cmpx_ne_u64_e32 0, v[26:27]
	s_xor_b32 s50, exec_lo, s1
	s_cbranch_execz .LBB57_169
; %bb.168:                              ;   in Loop: Header=BB57_167 Depth=1
	s_ashr_i32 s34, s31, 31
	v_dual_mov_b32 v37, v26 :: v_dual_ashrrev_i32 v32, 31, v31
	s_mov_b32 s35, s34
	s_delay_alu instid0(SALU_CYCLE_1) | instskip(NEXT) | instid1(VALU_DEP_1)
	s_add_nc_u64 s[36:37], s[30:31], s[34:35]
	v_mov_b32_e32 v33, v32
	s_xor_b64 s[36:37], s[36:37], s[34:35]
	s_delay_alu instid0(SALU_CYCLE_1)
	s_cvt_f32_u32 s1, s36
	s_cvt_f32_u32 s22, s37
	s_sub_nc_u64 s[56:57], 0, s[36:37]
	v_add_nc_u64_e32 v[34:35], v[30:31], v[32:33]
	v_mov_b32_e32 v41, v26
	s_fmamk_f32 s1, s22, 0x4f800000, s1
	s_delay_alu instid0(SALU_CYCLE_3) | instskip(NEXT) | instid1(VALU_DEP_2)
	v_s_rcp_f32 s1, s1
	v_xor_b32_e32 v36, v34, v32
	s_delay_alu instid0(VALU_DEP_3) | instskip(SKIP_1) | instid1(TRANS32_DEP_1)
	v_dual_mov_b32 v45, v26 :: v_dual_bitop2_b32 v40, v35, v32 bitop3:0x14
	v_xor_b32_e32 v32, s34, v32
	s_mul_f32 s1, s1, 0x5f7ffffc
	s_delay_alu instid0(SALU_CYCLE_3) | instskip(NEXT) | instid1(SALU_CYCLE_3)
	s_mul_f32 s22, s1, 0x2f800000
	s_trunc_f32 s22, s22
	s_delay_alu instid0(SALU_CYCLE_3) | instskip(SKIP_1) | instid1(SALU_CYCLE_2)
	s_fmamk_f32 s1, s22, 0xcf800000, s1
	s_cvt_u32_f32 s55, s22
	s_cvt_u32_f32 s54, s1
	s_delay_alu instid0(SALU_CYCLE_3) | instskip(NEXT) | instid1(SALU_CYCLE_1)
	s_mul_u64 s[58:59], s[56:57], s[54:55]
	s_mul_hi_u32 s61, s54, s59
	s_mul_i32 s60, s54, s59
	s_mul_hi_u32 s22, s54, s58
	s_mul_i32 s35, s55, s58
	s_add_nc_u64 s[60:61], s[22:23], s[60:61]
	s_mul_hi_u32 s1, s55, s58
	s_mul_hi_u32 s53, s55, s59
	s_add_co_u32 s22, s60, s35
	s_add_co_ci_u32 s22, s61, s1
	s_mul_i32 s58, s55, s59
	s_add_co_ci_u32 s59, s53, 0
	s_delay_alu instid0(SALU_CYCLE_1) | instskip(NEXT) | instid1(SALU_CYCLE_1)
	s_add_nc_u64 s[58:59], s[22:23], s[58:59]
	s_add_co_u32 s54, s54, s58
	s_cselect_b32 s1, -1, 0
	s_delay_alu instid0(SALU_CYCLE_1) | instskip(SKIP_1) | instid1(SALU_CYCLE_1)
	s_cmp_lg_u32 s1, 0
	s_add_co_ci_u32 s55, s55, s59
	s_mul_u64 s[56:57], s[56:57], s[54:55]
	s_delay_alu instid0(SALU_CYCLE_1)
	s_mul_hi_u32 s59, s54, s57
	s_mul_i32 s58, s54, s57
	s_mul_hi_u32 s22, s54, s56
	s_mul_i32 s35, s55, s56
	s_add_nc_u64 s[58:59], s[22:23], s[58:59]
	s_mul_hi_u32 s1, s55, s56
	s_mul_hi_u32 s53, s55, s57
	s_add_co_u32 s22, s58, s35
	s_add_co_ci_u32 s22, s59, s1
	s_mul_i32 s56, s55, s57
	s_add_co_ci_u32 s57, s53, 0
	s_delay_alu instid0(SALU_CYCLE_1) | instskip(NEXT) | instid1(SALU_CYCLE_1)
	s_add_nc_u64 s[56:57], s[22:23], s[56:57]
	s_add_co_u32 s54, s54, s56
	s_cselect_b32 s1, -1, 0
	v_mul_hi_u32 v44, v36, s54
	s_cmp_lg_u32 s1, 0
	s_add_co_ci_u32 s22, s55, s57
	s_and_b64 s[56:57], s[54:55], s[24:25]
	v_mul_u64_e32 v[38:39], s[22:23], v[36:37]
	v_mul_u64_e32 v[34:35], s[56:57], v[40:41]
	;; [unrolled: 1-line block ×3, first 2 shown]
	s_delay_alu instid0(VALU_DEP_3) | instskip(NEXT) | instid1(VALU_DEP_1)
	v_add_nc_u64_e32 v[38:39], v[44:45], v[38:39]
	v_add_co_u32 v27, vcc_lo, v38, v34
	s_delay_alu instid0(VALU_DEP_2) | instskip(NEXT) | instid1(VALU_DEP_4)
	v_add_co_ci_u32_e32 v44, vcc_lo, v39, v35, vcc_lo
	v_add_co_ci_u32_e32 v43, vcc_lo, 0, v43, vcc_lo
	s_delay_alu instid0(VALU_DEP_1) | instskip(NEXT) | instid1(VALU_DEP_1)
	v_add_nc_u64_e32 v[34:35], v[44:45], v[42:43]
	v_mul_u64_e32 v[38:39], s[36:37], v[34:35]
	s_delay_alu instid0(VALU_DEP_1) | instskip(NEXT) | instid1(VALU_DEP_2)
	v_sub_nc_u32_e32 v27, v40, v39
	v_sub_co_u32 v33, vcc_lo, v36, v38
	s_delay_alu instid0(VALU_DEP_1) | instskip(NEXT) | instid1(VALU_DEP_3)
	v_sub_co_ci_u32_e64 v40, null, v40, v39, vcc_lo
	v_subrev_co_ci_u32_e64 v27, null, s37, v27, vcc_lo
	s_delay_alu instid0(VALU_DEP_3) | instskip(SKIP_1) | instid1(VALU_DEP_3)
	v_sub_co_u32 v36, s1, v33, s36
	v_add_nc_u64_e32 v[38:39], 1, v[34:35]
	v_subrev_co_ci_u32_e64 v27, null, 0, v27, s1
	s_delay_alu instid0(VALU_DEP_3) | instskip(SKIP_1) | instid1(VALU_DEP_3)
	v_cmp_le_u32_e32 vcc_lo, s36, v36
	v_cndmask_b32_e64 v36, 0, -1, vcc_lo
	v_cmp_le_u32_e32 vcc_lo, s37, v27
	v_cndmask_b32_e64 v37, 0, -1, vcc_lo
	;; [unrolled: 2-line block ×4, first 2 shown]
	v_cmp_eq_u32_e32 vcc_lo, s37, v27
	v_cndmask_b32_e32 v27, v37, v36, vcc_lo
	v_cmp_eq_u32_e32 vcc_lo, s37, v40
	v_add_nc_u64_e32 v[36:37], 2, v[34:35]
	v_cndmask_b32_e32 v33, v41, v33, vcc_lo
	s_delay_alu instid0(VALU_DEP_4) | instskip(NEXT) | instid1(VALU_DEP_2)
	v_cmp_ne_u32_e32 vcc_lo, 0, v27
	v_cmp_ne_u32_e64 s1, 0, v33
	s_delay_alu instid0(VALU_DEP_4) | instskip(NEXT) | instid1(VALU_DEP_1)
	v_dual_cndmask_b32 v27, v39, v37, vcc_lo :: v_dual_cndmask_b32 v33, v38, v36, vcc_lo
	v_dual_cndmask_b32 v34, v34, v33, s1 :: v_dual_mov_b32 v33, v32
	s_delay_alu instid0(VALU_DEP_1) | instskip(NEXT) | instid1(VALU_DEP_1)
	v_dual_cndmask_b32 v27, v35, v27, s1 :: v_dual_bitop2_b32 v34, v34, v32 bitop3:0x14
	v_xor_b32_e32 v35, v27, v32
	s_delay_alu instid0(VALU_DEP_1)
	v_sub_nc_u64_e32 v[32:33], v[34:35], v[32:33]
.LBB57_169:                             ;   in Loop: Header=BB57_167 Depth=1
	s_and_not1_saveexec_b32 s1, s50
	s_cbranch_execz .LBB57_166
; %bb.170:                              ;   in Loop: Header=BB57_167 Depth=1
	v_cvt_f32_u32_e32 v27, s30
	s_sub_co_i32 s22, 0, s30
	s_delay_alu instid0(VALU_DEP_1) | instskip(SKIP_1) | instid1(TRANS32_DEP_1)
	v_rcp_iflag_f32_e32 v27, v27
	v_nop
	v_mul_f32_e32 v27, 0x4f7ffffe, v27
	s_delay_alu instid0(VALU_DEP_1) | instskip(NEXT) | instid1(VALU_DEP_1)
	v_cvt_u32_f32_e32 v27, v27
	v_mul_lo_u32 v32, s22, v27
	s_delay_alu instid0(VALU_DEP_1) | instskip(NEXT) | instid1(VALU_DEP_1)
	v_mul_hi_u32 v32, v27, v32
	v_add_nc_u32_e32 v27, v27, v32
	s_delay_alu instid0(VALU_DEP_1) | instskip(NEXT) | instid1(VALU_DEP_1)
	v_mul_hi_u32 v27, v30, v27
	v_mul_lo_u32 v32, v27, s30
	s_delay_alu instid0(VALU_DEP_1) | instskip(NEXT) | instid1(VALU_DEP_1)
	v_dual_add_nc_u32 v33, 1, v27 :: v_dual_sub_nc_u32 v32, v30, v32
	v_subrev_nc_u32_e32 v34, s30, v32
	v_cmp_le_u32_e32 vcc_lo, s30, v32
	s_delay_alu instid0(VALU_DEP_2) | instskip(NEXT) | instid1(VALU_DEP_1)
	v_dual_cndmask_b32 v32, v32, v34 :: v_dual_cndmask_b32 v27, v27, v33
	v_cmp_le_u32_e32 vcc_lo, s30, v32
	s_delay_alu instid0(VALU_DEP_2) | instskip(NEXT) | instid1(VALU_DEP_1)
	v_add_nc_u32_e32 v33, 1, v27
	v_dual_cndmask_b32 v32, v27, v33 :: v_dual_mov_b32 v33, v26
	s_branch .LBB57_166
.LBB57_171:
	s_mov_b32 s23, -1
	s_mov_b32 s21, 0
	s_mov_b32 s1, exec_lo
	v_cmpx_gt_i64_e64 v[22:23], v[24:25]
	s_cbranch_execz .LBB57_180
; %bb.172:
	s_wait_loadcnt 0x0
	s_delay_alu instid0(VALU_DEP_2) | instskip(SKIP_1) | instid1(VALU_DEP_1)
	v_lshlrev_b64_e32 v[26:27], 3, v[28:29]
	s_xor_b32 s23, s38, -1
                                        ; implicit-def: $sgpr22
                                        ; implicit-def: $sgpr25
                                        ; implicit-def: $sgpr24
	v_lshl_add_u64 v[24:25], v[24:25], 3, v[26:27]
	v_add_nc_u64_e32 v[26:27], s[16:17], v[26:27]
	s_delay_alu instid0(VALU_DEP_2) | instskip(NEXT) | instid1(VALU_DEP_2)
	v_add_nc_u64_e32 v[24:25], s[16:17], v[24:25]
	v_lshl_add_u64 v[22:23], v[22:23], 3, v[26:27]
	s_delay_alu instid0(VALU_DEP_2)
	v_add_nc_u64_e32 v[24:25], 8, v[24:25]
	s_branch .LBB57_174
.LBB57_173:                             ;   in Loop: Header=BB57_174 Depth=1
	s_or_b32 exec_lo, exec_lo, s26
	s_delay_alu instid0(SALU_CYCLE_1) | instskip(NEXT) | instid1(SALU_CYCLE_1)
	s_and_b32 s26, exec_lo, s25
	s_or_b32 s21, s26, s21
	s_and_not1_b32 s22, s22, exec_lo
	s_and_b32 s26, s24, exec_lo
	s_delay_alu instid0(SALU_CYCLE_1)
	s_or_b32 s22, s22, s26
	s_and_not1_b32 exec_lo, exec_lo, s21
	s_cbranch_execz .LBB57_179
.LBB57_174:                             ; =>This Inner Loop Header: Depth=1
	s_or_b32 s24, s24, exec_lo
	s_or_b32 s25, s25, exec_lo
	s_mov_b32 s26, exec_lo
	s_delay_alu instid0(VALU_DEP_1)
	v_cmpx_lt_u64_e64 v[24:25], v[22:23]
	s_cbranch_execz .LBB57_173
; %bb.175:                              ;   in Loop: Header=BB57_174 Depth=1
	global_load_b128 v[26:29], v[24:25], off offset:-8
	s_wait_xcnt 0x0
	v_add_nc_u64_e32 v[24:25], 8, v[24:25]
	s_and_not1_b32 s25, s25, exec_lo
	s_and_not1_b32 s24, s24, exec_lo
	s_wait_loadcnt 0x0
	v_cmp_ge_i64_e32 vcc_lo, v[26:27], v[28:29]
	s_or_b32 s27, s23, vcc_lo
	s_delay_alu instid0(SALU_CYCLE_1) | instskip(NEXT) | instid1(SALU_CYCLE_1)
	s_and_b32 s27, s27, exec_lo
	s_or_b32 s25, s25, s27
	s_branch .LBB57_173
.LBB57_176:
	s_or_b32 exec_lo, exec_lo, s36
	s_delay_alu instid0(SALU_CYCLE_1) | instskip(SKIP_1) | instid1(SALU_CYCLE_1)
	s_and_not1_b32 s36, s54, exec_lo
	s_and_b32 s37, s37, exec_lo
	s_or_b32 s36, s36, s37
.LBB57_177:
	s_or_b32 exec_lo, exec_lo, s0
	s_delay_alu instid0(SALU_CYCLE_1)
	s_and_not1_b32 s37, s54, exec_lo
	s_and_b32 s36, s36, exec_lo
	s_mov_b32 s0, exec_lo
	s_or_b32 s54, s37, s36
	s_or_b32 exec_lo, exec_lo, s53
	s_and_saveexec_b32 s36, s54
	s_cbranch_execz .LBB57_71
.LBB57_178:
	s_or_b32 s3, s3, exec_lo
	s_and_not1_b32 s0, s0, exec_lo
	s_trap 2
	s_or_b32 exec_lo, exec_lo, s36
	s_and_saveexec_b32 s36, s0
	s_delay_alu instid0(SALU_CYCLE_1)
	s_xor_b32 s0, exec_lo, s36
	s_cbranch_execnz .LBB57_72
	s_branch .LBB57_73
.LBB57_179:
	s_or_b32 exec_lo, exec_lo, s21
	s_delay_alu instid0(SALU_CYCLE_1)
	s_mov_b32 s21, exec_lo
	s_or_not1_b32 s23, s22, exec_lo
.LBB57_180:
	s_or_b32 exec_lo, exec_lo, s1
	s_delay_alu instid0(SALU_CYCLE_1)
	s_and_b32 s22, s21, exec_lo
	s_xor_b32 s21, exec_lo, -1
	s_and_b32 s1, s23, exec_lo
.LBB57_181:
	s_or_b32 exec_lo, exec_lo, s49
	s_delay_alu instid0(SALU_CYCLE_1)
	s_and_not1_b32 s23, s44, exec_lo
	s_and_b32 s21, s21, exec_lo
	s_and_b32 s22, s22, exec_lo
	s_or_b32 s23, s23, s21
	s_xor_b32 s21, exec_lo, -1
	s_and_b32 s1, s1, exec_lo
.LBB57_182:
	s_or_b32 exec_lo, exec_lo, s48
	s_delay_alu instid0(SALU_CYCLE_1)
	s_and_not1_b32 s24, s44, exec_lo
	s_and_b32 s23, s23, exec_lo
	s_and_not1_b32 s25, s45, exec_lo
	s_and_b32 s21, s21, exec_lo
	s_and_b32 s22, s22, exec_lo
	s_or_b32 s24, s24, s23
	s_or_b32 s23, s25, s21
	s_xor_b32 s21, exec_lo, -1
	s_and_b32 s1, s1, exec_lo
.LBB57_183:
	s_or_b32 exec_lo, exec_lo, s33
	s_delay_alu instid0(SALU_CYCLE_1)
	s_and_not1_b32 s25, s44, exec_lo
	s_and_b32 s24, s24, exec_lo
	s_and_b32 s33, s22, exec_lo
	s_or_b32 s49, s25, s24
	s_and_not1_b32 s22, s45, exec_lo
	s_and_b32 s23, s23, exec_lo
	s_and_not1_b32 s24, s46, exec_lo
	s_and_b32 s21, s21, exec_lo
	s_or_b32 s50, s22, s23
	s_or_b32 s48, s24, s21
	s_or_not1_b32 s1, s1, exec_lo
.LBB57_184:
	s_or_b32 exec_lo, exec_lo, s51
	s_mov_b32 s23, 0
	s_and_saveexec_b32 s51, s1
	s_cbranch_execz .LBB57_211
; %bb.185:
	s_wait_loadcnt 0x1
	v_or_b32_e32 v22, 0x200, v0
	s_mov_b32 s25, -1
	s_mov_b32 s52, 0
	s_mov_b32 s1, s48
	;; [unrolled: 1-line block ×4, first 2 shown]
	s_mov_b32 s53, exec_lo
	v_cmpx_gt_i32_e64 s11, v22
	s_cbranch_execz .LBB57_206
; %bb.186:
	v_cmp_eq_u64_e32 vcc_lo, s[4:5], v[20:21]
	s_mov_b32 s1, -1
	s_mov_b32 s24, 0
	s_mov_b32 s25, s50
	;; [unrolled: 1-line block ×4, first 2 shown]
	s_and_b32 s22, s43, vcc_lo
	s_delay_alu instid0(SALU_CYCLE_1)
	s_and_saveexec_b32 s54, s22
	s_cbranch_execz .LBB57_205
; %bb.187:
	v_cmp_eq_u64_e32 vcc_lo, s[8:9], v[18:19]
	s_mov_b32 s22, 0
	s_mov_b32 s23, s49
	s_and_b32 s21, s41, vcc_lo
	s_delay_alu instid0(SALU_CYCLE_1)
	s_and_saveexec_b32 s55, s21
	s_cbranch_execz .LBB57_204
; %bb.188:
	v_sub_nc_u64_e32 v[18:19], v[12:13], v[14:15]
	s_mov_b32 s22, -1
	s_mov_b32 s21, 0
	s_delay_alu instid0(VALU_DEP_1) | instskip(SKIP_2) | instid1(SALU_CYCLE_1)
	v_cmp_le_i64_e32 vcc_lo, s[4:5], v[18:19]
	v_cmp_ge_i64_e64 s1, s[6:7], v[18:19]
	s_and_b32 s1, vcc_lo, s1
	s_and_b32 s23, s40, s1
	s_mov_b32 s1, 0
	s_and_saveexec_b32 s56, s23
	s_cbranch_execz .LBB57_203
; %bb.189:
	v_cmp_lt_i64_e64 s1, s[8:9], 1
	v_mov_b64_e32 v[18:19], 0
	s_xor_b32 s21, s39, -1
	s_delay_alu instid0(SALU_CYCLE_1) | instskip(NEXT) | instid1(SALU_CYCLE_1)
	s_or_b32 s1, s1, s21
	s_and_b32 vcc_lo, exec_lo, s1
	s_cbranch_vccnz .LBB57_196
; %bb.190:
	s_wait_loadcnt 0x0
	v_mul_u64_e32 v[20:21], s[8:9], v[16:17]
	s_mov_b32 s23, 0
	v_mov_b64_e32 v[18:19], 0
	s_mov_b32 s21, s23
	v_mov_b32_e32 v16, 0
	s_lshl_b64 s[28:29], s[20:21], 3
	s_mov_b64 s[24:25], 0xffffffff
	s_add_nc_u64 s[26:27], s[12:13], s[28:29]
	s_add_nc_u64 s[28:29], s[14:15], s[28:29]
	s_mov_b32 s21, s10
	s_branch .LBB57_192
.LBB57_191:                             ;   in Loop: Header=BB57_192 Depth=1
	s_or_b32 exec_lo, exec_lo, s1
	s_delay_alu instid0(VALU_DEP_1)
	v_mul_u64_e32 v[24:25], s[30:31], v[22:23]
	s_load_b64 s[30:31], s[28:29], 0x0
	s_add_co_i32 s21, s21, -1
	s_add_nc_u64 s[26:27], s[26:27], -8
	s_cmp_lg_u32 s21, 0
	s_wait_xcnt 0x0
	s_add_nc_u64 s[28:29], s[28:29], -8
	s_delay_alu instid0(VALU_DEP_1) | instskip(SKIP_1) | instid1(VALU_DEP_1)
	v_sub_nc_u64_e32 v[20:21], v[20:21], v[24:25]
	s_wait_kmcnt 0x0
	v_mad_nc_u64_u32 v[18:19], v20, s30, v[18:19]
	s_delay_alu instid0(VALU_DEP_1) | instskip(NEXT) | instid1(VALU_DEP_1)
	v_mad_u32 v17, v21, s30, v19
	v_mad_u32 v19, v20, s31, v17
	v_mov_b64_e32 v[20:21], v[22:23]
	s_cbranch_scc0 .LBB57_196
.LBB57_192:                             ; =>This Inner Loop Header: Depth=1
	s_load_b64 s[30:31], s[26:27], 0x0
                                        ; implicit-def: $vgpr22_vgpr23
	s_mov_b32 s1, exec_lo
	s_wait_kmcnt 0x0
	s_delay_alu instid0(VALU_DEP_1) | instskip(NEXT) | instid1(VALU_DEP_1)
	v_or_b32_e32 v17, s31, v21
	v_cmpx_ne_u64_e32 0, v[16:17]
	s_xor_b32 s57, exec_lo, s1
	s_cbranch_execz .LBB57_194
; %bb.193:                              ;   in Loop: Header=BB57_192 Depth=1
	s_ashr_i32 s34, s31, 31
	v_dual_mov_b32 v27, v16 :: v_dual_ashrrev_i32 v22, 31, v21
	s_mov_b32 s35, s34
	s_delay_alu instid0(SALU_CYCLE_1) | instskip(NEXT) | instid1(VALU_DEP_1)
	s_add_nc_u64 s[36:37], s[30:31], s[34:35]
	v_mov_b32_e32 v23, v22
	s_xor_b64 s[36:37], s[36:37], s[34:35]
	s_delay_alu instid0(SALU_CYCLE_1)
	s_cvt_f32_u32 s1, s36
	s_cvt_f32_u32 s22, s37
	s_sub_nc_u64 s[60:61], 0, s[36:37]
	v_add_nc_u64_e32 v[24:25], v[20:21], v[22:23]
	v_mov_b32_e32 v31, v16
	s_fmamk_f32 s1, s22, 0x4f800000, s1
	s_delay_alu instid0(SALU_CYCLE_3) | instskip(NEXT) | instid1(VALU_DEP_2)
	v_s_rcp_f32 s1, s1
	v_xor_b32_e32 v26, v24, v22
	s_delay_alu instid0(VALU_DEP_3) | instskip(SKIP_1) | instid1(TRANS32_DEP_1)
	v_dual_mov_b32 v35, v16 :: v_dual_bitop2_b32 v30, v25, v22 bitop3:0x14
	v_xor_b32_e32 v22, s34, v22
	s_mul_f32 s1, s1, 0x5f7ffffc
	s_delay_alu instid0(SALU_CYCLE_3) | instskip(NEXT) | instid1(SALU_CYCLE_3)
	s_mul_f32 s22, s1, 0x2f800000
	s_trunc_f32 s22, s22
	s_delay_alu instid0(SALU_CYCLE_3) | instskip(SKIP_1) | instid1(SALU_CYCLE_2)
	s_fmamk_f32 s1, s22, 0xcf800000, s1
	s_cvt_u32_f32 s59, s22
	s_cvt_u32_f32 s58, s1
	s_delay_alu instid0(SALU_CYCLE_3) | instskip(NEXT) | instid1(SALU_CYCLE_1)
	s_mul_u64 s[62:63], s[60:61], s[58:59]
	s_mul_hi_u32 s65, s58, s63
	s_mul_i32 s64, s58, s63
	s_mul_hi_u32 s22, s58, s62
	s_mul_i32 s35, s59, s62
	s_add_nc_u64 s[64:65], s[22:23], s[64:65]
	s_mul_hi_u32 s1, s59, s62
	s_mul_hi_u32 s66, s59, s63
	s_add_co_u32 s22, s64, s35
	s_add_co_ci_u32 s22, s65, s1
	s_mul_i32 s62, s59, s63
	s_add_co_ci_u32 s63, s66, 0
	s_delay_alu instid0(SALU_CYCLE_1) | instskip(NEXT) | instid1(SALU_CYCLE_1)
	s_add_nc_u64 s[62:63], s[22:23], s[62:63]
	s_add_co_u32 s58, s58, s62
	s_cselect_b32 s1, -1, 0
	s_delay_alu instid0(SALU_CYCLE_1) | instskip(SKIP_1) | instid1(SALU_CYCLE_1)
	s_cmp_lg_u32 s1, 0
	s_add_co_ci_u32 s59, s59, s63
	s_mul_u64 s[60:61], s[60:61], s[58:59]
	s_delay_alu instid0(SALU_CYCLE_1)
	s_mul_hi_u32 s63, s58, s61
	s_mul_i32 s62, s58, s61
	s_mul_hi_u32 s22, s58, s60
	s_mul_i32 s35, s59, s60
	s_add_nc_u64 s[62:63], s[22:23], s[62:63]
	s_mul_hi_u32 s1, s59, s60
	s_mul_hi_u32 s64, s59, s61
	s_add_co_u32 s22, s62, s35
	s_add_co_ci_u32 s22, s63, s1
	s_mul_i32 s60, s59, s61
	s_add_co_ci_u32 s61, s64, 0
	s_delay_alu instid0(SALU_CYCLE_1) | instskip(NEXT) | instid1(SALU_CYCLE_1)
	s_add_nc_u64 s[60:61], s[22:23], s[60:61]
	s_add_co_u32 s58, s58, s60
	s_cselect_b32 s1, -1, 0
	v_mul_hi_u32 v34, v26, s58
	s_cmp_lg_u32 s1, 0
	s_add_co_ci_u32 s22, s59, s61
	s_and_b64 s[60:61], s[58:59], s[24:25]
	v_mul_u64_e32 v[28:29], s[22:23], v[26:27]
	v_mul_u64_e32 v[24:25], s[60:61], v[30:31]
	;; [unrolled: 1-line block ×3, first 2 shown]
	s_delay_alu instid0(VALU_DEP_3) | instskip(NEXT) | instid1(VALU_DEP_1)
	v_add_nc_u64_e32 v[28:29], v[34:35], v[28:29]
	v_add_co_u32 v17, vcc_lo, v28, v24
	s_delay_alu instid0(VALU_DEP_2) | instskip(NEXT) | instid1(VALU_DEP_4)
	v_add_co_ci_u32_e32 v34, vcc_lo, v29, v25, vcc_lo
	v_add_co_ci_u32_e32 v33, vcc_lo, 0, v33, vcc_lo
	s_delay_alu instid0(VALU_DEP_1) | instskip(NEXT) | instid1(VALU_DEP_1)
	v_add_nc_u64_e32 v[24:25], v[34:35], v[32:33]
	v_mul_u64_e32 v[28:29], s[36:37], v[24:25]
	s_delay_alu instid0(VALU_DEP_1) | instskip(NEXT) | instid1(VALU_DEP_2)
	v_sub_nc_u32_e32 v17, v30, v29
	v_sub_co_u32 v23, vcc_lo, v26, v28
	s_delay_alu instid0(VALU_DEP_1) | instskip(NEXT) | instid1(VALU_DEP_3)
	v_sub_co_ci_u32_e64 v30, null, v30, v29, vcc_lo
	v_subrev_co_ci_u32_e64 v17, null, s37, v17, vcc_lo
	s_delay_alu instid0(VALU_DEP_3) | instskip(SKIP_1) | instid1(VALU_DEP_3)
	v_sub_co_u32 v26, s1, v23, s36
	v_add_nc_u64_e32 v[28:29], 1, v[24:25]
	v_subrev_co_ci_u32_e64 v17, null, 0, v17, s1
	s_delay_alu instid0(VALU_DEP_3) | instskip(SKIP_1) | instid1(VALU_DEP_3)
	v_cmp_le_u32_e32 vcc_lo, s36, v26
	v_cndmask_b32_e64 v26, 0, -1, vcc_lo
	v_cmp_le_u32_e32 vcc_lo, s37, v17
	v_cndmask_b32_e64 v27, 0, -1, vcc_lo
	;; [unrolled: 2-line block ×4, first 2 shown]
	v_cmp_eq_u32_e32 vcc_lo, s37, v17
	v_cndmask_b32_e32 v17, v27, v26, vcc_lo
	v_cmp_eq_u32_e32 vcc_lo, s37, v30
	v_add_nc_u64_e32 v[26:27], 2, v[24:25]
	v_cndmask_b32_e32 v23, v31, v23, vcc_lo
	s_delay_alu instid0(VALU_DEP_4) | instskip(NEXT) | instid1(VALU_DEP_2)
	v_cmp_ne_u32_e32 vcc_lo, 0, v17
	v_cmp_ne_u32_e64 s1, 0, v23
	s_delay_alu instid0(VALU_DEP_4) | instskip(NEXT) | instid1(VALU_DEP_1)
	v_dual_cndmask_b32 v17, v29, v27, vcc_lo :: v_dual_cndmask_b32 v23, v28, v26, vcc_lo
	v_dual_cndmask_b32 v24, v24, v23, s1 :: v_dual_mov_b32 v23, v22
	s_delay_alu instid0(VALU_DEP_1) | instskip(NEXT) | instid1(VALU_DEP_1)
	v_dual_cndmask_b32 v17, v25, v17, s1 :: v_dual_bitop2_b32 v24, v24, v22 bitop3:0x14
	v_xor_b32_e32 v25, v17, v22
	s_delay_alu instid0(VALU_DEP_1)
	v_sub_nc_u64_e32 v[22:23], v[24:25], v[22:23]
.LBB57_194:                             ;   in Loop: Header=BB57_192 Depth=1
	s_and_not1_saveexec_b32 s1, s57
	s_cbranch_execz .LBB57_191
; %bb.195:                              ;   in Loop: Header=BB57_192 Depth=1
	v_cvt_f32_u32_e32 v17, s30
	s_sub_co_i32 s22, 0, s30
	s_delay_alu instid0(VALU_DEP_1) | instskip(SKIP_1) | instid1(TRANS32_DEP_1)
	v_rcp_iflag_f32_e32 v17, v17
	v_nop
	v_mul_f32_e32 v17, 0x4f7ffffe, v17
	s_delay_alu instid0(VALU_DEP_1) | instskip(NEXT) | instid1(VALU_DEP_1)
	v_cvt_u32_f32_e32 v17, v17
	v_mul_lo_u32 v22, s22, v17
	s_delay_alu instid0(VALU_DEP_1) | instskip(NEXT) | instid1(VALU_DEP_1)
	v_mul_hi_u32 v22, v17, v22
	v_add_nc_u32_e32 v17, v17, v22
	s_delay_alu instid0(VALU_DEP_1) | instskip(NEXT) | instid1(VALU_DEP_1)
	v_mul_hi_u32 v17, v20, v17
	v_mul_lo_u32 v22, v17, s30
	s_delay_alu instid0(VALU_DEP_1) | instskip(NEXT) | instid1(VALU_DEP_1)
	v_dual_add_nc_u32 v23, 1, v17 :: v_dual_sub_nc_u32 v22, v20, v22
	v_subrev_nc_u32_e32 v24, s30, v22
	v_cmp_le_u32_e32 vcc_lo, s30, v22
	s_delay_alu instid0(VALU_DEP_2) | instskip(NEXT) | instid1(VALU_DEP_1)
	v_dual_cndmask_b32 v22, v22, v24 :: v_dual_cndmask_b32 v17, v17, v23
	v_cmp_le_u32_e32 vcc_lo, s30, v22
	s_delay_alu instid0(VALU_DEP_2) | instskip(NEXT) | instid1(VALU_DEP_1)
	v_add_nc_u32_e32 v23, 1, v17
	v_dual_cndmask_b32 v22, v17, v23 :: v_dual_mov_b32 v23, v16
	s_branch .LBB57_191
.LBB57_196:
	s_mov_b32 s21, -1
	s_mov_b32 s23, 0
	s_mov_b32 s1, exec_lo
	v_cmpx_gt_i64_e64 v[12:13], v[14:15]
	s_cbranch_execz .LBB57_202
; %bb.197:
	s_wait_loadcnt 0x0
	s_delay_alu instid0(VALU_DEP_2) | instskip(SKIP_2) | instid1(VALU_DEP_1)
	v_lshlrev_b64_e32 v[16:17], 3, v[18:19]
	s_mov_b32 s21, 0
	s_xor_b32 s23, s38, -1
                                        ; implicit-def: $sgpr22
                                        ; implicit-def: $sgpr25
                                        ; implicit-def: $sgpr24
	v_lshl_add_u64 v[14:15], v[14:15], 3, v[16:17]
	v_add_nc_u64_e32 v[16:17], s[16:17], v[16:17]
	s_delay_alu instid0(VALU_DEP_2) | instskip(NEXT) | instid1(VALU_DEP_2)
	v_add_nc_u64_e32 v[14:15], s[16:17], v[14:15]
	v_lshl_add_u64 v[12:13], v[12:13], 3, v[16:17]
	s_delay_alu instid0(VALU_DEP_2)
	v_add_nc_u64_e32 v[14:15], 8, v[14:15]
	s_branch .LBB57_199
.LBB57_198:                             ;   in Loop: Header=BB57_199 Depth=1
	s_or_b32 exec_lo, exec_lo, s26
	s_delay_alu instid0(SALU_CYCLE_1) | instskip(NEXT) | instid1(SALU_CYCLE_1)
	s_and_b32 s26, exec_lo, s25
	s_or_b32 s21, s26, s21
	s_and_not1_b32 s22, s22, exec_lo
	s_and_b32 s26, s24, exec_lo
	s_delay_alu instid0(SALU_CYCLE_1)
	s_or_b32 s22, s22, s26
	s_and_not1_b32 exec_lo, exec_lo, s21
	s_cbranch_execz .LBB57_201
.LBB57_199:                             ; =>This Inner Loop Header: Depth=1
	s_or_b32 s24, s24, exec_lo
	s_or_b32 s25, s25, exec_lo
	s_mov_b32 s26, exec_lo
	s_delay_alu instid0(VALU_DEP_1)
	v_cmpx_lt_u64_e64 v[14:15], v[12:13]
	s_cbranch_execz .LBB57_198
; %bb.200:                              ;   in Loop: Header=BB57_199 Depth=1
	global_load_b128 v[16:19], v[14:15], off offset:-8
	s_wait_xcnt 0x0
	v_add_nc_u64_e32 v[14:15], 8, v[14:15]
	s_and_not1_b32 s25, s25, exec_lo
	s_and_not1_b32 s24, s24, exec_lo
	s_wait_loadcnt 0x0
	v_cmp_ge_i64_e32 vcc_lo, v[16:17], v[18:19]
	s_or_b32 s27, s23, vcc_lo
	s_delay_alu instid0(SALU_CYCLE_1) | instskip(NEXT) | instid1(SALU_CYCLE_1)
	s_and_b32 s27, s27, exec_lo
	s_or_b32 s25, s25, s27
	s_branch .LBB57_198
.LBB57_201:
	s_or_b32 exec_lo, exec_lo, s21
	s_delay_alu instid0(SALU_CYCLE_1)
	s_mov_b32 s23, exec_lo
	s_or_not1_b32 s21, s22, exec_lo
.LBB57_202:
	s_or_b32 exec_lo, exec_lo, s1
	s_delay_alu instid0(SALU_CYCLE_1)
	s_and_b32 s1, s23, exec_lo
	s_xor_b32 s22, exec_lo, -1
	s_and_b32 s21, s21, exec_lo
.LBB57_203:
	s_or_b32 exec_lo, exec_lo, s56
	s_delay_alu instid0(SALU_CYCLE_1)
	s_and_not1_b32 s23, s49, exec_lo
	s_and_b32 s22, s22, exec_lo
	s_and_b32 s24, s1, exec_lo
	s_or_b32 s23, s23, s22
	s_xor_b32 s1, exec_lo, -1
	s_and_b32 s22, s21, exec_lo
.LBB57_204:
	s_or_b32 exec_lo, exec_lo, s55
	s_delay_alu instid0(SALU_CYCLE_1)
	s_and_b32 s21, s24, exec_lo
	s_and_not1_b32 s24, s49, exec_lo
	s_and_b32 s23, s23, exec_lo
	s_and_not1_b32 s25, s50, exec_lo
	s_and_b32 s1, s1, exec_lo
	s_or_b32 s23, s24, s23
	s_or_b32 s25, s25, s1
	s_xor_b32 s1, exec_lo, -1
	s_and_b32 s24, s22, exec_lo
.LBB57_205:
	s_or_b32 exec_lo, exec_lo, s54
	s_delay_alu instid0(SALU_CYCLE_1)
	s_and_not1_b32 s22, s49, exec_lo
	s_and_b32 s26, s23, exec_lo
	s_and_b32 s23, s21, exec_lo
	s_or_b32 s21, s22, s26
	s_and_not1_b32 s22, s50, exec_lo
	s_and_b32 s25, s25, exec_lo
	s_and_not1_b32 s26, s48, exec_lo
	s_and_b32 s1, s1, exec_lo
	s_or_b32 s22, s22, s25
	s_or_b32 s1, s26, s1
	s_or_not1_b32 s25, s24, exec_lo
.LBB57_206:
	s_or_b32 exec_lo, exec_lo, s53
	s_mov_b32 s26, 0
	s_and_saveexec_b32 s24, s25
	s_cbranch_execz .LBB57_210
; %bb.207:
	v_or_b32_e32 v12, 0x300, v0
	s_mov_b32 s25, 0
	s_mov_b32 s26, -1
	s_mov_b32 s27, s1
	s_mov_b32 s28, exec_lo
	v_cmpx_gt_i32_e64 s11, v12
	s_xor_b32 s28, exec_lo, s28
; %bb.208:
	v_cmp_ne_u64_e32 vcc_lo, s[4:5], v[10:11]
	s_xor_b32 s26, s43, -1
	s_and_not1_b32 s27, s1, exec_lo
	s_mov_b32 s25, exec_lo
	s_or_b32 s26, s26, vcc_lo
	s_delay_alu instid0(SALU_CYCLE_1)
	s_and_b32 s29, s26, exec_lo
	s_xor_b32 s26, exec_lo, -1
	s_or_b32 s27, s27, s29
; %bb.209:
	s_or_b32 exec_lo, exec_lo, s28
	s_delay_alu instid0(SALU_CYCLE_1)
	s_and_not1_b32 s1, s1, exec_lo
	s_and_b32 s27, s27, exec_lo
	s_and_b32 s26, s26, exec_lo
	s_and_not1_b32 s23, s23, exec_lo
	s_and_b32 s52, s25, exec_lo
	s_or_b32 s1, s1, s27
.LBB57_210:
	s_or_b32 exec_lo, exec_lo, s24
	s_delay_alu instid0(SALU_CYCLE_1)
	s_and_not1_b32 s24, s33, exec_lo
	s_and_b32 s25, s23, exec_lo
	s_and_b32 s21, s21, exec_lo
	s_or_b32 s33, s24, s25
	s_and_not1_b32 s24, s49, exec_lo
	s_and_not1_b32 s25, s50, exec_lo
	s_and_b32 s22, s22, exec_lo
	s_or_b32 s49, s24, s21
	s_and_not1_b32 s21, s48, exec_lo
	s_and_b32 s1, s1, exec_lo
	s_and_b32 s23, s26, exec_lo
	s_or_b32 s50, s25, s22
	s_and_b32 s52, s52, exec_lo
	s_or_b32 s48, s21, s1
.LBB57_211:
	s_or_b32 exec_lo, exec_lo, s51
	s_delay_alu instid0(SALU_CYCLE_1)
	s_and_not1_b32 s1, s42, exec_lo
	s_and_b32 s21, s33, exec_lo
	s_and_b32 s33, s23, exec_lo
	s_or_b32 s42, s1, s21
	s_and_not1_b32 s1, s44, exec_lo
	s_and_b32 s21, s49, exec_lo
	s_and_not1_b32 s22, s45, exec_lo
	s_and_b32 s23, s50, exec_lo
	s_or_b32 s44, s1, s21
	s_and_not1_b32 s1, s46, exec_lo
	s_and_b32 s21, s48, exec_lo
	s_or_b32 s45, s22, s23
	s_and_b32 s48, s52, exec_lo
	s_or_b32 s46, s1, s21
	s_or_b32 exec_lo, exec_lo, s47
	s_and_saveexec_b32 s1, s46
	s_cbranch_execz .LBB57_89
.LBB57_212:
	s_or_b32 s3, s3, exec_lo
	s_and_not1_b32 s48, s48, exec_lo
	s_trap 2
	s_branch .LBB57_89
.LBB57_213:
	s_or_b32 s3, s3, exec_lo
	s_trap 2
	s_branch .LBB57_76
.LBB57_214:
	s_or_b32 s3, s3, exec_lo
	s_and_not1_b32 s1, s1, exec_lo
	s_trap 2
	s_branch .LBB57_92
.LBB57_215:
	s_mov_b32 s3, exec_lo
	s_and_not1_b32 s0, s0, exec_lo
	s_trap 2
	s_branch .LBB57_67
	.section	.rodata,"a",@progbits
	.p2align	6, 0x0
	.amdhsa_kernel _ZN2at6native29vectorized_elementwise_kernelILi8EZZZNS0_12_GLOBAL__N_142_validate_compressed_sparse_indices_kernelILNS2_8CDimNameE0ENS2_18CUDAKernelLauncherENS2_14EmptyVecKernelENS2_8DummyVecELm0EEEvRKNS_6TensorESA_lllENKUlvE1_clEvENKUlvE0_clEvEUllllllE_St5arrayIPcLm6EEEEviT0_T1_
		.amdhsa_group_segment_fixed_size 0
		.amdhsa_private_segment_fixed_size 0
		.amdhsa_kernarg_size 112
		.amdhsa_user_sgpr_count 2
		.amdhsa_user_sgpr_dispatch_ptr 0
		.amdhsa_user_sgpr_queue_ptr 0
		.amdhsa_user_sgpr_kernarg_segment_ptr 1
		.amdhsa_user_sgpr_dispatch_id 0
		.amdhsa_user_sgpr_kernarg_preload_length 0
		.amdhsa_user_sgpr_kernarg_preload_offset 0
		.amdhsa_user_sgpr_private_segment_size 0
		.amdhsa_wavefront_size32 1
		.amdhsa_uses_dynamic_stack 0
		.amdhsa_enable_private_segment 0
		.amdhsa_system_sgpr_workgroup_id_x 1
		.amdhsa_system_sgpr_workgroup_id_y 0
		.amdhsa_system_sgpr_workgroup_id_z 0
		.amdhsa_system_sgpr_workgroup_info 0
		.amdhsa_system_vgpr_workitem_id 0
		.amdhsa_next_free_vgpr 58
		.amdhsa_next_free_sgpr 76
		.amdhsa_named_barrier_count 0
		.amdhsa_reserve_vcc 1
		.amdhsa_float_round_mode_32 0
		.amdhsa_float_round_mode_16_64 0
		.amdhsa_float_denorm_mode_32 3
		.amdhsa_float_denorm_mode_16_64 3
		.amdhsa_fp16_overflow 0
		.amdhsa_memory_ordered 1
		.amdhsa_forward_progress 1
		.amdhsa_inst_pref_size 103
		.amdhsa_round_robin_scheduling 0
		.amdhsa_exception_fp_ieee_invalid_op 0
		.amdhsa_exception_fp_denorm_src 0
		.amdhsa_exception_fp_ieee_div_zero 0
		.amdhsa_exception_fp_ieee_overflow 0
		.amdhsa_exception_fp_ieee_underflow 0
		.amdhsa_exception_fp_ieee_inexact 0
		.amdhsa_exception_int_div_zero 0
	.end_amdhsa_kernel
	.section	.text._ZN2at6native29vectorized_elementwise_kernelILi8EZZZNS0_12_GLOBAL__N_142_validate_compressed_sparse_indices_kernelILNS2_8CDimNameE0ENS2_18CUDAKernelLauncherENS2_14EmptyVecKernelENS2_8DummyVecELm0EEEvRKNS_6TensorESA_lllENKUlvE1_clEvENKUlvE0_clEvEUllllllE_St5arrayIPcLm6EEEEviT0_T1_,"axG",@progbits,_ZN2at6native29vectorized_elementwise_kernelILi8EZZZNS0_12_GLOBAL__N_142_validate_compressed_sparse_indices_kernelILNS2_8CDimNameE0ENS2_18CUDAKernelLauncherENS2_14EmptyVecKernelENS2_8DummyVecELm0EEEvRKNS_6TensorESA_lllENKUlvE1_clEvENKUlvE0_clEvEUllllllE_St5arrayIPcLm6EEEEviT0_T1_,comdat
.Lfunc_end57:
	.size	_ZN2at6native29vectorized_elementwise_kernelILi8EZZZNS0_12_GLOBAL__N_142_validate_compressed_sparse_indices_kernelILNS2_8CDimNameE0ENS2_18CUDAKernelLauncherENS2_14EmptyVecKernelENS2_8DummyVecELm0EEEvRKNS_6TensorESA_lllENKUlvE1_clEvENKUlvE0_clEvEUllllllE_St5arrayIPcLm6EEEEviT0_T1_, .Lfunc_end57-_ZN2at6native29vectorized_elementwise_kernelILi8EZZZNS0_12_GLOBAL__N_142_validate_compressed_sparse_indices_kernelILNS2_8CDimNameE0ENS2_18CUDAKernelLauncherENS2_14EmptyVecKernelENS2_8DummyVecELm0EEEvRKNS_6TensorESA_lllENKUlvE1_clEvENKUlvE0_clEvEUllllllE_St5arrayIPcLm6EEEEviT0_T1_
                                        ; -- End function
	.set _ZN2at6native29vectorized_elementwise_kernelILi8EZZZNS0_12_GLOBAL__N_142_validate_compressed_sparse_indices_kernelILNS2_8CDimNameE0ENS2_18CUDAKernelLauncherENS2_14EmptyVecKernelENS2_8DummyVecELm0EEEvRKNS_6TensorESA_lllENKUlvE1_clEvENKUlvE0_clEvEUllllllE_St5arrayIPcLm6EEEEviT0_T1_.num_vgpr, 58
	.set _ZN2at6native29vectorized_elementwise_kernelILi8EZZZNS0_12_GLOBAL__N_142_validate_compressed_sparse_indices_kernelILNS2_8CDimNameE0ENS2_18CUDAKernelLauncherENS2_14EmptyVecKernelENS2_8DummyVecELm0EEEvRKNS_6TensorESA_lllENKUlvE1_clEvENKUlvE0_clEvEUllllllE_St5arrayIPcLm6EEEEviT0_T1_.num_agpr, 0
	.set _ZN2at6native29vectorized_elementwise_kernelILi8EZZZNS0_12_GLOBAL__N_142_validate_compressed_sparse_indices_kernelILNS2_8CDimNameE0ENS2_18CUDAKernelLauncherENS2_14EmptyVecKernelENS2_8DummyVecELm0EEEvRKNS_6TensorESA_lllENKUlvE1_clEvENKUlvE0_clEvEUllllllE_St5arrayIPcLm6EEEEviT0_T1_.numbered_sgpr, 76
	.set _ZN2at6native29vectorized_elementwise_kernelILi8EZZZNS0_12_GLOBAL__N_142_validate_compressed_sparse_indices_kernelILNS2_8CDimNameE0ENS2_18CUDAKernelLauncherENS2_14EmptyVecKernelENS2_8DummyVecELm0EEEvRKNS_6TensorESA_lllENKUlvE1_clEvENKUlvE0_clEvEUllllllE_St5arrayIPcLm6EEEEviT0_T1_.num_named_barrier, 0
	.set _ZN2at6native29vectorized_elementwise_kernelILi8EZZZNS0_12_GLOBAL__N_142_validate_compressed_sparse_indices_kernelILNS2_8CDimNameE0ENS2_18CUDAKernelLauncherENS2_14EmptyVecKernelENS2_8DummyVecELm0EEEvRKNS_6TensorESA_lllENKUlvE1_clEvENKUlvE0_clEvEUllllllE_St5arrayIPcLm6EEEEviT0_T1_.private_seg_size, 0
	.set _ZN2at6native29vectorized_elementwise_kernelILi8EZZZNS0_12_GLOBAL__N_142_validate_compressed_sparse_indices_kernelILNS2_8CDimNameE0ENS2_18CUDAKernelLauncherENS2_14EmptyVecKernelENS2_8DummyVecELm0EEEvRKNS_6TensorESA_lllENKUlvE1_clEvENKUlvE0_clEvEUllllllE_St5arrayIPcLm6EEEEviT0_T1_.uses_vcc, 1
	.set _ZN2at6native29vectorized_elementwise_kernelILi8EZZZNS0_12_GLOBAL__N_142_validate_compressed_sparse_indices_kernelILNS2_8CDimNameE0ENS2_18CUDAKernelLauncherENS2_14EmptyVecKernelENS2_8DummyVecELm0EEEvRKNS_6TensorESA_lllENKUlvE1_clEvENKUlvE0_clEvEUllllllE_St5arrayIPcLm6EEEEviT0_T1_.uses_flat_scratch, 0
	.set _ZN2at6native29vectorized_elementwise_kernelILi8EZZZNS0_12_GLOBAL__N_142_validate_compressed_sparse_indices_kernelILNS2_8CDimNameE0ENS2_18CUDAKernelLauncherENS2_14EmptyVecKernelENS2_8DummyVecELm0EEEvRKNS_6TensorESA_lllENKUlvE1_clEvENKUlvE0_clEvEUllllllE_St5arrayIPcLm6EEEEviT0_T1_.has_dyn_sized_stack, 0
	.set _ZN2at6native29vectorized_elementwise_kernelILi8EZZZNS0_12_GLOBAL__N_142_validate_compressed_sparse_indices_kernelILNS2_8CDimNameE0ENS2_18CUDAKernelLauncherENS2_14EmptyVecKernelENS2_8DummyVecELm0EEEvRKNS_6TensorESA_lllENKUlvE1_clEvENKUlvE0_clEvEUllllllE_St5arrayIPcLm6EEEEviT0_T1_.has_recursion, 0
	.set _ZN2at6native29vectorized_elementwise_kernelILi8EZZZNS0_12_GLOBAL__N_142_validate_compressed_sparse_indices_kernelILNS2_8CDimNameE0ENS2_18CUDAKernelLauncherENS2_14EmptyVecKernelENS2_8DummyVecELm0EEEvRKNS_6TensorESA_lllENKUlvE1_clEvENKUlvE0_clEvEUllllllE_St5arrayIPcLm6EEEEviT0_T1_.has_indirect_call, 0
	.section	.AMDGPU.csdata,"",@progbits
; Kernel info:
; codeLenInByte = 13128
; TotalNumSgprs: 78
; NumVgprs: 58
; ScratchSize: 0
; MemoryBound: 1
; FloatMode: 240
; IeeeMode: 1
; LDSByteSize: 0 bytes/workgroup (compile time only)
; SGPRBlocks: 0
; VGPRBlocks: 3
; NumSGPRsForWavesPerEU: 78
; NumVGPRsForWavesPerEU: 58
; NamedBarCnt: 0
; Occupancy: 16
; WaveLimiterHint : 0
; COMPUTE_PGM_RSRC2:SCRATCH_EN: 0
; COMPUTE_PGM_RSRC2:USER_SGPR: 2
; COMPUTE_PGM_RSRC2:TRAP_HANDLER: 0
; COMPUTE_PGM_RSRC2:TGID_X_EN: 1
; COMPUTE_PGM_RSRC2:TGID_Y_EN: 0
; COMPUTE_PGM_RSRC2:TGID_Z_EN: 0
; COMPUTE_PGM_RSRC2:TIDIG_COMP_CNT: 0
	.section	.text._ZN2at6native29vectorized_elementwise_kernelILi4EZZZNS0_12_GLOBAL__N_142_validate_compressed_sparse_indices_kernelILNS2_8CDimNameE0ENS2_18CUDAKernelLauncherENS2_14EmptyVecKernelENS2_8DummyVecELm0EEEvRKNS_6TensorESA_lllENKUlvE1_clEvENKUlvE0_clEvEUllllllE_St5arrayIPcLm6EEEEviT0_T1_,"axG",@progbits,_ZN2at6native29vectorized_elementwise_kernelILi4EZZZNS0_12_GLOBAL__N_142_validate_compressed_sparse_indices_kernelILNS2_8CDimNameE0ENS2_18CUDAKernelLauncherENS2_14EmptyVecKernelENS2_8DummyVecELm0EEEvRKNS_6TensorESA_lllENKUlvE1_clEvENKUlvE0_clEvEUllllllE_St5arrayIPcLm6EEEEviT0_T1_,comdat
	.globl	_ZN2at6native29vectorized_elementwise_kernelILi4EZZZNS0_12_GLOBAL__N_142_validate_compressed_sparse_indices_kernelILNS2_8CDimNameE0ENS2_18CUDAKernelLauncherENS2_14EmptyVecKernelENS2_8DummyVecELm0EEEvRKNS_6TensorESA_lllENKUlvE1_clEvENKUlvE0_clEvEUllllllE_St5arrayIPcLm6EEEEviT0_T1_ ; -- Begin function _ZN2at6native29vectorized_elementwise_kernelILi4EZZZNS0_12_GLOBAL__N_142_validate_compressed_sparse_indices_kernelILNS2_8CDimNameE0ENS2_18CUDAKernelLauncherENS2_14EmptyVecKernelENS2_8DummyVecELm0EEEvRKNS_6TensorESA_lllENKUlvE1_clEvENKUlvE0_clEvEUllllllE_St5arrayIPcLm6EEEEviT0_T1_
	.p2align	8
	.type	_ZN2at6native29vectorized_elementwise_kernelILi4EZZZNS0_12_GLOBAL__N_142_validate_compressed_sparse_indices_kernelILNS2_8CDimNameE0ENS2_18CUDAKernelLauncherENS2_14EmptyVecKernelENS2_8DummyVecELm0EEEvRKNS_6TensorESA_lllENKUlvE1_clEvENKUlvE0_clEvEUllllllE_St5arrayIPcLm6EEEEviT0_T1_,@function
_ZN2at6native29vectorized_elementwise_kernelILi4EZZZNS0_12_GLOBAL__N_142_validate_compressed_sparse_indices_kernelILNS2_8CDimNameE0ENS2_18CUDAKernelLauncherENS2_14EmptyVecKernelENS2_8DummyVecELm0EEEvRKNS_6TensorESA_lllENKUlvE1_clEvENKUlvE0_clEvEUllllllE_St5arrayIPcLm6EEEEviT0_T1_: ; @_ZN2at6native29vectorized_elementwise_kernelILi4EZZZNS0_12_GLOBAL__N_142_validate_compressed_sparse_indices_kernelILNS2_8CDimNameE0ENS2_18CUDAKernelLauncherENS2_14EmptyVecKernelENS2_8DummyVecELm0EEEvRKNS_6TensorESA_lllENKUlvE1_clEvENKUlvE0_clEvEUllllllE_St5arrayIPcLm6EEEEviT0_T1_
; %bb.0:
	s_clause 0x3
	s_load_b32 s3, s[0:1], 0x0
	s_load_b512 s[4:19], s[0:1], 0x8
	s_load_b64 s[28:29], s[0:1], 0x68
	s_load_b256 s[20:27], s[0:1], 0x48
	s_wait_xcnt 0x0
	s_bfe_u32 s0, ttmp6, 0x4000c
	s_and_b32 s1, ttmp6, 15
	s_add_co_i32 s0, s0, 1
	s_getreg_b32 s2, hwreg(HW_REG_IB_STS2, 6, 4)
	s_mul_i32 s0, ttmp9, s0
	s_mov_b32 s33, 0
	s_add_co_i32 s1, s1, s0
	s_cmp_eq_u32 s2, 0
	s_get_pc_i64 s[30:31]
	s_add_nc_u64 s[30:31], s[30:31], .str.1@rel64+4
	s_cselect_b32 s0, ttmp9, s1
	s_delay_alu instid0(SALU_CYCLE_1)
	s_lshl_b32 s2, s0, 10
	s_mov_b32 s0, -1
	s_wait_kmcnt 0x0
	s_sub_co_i32 s11, s3, s2
	s_mov_b32 s3, 0
	s_cmp_gt_i32 s11, 0x3ff
	s_cbranch_scc0 .LBB58_77
; %bb.1:
	s_cmp_eq_u64 s[30:31], 0
	s_cselect_b32 s0, -1, 0
	s_cmp_lg_u64 s[30:31], 0
	s_cbranch_scc0 .LBB58_75
; %bb.2:
	s_ashr_i32 s3, s2, 31
	v_lshlrev_b32_e32 v36, 5, v0
	s_lshl_b64 s[34:35], s[2:3], 3
	s_mov_b32 s0, -1
	s_add_nc_u64 s[38:39], s[20:21], s[34:35]
	s_mov_b32 s3, 0
	global_load_b64 v[2:3], v36, s[38:39]
	s_mov_b32 s50, exec_lo
	s_wait_loadcnt 0x0
	v_cmpx_eq_u64_e64 s[4:5], v[2:3]
	s_cbranch_execz .LBB58_74
; %bb.3:
	s_add_nc_u64 s[0:1], s[22:23], s[34:35]
	s_get_pc_i64 s[36:37]
	s_add_nc_u64 s[36:37], s[36:37], .str.2@rel64+4
	s_clause 0x1
	global_load_b128 v[32:35], v36, s[0:1]
	global_load_b128 v[26:29], v36, s[0:1] offset:16
	s_cmp_lg_u64 s[36:37], 0
	v_mov_b32_e32 v37, 0
	s_wait_xcnt 0x0
	s_cselect_b32 s1, -1, 0
	s_mov_b32 s40, -1
	s_mov_b32 s0, 0
	s_mov_b32 s37, 0
	;; [unrolled: 1-line block ×3, first 2 shown]
                                        ; implicit-def: $sgpr51
                                        ; implicit-def: $sgpr52
                                        ; implicit-def: $sgpr36
                                        ; implicit-def: $sgpr55
                                        ; implicit-def: $vgpr18_vgpr19_vgpr20_vgpr21_vgpr22_vgpr23_vgpr24_vgpr25
                                        ; implicit-def: $vgpr2_vgpr3_vgpr4_vgpr5_vgpr6_vgpr7_vgpr8_vgpr9
                                        ; implicit-def: $vgpr10_vgpr11_vgpr12_vgpr13_vgpr14_vgpr15_vgpr16_vgpr17
	s_wait_loadcnt 0x1
	v_cmp_eq_u64_e32 vcc_lo, s[8:9], v[32:33]
	s_and_b32 s41, s1, vcc_lo
	s_mov_b32 s1, 0
	s_and_saveexec_b32 s53, s41
	s_cbranch_execz .LBB58_66
; %bb.4:
	s_add_nc_u64 s[0:1], s[26:27], s[34:35]
	s_add_nc_u64 s[36:37], s[24:25], s[34:35]
	s_clause 0x3
	global_load_b128 v[10:13], v36, s[0:1]
	global_load_b128 v[30:33], v36, s[36:37]
	global_load_b128 v[14:17], v36, s[36:37] offset:16
	global_load_b128 v[6:9], v36, s[0:1] offset:16
	s_get_pc_i64 s[42:43]
	s_add_nc_u64 s[42:43], s[42:43], .str.3@rel64+4
	s_wait_xcnt 0x1
	s_mov_b32 s37, -1
	s_cmp_lg_u64 s[42:43], 0
	s_mov_b32 s40, 0
	s_wait_xcnt 0x0
	s_cselect_b32 s1, -1, 0
	s_mov_b32 s41, 0
	s_mov_b32 s42, 0
                                        ; implicit-def: $sgpr51
                                        ; implicit-def: $sgpr52
                                        ; implicit-def: $sgpr36
                                        ; implicit-def: $vgpr18_vgpr19_vgpr20_vgpr21_vgpr22_vgpr23_vgpr24_vgpr25
	s_wait_loadcnt 0x2
	v_sub_nc_u64_e32 v[2:3], v[10:11], v[30:31]
	s_delay_alu instid0(VALU_DEP_1) | instskip(SKIP_2) | instid1(SALU_CYCLE_1)
	v_cmp_le_i64_e32 vcc_lo, s[4:5], v[2:3]
	v_cmp_ge_i64_e64 s0, s[6:7], v[2:3]
	s_and_b32 s0, vcc_lo, s0
	s_and_b32 s0, s1, s0
	s_mov_b32 s1, 0
	s_and_saveexec_b32 s54, s0
	s_cbranch_execz .LBB58_65
; %bb.5:
	v_add_nc_u64_e32 v[40:41], s[38:39], v[36:37]
	s_add_nc_u64 s[0:1], s[28:29], s[34:35]
	s_add_co_i32 s36, s10, -1
	s_clause 0x1
	global_load_b64 v[38:39], v[40:41], off offset:24
	global_load_b128 v[2:5], v[40:41], off offset:8
	s_clause 0x1
	global_load_b128 v[22:25], v36, s[0:1] offset:16
	global_load_b128 v[18:21], v36, s[0:1]
	s_wait_xcnt 0x0
	v_cmp_gt_i64_e64 s0, s[8:9], 0
	s_cmp_gt_i32 s36, -1
	v_mov_b64_e32 v[40:41], 0
	s_cselect_b32 s1, -1, 0
	s_delay_alu instid0(SALU_CYCLE_1) | instskip(NEXT) | instid1(SALU_CYCLE_1)
	s_and_b32 s52, s0, s1
	s_and_not1_b32 vcc_lo, exec_lo, s52
	s_cbranch_vccnz .LBB58_12
; %bb.6:
	s_wait_loadcnt 0x0
	v_mul_u64_e32 v[42:43], s[8:9], v[18:19]
	s_mov_b32 s1, 0
	v_mov_b64_e32 v[40:41], 0
	s_mov_b32 s37, s1
	v_mov_b32_e32 v18, 0
	s_lshl_b64 s[42:43], s[36:37], 3
	s_mov_b64 s[38:39], 0xffffffff
	s_add_nc_u64 s[40:41], s[12:13], s[42:43]
	s_add_nc_u64 s[42:43], s[14:15], s[42:43]
	s_mov_b32 s37, s10
	s_branch .LBB58_8
.LBB58_7:                               ;   in Loop: Header=BB58_8 Depth=1
	s_or_b32 exec_lo, exec_lo, s0
	s_delay_alu instid0(VALU_DEP_1)
	v_mul_u64_e32 v[46:47], s[44:45], v[44:45]
	s_load_b64 s[44:45], s[42:43], 0x0
	s_add_co_i32 s37, s37, -1
	s_add_nc_u64 s[40:41], s[40:41], -8
	s_cmp_eq_u32 s37, 0
	s_wait_xcnt 0x0
	s_add_nc_u64 s[42:43], s[42:43], -8
	s_delay_alu instid0(VALU_DEP_1) | instskip(SKIP_1) | instid1(VALU_DEP_1)
	v_sub_nc_u64_e32 v[42:43], v[42:43], v[46:47]
	s_wait_kmcnt 0x0
	v_mad_nc_u64_u32 v[40:41], v42, s44, v[40:41]
	s_delay_alu instid0(VALU_DEP_1) | instskip(NEXT) | instid1(VALU_DEP_1)
	v_mad_u32 v1, v43, s44, v41
	v_mad_u32 v41, v42, s45, v1
	v_mov_b64_e32 v[42:43], v[44:45]
	s_cbranch_scc1 .LBB58_12
.LBB58_8:                               ; =>This Inner Loop Header: Depth=1
	s_load_b64 s[44:45], s[40:41], 0x0
                                        ; implicit-def: $vgpr44_vgpr45
	s_mov_b32 s0, exec_lo
	s_wait_kmcnt 0x0
	s_delay_alu instid0(VALU_DEP_1) | instskip(NEXT) | instid1(VALU_DEP_1)
	v_or_b32_e32 v19, s45, v43
	v_cmpx_ne_u64_e32 0, v[18:19]
	s_xor_b32 s51, exec_lo, s0
	s_cbranch_execz .LBB58_10
; %bb.9:                                ;   in Loop: Header=BB58_8 Depth=1
	s_ashr_i32 s46, s45, 31
	v_dual_mov_b32 v49, v18 :: v_dual_ashrrev_i32 v44, 31, v43
	s_mov_b32 s47, s46
	s_delay_alu instid0(SALU_CYCLE_1) | instskip(NEXT) | instid1(VALU_DEP_1)
	s_add_nc_u64 s[48:49], s[44:45], s[46:47]
	v_mov_b32_e32 v45, v44
	s_xor_b64 s[48:49], s[48:49], s[46:47]
	s_delay_alu instid0(SALU_CYCLE_1)
	s_cvt_f32_u32 s0, s48
	s_cvt_f32_u32 s47, s49
	s_sub_nc_u64 s[58:59], 0, s[48:49]
	v_add_nc_u64_e32 v[46:47], v[42:43], v[44:45]
	v_mov_b32_e32 v53, v18
	s_fmamk_f32 s0, s47, 0x4f800000, s0
	s_delay_alu instid0(SALU_CYCLE_3) | instskip(NEXT) | instid1(VALU_DEP_2)
	v_s_rcp_f32 s0, s0
	v_xor_b32_e32 v48, v46, v44
	s_delay_alu instid0(VALU_DEP_3) | instskip(NEXT) | instid1(TRANS32_DEP_1)
	v_dual_mov_b32 v57, v18 :: v_dual_bitop2_b32 v52, v47, v44 bitop3:0x14
	s_mul_f32 s0, s0, 0x5f7ffffc
	s_delay_alu instid0(SALU_CYCLE_3) | instskip(NEXT) | instid1(SALU_CYCLE_3)
	s_mul_f32 s47, s0, 0x2f800000
	s_trunc_f32 s47, s47
	s_delay_alu instid0(SALU_CYCLE_3) | instskip(SKIP_1) | instid1(SALU_CYCLE_2)
	s_fmamk_f32 s0, s47, 0xcf800000, s0
	s_cvt_u32_f32 s57, s47
	s_cvt_u32_f32 s56, s0
	s_delay_alu instid0(SALU_CYCLE_3) | instskip(NEXT) | instid1(SALU_CYCLE_1)
	s_mul_u64 s[60:61], s[58:59], s[56:57]
	s_mul_hi_u32 s63, s56, s61
	s_mul_i32 s62, s56, s61
	s_mul_hi_u32 s0, s56, s60
	s_mul_i32 s55, s57, s60
	s_add_nc_u64 s[62:63], s[0:1], s[62:63]
	s_mul_hi_u32 s47, s57, s60
	s_mul_hi_u32 s64, s57, s61
	s_add_co_u32 s0, s62, s55
	s_add_co_ci_u32 s0, s63, s47
	s_mul_i32 s60, s57, s61
	s_add_co_ci_u32 s61, s64, 0
	s_delay_alu instid0(SALU_CYCLE_1) | instskip(NEXT) | instid1(SALU_CYCLE_1)
	s_add_nc_u64 s[60:61], s[0:1], s[60:61]
	s_add_co_u32 s56, s56, s60
	s_cselect_b32 s0, -1, 0
	s_delay_alu instid0(SALU_CYCLE_1) | instskip(SKIP_1) | instid1(SALU_CYCLE_1)
	s_cmp_lg_u32 s0, 0
	s_add_co_ci_u32 s57, s57, s61
	s_mul_u64 s[58:59], s[58:59], s[56:57]
	s_delay_alu instid0(SALU_CYCLE_1)
	s_mul_hi_u32 s61, s56, s59
	s_mul_i32 s60, s56, s59
	s_mul_hi_u32 s0, s56, s58
	s_mul_i32 s55, s57, s58
	s_add_nc_u64 s[60:61], s[0:1], s[60:61]
	s_mul_hi_u32 s47, s57, s58
	s_mul_hi_u32 s62, s57, s59
	s_add_co_u32 s0, s60, s55
	s_add_co_ci_u32 s0, s61, s47
	s_mul_i32 s58, s57, s59
	s_add_co_ci_u32 s59, s62, 0
	s_delay_alu instid0(SALU_CYCLE_1) | instskip(NEXT) | instid1(SALU_CYCLE_1)
	s_add_nc_u64 s[58:59], s[0:1], s[58:59]
	s_add_co_u32 s56, s56, s58
	s_cselect_b32 s0, -1, 0
	v_mul_hi_u32 v56, v48, s56
	s_cmp_lg_u32 s0, 0
	s_add_co_ci_u32 s0, s57, s59
	s_and_b64 s[58:59], s[56:57], s[38:39]
	v_mul_u64_e32 v[50:51], s[0:1], v[48:49]
	v_mul_u64_e32 v[46:47], s[58:59], v[52:53]
	;; [unrolled: 1-line block ×3, first 2 shown]
	s_delay_alu instid0(VALU_DEP_3) | instskip(NEXT) | instid1(VALU_DEP_1)
	v_add_nc_u64_e32 v[50:51], v[56:57], v[50:51]
	v_add_co_u32 v1, vcc_lo, v50, v46
	s_delay_alu instid0(VALU_DEP_2) | instskip(NEXT) | instid1(VALU_DEP_4)
	v_add_co_ci_u32_e32 v56, vcc_lo, v51, v47, vcc_lo
	v_add_co_ci_u32_e32 v55, vcc_lo, 0, v55, vcc_lo
	s_delay_alu instid0(VALU_DEP_1) | instskip(NEXT) | instid1(VALU_DEP_1)
	v_add_nc_u64_e32 v[46:47], v[56:57], v[54:55]
	v_mul_u64_e32 v[50:51], s[48:49], v[46:47]
	s_delay_alu instid0(VALU_DEP_1) | instskip(NEXT) | instid1(VALU_DEP_2)
	v_sub_nc_u32_e32 v1, v52, v51
	v_sub_co_u32 v19, vcc_lo, v48, v50
	s_delay_alu instid0(VALU_DEP_1) | instskip(NEXT) | instid1(VALU_DEP_3)
	v_sub_co_ci_u32_e64 v45, null, v52, v51, vcc_lo
	v_subrev_co_ci_u32_e64 v1, null, s49, v1, vcc_lo
	s_delay_alu instid0(VALU_DEP_3) | instskip(SKIP_1) | instid1(VALU_DEP_3)
	v_sub_co_u32 v37, s0, v19, s48
	v_add_nc_u64_e32 v[50:51], 1, v[46:47]
	v_subrev_co_ci_u32_e64 v1, null, 0, v1, s0
	s_delay_alu instid0(VALU_DEP_3) | instskip(SKIP_1) | instid1(VALU_DEP_3)
	v_cmp_le_u32_e32 vcc_lo, s48, v37
	v_cndmask_b32_e64 v37, 0, -1, vcc_lo
	v_cmp_le_u32_e32 vcc_lo, s49, v1
	v_cndmask_b32_e64 v48, 0, -1, vcc_lo
	;; [unrolled: 2-line block ×4, first 2 shown]
	v_cmp_eq_u32_e32 vcc_lo, s49, v1
	v_cndmask_b32_e32 v1, v48, v37, vcc_lo
	v_cmp_eq_u32_e32 vcc_lo, s49, v45
	v_add_nc_u64_e32 v[48:49], 2, v[46:47]
	v_cndmask_b32_e32 v19, v52, v19, vcc_lo
	s_delay_alu instid0(VALU_DEP_4) | instskip(NEXT) | instid1(VALU_DEP_3)
	v_cmp_ne_u32_e32 vcc_lo, 0, v1
	v_cndmask_b32_e32 v1, v51, v49, vcc_lo
	s_delay_alu instid0(VALU_DEP_3) | instskip(SKIP_1) | instid1(VALU_DEP_2)
	v_cmp_ne_u32_e64 s0, 0, v19
	v_cndmask_b32_e32 v19, v50, v48, vcc_lo
	v_dual_cndmask_b32 v1, v47, v1, s0 :: v_dual_bitop2_b32 v44, s46, v44 bitop3:0x14
	s_delay_alu instid0(VALU_DEP_1) | instskip(NEXT) | instid1(VALU_DEP_2)
	v_dual_cndmask_b32 v19, v46, v19, s0 :: v_dual_mov_b32 v45, v44
	v_xor_b32_e32 v47, v1, v44
	s_delay_alu instid0(VALU_DEP_2) | instskip(NEXT) | instid1(VALU_DEP_1)
	v_xor_b32_e32 v46, v19, v44
	v_sub_nc_u64_e32 v[44:45], v[46:47], v[44:45]
.LBB58_10:                              ;   in Loop: Header=BB58_8 Depth=1
	s_and_not1_saveexec_b32 s0, s51
	s_cbranch_execz .LBB58_7
; %bb.11:                               ;   in Loop: Header=BB58_8 Depth=1
	v_cvt_f32_u32_e32 v1, s44
	s_sub_co_i32 s46, 0, s44
	v_mov_b32_e32 v45, v18
	s_delay_alu instid0(VALU_DEP_2) | instskip(SKIP_1) | instid1(TRANS32_DEP_1)
	v_rcp_iflag_f32_e32 v1, v1
	v_nop
	v_mul_f32_e32 v1, 0x4f7ffffe, v1
	s_delay_alu instid0(VALU_DEP_1) | instskip(NEXT) | instid1(VALU_DEP_1)
	v_cvt_u32_f32_e32 v1, v1
	v_mul_lo_u32 v19, s46, v1
	s_delay_alu instid0(VALU_DEP_1) | instskip(NEXT) | instid1(VALU_DEP_1)
	v_mul_hi_u32 v19, v1, v19
	v_add_nc_u32_e32 v1, v1, v19
	s_delay_alu instid0(VALU_DEP_1) | instskip(NEXT) | instid1(VALU_DEP_1)
	v_mul_hi_u32 v1, v42, v1
	v_mul_lo_u32 v19, v1, s44
	s_delay_alu instid0(VALU_DEP_1) | instskip(NEXT) | instid1(VALU_DEP_1)
	v_sub_nc_u32_e32 v19, v42, v19
	v_subrev_nc_u32_e32 v44, s44, v19
	v_cmp_le_u32_e32 vcc_lo, s44, v19
	s_delay_alu instid0(VALU_DEP_2) | instskip(NEXT) | instid1(VALU_DEP_1)
	v_dual_add_nc_u32 v37, 1, v1 :: v_dual_cndmask_b32 v19, v19, v44, vcc_lo
	v_cndmask_b32_e32 v1, v1, v37, vcc_lo
	s_delay_alu instid0(VALU_DEP_2) | instskip(NEXT) | instid1(VALU_DEP_2)
	v_cmp_le_u32_e32 vcc_lo, s44, v19
	v_add_nc_u32_e32 v37, 1, v1
	s_delay_alu instid0(VALU_DEP_1)
	v_cndmask_b32_e32 v44, v1, v37, vcc_lo
	s_branch .LBB58_7
.LBB58_12:
	s_get_pc_i64 s[0:1]
	s_add_nc_u64 s[0:1], s[0:1], .str.4@rel64+4
	s_mov_b32 s37, -1
	s_cmp_lg_u64 s[0:1], 0
	s_mov_b32 s0, 0
	s_cselect_b32 s51, -1, 0
	s_mov_b32 s55, 0
	s_mov_b32 s1, exec_lo
	v_cmpx_gt_i64_e64 v[10:11], v[30:31]
	s_cbranch_execz .LBB58_18
; %bb.13:
	s_wait_loadcnt 0x0
	v_lshlrev_b64_e32 v[18:19], 3, v[40:41]
	s_mov_b32 s37, 0
	s_xor_b32 s39, s51, -1
                                        ; implicit-def: $sgpr38
                                        ; implicit-def: $sgpr41
                                        ; implicit-def: $sgpr40
	s_delay_alu instid0(VALU_DEP_1) | instskip(SKIP_1) | instid1(VALU_DEP_2)
	v_lshl_add_u64 v[30:31], v[30:31], 3, v[18:19]
	v_add_nc_u64_e32 v[40:41], s[16:17], v[18:19]
	v_add_nc_u64_e32 v[30:31], s[16:17], v[30:31]
	s_delay_alu instid0(VALU_DEP_2) | instskip(NEXT) | instid1(VALU_DEP_2)
	v_lshl_add_u64 v[10:11], v[10:11], 3, v[40:41]
	v_add_nc_u64_e32 v[18:19], 8, v[30:31]
	s_branch .LBB58_15
.LBB58_14:                              ;   in Loop: Header=BB58_15 Depth=1
	s_or_b32 exec_lo, exec_lo, s42
	s_delay_alu instid0(SALU_CYCLE_1) | instskip(NEXT) | instid1(SALU_CYCLE_1)
	s_and_b32 s42, exec_lo, s41
	s_or_b32 s37, s42, s37
	s_and_not1_b32 s38, s38, exec_lo
	s_and_b32 s42, s40, exec_lo
	s_delay_alu instid0(SALU_CYCLE_1)
	s_or_b32 s38, s38, s42
	s_and_not1_b32 exec_lo, exec_lo, s37
	s_cbranch_execz .LBB58_17
.LBB58_15:                              ; =>This Inner Loop Header: Depth=1
	s_or_b32 s40, s40, exec_lo
	s_or_b32 s41, s41, exec_lo
	s_mov_b32 s42, exec_lo
	s_delay_alu instid0(VALU_DEP_1)
	v_cmpx_lt_u64_e64 v[18:19], v[10:11]
	s_cbranch_execz .LBB58_14
; %bb.16:                               ;   in Loop: Header=BB58_15 Depth=1
	global_load_b128 v[40:43], v[18:19], off offset:-8
	s_wait_xcnt 0x0
	v_add_nc_u64_e32 v[18:19], 8, v[18:19]
	s_and_not1_b32 s41, s41, exec_lo
	s_and_not1_b32 s40, s40, exec_lo
	s_wait_loadcnt 0x0
	v_cmp_ge_i64_e32 vcc_lo, v[40:41], v[42:43]
	s_or_b32 s43, s39, vcc_lo
	s_delay_alu instid0(SALU_CYCLE_1) | instskip(NEXT) | instid1(SALU_CYCLE_1)
	s_and_b32 s43, s43, exec_lo
	s_or_b32 s41, s41, s43
	s_branch .LBB58_14
.LBB58_17:
	s_or_b32 exec_lo, exec_lo, s37
	s_delay_alu instid0(SALU_CYCLE_1)
	s_mov_b32 s55, exec_lo
	s_or_not1_b32 s37, s38, exec_lo
.LBB58_18:
	s_or_b32 exec_lo, exec_lo, s1
	s_mov_b32 s38, 0
	s_mov_b32 s39, 0
	;; [unrolled: 1-line block ×3, first 2 shown]
	s_and_saveexec_b32 s56, s37
	s_cbranch_execz .LBB58_64
; %bb.19:
	s_mov_b32 s0, 0
	s_mov_b32 s1, -1
	s_mov_b32 s37, 0
	s_mov_b32 s57, exec_lo
	s_wait_loadcnt 0x2
	v_cmpx_eq_u64_e64 s[4:5], v[2:3]
	s_cbranch_execz .LBB58_63
; %bb.20:
	s_mov_b32 s0, -1
	s_mov_b32 s40, 0
	s_mov_b32 s41, 0
	s_mov_b32 s58, exec_lo
	v_cmpx_eq_u64_e64 s[8:9], v[34:35]
	s_cbranch_execz .LBB58_62
; %bb.21:
	v_sub_nc_u64_e32 v[2:3], v[12:13], v[32:33]
	s_mov_b32 s37, -1
	s_mov_b32 s1, 0
	s_delay_alu instid0(VALU_DEP_1) | instskip(SKIP_2) | instid1(SALU_CYCLE_1)
	v_cmp_le_i64_e32 vcc_lo, s[4:5], v[2:3]
	v_cmp_ge_i64_e64 s0, s[6:7], v[2:3]
	s_and_b32 s0, vcc_lo, s0
	s_and_saveexec_b32 s59, s0
	s_cbranch_execz .LBB58_61
; %bb.22:
	v_mov_b64_e32 v[2:3], 0
	s_and_not1_b32 vcc_lo, exec_lo, s52
	s_cbranch_vccnz .LBB58_29
; %bb.23:
	s_wait_loadcnt 0x0
	v_mul_u64_e32 v[18:19], s[8:9], v[20:21]
	v_mov_b64_e32 v[2:3], 0
	s_mov_b32 s37, s1
	v_mov_b32_e32 v10, 0
	s_lshl_b64 s[42:43], s[36:37], 3
	s_mov_b64 s[38:39], 0xffffffff
	s_add_nc_u64 s[40:41], s[12:13], s[42:43]
	s_add_nc_u64 s[42:43], s[14:15], s[42:43]
	s_mov_b32 s37, s10
	s_branch .LBB58_25
.LBB58_24:                              ;   in Loop: Header=BB58_25 Depth=1
	s_or_b32 exec_lo, exec_lo, s0
	s_delay_alu instid0(VALU_DEP_1)
	v_mul_u64_e32 v[30:31], s[44:45], v[20:21]
	s_load_b64 s[44:45], s[42:43], 0x0
	s_add_co_i32 s37, s37, -1
	s_add_nc_u64 s[40:41], s[40:41], -8
	s_cmp_lg_u32 s37, 0
	s_wait_xcnt 0x0
	s_add_nc_u64 s[42:43], s[42:43], -8
	s_delay_alu instid0(VALU_DEP_1) | instskip(SKIP_1) | instid1(VALU_DEP_1)
	v_sub_nc_u64_e32 v[18:19], v[18:19], v[30:31]
	s_wait_kmcnt 0x0
	v_mad_nc_u64_u32 v[2:3], v18, s44, v[2:3]
	s_delay_alu instid0(VALU_DEP_1) | instskip(NEXT) | instid1(VALU_DEP_1)
	v_mad_u32 v1, v19, s44, v3
	v_mad_u32 v3, v18, s45, v1
	v_mov_b64_e32 v[18:19], v[20:21]
	s_cbranch_scc0 .LBB58_29
.LBB58_25:                              ; =>This Inner Loop Header: Depth=1
	s_load_b64 s[44:45], s[40:41], 0x0
                                        ; implicit-def: $vgpr20_vgpr21
	s_mov_b32 s0, exec_lo
	s_wait_kmcnt 0x0
	s_delay_alu instid0(VALU_DEP_1) | instskip(NEXT) | instid1(VALU_DEP_1)
	v_or_b32_e32 v11, s45, v19
	v_cmpx_ne_u64_e32 0, v[10:11]
	s_xor_b32 s60, exec_lo, s0
	s_cbranch_execz .LBB58_27
; %bb.26:                               ;   in Loop: Header=BB58_25 Depth=1
	s_ashr_i32 s46, s45, 31
	v_dual_mov_b32 v35, v10 :: v_dual_ashrrev_i32 v20, 31, v19
	s_mov_b32 s47, s46
	v_mov_b32_e32 v47, v10
	s_add_nc_u64 s[48:49], s[44:45], s[46:47]
	s_delay_alu instid0(VALU_DEP_2) | instskip(SKIP_1) | instid1(SALU_CYCLE_1)
	v_mov_b32_e32 v21, v20
	s_xor_b64 s[48:49], s[48:49], s[46:47]
	s_cvt_f32_u32 s0, s48
	s_cvt_f32_u32 s47, s49
	s_sub_nc_u64 s[64:65], 0, s[48:49]
	v_add_nc_u64_e32 v[30:31], v[18:19], v[20:21]
	v_mov_b32_e32 v43, v10
	s_fmamk_f32 s0, s47, 0x4f800000, s0
	s_delay_alu instid0(SALU_CYCLE_3) | instskip(NEXT) | instid1(VALU_DEP_2)
	v_s_rcp_f32 s0, s0
	v_xor_b32_e32 v34, v30, v20
	s_delay_alu instid0(VALU_DEP_3) | instskip(NEXT) | instid1(TRANS32_DEP_1)
	v_xor_b32_e32 v42, v31, v20
	s_mul_f32 s0, s0, 0x5f7ffffc
	s_delay_alu instid0(SALU_CYCLE_3) | instskip(NEXT) | instid1(SALU_CYCLE_3)
	s_mul_f32 s47, s0, 0x2f800000
	s_trunc_f32 s47, s47
	s_delay_alu instid0(SALU_CYCLE_3) | instskip(SKIP_1) | instid1(SALU_CYCLE_2)
	s_fmamk_f32 s0, s47, 0xcf800000, s0
	s_cvt_u32_f32 s63, s47
	s_cvt_u32_f32 s62, s0
	s_delay_alu instid0(SALU_CYCLE_3) | instskip(NEXT) | instid1(SALU_CYCLE_1)
	s_mul_u64 s[66:67], s[64:65], s[62:63]
	s_mul_hi_u32 s69, s62, s67
	s_mul_i32 s68, s62, s67
	s_mul_hi_u32 s0, s62, s66
	s_mul_i32 s61, s63, s66
	s_add_nc_u64 s[68:69], s[0:1], s[68:69]
	s_mul_hi_u32 s47, s63, s66
	s_mul_hi_u32 s70, s63, s67
	s_add_co_u32 s0, s68, s61
	s_add_co_ci_u32 s0, s69, s47
	s_mul_i32 s66, s63, s67
	s_add_co_ci_u32 s67, s70, 0
	s_delay_alu instid0(SALU_CYCLE_1) | instskip(NEXT) | instid1(SALU_CYCLE_1)
	s_add_nc_u64 s[66:67], s[0:1], s[66:67]
	s_add_co_u32 s62, s62, s66
	s_cselect_b32 s0, -1, 0
	s_delay_alu instid0(SALU_CYCLE_1) | instskip(SKIP_1) | instid1(SALU_CYCLE_1)
	s_cmp_lg_u32 s0, 0
	s_add_co_ci_u32 s63, s63, s67
	s_mul_u64 s[64:65], s[64:65], s[62:63]
	s_delay_alu instid0(SALU_CYCLE_1)
	s_mul_hi_u32 s67, s62, s65
	s_mul_i32 s66, s62, s65
	s_mul_hi_u32 s0, s62, s64
	s_mul_i32 s61, s63, s64
	s_add_nc_u64 s[66:67], s[0:1], s[66:67]
	s_mul_hi_u32 s47, s63, s64
	s_mul_hi_u32 s68, s63, s65
	s_add_co_u32 s0, s66, s61
	s_add_co_ci_u32 s0, s67, s47
	s_mul_i32 s64, s63, s65
	s_add_co_ci_u32 s65, s68, 0
	s_delay_alu instid0(SALU_CYCLE_1) | instskip(NEXT) | instid1(SALU_CYCLE_1)
	s_add_nc_u64 s[64:65], s[0:1], s[64:65]
	s_add_co_u32 s62, s62, s64
	s_cselect_b32 s0, -1, 0
	v_mul_hi_u32 v46, v34, s62
	s_cmp_lg_u32 s0, 0
	s_add_co_ci_u32 s0, s63, s65
	s_and_b64 s[64:65], s[62:63], s[38:39]
	v_mul_u64_e32 v[40:41], s[0:1], v[34:35]
	v_mul_u64_e32 v[30:31], s[64:65], v[42:43]
	;; [unrolled: 1-line block ×3, first 2 shown]
	s_delay_alu instid0(VALU_DEP_3) | instskip(NEXT) | instid1(VALU_DEP_1)
	v_add_nc_u64_e32 v[40:41], v[46:47], v[40:41]
	v_add_co_u32 v1, vcc_lo, v40, v30
	s_delay_alu instid0(VALU_DEP_2) | instskip(NEXT) | instid1(VALU_DEP_4)
	v_add_co_ci_u32_e32 v46, vcc_lo, v41, v31, vcc_lo
	v_add_co_ci_u32_e32 v45, vcc_lo, 0, v45, vcc_lo
	s_delay_alu instid0(VALU_DEP_1) | instskip(NEXT) | instid1(VALU_DEP_1)
	v_add_nc_u64_e32 v[30:31], v[46:47], v[44:45]
	v_mul_u64_e32 v[40:41], s[48:49], v[30:31]
	s_delay_alu instid0(VALU_DEP_1) | instskip(NEXT) | instid1(VALU_DEP_2)
	v_sub_nc_u32_e32 v1, v42, v41
	v_sub_co_u32 v11, vcc_lo, v34, v40
	s_delay_alu instid0(VALU_DEP_1) | instskip(NEXT) | instid1(VALU_DEP_3)
	v_sub_co_ci_u32_e64 v37, null, v42, v41, vcc_lo
	v_subrev_co_ci_u32_e64 v1, null, s49, v1, vcc_lo
	s_delay_alu instid0(VALU_DEP_3) | instskip(SKIP_1) | instid1(VALU_DEP_3)
	v_sub_co_u32 v21, s0, v11, s48
	v_add_nc_u64_e32 v[40:41], 1, v[30:31]
	v_subrev_co_ci_u32_e64 v1, null, 0, v1, s0
	s_delay_alu instid0(VALU_DEP_3) | instskip(SKIP_1) | instid1(VALU_DEP_3)
	v_cmp_le_u32_e32 vcc_lo, s48, v21
	v_cndmask_b32_e64 v21, 0, -1, vcc_lo
	v_cmp_le_u32_e32 vcc_lo, s49, v1
	v_cndmask_b32_e64 v34, 0, -1, vcc_lo
	;; [unrolled: 2-line block ×4, first 2 shown]
	v_cmp_eq_u32_e32 vcc_lo, s49, v1
	v_cndmask_b32_e32 v1, v34, v21, vcc_lo
	v_cmp_eq_u32_e32 vcc_lo, s49, v37
	v_add_nc_u64_e32 v[34:35], 2, v[30:31]
	v_cndmask_b32_e32 v11, v42, v11, vcc_lo
	s_delay_alu instid0(VALU_DEP_4) | instskip(NEXT) | instid1(VALU_DEP_2)
	v_cmp_ne_u32_e32 vcc_lo, 0, v1
	v_cmp_ne_u32_e64 s0, 0, v11
	s_delay_alu instid0(VALU_DEP_4) | instskip(NEXT) | instid1(VALU_DEP_1)
	v_dual_cndmask_b32 v1, v41, v35, vcc_lo :: v_dual_cndmask_b32 v11, v40, v34, vcc_lo
	v_dual_cndmask_b32 v1, v31, v1, s0 :: v_dual_bitop2_b32 v20, s46, v20 bitop3:0x14
	s_delay_alu instid0(VALU_DEP_1) | instskip(NEXT) | instid1(VALU_DEP_2)
	v_dual_cndmask_b32 v11, v30, v11, s0 :: v_dual_mov_b32 v21, v20
	v_xor_b32_e32 v31, v1, v20
	s_delay_alu instid0(VALU_DEP_2) | instskip(NEXT) | instid1(VALU_DEP_1)
	v_xor_b32_e32 v30, v11, v20
	v_sub_nc_u64_e32 v[20:21], v[30:31], v[20:21]
.LBB58_27:                              ;   in Loop: Header=BB58_25 Depth=1
	s_and_not1_saveexec_b32 s0, s60
	s_cbranch_execz .LBB58_24
; %bb.28:                               ;   in Loop: Header=BB58_25 Depth=1
	v_cvt_f32_u32_e32 v1, s44
	s_sub_co_i32 s46, 0, s44
	s_delay_alu instid0(VALU_DEP_1) | instskip(SKIP_1) | instid1(TRANS32_DEP_1)
	v_rcp_iflag_f32_e32 v1, v1
	v_nop
	v_mul_f32_e32 v1, 0x4f7ffffe, v1
	s_delay_alu instid0(VALU_DEP_1) | instskip(NEXT) | instid1(VALU_DEP_1)
	v_cvt_u32_f32_e32 v1, v1
	v_mul_lo_u32 v11, s46, v1
	s_delay_alu instid0(VALU_DEP_1) | instskip(NEXT) | instid1(VALU_DEP_1)
	v_mul_hi_u32 v11, v1, v11
	v_add_nc_u32_e32 v1, v1, v11
	s_delay_alu instid0(VALU_DEP_1) | instskip(NEXT) | instid1(VALU_DEP_1)
	v_mul_hi_u32 v1, v18, v1
	v_mul_lo_u32 v11, v1, s44
	s_delay_alu instid0(VALU_DEP_1) | instskip(NEXT) | instid1(VALU_DEP_1)
	v_dual_add_nc_u32 v20, 1, v1 :: v_dual_sub_nc_u32 v11, v18, v11
	v_subrev_nc_u32_e32 v21, s44, v11
	v_cmp_le_u32_e32 vcc_lo, s44, v11
	s_delay_alu instid0(VALU_DEP_2) | instskip(NEXT) | instid1(VALU_DEP_4)
	v_dual_cndmask_b32 v11, v11, v21, vcc_lo :: v_dual_mov_b32 v21, v10
	v_cndmask_b32_e32 v1, v1, v20, vcc_lo
	s_delay_alu instid0(VALU_DEP_2) | instskip(NEXT) | instid1(VALU_DEP_2)
	v_cmp_le_u32_e32 vcc_lo, s44, v11
	v_add_nc_u32_e32 v20, 1, v1
	s_delay_alu instid0(VALU_DEP_1)
	v_cndmask_b32_e32 v20, v1, v20, vcc_lo
	s_branch .LBB58_24
.LBB58_29:
	s_mov_b32 s37, -1
	s_mov_b32 s0, 0
	s_mov_b32 s60, 0
	s_mov_b32 s1, exec_lo
	v_cmpx_gt_i64_e64 v[12:13], v[32:33]
	s_cbranch_execz .LBB58_35
; %bb.30:
	s_delay_alu instid0(VALU_DEP_2) | instskip(SKIP_2) | instid1(VALU_DEP_1)
	v_lshlrev_b64_e32 v[2:3], 3, v[2:3]
	s_mov_b32 s37, 0
	s_xor_b32 s39, s51, -1
                                        ; implicit-def: $sgpr38
                                        ; implicit-def: $sgpr41
                                        ; implicit-def: $sgpr40
	v_lshl_add_u64 v[10:11], v[32:33], 3, v[2:3]
	s_wait_loadcnt 0x0
	v_add_nc_u64_e32 v[18:19], s[16:17], v[2:3]
	s_delay_alu instid0(VALU_DEP_2) | instskip(NEXT) | instid1(VALU_DEP_1)
	v_add_nc_u64_e32 v[10:11], s[16:17], v[10:11]
	v_add_nc_u64_e32 v[2:3], 8, v[10:11]
	s_delay_alu instid0(VALU_DEP_3)
	v_lshl_add_u64 v[10:11], v[12:13], 3, v[18:19]
	s_branch .LBB58_32
.LBB58_31:                              ;   in Loop: Header=BB58_32 Depth=1
	s_or_b32 exec_lo, exec_lo, s42
	s_delay_alu instid0(SALU_CYCLE_1) | instskip(NEXT) | instid1(SALU_CYCLE_1)
	s_and_b32 s42, exec_lo, s41
	s_or_b32 s37, s42, s37
	s_and_not1_b32 s38, s38, exec_lo
	s_and_b32 s42, s40, exec_lo
	s_delay_alu instid0(SALU_CYCLE_1)
	s_or_b32 s38, s38, s42
	s_and_not1_b32 exec_lo, exec_lo, s37
	s_cbranch_execz .LBB58_34
.LBB58_32:                              ; =>This Inner Loop Header: Depth=1
	s_or_b32 s40, s40, exec_lo
	s_or_b32 s41, s41, exec_lo
	s_mov_b32 s42, exec_lo
	s_delay_alu instid0(VALU_DEP_2)
	v_cmpx_lt_u64_e64 v[2:3], v[10:11]
	s_cbranch_execz .LBB58_31
; %bb.33:                               ;   in Loop: Header=BB58_32 Depth=1
	global_load_b128 v[18:21], v[2:3], off offset:-8
	s_and_not1_b32 s41, s41, exec_lo
	s_wait_xcnt 0x0
	v_add_nc_u64_e32 v[2:3], 8, v[2:3]
	s_and_not1_b32 s40, s40, exec_lo
	s_wait_loadcnt 0x0
	v_cmp_ge_i64_e32 vcc_lo, v[18:19], v[20:21]
	s_or_b32 s43, s39, vcc_lo
	s_delay_alu instid0(SALU_CYCLE_1) | instskip(NEXT) | instid1(SALU_CYCLE_1)
	s_and_b32 s43, s43, exec_lo
	s_or_b32 s41, s41, s43
	s_branch .LBB58_31
.LBB58_34:
	s_or_b32 exec_lo, exec_lo, s37
	s_delay_alu instid0(SALU_CYCLE_1)
	s_mov_b32 s60, exec_lo
	s_or_not1_b32 s37, s38, exec_lo
.LBB58_35:
	s_or_b32 exec_lo, exec_lo, s1
	s_mov_b32 s1, 0
	s_mov_b32 s38, 0
	;; [unrolled: 1-line block ×3, first 2 shown]
	s_and_saveexec_b32 s61, s37
	s_cbranch_execz .LBB58_60
; %bb.36:
	s_mov_b32 s0, 0
	s_mov_b32 s1, -1
	s_mov_b32 s37, 0
	s_mov_b32 s62, exec_lo
	v_cmpx_eq_u64_e64 s[4:5], v[4:5]
	s_cbranch_execz .LBB58_59
; %bb.37:
	s_mov_b32 s0, -1
	s_mov_b32 s40, 0
	s_mov_b32 s41, 0
	s_mov_b32 s63, exec_lo
	v_cmpx_eq_u64_e64 s[8:9], v[26:27]
	s_cbranch_execz .LBB58_58
; %bb.38:
	v_sub_nc_u64_e32 v[2:3], v[6:7], v[14:15]
	s_mov_b32 s37, -1
	s_mov_b32 s1, 0
	s_delay_alu instid0(VALU_DEP_1) | instskip(SKIP_2) | instid1(SALU_CYCLE_1)
	v_cmp_le_i64_e32 vcc_lo, s[4:5], v[2:3]
	v_cmp_ge_i64_e64 s0, s[6:7], v[2:3]
	s_and_b32 s0, vcc_lo, s0
	s_and_saveexec_b32 s64, s0
	s_cbranch_execz .LBB58_57
; %bb.39:
	v_mov_b64_e32 v[2:3], 0
	s_and_not1_b32 vcc_lo, exec_lo, s52
	s_cbranch_vccnz .LBB58_46
; %bb.40:
	s_wait_loadcnt 0x1
	v_mul_u64_e32 v[10:11], s[8:9], v[22:23]
	v_mov_b64_e32 v[2:3], 0
	s_mov_b32 s37, s1
	v_mov_b32_e32 v4, 0
	s_lshl_b64 s[42:43], s[36:37], 3
	s_mov_b64 s[38:39], 0xffffffff
	s_add_nc_u64 s[40:41], s[12:13], s[42:43]
	s_add_nc_u64 s[42:43], s[14:15], s[42:43]
	s_mov_b32 s37, s10
	s_branch .LBB58_42
.LBB58_41:                              ;   in Loop: Header=BB58_42 Depth=1
	s_or_b32 exec_lo, exec_lo, s0
	s_wait_loadcnt 0x0
	s_delay_alu instid0(VALU_DEP_1)
	v_mul_u64_e32 v[18:19], s[44:45], v[12:13]
	s_load_b64 s[44:45], s[42:43], 0x0
	s_add_co_i32 s37, s37, -1
	s_add_nc_u64 s[40:41], s[40:41], -8
	s_cmp_lg_u32 s37, 0
	s_wait_xcnt 0x0
	s_add_nc_u64 s[42:43], s[42:43], -8
	s_delay_alu instid0(VALU_DEP_1) | instskip(SKIP_1) | instid1(VALU_DEP_1)
	v_sub_nc_u64_e32 v[10:11], v[10:11], v[18:19]
	s_wait_kmcnt 0x0
	v_mad_nc_u64_u32 v[2:3], v10, s44, v[2:3]
	s_delay_alu instid0(VALU_DEP_1) | instskip(NEXT) | instid1(VALU_DEP_1)
	v_mad_u32 v1, v11, s44, v3
	v_mad_u32 v3, v10, s45, v1
	v_mov_b64_e32 v[10:11], v[12:13]
	s_cbranch_scc0 .LBB58_46
.LBB58_42:                              ; =>This Inner Loop Header: Depth=1
	s_load_b64 s[44:45], s[40:41], 0x0
                                        ; implicit-def: $vgpr12_vgpr13
	s_mov_b32 s0, exec_lo
	s_wait_kmcnt 0x0
	s_delay_alu instid0(VALU_DEP_1) | instskip(NEXT) | instid1(VALU_DEP_1)
	v_or_b32_e32 v5, s45, v11
	v_cmpx_ne_u64_e32 0, v[4:5]
	s_xor_b32 s65, exec_lo, s0
	s_cbranch_execz .LBB58_44
; %bb.43:                               ;   in Loop: Header=BB58_42 Depth=1
	s_ashr_i32 s46, s45, 31
	s_wait_loadcnt 0x0
	v_dual_mov_b32 v21, v4 :: v_dual_ashrrev_i32 v12, 31, v11
	s_mov_b32 s47, s46
	s_delay_alu instid0(SALU_CYCLE_1) | instskip(NEXT) | instid1(VALU_DEP_1)
	s_add_nc_u64 s[48:49], s[44:45], s[46:47]
	v_mov_b32_e32 v13, v12
	s_xor_b64 s[48:49], s[48:49], s[46:47]
	s_delay_alu instid0(SALU_CYCLE_1)
	s_cvt_f32_u32 s0, s48
	s_cvt_f32_u32 s47, s49
	s_sub_nc_u64 s[68:69], 0, s[48:49]
	v_add_nc_u64_e32 v[18:19], v[10:11], v[12:13]
	v_mov_b32_e32 v27, v4
	s_fmamk_f32 s0, s47, 0x4f800000, s0
	s_delay_alu instid0(SALU_CYCLE_3) | instskip(NEXT) | instid1(VALU_DEP_2)
	v_s_rcp_f32 s0, s0
	v_xor_b32_e32 v20, v18, v12
	s_delay_alu instid0(VALU_DEP_3) | instskip(SKIP_1) | instid1(TRANS32_DEP_1)
	v_dual_mov_b32 v33, v4 :: v_dual_bitop2_b32 v26, v19, v12 bitop3:0x14
	v_xor_b32_e32 v12, s46, v12
	s_mul_f32 s0, s0, 0x5f7ffffc
	s_delay_alu instid0(SALU_CYCLE_3) | instskip(NEXT) | instid1(SALU_CYCLE_3)
	s_mul_f32 s47, s0, 0x2f800000
	s_trunc_f32 s47, s47
	s_delay_alu instid0(SALU_CYCLE_3) | instskip(SKIP_1) | instid1(SALU_CYCLE_2)
	s_fmamk_f32 s0, s47, 0xcf800000, s0
	s_cvt_u32_f32 s67, s47
	s_cvt_u32_f32 s66, s0
	s_delay_alu instid0(SALU_CYCLE_3) | instskip(NEXT) | instid1(SALU_CYCLE_1)
	s_mul_u64 s[70:71], s[68:69], s[66:67]
	s_mul_hi_u32 s73, s66, s71
	s_mul_i32 s72, s66, s71
	s_mul_hi_u32 s0, s66, s70
	s_mul_i32 s74, s67, s70
	s_add_nc_u64 s[72:73], s[0:1], s[72:73]
	s_mul_hi_u32 s47, s67, s70
	s_mul_hi_u32 s75, s67, s71
	s_add_co_u32 s0, s72, s74
	s_add_co_ci_u32 s0, s73, s47
	s_mul_i32 s70, s67, s71
	s_add_co_ci_u32 s71, s75, 0
	s_delay_alu instid0(SALU_CYCLE_1) | instskip(NEXT) | instid1(SALU_CYCLE_1)
	s_add_nc_u64 s[70:71], s[0:1], s[70:71]
	s_add_co_u32 s66, s66, s70
	s_cselect_b32 s0, -1, 0
	s_delay_alu instid0(SALU_CYCLE_1) | instskip(SKIP_1) | instid1(SALU_CYCLE_1)
	s_cmp_lg_u32 s0, 0
	s_add_co_ci_u32 s67, s67, s71
	s_mul_u64 s[68:69], s[68:69], s[66:67]
	s_delay_alu instid0(SALU_CYCLE_1)
	s_mul_hi_u32 s71, s66, s69
	s_mul_i32 s70, s66, s69
	s_mul_hi_u32 s0, s66, s68
	s_mul_i32 s72, s67, s68
	s_add_nc_u64 s[70:71], s[0:1], s[70:71]
	s_mul_hi_u32 s47, s67, s68
	s_mul_hi_u32 s73, s67, s69
	s_add_co_u32 s0, s70, s72
	s_add_co_ci_u32 s0, s71, s47
	s_mul_i32 s68, s67, s69
	s_add_co_ci_u32 s69, s73, 0
	s_delay_alu instid0(SALU_CYCLE_1) | instskip(NEXT) | instid1(SALU_CYCLE_1)
	s_add_nc_u64 s[68:69], s[0:1], s[68:69]
	s_add_co_u32 s66, s66, s68
	s_cselect_b32 s0, -1, 0
	v_mul_hi_u32 v32, v20, s66
	s_cmp_lg_u32 s0, 0
	s_add_co_ci_u32 s0, s67, s69
	s_and_b64 s[68:69], s[66:67], s[38:39]
	v_mul_u64_e32 v[22:23], s[0:1], v[20:21]
	v_mul_u64_e32 v[18:19], s[68:69], v[26:27]
	;; [unrolled: 1-line block ×3, first 2 shown]
	s_delay_alu instid0(VALU_DEP_3) | instskip(NEXT) | instid1(VALU_DEP_1)
	v_add_nc_u64_e32 v[22:23], v[32:33], v[22:23]
	v_add_co_u32 v1, vcc_lo, v22, v18
	s_delay_alu instid0(VALU_DEP_2) | instskip(NEXT) | instid1(VALU_DEP_4)
	v_add_co_ci_u32_e32 v32, vcc_lo, v23, v19, vcc_lo
	v_add_co_ci_u32_e32 v31, vcc_lo, 0, v31, vcc_lo
	s_delay_alu instid0(VALU_DEP_1) | instskip(NEXT) | instid1(VALU_DEP_1)
	v_add_nc_u64_e32 v[18:19], v[32:33], v[30:31]
	v_mul_u64_e32 v[22:23], s[48:49], v[18:19]
	s_delay_alu instid0(VALU_DEP_1) | instskip(NEXT) | instid1(VALU_DEP_2)
	v_sub_nc_u32_e32 v1, v26, v23
	v_sub_co_u32 v5, vcc_lo, v20, v22
	s_delay_alu instid0(VALU_DEP_1) | instskip(NEXT) | instid1(VALU_DEP_3)
	v_sub_co_ci_u32_e64 v26, null, v26, v23, vcc_lo
	v_subrev_co_ci_u32_e64 v1, null, s49, v1, vcc_lo
	s_delay_alu instid0(VALU_DEP_3) | instskip(SKIP_1) | instid1(VALU_DEP_3)
	v_sub_co_u32 v13, s0, v5, s48
	v_add_nc_u64_e32 v[22:23], 1, v[18:19]
	v_subrev_co_ci_u32_e64 v1, null, 0, v1, s0
	s_delay_alu instid0(VALU_DEP_3) | instskip(SKIP_1) | instid1(VALU_DEP_3)
	v_cmp_le_u32_e32 vcc_lo, s48, v13
	v_cndmask_b32_e64 v13, 0, -1, vcc_lo
	v_cmp_le_u32_e32 vcc_lo, s49, v1
	v_cndmask_b32_e64 v20, 0, -1, vcc_lo
	;; [unrolled: 2-line block ×4, first 2 shown]
	v_cmp_eq_u32_e32 vcc_lo, s49, v1
	v_cndmask_b32_e32 v1, v20, v13, vcc_lo
	v_cmp_eq_u32_e32 vcc_lo, s49, v26
	v_add_nc_u64_e32 v[20:21], 2, v[18:19]
	v_dual_mov_b32 v13, v12 :: v_dual_cndmask_b32 v5, v27, v5, vcc_lo
	s_delay_alu instid0(VALU_DEP_4) | instskip(NEXT) | instid1(VALU_DEP_2)
	v_cmp_ne_u32_e32 vcc_lo, 0, v1
	v_cmp_ne_u32_e64 s0, 0, v5
	s_delay_alu instid0(VALU_DEP_4) | instskip(NEXT) | instid1(VALU_DEP_1)
	v_dual_cndmask_b32 v1, v23, v21, vcc_lo :: v_dual_cndmask_b32 v5, v22, v20, vcc_lo
	v_cndmask_b32_e64 v5, v18, v5, s0
	s_delay_alu instid0(VALU_DEP_1) | instskip(NEXT) | instid1(VALU_DEP_1)
	v_dual_cndmask_b32 v1, v19, v1, s0 :: v_dual_bitop2_b32 v18, v5, v12 bitop3:0x14
	v_xor_b32_e32 v19, v1, v12
	s_delay_alu instid0(VALU_DEP_1)
	v_sub_nc_u64_e32 v[12:13], v[18:19], v[12:13]
.LBB58_44:                              ;   in Loop: Header=BB58_42 Depth=1
	s_and_not1_saveexec_b32 s0, s65
	s_cbranch_execz .LBB58_41
; %bb.45:                               ;   in Loop: Header=BB58_42 Depth=1
	v_cvt_f32_u32_e32 v1, s44
	s_sub_co_i32 s46, 0, s44
	s_delay_alu instid0(VALU_DEP_1) | instskip(SKIP_1) | instid1(TRANS32_DEP_1)
	v_rcp_iflag_f32_e32 v1, v1
	v_nop
	v_mul_f32_e32 v1, 0x4f7ffffe, v1
	s_delay_alu instid0(VALU_DEP_1) | instskip(NEXT) | instid1(VALU_DEP_1)
	v_cvt_u32_f32_e32 v1, v1
	v_mul_lo_u32 v5, s46, v1
	s_delay_alu instid0(VALU_DEP_1) | instskip(NEXT) | instid1(VALU_DEP_1)
	v_mul_hi_u32 v5, v1, v5
	v_add_nc_u32_e32 v1, v1, v5
	s_delay_alu instid0(VALU_DEP_1) | instskip(NEXT) | instid1(VALU_DEP_1)
	v_mul_hi_u32 v1, v10, v1
	v_mul_lo_u32 v5, v1, s44
	v_add_nc_u32_e32 v12, 1, v1
	s_delay_alu instid0(VALU_DEP_2) | instskip(NEXT) | instid1(VALU_DEP_1)
	v_sub_nc_u32_e32 v5, v10, v5
	v_subrev_nc_u32_e32 v13, s44, v5
	v_cmp_le_u32_e32 vcc_lo, s44, v5
	s_delay_alu instid0(VALU_DEP_2) | instskip(SKIP_1) | instid1(VALU_DEP_2)
	v_dual_cndmask_b32 v5, v5, v13, vcc_lo :: v_dual_mov_b32 v13, v4
	v_cndmask_b32_e32 v1, v1, v12, vcc_lo
	v_cmp_le_u32_e32 vcc_lo, s44, v5
	s_delay_alu instid0(VALU_DEP_2) | instskip(NEXT) | instid1(VALU_DEP_1)
	v_add_nc_u32_e32 v12, 1, v1
	v_cndmask_b32_e32 v12, v1, v12, vcc_lo
	s_branch .LBB58_41
.LBB58_46:
	s_mov_b32 s38, -1
	s_mov_b32 s0, 0
	s_mov_b32 s37, 0
	s_mov_b32 s1, exec_lo
	v_cmpx_gt_i64_e64 v[6:7], v[14:15]
	s_cbranch_execz .LBB58_52
; %bb.47:
	s_delay_alu instid0(VALU_DEP_2) | instskip(SKIP_1) | instid1(VALU_DEP_1)
	v_lshlrev_b64_e32 v[2:3], 3, v[2:3]
	s_xor_b32 s39, s51, -1
                                        ; implicit-def: $sgpr38
                                        ; implicit-def: $sgpr41
                                        ; implicit-def: $sgpr40
	v_lshl_add_u64 v[4:5], v[14:15], 3, v[2:3]
	v_add_nc_u64_e32 v[10:11], s[16:17], v[2:3]
	s_delay_alu instid0(VALU_DEP_2) | instskip(NEXT) | instid1(VALU_DEP_1)
	v_add_nc_u64_e32 v[4:5], s[16:17], v[4:5]
	v_add_nc_u64_e32 v[2:3], 8, v[4:5]
	s_delay_alu instid0(VALU_DEP_3)
	v_lshl_add_u64 v[4:5], v[6:7], 3, v[10:11]
	s_branch .LBB58_49
.LBB58_48:                              ;   in Loop: Header=BB58_49 Depth=1
	s_or_b32 exec_lo, exec_lo, s42
	s_delay_alu instid0(SALU_CYCLE_1) | instskip(NEXT) | instid1(SALU_CYCLE_1)
	s_and_b32 s42, exec_lo, s41
	s_or_b32 s37, s42, s37
	s_and_not1_b32 s38, s38, exec_lo
	s_and_b32 s42, s40, exec_lo
	s_delay_alu instid0(SALU_CYCLE_1)
	s_or_b32 s38, s38, s42
	s_and_not1_b32 exec_lo, exec_lo, s37
	s_cbranch_execz .LBB58_51
.LBB58_49:                              ; =>This Inner Loop Header: Depth=1
	s_or_b32 s40, s40, exec_lo
	s_or_b32 s41, s41, exec_lo
	s_mov_b32 s42, exec_lo
	s_delay_alu instid0(VALU_DEP_2)
	v_cmpx_lt_u64_e64 v[2:3], v[4:5]
	s_cbranch_execz .LBB58_48
; %bb.50:                               ;   in Loop: Header=BB58_49 Depth=1
	global_load_b128 v[10:13], v[2:3], off offset:-8
	s_and_not1_b32 s41, s41, exec_lo
	s_wait_xcnt 0x0
	v_add_nc_u64_e32 v[2:3], 8, v[2:3]
	s_and_not1_b32 s40, s40, exec_lo
	s_wait_loadcnt 0x0
	v_cmp_ge_i64_e32 vcc_lo, v[10:11], v[12:13]
	s_or_b32 s43, s39, vcc_lo
	s_delay_alu instid0(SALU_CYCLE_1) | instskip(NEXT) | instid1(SALU_CYCLE_1)
	s_and_b32 s43, s43, exec_lo
	s_or_b32 s41, s41, s43
	s_branch .LBB58_48
.LBB58_51:
	s_or_b32 exec_lo, exec_lo, s37
	s_delay_alu instid0(SALU_CYCLE_1)
	s_mov_b32 s37, exec_lo
	s_or_not1_b32 s38, s38, exec_lo
.LBB58_52:
	s_or_b32 exec_lo, exec_lo, s1
	s_mov_b32 s41, 0
	s_mov_b32 s39, 0
	s_and_saveexec_b32 s1, s38
	s_cbranch_execz .LBB58_56
; %bb.53:
	s_mov_b32 s38, 0
	s_mov_b32 s39, -1
	s_mov_b32 s0, 0
	s_mov_b32 s40, exec_lo
	v_cmpx_eq_u64_e64 s[4:5], v[38:39]
	s_xor_b32 s40, exec_lo, s40
; %bb.54:
	v_cmp_ne_u64_e32 vcc_lo, s[8:9], v[28:29]
	s_mov_b32 s0, exec_lo
	s_xor_b32 s39, exec_lo, -1
	s_and_b32 s38, vcc_lo, exec_lo
; %bb.55:
	s_or_b32 exec_lo, exec_lo, s40
	s_delay_alu instid0(SALU_CYCLE_1)
	s_and_b32 s39, s39, exec_lo
	s_and_not1_b32 s37, s37, exec_lo
	s_and_b32 s41, s0, exec_lo
	s_and_b32 s0, s38, exec_lo
.LBB58_56:
	s_or_b32 exec_lo, exec_lo, s1
	s_delay_alu instid0(SALU_CYCLE_1)
	s_and_b32 s40, s39, exec_lo
	s_and_b32 s39, s37, exec_lo
	s_xor_b32 s37, exec_lo, -1
	s_and_b32 s38, s41, exec_lo
	s_and_b32 s1, s0, exec_lo
.LBB58_57:
	s_or_b32 exec_lo, exec_lo, s64
	s_delay_alu instid0(SALU_CYCLE_1)
	s_and_b32 s41, s40, exec_lo
	s_and_b32 s39, s39, exec_lo
	;; [unrolled: 1-line block ×4, first 2 shown]
	s_or_not1_b32 s0, s1, exec_lo
.LBB58_58:
	s_or_b32 exec_lo, exec_lo, s63
	s_delay_alu instid0(SALU_CYCLE_1)
	s_or_not1_b32 s1, s41, exec_lo
	s_and_b32 s39, s39, exec_lo
	s_and_b32 s38, s40, exec_lo
	;; [unrolled: 1-line block ×4, first 2 shown]
.LBB58_59:
	s_or_b32 exec_lo, exec_lo, s62
	s_delay_alu instid0(SALU_CYCLE_1)
	s_and_not1_b32 s40, s60, exec_lo
	s_and_b32 s41, s39, exec_lo
	s_and_b32 s39, s1, exec_lo
	s_or_b32 s60, s40, s41
	s_and_b32 s38, s38, exec_lo
	s_and_b32 s1, s37, exec_lo
	;; [unrolled: 1-line block ×3, first 2 shown]
.LBB58_60:
	s_or_b32 exec_lo, exec_lo, s61
	s_delay_alu instid0(SALU_CYCLE_1)
	s_and_b32 s40, s39, exec_lo
	s_and_b32 s39, s60, exec_lo
	s_or_not1_b32 s37, s38, exec_lo
	s_and_b32 s38, s1, exec_lo
	s_and_b32 s1, s0, exec_lo
.LBB58_61:
	s_or_b32 exec_lo, exec_lo, s59
	s_delay_alu instid0(SALU_CYCLE_1)
	s_and_b32 s41, s40, exec_lo
	s_and_b32 s39, s39, exec_lo
	;; [unrolled: 1-line block ×4, first 2 shown]
	s_or_not1_b32 s0, s1, exec_lo
.LBB58_62:
	s_or_b32 exec_lo, exec_lo, s58
	s_delay_alu instid0(SALU_CYCLE_1)
	s_or_not1_b32 s1, s41, exec_lo
	s_and_b32 s39, s39, exec_lo
	s_and_b32 s38, s40, exec_lo
	;; [unrolled: 1-line block ×4, first 2 shown]
.LBB58_63:
	s_or_b32 exec_lo, exec_lo, s57
	s_delay_alu instid0(SALU_CYCLE_1)
	s_and_not1_b32 s40, s55, exec_lo
	s_and_b32 s39, s39, exec_lo
	s_and_b32 s1, s1, exec_lo
	s_or_b32 s55, s40, s39
	s_and_b32 s39, s38, exec_lo
	s_and_b32 s38, s37, exec_lo
	;; [unrolled: 1-line block ×3, first 2 shown]
.LBB58_64:
	s_or_b32 exec_lo, exec_lo, s56
	s_delay_alu instid0(SALU_CYCLE_1)
	s_and_b32 s1, s1, exec_lo
	s_and_b32 s42, s55, exec_lo
	s_or_not1_b32 s37, s39, exec_lo
	s_and_b32 s41, s38, exec_lo
	s_and_b32 s40, s0, exec_lo
.LBB58_65:
	s_or_b32 exec_lo, exec_lo, s54
	s_delay_alu instid0(SALU_CYCLE_1)
	s_and_b32 s1, s1, exec_lo
	s_and_b32 s54, s42, exec_lo
	;; [unrolled: 1-line block ×4, first 2 shown]
	s_or_not1_b32 s40, s40, exec_lo
	s_mov_b32 s55, s10
.LBB58_66:
	s_or_b32 exec_lo, exec_lo, s53
	s_and_saveexec_b32 s38, s40
	s_cbranch_execnz .LBB58_215
.LBB58_67:
	s_or_b32 exec_lo, exec_lo, s38
	s_mov_b32 s38, 0
	s_and_saveexec_b32 s39, s0
	s_delay_alu instid0(SALU_CYCLE_1)
	s_xor_b32 s39, exec_lo, s39
	s_cbranch_execnz .LBB58_141
; %bb.68:
	s_or_b32 exec_lo, exec_lo, s39
	s_and_saveexec_b32 s0, s37
	s_cbranch_execnz .LBB58_142
.LBB58_69:
	s_or_b32 exec_lo, exec_lo, s0
	s_mov_b32 s0, 0
	s_and_saveexec_b32 s53, s38
	s_cbranch_execnz .LBB58_143
.LBB58_70:
	s_or_b32 exec_lo, exec_lo, s53
	s_and_saveexec_b32 s36, s54
	s_cbranch_execnz .LBB58_178
.LBB58_71:
	s_or_b32 exec_lo, exec_lo, s36
	s_and_saveexec_b32 s36, s0
	s_delay_alu instid0(SALU_CYCLE_1)
	s_xor_b32 s0, exec_lo, s36
	s_cbranch_execz .LBB58_73
.LBB58_72:
	s_mov_b32 s36, 0
	s_add_nc_u64 s[34:35], s[18:19], s[34:35]
	s_mov_b32 s37, s36
	s_mov_b32 s38, s36
	;; [unrolled: 1-line block ×3, first 2 shown]
	s_wait_loadcnt 0x2
	v_mov_b64_e32 v[2:3], s[36:37]
	v_mov_b64_e32 v[4:5], s[38:39]
	s_clause 0x1
	global_store_b128 v36, v[2:5], s[34:35]
	global_store_b128 v36, v[2:5], s[34:35] offset:16
.LBB58_73:
	s_wait_xcnt 0x0
	s_or_b32 exec_lo, exec_lo, s0
	s_delay_alu instid0(SALU_CYCLE_1)
	s_and_b32 s3, s3, exec_lo
	s_or_not1_b32 s0, s1, exec_lo
.LBB58_74:
	s_or_b32 exec_lo, exec_lo, s50
.LBB58_75:
	s_and_saveexec_b32 s1, s0
	s_delay_alu instid0(SALU_CYCLE_1)
	s_xor_b32 s0, exec_lo, s1
	s_cbranch_execnz .LBB58_213
.LBB58_76:
	s_or_b32 exec_lo, exec_lo, s0
	s_mov_b32 s0, 0
.LBB58_77:
	s_delay_alu instid0(SALU_CYCLE_1)
	s_and_b32 vcc_lo, exec_lo, s0
	s_cbranch_vccz .LBB58_97
; %bb.78:
	s_wait_loadcnt 0x0
	v_mov_b64_e32 v[28:29], 0
	v_mov_b64_e32 v[40:41], 0
	;; [unrolled: 1-line block ×6, first 2 shown]
	v_cmp_gt_i32_e64 s0, s11, v0
	v_or_b32_e32 v1, 0x100, v0
	v_mov_b32_e32 v42, v0
	s_and_saveexec_b32 s1, s0
	s_cbranch_execz .LBB58_80
; %bb.79:
	v_or_b32_e32 v2, s2, v0
	v_or_b32_e32 v42, 0x100, v0
	s_clause 0x4
	global_load_b64 v[40:41], v2, s[20:21] scale_offset
	global_load_b64 v[36:37], v2, s[22:23] scale_offset
	;; [unrolled: 1-line block ×5, first 2 shown]
.LBB58_80:
	s_wait_xcnt 0x0
	s_or_b32 exec_lo, exec_lo, s1
	v_mov_b64_e32 v[30:31], 0
	v_mov_b64_e32 v[24:25], 0
	;; [unrolled: 1-line block ×4, first 2 shown]
	s_mov_b32 s1, exec_lo
	v_cmpx_gt_i32_e64 s11, v42
	s_cbranch_execz .LBB58_82
; %bb.81:
	v_add_nc_u32_e32 v2, s2, v42
	v_add_nc_u32_e32 v42, 0x100, v42
	s_clause 0x4
	global_load_b64 v[28:29], v2, s[20:21] scale_offset
	global_load_b64 v[30:31], v2, s[22:23] scale_offset
	;; [unrolled: 1-line block ×5, first 2 shown]
.LBB58_82:
	s_wait_xcnt 0x0
	s_or_b32 exec_lo, exec_lo, s1
	v_mov_b64_e32 v[10:11], 0
	v_mov_b64_e32 v[20:21], 0
	;; [unrolled: 1-line block ×6, first 2 shown]
	s_mov_b32 s1, exec_lo
	v_cmpx_gt_i32_e64 s11, v42
	s_cbranch_execz .LBB58_84
; %bb.83:
	v_add_nc_u32_e32 v2, s2, v42
	v_add_nc_u32_e32 v42, 0x100, v42
	s_clause 0x4
	global_load_b64 v[20:21], v2, s[20:21] scale_offset
	global_load_b64 v[18:19], v2, s[22:23] scale_offset
	;; [unrolled: 1-line block ×5, first 2 shown]
.LBB58_84:
	s_wait_xcnt 0x0
	s_or_b32 exec_lo, exec_lo, s1
	v_mov_b64_e32 v[8:9], 0
	v_mov_b64_e32 v[4:5], 0
	;; [unrolled: 1-line block ×4, first 2 shown]
	s_mov_b32 s1, exec_lo
	v_cmpx_gt_i32_e64 s11, v42
	s_cbranch_execz .LBB58_86
; %bb.85:
	v_add_nc_u32_e32 v42, s2, v42
	s_clause 0x4
	global_load_b64 v[10:11], v42, s[20:21] scale_offset
	global_load_b64 v[8:9], v42, s[22:23] scale_offset
	;; [unrolled: 1-line block ×5, first 2 shown]
.LBB58_86:
	s_wait_xcnt 0x0
	s_or_b32 exec_lo, exec_lo, s1
	s_get_pc_i64 s[20:21]
	s_add_nc_u64 s[20:21], s[20:21], .str.2@rel64+4
	s_cmp_lg_u64 s[30:31], 0
	s_get_pc_i64 s[22:23]
	s_add_nc_u64 s[22:23], s[22:23], .str.3@rel64+4
	s_cselect_b32 s43, -1, 0
	s_cmp_lg_u64 s[20:21], 0
	s_mov_b32 s1, -1
	s_cselect_b32 s41, -1, 0
	s_cmp_lg_u64 s[22:23], 0
	s_get_pc_i64 s[22:23]
	s_add_nc_u64 s[22:23], s[22:23], .str.4@rel64+4
	s_cselect_b32 s40, -1, 0
	s_add_co_i32 s20, s10, -1
	s_mov_b32 s48, 0
	s_cmp_gt_i32 s20, -1
	s_mov_b32 s46, 0
	s_cselect_b32 s39, -1, 0
	s_cmp_lg_u64 s[22:23], 0
	s_mov_b32 s45, 0
	s_cselect_b32 s38, -1, 0
	s_mov_b32 s44, 0
	s_mov_b32 s42, 0
	s_and_saveexec_b32 s33, s0
	s_cbranch_execnz .LBB58_106
; %bb.87:
	s_or_b32 exec_lo, exec_lo, s33
	s_mov_b32 s33, 0
	s_and_saveexec_b32 s47, s1
	s_cbranch_execnz .LBB58_160
.LBB58_88:
	s_or_b32 exec_lo, exec_lo, s47
	s_and_saveexec_b32 s1, s46
	s_cbranch_execnz .LBB58_212
.LBB58_89:
	s_or_b32 exec_lo, exec_lo, s1
	s_mov_b32 s1, 0
	s_and_saveexec_b32 s21, s48
	s_delay_alu instid0(SALU_CYCLE_1)
	s_xor_b32 s21, exec_lo, s21
	s_cbranch_execz .LBB58_91
; %bb.90:
	s_wait_loadcnt 0x3
	v_cmp_ne_u64_e32 vcc_lo, s[8:9], v[8:9]
	s_xor_b32 s22, s41, -1
	s_and_not1_b32 s23, s45, exec_lo
	s_mov_b32 s1, exec_lo
	s_or_b32 s22, s22, vcc_lo
	s_delay_alu instid0(SALU_CYCLE_1) | instskip(NEXT) | instid1(SALU_CYCLE_1)
	s_and_b32 s22, s22, exec_lo
	s_or_b32 s45, s23, s22
.LBB58_91:
	s_or_b32 exec_lo, exec_lo, s21
	s_and_saveexec_b32 s21, s45
	s_cbranch_execnz .LBB58_214
.LBB58_92:
	s_or_b32 exec_lo, exec_lo, s21
	s_mov_b32 s21, 0
	s_and_saveexec_b32 s22, s1
	s_delay_alu instid0(SALU_CYCLE_1)
	s_xor_b32 s22, exec_lo, s22
	s_cbranch_execnz .LBB58_116
; %bb.93:
	s_or_b32 exec_lo, exec_lo, s22
	s_and_saveexec_b32 s1, s44
	s_cbranch_execnz .LBB58_117
.LBB58_94:
	s_or_b32 exec_lo, exec_lo, s1
	s_and_saveexec_b32 s24, s21
	s_cbranch_execnz .LBB58_118
.LBB58_95:
	s_or_b32 exec_lo, exec_lo, s24
	s_and_saveexec_b32 s1, s42
	s_cbranch_execnz .LBB58_140
.LBB58_96:
	s_or_b32 exec_lo, exec_lo, s1
	s_and_saveexec_b32 s1, s3
	s_cbranch_execnz .LBB58_98
	s_branch .LBB58_99
.LBB58_97:
                                        ; implicit-def: $sgpr0
                                        ; implicit-def: $vgpr1
                                        ; implicit-def: $vgpr0
	s_and_saveexec_b32 s1, s3
.LBB58_98:
	; divergent unreachable
.LBB58_99:
	s_delay_alu instid0(SALU_CYCLE_1) | instskip(SKIP_1) | instid1(SALU_CYCLE_1)
	s_or_b32 exec_lo, exec_lo, s1
	s_and_saveexec_b32 s1, s33
	s_xor_b32 s1, exec_lo, s1
	s_cbranch_execz .LBB58_105
; %bb.100:
	s_and_saveexec_b32 s1, s0
	s_delay_alu instid0(SALU_CYCLE_1)
	s_xor_b32 s0, exec_lo, s1
	s_cbranch_execnz .LBB58_125
; %bb.101:
	s_or_b32 exec_lo, exec_lo, s0
	s_delay_alu instid0(SALU_CYCLE_1)
	s_mov_b32 s0, exec_lo
	v_cmpx_gt_i32_e64 s11, v0
	s_cbranch_execnz .LBB58_126
.LBB58_102:
	s_or_b32 exec_lo, exec_lo, s0
	s_delay_alu instid0(SALU_CYCLE_1)
	s_mov_b32 s0, exec_lo
	v_cmpx_gt_i32_e64 s11, v0
	s_cbranch_execnz .LBB58_127
.LBB58_103:
	s_or_b32 exec_lo, exec_lo, s0
	s_delay_alu instid0(SALU_CYCLE_1)
	s_mov_b32 s0, exec_lo
	v_cmpx_gt_i32_e64 s11, v0
	s_cbranch_execz .LBB58_105
.LBB58_104:
	s_wait_loadcnt 0x1
	v_mov_b64_e32 v[2:3], 0
	v_add_nc_u32_e32 v0, s2, v0
	global_store_b64 v0, v[2:3], s[18:19] scale_offset
.LBB58_105:
	s_endpgm
.LBB58_106:
	s_wait_loadcnt 0x4
	v_cmp_eq_u64_e32 vcc_lo, s[4:5], v[40:41]
	s_mov_b32 s21, -1
	s_mov_b32 s1, 0
	s_mov_b32 s22, 0
	;; [unrolled: 1-line block ×4, first 2 shown]
	s_and_b32 s25, s43, vcc_lo
	s_delay_alu instid0(SALU_CYCLE_1)
	s_and_saveexec_b32 s42, s25
	s_cbranch_execz .LBB58_159
; %bb.107:
	s_wait_loadcnt 0x3
	v_cmp_eq_u64_e32 vcc_lo, s[8:9], v[36:37]
	s_and_b32 s24, s41, vcc_lo
	s_delay_alu instid0(SALU_CYCLE_1)
	s_and_saveexec_b32 s44, s24
	s_cbranch_execz .LBB58_158
; %bb.108:
	s_wait_loadcnt 0x1
	v_sub_nc_u64_e32 v[36:37], v[32:33], v[34:35]
	s_delay_alu instid0(VALU_DEP_1)
	v_cmp_le_i64_e32 vcc_lo, s[4:5], v[36:37]
	v_cmp_ge_i64_e64 s1, s[6:7], v[36:37]
	s_and_b32 s22, vcc_lo, s1
	s_mov_b32 s1, 0
	s_and_b32 s23, s40, s22
	s_mov_b32 s22, 0
	s_and_saveexec_b32 s45, s23
	s_cbranch_execz .LBB58_157
; %bb.109:
	v_cmp_lt_i64_e64 s1, s[8:9], 1
	v_mov_b64_e32 v[36:37], 0
	s_xor_b32 s21, s39, -1
	s_delay_alu instid0(SALU_CYCLE_1) | instskip(NEXT) | instid1(SALU_CYCLE_1)
	s_or_b32 s1, s1, s21
	s_and_b32 vcc_lo, exec_lo, s1
	s_cbranch_vccnz .LBB58_133
; %bb.110:
	s_wait_loadcnt 0x0
	v_mul_u64_e32 v[40:41], s[8:9], v[38:39]
	s_mov_b32 s23, 0
	v_mov_b64_e32 v[36:37], 0
	s_mov_b32 s21, s23
	v_mov_b32_e32 v38, 0
	s_lshl_b64 s[28:29], s[20:21], 3
	s_mov_b64 s[24:25], 0xffffffff
	s_add_nc_u64 s[26:27], s[12:13], s[28:29]
	s_add_nc_u64 s[28:29], s[14:15], s[28:29]
	s_mov_b32 s21, s10
	s_branch .LBB58_112
.LBB58_111:                             ;   in Loop: Header=BB58_112 Depth=1
	s_or_b32 exec_lo, exec_lo, s1
	s_delay_alu instid0(VALU_DEP_1)
	v_mul_u64_e32 v[44:45], s[30:31], v[42:43]
	s_load_b64 s[30:31], s[28:29], 0x0
	s_add_co_i32 s21, s21, -1
	s_add_nc_u64 s[26:27], s[26:27], -8
	s_cmp_eq_u32 s21, 0
	s_wait_xcnt 0x0
	s_add_nc_u64 s[28:29], s[28:29], -8
	s_delay_alu instid0(VALU_DEP_1) | instskip(SKIP_1) | instid1(VALU_DEP_1)
	v_sub_nc_u64_e32 v[40:41], v[40:41], v[44:45]
	s_wait_kmcnt 0x0
	v_mad_nc_u64_u32 v[36:37], v40, s30, v[36:37]
	s_delay_alu instid0(VALU_DEP_1) | instskip(NEXT) | instid1(VALU_DEP_1)
	v_mad_u32 v37, v41, s30, v37
	v_mad_u32 v37, v40, s31, v37
	v_mov_b64_e32 v[40:41], v[42:43]
	s_cbranch_scc1 .LBB58_133
.LBB58_112:                             ; =>This Inner Loop Header: Depth=1
	s_load_b64 s[30:31], s[26:27], 0x0
                                        ; implicit-def: $vgpr42_vgpr43
	s_mov_b32 s1, exec_lo
	s_wait_kmcnt 0x0
	s_delay_alu instid0(VALU_DEP_1) | instskip(NEXT) | instid1(VALU_DEP_1)
	v_or_b32_e32 v39, s31, v41
	v_cmpx_ne_u64_e32 0, v[38:39]
	s_xor_b32 s46, exec_lo, s1
	s_cbranch_execz .LBB58_114
; %bb.113:                              ;   in Loop: Header=BB58_112 Depth=1
	s_ashr_i32 s34, s31, 31
	v_dual_mov_b32 v47, v38 :: v_dual_ashrrev_i32 v42, 31, v41
	s_mov_b32 s35, s34
	v_mov_b32_e32 v55, v38
	s_add_nc_u64 s[36:37], s[30:31], s[34:35]
	s_delay_alu instid0(VALU_DEP_2) | instskip(SKIP_1) | instid1(SALU_CYCLE_1)
	v_mov_b32_e32 v43, v42
	s_xor_b64 s[36:37], s[36:37], s[34:35]
	s_cvt_f32_u32 s1, s36
	s_cvt_f32_u32 s22, s37
	s_sub_nc_u64 s[52:53], 0, s[36:37]
	v_add_nc_u64_e32 v[44:45], v[40:41], v[42:43]
	v_mov_b32_e32 v51, v38
	s_fmamk_f32 s1, s22, 0x4f800000, s1
	s_delay_alu instid0(SALU_CYCLE_3) | instskip(NEXT) | instid1(VALU_DEP_2)
	v_s_rcp_f32 s1, s1
	v_xor_b32_e32 v46, v44, v42
	s_delay_alu instid0(VALU_DEP_3) | instskip(NEXT) | instid1(TRANS32_DEP_1)
	v_xor_b32_e32 v50, v45, v42
	s_mul_f32 s1, s1, 0x5f7ffffc
	s_delay_alu instid0(SALU_CYCLE_3) | instskip(NEXT) | instid1(SALU_CYCLE_3)
	s_mul_f32 s22, s1, 0x2f800000
	s_trunc_f32 s22, s22
	s_delay_alu instid0(SALU_CYCLE_3) | instskip(SKIP_1) | instid1(SALU_CYCLE_2)
	s_fmamk_f32 s1, s22, 0xcf800000, s1
	s_cvt_u32_f32 s51, s22
	s_cvt_u32_f32 s50, s1
	s_delay_alu instid0(SALU_CYCLE_3) | instskip(NEXT) | instid1(SALU_CYCLE_1)
	s_mul_u64 s[54:55], s[52:53], s[50:51]
	s_mul_hi_u32 s57, s50, s55
	s_mul_i32 s56, s50, s55
	s_mul_hi_u32 s22, s50, s54
	s_mul_i32 s35, s51, s54
	s_add_nc_u64 s[56:57], s[22:23], s[56:57]
	s_mul_hi_u32 s1, s51, s54
	s_mul_hi_u32 s47, s51, s55
	s_add_co_u32 s22, s56, s35
	s_add_co_ci_u32 s22, s57, s1
	s_mul_i32 s54, s51, s55
	s_add_co_ci_u32 s55, s47, 0
	s_delay_alu instid0(SALU_CYCLE_1) | instskip(NEXT) | instid1(SALU_CYCLE_1)
	s_add_nc_u64 s[54:55], s[22:23], s[54:55]
	s_add_co_u32 s50, s50, s54
	s_cselect_b32 s1, -1, 0
	s_delay_alu instid0(SALU_CYCLE_1) | instskip(SKIP_1) | instid1(SALU_CYCLE_1)
	s_cmp_lg_u32 s1, 0
	s_add_co_ci_u32 s51, s51, s55
	s_mul_u64 s[52:53], s[52:53], s[50:51]
	s_delay_alu instid0(SALU_CYCLE_1)
	s_mul_hi_u32 s55, s50, s53
	s_mul_i32 s54, s50, s53
	s_mul_hi_u32 s22, s50, s52
	s_mul_i32 s35, s51, s52
	s_add_nc_u64 s[54:55], s[22:23], s[54:55]
	s_mul_hi_u32 s1, s51, s52
	s_mul_hi_u32 s47, s51, s53
	s_add_co_u32 s22, s54, s35
	s_add_co_ci_u32 s22, s55, s1
	s_mul_i32 s52, s51, s53
	s_add_co_ci_u32 s53, s47, 0
	s_delay_alu instid0(SALU_CYCLE_1) | instskip(NEXT) | instid1(SALU_CYCLE_1)
	s_add_nc_u64 s[52:53], s[22:23], s[52:53]
	s_add_co_u32 s50, s50, s52
	s_cselect_b32 s1, -1, 0
	v_mul_hi_u32 v54, v46, s50
	s_cmp_lg_u32 s1, 0
	s_add_co_ci_u32 s22, s51, s53
	s_and_b64 s[52:53], s[50:51], s[24:25]
	v_mul_u64_e32 v[48:49], s[22:23], v[46:47]
	v_mul_u64_e32 v[44:45], s[52:53], v[50:51]
	;; [unrolled: 1-line block ×3, first 2 shown]
	s_delay_alu instid0(VALU_DEP_3) | instskip(NEXT) | instid1(VALU_DEP_1)
	v_add_nc_u64_e32 v[48:49], v[54:55], v[48:49]
	v_add_co_u32 v39, vcc_lo, v48, v44
	s_delay_alu instid0(VALU_DEP_2) | instskip(NEXT) | instid1(VALU_DEP_4)
	v_add_co_ci_u32_e32 v54, vcc_lo, v49, v45, vcc_lo
	v_add_co_ci_u32_e32 v53, vcc_lo, 0, v53, vcc_lo
	s_delay_alu instid0(VALU_DEP_1) | instskip(NEXT) | instid1(VALU_DEP_1)
	v_add_nc_u64_e32 v[44:45], v[54:55], v[52:53]
	v_mul_u64_e32 v[48:49], s[36:37], v[44:45]
	s_delay_alu instid0(VALU_DEP_1) | instskip(NEXT) | instid1(VALU_DEP_2)
	v_sub_nc_u32_e32 v39, v50, v49
	v_sub_co_u32 v43, vcc_lo, v46, v48
	s_delay_alu instid0(VALU_DEP_1) | instskip(NEXT) | instid1(VALU_DEP_3)
	v_sub_co_ci_u32_e64 v50, null, v50, v49, vcc_lo
	v_subrev_co_ci_u32_e64 v39, null, s37, v39, vcc_lo
	s_delay_alu instid0(VALU_DEP_3) | instskip(SKIP_1) | instid1(VALU_DEP_3)
	v_sub_co_u32 v46, s1, v43, s36
	v_add_nc_u64_e32 v[48:49], 1, v[44:45]
	v_subrev_co_ci_u32_e64 v39, null, 0, v39, s1
	s_delay_alu instid0(VALU_DEP_3) | instskip(SKIP_1) | instid1(VALU_DEP_3)
	v_cmp_le_u32_e32 vcc_lo, s36, v46
	v_cndmask_b32_e64 v46, 0, -1, vcc_lo
	v_cmp_le_u32_e32 vcc_lo, s37, v39
	v_cndmask_b32_e64 v47, 0, -1, vcc_lo
	;; [unrolled: 2-line block ×4, first 2 shown]
	v_cmp_eq_u32_e32 vcc_lo, s37, v39
	v_cndmask_b32_e32 v39, v47, v46, vcc_lo
	v_cmp_eq_u32_e32 vcc_lo, s37, v50
	v_add_nc_u64_e32 v[46:47], 2, v[44:45]
	v_cndmask_b32_e32 v43, v51, v43, vcc_lo
	s_delay_alu instid0(VALU_DEP_4) | instskip(NEXT) | instid1(VALU_DEP_2)
	v_cmp_ne_u32_e32 vcc_lo, 0, v39
	v_cmp_ne_u32_e64 s1, 0, v43
	s_delay_alu instid0(VALU_DEP_4) | instskip(NEXT) | instid1(VALU_DEP_1)
	v_dual_cndmask_b32 v39, v49, v47, vcc_lo :: v_dual_cndmask_b32 v43, v48, v46, vcc_lo
	v_dual_cndmask_b32 v39, v45, v39, s1 :: v_dual_bitop2_b32 v42, s34, v42 bitop3:0x14
	s_delay_alu instid0(VALU_DEP_1) | instskip(NEXT) | instid1(VALU_DEP_2)
	v_dual_cndmask_b32 v44, v44, v43, s1 :: v_dual_mov_b32 v43, v42
	v_xor_b32_e32 v45, v39, v42
	s_delay_alu instid0(VALU_DEP_2) | instskip(NEXT) | instid1(VALU_DEP_1)
	v_xor_b32_e32 v44, v44, v42
	v_sub_nc_u64_e32 v[42:43], v[44:45], v[42:43]
.LBB58_114:                             ;   in Loop: Header=BB58_112 Depth=1
	s_and_not1_saveexec_b32 s1, s46
	s_cbranch_execz .LBB58_111
; %bb.115:                              ;   in Loop: Header=BB58_112 Depth=1
	v_cvt_f32_u32_e32 v39, s30
	s_sub_co_i32 s22, 0, s30
	s_delay_alu instid0(VALU_DEP_1) | instskip(SKIP_1) | instid1(TRANS32_DEP_1)
	v_rcp_iflag_f32_e32 v39, v39
	v_nop
	v_mul_f32_e32 v39, 0x4f7ffffe, v39
	s_delay_alu instid0(VALU_DEP_1) | instskip(NEXT) | instid1(VALU_DEP_1)
	v_cvt_u32_f32_e32 v39, v39
	v_mul_lo_u32 v42, s22, v39
	s_delay_alu instid0(VALU_DEP_1) | instskip(NEXT) | instid1(VALU_DEP_1)
	v_mul_hi_u32 v42, v39, v42
	v_add_nc_u32_e32 v39, v39, v42
	s_delay_alu instid0(VALU_DEP_1) | instskip(NEXT) | instid1(VALU_DEP_1)
	v_mul_hi_u32 v39, v40, v39
	v_mul_lo_u32 v42, v39, s30
	s_delay_alu instid0(VALU_DEP_1) | instskip(NEXT) | instid1(VALU_DEP_1)
	v_dual_add_nc_u32 v43, 1, v39 :: v_dual_sub_nc_u32 v42, v40, v42
	v_subrev_nc_u32_e32 v44, s30, v42
	v_cmp_le_u32_e32 vcc_lo, s30, v42
	s_delay_alu instid0(VALU_DEP_2) | instskip(NEXT) | instid1(VALU_DEP_1)
	v_dual_cndmask_b32 v42, v42, v44 :: v_dual_cndmask_b32 v39, v39, v43
	v_cmp_le_u32_e32 vcc_lo, s30, v42
	s_delay_alu instid0(VALU_DEP_2) | instskip(NEXT) | instid1(VALU_DEP_1)
	v_add_nc_u32_e32 v43, 1, v39
	v_dual_cndmask_b32 v42, v39, v43 :: v_dual_mov_b32 v43, v38
	s_branch .LBB58_111
.LBB58_116:
	s_wait_loadcnt 0x1
	v_sub_nc_u64_e32 v[8:9], v[2:3], v[4:5]
	s_mov_b32 s21, exec_lo
	s_delay_alu instid0(VALU_DEP_1) | instskip(SKIP_3) | instid1(SALU_CYCLE_1)
	v_cmp_le_i64_e32 vcc_lo, s[4:5], v[8:9]
	v_cmp_ge_i64_e64 s1, s[6:7], v[8:9]
	s_and_not1_b32 s4, s44, exec_lo
	s_and_b32 s1, vcc_lo, s1
	s_and_b32 s1, s40, s1
	s_delay_alu instid0(SALU_CYCLE_1) | instskip(NEXT) | instid1(SALU_CYCLE_1)
	s_xor_b32 s1, s1, -1
	s_and_b32 s1, s1, exec_lo
	s_delay_alu instid0(SALU_CYCLE_1)
	s_or_b32 s44, s4, s1
	s_or_b32 exec_lo, exec_lo, s22
	s_and_saveexec_b32 s1, s44
	s_cbranch_execz .LBB58_94
.LBB58_117:
	s_or_b32 s3, s3, exec_lo
	s_and_not1_b32 s21, s21, exec_lo
	s_trap 2
	s_or_b32 exec_lo, exec_lo, s1
	s_and_saveexec_b32 s24, s21
	s_cbranch_execz .LBB58_95
.LBB58_118:
	v_cmp_lt_i64_e64 s1, s[8:9], 1
	s_wait_loadcnt 0x3
	v_mov_b64_e32 v[8:9], 0
	s_xor_b32 s4, s39, -1
	s_delay_alu instid0(SALU_CYCLE_1) | instskip(NEXT) | instid1(SALU_CYCLE_1)
	s_or_b32 s1, s1, s4
	s_and_b32 vcc_lo, exec_lo, s1
	s_cbranch_vccnz .LBB58_128
; %bb.119:
	s_wait_loadcnt 0x0
	v_mul_u64_e32 v[10:11], s[8:9], v[6:7]
	v_mov_b64_e32 v[8:9], 0
	s_mov_b32 s21, 0
	v_mov_b32_e32 v6, 0
	s_lshl_b64 s[8:9], s[20:21], 3
	s_mov_b64 s[4:5], 0xffffffff
	s_add_nc_u64 s[6:7], s[12:13], s[8:9]
	s_add_nc_u64 s[8:9], s[14:15], s[8:9]
	s_branch .LBB58_121
.LBB58_120:                             ;   in Loop: Header=BB58_121 Depth=1
	s_or_b32 exec_lo, exec_lo, s1
	s_delay_alu instid0(VALU_DEP_1)
	v_mul_u64_e32 v[14:15], s[12:13], v[12:13]
	s_load_b64 s[12:13], s[8:9], 0x0
	s_add_co_i32 s10, s10, -1
	s_add_nc_u64 s[6:7], s[6:7], -8
	s_cmp_lg_u32 s10, 0
	s_wait_xcnt 0x0
	s_add_nc_u64 s[8:9], s[8:9], -8
	s_delay_alu instid0(VALU_DEP_1) | instskip(SKIP_1) | instid1(VALU_DEP_1)
	v_sub_nc_u64_e32 v[10:11], v[10:11], v[14:15]
	s_wait_kmcnt 0x0
	v_mad_nc_u64_u32 v[8:9], v10, s12, v[8:9]
	s_delay_alu instid0(VALU_DEP_1) | instskip(NEXT) | instid1(VALU_DEP_1)
	v_mad_u32 v7, v11, s12, v9
	v_mad_u32 v9, v10, s13, v7
	v_mov_b64_e32 v[10:11], v[12:13]
	s_cbranch_scc0 .LBB58_128
.LBB58_121:                             ; =>This Inner Loop Header: Depth=1
	s_load_b64 s[12:13], s[6:7], 0x0
                                        ; implicit-def: $vgpr12_vgpr13
	s_mov_b32 s1, exec_lo
	s_wait_kmcnt 0x0
	s_delay_alu instid0(VALU_DEP_1) | instskip(NEXT) | instid1(VALU_DEP_1)
	v_or_b32_e32 v7, s13, v11
	v_cmpx_ne_u64_e32 0, v[6:7]
	s_xor_b32 s25, exec_lo, s1
	s_cbranch_execz .LBB58_123
; %bb.122:                              ;   in Loop: Header=BB58_121 Depth=1
	s_ashr_i32 s14, s13, 31
	v_dual_mov_b32 v17, v6 :: v_dual_ashrrev_i32 v12, 31, v11
	s_mov_b32 s15, s14
	s_delay_alu instid0(SALU_CYCLE_1) | instskip(NEXT) | instid1(VALU_DEP_1)
	s_add_nc_u64 s[22:23], s[12:13], s[14:15]
	v_mov_b32_e32 v13, v12
	s_xor_b64 s[22:23], s[22:23], s[14:15]
	s_delay_alu instid0(SALU_CYCLE_1)
	s_cvt_f32_u32 s1, s22
	s_cvt_f32_u32 s15, s23
	s_sub_nc_u64 s[28:29], 0, s[22:23]
	v_add_nc_u64_e32 v[14:15], v[10:11], v[12:13]
	v_mov_b32_e32 v21, v6
	s_fmamk_f32 s1, s15, 0x4f800000, s1
	s_delay_alu instid0(SALU_CYCLE_3) | instskip(NEXT) | instid1(VALU_DEP_2)
	v_s_rcp_f32 s1, s1
	v_xor_b32_e32 v16, v14, v12
	s_delay_alu instid0(VALU_DEP_3) | instskip(SKIP_1) | instid1(TRANS32_DEP_1)
	v_dual_mov_b32 v25, v6 :: v_dual_bitop2_b32 v20, v15, v12 bitop3:0x14
	v_xor_b32_e32 v12, s14, v12
	s_mul_f32 s1, s1, 0x5f7ffffc
	s_delay_alu instid0(SALU_CYCLE_3) | instskip(NEXT) | instid1(SALU_CYCLE_3)
	s_mul_f32 s15, s1, 0x2f800000
	s_trunc_f32 s15, s15
	s_delay_alu instid0(SALU_CYCLE_3) | instskip(SKIP_1) | instid1(SALU_CYCLE_2)
	s_fmamk_f32 s1, s15, 0xcf800000, s1
	s_cvt_u32_f32 s27, s15
	s_cvt_u32_f32 s26, s1
	s_delay_alu instid0(SALU_CYCLE_3) | instskip(NEXT) | instid1(SALU_CYCLE_1)
	s_mul_u64 s[30:31], s[28:29], s[26:27]
	s_mul_hi_u32 s35, s26, s31
	s_mul_i32 s34, s26, s31
	s_mul_hi_u32 s20, s26, s30
	s_mul_i32 s15, s27, s30
	s_add_nc_u64 s[34:35], s[20:21], s[34:35]
	s_mul_hi_u32 s1, s27, s30
	s_mul_hi_u32 s36, s27, s31
	s_add_co_u32 s15, s34, s15
	s_add_co_ci_u32 s20, s35, s1
	s_mul_i32 s30, s27, s31
	s_add_co_ci_u32 s31, s36, 0
	s_delay_alu instid0(SALU_CYCLE_1) | instskip(NEXT) | instid1(SALU_CYCLE_1)
	s_add_nc_u64 s[30:31], s[20:21], s[30:31]
	s_add_co_u32 s26, s26, s30
	s_cselect_b32 s1, -1, 0
	s_delay_alu instid0(SALU_CYCLE_1) | instskip(SKIP_1) | instid1(SALU_CYCLE_1)
	s_cmp_lg_u32 s1, 0
	s_add_co_ci_u32 s27, s27, s31
	s_mul_u64 s[28:29], s[28:29], s[26:27]
	s_delay_alu instid0(SALU_CYCLE_1)
	s_mul_hi_u32 s31, s26, s29
	s_mul_i32 s30, s26, s29
	s_mul_hi_u32 s20, s26, s28
	s_mul_i32 s15, s27, s28
	s_add_nc_u64 s[30:31], s[20:21], s[30:31]
	s_mul_hi_u32 s1, s27, s28
	s_mul_hi_u32 s34, s27, s29
	s_add_co_u32 s15, s30, s15
	s_add_co_ci_u32 s20, s31, s1
	s_mul_i32 s28, s27, s29
	s_add_co_ci_u32 s29, s34, 0
	s_delay_alu instid0(SALU_CYCLE_1) | instskip(NEXT) | instid1(SALU_CYCLE_1)
	s_add_nc_u64 s[28:29], s[20:21], s[28:29]
	s_add_co_u32 s26, s26, s28
	s_cselect_b32 s1, -1, 0
	v_mul_hi_u32 v24, v16, s26
	s_cmp_lg_u32 s1, 0
	s_add_co_ci_u32 s20, s27, s29
	s_and_b64 s[28:29], s[26:27], s[4:5]
	v_mul_u64_e32 v[18:19], s[20:21], v[16:17]
	v_mul_u64_e32 v[14:15], s[28:29], v[20:21]
	;; [unrolled: 1-line block ×3, first 2 shown]
	s_delay_alu instid0(VALU_DEP_3) | instskip(NEXT) | instid1(VALU_DEP_1)
	v_add_nc_u64_e32 v[18:19], v[24:25], v[18:19]
	v_add_co_u32 v7, vcc_lo, v18, v14
	s_delay_alu instid0(VALU_DEP_2) | instskip(NEXT) | instid1(VALU_DEP_4)
	v_add_co_ci_u32_e32 v24, vcc_lo, v19, v15, vcc_lo
	v_add_co_ci_u32_e32 v23, vcc_lo, 0, v23, vcc_lo
	s_delay_alu instid0(VALU_DEP_1) | instskip(NEXT) | instid1(VALU_DEP_1)
	v_add_nc_u64_e32 v[14:15], v[24:25], v[22:23]
	v_mul_u64_e32 v[18:19], s[22:23], v[14:15]
	s_delay_alu instid0(VALU_DEP_1) | instskip(NEXT) | instid1(VALU_DEP_2)
	v_sub_nc_u32_e32 v7, v20, v19
	v_sub_co_u32 v13, vcc_lo, v16, v18
	s_delay_alu instid0(VALU_DEP_1) | instskip(NEXT) | instid1(VALU_DEP_3)
	v_sub_co_ci_u32_e64 v20, null, v20, v19, vcc_lo
	v_subrev_co_ci_u32_e64 v7, null, s23, v7, vcc_lo
	s_delay_alu instid0(VALU_DEP_3) | instskip(SKIP_1) | instid1(VALU_DEP_3)
	v_sub_co_u32 v16, s1, v13, s22
	v_add_nc_u64_e32 v[18:19], 1, v[14:15]
	v_subrev_co_ci_u32_e64 v7, null, 0, v7, s1
	s_delay_alu instid0(VALU_DEP_3) | instskip(SKIP_1) | instid1(VALU_DEP_3)
	v_cmp_le_u32_e32 vcc_lo, s22, v16
	v_cndmask_b32_e64 v16, 0, -1, vcc_lo
	v_cmp_le_u32_e32 vcc_lo, s23, v7
	v_cndmask_b32_e64 v17, 0, -1, vcc_lo
	;; [unrolled: 2-line block ×4, first 2 shown]
	v_cmp_eq_u32_e32 vcc_lo, s23, v7
	v_cndmask_b32_e32 v7, v17, v16, vcc_lo
	v_cmp_eq_u32_e32 vcc_lo, s23, v20
	v_add_nc_u64_e32 v[16:17], 2, v[14:15]
	v_cndmask_b32_e32 v13, v21, v13, vcc_lo
	s_delay_alu instid0(VALU_DEP_4) | instskip(NEXT) | instid1(VALU_DEP_2)
	v_cmp_ne_u32_e32 vcc_lo, 0, v7
	v_cmp_ne_u32_e64 s1, 0, v13
	s_delay_alu instid0(VALU_DEP_4) | instskip(NEXT) | instid1(VALU_DEP_1)
	v_dual_cndmask_b32 v7, v19, v17, vcc_lo :: v_dual_cndmask_b32 v13, v18, v16, vcc_lo
	v_dual_cndmask_b32 v14, v14, v13, s1 :: v_dual_mov_b32 v13, v12
	s_delay_alu instid0(VALU_DEP_1) | instskip(NEXT) | instid1(VALU_DEP_1)
	v_dual_cndmask_b32 v7, v15, v7, s1 :: v_dual_bitop2_b32 v14, v14, v12 bitop3:0x14
	v_xor_b32_e32 v15, v7, v12
	s_delay_alu instid0(VALU_DEP_1)
	v_sub_nc_u64_e32 v[12:13], v[14:15], v[12:13]
.LBB58_123:                             ;   in Loop: Header=BB58_121 Depth=1
	s_and_not1_saveexec_b32 s1, s25
	s_cbranch_execz .LBB58_120
; %bb.124:                              ;   in Loop: Header=BB58_121 Depth=1
	v_cvt_f32_u32_e32 v7, s12
	s_sub_co_i32 s14, 0, s12
	s_delay_alu instid0(VALU_DEP_1) | instskip(SKIP_1) | instid1(TRANS32_DEP_1)
	v_rcp_iflag_f32_e32 v7, v7
	v_nop
	v_mul_f32_e32 v7, 0x4f7ffffe, v7
	s_delay_alu instid0(VALU_DEP_1) | instskip(NEXT) | instid1(VALU_DEP_1)
	v_cvt_u32_f32_e32 v7, v7
	v_mul_lo_u32 v12, s14, v7
	s_delay_alu instid0(VALU_DEP_1) | instskip(NEXT) | instid1(VALU_DEP_1)
	v_mul_hi_u32 v12, v7, v12
	v_add_nc_u32_e32 v7, v7, v12
	s_delay_alu instid0(VALU_DEP_1) | instskip(NEXT) | instid1(VALU_DEP_1)
	v_mul_hi_u32 v7, v10, v7
	v_mul_lo_u32 v12, v7, s12
	s_delay_alu instid0(VALU_DEP_1) | instskip(NEXT) | instid1(VALU_DEP_1)
	v_dual_add_nc_u32 v13, 1, v7 :: v_dual_sub_nc_u32 v12, v10, v12
	v_subrev_nc_u32_e32 v14, s12, v12
	v_cmp_le_u32_e32 vcc_lo, s12, v12
	s_delay_alu instid0(VALU_DEP_2) | instskip(NEXT) | instid1(VALU_DEP_1)
	v_dual_cndmask_b32 v12, v12, v14 :: v_dual_cndmask_b32 v7, v7, v13
	v_cmp_le_u32_e32 vcc_lo, s12, v12
	s_delay_alu instid0(VALU_DEP_2) | instskip(NEXT) | instid1(VALU_DEP_1)
	v_add_nc_u32_e32 v13, 1, v7
	v_dual_cndmask_b32 v12, v7, v13 :: v_dual_mov_b32 v13, v6
	s_branch .LBB58_120
.LBB58_125:
	s_wait_loadcnt 0x1
	v_mov_b64_e32 v[2:3], 0
	v_dual_mov_b32 v0, v1 :: v_dual_bitop2_b32 v4, s2, v0 bitop3:0x54
	global_store_b64 v4, v[2:3], s[18:19] scale_offset
	s_wait_xcnt 0x0
	s_or_b32 exec_lo, exec_lo, s0
	s_delay_alu instid0(SALU_CYCLE_1)
	s_mov_b32 s0, exec_lo
	v_cmpx_gt_i32_e64 s11, v0
	s_cbranch_execz .LBB58_102
.LBB58_126:
	s_wait_loadcnt 0x1
	v_mov_b64_e32 v[2:3], 0
	v_add_nc_u32_e32 v1, s2, v0
	v_add_nc_u32_e32 v0, 0x100, v0
	global_store_b64 v1, v[2:3], s[18:19] scale_offset
	s_wait_xcnt 0x0
	s_or_b32 exec_lo, exec_lo, s0
	s_delay_alu instid0(SALU_CYCLE_1)
	s_mov_b32 s0, exec_lo
	v_cmpx_gt_i32_e64 s11, v0
	s_cbranch_execz .LBB58_103
.LBB58_127:
	s_wait_loadcnt 0x1
	v_mov_b64_e32 v[2:3], 0
	v_add_nc_u32_e32 v1, s2, v0
	v_add_nc_u32_e32 v0, 0x100, v0
	global_store_b64 v1, v[2:3], s[18:19] scale_offset
	s_wait_xcnt 0x0
	s_or_b32 exec_lo, exec_lo, s0
	s_delay_alu instid0(SALU_CYCLE_1)
	s_mov_b32 s0, exec_lo
	v_cmpx_gt_i32_e64 s11, v0
	s_cbranch_execnz .LBB58_104
	s_branch .LBB58_105
.LBB58_128:
	s_mov_b32 s4, s42
	s_mov_b32 s1, exec_lo
	s_wait_loadcnt 0x1
	v_cmpx_gt_i64_e64 v[2:3], v[4:5]
	s_cbranch_execz .LBB58_139
; %bb.129:
	s_wait_loadcnt 0x0
	s_delay_alu instid0(VALU_DEP_2) | instskip(SKIP_2) | instid1(VALU_DEP_1)
	v_lshlrev_b64_e32 v[6:7], 3, v[8:9]
	s_mov_b32 s4, 0
	s_xor_b32 s6, s38, -1
                                        ; implicit-def: $sgpr5
                                        ; implicit-def: $sgpr8
                                        ; implicit-def: $sgpr7
	v_lshl_add_u64 v[4:5], v[4:5], 3, v[6:7]
	v_add_nc_u64_e32 v[6:7], s[16:17], v[6:7]
	s_delay_alu instid0(VALU_DEP_2) | instskip(NEXT) | instid1(VALU_DEP_2)
	v_add_nc_u64_e32 v[4:5], s[16:17], v[4:5]
	v_lshl_add_u64 v[2:3], v[2:3], 3, v[6:7]
	s_delay_alu instid0(VALU_DEP_2)
	v_add_nc_u64_e32 v[4:5], 8, v[4:5]
	s_branch .LBB58_131
.LBB58_130:                             ;   in Loop: Header=BB58_131 Depth=1
	s_or_b32 exec_lo, exec_lo, s9
	s_xor_b32 s9, s7, -1
	s_and_b32 s10, exec_lo, s8
	s_delay_alu instid0(SALU_CYCLE_1) | instskip(SKIP_2) | instid1(SALU_CYCLE_1)
	s_or_b32 s4, s10, s4
	s_and_not1_b32 s5, s5, exec_lo
	s_and_b32 s9, s9, exec_lo
	s_or_b32 s5, s5, s9
	s_and_not1_b32 exec_lo, exec_lo, s4
	s_cbranch_execz .LBB58_138
.LBB58_131:                             ; =>This Inner Loop Header: Depth=1
	s_or_b32 s7, s7, exec_lo
	s_or_b32 s8, s8, exec_lo
	s_mov_b32 s9, exec_lo
	s_delay_alu instid0(VALU_DEP_1)
	v_cmpx_lt_u64_e64 v[4:5], v[2:3]
	s_cbranch_execz .LBB58_130
; %bb.132:                              ;   in Loop: Header=BB58_131 Depth=1
	global_load_b128 v[6:9], v[4:5], off offset:-8
	s_wait_xcnt 0x0
	v_add_nc_u64_e32 v[4:5], 8, v[4:5]
	s_and_not1_b32 s8, s8, exec_lo
	s_and_not1_b32 s7, s7, exec_lo
	s_wait_loadcnt 0x0
	v_cmp_ge_i64_e32 vcc_lo, v[6:7], v[8:9]
	s_or_b32 s10, s6, vcc_lo
	s_delay_alu instid0(SALU_CYCLE_1) | instskip(NEXT) | instid1(SALU_CYCLE_1)
	s_and_b32 s10, s10, exec_lo
	s_or_b32 s8, s8, s10
	s_branch .LBB58_130
.LBB58_133:
	s_mov_b32 s23, -1
	s_mov_b32 s21, 0
	s_mov_b32 s1, exec_lo
	v_cmpx_gt_i64_e64 v[32:33], v[34:35]
	s_cbranch_execz .LBB58_156
; %bb.134:
	s_delay_alu instid0(VALU_DEP_2) | instskip(SKIP_1) | instid1(VALU_DEP_1)
	v_lshlrev_b64_e32 v[36:37], 3, v[36:37]
	s_xor_b32 s23, s38, -1
                                        ; implicit-def: $sgpr22
                                        ; implicit-def: $sgpr25
                                        ; implicit-def: $sgpr24
	v_lshl_add_u64 v[34:35], v[34:35], 3, v[36:37]
	v_add_nc_u64_e32 v[36:37], s[16:17], v[36:37]
	s_delay_alu instid0(VALU_DEP_2) | instskip(NEXT) | instid1(VALU_DEP_2)
	v_add_nc_u64_e32 v[34:35], s[16:17], v[34:35]
	v_lshl_add_u64 v[32:33], v[32:33], 3, v[36:37]
	s_delay_alu instid0(VALU_DEP_2)
	v_add_nc_u64_e32 v[34:35], 8, v[34:35]
	s_branch .LBB58_136
.LBB58_135:                             ;   in Loop: Header=BB58_136 Depth=1
	s_or_b32 exec_lo, exec_lo, s26
	s_delay_alu instid0(SALU_CYCLE_1) | instskip(NEXT) | instid1(SALU_CYCLE_1)
	s_and_b32 s26, exec_lo, s25
	s_or_b32 s21, s26, s21
	s_and_not1_b32 s22, s22, exec_lo
	s_and_b32 s26, s24, exec_lo
	s_delay_alu instid0(SALU_CYCLE_1)
	s_or_b32 s22, s22, s26
	s_and_not1_b32 exec_lo, exec_lo, s21
	s_cbranch_execz .LBB58_155
.LBB58_136:                             ; =>This Inner Loop Header: Depth=1
	s_or_b32 s24, s24, exec_lo
	s_or_b32 s25, s25, exec_lo
	s_mov_b32 s26, exec_lo
	s_delay_alu instid0(VALU_DEP_1)
	v_cmpx_lt_u64_e64 v[34:35], v[32:33]
	s_cbranch_execz .LBB58_135
; %bb.137:                              ;   in Loop: Header=BB58_136 Depth=1
	s_wait_loadcnt 0x0
	global_load_b128 v[36:39], v[34:35], off offset:-8
	s_wait_xcnt 0x0
	v_add_nc_u64_e32 v[34:35], 8, v[34:35]
	s_and_not1_b32 s25, s25, exec_lo
	s_and_not1_b32 s24, s24, exec_lo
	s_wait_loadcnt 0x0
	v_cmp_ge_i64_e32 vcc_lo, v[36:37], v[38:39]
	s_or_b32 s27, s23, vcc_lo
	s_delay_alu instid0(SALU_CYCLE_1) | instskip(NEXT) | instid1(SALU_CYCLE_1)
	s_and_b32 s27, s27, exec_lo
	s_or_b32 s25, s25, s27
	s_branch .LBB58_135
.LBB58_138:
	s_or_b32 exec_lo, exec_lo, s4
	s_delay_alu instid0(SALU_CYCLE_1) | instskip(SKIP_1) | instid1(SALU_CYCLE_1)
	s_and_not1_b32 s4, s42, exec_lo
	s_and_b32 s5, s5, exec_lo
	s_or_b32 s4, s4, s5
.LBB58_139:
	s_or_b32 exec_lo, exec_lo, s1
	s_delay_alu instid0(SALU_CYCLE_1)
	s_and_not1_b32 s1, s42, exec_lo
	s_and_b32 s4, s4, exec_lo
	s_or_b32 s33, s33, exec_lo
	s_or_b32 s42, s1, s4
	s_or_b32 exec_lo, exec_lo, s24
	s_and_saveexec_b32 s1, s42
	s_cbranch_execz .LBB58_96
.LBB58_140:
	s_and_not1_b32 s33, s33, exec_lo
	s_or_b32 s3, s3, exec_lo
	s_trap 2
	s_or_b32 exec_lo, exec_lo, s1
	s_and_saveexec_b32 s1, s3
	s_cbranch_execnz .LBB58_98
	s_branch .LBB58_99
.LBB58_141:
	s_wait_loadcnt 0x0
	v_sub_nc_u64_e32 v[2:3], v[8:9], v[16:17]
	s_and_not1_b32 s37, s37, exec_lo
	s_mov_b32 s38, exec_lo
	s_delay_alu instid0(VALU_DEP_1) | instskip(SKIP_2) | instid1(SALU_CYCLE_1)
	v_cmp_gt_i64_e32 vcc_lo, s[4:5], v[2:3]
	v_cmp_lt_i64_e64 s0, s[6:7], v[2:3]
	s_or_b32 s0, vcc_lo, s0
	s_and_b32 s0, s0, exec_lo
	s_delay_alu instid0(SALU_CYCLE_1)
	s_or_b32 s37, s37, s0
	s_or_b32 exec_lo, exec_lo, s39
	s_and_saveexec_b32 s0, s37
	s_cbranch_execz .LBB58_69
.LBB58_142:
	s_or_b32 s3, s3, exec_lo
	s_and_not1_b32 s38, s38, exec_lo
	s_trap 2
	s_or_b32 exec_lo, exec_lo, s0
	s_mov_b32 s0, 0
	s_and_saveexec_b32 s53, s38
	s_cbranch_execz .LBB58_70
.LBB58_143:
	s_wait_loadcnt 0x2
	v_mov_b64_e32 v[2:3], 0
	s_and_not1_b32 vcc_lo, exec_lo, s52
	s_cbranch_vccnz .LBB58_150
; %bb.144:
	s_wait_loadcnt 0x0
	v_mul_u64_e32 v[6:7], s[8:9], v[24:25]
	v_mov_b64_e32 v[2:3], 0
	s_mov_b32 s37, 0
	v_mov_b32_e32 v4, 0
	s_lshl_b64 s[42:43], s[36:37], 3
	s_mov_b64 s[38:39], 0xffffffff
	s_add_nc_u64 s[40:41], s[12:13], s[42:43]
	s_add_nc_u64 s[42:43], s[14:15], s[42:43]
	s_branch .LBB58_146
.LBB58_145:                             ;   in Loop: Header=BB58_146 Depth=1
	s_or_b32 exec_lo, exec_lo, s0
	s_delay_alu instid0(VALU_DEP_1)
	v_mul_u64_e32 v[12:13], s[44:45], v[10:11]
	s_load_b64 s[44:45], s[42:43], 0x0
	s_add_co_i32 s55, s55, -1
	s_add_nc_u64 s[40:41], s[40:41], -8
	s_cmp_lg_u32 s55, 0
	s_wait_xcnt 0x0
	s_add_nc_u64 s[42:43], s[42:43], -8
	s_delay_alu instid0(VALU_DEP_1) | instskip(SKIP_1) | instid1(VALU_DEP_1)
	v_sub_nc_u64_e32 v[6:7], v[6:7], v[12:13]
	s_wait_kmcnt 0x0
	v_mad_nc_u64_u32 v[2:3], v6, s44, v[2:3]
	s_delay_alu instid0(VALU_DEP_1) | instskip(NEXT) | instid1(VALU_DEP_1)
	v_mad_u32 v1, v7, s44, v3
	v_mad_u32 v3, v6, s45, v1
	v_mov_b64_e32 v[6:7], v[10:11]
	s_cbranch_scc0 .LBB58_150
.LBB58_146:                             ; =>This Inner Loop Header: Depth=1
	s_load_b64 s[44:45], s[40:41], 0x0
                                        ; implicit-def: $vgpr10_vgpr11
	s_mov_b32 s0, exec_lo
	s_wait_kmcnt 0x0
	s_delay_alu instid0(VALU_DEP_1) | instskip(NEXT) | instid1(VALU_DEP_1)
	v_or_b32_e32 v5, s45, v7
	v_cmpx_ne_u64_e32 0, v[4:5]
	s_xor_b32 s52, exec_lo, s0
	s_cbranch_execz .LBB58_148
; %bb.147:                              ;   in Loop: Header=BB58_146 Depth=1
	s_ashr_i32 s46, s45, 31
	v_dual_mov_b32 v15, v4 :: v_dual_ashrrev_i32 v10, 31, v7
	s_mov_b32 s47, s46
	v_mov_b32_e32 v25, v4
	s_add_nc_u64 s[48:49], s[44:45], s[46:47]
	s_delay_alu instid0(VALU_DEP_2) | instskip(SKIP_1) | instid1(SALU_CYCLE_1)
	v_mov_b32_e32 v11, v10
	s_xor_b64 s[48:49], s[48:49], s[46:47]
	s_cvt_f32_u32 s0, s48
	s_cvt_f32_u32 s36, s49
	s_sub_nc_u64 s[58:59], 0, s[48:49]
	v_add_nc_u64_e32 v[12:13], v[6:7], v[10:11]
	v_mov_b32_e32 v21, v4
	s_fmamk_f32 s0, s36, 0x4f800000, s0
	s_delay_alu instid0(SALU_CYCLE_3) | instskip(NEXT) | instid1(VALU_DEP_2)
	v_s_rcp_f32 s0, s0
	v_xor_b32_e32 v14, v12, v10
	s_delay_alu instid0(VALU_DEP_3) | instskip(NEXT) | instid1(TRANS32_DEP_1)
	v_xor_b32_e32 v20, v13, v10
	s_mul_f32 s0, s0, 0x5f7ffffc
	s_delay_alu instid0(SALU_CYCLE_3) | instskip(NEXT) | instid1(SALU_CYCLE_3)
	s_mul_f32 s36, s0, 0x2f800000
	s_trunc_f32 s36, s36
	s_delay_alu instid0(SALU_CYCLE_3) | instskip(SKIP_1) | instid1(SALU_CYCLE_2)
	s_fmamk_f32 s0, s36, 0xcf800000, s0
	s_cvt_u32_f32 s57, s36
	s_cvt_u32_f32 s56, s0
	s_delay_alu instid0(SALU_CYCLE_3) | instskip(NEXT) | instid1(SALU_CYCLE_1)
	s_mul_u64 s[60:61], s[58:59], s[56:57]
	s_mul_hi_u32 s63, s56, s61
	s_mul_i32 s62, s56, s61
	s_mul_hi_u32 s36, s56, s60
	s_mul_i32 s47, s57, s60
	s_add_nc_u64 s[62:63], s[36:37], s[62:63]
	s_mul_hi_u32 s0, s57, s60
	s_mul_hi_u32 s64, s57, s61
	s_add_co_u32 s36, s62, s47
	s_add_co_ci_u32 s36, s63, s0
	s_mul_i32 s60, s57, s61
	s_add_co_ci_u32 s61, s64, 0
	s_delay_alu instid0(SALU_CYCLE_1) | instskip(NEXT) | instid1(SALU_CYCLE_1)
	s_add_nc_u64 s[60:61], s[36:37], s[60:61]
	s_add_co_u32 s56, s56, s60
	s_cselect_b32 s0, -1, 0
	s_delay_alu instid0(SALU_CYCLE_1) | instskip(SKIP_1) | instid1(SALU_CYCLE_1)
	s_cmp_lg_u32 s0, 0
	s_add_co_ci_u32 s57, s57, s61
	s_mul_u64 s[58:59], s[58:59], s[56:57]
	s_delay_alu instid0(SALU_CYCLE_1)
	s_mul_hi_u32 s61, s56, s59
	s_mul_i32 s60, s56, s59
	s_mul_hi_u32 s36, s56, s58
	s_mul_i32 s47, s57, s58
	s_add_nc_u64 s[60:61], s[36:37], s[60:61]
	s_mul_hi_u32 s0, s57, s58
	s_mul_hi_u32 s62, s57, s59
	s_add_co_u32 s36, s60, s47
	s_add_co_ci_u32 s36, s61, s0
	s_mul_i32 s58, s57, s59
	s_add_co_ci_u32 s59, s62, 0
	s_delay_alu instid0(SALU_CYCLE_1) | instskip(NEXT) | instid1(SALU_CYCLE_1)
	s_add_nc_u64 s[58:59], s[36:37], s[58:59]
	s_add_co_u32 s0, s56, s58
	s_cselect_b32 s36, -1, 0
	v_mul_hi_u32 v24, v14, s0
	s_cmp_lg_u32 s36, 0
	s_add_co_ci_u32 s36, s57, s59
	s_and_b64 s[56:57], s[0:1], s[38:39]
	v_mul_u64_e32 v[18:19], s[36:37], v[14:15]
	v_mul_u64_e32 v[12:13], s[56:57], v[20:21]
	;; [unrolled: 1-line block ×3, first 2 shown]
	s_delay_alu instid0(VALU_DEP_3) | instskip(NEXT) | instid1(VALU_DEP_1)
	v_add_nc_u64_e32 v[18:19], v[24:25], v[18:19]
	v_add_co_u32 v1, vcc_lo, v18, v12
	s_delay_alu instid0(VALU_DEP_2) | instskip(NEXT) | instid1(VALU_DEP_4)
	v_add_co_ci_u32_e32 v24, vcc_lo, v19, v13, vcc_lo
	v_add_co_ci_u32_e32 v23, vcc_lo, 0, v23, vcc_lo
	s_delay_alu instid0(VALU_DEP_1) | instskip(NEXT) | instid1(VALU_DEP_1)
	v_add_nc_u64_e32 v[12:13], v[24:25], v[22:23]
	v_mul_u64_e32 v[18:19], s[48:49], v[12:13]
	s_delay_alu instid0(VALU_DEP_1) | instskip(NEXT) | instid1(VALU_DEP_2)
	v_sub_nc_u32_e32 v1, v20, v19
	v_sub_co_u32 v5, vcc_lo, v14, v18
	s_delay_alu instid0(VALU_DEP_1) | instskip(NEXT) | instid1(VALU_DEP_3)
	v_sub_co_ci_u32_e64 v20, null, v20, v19, vcc_lo
	v_subrev_co_ci_u32_e64 v1, null, s49, v1, vcc_lo
	s_delay_alu instid0(VALU_DEP_3) | instskip(SKIP_1) | instid1(VALU_DEP_3)
	v_sub_co_u32 v11, s0, v5, s48
	v_add_nc_u64_e32 v[18:19], 1, v[12:13]
	v_subrev_co_ci_u32_e64 v1, null, 0, v1, s0
	s_delay_alu instid0(VALU_DEP_3) | instskip(SKIP_1) | instid1(VALU_DEP_3)
	v_cmp_le_u32_e32 vcc_lo, s48, v11
	v_cndmask_b32_e64 v11, 0, -1, vcc_lo
	v_cmp_le_u32_e32 vcc_lo, s49, v1
	v_cndmask_b32_e64 v14, 0, -1, vcc_lo
	;; [unrolled: 2-line block ×4, first 2 shown]
	v_cmp_eq_u32_e32 vcc_lo, s49, v1
	v_cndmask_b32_e32 v1, v14, v11, vcc_lo
	v_cmp_eq_u32_e32 vcc_lo, s49, v20
	v_add_nc_u64_e32 v[14:15], 2, v[12:13]
	v_cndmask_b32_e32 v5, v21, v5, vcc_lo
	s_delay_alu instid0(VALU_DEP_4) | instskip(NEXT) | instid1(VALU_DEP_2)
	v_cmp_ne_u32_e32 vcc_lo, 0, v1
	v_cmp_ne_u32_e64 s0, 0, v5
	s_delay_alu instid0(VALU_DEP_4) | instskip(NEXT) | instid1(VALU_DEP_1)
	v_dual_cndmask_b32 v1, v19, v15, vcc_lo :: v_dual_cndmask_b32 v5, v18, v14, vcc_lo
	v_dual_cndmask_b32 v1, v13, v1, s0 :: v_dual_bitop2_b32 v10, s46, v10 bitop3:0x14
	s_delay_alu instid0(VALU_DEP_1) | instskip(NEXT) | instid1(VALU_DEP_2)
	v_dual_cndmask_b32 v5, v12, v5, s0 :: v_dual_mov_b32 v11, v10
	v_xor_b32_e32 v13, v1, v10
	s_delay_alu instid0(VALU_DEP_2) | instskip(NEXT) | instid1(VALU_DEP_1)
	v_xor_b32_e32 v12, v5, v10
	v_sub_nc_u64_e32 v[10:11], v[12:13], v[10:11]
.LBB58_148:                             ;   in Loop: Header=BB58_146 Depth=1
	s_and_not1_saveexec_b32 s0, s52
	s_cbranch_execz .LBB58_145
; %bb.149:                              ;   in Loop: Header=BB58_146 Depth=1
	v_cvt_f32_u32_e32 v1, s44
	s_sub_co_i32 s36, 0, s44
	s_delay_alu instid0(VALU_DEP_1) | instskip(SKIP_1) | instid1(TRANS32_DEP_1)
	v_rcp_iflag_f32_e32 v1, v1
	v_nop
	v_mul_f32_e32 v1, 0x4f7ffffe, v1
	s_delay_alu instid0(VALU_DEP_1) | instskip(NEXT) | instid1(VALU_DEP_1)
	v_cvt_u32_f32_e32 v1, v1
	v_mul_lo_u32 v5, s36, v1
	s_delay_alu instid0(VALU_DEP_1) | instskip(NEXT) | instid1(VALU_DEP_1)
	v_mul_hi_u32 v5, v1, v5
	v_add_nc_u32_e32 v1, v1, v5
	s_delay_alu instid0(VALU_DEP_1) | instskip(NEXT) | instid1(VALU_DEP_1)
	v_mul_hi_u32 v1, v6, v1
	v_mul_lo_u32 v5, v1, s44
	s_delay_alu instid0(VALU_DEP_1) | instskip(NEXT) | instid1(VALU_DEP_1)
	v_sub_nc_u32_e32 v5, v6, v5
	v_subrev_nc_u32_e32 v11, s44, v5
	v_cmp_le_u32_e32 vcc_lo, s44, v5
	s_delay_alu instid0(VALU_DEP_2) | instskip(NEXT) | instid1(VALU_DEP_1)
	v_dual_cndmask_b32 v5, v5, v11 :: v_dual_add_nc_u32 v10, 1, v1
	v_dual_cndmask_b32 v1, v1, v10, vcc_lo :: v_dual_mov_b32 v11, v4
	s_delay_alu instid0(VALU_DEP_2) | instskip(NEXT) | instid1(VALU_DEP_2)
	v_cmp_le_u32_e32 vcc_lo, s44, v5
	v_add_nc_u32_e32 v10, 1, v1
	s_delay_alu instid0(VALU_DEP_1)
	v_cndmask_b32_e32 v10, v1, v10, vcc_lo
	s_branch .LBB58_145
.LBB58_150:
	s_mov_b32 s36, s54
	s_mov_b32 s0, exec_lo
	s_wait_loadcnt 0x0
	v_cmpx_gt_i64_e64 v[8:9], v[16:17]
	s_cbranch_execz .LBB58_177
; %bb.151:
	s_delay_alu instid0(VALU_DEP_2) | instskip(SKIP_2) | instid1(VALU_DEP_1)
	v_lshlrev_b64_e32 v[2:3], 3, v[2:3]
	s_mov_b32 s36, 0
	s_xor_b32 s38, s51, -1
                                        ; implicit-def: $sgpr37
                                        ; implicit-def: $sgpr40
                                        ; implicit-def: $sgpr39
	v_lshl_add_u64 v[4:5], v[16:17], 3, v[2:3]
	v_add_nc_u64_e32 v[6:7], s[16:17], v[2:3]
	s_delay_alu instid0(VALU_DEP_2) | instskip(NEXT) | instid1(VALU_DEP_1)
	v_add_nc_u64_e32 v[4:5], s[16:17], v[4:5]
	v_add_nc_u64_e32 v[2:3], 8, v[4:5]
	s_delay_alu instid0(VALU_DEP_3)
	v_lshl_add_u64 v[4:5], v[8:9], 3, v[6:7]
	s_branch .LBB58_153
.LBB58_152:                             ;   in Loop: Header=BB58_153 Depth=1
	s_or_b32 exec_lo, exec_lo, s41
	s_xor_b32 s41, s39, -1
	s_and_b32 s42, exec_lo, s40
	s_delay_alu instid0(SALU_CYCLE_1) | instskip(SKIP_2) | instid1(SALU_CYCLE_1)
	s_or_b32 s36, s42, s36
	s_and_not1_b32 s37, s37, exec_lo
	s_and_b32 s41, s41, exec_lo
	s_or_b32 s37, s37, s41
	s_and_not1_b32 exec_lo, exec_lo, s36
	s_cbranch_execz .LBB58_176
.LBB58_153:                             ; =>This Inner Loop Header: Depth=1
	s_or_b32 s39, s39, exec_lo
	s_or_b32 s40, s40, exec_lo
	s_mov_b32 s41, exec_lo
	s_delay_alu instid0(VALU_DEP_2)
	v_cmpx_lt_u64_e64 v[2:3], v[4:5]
	s_cbranch_execz .LBB58_152
; %bb.154:                              ;   in Loop: Header=BB58_153 Depth=1
	global_load_b128 v[6:9], v[2:3], off offset:-8
	s_wait_xcnt 0x0
	v_add_nc_u64_e32 v[2:3], 8, v[2:3]
	s_and_not1_b32 s40, s40, exec_lo
	s_and_not1_b32 s39, s39, exec_lo
	s_wait_loadcnt 0x0
	v_cmp_ge_i64_e32 vcc_lo, v[6:7], v[8:9]
	s_or_b32 s42, s38, vcc_lo
	s_delay_alu instid0(SALU_CYCLE_1) | instskip(NEXT) | instid1(SALU_CYCLE_1)
	s_and_b32 s42, s42, exec_lo
	s_or_b32 s40, s40, s42
	s_branch .LBB58_152
.LBB58_155:
	s_or_b32 exec_lo, exec_lo, s21
	s_delay_alu instid0(SALU_CYCLE_1)
	s_mov_b32 s21, exec_lo
	s_or_not1_b32 s23, s22, exec_lo
.LBB58_156:
	s_or_b32 exec_lo, exec_lo, s1
	s_delay_alu instid0(SALU_CYCLE_1)
	s_and_b32 s22, s21, exec_lo
	s_xor_b32 s21, exec_lo, -1
	s_and_b32 s1, s23, exec_lo
.LBB58_157:
	s_or_b32 exec_lo, exec_lo, s45
	s_delay_alu instid0(SALU_CYCLE_1)
	s_and_b32 s23, s22, exec_lo
	s_and_b32 s22, s21, exec_lo
	s_xor_b32 s21, exec_lo, -1
	s_and_b32 s1, s1, exec_lo
.LBB58_158:
	s_or_b32 exec_lo, exec_lo, s44
	s_delay_alu instid0(SALU_CYCLE_1)
	s_and_b32 s24, s23, exec_lo
	s_and_b32 s23, s22, exec_lo
	;; [unrolled: 1-line block ×3, first 2 shown]
	s_xor_b32 s21, exec_lo, -1
	s_and_b32 s1, s1, exec_lo
.LBB58_159:
	s_or_b32 exec_lo, exec_lo, s42
	s_delay_alu instid0(SALU_CYCLE_1)
	s_and_b32 s42, s24, exec_lo
	s_and_b32 s44, s23, exec_lo
	;; [unrolled: 1-line block ×4, first 2 shown]
	s_or_not1_b32 s1, s1, exec_lo
	s_or_b32 exec_lo, exec_lo, s33
	s_mov_b32 s33, 0
	s_and_saveexec_b32 s47, s1
	s_cbranch_execz .LBB58_88
.LBB58_160:
	s_mov_b32 s1, -1
	s_mov_b32 s52, 0
	s_mov_b32 s48, s46
	;; [unrolled: 1-line block ×4, first 2 shown]
	s_mov_b32 s51, exec_lo
	v_cmpx_gt_i32_e64 s11, v1
	s_cbranch_execz .LBB58_184
; %bb.161:
	s_wait_loadcnt 0x4
	v_cmp_eq_u64_e32 vcc_lo, s[4:5], v[28:29]
	s_mov_b32 s21, -1
	s_mov_b32 s1, 0
	s_mov_b32 s23, s45
	;; [unrolled: 1-line block ×4, first 2 shown]
	s_and_b32 s25, s43, vcc_lo
	s_delay_alu instid0(SALU_CYCLE_1)
	s_and_saveexec_b32 s33, s25
	s_cbranch_execz .LBB58_183
; %bb.162:
	s_wait_loadcnt 0x3
	v_cmp_eq_u64_e32 vcc_lo, s[8:9], v[30:31]
	s_mov_b32 s23, s44
	s_and_b32 s24, s41, vcc_lo
	s_delay_alu instid0(SALU_CYCLE_1)
	s_and_saveexec_b32 s48, s24
	s_cbranch_execz .LBB58_182
; %bb.163:
	s_wait_loadcnt 0x1
	v_sub_nc_u64_e32 v[28:29], v[22:23], v[24:25]
	s_delay_alu instid0(VALU_DEP_1)
	v_cmp_le_i64_e32 vcc_lo, s[4:5], v[28:29]
	v_cmp_ge_i64_e64 s1, s[6:7], v[28:29]
	s_and_b32 s22, vcc_lo, s1
	s_mov_b32 s1, 0
	s_and_b32 s23, s40, s22
	s_mov_b32 s22, 0
	s_and_saveexec_b32 s49, s23
	s_cbranch_execz .LBB58_181
; %bb.164:
	v_cmp_lt_i64_e64 s1, s[8:9], 1
	v_mov_b64_e32 v[28:29], 0
	s_xor_b32 s21, s39, -1
	s_delay_alu instid0(SALU_CYCLE_1) | instskip(NEXT) | instid1(SALU_CYCLE_1)
	s_or_b32 s1, s1, s21
	s_and_b32 vcc_lo, exec_lo, s1
	s_cbranch_vccnz .LBB58_171
; %bb.165:
	s_wait_loadcnt 0x0
	v_mul_u64_e32 v[30:31], s[8:9], v[26:27]
	s_mov_b32 s23, 0
	v_mov_b64_e32 v[28:29], 0
	s_mov_b32 s21, s23
	v_mov_b32_e32 v26, 0
	s_lshl_b64 s[28:29], s[20:21], 3
	s_mov_b64 s[24:25], 0xffffffff
	s_add_nc_u64 s[26:27], s[12:13], s[28:29]
	s_add_nc_u64 s[28:29], s[14:15], s[28:29]
	s_mov_b32 s21, s10
	s_branch .LBB58_167
.LBB58_166:                             ;   in Loop: Header=BB58_167 Depth=1
	s_or_b32 exec_lo, exec_lo, s1
	s_delay_alu instid0(VALU_DEP_1)
	v_mul_u64_e32 v[34:35], s[30:31], v[32:33]
	s_load_b64 s[30:31], s[28:29], 0x0
	s_add_co_i32 s21, s21, -1
	s_add_nc_u64 s[26:27], s[26:27], -8
	s_cmp_lg_u32 s21, 0
	s_wait_xcnt 0x0
	s_add_nc_u64 s[28:29], s[28:29], -8
	s_delay_alu instid0(VALU_DEP_1) | instskip(SKIP_1) | instid1(VALU_DEP_1)
	v_sub_nc_u64_e32 v[30:31], v[30:31], v[34:35]
	s_wait_kmcnt 0x0
	v_mad_nc_u64_u32 v[28:29], v30, s30, v[28:29]
	s_delay_alu instid0(VALU_DEP_1) | instskip(NEXT) | instid1(VALU_DEP_1)
	v_mad_u32 v27, v31, s30, v29
	v_mad_u32 v29, v30, s31, v27
	v_mov_b64_e32 v[30:31], v[32:33]
	s_cbranch_scc0 .LBB58_171
.LBB58_167:                             ; =>This Inner Loop Header: Depth=1
	s_load_b64 s[30:31], s[26:27], 0x0
                                        ; implicit-def: $vgpr32_vgpr33
	s_mov_b32 s1, exec_lo
	s_wait_kmcnt 0x0
	s_delay_alu instid0(VALU_DEP_1) | instskip(NEXT) | instid1(VALU_DEP_1)
	v_or_b32_e32 v27, s31, v31
	v_cmpx_ne_u64_e32 0, v[26:27]
	s_xor_b32 s50, exec_lo, s1
	s_cbranch_execz .LBB58_169
; %bb.168:                              ;   in Loop: Header=BB58_167 Depth=1
	s_ashr_i32 s34, s31, 31
	v_dual_mov_b32 v37, v26 :: v_dual_ashrrev_i32 v32, 31, v31
	s_mov_b32 s35, s34
	s_delay_alu instid0(SALU_CYCLE_1) | instskip(NEXT) | instid1(VALU_DEP_1)
	s_add_nc_u64 s[36:37], s[30:31], s[34:35]
	v_mov_b32_e32 v33, v32
	s_xor_b64 s[36:37], s[36:37], s[34:35]
	s_delay_alu instid0(SALU_CYCLE_1)
	s_cvt_f32_u32 s1, s36
	s_cvt_f32_u32 s22, s37
	s_sub_nc_u64 s[56:57], 0, s[36:37]
	v_add_nc_u64_e32 v[34:35], v[30:31], v[32:33]
	v_mov_b32_e32 v41, v26
	s_fmamk_f32 s1, s22, 0x4f800000, s1
	s_delay_alu instid0(SALU_CYCLE_3) | instskip(NEXT) | instid1(VALU_DEP_2)
	v_s_rcp_f32 s1, s1
	v_xor_b32_e32 v36, v34, v32
	s_delay_alu instid0(VALU_DEP_3) | instskip(SKIP_1) | instid1(TRANS32_DEP_1)
	v_dual_mov_b32 v45, v26 :: v_dual_bitop2_b32 v40, v35, v32 bitop3:0x14
	v_xor_b32_e32 v32, s34, v32
	s_mul_f32 s1, s1, 0x5f7ffffc
	s_delay_alu instid0(SALU_CYCLE_3) | instskip(NEXT) | instid1(SALU_CYCLE_3)
	s_mul_f32 s22, s1, 0x2f800000
	s_trunc_f32 s22, s22
	s_delay_alu instid0(SALU_CYCLE_3) | instskip(SKIP_1) | instid1(SALU_CYCLE_2)
	s_fmamk_f32 s1, s22, 0xcf800000, s1
	s_cvt_u32_f32 s55, s22
	s_cvt_u32_f32 s54, s1
	s_delay_alu instid0(SALU_CYCLE_3) | instskip(NEXT) | instid1(SALU_CYCLE_1)
	s_mul_u64 s[58:59], s[56:57], s[54:55]
	s_mul_hi_u32 s61, s54, s59
	s_mul_i32 s60, s54, s59
	s_mul_hi_u32 s22, s54, s58
	s_mul_i32 s35, s55, s58
	s_add_nc_u64 s[60:61], s[22:23], s[60:61]
	s_mul_hi_u32 s1, s55, s58
	s_mul_hi_u32 s53, s55, s59
	s_add_co_u32 s22, s60, s35
	s_add_co_ci_u32 s22, s61, s1
	s_mul_i32 s58, s55, s59
	s_add_co_ci_u32 s59, s53, 0
	s_delay_alu instid0(SALU_CYCLE_1) | instskip(NEXT) | instid1(SALU_CYCLE_1)
	s_add_nc_u64 s[58:59], s[22:23], s[58:59]
	s_add_co_u32 s54, s54, s58
	s_cselect_b32 s1, -1, 0
	s_delay_alu instid0(SALU_CYCLE_1) | instskip(SKIP_1) | instid1(SALU_CYCLE_1)
	s_cmp_lg_u32 s1, 0
	s_add_co_ci_u32 s55, s55, s59
	s_mul_u64 s[56:57], s[56:57], s[54:55]
	s_delay_alu instid0(SALU_CYCLE_1)
	s_mul_hi_u32 s59, s54, s57
	s_mul_i32 s58, s54, s57
	s_mul_hi_u32 s22, s54, s56
	s_mul_i32 s35, s55, s56
	s_add_nc_u64 s[58:59], s[22:23], s[58:59]
	s_mul_hi_u32 s1, s55, s56
	s_mul_hi_u32 s53, s55, s57
	s_add_co_u32 s22, s58, s35
	s_add_co_ci_u32 s22, s59, s1
	s_mul_i32 s56, s55, s57
	s_add_co_ci_u32 s57, s53, 0
	s_delay_alu instid0(SALU_CYCLE_1) | instskip(NEXT) | instid1(SALU_CYCLE_1)
	s_add_nc_u64 s[56:57], s[22:23], s[56:57]
	s_add_co_u32 s54, s54, s56
	s_cselect_b32 s1, -1, 0
	v_mul_hi_u32 v44, v36, s54
	s_cmp_lg_u32 s1, 0
	s_add_co_ci_u32 s22, s55, s57
	s_and_b64 s[56:57], s[54:55], s[24:25]
	v_mul_u64_e32 v[38:39], s[22:23], v[36:37]
	v_mul_u64_e32 v[34:35], s[56:57], v[40:41]
	;; [unrolled: 1-line block ×3, first 2 shown]
	s_delay_alu instid0(VALU_DEP_3) | instskip(NEXT) | instid1(VALU_DEP_1)
	v_add_nc_u64_e32 v[38:39], v[44:45], v[38:39]
	v_add_co_u32 v27, vcc_lo, v38, v34
	s_delay_alu instid0(VALU_DEP_2) | instskip(NEXT) | instid1(VALU_DEP_4)
	v_add_co_ci_u32_e32 v44, vcc_lo, v39, v35, vcc_lo
	v_add_co_ci_u32_e32 v43, vcc_lo, 0, v43, vcc_lo
	s_delay_alu instid0(VALU_DEP_1) | instskip(NEXT) | instid1(VALU_DEP_1)
	v_add_nc_u64_e32 v[34:35], v[44:45], v[42:43]
	v_mul_u64_e32 v[38:39], s[36:37], v[34:35]
	s_delay_alu instid0(VALU_DEP_1) | instskip(NEXT) | instid1(VALU_DEP_2)
	v_sub_nc_u32_e32 v27, v40, v39
	v_sub_co_u32 v33, vcc_lo, v36, v38
	s_delay_alu instid0(VALU_DEP_1) | instskip(NEXT) | instid1(VALU_DEP_3)
	v_sub_co_ci_u32_e64 v40, null, v40, v39, vcc_lo
	v_subrev_co_ci_u32_e64 v27, null, s37, v27, vcc_lo
	s_delay_alu instid0(VALU_DEP_3) | instskip(SKIP_1) | instid1(VALU_DEP_3)
	v_sub_co_u32 v36, s1, v33, s36
	v_add_nc_u64_e32 v[38:39], 1, v[34:35]
	v_subrev_co_ci_u32_e64 v27, null, 0, v27, s1
	s_delay_alu instid0(VALU_DEP_3) | instskip(SKIP_1) | instid1(VALU_DEP_3)
	v_cmp_le_u32_e32 vcc_lo, s36, v36
	v_cndmask_b32_e64 v36, 0, -1, vcc_lo
	v_cmp_le_u32_e32 vcc_lo, s37, v27
	v_cndmask_b32_e64 v37, 0, -1, vcc_lo
	;; [unrolled: 2-line block ×4, first 2 shown]
	v_cmp_eq_u32_e32 vcc_lo, s37, v27
	v_cndmask_b32_e32 v27, v37, v36, vcc_lo
	v_cmp_eq_u32_e32 vcc_lo, s37, v40
	v_add_nc_u64_e32 v[36:37], 2, v[34:35]
	v_cndmask_b32_e32 v33, v41, v33, vcc_lo
	s_delay_alu instid0(VALU_DEP_4) | instskip(NEXT) | instid1(VALU_DEP_2)
	v_cmp_ne_u32_e32 vcc_lo, 0, v27
	v_cmp_ne_u32_e64 s1, 0, v33
	s_delay_alu instid0(VALU_DEP_4) | instskip(NEXT) | instid1(VALU_DEP_1)
	v_dual_cndmask_b32 v27, v39, v37, vcc_lo :: v_dual_cndmask_b32 v33, v38, v36, vcc_lo
	v_dual_cndmask_b32 v34, v34, v33, s1 :: v_dual_mov_b32 v33, v32
	s_delay_alu instid0(VALU_DEP_1) | instskip(NEXT) | instid1(VALU_DEP_1)
	v_dual_cndmask_b32 v27, v35, v27, s1 :: v_dual_bitop2_b32 v34, v34, v32 bitop3:0x14
	v_xor_b32_e32 v35, v27, v32
	s_delay_alu instid0(VALU_DEP_1)
	v_sub_nc_u64_e32 v[32:33], v[34:35], v[32:33]
.LBB58_169:                             ;   in Loop: Header=BB58_167 Depth=1
	s_and_not1_saveexec_b32 s1, s50
	s_cbranch_execz .LBB58_166
; %bb.170:                              ;   in Loop: Header=BB58_167 Depth=1
	v_cvt_f32_u32_e32 v27, s30
	s_sub_co_i32 s22, 0, s30
	s_delay_alu instid0(VALU_DEP_1) | instskip(SKIP_1) | instid1(TRANS32_DEP_1)
	v_rcp_iflag_f32_e32 v27, v27
	v_nop
	v_mul_f32_e32 v27, 0x4f7ffffe, v27
	s_delay_alu instid0(VALU_DEP_1) | instskip(NEXT) | instid1(VALU_DEP_1)
	v_cvt_u32_f32_e32 v27, v27
	v_mul_lo_u32 v32, s22, v27
	s_delay_alu instid0(VALU_DEP_1) | instskip(NEXT) | instid1(VALU_DEP_1)
	v_mul_hi_u32 v32, v27, v32
	v_add_nc_u32_e32 v27, v27, v32
	s_delay_alu instid0(VALU_DEP_1) | instskip(NEXT) | instid1(VALU_DEP_1)
	v_mul_hi_u32 v27, v30, v27
	v_mul_lo_u32 v32, v27, s30
	s_delay_alu instid0(VALU_DEP_1) | instskip(NEXT) | instid1(VALU_DEP_1)
	v_dual_add_nc_u32 v33, 1, v27 :: v_dual_sub_nc_u32 v32, v30, v32
	v_subrev_nc_u32_e32 v34, s30, v32
	v_cmp_le_u32_e32 vcc_lo, s30, v32
	s_delay_alu instid0(VALU_DEP_2) | instskip(NEXT) | instid1(VALU_DEP_1)
	v_dual_cndmask_b32 v32, v32, v34 :: v_dual_cndmask_b32 v27, v27, v33
	v_cmp_le_u32_e32 vcc_lo, s30, v32
	s_delay_alu instid0(VALU_DEP_2) | instskip(NEXT) | instid1(VALU_DEP_1)
	v_add_nc_u32_e32 v33, 1, v27
	v_dual_cndmask_b32 v32, v27, v33 :: v_dual_mov_b32 v33, v26
	s_branch .LBB58_166
.LBB58_171:
	s_mov_b32 s23, -1
	s_mov_b32 s21, 0
	s_mov_b32 s1, exec_lo
	v_cmpx_gt_i64_e64 v[22:23], v[24:25]
	s_cbranch_execz .LBB58_180
; %bb.172:
	s_wait_loadcnt 0x0
	s_delay_alu instid0(VALU_DEP_2) | instskip(SKIP_1) | instid1(VALU_DEP_1)
	v_lshlrev_b64_e32 v[26:27], 3, v[28:29]
	s_xor_b32 s23, s38, -1
                                        ; implicit-def: $sgpr22
                                        ; implicit-def: $sgpr25
                                        ; implicit-def: $sgpr24
	v_lshl_add_u64 v[24:25], v[24:25], 3, v[26:27]
	v_add_nc_u64_e32 v[26:27], s[16:17], v[26:27]
	s_delay_alu instid0(VALU_DEP_2) | instskip(NEXT) | instid1(VALU_DEP_2)
	v_add_nc_u64_e32 v[24:25], s[16:17], v[24:25]
	v_lshl_add_u64 v[22:23], v[22:23], 3, v[26:27]
	s_delay_alu instid0(VALU_DEP_2)
	v_add_nc_u64_e32 v[24:25], 8, v[24:25]
	s_branch .LBB58_174
.LBB58_173:                             ;   in Loop: Header=BB58_174 Depth=1
	s_or_b32 exec_lo, exec_lo, s26
	s_delay_alu instid0(SALU_CYCLE_1) | instskip(NEXT) | instid1(SALU_CYCLE_1)
	s_and_b32 s26, exec_lo, s25
	s_or_b32 s21, s26, s21
	s_and_not1_b32 s22, s22, exec_lo
	s_and_b32 s26, s24, exec_lo
	s_delay_alu instid0(SALU_CYCLE_1)
	s_or_b32 s22, s22, s26
	s_and_not1_b32 exec_lo, exec_lo, s21
	s_cbranch_execz .LBB58_179
.LBB58_174:                             ; =>This Inner Loop Header: Depth=1
	s_or_b32 s24, s24, exec_lo
	s_or_b32 s25, s25, exec_lo
	s_mov_b32 s26, exec_lo
	s_delay_alu instid0(VALU_DEP_1)
	v_cmpx_lt_u64_e64 v[24:25], v[22:23]
	s_cbranch_execz .LBB58_173
; %bb.175:                              ;   in Loop: Header=BB58_174 Depth=1
	global_load_b128 v[26:29], v[24:25], off offset:-8
	s_wait_xcnt 0x0
	v_add_nc_u64_e32 v[24:25], 8, v[24:25]
	s_and_not1_b32 s25, s25, exec_lo
	s_and_not1_b32 s24, s24, exec_lo
	s_wait_loadcnt 0x0
	v_cmp_ge_i64_e32 vcc_lo, v[26:27], v[28:29]
	s_or_b32 s27, s23, vcc_lo
	s_delay_alu instid0(SALU_CYCLE_1) | instskip(NEXT) | instid1(SALU_CYCLE_1)
	s_and_b32 s27, s27, exec_lo
	s_or_b32 s25, s25, s27
	s_branch .LBB58_173
.LBB58_176:
	s_or_b32 exec_lo, exec_lo, s36
	s_delay_alu instid0(SALU_CYCLE_1) | instskip(SKIP_1) | instid1(SALU_CYCLE_1)
	s_and_not1_b32 s36, s54, exec_lo
	s_and_b32 s37, s37, exec_lo
	s_or_b32 s36, s36, s37
.LBB58_177:
	s_or_b32 exec_lo, exec_lo, s0
	s_delay_alu instid0(SALU_CYCLE_1)
	s_and_not1_b32 s37, s54, exec_lo
	s_and_b32 s36, s36, exec_lo
	s_mov_b32 s0, exec_lo
	s_or_b32 s54, s37, s36
	s_or_b32 exec_lo, exec_lo, s53
	s_and_saveexec_b32 s36, s54
	s_cbranch_execz .LBB58_71
.LBB58_178:
	s_or_b32 s3, s3, exec_lo
	s_and_not1_b32 s0, s0, exec_lo
	s_trap 2
	s_or_b32 exec_lo, exec_lo, s36
	s_and_saveexec_b32 s36, s0
	s_delay_alu instid0(SALU_CYCLE_1)
	s_xor_b32 s0, exec_lo, s36
	s_cbranch_execnz .LBB58_72
	s_branch .LBB58_73
.LBB58_179:
	s_or_b32 exec_lo, exec_lo, s21
	s_delay_alu instid0(SALU_CYCLE_1)
	s_mov_b32 s21, exec_lo
	s_or_not1_b32 s23, s22, exec_lo
.LBB58_180:
	s_or_b32 exec_lo, exec_lo, s1
	s_delay_alu instid0(SALU_CYCLE_1)
	s_and_b32 s22, s21, exec_lo
	s_xor_b32 s21, exec_lo, -1
	s_and_b32 s1, s23, exec_lo
.LBB58_181:
	s_or_b32 exec_lo, exec_lo, s49
	s_delay_alu instid0(SALU_CYCLE_1)
	s_and_not1_b32 s23, s44, exec_lo
	s_and_b32 s21, s21, exec_lo
	s_and_b32 s22, s22, exec_lo
	s_or_b32 s23, s23, s21
	s_xor_b32 s21, exec_lo, -1
	s_and_b32 s1, s1, exec_lo
.LBB58_182:
	s_or_b32 exec_lo, exec_lo, s48
	s_delay_alu instid0(SALU_CYCLE_1)
	s_and_not1_b32 s24, s44, exec_lo
	s_and_b32 s23, s23, exec_lo
	s_and_not1_b32 s25, s45, exec_lo
	s_and_b32 s21, s21, exec_lo
	s_and_b32 s22, s22, exec_lo
	s_or_b32 s24, s24, s23
	s_or_b32 s23, s25, s21
	s_xor_b32 s21, exec_lo, -1
	s_and_b32 s1, s1, exec_lo
.LBB58_183:
	s_or_b32 exec_lo, exec_lo, s33
	s_delay_alu instid0(SALU_CYCLE_1)
	s_and_not1_b32 s25, s44, exec_lo
	s_and_b32 s24, s24, exec_lo
	s_and_b32 s33, s22, exec_lo
	s_or_b32 s49, s25, s24
	s_and_not1_b32 s22, s45, exec_lo
	s_and_b32 s23, s23, exec_lo
	s_and_not1_b32 s24, s46, exec_lo
	s_and_b32 s21, s21, exec_lo
	s_or_b32 s50, s22, s23
	s_or_b32 s48, s24, s21
	s_or_not1_b32 s1, s1, exec_lo
.LBB58_184:
	s_or_b32 exec_lo, exec_lo, s51
	s_mov_b32 s23, 0
	s_and_saveexec_b32 s51, s1
	s_cbranch_execz .LBB58_211
; %bb.185:
	s_wait_loadcnt 0x1
	v_or_b32_e32 v22, 0x200, v0
	s_mov_b32 s25, -1
	s_mov_b32 s52, 0
	s_mov_b32 s1, s48
	;; [unrolled: 1-line block ×4, first 2 shown]
	s_mov_b32 s53, exec_lo
	v_cmpx_gt_i32_e64 s11, v22
	s_cbranch_execz .LBB58_206
; %bb.186:
	v_cmp_eq_u64_e32 vcc_lo, s[4:5], v[20:21]
	s_mov_b32 s1, -1
	s_mov_b32 s24, 0
	s_mov_b32 s25, s50
	;; [unrolled: 1-line block ×4, first 2 shown]
	s_and_b32 s22, s43, vcc_lo
	s_delay_alu instid0(SALU_CYCLE_1)
	s_and_saveexec_b32 s54, s22
	s_cbranch_execz .LBB58_205
; %bb.187:
	v_cmp_eq_u64_e32 vcc_lo, s[8:9], v[18:19]
	s_mov_b32 s22, 0
	s_mov_b32 s23, s49
	s_and_b32 s21, s41, vcc_lo
	s_delay_alu instid0(SALU_CYCLE_1)
	s_and_saveexec_b32 s55, s21
	s_cbranch_execz .LBB58_204
; %bb.188:
	v_sub_nc_u64_e32 v[18:19], v[12:13], v[14:15]
	s_mov_b32 s22, -1
	s_mov_b32 s21, 0
	s_delay_alu instid0(VALU_DEP_1) | instskip(SKIP_2) | instid1(SALU_CYCLE_1)
	v_cmp_le_i64_e32 vcc_lo, s[4:5], v[18:19]
	v_cmp_ge_i64_e64 s1, s[6:7], v[18:19]
	s_and_b32 s1, vcc_lo, s1
	s_and_b32 s23, s40, s1
	s_mov_b32 s1, 0
	s_and_saveexec_b32 s56, s23
	s_cbranch_execz .LBB58_203
; %bb.189:
	v_cmp_lt_i64_e64 s1, s[8:9], 1
	v_mov_b64_e32 v[18:19], 0
	s_xor_b32 s21, s39, -1
	s_delay_alu instid0(SALU_CYCLE_1) | instskip(NEXT) | instid1(SALU_CYCLE_1)
	s_or_b32 s1, s1, s21
	s_and_b32 vcc_lo, exec_lo, s1
	s_cbranch_vccnz .LBB58_196
; %bb.190:
	s_wait_loadcnt 0x0
	v_mul_u64_e32 v[20:21], s[8:9], v[16:17]
	s_mov_b32 s23, 0
	v_mov_b64_e32 v[18:19], 0
	s_mov_b32 s21, s23
	v_mov_b32_e32 v16, 0
	s_lshl_b64 s[28:29], s[20:21], 3
	s_mov_b64 s[24:25], 0xffffffff
	s_add_nc_u64 s[26:27], s[12:13], s[28:29]
	s_add_nc_u64 s[28:29], s[14:15], s[28:29]
	s_mov_b32 s21, s10
	s_branch .LBB58_192
.LBB58_191:                             ;   in Loop: Header=BB58_192 Depth=1
	s_or_b32 exec_lo, exec_lo, s1
	s_delay_alu instid0(VALU_DEP_1)
	v_mul_u64_e32 v[24:25], s[30:31], v[22:23]
	s_load_b64 s[30:31], s[28:29], 0x0
	s_add_co_i32 s21, s21, -1
	s_add_nc_u64 s[26:27], s[26:27], -8
	s_cmp_lg_u32 s21, 0
	s_wait_xcnt 0x0
	s_add_nc_u64 s[28:29], s[28:29], -8
	s_delay_alu instid0(VALU_DEP_1) | instskip(SKIP_1) | instid1(VALU_DEP_1)
	v_sub_nc_u64_e32 v[20:21], v[20:21], v[24:25]
	s_wait_kmcnt 0x0
	v_mad_nc_u64_u32 v[18:19], v20, s30, v[18:19]
	s_delay_alu instid0(VALU_DEP_1) | instskip(NEXT) | instid1(VALU_DEP_1)
	v_mad_u32 v17, v21, s30, v19
	v_mad_u32 v19, v20, s31, v17
	v_mov_b64_e32 v[20:21], v[22:23]
	s_cbranch_scc0 .LBB58_196
.LBB58_192:                             ; =>This Inner Loop Header: Depth=1
	s_load_b64 s[30:31], s[26:27], 0x0
                                        ; implicit-def: $vgpr22_vgpr23
	s_mov_b32 s1, exec_lo
	s_wait_kmcnt 0x0
	s_delay_alu instid0(VALU_DEP_1) | instskip(NEXT) | instid1(VALU_DEP_1)
	v_or_b32_e32 v17, s31, v21
	v_cmpx_ne_u64_e32 0, v[16:17]
	s_xor_b32 s57, exec_lo, s1
	s_cbranch_execz .LBB58_194
; %bb.193:                              ;   in Loop: Header=BB58_192 Depth=1
	s_ashr_i32 s34, s31, 31
	v_dual_mov_b32 v27, v16 :: v_dual_ashrrev_i32 v22, 31, v21
	s_mov_b32 s35, s34
	s_delay_alu instid0(SALU_CYCLE_1) | instskip(NEXT) | instid1(VALU_DEP_1)
	s_add_nc_u64 s[36:37], s[30:31], s[34:35]
	v_mov_b32_e32 v23, v22
	s_xor_b64 s[36:37], s[36:37], s[34:35]
	s_delay_alu instid0(SALU_CYCLE_1)
	s_cvt_f32_u32 s1, s36
	s_cvt_f32_u32 s22, s37
	s_sub_nc_u64 s[60:61], 0, s[36:37]
	v_add_nc_u64_e32 v[24:25], v[20:21], v[22:23]
	v_mov_b32_e32 v31, v16
	s_fmamk_f32 s1, s22, 0x4f800000, s1
	s_delay_alu instid0(SALU_CYCLE_3) | instskip(NEXT) | instid1(VALU_DEP_2)
	v_s_rcp_f32 s1, s1
	v_xor_b32_e32 v26, v24, v22
	s_delay_alu instid0(VALU_DEP_3) | instskip(SKIP_1) | instid1(TRANS32_DEP_1)
	v_dual_mov_b32 v35, v16 :: v_dual_bitop2_b32 v30, v25, v22 bitop3:0x14
	v_xor_b32_e32 v22, s34, v22
	s_mul_f32 s1, s1, 0x5f7ffffc
	s_delay_alu instid0(SALU_CYCLE_3) | instskip(NEXT) | instid1(SALU_CYCLE_3)
	s_mul_f32 s22, s1, 0x2f800000
	s_trunc_f32 s22, s22
	s_delay_alu instid0(SALU_CYCLE_3) | instskip(SKIP_1) | instid1(SALU_CYCLE_2)
	s_fmamk_f32 s1, s22, 0xcf800000, s1
	s_cvt_u32_f32 s59, s22
	s_cvt_u32_f32 s58, s1
	s_delay_alu instid0(SALU_CYCLE_3) | instskip(NEXT) | instid1(SALU_CYCLE_1)
	s_mul_u64 s[62:63], s[60:61], s[58:59]
	s_mul_hi_u32 s65, s58, s63
	s_mul_i32 s64, s58, s63
	s_mul_hi_u32 s22, s58, s62
	s_mul_i32 s35, s59, s62
	s_add_nc_u64 s[64:65], s[22:23], s[64:65]
	s_mul_hi_u32 s1, s59, s62
	s_mul_hi_u32 s66, s59, s63
	s_add_co_u32 s22, s64, s35
	s_add_co_ci_u32 s22, s65, s1
	s_mul_i32 s62, s59, s63
	s_add_co_ci_u32 s63, s66, 0
	s_delay_alu instid0(SALU_CYCLE_1) | instskip(NEXT) | instid1(SALU_CYCLE_1)
	s_add_nc_u64 s[62:63], s[22:23], s[62:63]
	s_add_co_u32 s58, s58, s62
	s_cselect_b32 s1, -1, 0
	s_delay_alu instid0(SALU_CYCLE_1) | instskip(SKIP_1) | instid1(SALU_CYCLE_1)
	s_cmp_lg_u32 s1, 0
	s_add_co_ci_u32 s59, s59, s63
	s_mul_u64 s[60:61], s[60:61], s[58:59]
	s_delay_alu instid0(SALU_CYCLE_1)
	s_mul_hi_u32 s63, s58, s61
	s_mul_i32 s62, s58, s61
	s_mul_hi_u32 s22, s58, s60
	s_mul_i32 s35, s59, s60
	s_add_nc_u64 s[62:63], s[22:23], s[62:63]
	s_mul_hi_u32 s1, s59, s60
	s_mul_hi_u32 s64, s59, s61
	s_add_co_u32 s22, s62, s35
	s_add_co_ci_u32 s22, s63, s1
	s_mul_i32 s60, s59, s61
	s_add_co_ci_u32 s61, s64, 0
	s_delay_alu instid0(SALU_CYCLE_1) | instskip(NEXT) | instid1(SALU_CYCLE_1)
	s_add_nc_u64 s[60:61], s[22:23], s[60:61]
	s_add_co_u32 s58, s58, s60
	s_cselect_b32 s1, -1, 0
	v_mul_hi_u32 v34, v26, s58
	s_cmp_lg_u32 s1, 0
	s_add_co_ci_u32 s22, s59, s61
	s_and_b64 s[60:61], s[58:59], s[24:25]
	v_mul_u64_e32 v[28:29], s[22:23], v[26:27]
	v_mul_u64_e32 v[24:25], s[60:61], v[30:31]
	;; [unrolled: 1-line block ×3, first 2 shown]
	s_delay_alu instid0(VALU_DEP_3) | instskip(NEXT) | instid1(VALU_DEP_1)
	v_add_nc_u64_e32 v[28:29], v[34:35], v[28:29]
	v_add_co_u32 v17, vcc_lo, v28, v24
	s_delay_alu instid0(VALU_DEP_2) | instskip(NEXT) | instid1(VALU_DEP_4)
	v_add_co_ci_u32_e32 v34, vcc_lo, v29, v25, vcc_lo
	v_add_co_ci_u32_e32 v33, vcc_lo, 0, v33, vcc_lo
	s_delay_alu instid0(VALU_DEP_1) | instskip(NEXT) | instid1(VALU_DEP_1)
	v_add_nc_u64_e32 v[24:25], v[34:35], v[32:33]
	v_mul_u64_e32 v[28:29], s[36:37], v[24:25]
	s_delay_alu instid0(VALU_DEP_1) | instskip(NEXT) | instid1(VALU_DEP_2)
	v_sub_nc_u32_e32 v17, v30, v29
	v_sub_co_u32 v23, vcc_lo, v26, v28
	s_delay_alu instid0(VALU_DEP_1) | instskip(NEXT) | instid1(VALU_DEP_3)
	v_sub_co_ci_u32_e64 v30, null, v30, v29, vcc_lo
	v_subrev_co_ci_u32_e64 v17, null, s37, v17, vcc_lo
	s_delay_alu instid0(VALU_DEP_3) | instskip(SKIP_1) | instid1(VALU_DEP_3)
	v_sub_co_u32 v26, s1, v23, s36
	v_add_nc_u64_e32 v[28:29], 1, v[24:25]
	v_subrev_co_ci_u32_e64 v17, null, 0, v17, s1
	s_delay_alu instid0(VALU_DEP_3) | instskip(SKIP_1) | instid1(VALU_DEP_3)
	v_cmp_le_u32_e32 vcc_lo, s36, v26
	v_cndmask_b32_e64 v26, 0, -1, vcc_lo
	v_cmp_le_u32_e32 vcc_lo, s37, v17
	v_cndmask_b32_e64 v27, 0, -1, vcc_lo
	;; [unrolled: 2-line block ×4, first 2 shown]
	v_cmp_eq_u32_e32 vcc_lo, s37, v17
	v_cndmask_b32_e32 v17, v27, v26, vcc_lo
	v_cmp_eq_u32_e32 vcc_lo, s37, v30
	v_add_nc_u64_e32 v[26:27], 2, v[24:25]
	v_cndmask_b32_e32 v23, v31, v23, vcc_lo
	s_delay_alu instid0(VALU_DEP_4) | instskip(NEXT) | instid1(VALU_DEP_2)
	v_cmp_ne_u32_e32 vcc_lo, 0, v17
	v_cmp_ne_u32_e64 s1, 0, v23
	s_delay_alu instid0(VALU_DEP_4) | instskip(NEXT) | instid1(VALU_DEP_1)
	v_dual_cndmask_b32 v17, v29, v27, vcc_lo :: v_dual_cndmask_b32 v23, v28, v26, vcc_lo
	v_dual_cndmask_b32 v24, v24, v23, s1 :: v_dual_mov_b32 v23, v22
	s_delay_alu instid0(VALU_DEP_1) | instskip(NEXT) | instid1(VALU_DEP_1)
	v_dual_cndmask_b32 v17, v25, v17, s1 :: v_dual_bitop2_b32 v24, v24, v22 bitop3:0x14
	v_xor_b32_e32 v25, v17, v22
	s_delay_alu instid0(VALU_DEP_1)
	v_sub_nc_u64_e32 v[22:23], v[24:25], v[22:23]
.LBB58_194:                             ;   in Loop: Header=BB58_192 Depth=1
	s_and_not1_saveexec_b32 s1, s57
	s_cbranch_execz .LBB58_191
; %bb.195:                              ;   in Loop: Header=BB58_192 Depth=1
	v_cvt_f32_u32_e32 v17, s30
	s_sub_co_i32 s22, 0, s30
	s_delay_alu instid0(VALU_DEP_1) | instskip(SKIP_1) | instid1(TRANS32_DEP_1)
	v_rcp_iflag_f32_e32 v17, v17
	v_nop
	v_mul_f32_e32 v17, 0x4f7ffffe, v17
	s_delay_alu instid0(VALU_DEP_1) | instskip(NEXT) | instid1(VALU_DEP_1)
	v_cvt_u32_f32_e32 v17, v17
	v_mul_lo_u32 v22, s22, v17
	s_delay_alu instid0(VALU_DEP_1) | instskip(NEXT) | instid1(VALU_DEP_1)
	v_mul_hi_u32 v22, v17, v22
	v_add_nc_u32_e32 v17, v17, v22
	s_delay_alu instid0(VALU_DEP_1) | instskip(NEXT) | instid1(VALU_DEP_1)
	v_mul_hi_u32 v17, v20, v17
	v_mul_lo_u32 v22, v17, s30
	s_delay_alu instid0(VALU_DEP_1) | instskip(NEXT) | instid1(VALU_DEP_1)
	v_dual_add_nc_u32 v23, 1, v17 :: v_dual_sub_nc_u32 v22, v20, v22
	v_subrev_nc_u32_e32 v24, s30, v22
	v_cmp_le_u32_e32 vcc_lo, s30, v22
	s_delay_alu instid0(VALU_DEP_2) | instskip(NEXT) | instid1(VALU_DEP_1)
	v_dual_cndmask_b32 v22, v22, v24 :: v_dual_cndmask_b32 v17, v17, v23
	v_cmp_le_u32_e32 vcc_lo, s30, v22
	s_delay_alu instid0(VALU_DEP_2) | instskip(NEXT) | instid1(VALU_DEP_1)
	v_add_nc_u32_e32 v23, 1, v17
	v_dual_cndmask_b32 v22, v17, v23 :: v_dual_mov_b32 v23, v16
	s_branch .LBB58_191
.LBB58_196:
	s_mov_b32 s21, -1
	s_mov_b32 s23, 0
	s_mov_b32 s1, exec_lo
	v_cmpx_gt_i64_e64 v[12:13], v[14:15]
	s_cbranch_execz .LBB58_202
; %bb.197:
	s_wait_loadcnt 0x0
	s_delay_alu instid0(VALU_DEP_2) | instskip(SKIP_2) | instid1(VALU_DEP_1)
	v_lshlrev_b64_e32 v[16:17], 3, v[18:19]
	s_mov_b32 s21, 0
	s_xor_b32 s23, s38, -1
                                        ; implicit-def: $sgpr22
                                        ; implicit-def: $sgpr25
                                        ; implicit-def: $sgpr24
	v_lshl_add_u64 v[14:15], v[14:15], 3, v[16:17]
	v_add_nc_u64_e32 v[16:17], s[16:17], v[16:17]
	s_delay_alu instid0(VALU_DEP_2) | instskip(NEXT) | instid1(VALU_DEP_2)
	v_add_nc_u64_e32 v[14:15], s[16:17], v[14:15]
	v_lshl_add_u64 v[12:13], v[12:13], 3, v[16:17]
	s_delay_alu instid0(VALU_DEP_2)
	v_add_nc_u64_e32 v[14:15], 8, v[14:15]
	s_branch .LBB58_199
.LBB58_198:                             ;   in Loop: Header=BB58_199 Depth=1
	s_or_b32 exec_lo, exec_lo, s26
	s_delay_alu instid0(SALU_CYCLE_1) | instskip(NEXT) | instid1(SALU_CYCLE_1)
	s_and_b32 s26, exec_lo, s25
	s_or_b32 s21, s26, s21
	s_and_not1_b32 s22, s22, exec_lo
	s_and_b32 s26, s24, exec_lo
	s_delay_alu instid0(SALU_CYCLE_1)
	s_or_b32 s22, s22, s26
	s_and_not1_b32 exec_lo, exec_lo, s21
	s_cbranch_execz .LBB58_201
.LBB58_199:                             ; =>This Inner Loop Header: Depth=1
	s_or_b32 s24, s24, exec_lo
	s_or_b32 s25, s25, exec_lo
	s_mov_b32 s26, exec_lo
	s_delay_alu instid0(VALU_DEP_1)
	v_cmpx_lt_u64_e64 v[14:15], v[12:13]
	s_cbranch_execz .LBB58_198
; %bb.200:                              ;   in Loop: Header=BB58_199 Depth=1
	global_load_b128 v[16:19], v[14:15], off offset:-8
	s_wait_xcnt 0x0
	v_add_nc_u64_e32 v[14:15], 8, v[14:15]
	s_and_not1_b32 s25, s25, exec_lo
	s_and_not1_b32 s24, s24, exec_lo
	s_wait_loadcnt 0x0
	v_cmp_ge_i64_e32 vcc_lo, v[16:17], v[18:19]
	s_or_b32 s27, s23, vcc_lo
	s_delay_alu instid0(SALU_CYCLE_1) | instskip(NEXT) | instid1(SALU_CYCLE_1)
	s_and_b32 s27, s27, exec_lo
	s_or_b32 s25, s25, s27
	s_branch .LBB58_198
.LBB58_201:
	s_or_b32 exec_lo, exec_lo, s21
	s_delay_alu instid0(SALU_CYCLE_1)
	s_mov_b32 s23, exec_lo
	s_or_not1_b32 s21, s22, exec_lo
.LBB58_202:
	s_or_b32 exec_lo, exec_lo, s1
	s_delay_alu instid0(SALU_CYCLE_1)
	s_and_b32 s1, s23, exec_lo
	s_xor_b32 s22, exec_lo, -1
	s_and_b32 s21, s21, exec_lo
.LBB58_203:
	s_or_b32 exec_lo, exec_lo, s56
	s_delay_alu instid0(SALU_CYCLE_1)
	s_and_not1_b32 s23, s49, exec_lo
	s_and_b32 s22, s22, exec_lo
	s_and_b32 s24, s1, exec_lo
	s_or_b32 s23, s23, s22
	s_xor_b32 s1, exec_lo, -1
	s_and_b32 s22, s21, exec_lo
.LBB58_204:
	s_or_b32 exec_lo, exec_lo, s55
	s_delay_alu instid0(SALU_CYCLE_1)
	s_and_b32 s21, s24, exec_lo
	s_and_not1_b32 s24, s49, exec_lo
	s_and_b32 s23, s23, exec_lo
	s_and_not1_b32 s25, s50, exec_lo
	s_and_b32 s1, s1, exec_lo
	s_or_b32 s23, s24, s23
	s_or_b32 s25, s25, s1
	s_xor_b32 s1, exec_lo, -1
	s_and_b32 s24, s22, exec_lo
.LBB58_205:
	s_or_b32 exec_lo, exec_lo, s54
	s_delay_alu instid0(SALU_CYCLE_1)
	s_and_not1_b32 s22, s49, exec_lo
	s_and_b32 s26, s23, exec_lo
	s_and_b32 s23, s21, exec_lo
	s_or_b32 s21, s22, s26
	s_and_not1_b32 s22, s50, exec_lo
	s_and_b32 s25, s25, exec_lo
	s_and_not1_b32 s26, s48, exec_lo
	s_and_b32 s1, s1, exec_lo
	s_or_b32 s22, s22, s25
	s_or_b32 s1, s26, s1
	s_or_not1_b32 s25, s24, exec_lo
.LBB58_206:
	s_or_b32 exec_lo, exec_lo, s53
	s_mov_b32 s26, 0
	s_and_saveexec_b32 s24, s25
	s_cbranch_execz .LBB58_210
; %bb.207:
	v_or_b32_e32 v12, 0x300, v0
	s_mov_b32 s25, 0
	s_mov_b32 s26, -1
	s_mov_b32 s27, s1
	s_mov_b32 s28, exec_lo
	v_cmpx_gt_i32_e64 s11, v12
	s_xor_b32 s28, exec_lo, s28
; %bb.208:
	v_cmp_ne_u64_e32 vcc_lo, s[4:5], v[10:11]
	s_xor_b32 s26, s43, -1
	s_and_not1_b32 s27, s1, exec_lo
	s_mov_b32 s25, exec_lo
	s_or_b32 s26, s26, vcc_lo
	s_delay_alu instid0(SALU_CYCLE_1)
	s_and_b32 s29, s26, exec_lo
	s_xor_b32 s26, exec_lo, -1
	s_or_b32 s27, s27, s29
; %bb.209:
	s_or_b32 exec_lo, exec_lo, s28
	s_delay_alu instid0(SALU_CYCLE_1)
	s_and_not1_b32 s1, s1, exec_lo
	s_and_b32 s27, s27, exec_lo
	s_and_b32 s26, s26, exec_lo
	s_and_not1_b32 s23, s23, exec_lo
	s_and_b32 s52, s25, exec_lo
	s_or_b32 s1, s1, s27
.LBB58_210:
	s_or_b32 exec_lo, exec_lo, s24
	s_delay_alu instid0(SALU_CYCLE_1)
	s_and_not1_b32 s24, s33, exec_lo
	s_and_b32 s25, s23, exec_lo
	s_and_b32 s21, s21, exec_lo
	s_or_b32 s33, s24, s25
	s_and_not1_b32 s24, s49, exec_lo
	s_and_not1_b32 s25, s50, exec_lo
	s_and_b32 s22, s22, exec_lo
	s_or_b32 s49, s24, s21
	s_and_not1_b32 s21, s48, exec_lo
	s_and_b32 s1, s1, exec_lo
	s_and_b32 s23, s26, exec_lo
	s_or_b32 s50, s25, s22
	s_and_b32 s52, s52, exec_lo
	s_or_b32 s48, s21, s1
.LBB58_211:
	s_or_b32 exec_lo, exec_lo, s51
	s_delay_alu instid0(SALU_CYCLE_1)
	s_and_not1_b32 s1, s42, exec_lo
	s_and_b32 s21, s33, exec_lo
	s_and_b32 s33, s23, exec_lo
	s_or_b32 s42, s1, s21
	s_and_not1_b32 s1, s44, exec_lo
	s_and_b32 s21, s49, exec_lo
	s_and_not1_b32 s22, s45, exec_lo
	s_and_b32 s23, s50, exec_lo
	s_or_b32 s44, s1, s21
	s_and_not1_b32 s1, s46, exec_lo
	s_and_b32 s21, s48, exec_lo
	s_or_b32 s45, s22, s23
	s_and_b32 s48, s52, exec_lo
	s_or_b32 s46, s1, s21
	s_or_b32 exec_lo, exec_lo, s47
	s_and_saveexec_b32 s1, s46
	s_cbranch_execz .LBB58_89
.LBB58_212:
	s_or_b32 s3, s3, exec_lo
	s_and_not1_b32 s48, s48, exec_lo
	s_trap 2
	s_branch .LBB58_89
.LBB58_213:
	s_or_b32 s3, s3, exec_lo
	s_trap 2
	s_branch .LBB58_76
.LBB58_214:
	s_or_b32 s3, s3, exec_lo
	s_and_not1_b32 s1, s1, exec_lo
	s_trap 2
	s_branch .LBB58_92
.LBB58_215:
	s_mov_b32 s3, exec_lo
	s_and_not1_b32 s0, s0, exec_lo
	s_trap 2
	s_branch .LBB58_67
	.section	.rodata,"a",@progbits
	.p2align	6, 0x0
	.amdhsa_kernel _ZN2at6native29vectorized_elementwise_kernelILi4EZZZNS0_12_GLOBAL__N_142_validate_compressed_sparse_indices_kernelILNS2_8CDimNameE0ENS2_18CUDAKernelLauncherENS2_14EmptyVecKernelENS2_8DummyVecELm0EEEvRKNS_6TensorESA_lllENKUlvE1_clEvENKUlvE0_clEvEUllllllE_St5arrayIPcLm6EEEEviT0_T1_
		.amdhsa_group_segment_fixed_size 0
		.amdhsa_private_segment_fixed_size 0
		.amdhsa_kernarg_size 112
		.amdhsa_user_sgpr_count 2
		.amdhsa_user_sgpr_dispatch_ptr 0
		.amdhsa_user_sgpr_queue_ptr 0
		.amdhsa_user_sgpr_kernarg_segment_ptr 1
		.amdhsa_user_sgpr_dispatch_id 0
		.amdhsa_user_sgpr_kernarg_preload_length 0
		.amdhsa_user_sgpr_kernarg_preload_offset 0
		.amdhsa_user_sgpr_private_segment_size 0
		.amdhsa_wavefront_size32 1
		.amdhsa_uses_dynamic_stack 0
		.amdhsa_enable_private_segment 0
		.amdhsa_system_sgpr_workgroup_id_x 1
		.amdhsa_system_sgpr_workgroup_id_y 0
		.amdhsa_system_sgpr_workgroup_id_z 0
		.amdhsa_system_sgpr_workgroup_info 0
		.amdhsa_system_vgpr_workitem_id 0
		.amdhsa_next_free_vgpr 58
		.amdhsa_next_free_sgpr 76
		.amdhsa_named_barrier_count 0
		.amdhsa_reserve_vcc 1
		.amdhsa_float_round_mode_32 0
		.amdhsa_float_round_mode_16_64 0
		.amdhsa_float_denorm_mode_32 3
		.amdhsa_float_denorm_mode_16_64 3
		.amdhsa_fp16_overflow 0
		.amdhsa_memory_ordered 1
		.amdhsa_forward_progress 1
		.amdhsa_inst_pref_size 103
		.amdhsa_round_robin_scheduling 0
		.amdhsa_exception_fp_ieee_invalid_op 0
		.amdhsa_exception_fp_denorm_src 0
		.amdhsa_exception_fp_ieee_div_zero 0
		.amdhsa_exception_fp_ieee_overflow 0
		.amdhsa_exception_fp_ieee_underflow 0
		.amdhsa_exception_fp_ieee_inexact 0
		.amdhsa_exception_int_div_zero 0
	.end_amdhsa_kernel
	.section	.text._ZN2at6native29vectorized_elementwise_kernelILi4EZZZNS0_12_GLOBAL__N_142_validate_compressed_sparse_indices_kernelILNS2_8CDimNameE0ENS2_18CUDAKernelLauncherENS2_14EmptyVecKernelENS2_8DummyVecELm0EEEvRKNS_6TensorESA_lllENKUlvE1_clEvENKUlvE0_clEvEUllllllE_St5arrayIPcLm6EEEEviT0_T1_,"axG",@progbits,_ZN2at6native29vectorized_elementwise_kernelILi4EZZZNS0_12_GLOBAL__N_142_validate_compressed_sparse_indices_kernelILNS2_8CDimNameE0ENS2_18CUDAKernelLauncherENS2_14EmptyVecKernelENS2_8DummyVecELm0EEEvRKNS_6TensorESA_lllENKUlvE1_clEvENKUlvE0_clEvEUllllllE_St5arrayIPcLm6EEEEviT0_T1_,comdat
.Lfunc_end58:
	.size	_ZN2at6native29vectorized_elementwise_kernelILi4EZZZNS0_12_GLOBAL__N_142_validate_compressed_sparse_indices_kernelILNS2_8CDimNameE0ENS2_18CUDAKernelLauncherENS2_14EmptyVecKernelENS2_8DummyVecELm0EEEvRKNS_6TensorESA_lllENKUlvE1_clEvENKUlvE0_clEvEUllllllE_St5arrayIPcLm6EEEEviT0_T1_, .Lfunc_end58-_ZN2at6native29vectorized_elementwise_kernelILi4EZZZNS0_12_GLOBAL__N_142_validate_compressed_sparse_indices_kernelILNS2_8CDimNameE0ENS2_18CUDAKernelLauncherENS2_14EmptyVecKernelENS2_8DummyVecELm0EEEvRKNS_6TensorESA_lllENKUlvE1_clEvENKUlvE0_clEvEUllllllE_St5arrayIPcLm6EEEEviT0_T1_
                                        ; -- End function
	.set _ZN2at6native29vectorized_elementwise_kernelILi4EZZZNS0_12_GLOBAL__N_142_validate_compressed_sparse_indices_kernelILNS2_8CDimNameE0ENS2_18CUDAKernelLauncherENS2_14EmptyVecKernelENS2_8DummyVecELm0EEEvRKNS_6TensorESA_lllENKUlvE1_clEvENKUlvE0_clEvEUllllllE_St5arrayIPcLm6EEEEviT0_T1_.num_vgpr, 58
	.set _ZN2at6native29vectorized_elementwise_kernelILi4EZZZNS0_12_GLOBAL__N_142_validate_compressed_sparse_indices_kernelILNS2_8CDimNameE0ENS2_18CUDAKernelLauncherENS2_14EmptyVecKernelENS2_8DummyVecELm0EEEvRKNS_6TensorESA_lllENKUlvE1_clEvENKUlvE0_clEvEUllllllE_St5arrayIPcLm6EEEEviT0_T1_.num_agpr, 0
	.set _ZN2at6native29vectorized_elementwise_kernelILi4EZZZNS0_12_GLOBAL__N_142_validate_compressed_sparse_indices_kernelILNS2_8CDimNameE0ENS2_18CUDAKernelLauncherENS2_14EmptyVecKernelENS2_8DummyVecELm0EEEvRKNS_6TensorESA_lllENKUlvE1_clEvENKUlvE0_clEvEUllllllE_St5arrayIPcLm6EEEEviT0_T1_.numbered_sgpr, 76
	.set _ZN2at6native29vectorized_elementwise_kernelILi4EZZZNS0_12_GLOBAL__N_142_validate_compressed_sparse_indices_kernelILNS2_8CDimNameE0ENS2_18CUDAKernelLauncherENS2_14EmptyVecKernelENS2_8DummyVecELm0EEEvRKNS_6TensorESA_lllENKUlvE1_clEvENKUlvE0_clEvEUllllllE_St5arrayIPcLm6EEEEviT0_T1_.num_named_barrier, 0
	.set _ZN2at6native29vectorized_elementwise_kernelILi4EZZZNS0_12_GLOBAL__N_142_validate_compressed_sparse_indices_kernelILNS2_8CDimNameE0ENS2_18CUDAKernelLauncherENS2_14EmptyVecKernelENS2_8DummyVecELm0EEEvRKNS_6TensorESA_lllENKUlvE1_clEvENKUlvE0_clEvEUllllllE_St5arrayIPcLm6EEEEviT0_T1_.private_seg_size, 0
	.set _ZN2at6native29vectorized_elementwise_kernelILi4EZZZNS0_12_GLOBAL__N_142_validate_compressed_sparse_indices_kernelILNS2_8CDimNameE0ENS2_18CUDAKernelLauncherENS2_14EmptyVecKernelENS2_8DummyVecELm0EEEvRKNS_6TensorESA_lllENKUlvE1_clEvENKUlvE0_clEvEUllllllE_St5arrayIPcLm6EEEEviT0_T1_.uses_vcc, 1
	.set _ZN2at6native29vectorized_elementwise_kernelILi4EZZZNS0_12_GLOBAL__N_142_validate_compressed_sparse_indices_kernelILNS2_8CDimNameE0ENS2_18CUDAKernelLauncherENS2_14EmptyVecKernelENS2_8DummyVecELm0EEEvRKNS_6TensorESA_lllENKUlvE1_clEvENKUlvE0_clEvEUllllllE_St5arrayIPcLm6EEEEviT0_T1_.uses_flat_scratch, 0
	.set _ZN2at6native29vectorized_elementwise_kernelILi4EZZZNS0_12_GLOBAL__N_142_validate_compressed_sparse_indices_kernelILNS2_8CDimNameE0ENS2_18CUDAKernelLauncherENS2_14EmptyVecKernelENS2_8DummyVecELm0EEEvRKNS_6TensorESA_lllENKUlvE1_clEvENKUlvE0_clEvEUllllllE_St5arrayIPcLm6EEEEviT0_T1_.has_dyn_sized_stack, 0
	.set _ZN2at6native29vectorized_elementwise_kernelILi4EZZZNS0_12_GLOBAL__N_142_validate_compressed_sparse_indices_kernelILNS2_8CDimNameE0ENS2_18CUDAKernelLauncherENS2_14EmptyVecKernelENS2_8DummyVecELm0EEEvRKNS_6TensorESA_lllENKUlvE1_clEvENKUlvE0_clEvEUllllllE_St5arrayIPcLm6EEEEviT0_T1_.has_recursion, 0
	.set _ZN2at6native29vectorized_elementwise_kernelILi4EZZZNS0_12_GLOBAL__N_142_validate_compressed_sparse_indices_kernelILNS2_8CDimNameE0ENS2_18CUDAKernelLauncherENS2_14EmptyVecKernelENS2_8DummyVecELm0EEEvRKNS_6TensorESA_lllENKUlvE1_clEvENKUlvE0_clEvEUllllllE_St5arrayIPcLm6EEEEviT0_T1_.has_indirect_call, 0
	.section	.AMDGPU.csdata,"",@progbits
; Kernel info:
; codeLenInByte = 13128
; TotalNumSgprs: 78
; NumVgprs: 58
; ScratchSize: 0
; MemoryBound: 1
; FloatMode: 240
; IeeeMode: 1
; LDSByteSize: 0 bytes/workgroup (compile time only)
; SGPRBlocks: 0
; VGPRBlocks: 3
; NumSGPRsForWavesPerEU: 78
; NumVGPRsForWavesPerEU: 58
; NamedBarCnt: 0
; Occupancy: 16
; WaveLimiterHint : 0
; COMPUTE_PGM_RSRC2:SCRATCH_EN: 0
; COMPUTE_PGM_RSRC2:USER_SGPR: 2
; COMPUTE_PGM_RSRC2:TRAP_HANDLER: 0
; COMPUTE_PGM_RSRC2:TGID_X_EN: 1
; COMPUTE_PGM_RSRC2:TGID_Y_EN: 0
; COMPUTE_PGM_RSRC2:TGID_Z_EN: 0
; COMPUTE_PGM_RSRC2:TIDIG_COMP_CNT: 0
	.section	.text._ZN2at6native29vectorized_elementwise_kernelILi2EZZZNS0_12_GLOBAL__N_142_validate_compressed_sparse_indices_kernelILNS2_8CDimNameE0ENS2_18CUDAKernelLauncherENS2_14EmptyVecKernelENS2_8DummyVecELm0EEEvRKNS_6TensorESA_lllENKUlvE1_clEvENKUlvE0_clEvEUllllllE_St5arrayIPcLm6EEEEviT0_T1_,"axG",@progbits,_ZN2at6native29vectorized_elementwise_kernelILi2EZZZNS0_12_GLOBAL__N_142_validate_compressed_sparse_indices_kernelILNS2_8CDimNameE0ENS2_18CUDAKernelLauncherENS2_14EmptyVecKernelENS2_8DummyVecELm0EEEvRKNS_6TensorESA_lllENKUlvE1_clEvENKUlvE0_clEvEUllllllE_St5arrayIPcLm6EEEEviT0_T1_,comdat
	.globl	_ZN2at6native29vectorized_elementwise_kernelILi2EZZZNS0_12_GLOBAL__N_142_validate_compressed_sparse_indices_kernelILNS2_8CDimNameE0ENS2_18CUDAKernelLauncherENS2_14EmptyVecKernelENS2_8DummyVecELm0EEEvRKNS_6TensorESA_lllENKUlvE1_clEvENKUlvE0_clEvEUllllllE_St5arrayIPcLm6EEEEviT0_T1_ ; -- Begin function _ZN2at6native29vectorized_elementwise_kernelILi2EZZZNS0_12_GLOBAL__N_142_validate_compressed_sparse_indices_kernelILNS2_8CDimNameE0ENS2_18CUDAKernelLauncherENS2_14EmptyVecKernelENS2_8DummyVecELm0EEEvRKNS_6TensorESA_lllENKUlvE1_clEvENKUlvE0_clEvEUllllllE_St5arrayIPcLm6EEEEviT0_T1_
	.p2align	8
	.type	_ZN2at6native29vectorized_elementwise_kernelILi2EZZZNS0_12_GLOBAL__N_142_validate_compressed_sparse_indices_kernelILNS2_8CDimNameE0ENS2_18CUDAKernelLauncherENS2_14EmptyVecKernelENS2_8DummyVecELm0EEEvRKNS_6TensorESA_lllENKUlvE1_clEvENKUlvE0_clEvEUllllllE_St5arrayIPcLm6EEEEviT0_T1_,@function
_ZN2at6native29vectorized_elementwise_kernelILi2EZZZNS0_12_GLOBAL__N_142_validate_compressed_sparse_indices_kernelILNS2_8CDimNameE0ENS2_18CUDAKernelLauncherENS2_14EmptyVecKernelENS2_8DummyVecELm0EEEvRKNS_6TensorESA_lllENKUlvE1_clEvENKUlvE0_clEvEUllllllE_St5arrayIPcLm6EEEEviT0_T1_: ; @_ZN2at6native29vectorized_elementwise_kernelILi2EZZZNS0_12_GLOBAL__N_142_validate_compressed_sparse_indices_kernelILNS2_8CDimNameE0ENS2_18CUDAKernelLauncherENS2_14EmptyVecKernelENS2_8DummyVecELm0EEEvRKNS_6TensorESA_lllENKUlvE1_clEvENKUlvE0_clEvEUllllllE_St5arrayIPcLm6EEEEviT0_T1_
; %bb.0:
	s_clause 0x3
	s_load_b32 s3, s[0:1], 0x0
	s_load_b512 s[4:19], s[0:1], 0x8
	s_load_b64 s[28:29], s[0:1], 0x68
	s_load_b256 s[20:27], s[0:1], 0x48
	s_wait_xcnt 0x0
	s_bfe_u32 s0, ttmp6, 0x4000c
	s_and_b32 s1, ttmp6, 15
	s_add_co_i32 s0, s0, 1
	s_getreg_b32 s2, hwreg(HW_REG_IB_STS2, 6, 4)
	s_mul_i32 s0, ttmp9, s0
	s_mov_b32 s33, 0
	s_add_co_i32 s1, s1, s0
	s_cmp_eq_u32 s2, 0
	s_get_pc_i64 s[30:31]
	s_add_nc_u64 s[30:31], s[30:31], .str.1@rel64+4
	s_cselect_b32 s0, ttmp9, s1
	s_delay_alu instid0(SALU_CYCLE_1)
	s_lshl_b32 s2, s0, 10
	s_mov_b32 s0, -1
	s_wait_kmcnt 0x0
	s_sub_co_i32 s11, s3, s2
	s_mov_b32 s3, 0
	s_cmp_gt_i32 s11, 0x3ff
	s_cbranch_scc0 .LBB59_77
; %bb.1:
	s_cmp_eq_u64 s[30:31], 0
	s_cselect_b32 s0, -1, 0
	s_cmp_lg_u64 s[30:31], 0
	s_cbranch_scc0 .LBB59_75
; %bb.2:
	s_ashr_i32 s3, s2, 31
	v_lshlrev_b32_e32 v14, 4, v0
	s_lshl_b64 s[34:35], s[2:3], 3
	s_mov_b32 s0, -1
	s_add_nc_u64 s[38:39], s[20:21], s[34:35]
	s_mov_b32 s3, 0
	global_load_b64 v[2:3], v14, s[38:39]
	s_mov_b32 s50, exec_lo
	s_wait_loadcnt 0x0
	v_cmpx_eq_u64_e64 s[4:5], v[2:3]
	s_cbranch_execz .LBB59_74
; %bb.3:
	s_add_nc_u64 s[40:41], s[22:23], s[34:35]
	s_get_pc_i64 s[36:37]
	s_add_nc_u64 s[36:37], s[36:37], .str.2@rel64+4
	global_load_b128 v[28:31], v0, s[40:41] scale_offset
	s_cmp_lg_u64 s[36:37], 0
	v_mov_b32_e32 v15, 0
	s_cselect_b32 s1, -1, 0
	s_mov_b32 s42, -1
	s_mov_b32 s0, 0
	s_mov_b32 s37, 0
	;; [unrolled: 1-line block ×3, first 2 shown]
                                        ; implicit-def: $sgpr51
                                        ; implicit-def: $sgpr52
                                        ; implicit-def: $sgpr36
                                        ; implicit-def: $sgpr55
                                        ; implicit-def: $vgpr10_vgpr11_vgpr12_vgpr13
                                        ; implicit-def: $vgpr2_vgpr3_vgpr4_vgpr5
                                        ; implicit-def: $vgpr6_vgpr7_vgpr8_vgpr9
	s_wait_loadcnt 0x0
	v_cmp_eq_u64_e32 vcc_lo, s[8:9], v[28:29]
	s_and_b32 s43, s1, vcc_lo
	s_mov_b32 s1, 0
	s_and_saveexec_b32 s53, s43
	s_cbranch_execz .LBB59_66
; %bb.4:
	s_add_nc_u64 s[42:43], s[24:25], s[34:35]
	s_add_nc_u64 s[44:45], s[26:27], s[34:35]
	s_clause 0x1
	global_load_b128 v[26:29], v0, s[42:43] scale_offset
	global_load_b128 v[22:25], v0, s[44:45] scale_offset
	s_get_pc_i64 s[48:49]
	s_add_nc_u64 s[48:49], s[48:49], .str.3@rel64+4
	s_mov_b32 s37, -1
	s_cmp_lg_u64 s[48:49], 0
	s_mov_b32 s46, 0
	s_cselect_b32 s1, -1, 0
	s_mov_b32 s47, 0
	s_mov_b32 s48, 0
                                        ; implicit-def: $sgpr51
                                        ; implicit-def: $sgpr52
                                        ; implicit-def: $sgpr36
                                        ; implicit-def: $vgpr10_vgpr11_vgpr12_vgpr13
                                        ; implicit-def: $vgpr6_vgpr7_vgpr8_vgpr9
	s_wait_loadcnt 0x0
	v_sub_nc_u64_e32 v[2:3], v[22:23], v[26:27]
	s_delay_alu instid0(VALU_DEP_1) | instskip(SKIP_2) | instid1(SALU_CYCLE_1)
	v_cmp_le_i64_e32 vcc_lo, s[4:5], v[2:3]
	v_cmp_ge_i64_e64 s0, s[6:7], v[2:3]
                                        ; implicit-def: $vgpr2_vgpr3_vgpr4_vgpr5
	s_and_b32 s0, vcc_lo, s0
	s_and_b32 s0, s1, s0
	s_mov_b32 s1, 0
	s_and_saveexec_b32 s54, s0
	s_cbranch_execz .LBB59_65
; %bb.5:
	v_mov_b32_e32 v38, 0
	v_add_nc_u64_e32 v[40:41], s[38:39], v[14:15]
	v_add_nc_u64_e32 v[42:43], s[40:41], v[14:15]
	s_add_nc_u64 s[0:1], s[28:29], s[34:35]
	s_add_co_i32 s36, s10, -1
	v_mov_b32_e32 v15, v38
	s_cmp_gt_i32 s36, -1
	s_delay_alu instid0(VALU_DEP_1)
	v_add_nc_u64_e32 v[44:45], s[42:43], v[14:15]
	v_add_nc_u64_e32 v[46:47], s[44:45], v[14:15]
	s_clause 0x1
	global_load_b64 v[36:37], v[40:41], off offset:8
	global_load_b128 v[18:21], v[40:41], off offset:4096
	global_load_b128 v[14:17], v[42:43], off offset:4096
	;; [unrolled: 1-line block ×4, first 2 shown]
	s_clause 0x1
	global_load_b128 v[32:35], v0, s[0:1] scale_offset
	global_load_b128 v[10:13], v0, s[0:1] offset:4096 scale_offset
	s_wait_xcnt 0x0
	v_cmp_gt_i64_e64 s0, s[8:9], 0
	v_mov_b64_e32 v[40:41], 0
	s_cselect_b32 s1, -1, 0
	s_delay_alu instid0(SALU_CYCLE_1) | instskip(NEXT) | instid1(SALU_CYCLE_1)
	s_and_b32 s52, s0, s1
	s_and_not1_b32 vcc_lo, exec_lo, s52
	s_cbranch_vccnz .LBB59_12
; %bb.6:
	s_wait_loadcnt 0x1
	v_mul_u64_e32 v[32:33], s[8:9], v[32:33]
	s_mov_b32 s1, 0
	v_mov_b64_e32 v[40:41], 0
	s_mov_b32 s37, s1
	s_mov_b64 s[38:39], 0xffffffff
	s_lshl_b64 s[42:43], s[36:37], 3
	s_mov_b32 s37, s10
	s_add_nc_u64 s[40:41], s[12:13], s[42:43]
	s_add_nc_u64 s[42:43], s[14:15], s[42:43]
	s_branch .LBB59_8
.LBB59_7:                               ;   in Loop: Header=BB59_8 Depth=1
	s_or_b32 exec_lo, exec_lo, s0
	s_delay_alu instid0(VALU_DEP_1)
	v_mul_u64_e32 v[44:45], s[44:45], v[42:43]
	s_load_b64 s[44:45], s[42:43], 0x0
	s_add_co_i32 s37, s37, -1
	s_add_nc_u64 s[40:41], s[40:41], -8
	s_cmp_eq_u32 s37, 0
	s_wait_xcnt 0x0
	s_add_nc_u64 s[42:43], s[42:43], -8
	s_delay_alu instid0(VALU_DEP_1) | instskip(SKIP_1) | instid1(VALU_DEP_1)
	v_sub_nc_u64_e32 v[32:33], v[32:33], v[44:45]
	s_wait_kmcnt 0x0
	v_mad_nc_u64_u32 v[40:41], v32, s44, v[40:41]
	s_delay_alu instid0(VALU_DEP_1) | instskip(NEXT) | instid1(VALU_DEP_1)
	v_mad_u32 v1, v33, s44, v41
	v_mad_u32 v41, v32, s45, v1
	v_mov_b64_e32 v[32:33], v[42:43]
	s_cbranch_scc1 .LBB59_12
.LBB59_8:                               ; =>This Inner Loop Header: Depth=1
	s_load_b64 s[44:45], s[40:41], 0x0
                                        ; implicit-def: $vgpr42_vgpr43
	s_mov_b32 s0, exec_lo
	s_wait_kmcnt 0x0
	s_delay_alu instid0(VALU_DEP_1) | instskip(NEXT) | instid1(VALU_DEP_1)
	v_or_b32_e32 v39, s45, v33
	v_cmpx_ne_u64_e32 0, v[38:39]
	s_xor_b32 s51, exec_lo, s0
	s_cbranch_execz .LBB59_10
; %bb.9:                                ;   in Loop: Header=BB59_8 Depth=1
	s_ashr_i32 s46, s45, 31
	v_dual_mov_b32 v47, v38 :: v_dual_ashrrev_i32 v42, 31, v33
	s_mov_b32 s47, s46
	v_mov_b32_e32 v55, v38
	s_add_nc_u64 s[48:49], s[44:45], s[46:47]
	s_delay_alu instid0(VALU_DEP_2) | instskip(SKIP_1) | instid1(SALU_CYCLE_1)
	v_mov_b32_e32 v43, v42
	s_xor_b64 s[48:49], s[48:49], s[46:47]
	s_cvt_f32_u32 s0, s48
	s_cvt_f32_u32 s47, s49
	s_sub_nc_u64 s[58:59], 0, s[48:49]
	v_add_nc_u64_e32 v[44:45], v[32:33], v[42:43]
	v_mov_b32_e32 v51, v38
	s_fmamk_f32 s0, s47, 0x4f800000, s0
	s_delay_alu instid0(SALU_CYCLE_3) | instskip(NEXT) | instid1(VALU_DEP_2)
	v_s_rcp_f32 s0, s0
	v_xor_b32_e32 v46, v44, v42
	s_delay_alu instid0(VALU_DEP_3) | instskip(SKIP_1) | instid1(TRANS32_DEP_1)
	v_xor_b32_e32 v50, v45, v42
	v_xor_b32_e32 v42, s46, v42
	s_mul_f32 s0, s0, 0x5f7ffffc
	s_delay_alu instid0(SALU_CYCLE_3) | instskip(NEXT) | instid1(SALU_CYCLE_3)
	s_mul_f32 s47, s0, 0x2f800000
	s_trunc_f32 s47, s47
	s_delay_alu instid0(SALU_CYCLE_3) | instskip(SKIP_1) | instid1(SALU_CYCLE_2)
	s_fmamk_f32 s0, s47, 0xcf800000, s0
	s_cvt_u32_f32 s57, s47
	s_cvt_u32_f32 s56, s0
	s_delay_alu instid0(SALU_CYCLE_3) | instskip(NEXT) | instid1(SALU_CYCLE_1)
	s_mul_u64 s[60:61], s[58:59], s[56:57]
	s_mul_hi_u32 s63, s56, s61
	s_mul_i32 s62, s56, s61
	s_mul_hi_u32 s0, s56, s60
	s_mul_i32 s55, s57, s60
	s_add_nc_u64 s[62:63], s[0:1], s[62:63]
	s_mul_hi_u32 s47, s57, s60
	s_mul_hi_u32 s64, s57, s61
	s_add_co_u32 s0, s62, s55
	s_add_co_ci_u32 s0, s63, s47
	s_mul_i32 s60, s57, s61
	s_add_co_ci_u32 s61, s64, 0
	s_delay_alu instid0(SALU_CYCLE_1) | instskip(NEXT) | instid1(SALU_CYCLE_1)
	s_add_nc_u64 s[60:61], s[0:1], s[60:61]
	s_add_co_u32 s56, s56, s60
	s_cselect_b32 s0, -1, 0
	s_delay_alu instid0(SALU_CYCLE_1) | instskip(SKIP_1) | instid1(SALU_CYCLE_1)
	s_cmp_lg_u32 s0, 0
	s_add_co_ci_u32 s57, s57, s61
	s_mul_u64 s[58:59], s[58:59], s[56:57]
	s_delay_alu instid0(SALU_CYCLE_1)
	s_mul_hi_u32 s61, s56, s59
	s_mul_i32 s60, s56, s59
	s_mul_hi_u32 s0, s56, s58
	s_mul_i32 s55, s57, s58
	s_add_nc_u64 s[60:61], s[0:1], s[60:61]
	s_mul_hi_u32 s47, s57, s58
	s_mul_hi_u32 s62, s57, s59
	s_add_co_u32 s0, s60, s55
	s_add_co_ci_u32 s0, s61, s47
	s_mul_i32 s58, s57, s59
	s_add_co_ci_u32 s59, s62, 0
	s_delay_alu instid0(SALU_CYCLE_1) | instskip(NEXT) | instid1(SALU_CYCLE_1)
	s_add_nc_u64 s[58:59], s[0:1], s[58:59]
	s_add_co_u32 s56, s56, s58
	s_cselect_b32 s0, -1, 0
	v_mul_hi_u32 v54, v46, s56
	s_cmp_lg_u32 s0, 0
	s_add_co_ci_u32 s0, s57, s59
	s_and_b64 s[58:59], s[56:57], s[38:39]
	v_mul_u64_e32 v[48:49], s[0:1], v[46:47]
	v_mul_u64_e32 v[44:45], s[58:59], v[50:51]
	;; [unrolled: 1-line block ×3, first 2 shown]
	s_delay_alu instid0(VALU_DEP_3) | instskip(NEXT) | instid1(VALU_DEP_1)
	v_add_nc_u64_e32 v[48:49], v[54:55], v[48:49]
	v_add_co_u32 v1, vcc_lo, v48, v44
	s_delay_alu instid0(VALU_DEP_2) | instskip(NEXT) | instid1(VALU_DEP_4)
	v_add_co_ci_u32_e32 v54, vcc_lo, v49, v45, vcc_lo
	v_add_co_ci_u32_e32 v53, vcc_lo, 0, v53, vcc_lo
	s_delay_alu instid0(VALU_DEP_1) | instskip(NEXT) | instid1(VALU_DEP_1)
	v_add_nc_u64_e32 v[44:45], v[54:55], v[52:53]
	v_mul_u64_e32 v[48:49], s[48:49], v[44:45]
	s_delay_alu instid0(VALU_DEP_1) | instskip(NEXT) | instid1(VALU_DEP_2)
	v_sub_nc_u32_e32 v1, v50, v49
	v_sub_co_u32 v39, vcc_lo, v46, v48
	s_delay_alu instid0(VALU_DEP_1) | instskip(NEXT) | instid1(VALU_DEP_3)
	v_sub_co_ci_u32_e64 v50, null, v50, v49, vcc_lo
	v_subrev_co_ci_u32_e64 v1, null, s49, v1, vcc_lo
	s_delay_alu instid0(VALU_DEP_3) | instskip(SKIP_1) | instid1(VALU_DEP_3)
	v_sub_co_u32 v43, s0, v39, s48
	v_add_nc_u64_e32 v[48:49], 1, v[44:45]
	v_subrev_co_ci_u32_e64 v1, null, 0, v1, s0
	s_delay_alu instid0(VALU_DEP_3) | instskip(SKIP_1) | instid1(VALU_DEP_3)
	v_cmp_le_u32_e32 vcc_lo, s48, v43
	v_cndmask_b32_e64 v43, 0, -1, vcc_lo
	v_cmp_le_u32_e32 vcc_lo, s49, v1
	v_cndmask_b32_e64 v46, 0, -1, vcc_lo
	;; [unrolled: 2-line block ×4, first 2 shown]
	v_cmp_eq_u32_e32 vcc_lo, s49, v1
	v_cndmask_b32_e32 v1, v46, v43, vcc_lo
	v_cmp_eq_u32_e32 vcc_lo, s49, v50
	v_add_nc_u64_e32 v[46:47], 2, v[44:45]
	v_dual_mov_b32 v43, v42 :: v_dual_cndmask_b32 v39, v51, v39, vcc_lo
	s_delay_alu instid0(VALU_DEP_4) | instskip(NEXT) | instid1(VALU_DEP_2)
	v_cmp_ne_u32_e32 vcc_lo, 0, v1
	v_cmp_ne_u32_e64 s0, 0, v39
	s_delay_alu instid0(VALU_DEP_4) | instskip(NEXT) | instid1(VALU_DEP_1)
	v_dual_cndmask_b32 v1, v49, v47, vcc_lo :: v_dual_cndmask_b32 v39, v48, v46, vcc_lo
	v_dual_cndmask_b32 v1, v45, v1, s0 :: v_dual_cndmask_b32 v39, v44, v39, s0
	s_delay_alu instid0(VALU_DEP_1) | instskip(NEXT) | instid1(VALU_DEP_2)
	v_xor_b32_e32 v45, v1, v42
	v_xor_b32_e32 v44, v39, v42
	s_delay_alu instid0(VALU_DEP_1)
	v_sub_nc_u64_e32 v[42:43], v[44:45], v[42:43]
.LBB59_10:                              ;   in Loop: Header=BB59_8 Depth=1
	s_and_not1_saveexec_b32 s0, s51
	s_cbranch_execz .LBB59_7
; %bb.11:                               ;   in Loop: Header=BB59_8 Depth=1
	v_cvt_f32_u32_e32 v1, s44
	s_sub_co_i32 s46, 0, s44
	s_delay_alu instid0(VALU_DEP_1) | instskip(SKIP_1) | instid1(TRANS32_DEP_1)
	v_rcp_iflag_f32_e32 v1, v1
	v_nop
	v_mul_f32_e32 v1, 0x4f7ffffe, v1
	s_delay_alu instid0(VALU_DEP_1) | instskip(NEXT) | instid1(VALU_DEP_1)
	v_cvt_u32_f32_e32 v1, v1
	v_mul_lo_u32 v39, s46, v1
	s_delay_alu instid0(VALU_DEP_1) | instskip(NEXT) | instid1(VALU_DEP_1)
	v_mul_hi_u32 v39, v1, v39
	v_add_nc_u32_e32 v1, v1, v39
	s_delay_alu instid0(VALU_DEP_1) | instskip(NEXT) | instid1(VALU_DEP_1)
	v_mul_hi_u32 v1, v32, v1
	v_mul_lo_u32 v39, v1, s44
	s_delay_alu instid0(VALU_DEP_1) | instskip(NEXT) | instid1(VALU_DEP_1)
	v_sub_nc_u32_e32 v39, v32, v39
	v_subrev_nc_u32_e32 v43, s44, v39
	v_cmp_le_u32_e32 vcc_lo, s44, v39
	s_delay_alu instid0(VALU_DEP_2) | instskip(NEXT) | instid1(VALU_DEP_1)
	v_dual_cndmask_b32 v39, v39, v43 :: v_dual_add_nc_u32 v42, 1, v1
	v_dual_cndmask_b32 v1, v1, v42, vcc_lo :: v_dual_mov_b32 v43, v38
	s_delay_alu instid0(VALU_DEP_2) | instskip(NEXT) | instid1(VALU_DEP_2)
	v_cmp_le_u32_e32 vcc_lo, s44, v39
	v_add_nc_u32_e32 v42, 1, v1
	s_delay_alu instid0(VALU_DEP_1)
	v_cndmask_b32_e32 v42, v1, v42, vcc_lo
	s_branch .LBB59_7
.LBB59_12:
	s_get_pc_i64 s[0:1]
	s_add_nc_u64 s[0:1], s[0:1], .str.4@rel64+4
	s_mov_b32 s37, -1
	s_cmp_lg_u64 s[0:1], 0
	s_mov_b32 s0, 0
	s_cselect_b32 s51, -1, 0
	s_mov_b32 s55, 0
	s_mov_b32 s1, exec_lo
	v_cmpx_gt_i64_e64 v[22:23], v[26:27]
	s_cbranch_execz .LBB59_18
; %bb.13:
	s_wait_loadcnt 0x1
	v_lshlrev_b64_e32 v[32:33], 3, v[40:41]
	s_mov_b32 s37, 0
	s_xor_b32 s39, s51, -1
                                        ; implicit-def: $sgpr38
                                        ; implicit-def: $sgpr41
                                        ; implicit-def: $sgpr40
	s_delay_alu instid0(VALU_DEP_1) | instskip(SKIP_1) | instid1(VALU_DEP_2)
	v_lshl_add_u64 v[26:27], v[26:27], 3, v[32:33]
	v_add_nc_u64_e32 v[32:33], s[16:17], v[32:33]
	v_add_nc_u64_e32 v[26:27], s[16:17], v[26:27]
	s_delay_alu instid0(VALU_DEP_2) | instskip(NEXT) | instid1(VALU_DEP_2)
	v_lshl_add_u64 v[22:23], v[22:23], 3, v[32:33]
	v_add_nc_u64_e32 v[26:27], 8, v[26:27]
	s_branch .LBB59_15
.LBB59_14:                              ;   in Loop: Header=BB59_15 Depth=1
	s_or_b32 exec_lo, exec_lo, s42
	s_delay_alu instid0(SALU_CYCLE_1) | instskip(NEXT) | instid1(SALU_CYCLE_1)
	s_and_b32 s42, exec_lo, s41
	s_or_b32 s37, s42, s37
	s_and_not1_b32 s38, s38, exec_lo
	s_and_b32 s42, s40, exec_lo
	s_delay_alu instid0(SALU_CYCLE_1)
	s_or_b32 s38, s38, s42
	s_and_not1_b32 exec_lo, exec_lo, s37
	s_cbranch_execz .LBB59_17
.LBB59_15:                              ; =>This Inner Loop Header: Depth=1
	s_or_b32 s40, s40, exec_lo
	s_or_b32 s41, s41, exec_lo
	s_mov_b32 s42, exec_lo
	s_delay_alu instid0(VALU_DEP_1)
	v_cmpx_lt_u64_e64 v[26:27], v[22:23]
	s_cbranch_execz .LBB59_14
; %bb.16:                               ;   in Loop: Header=BB59_15 Depth=1
	global_load_b128 v[38:41], v[26:27], off offset:-8
	s_wait_xcnt 0x0
	v_add_nc_u64_e32 v[26:27], 8, v[26:27]
	s_and_not1_b32 s41, s41, exec_lo
	s_and_not1_b32 s40, s40, exec_lo
	s_wait_loadcnt 0x0
	v_cmp_ge_i64_e32 vcc_lo, v[38:39], v[40:41]
	s_or_b32 s43, s39, vcc_lo
	s_delay_alu instid0(SALU_CYCLE_1) | instskip(NEXT) | instid1(SALU_CYCLE_1)
	s_and_b32 s43, s43, exec_lo
	s_or_b32 s41, s41, s43
	s_branch .LBB59_14
.LBB59_17:
	s_or_b32 exec_lo, exec_lo, s37
	s_delay_alu instid0(SALU_CYCLE_1)
	s_mov_b32 s55, exec_lo
	s_or_not1_b32 s37, s38, exec_lo
.LBB59_18:
	s_or_b32 exec_lo, exec_lo, s1
	s_mov_b32 s38, 0
	s_mov_b32 s39, 0
	s_mov_b32 s1, 0
	s_and_saveexec_b32 s56, s37
	s_cbranch_execz .LBB59_64
; %bb.19:
	s_mov_b32 s0, 0
	s_mov_b32 s1, -1
	s_mov_b32 s37, 0
	s_mov_b32 s57, exec_lo
	s_wait_loadcnt 0x6
	v_cmpx_eq_u64_e64 s[4:5], v[36:37]
	s_cbranch_execz .LBB59_63
; %bb.20:
	s_mov_b32 s0, -1
	s_mov_b32 s40, 0
	s_mov_b32 s41, 0
	s_mov_b32 s58, exec_lo
	v_cmpx_eq_u64_e64 s[8:9], v[30:31]
	s_cbranch_execz .LBB59_62
; %bb.21:
	v_sub_nc_u64_e32 v[22:23], v[24:25], v[28:29]
	s_mov_b32 s37, -1
	s_mov_b32 s1, 0
	s_delay_alu instid0(VALU_DEP_1) | instskip(SKIP_2) | instid1(SALU_CYCLE_1)
	v_cmp_le_i64_e32 vcc_lo, s[4:5], v[22:23]
	v_cmp_ge_i64_e64 s0, s[6:7], v[22:23]
	s_and_b32 s0, vcc_lo, s0
	s_and_saveexec_b32 s59, s0
	s_cbranch_execz .LBB59_61
; %bb.22:
	v_mov_b64_e32 v[22:23], 0
	s_and_not1_b32 vcc_lo, exec_lo, s52
	s_cbranch_vccnz .LBB59_29
; %bb.23:
	s_wait_loadcnt 0x1
	v_mul_u64_e32 v[30:31], s[8:9], v[34:35]
	v_mov_b64_e32 v[22:23], 0
	s_mov_b32 s37, s1
	v_mov_b32_e32 v26, 0
	s_lshl_b64 s[42:43], s[36:37], 3
	s_mov_b64 s[38:39], 0xffffffff
	s_add_nc_u64 s[40:41], s[12:13], s[42:43]
	s_add_nc_u64 s[42:43], s[14:15], s[42:43]
	s_mov_b32 s37, s10
	s_branch .LBB59_25
.LBB59_24:                              ;   in Loop: Header=BB59_25 Depth=1
	s_or_b32 exec_lo, exec_lo, s0
	s_delay_alu instid0(VALU_DEP_1)
	v_mul_u64_e32 v[34:35], s[44:45], v[32:33]
	s_load_b64 s[44:45], s[42:43], 0x0
	s_add_co_i32 s37, s37, -1
	s_add_nc_u64 s[40:41], s[40:41], -8
	s_cmp_lg_u32 s37, 0
	s_wait_xcnt 0x0
	s_add_nc_u64 s[42:43], s[42:43], -8
	s_delay_alu instid0(VALU_DEP_1) | instskip(SKIP_1) | instid1(VALU_DEP_1)
	v_sub_nc_u64_e32 v[30:31], v[30:31], v[34:35]
	s_wait_kmcnt 0x0
	v_mad_nc_u64_u32 v[22:23], v30, s44, v[22:23]
	s_delay_alu instid0(VALU_DEP_1) | instskip(NEXT) | instid1(VALU_DEP_1)
	v_mad_u32 v1, v31, s44, v23
	v_mad_u32 v23, v30, s45, v1
	v_mov_b64_e32 v[30:31], v[32:33]
	s_cbranch_scc0 .LBB59_29
.LBB59_25:                              ; =>This Inner Loop Header: Depth=1
	s_load_b64 s[44:45], s[40:41], 0x0
                                        ; implicit-def: $vgpr32_vgpr33
	s_mov_b32 s0, exec_lo
	s_wait_kmcnt 0x0
	s_delay_alu instid0(VALU_DEP_1) | instskip(NEXT) | instid1(VALU_DEP_1)
	v_or_b32_e32 v27, s45, v31
	v_cmpx_ne_u64_e32 0, v[26:27]
	s_xor_b32 s60, exec_lo, s0
	s_cbranch_execz .LBB59_27
; %bb.26:                               ;   in Loop: Header=BB59_25 Depth=1
	s_ashr_i32 s46, s45, 31
	v_dual_mov_b32 v37, v26 :: v_dual_ashrrev_i32 v32, 31, v31
	s_mov_b32 s47, s46
	s_delay_alu instid0(SALU_CYCLE_1) | instskip(NEXT) | instid1(VALU_DEP_1)
	s_add_nc_u64 s[48:49], s[44:45], s[46:47]
	v_mov_b32_e32 v33, v32
	s_xor_b64 s[48:49], s[48:49], s[46:47]
	s_delay_alu instid0(SALU_CYCLE_1)
	s_cvt_f32_u32 s0, s48
	s_cvt_f32_u32 s47, s49
	s_sub_nc_u64 s[64:65], 0, s[48:49]
	v_add_nc_u64_e32 v[34:35], v[30:31], v[32:33]
	v_mov_b32_e32 v41, v26
	s_fmamk_f32 s0, s47, 0x4f800000, s0
	s_delay_alu instid0(SALU_CYCLE_3) | instskip(NEXT) | instid1(VALU_DEP_2)
	v_s_rcp_f32 s0, s0
	v_xor_b32_e32 v36, v34, v32
	s_delay_alu instid0(VALU_DEP_3) | instskip(NEXT) | instid1(TRANS32_DEP_1)
	v_dual_mov_b32 v45, v26 :: v_dual_bitop2_b32 v40, v35, v32 bitop3:0x14
	s_mul_f32 s0, s0, 0x5f7ffffc
	s_delay_alu instid0(SALU_CYCLE_3) | instskip(NEXT) | instid1(SALU_CYCLE_3)
	s_mul_f32 s47, s0, 0x2f800000
	s_trunc_f32 s47, s47
	s_delay_alu instid0(SALU_CYCLE_3) | instskip(SKIP_1) | instid1(SALU_CYCLE_2)
	s_fmamk_f32 s0, s47, 0xcf800000, s0
	s_cvt_u32_f32 s63, s47
	s_cvt_u32_f32 s62, s0
	s_delay_alu instid0(SALU_CYCLE_3) | instskip(NEXT) | instid1(SALU_CYCLE_1)
	s_mul_u64 s[66:67], s[64:65], s[62:63]
	s_mul_hi_u32 s69, s62, s67
	s_mul_i32 s68, s62, s67
	s_mul_hi_u32 s0, s62, s66
	s_mul_i32 s61, s63, s66
	s_add_nc_u64 s[68:69], s[0:1], s[68:69]
	s_mul_hi_u32 s47, s63, s66
	s_mul_hi_u32 s70, s63, s67
	s_add_co_u32 s0, s68, s61
	s_add_co_ci_u32 s0, s69, s47
	s_mul_i32 s66, s63, s67
	s_add_co_ci_u32 s67, s70, 0
	s_delay_alu instid0(SALU_CYCLE_1) | instskip(NEXT) | instid1(SALU_CYCLE_1)
	s_add_nc_u64 s[66:67], s[0:1], s[66:67]
	s_add_co_u32 s62, s62, s66
	s_cselect_b32 s0, -1, 0
	s_delay_alu instid0(SALU_CYCLE_1) | instskip(SKIP_1) | instid1(SALU_CYCLE_1)
	s_cmp_lg_u32 s0, 0
	s_add_co_ci_u32 s63, s63, s67
	s_mul_u64 s[64:65], s[64:65], s[62:63]
	s_delay_alu instid0(SALU_CYCLE_1)
	s_mul_hi_u32 s67, s62, s65
	s_mul_i32 s66, s62, s65
	s_mul_hi_u32 s0, s62, s64
	s_mul_i32 s61, s63, s64
	s_add_nc_u64 s[66:67], s[0:1], s[66:67]
	s_mul_hi_u32 s47, s63, s64
	s_mul_hi_u32 s68, s63, s65
	s_add_co_u32 s0, s66, s61
	s_add_co_ci_u32 s0, s67, s47
	s_mul_i32 s64, s63, s65
	s_add_co_ci_u32 s65, s68, 0
	s_delay_alu instid0(SALU_CYCLE_1) | instskip(NEXT) | instid1(SALU_CYCLE_1)
	s_add_nc_u64 s[64:65], s[0:1], s[64:65]
	s_add_co_u32 s62, s62, s64
	s_cselect_b32 s0, -1, 0
	v_mul_hi_u32 v44, v36, s62
	s_cmp_lg_u32 s0, 0
	s_add_co_ci_u32 s0, s63, s65
	s_and_b64 s[64:65], s[62:63], s[38:39]
	v_mul_u64_e32 v[38:39], s[0:1], v[36:37]
	v_mul_u64_e32 v[34:35], s[64:65], v[40:41]
	;; [unrolled: 1-line block ×3, first 2 shown]
	s_delay_alu instid0(VALU_DEP_3) | instskip(NEXT) | instid1(VALU_DEP_1)
	v_add_nc_u64_e32 v[38:39], v[44:45], v[38:39]
	v_add_co_u32 v1, vcc_lo, v38, v34
	s_delay_alu instid0(VALU_DEP_2) | instskip(NEXT) | instid1(VALU_DEP_4)
	v_add_co_ci_u32_e32 v44, vcc_lo, v39, v35, vcc_lo
	v_add_co_ci_u32_e32 v43, vcc_lo, 0, v43, vcc_lo
	s_delay_alu instid0(VALU_DEP_1) | instskip(NEXT) | instid1(VALU_DEP_1)
	v_add_nc_u64_e32 v[34:35], v[44:45], v[42:43]
	v_mul_u64_e32 v[38:39], s[48:49], v[34:35]
	s_delay_alu instid0(VALU_DEP_1) | instskip(NEXT) | instid1(VALU_DEP_2)
	v_sub_nc_u32_e32 v1, v40, v39
	v_sub_co_u32 v27, vcc_lo, v36, v38
	s_delay_alu instid0(VALU_DEP_1) | instskip(NEXT) | instid1(VALU_DEP_3)
	v_sub_co_ci_u32_e64 v40, null, v40, v39, vcc_lo
	v_subrev_co_ci_u32_e64 v1, null, s49, v1, vcc_lo
	s_delay_alu instid0(VALU_DEP_3) | instskip(SKIP_1) | instid1(VALU_DEP_3)
	v_sub_co_u32 v33, s0, v27, s48
	v_add_nc_u64_e32 v[38:39], 1, v[34:35]
	v_subrev_co_ci_u32_e64 v1, null, 0, v1, s0
	s_delay_alu instid0(VALU_DEP_3) | instskip(SKIP_1) | instid1(VALU_DEP_3)
	v_cmp_le_u32_e32 vcc_lo, s48, v33
	v_cndmask_b32_e64 v33, 0, -1, vcc_lo
	v_cmp_le_u32_e32 vcc_lo, s49, v1
	v_cndmask_b32_e64 v36, 0, -1, vcc_lo
	v_cmp_le_u32_e32 vcc_lo, s48, v27
	v_cndmask_b32_e64 v27, 0, -1, vcc_lo
	v_cmp_le_u32_e32 vcc_lo, s49, v40
	v_cndmask_b32_e64 v41, 0, -1, vcc_lo
	v_cmp_eq_u32_e32 vcc_lo, s49, v1
	v_cndmask_b32_e32 v1, v36, v33, vcc_lo
	v_cmp_eq_u32_e32 vcc_lo, s49, v40
	v_add_nc_u64_e32 v[36:37], 2, v[34:35]
	v_cndmask_b32_e32 v27, v41, v27, vcc_lo
	s_delay_alu instid0(VALU_DEP_4) | instskip(NEXT) | instid1(VALU_DEP_2)
	v_cmp_ne_u32_e32 vcc_lo, 0, v1
	v_cmp_ne_u32_e64 s0, 0, v27
	s_delay_alu instid0(VALU_DEP_4) | instskip(NEXT) | instid1(VALU_DEP_1)
	v_dual_cndmask_b32 v1, v39, v37, vcc_lo :: v_dual_cndmask_b32 v27, v38, v36, vcc_lo
	v_dual_cndmask_b32 v1, v35, v1, s0 :: v_dual_bitop2_b32 v32, s46, v32 bitop3:0x14
	s_delay_alu instid0(VALU_DEP_1) | instskip(NEXT) | instid1(VALU_DEP_2)
	v_dual_cndmask_b32 v27, v34, v27, s0 :: v_dual_mov_b32 v33, v32
	v_xor_b32_e32 v35, v1, v32
	s_delay_alu instid0(VALU_DEP_2) | instskip(NEXT) | instid1(VALU_DEP_1)
	v_xor_b32_e32 v34, v27, v32
	v_sub_nc_u64_e32 v[32:33], v[34:35], v[32:33]
.LBB59_27:                              ;   in Loop: Header=BB59_25 Depth=1
	s_and_not1_saveexec_b32 s0, s60
	s_cbranch_execz .LBB59_24
; %bb.28:                               ;   in Loop: Header=BB59_25 Depth=1
	v_cvt_f32_u32_e32 v1, s44
	s_sub_co_i32 s46, 0, s44
	s_delay_alu instid0(VALU_DEP_1) | instskip(SKIP_1) | instid1(TRANS32_DEP_1)
	v_rcp_iflag_f32_e32 v1, v1
	v_nop
	v_mul_f32_e32 v1, 0x4f7ffffe, v1
	s_delay_alu instid0(VALU_DEP_1) | instskip(NEXT) | instid1(VALU_DEP_1)
	v_cvt_u32_f32_e32 v1, v1
	v_mul_lo_u32 v27, s46, v1
	s_delay_alu instid0(VALU_DEP_1) | instskip(NEXT) | instid1(VALU_DEP_1)
	v_mul_hi_u32 v27, v1, v27
	v_add_nc_u32_e32 v1, v1, v27
	s_delay_alu instid0(VALU_DEP_1) | instskip(NEXT) | instid1(VALU_DEP_1)
	v_mul_hi_u32 v1, v30, v1
	v_mul_lo_u32 v27, v1, s44
	s_delay_alu instid0(VALU_DEP_1) | instskip(NEXT) | instid1(VALU_DEP_1)
	v_dual_add_nc_u32 v32, 1, v1 :: v_dual_sub_nc_u32 v27, v30, v27
	v_subrev_nc_u32_e32 v33, s44, v27
	v_cmp_le_u32_e32 vcc_lo, s44, v27
	s_delay_alu instid0(VALU_DEP_2) | instskip(NEXT) | instid1(VALU_DEP_4)
	v_dual_cndmask_b32 v27, v27, v33, vcc_lo :: v_dual_mov_b32 v33, v26
	v_cndmask_b32_e32 v1, v1, v32, vcc_lo
	s_delay_alu instid0(VALU_DEP_2) | instskip(NEXT) | instid1(VALU_DEP_2)
	v_cmp_le_u32_e32 vcc_lo, s44, v27
	v_add_nc_u32_e32 v32, 1, v1
	s_delay_alu instid0(VALU_DEP_1)
	v_cndmask_b32_e32 v32, v1, v32, vcc_lo
	s_branch .LBB59_24
.LBB59_29:
	s_mov_b32 s37, -1
	s_mov_b32 s0, 0
	s_mov_b32 s60, 0
	s_mov_b32 s1, exec_lo
	v_cmpx_gt_i64_e64 v[24:25], v[28:29]
	s_cbranch_execz .LBB59_35
; %bb.30:
	s_delay_alu instid0(VALU_DEP_2) | instskip(SKIP_2) | instid1(VALU_DEP_1)
	v_lshlrev_b64_e32 v[22:23], 3, v[22:23]
	s_mov_b32 s37, 0
	s_xor_b32 s39, s51, -1
                                        ; implicit-def: $sgpr38
                                        ; implicit-def: $sgpr41
                                        ; implicit-def: $sgpr40
	v_lshl_add_u64 v[26:27], v[28:29], 3, v[22:23]
	v_add_nc_u64_e32 v[28:29], s[16:17], v[22:23]
	s_delay_alu instid0(VALU_DEP_2) | instskip(NEXT) | instid1(VALU_DEP_2)
	v_add_nc_u64_e32 v[26:27], s[16:17], v[26:27]
	v_lshl_add_u64 v[24:25], v[24:25], 3, v[28:29]
	s_delay_alu instid0(VALU_DEP_2)
	v_add_nc_u64_e32 v[22:23], 8, v[26:27]
	s_branch .LBB59_32
.LBB59_31:                              ;   in Loop: Header=BB59_32 Depth=1
	s_or_b32 exec_lo, exec_lo, s42
	s_delay_alu instid0(SALU_CYCLE_1) | instskip(NEXT) | instid1(SALU_CYCLE_1)
	s_and_b32 s42, exec_lo, s41
	s_or_b32 s37, s42, s37
	s_and_not1_b32 s38, s38, exec_lo
	s_and_b32 s42, s40, exec_lo
	s_delay_alu instid0(SALU_CYCLE_1)
	s_or_b32 s38, s38, s42
	s_and_not1_b32 exec_lo, exec_lo, s37
	s_cbranch_execz .LBB59_34
.LBB59_32:                              ; =>This Inner Loop Header: Depth=1
	s_or_b32 s40, s40, exec_lo
	s_or_b32 s41, s41, exec_lo
	s_mov_b32 s42, exec_lo
	s_delay_alu instid0(VALU_DEP_1)
	v_cmpx_lt_u64_e64 v[22:23], v[24:25]
	s_cbranch_execz .LBB59_31
; %bb.33:                               ;   in Loop: Header=BB59_32 Depth=1
	global_load_b128 v[26:29], v[22:23], off offset:-8
	s_and_not1_b32 s41, s41, exec_lo
	s_wait_xcnt 0x0
	v_add_nc_u64_e32 v[22:23], 8, v[22:23]
	s_and_not1_b32 s40, s40, exec_lo
	s_wait_loadcnt 0x0
	v_cmp_ge_i64_e32 vcc_lo, v[26:27], v[28:29]
	s_or_b32 s43, s39, vcc_lo
	s_delay_alu instid0(SALU_CYCLE_1) | instskip(NEXT) | instid1(SALU_CYCLE_1)
	s_and_b32 s43, s43, exec_lo
	s_or_b32 s41, s41, s43
	s_branch .LBB59_31
.LBB59_34:
	s_or_b32 exec_lo, exec_lo, s37
	s_delay_alu instid0(SALU_CYCLE_1)
	s_mov_b32 s60, exec_lo
	s_or_not1_b32 s37, s38, exec_lo
.LBB59_35:
	s_or_b32 exec_lo, exec_lo, s1
	s_mov_b32 s1, 0
	s_mov_b32 s38, 0
	;; [unrolled: 1-line block ×3, first 2 shown]
	s_and_saveexec_b32 s61, s37
	s_cbranch_execz .LBB59_60
; %bb.36:
	s_mov_b32 s0, 0
	s_mov_b32 s1, -1
	s_mov_b32 s37, 0
	s_mov_b32 s62, exec_lo
	s_wait_loadcnt 0x5
	v_cmpx_eq_u64_e64 s[4:5], v[18:19]
	s_cbranch_execz .LBB59_59
; %bb.37:
	s_mov_b32 s0, -1
	s_mov_b32 s40, 0
	s_mov_b32 s41, 0
	s_mov_b32 s63, exec_lo
	s_wait_loadcnt 0x4
	v_cmpx_eq_u64_e64 s[8:9], v[14:15]
	s_cbranch_execz .LBB59_58
; %bb.38:
	s_wait_loadcnt 0x2
	v_sub_nc_u64_e32 v[14:15], v[2:3], v[6:7]
	s_mov_b32 s37, -1
	s_mov_b32 s1, 0
	s_delay_alu instid0(VALU_DEP_1) | instskip(SKIP_2) | instid1(SALU_CYCLE_1)
	v_cmp_le_i64_e32 vcc_lo, s[4:5], v[14:15]
	v_cmp_ge_i64_e64 s0, s[6:7], v[14:15]
	s_and_b32 s0, vcc_lo, s0
	s_and_saveexec_b32 s64, s0
	s_cbranch_execz .LBB59_57
; %bb.39:
	v_mov_b64_e32 v[14:15], 0
	s_and_not1_b32 vcc_lo, exec_lo, s52
	s_cbranch_vccnz .LBB59_46
; %bb.40:
	s_wait_loadcnt 0x0
	v_mul_u64_e32 v[18:19], s[8:9], v[10:11]
	v_mov_b64_e32 v[14:15], 0
	s_mov_b32 s37, s1
	v_mov_b32_e32 v10, 0
	s_lshl_b64 s[42:43], s[36:37], 3
	s_mov_b64 s[38:39], 0xffffffff
	s_add_nc_u64 s[40:41], s[12:13], s[42:43]
	s_add_nc_u64 s[42:43], s[14:15], s[42:43]
	s_mov_b32 s37, s10
	s_branch .LBB59_42
.LBB59_41:                              ;   in Loop: Header=BB59_42 Depth=1
	s_or_b32 exec_lo, exec_lo, s0
	s_delay_alu instid0(VALU_DEP_1)
	v_mul_u64_e32 v[24:25], s[44:45], v[22:23]
	s_load_b64 s[44:45], s[42:43], 0x0
	s_add_co_i32 s37, s37, -1
	s_add_nc_u64 s[40:41], s[40:41], -8
	s_cmp_lg_u32 s37, 0
	s_wait_xcnt 0x0
	s_add_nc_u64 s[42:43], s[42:43], -8
	s_delay_alu instid0(VALU_DEP_1) | instskip(SKIP_1) | instid1(VALU_DEP_1)
	v_sub_nc_u64_e32 v[18:19], v[18:19], v[24:25]
	s_wait_kmcnt 0x0
	v_mad_nc_u64_u32 v[14:15], v18, s44, v[14:15]
	s_delay_alu instid0(VALU_DEP_1) | instskip(NEXT) | instid1(VALU_DEP_1)
	v_mad_u32 v1, v19, s44, v15
	v_mad_u32 v15, v18, s45, v1
	v_mov_b64_e32 v[18:19], v[22:23]
	s_cbranch_scc0 .LBB59_46
.LBB59_42:                              ; =>This Inner Loop Header: Depth=1
	s_load_b64 s[44:45], s[40:41], 0x0
                                        ; implicit-def: $vgpr22_vgpr23
	s_mov_b32 s0, exec_lo
	s_wait_kmcnt 0x0
	s_delay_alu instid0(VALU_DEP_1) | instskip(NEXT) | instid1(VALU_DEP_1)
	v_or_b32_e32 v11, s45, v19
	v_cmpx_ne_u64_e32 0, v[10:11]
	s_xor_b32 s65, exec_lo, s0
	s_cbranch_execz .LBB59_44
; %bb.43:                               ;   in Loop: Header=BB59_42 Depth=1
	s_ashr_i32 s46, s45, 31
	v_dual_mov_b32 v27, v10 :: v_dual_ashrrev_i32 v22, 31, v19
	s_mov_b32 s47, s46
	v_mov_b32_e32 v35, v10
	s_add_nc_u64 s[48:49], s[44:45], s[46:47]
	s_delay_alu instid0(VALU_DEP_2) | instskip(SKIP_1) | instid1(SALU_CYCLE_1)
	v_mov_b32_e32 v23, v22
	s_xor_b64 s[48:49], s[48:49], s[46:47]
	s_cvt_f32_u32 s0, s48
	s_cvt_f32_u32 s47, s49
	s_sub_nc_u64 s[68:69], 0, s[48:49]
	v_add_nc_u64_e32 v[24:25], v[18:19], v[22:23]
	v_mov_b32_e32 v31, v10
	s_fmamk_f32 s0, s47, 0x4f800000, s0
	s_delay_alu instid0(SALU_CYCLE_3) | instskip(NEXT) | instid1(VALU_DEP_2)
	v_s_rcp_f32 s0, s0
	v_xor_b32_e32 v26, v24, v22
	s_delay_alu instid0(VALU_DEP_3) | instskip(SKIP_1) | instid1(TRANS32_DEP_1)
	v_xor_b32_e32 v30, v25, v22
	v_xor_b32_e32 v22, s46, v22
	s_mul_f32 s0, s0, 0x5f7ffffc
	s_delay_alu instid0(SALU_CYCLE_3) | instskip(NEXT) | instid1(SALU_CYCLE_3)
	s_mul_f32 s47, s0, 0x2f800000
	s_trunc_f32 s47, s47
	s_delay_alu instid0(SALU_CYCLE_3) | instskip(SKIP_1) | instid1(SALU_CYCLE_2)
	s_fmamk_f32 s0, s47, 0xcf800000, s0
	s_cvt_u32_f32 s67, s47
	s_cvt_u32_f32 s66, s0
	s_delay_alu instid0(SALU_CYCLE_3) | instskip(NEXT) | instid1(SALU_CYCLE_1)
	s_mul_u64 s[70:71], s[68:69], s[66:67]
	s_mul_hi_u32 s73, s66, s71
	s_mul_i32 s72, s66, s71
	s_mul_hi_u32 s0, s66, s70
	s_mul_i32 s74, s67, s70
	s_add_nc_u64 s[72:73], s[0:1], s[72:73]
	s_mul_hi_u32 s47, s67, s70
	s_mul_hi_u32 s75, s67, s71
	s_add_co_u32 s0, s72, s74
	s_add_co_ci_u32 s0, s73, s47
	s_mul_i32 s70, s67, s71
	s_add_co_ci_u32 s71, s75, 0
	s_delay_alu instid0(SALU_CYCLE_1) | instskip(NEXT) | instid1(SALU_CYCLE_1)
	s_add_nc_u64 s[70:71], s[0:1], s[70:71]
	s_add_co_u32 s66, s66, s70
	s_cselect_b32 s0, -1, 0
	s_delay_alu instid0(SALU_CYCLE_1) | instskip(SKIP_1) | instid1(SALU_CYCLE_1)
	s_cmp_lg_u32 s0, 0
	s_add_co_ci_u32 s67, s67, s71
	s_mul_u64 s[68:69], s[68:69], s[66:67]
	s_delay_alu instid0(SALU_CYCLE_1)
	s_mul_hi_u32 s71, s66, s69
	s_mul_i32 s70, s66, s69
	s_mul_hi_u32 s0, s66, s68
	s_mul_i32 s72, s67, s68
	s_add_nc_u64 s[70:71], s[0:1], s[70:71]
	s_mul_hi_u32 s47, s67, s68
	s_mul_hi_u32 s73, s67, s69
	s_add_co_u32 s0, s70, s72
	s_add_co_ci_u32 s0, s71, s47
	s_mul_i32 s68, s67, s69
	s_add_co_ci_u32 s69, s73, 0
	s_delay_alu instid0(SALU_CYCLE_1) | instskip(NEXT) | instid1(SALU_CYCLE_1)
	s_add_nc_u64 s[68:69], s[0:1], s[68:69]
	s_add_co_u32 s66, s66, s68
	s_cselect_b32 s0, -1, 0
	v_mul_hi_u32 v34, v26, s66
	s_cmp_lg_u32 s0, 0
	s_add_co_ci_u32 s0, s67, s69
	s_and_b64 s[68:69], s[66:67], s[38:39]
	v_mul_u64_e32 v[28:29], s[0:1], v[26:27]
	v_mul_u64_e32 v[24:25], s[68:69], v[30:31]
	;; [unrolled: 1-line block ×3, first 2 shown]
	s_delay_alu instid0(VALU_DEP_3) | instskip(NEXT) | instid1(VALU_DEP_1)
	v_add_nc_u64_e32 v[28:29], v[34:35], v[28:29]
	v_add_co_u32 v1, vcc_lo, v28, v24
	s_delay_alu instid0(VALU_DEP_2) | instskip(NEXT) | instid1(VALU_DEP_4)
	v_add_co_ci_u32_e32 v34, vcc_lo, v29, v25, vcc_lo
	v_add_co_ci_u32_e32 v33, vcc_lo, 0, v33, vcc_lo
	s_delay_alu instid0(VALU_DEP_1) | instskip(NEXT) | instid1(VALU_DEP_1)
	v_add_nc_u64_e32 v[24:25], v[34:35], v[32:33]
	v_mul_u64_e32 v[28:29], s[48:49], v[24:25]
	s_delay_alu instid0(VALU_DEP_1) | instskip(NEXT) | instid1(VALU_DEP_2)
	v_sub_nc_u32_e32 v1, v30, v29
	v_sub_co_u32 v11, vcc_lo, v26, v28
	s_delay_alu instid0(VALU_DEP_1) | instskip(NEXT) | instid1(VALU_DEP_3)
	v_sub_co_ci_u32_e64 v30, null, v30, v29, vcc_lo
	v_subrev_co_ci_u32_e64 v1, null, s49, v1, vcc_lo
	s_delay_alu instid0(VALU_DEP_3) | instskip(SKIP_1) | instid1(VALU_DEP_3)
	v_sub_co_u32 v23, s0, v11, s48
	v_add_nc_u64_e32 v[28:29], 1, v[24:25]
	v_subrev_co_ci_u32_e64 v1, null, 0, v1, s0
	s_delay_alu instid0(VALU_DEP_3) | instskip(SKIP_1) | instid1(VALU_DEP_3)
	v_cmp_le_u32_e32 vcc_lo, s48, v23
	v_cndmask_b32_e64 v23, 0, -1, vcc_lo
	v_cmp_le_u32_e32 vcc_lo, s49, v1
	v_cndmask_b32_e64 v26, 0, -1, vcc_lo
	;; [unrolled: 2-line block ×4, first 2 shown]
	v_cmp_eq_u32_e32 vcc_lo, s49, v1
	v_cndmask_b32_e32 v1, v26, v23, vcc_lo
	v_cmp_eq_u32_e32 vcc_lo, s49, v30
	v_add_nc_u64_e32 v[26:27], 2, v[24:25]
	v_dual_mov_b32 v23, v22 :: v_dual_cndmask_b32 v11, v31, v11, vcc_lo
	s_delay_alu instid0(VALU_DEP_4) | instskip(NEXT) | instid1(VALU_DEP_2)
	v_cmp_ne_u32_e32 vcc_lo, 0, v1
	v_cmp_ne_u32_e64 s0, 0, v11
	s_delay_alu instid0(VALU_DEP_4) | instskip(NEXT) | instid1(VALU_DEP_1)
	v_dual_cndmask_b32 v1, v29, v27, vcc_lo :: v_dual_cndmask_b32 v11, v28, v26, vcc_lo
	v_dual_cndmask_b32 v1, v25, v1, s0 :: v_dual_cndmask_b32 v11, v24, v11, s0
	s_delay_alu instid0(VALU_DEP_1) | instskip(NEXT) | instid1(VALU_DEP_2)
	v_xor_b32_e32 v25, v1, v22
	v_xor_b32_e32 v24, v11, v22
	s_delay_alu instid0(VALU_DEP_1)
	v_sub_nc_u64_e32 v[22:23], v[24:25], v[22:23]
.LBB59_44:                              ;   in Loop: Header=BB59_42 Depth=1
	s_and_not1_saveexec_b32 s0, s65
	s_cbranch_execz .LBB59_41
; %bb.45:                               ;   in Loop: Header=BB59_42 Depth=1
	v_cvt_f32_u32_e32 v1, s44
	s_sub_co_i32 s46, 0, s44
	s_delay_alu instid0(VALU_DEP_1) | instskip(SKIP_1) | instid1(TRANS32_DEP_1)
	v_rcp_iflag_f32_e32 v1, v1
	v_nop
	v_mul_f32_e32 v1, 0x4f7ffffe, v1
	s_delay_alu instid0(VALU_DEP_1) | instskip(NEXT) | instid1(VALU_DEP_1)
	v_cvt_u32_f32_e32 v1, v1
	v_mul_lo_u32 v11, s46, v1
	s_delay_alu instid0(VALU_DEP_1) | instskip(NEXT) | instid1(VALU_DEP_1)
	v_mul_hi_u32 v11, v1, v11
	v_add_nc_u32_e32 v1, v1, v11
	s_delay_alu instid0(VALU_DEP_1) | instskip(NEXT) | instid1(VALU_DEP_1)
	v_mul_hi_u32 v1, v18, v1
	v_mul_lo_u32 v11, v1, s44
	s_delay_alu instid0(VALU_DEP_1) | instskip(NEXT) | instid1(VALU_DEP_1)
	v_sub_nc_u32_e32 v11, v18, v11
	v_subrev_nc_u32_e32 v23, s44, v11
	v_cmp_le_u32_e32 vcc_lo, s44, v11
	s_delay_alu instid0(VALU_DEP_2) | instskip(NEXT) | instid1(VALU_DEP_1)
	v_dual_cndmask_b32 v11, v11, v23 :: v_dual_add_nc_u32 v22, 1, v1
	v_dual_cndmask_b32 v1, v1, v22, vcc_lo :: v_dual_mov_b32 v23, v10
	s_delay_alu instid0(VALU_DEP_2) | instskip(NEXT) | instid1(VALU_DEP_2)
	v_cmp_le_u32_e32 vcc_lo, s44, v11
	v_add_nc_u32_e32 v22, 1, v1
	s_delay_alu instid0(VALU_DEP_1)
	v_cndmask_b32_e32 v22, v1, v22, vcc_lo
	s_branch .LBB59_41
.LBB59_46:
	s_mov_b32 s38, -1
	s_mov_b32 s0, 0
	s_mov_b32 s37, 0
	s_mov_b32 s1, exec_lo
	v_cmpx_gt_i64_e64 v[2:3], v[6:7]
	s_cbranch_execz .LBB59_52
; %bb.47:
	s_wait_loadcnt 0x0
	s_delay_alu instid0(VALU_DEP_2) | instskip(SKIP_1) | instid1(VALU_DEP_1)
	v_lshlrev_b64_e32 v[10:11], 3, v[14:15]
	s_xor_b32 s39, s51, -1
                                        ; implicit-def: $sgpr38
                                        ; implicit-def: $sgpr41
                                        ; implicit-def: $sgpr40
	v_lshl_add_u64 v[6:7], v[6:7], 3, v[10:11]
	v_add_nc_u64_e32 v[10:11], s[16:17], v[10:11]
	s_delay_alu instid0(VALU_DEP_2) | instskip(NEXT) | instid1(VALU_DEP_2)
	v_add_nc_u64_e32 v[6:7], s[16:17], v[6:7]
	v_lshl_add_u64 v[2:3], v[2:3], 3, v[10:11]
	s_delay_alu instid0(VALU_DEP_2)
	v_add_nc_u64_e32 v[6:7], 8, v[6:7]
	s_branch .LBB59_49
.LBB59_48:                              ;   in Loop: Header=BB59_49 Depth=1
	s_or_b32 exec_lo, exec_lo, s42
	s_delay_alu instid0(SALU_CYCLE_1) | instskip(NEXT) | instid1(SALU_CYCLE_1)
	s_and_b32 s42, exec_lo, s41
	s_or_b32 s37, s42, s37
	s_and_not1_b32 s38, s38, exec_lo
	s_and_b32 s42, s40, exec_lo
	s_delay_alu instid0(SALU_CYCLE_1)
	s_or_b32 s38, s38, s42
	s_and_not1_b32 exec_lo, exec_lo, s37
	s_cbranch_execz .LBB59_51
.LBB59_49:                              ; =>This Inner Loop Header: Depth=1
	s_or_b32 s40, s40, exec_lo
	s_or_b32 s41, s41, exec_lo
	s_mov_b32 s42, exec_lo
	s_delay_alu instid0(VALU_DEP_1)
	v_cmpx_lt_u64_e64 v[6:7], v[2:3]
	s_cbranch_execz .LBB59_48
; %bb.50:                               ;   in Loop: Header=BB59_49 Depth=1
	global_load_b128 v[22:25], v[6:7], off offset:-8
	s_and_not1_b32 s41, s41, exec_lo
	s_wait_xcnt 0x0
	v_add_nc_u64_e32 v[6:7], 8, v[6:7]
	s_and_not1_b32 s40, s40, exec_lo
	s_wait_loadcnt 0x0
	v_cmp_ge_i64_e32 vcc_lo, v[22:23], v[24:25]
	s_or_b32 s43, s39, vcc_lo
	s_delay_alu instid0(SALU_CYCLE_1) | instskip(NEXT) | instid1(SALU_CYCLE_1)
	s_and_b32 s43, s43, exec_lo
	s_or_b32 s41, s41, s43
	s_branch .LBB59_48
.LBB59_51:
	s_or_b32 exec_lo, exec_lo, s37
	s_delay_alu instid0(SALU_CYCLE_1)
	s_mov_b32 s37, exec_lo
	s_or_not1_b32 s38, s38, exec_lo
.LBB59_52:
	s_or_b32 exec_lo, exec_lo, s1
	s_mov_b32 s41, 0
	s_mov_b32 s39, 0
	s_and_saveexec_b32 s1, s38
	s_cbranch_execz .LBB59_56
; %bb.53:
	s_mov_b32 s38, 0
	s_mov_b32 s39, -1
	s_mov_b32 s0, 0
	s_mov_b32 s40, exec_lo
	v_cmpx_eq_u64_e64 s[4:5], v[20:21]
	s_xor_b32 s40, exec_lo, s40
; %bb.54:
	v_cmp_ne_u64_e32 vcc_lo, s[8:9], v[16:17]
	s_mov_b32 s0, exec_lo
	s_xor_b32 s39, exec_lo, -1
	s_and_b32 s38, vcc_lo, exec_lo
; %bb.55:
	s_or_b32 exec_lo, exec_lo, s40
	s_delay_alu instid0(SALU_CYCLE_1)
	s_and_b32 s39, s39, exec_lo
	s_and_not1_b32 s37, s37, exec_lo
	s_and_b32 s41, s0, exec_lo
	s_and_b32 s0, s38, exec_lo
.LBB59_56:
	s_or_b32 exec_lo, exec_lo, s1
	s_delay_alu instid0(SALU_CYCLE_1)
	s_and_b32 s40, s39, exec_lo
	s_and_b32 s39, s37, exec_lo
	s_xor_b32 s37, exec_lo, -1
	s_and_b32 s38, s41, exec_lo
	s_and_b32 s1, s0, exec_lo
.LBB59_57:
	s_or_b32 exec_lo, exec_lo, s64
	s_delay_alu instid0(SALU_CYCLE_1)
	s_and_b32 s41, s40, exec_lo
	s_and_b32 s39, s39, exec_lo
	s_and_b32 s40, s37, exec_lo
	s_and_b32 s37, s38, exec_lo
	s_or_not1_b32 s0, s1, exec_lo
.LBB59_58:
	s_or_b32 exec_lo, exec_lo, s63
	s_delay_alu instid0(SALU_CYCLE_1)
	s_or_not1_b32 s1, s41, exec_lo
	s_and_b32 s39, s39, exec_lo
	s_and_b32 s38, s40, exec_lo
	;; [unrolled: 1-line block ×4, first 2 shown]
.LBB59_59:
	s_or_b32 exec_lo, exec_lo, s62
	s_delay_alu instid0(SALU_CYCLE_1)
	s_and_not1_b32 s40, s60, exec_lo
	s_and_b32 s41, s39, exec_lo
	s_and_b32 s39, s1, exec_lo
	s_or_b32 s60, s40, s41
	s_and_b32 s38, s38, exec_lo
	s_and_b32 s1, s37, exec_lo
	;; [unrolled: 1-line block ×3, first 2 shown]
.LBB59_60:
	s_or_b32 exec_lo, exec_lo, s61
	s_delay_alu instid0(SALU_CYCLE_1)
	s_and_b32 s40, s39, exec_lo
	s_and_b32 s39, s60, exec_lo
	s_or_not1_b32 s37, s38, exec_lo
	s_and_b32 s38, s1, exec_lo
	s_and_b32 s1, s0, exec_lo
.LBB59_61:
	s_or_b32 exec_lo, exec_lo, s59
	s_delay_alu instid0(SALU_CYCLE_1)
	s_and_b32 s41, s40, exec_lo
	s_and_b32 s39, s39, exec_lo
	s_and_b32 s40, s37, exec_lo
	s_and_b32 s37, s38, exec_lo
	s_or_not1_b32 s0, s1, exec_lo
.LBB59_62:
	s_or_b32 exec_lo, exec_lo, s58
	s_delay_alu instid0(SALU_CYCLE_1)
	s_or_not1_b32 s1, s41, exec_lo
	s_and_b32 s39, s39, exec_lo
	s_and_b32 s38, s40, exec_lo
	;; [unrolled: 1-line block ×4, first 2 shown]
.LBB59_63:
	s_or_b32 exec_lo, exec_lo, s57
	s_delay_alu instid0(SALU_CYCLE_1)
	s_and_not1_b32 s40, s55, exec_lo
	s_and_b32 s39, s39, exec_lo
	s_and_b32 s1, s1, exec_lo
	s_or_b32 s55, s40, s39
	s_and_b32 s39, s38, exec_lo
	s_and_b32 s38, s37, exec_lo
	;; [unrolled: 1-line block ×3, first 2 shown]
.LBB59_64:
	s_or_b32 exec_lo, exec_lo, s56
	s_delay_alu instid0(SALU_CYCLE_1)
	s_and_b32 s1, s1, exec_lo
	s_and_b32 s48, s55, exec_lo
	s_or_not1_b32 s37, s39, exec_lo
	s_and_b32 s47, s38, exec_lo
	s_and_b32 s46, s0, exec_lo
.LBB59_65:
	s_or_b32 exec_lo, exec_lo, s54
	s_delay_alu instid0(SALU_CYCLE_1)
	s_and_b32 s1, s1, exec_lo
	s_and_b32 s54, s48, exec_lo
	;; [unrolled: 1-line block ×4, first 2 shown]
	s_or_not1_b32 s42, s46, exec_lo
	s_mov_b32 s55, s10
.LBB59_66:
	s_or_b32 exec_lo, exec_lo, s53
	s_and_saveexec_b32 s38, s42
	s_cbranch_execnz .LBB59_215
.LBB59_67:
	s_or_b32 exec_lo, exec_lo, s38
	s_mov_b32 s38, 0
	s_and_saveexec_b32 s39, s0
	s_delay_alu instid0(SALU_CYCLE_1)
	s_xor_b32 s39, exec_lo, s39
	s_cbranch_execnz .LBB59_141
; %bb.68:
	s_or_b32 exec_lo, exec_lo, s39
	s_and_saveexec_b32 s0, s37
	s_cbranch_execnz .LBB59_142
.LBB59_69:
	s_or_b32 exec_lo, exec_lo, s0
	s_mov_b32 s0, 0
	s_and_saveexec_b32 s53, s38
	s_cbranch_execnz .LBB59_143
.LBB59_70:
	s_or_b32 exec_lo, exec_lo, s53
	s_and_saveexec_b32 s36, s54
	s_cbranch_execnz .LBB59_178
.LBB59_71:
	s_or_b32 exec_lo, exec_lo, s36
	s_and_saveexec_b32 s36, s0
	s_delay_alu instid0(SALU_CYCLE_1)
	s_xor_b32 s0, exec_lo, s36
	s_cbranch_execz .LBB59_73
.LBB59_72:
	s_mov_b32 s36, 0
	s_add_nc_u64 s[34:35], s[18:19], s[34:35]
	s_mov_b32 s37, s36
	s_mov_b32 s38, s36
	s_mov_b32 s39, s36
	s_wait_loadcnt 0x2
	v_mov_b64_e32 v[2:3], s[36:37]
	v_mov_b64_e32 v[4:5], s[38:39]
	s_clause 0x1
	global_store_b128 v0, v[2:5], s[34:35] scale_offset
	global_store_b128 v0, v[2:5], s[34:35] offset:4096 scale_offset
.LBB59_73:
	s_wait_xcnt 0x0
	s_or_b32 exec_lo, exec_lo, s0
	s_delay_alu instid0(SALU_CYCLE_1)
	s_and_b32 s3, s3, exec_lo
	s_or_not1_b32 s0, s1, exec_lo
.LBB59_74:
	s_or_b32 exec_lo, exec_lo, s50
.LBB59_75:
	s_and_saveexec_b32 s1, s0
	s_delay_alu instid0(SALU_CYCLE_1)
	s_xor_b32 s0, exec_lo, s1
	s_cbranch_execnz .LBB59_213
.LBB59_76:
	s_or_b32 exec_lo, exec_lo, s0
	s_mov_b32 s0, 0
.LBB59_77:
	s_delay_alu instid0(SALU_CYCLE_1)
	s_and_b32 vcc_lo, exec_lo, s0
	s_cbranch_vccz .LBB59_97
; %bb.78:
	v_mov_b64_e32 v[28:29], 0
	v_mov_b64_e32 v[40:41], 0
	s_wait_loadcnt 0x6
	v_mov_b64_e32 v[36:37], 0
	s_wait_loadcnt 0x1
	v_mov_b64_e32 v[34:35], 0
	v_mov_b64_e32 v[32:33], 0
	;; [unrolled: 1-line block ×3, first 2 shown]
	v_cmp_gt_i32_e64 s0, s11, v0
	v_or_b32_e32 v1, 0x100, v0
	v_mov_b32_e32 v42, v0
	s_and_saveexec_b32 s1, s0
	s_cbranch_execz .LBB59_80
; %bb.79:
	v_or_b32_e32 v2, s2, v0
	v_or_b32_e32 v42, 0x100, v0
	s_clause 0x4
	global_load_b64 v[40:41], v2, s[20:21] scale_offset
	global_load_b64 v[36:37], v2, s[22:23] scale_offset
	;; [unrolled: 1-line block ×5, first 2 shown]
.LBB59_80:
	s_wait_xcnt 0x0
	s_or_b32 exec_lo, exec_lo, s1
	v_mov_b64_e32 v[30:31], 0
	v_mov_b64_e32 v[24:25], 0
	;; [unrolled: 1-line block ×4, first 2 shown]
	s_mov_b32 s1, exec_lo
	v_cmpx_gt_i32_e64 s11, v42
	s_cbranch_execz .LBB59_82
; %bb.81:
	v_add_nc_u32_e32 v2, s2, v42
	v_add_nc_u32_e32 v42, 0x100, v42
	s_clause 0x4
	global_load_b64 v[28:29], v2, s[20:21] scale_offset
	global_load_b64 v[30:31], v2, s[22:23] scale_offset
	global_load_b64 v[24:25], v2, s[24:25] scale_offset
	global_load_b64 v[22:23], v2, s[26:27] scale_offset
	global_load_b64 v[26:27], v2, s[28:29] scale_offset
.LBB59_82:
	s_wait_xcnt 0x0
	s_or_b32 exec_lo, exec_lo, s1
	s_wait_loadcnt 0x0
	v_mov_b64_e32 v[10:11], 0
	v_mov_b64_e32 v[20:21], 0
	v_mov_b64_e32 v[18:19], 0
	v_mov_b64_e32 v[14:15], 0
	v_mov_b64_e32 v[12:13], 0
	v_mov_b64_e32 v[16:17], 0
	s_mov_b32 s1, exec_lo
	v_cmpx_gt_i32_e64 s11, v42
	s_cbranch_execz .LBB59_84
; %bb.83:
	v_add_nc_u32_e32 v2, s2, v42
	v_add_nc_u32_e32 v42, 0x100, v42
	s_clause 0x4
	global_load_b64 v[20:21], v2, s[20:21] scale_offset
	global_load_b64 v[18:19], v2, s[22:23] scale_offset
	;; [unrolled: 1-line block ×5, first 2 shown]
.LBB59_84:
	s_wait_xcnt 0x0
	s_or_b32 exec_lo, exec_lo, s1
	v_mov_b64_e32 v[8:9], 0
	v_mov_b64_e32 v[4:5], 0
	;; [unrolled: 1-line block ×4, first 2 shown]
	s_mov_b32 s1, exec_lo
	v_cmpx_gt_i32_e64 s11, v42
	s_cbranch_execz .LBB59_86
; %bb.85:
	v_add_nc_u32_e32 v42, s2, v42
	s_clause 0x4
	global_load_b64 v[10:11], v42, s[20:21] scale_offset
	global_load_b64 v[8:9], v42, s[22:23] scale_offset
	;; [unrolled: 1-line block ×5, first 2 shown]
.LBB59_86:
	s_wait_xcnt 0x0
	s_or_b32 exec_lo, exec_lo, s1
	s_get_pc_i64 s[20:21]
	s_add_nc_u64 s[20:21], s[20:21], .str.2@rel64+4
	s_cmp_lg_u64 s[30:31], 0
	s_get_pc_i64 s[22:23]
	s_add_nc_u64 s[22:23], s[22:23], .str.3@rel64+4
	s_cselect_b32 s43, -1, 0
	s_cmp_lg_u64 s[20:21], 0
	s_mov_b32 s1, -1
	s_cselect_b32 s41, -1, 0
	s_cmp_lg_u64 s[22:23], 0
	s_get_pc_i64 s[22:23]
	s_add_nc_u64 s[22:23], s[22:23], .str.4@rel64+4
	s_cselect_b32 s40, -1, 0
	s_add_co_i32 s20, s10, -1
	s_mov_b32 s48, 0
	s_cmp_gt_i32 s20, -1
	s_mov_b32 s46, 0
	s_cselect_b32 s39, -1, 0
	s_cmp_lg_u64 s[22:23], 0
	s_mov_b32 s45, 0
	s_cselect_b32 s38, -1, 0
	s_mov_b32 s44, 0
	s_mov_b32 s42, 0
	s_and_saveexec_b32 s33, s0
	s_cbranch_execnz .LBB59_106
; %bb.87:
	s_or_b32 exec_lo, exec_lo, s33
	s_mov_b32 s33, 0
	s_and_saveexec_b32 s47, s1
	s_cbranch_execnz .LBB59_160
.LBB59_88:
	s_or_b32 exec_lo, exec_lo, s47
	s_and_saveexec_b32 s1, s46
	s_cbranch_execnz .LBB59_212
.LBB59_89:
	s_or_b32 exec_lo, exec_lo, s1
	s_mov_b32 s1, 0
	s_and_saveexec_b32 s21, s48
	s_delay_alu instid0(SALU_CYCLE_1)
	s_xor_b32 s21, exec_lo, s21
	s_cbranch_execz .LBB59_91
; %bb.90:
	s_wait_loadcnt 0x3
	v_cmp_ne_u64_e32 vcc_lo, s[8:9], v[8:9]
	s_xor_b32 s22, s41, -1
	s_and_not1_b32 s23, s45, exec_lo
	s_mov_b32 s1, exec_lo
	s_or_b32 s22, s22, vcc_lo
	s_delay_alu instid0(SALU_CYCLE_1) | instskip(NEXT) | instid1(SALU_CYCLE_1)
	s_and_b32 s22, s22, exec_lo
	s_or_b32 s45, s23, s22
.LBB59_91:
	s_or_b32 exec_lo, exec_lo, s21
	s_and_saveexec_b32 s21, s45
	s_cbranch_execnz .LBB59_214
.LBB59_92:
	s_or_b32 exec_lo, exec_lo, s21
	s_mov_b32 s21, 0
	s_and_saveexec_b32 s22, s1
	s_delay_alu instid0(SALU_CYCLE_1)
	s_xor_b32 s22, exec_lo, s22
	s_cbranch_execnz .LBB59_116
; %bb.93:
	s_or_b32 exec_lo, exec_lo, s22
	s_and_saveexec_b32 s1, s44
	s_cbranch_execnz .LBB59_117
.LBB59_94:
	s_or_b32 exec_lo, exec_lo, s1
	s_and_saveexec_b32 s24, s21
	s_cbranch_execnz .LBB59_118
.LBB59_95:
	s_or_b32 exec_lo, exec_lo, s24
	s_and_saveexec_b32 s1, s42
	s_cbranch_execnz .LBB59_140
.LBB59_96:
	s_or_b32 exec_lo, exec_lo, s1
	s_and_saveexec_b32 s1, s3
	s_cbranch_execnz .LBB59_98
	s_branch .LBB59_99
.LBB59_97:
                                        ; implicit-def: $sgpr0
                                        ; implicit-def: $vgpr1
                                        ; implicit-def: $vgpr0
	s_and_saveexec_b32 s1, s3
.LBB59_98:
	; divergent unreachable
.LBB59_99:
	s_delay_alu instid0(SALU_CYCLE_1) | instskip(SKIP_1) | instid1(SALU_CYCLE_1)
	s_or_b32 exec_lo, exec_lo, s1
	s_and_saveexec_b32 s1, s33
	s_xor_b32 s1, exec_lo, s1
	s_cbranch_execz .LBB59_105
; %bb.100:
	s_and_saveexec_b32 s1, s0
	s_delay_alu instid0(SALU_CYCLE_1)
	s_xor_b32 s0, exec_lo, s1
	s_cbranch_execnz .LBB59_125
; %bb.101:
	s_or_b32 exec_lo, exec_lo, s0
	s_delay_alu instid0(SALU_CYCLE_1)
	s_mov_b32 s0, exec_lo
	v_cmpx_gt_i32_e64 s11, v0
	s_cbranch_execnz .LBB59_126
.LBB59_102:
	s_or_b32 exec_lo, exec_lo, s0
	s_delay_alu instid0(SALU_CYCLE_1)
	s_mov_b32 s0, exec_lo
	v_cmpx_gt_i32_e64 s11, v0
	s_cbranch_execnz .LBB59_127
.LBB59_103:
	s_or_b32 exec_lo, exec_lo, s0
	s_delay_alu instid0(SALU_CYCLE_1)
	s_mov_b32 s0, exec_lo
	v_cmpx_gt_i32_e64 s11, v0
	s_cbranch_execz .LBB59_105
.LBB59_104:
	s_wait_loadcnt 0x1
	v_mov_b64_e32 v[2:3], 0
	v_add_nc_u32_e32 v0, s2, v0
	global_store_b64 v0, v[2:3], s[18:19] scale_offset
.LBB59_105:
	s_endpgm
.LBB59_106:
	v_cmp_eq_u64_e32 vcc_lo, s[4:5], v[40:41]
	s_mov_b32 s21, -1
	s_mov_b32 s1, 0
	s_mov_b32 s22, 0
	;; [unrolled: 1-line block ×4, first 2 shown]
	s_and_b32 s25, s43, vcc_lo
	s_delay_alu instid0(SALU_CYCLE_1)
	s_and_saveexec_b32 s42, s25
	s_cbranch_execz .LBB59_159
; %bb.107:
	v_cmp_eq_u64_e32 vcc_lo, s[8:9], v[36:37]
	s_and_b32 s24, s41, vcc_lo
	s_delay_alu instid0(SALU_CYCLE_1)
	s_and_saveexec_b32 s44, s24
	s_cbranch_execz .LBB59_158
; %bb.108:
	v_sub_nc_u64_e32 v[36:37], v[32:33], v[34:35]
	s_delay_alu instid0(VALU_DEP_1)
	v_cmp_le_i64_e32 vcc_lo, s[4:5], v[36:37]
	v_cmp_ge_i64_e64 s1, s[6:7], v[36:37]
	s_and_b32 s22, vcc_lo, s1
	s_mov_b32 s1, 0
	s_and_b32 s23, s40, s22
	s_mov_b32 s22, 0
	s_and_saveexec_b32 s45, s23
	s_cbranch_execz .LBB59_157
; %bb.109:
	v_cmp_lt_i64_e64 s1, s[8:9], 1
	v_mov_b64_e32 v[36:37], 0
	s_xor_b32 s21, s39, -1
	s_delay_alu instid0(SALU_CYCLE_1) | instskip(NEXT) | instid1(SALU_CYCLE_1)
	s_or_b32 s1, s1, s21
	s_and_b32 vcc_lo, exec_lo, s1
	s_cbranch_vccnz .LBB59_133
; %bb.110:
	v_mul_u64_e32 v[40:41], s[8:9], v[38:39]
	s_mov_b32 s23, 0
	v_mov_b64_e32 v[36:37], 0
	s_mov_b32 s21, s23
	v_mov_b32_e32 v38, 0
	s_lshl_b64 s[28:29], s[20:21], 3
	s_mov_b64 s[24:25], 0xffffffff
	s_add_nc_u64 s[26:27], s[12:13], s[28:29]
	s_add_nc_u64 s[28:29], s[14:15], s[28:29]
	s_mov_b32 s21, s10
	s_branch .LBB59_112
.LBB59_111:                             ;   in Loop: Header=BB59_112 Depth=1
	s_or_b32 exec_lo, exec_lo, s1
	s_delay_alu instid0(VALU_DEP_1)
	v_mul_u64_e32 v[44:45], s[30:31], v[42:43]
	s_load_b64 s[30:31], s[28:29], 0x0
	s_add_co_i32 s21, s21, -1
	s_add_nc_u64 s[26:27], s[26:27], -8
	s_cmp_eq_u32 s21, 0
	s_wait_xcnt 0x0
	s_add_nc_u64 s[28:29], s[28:29], -8
	s_delay_alu instid0(VALU_DEP_1) | instskip(SKIP_1) | instid1(VALU_DEP_1)
	v_sub_nc_u64_e32 v[40:41], v[40:41], v[44:45]
	s_wait_kmcnt 0x0
	v_mad_nc_u64_u32 v[36:37], v40, s30, v[36:37]
	s_delay_alu instid0(VALU_DEP_1) | instskip(NEXT) | instid1(VALU_DEP_1)
	v_mad_u32 v37, v41, s30, v37
	v_mad_u32 v37, v40, s31, v37
	v_mov_b64_e32 v[40:41], v[42:43]
	s_cbranch_scc1 .LBB59_133
.LBB59_112:                             ; =>This Inner Loop Header: Depth=1
	s_load_b64 s[30:31], s[26:27], 0x0
                                        ; implicit-def: $vgpr42_vgpr43
	s_mov_b32 s1, exec_lo
	s_wait_kmcnt 0x0
	s_delay_alu instid0(VALU_DEP_1) | instskip(NEXT) | instid1(VALU_DEP_1)
	v_or_b32_e32 v39, s31, v41
	v_cmpx_ne_u64_e32 0, v[38:39]
	s_xor_b32 s46, exec_lo, s1
	s_cbranch_execz .LBB59_114
; %bb.113:                              ;   in Loop: Header=BB59_112 Depth=1
	s_ashr_i32 s34, s31, 31
	v_dual_mov_b32 v47, v38 :: v_dual_ashrrev_i32 v42, 31, v41
	s_mov_b32 s35, s34
	v_mov_b32_e32 v55, v38
	s_add_nc_u64 s[36:37], s[30:31], s[34:35]
	s_delay_alu instid0(VALU_DEP_2) | instskip(SKIP_1) | instid1(SALU_CYCLE_1)
	v_mov_b32_e32 v43, v42
	s_xor_b64 s[36:37], s[36:37], s[34:35]
	s_cvt_f32_u32 s1, s36
	s_cvt_f32_u32 s22, s37
	s_sub_nc_u64 s[52:53], 0, s[36:37]
	v_add_nc_u64_e32 v[44:45], v[40:41], v[42:43]
	v_mov_b32_e32 v51, v38
	s_fmamk_f32 s1, s22, 0x4f800000, s1
	s_delay_alu instid0(SALU_CYCLE_3) | instskip(NEXT) | instid1(VALU_DEP_2)
	v_s_rcp_f32 s1, s1
	v_xor_b32_e32 v46, v44, v42
	s_delay_alu instid0(VALU_DEP_3) | instskip(NEXT) | instid1(TRANS32_DEP_1)
	v_xor_b32_e32 v50, v45, v42
	s_mul_f32 s1, s1, 0x5f7ffffc
	s_delay_alu instid0(SALU_CYCLE_3) | instskip(NEXT) | instid1(SALU_CYCLE_3)
	s_mul_f32 s22, s1, 0x2f800000
	s_trunc_f32 s22, s22
	s_delay_alu instid0(SALU_CYCLE_3) | instskip(SKIP_1) | instid1(SALU_CYCLE_2)
	s_fmamk_f32 s1, s22, 0xcf800000, s1
	s_cvt_u32_f32 s51, s22
	s_cvt_u32_f32 s50, s1
	s_delay_alu instid0(SALU_CYCLE_3) | instskip(NEXT) | instid1(SALU_CYCLE_1)
	s_mul_u64 s[54:55], s[52:53], s[50:51]
	s_mul_hi_u32 s57, s50, s55
	s_mul_i32 s56, s50, s55
	s_mul_hi_u32 s22, s50, s54
	s_mul_i32 s35, s51, s54
	s_add_nc_u64 s[56:57], s[22:23], s[56:57]
	s_mul_hi_u32 s1, s51, s54
	s_mul_hi_u32 s47, s51, s55
	s_add_co_u32 s22, s56, s35
	s_add_co_ci_u32 s22, s57, s1
	s_mul_i32 s54, s51, s55
	s_add_co_ci_u32 s55, s47, 0
	s_delay_alu instid0(SALU_CYCLE_1) | instskip(NEXT) | instid1(SALU_CYCLE_1)
	s_add_nc_u64 s[54:55], s[22:23], s[54:55]
	s_add_co_u32 s50, s50, s54
	s_cselect_b32 s1, -1, 0
	s_delay_alu instid0(SALU_CYCLE_1) | instskip(SKIP_1) | instid1(SALU_CYCLE_1)
	s_cmp_lg_u32 s1, 0
	s_add_co_ci_u32 s51, s51, s55
	s_mul_u64 s[52:53], s[52:53], s[50:51]
	s_delay_alu instid0(SALU_CYCLE_1)
	s_mul_hi_u32 s55, s50, s53
	s_mul_i32 s54, s50, s53
	s_mul_hi_u32 s22, s50, s52
	s_mul_i32 s35, s51, s52
	s_add_nc_u64 s[54:55], s[22:23], s[54:55]
	s_mul_hi_u32 s1, s51, s52
	s_mul_hi_u32 s47, s51, s53
	s_add_co_u32 s22, s54, s35
	s_add_co_ci_u32 s22, s55, s1
	s_mul_i32 s52, s51, s53
	s_add_co_ci_u32 s53, s47, 0
	s_delay_alu instid0(SALU_CYCLE_1) | instskip(NEXT) | instid1(SALU_CYCLE_1)
	s_add_nc_u64 s[52:53], s[22:23], s[52:53]
	s_add_co_u32 s50, s50, s52
	s_cselect_b32 s1, -1, 0
	v_mul_hi_u32 v54, v46, s50
	s_cmp_lg_u32 s1, 0
	s_add_co_ci_u32 s22, s51, s53
	s_and_b64 s[52:53], s[50:51], s[24:25]
	v_mul_u64_e32 v[48:49], s[22:23], v[46:47]
	v_mul_u64_e32 v[44:45], s[52:53], v[50:51]
	;; [unrolled: 1-line block ×3, first 2 shown]
	s_delay_alu instid0(VALU_DEP_3) | instskip(NEXT) | instid1(VALU_DEP_1)
	v_add_nc_u64_e32 v[48:49], v[54:55], v[48:49]
	v_add_co_u32 v39, vcc_lo, v48, v44
	s_delay_alu instid0(VALU_DEP_2) | instskip(NEXT) | instid1(VALU_DEP_4)
	v_add_co_ci_u32_e32 v54, vcc_lo, v49, v45, vcc_lo
	v_add_co_ci_u32_e32 v53, vcc_lo, 0, v53, vcc_lo
	s_delay_alu instid0(VALU_DEP_1) | instskip(NEXT) | instid1(VALU_DEP_1)
	v_add_nc_u64_e32 v[44:45], v[54:55], v[52:53]
	v_mul_u64_e32 v[48:49], s[36:37], v[44:45]
	s_delay_alu instid0(VALU_DEP_1) | instskip(NEXT) | instid1(VALU_DEP_2)
	v_sub_nc_u32_e32 v39, v50, v49
	v_sub_co_u32 v43, vcc_lo, v46, v48
	s_delay_alu instid0(VALU_DEP_1) | instskip(NEXT) | instid1(VALU_DEP_3)
	v_sub_co_ci_u32_e64 v50, null, v50, v49, vcc_lo
	v_subrev_co_ci_u32_e64 v39, null, s37, v39, vcc_lo
	s_delay_alu instid0(VALU_DEP_3) | instskip(SKIP_1) | instid1(VALU_DEP_3)
	v_sub_co_u32 v46, s1, v43, s36
	v_add_nc_u64_e32 v[48:49], 1, v[44:45]
	v_subrev_co_ci_u32_e64 v39, null, 0, v39, s1
	s_delay_alu instid0(VALU_DEP_3) | instskip(SKIP_1) | instid1(VALU_DEP_3)
	v_cmp_le_u32_e32 vcc_lo, s36, v46
	v_cndmask_b32_e64 v46, 0, -1, vcc_lo
	v_cmp_le_u32_e32 vcc_lo, s37, v39
	v_cndmask_b32_e64 v47, 0, -1, vcc_lo
	;; [unrolled: 2-line block ×4, first 2 shown]
	v_cmp_eq_u32_e32 vcc_lo, s37, v39
	v_cndmask_b32_e32 v39, v47, v46, vcc_lo
	v_cmp_eq_u32_e32 vcc_lo, s37, v50
	v_add_nc_u64_e32 v[46:47], 2, v[44:45]
	v_cndmask_b32_e32 v43, v51, v43, vcc_lo
	s_delay_alu instid0(VALU_DEP_4) | instskip(NEXT) | instid1(VALU_DEP_2)
	v_cmp_ne_u32_e32 vcc_lo, 0, v39
	v_cmp_ne_u32_e64 s1, 0, v43
	s_delay_alu instid0(VALU_DEP_4) | instskip(NEXT) | instid1(VALU_DEP_1)
	v_dual_cndmask_b32 v39, v49, v47, vcc_lo :: v_dual_cndmask_b32 v43, v48, v46, vcc_lo
	v_dual_cndmask_b32 v39, v45, v39, s1 :: v_dual_bitop2_b32 v42, s34, v42 bitop3:0x14
	s_delay_alu instid0(VALU_DEP_1) | instskip(NEXT) | instid1(VALU_DEP_2)
	v_dual_cndmask_b32 v44, v44, v43, s1 :: v_dual_mov_b32 v43, v42
	v_xor_b32_e32 v45, v39, v42
	s_delay_alu instid0(VALU_DEP_2) | instskip(NEXT) | instid1(VALU_DEP_1)
	v_xor_b32_e32 v44, v44, v42
	v_sub_nc_u64_e32 v[42:43], v[44:45], v[42:43]
.LBB59_114:                             ;   in Loop: Header=BB59_112 Depth=1
	s_and_not1_saveexec_b32 s1, s46
	s_cbranch_execz .LBB59_111
; %bb.115:                              ;   in Loop: Header=BB59_112 Depth=1
	v_cvt_f32_u32_e32 v39, s30
	s_sub_co_i32 s22, 0, s30
	s_delay_alu instid0(VALU_DEP_1) | instskip(SKIP_1) | instid1(TRANS32_DEP_1)
	v_rcp_iflag_f32_e32 v39, v39
	v_nop
	v_mul_f32_e32 v39, 0x4f7ffffe, v39
	s_delay_alu instid0(VALU_DEP_1) | instskip(NEXT) | instid1(VALU_DEP_1)
	v_cvt_u32_f32_e32 v39, v39
	v_mul_lo_u32 v42, s22, v39
	s_delay_alu instid0(VALU_DEP_1) | instskip(NEXT) | instid1(VALU_DEP_1)
	v_mul_hi_u32 v42, v39, v42
	v_add_nc_u32_e32 v39, v39, v42
	s_delay_alu instid0(VALU_DEP_1) | instskip(NEXT) | instid1(VALU_DEP_1)
	v_mul_hi_u32 v39, v40, v39
	v_mul_lo_u32 v42, v39, s30
	s_delay_alu instid0(VALU_DEP_1) | instskip(NEXT) | instid1(VALU_DEP_1)
	v_dual_add_nc_u32 v43, 1, v39 :: v_dual_sub_nc_u32 v42, v40, v42
	v_subrev_nc_u32_e32 v44, s30, v42
	v_cmp_le_u32_e32 vcc_lo, s30, v42
	s_delay_alu instid0(VALU_DEP_2) | instskip(NEXT) | instid1(VALU_DEP_1)
	v_dual_cndmask_b32 v42, v42, v44 :: v_dual_cndmask_b32 v39, v39, v43
	v_cmp_le_u32_e32 vcc_lo, s30, v42
	s_delay_alu instid0(VALU_DEP_2) | instskip(NEXT) | instid1(VALU_DEP_1)
	v_add_nc_u32_e32 v43, 1, v39
	v_dual_cndmask_b32 v42, v39, v43 :: v_dual_mov_b32 v43, v38
	s_branch .LBB59_111
.LBB59_116:
	s_wait_loadcnt 0x1
	v_sub_nc_u64_e32 v[8:9], v[2:3], v[4:5]
	s_mov_b32 s21, exec_lo
	s_delay_alu instid0(VALU_DEP_1) | instskip(SKIP_3) | instid1(SALU_CYCLE_1)
	v_cmp_le_i64_e32 vcc_lo, s[4:5], v[8:9]
	v_cmp_ge_i64_e64 s1, s[6:7], v[8:9]
	s_and_not1_b32 s4, s44, exec_lo
	s_and_b32 s1, vcc_lo, s1
	s_and_b32 s1, s40, s1
	s_delay_alu instid0(SALU_CYCLE_1) | instskip(NEXT) | instid1(SALU_CYCLE_1)
	s_xor_b32 s1, s1, -1
	s_and_b32 s1, s1, exec_lo
	s_delay_alu instid0(SALU_CYCLE_1)
	s_or_b32 s44, s4, s1
	s_or_b32 exec_lo, exec_lo, s22
	s_and_saveexec_b32 s1, s44
	s_cbranch_execz .LBB59_94
.LBB59_117:
	s_or_b32 s3, s3, exec_lo
	s_and_not1_b32 s21, s21, exec_lo
	s_trap 2
	s_or_b32 exec_lo, exec_lo, s1
	s_and_saveexec_b32 s24, s21
	s_cbranch_execz .LBB59_95
.LBB59_118:
	v_cmp_lt_i64_e64 s1, s[8:9], 1
	s_wait_loadcnt 0x3
	v_mov_b64_e32 v[8:9], 0
	s_xor_b32 s4, s39, -1
	s_delay_alu instid0(SALU_CYCLE_1) | instskip(NEXT) | instid1(SALU_CYCLE_1)
	s_or_b32 s1, s1, s4
	s_and_b32 vcc_lo, exec_lo, s1
	s_cbranch_vccnz .LBB59_128
; %bb.119:
	s_wait_loadcnt 0x0
	v_mul_u64_e32 v[10:11], s[8:9], v[6:7]
	v_mov_b64_e32 v[8:9], 0
	s_mov_b32 s21, 0
	v_mov_b32_e32 v6, 0
	s_lshl_b64 s[8:9], s[20:21], 3
	s_mov_b64 s[4:5], 0xffffffff
	s_add_nc_u64 s[6:7], s[12:13], s[8:9]
	s_add_nc_u64 s[8:9], s[14:15], s[8:9]
	s_branch .LBB59_121
.LBB59_120:                             ;   in Loop: Header=BB59_121 Depth=1
	s_or_b32 exec_lo, exec_lo, s1
	s_delay_alu instid0(VALU_DEP_1)
	v_mul_u64_e32 v[14:15], s[12:13], v[12:13]
	s_load_b64 s[12:13], s[8:9], 0x0
	s_add_co_i32 s10, s10, -1
	s_add_nc_u64 s[6:7], s[6:7], -8
	s_cmp_lg_u32 s10, 0
	s_wait_xcnt 0x0
	s_add_nc_u64 s[8:9], s[8:9], -8
	s_delay_alu instid0(VALU_DEP_1) | instskip(SKIP_1) | instid1(VALU_DEP_1)
	v_sub_nc_u64_e32 v[10:11], v[10:11], v[14:15]
	s_wait_kmcnt 0x0
	v_mad_nc_u64_u32 v[8:9], v10, s12, v[8:9]
	s_delay_alu instid0(VALU_DEP_1) | instskip(NEXT) | instid1(VALU_DEP_1)
	v_mad_u32 v7, v11, s12, v9
	v_mad_u32 v9, v10, s13, v7
	v_mov_b64_e32 v[10:11], v[12:13]
	s_cbranch_scc0 .LBB59_128
.LBB59_121:                             ; =>This Inner Loop Header: Depth=1
	s_load_b64 s[12:13], s[6:7], 0x0
                                        ; implicit-def: $vgpr12_vgpr13
	s_mov_b32 s1, exec_lo
	s_wait_kmcnt 0x0
	s_delay_alu instid0(VALU_DEP_1) | instskip(NEXT) | instid1(VALU_DEP_1)
	v_or_b32_e32 v7, s13, v11
	v_cmpx_ne_u64_e32 0, v[6:7]
	s_xor_b32 s25, exec_lo, s1
	s_cbranch_execz .LBB59_123
; %bb.122:                              ;   in Loop: Header=BB59_121 Depth=1
	s_ashr_i32 s14, s13, 31
	v_dual_mov_b32 v17, v6 :: v_dual_ashrrev_i32 v12, 31, v11
	s_mov_b32 s15, s14
	s_delay_alu instid0(SALU_CYCLE_1) | instskip(NEXT) | instid1(VALU_DEP_1)
	s_add_nc_u64 s[22:23], s[12:13], s[14:15]
	v_mov_b32_e32 v13, v12
	s_xor_b64 s[22:23], s[22:23], s[14:15]
	s_delay_alu instid0(SALU_CYCLE_1)
	s_cvt_f32_u32 s1, s22
	s_cvt_f32_u32 s15, s23
	s_sub_nc_u64 s[28:29], 0, s[22:23]
	v_add_nc_u64_e32 v[14:15], v[10:11], v[12:13]
	v_mov_b32_e32 v21, v6
	s_fmamk_f32 s1, s15, 0x4f800000, s1
	s_delay_alu instid0(SALU_CYCLE_3) | instskip(NEXT) | instid1(VALU_DEP_2)
	v_s_rcp_f32 s1, s1
	v_xor_b32_e32 v16, v14, v12
	s_delay_alu instid0(VALU_DEP_3) | instskip(SKIP_1) | instid1(TRANS32_DEP_1)
	v_dual_mov_b32 v25, v6 :: v_dual_bitop2_b32 v20, v15, v12 bitop3:0x14
	v_xor_b32_e32 v12, s14, v12
	s_mul_f32 s1, s1, 0x5f7ffffc
	s_delay_alu instid0(SALU_CYCLE_3) | instskip(NEXT) | instid1(SALU_CYCLE_3)
	s_mul_f32 s15, s1, 0x2f800000
	s_trunc_f32 s15, s15
	s_delay_alu instid0(SALU_CYCLE_3) | instskip(SKIP_1) | instid1(SALU_CYCLE_2)
	s_fmamk_f32 s1, s15, 0xcf800000, s1
	s_cvt_u32_f32 s27, s15
	s_cvt_u32_f32 s26, s1
	s_delay_alu instid0(SALU_CYCLE_3) | instskip(NEXT) | instid1(SALU_CYCLE_1)
	s_mul_u64 s[30:31], s[28:29], s[26:27]
	s_mul_hi_u32 s35, s26, s31
	s_mul_i32 s34, s26, s31
	s_mul_hi_u32 s20, s26, s30
	s_mul_i32 s15, s27, s30
	s_add_nc_u64 s[34:35], s[20:21], s[34:35]
	s_mul_hi_u32 s1, s27, s30
	s_mul_hi_u32 s36, s27, s31
	s_add_co_u32 s15, s34, s15
	s_add_co_ci_u32 s20, s35, s1
	s_mul_i32 s30, s27, s31
	s_add_co_ci_u32 s31, s36, 0
	s_delay_alu instid0(SALU_CYCLE_1) | instskip(NEXT) | instid1(SALU_CYCLE_1)
	s_add_nc_u64 s[30:31], s[20:21], s[30:31]
	s_add_co_u32 s26, s26, s30
	s_cselect_b32 s1, -1, 0
	s_delay_alu instid0(SALU_CYCLE_1) | instskip(SKIP_1) | instid1(SALU_CYCLE_1)
	s_cmp_lg_u32 s1, 0
	s_add_co_ci_u32 s27, s27, s31
	s_mul_u64 s[28:29], s[28:29], s[26:27]
	s_delay_alu instid0(SALU_CYCLE_1)
	s_mul_hi_u32 s31, s26, s29
	s_mul_i32 s30, s26, s29
	s_mul_hi_u32 s20, s26, s28
	s_mul_i32 s15, s27, s28
	s_add_nc_u64 s[30:31], s[20:21], s[30:31]
	s_mul_hi_u32 s1, s27, s28
	s_mul_hi_u32 s34, s27, s29
	s_add_co_u32 s15, s30, s15
	s_add_co_ci_u32 s20, s31, s1
	s_mul_i32 s28, s27, s29
	s_add_co_ci_u32 s29, s34, 0
	s_delay_alu instid0(SALU_CYCLE_1) | instskip(NEXT) | instid1(SALU_CYCLE_1)
	s_add_nc_u64 s[28:29], s[20:21], s[28:29]
	s_add_co_u32 s26, s26, s28
	s_cselect_b32 s1, -1, 0
	v_mul_hi_u32 v24, v16, s26
	s_cmp_lg_u32 s1, 0
	s_add_co_ci_u32 s20, s27, s29
	s_and_b64 s[28:29], s[26:27], s[4:5]
	v_mul_u64_e32 v[18:19], s[20:21], v[16:17]
	v_mul_u64_e32 v[14:15], s[28:29], v[20:21]
	;; [unrolled: 1-line block ×3, first 2 shown]
	s_delay_alu instid0(VALU_DEP_3) | instskip(NEXT) | instid1(VALU_DEP_1)
	v_add_nc_u64_e32 v[18:19], v[24:25], v[18:19]
	v_add_co_u32 v7, vcc_lo, v18, v14
	s_delay_alu instid0(VALU_DEP_2) | instskip(NEXT) | instid1(VALU_DEP_4)
	v_add_co_ci_u32_e32 v24, vcc_lo, v19, v15, vcc_lo
	v_add_co_ci_u32_e32 v23, vcc_lo, 0, v23, vcc_lo
	s_delay_alu instid0(VALU_DEP_1) | instskip(NEXT) | instid1(VALU_DEP_1)
	v_add_nc_u64_e32 v[14:15], v[24:25], v[22:23]
	v_mul_u64_e32 v[18:19], s[22:23], v[14:15]
	s_delay_alu instid0(VALU_DEP_1) | instskip(NEXT) | instid1(VALU_DEP_2)
	v_sub_nc_u32_e32 v7, v20, v19
	v_sub_co_u32 v13, vcc_lo, v16, v18
	s_delay_alu instid0(VALU_DEP_1) | instskip(NEXT) | instid1(VALU_DEP_3)
	v_sub_co_ci_u32_e64 v20, null, v20, v19, vcc_lo
	v_subrev_co_ci_u32_e64 v7, null, s23, v7, vcc_lo
	s_delay_alu instid0(VALU_DEP_3) | instskip(SKIP_1) | instid1(VALU_DEP_3)
	v_sub_co_u32 v16, s1, v13, s22
	v_add_nc_u64_e32 v[18:19], 1, v[14:15]
	v_subrev_co_ci_u32_e64 v7, null, 0, v7, s1
	s_delay_alu instid0(VALU_DEP_3) | instskip(SKIP_1) | instid1(VALU_DEP_3)
	v_cmp_le_u32_e32 vcc_lo, s22, v16
	v_cndmask_b32_e64 v16, 0, -1, vcc_lo
	v_cmp_le_u32_e32 vcc_lo, s23, v7
	v_cndmask_b32_e64 v17, 0, -1, vcc_lo
	;; [unrolled: 2-line block ×4, first 2 shown]
	v_cmp_eq_u32_e32 vcc_lo, s23, v7
	v_cndmask_b32_e32 v7, v17, v16, vcc_lo
	v_cmp_eq_u32_e32 vcc_lo, s23, v20
	v_add_nc_u64_e32 v[16:17], 2, v[14:15]
	v_cndmask_b32_e32 v13, v21, v13, vcc_lo
	s_delay_alu instid0(VALU_DEP_4) | instskip(NEXT) | instid1(VALU_DEP_2)
	v_cmp_ne_u32_e32 vcc_lo, 0, v7
	v_cmp_ne_u32_e64 s1, 0, v13
	s_delay_alu instid0(VALU_DEP_4) | instskip(NEXT) | instid1(VALU_DEP_1)
	v_dual_cndmask_b32 v7, v19, v17, vcc_lo :: v_dual_cndmask_b32 v13, v18, v16, vcc_lo
	v_dual_cndmask_b32 v14, v14, v13, s1 :: v_dual_mov_b32 v13, v12
	s_delay_alu instid0(VALU_DEP_1) | instskip(NEXT) | instid1(VALU_DEP_1)
	v_dual_cndmask_b32 v7, v15, v7, s1 :: v_dual_bitop2_b32 v14, v14, v12 bitop3:0x14
	v_xor_b32_e32 v15, v7, v12
	s_delay_alu instid0(VALU_DEP_1)
	v_sub_nc_u64_e32 v[12:13], v[14:15], v[12:13]
.LBB59_123:                             ;   in Loop: Header=BB59_121 Depth=1
	s_and_not1_saveexec_b32 s1, s25
	s_cbranch_execz .LBB59_120
; %bb.124:                              ;   in Loop: Header=BB59_121 Depth=1
	v_cvt_f32_u32_e32 v7, s12
	s_sub_co_i32 s14, 0, s12
	s_delay_alu instid0(VALU_DEP_1) | instskip(SKIP_1) | instid1(TRANS32_DEP_1)
	v_rcp_iflag_f32_e32 v7, v7
	v_nop
	v_mul_f32_e32 v7, 0x4f7ffffe, v7
	s_delay_alu instid0(VALU_DEP_1) | instskip(NEXT) | instid1(VALU_DEP_1)
	v_cvt_u32_f32_e32 v7, v7
	v_mul_lo_u32 v12, s14, v7
	s_delay_alu instid0(VALU_DEP_1) | instskip(NEXT) | instid1(VALU_DEP_1)
	v_mul_hi_u32 v12, v7, v12
	v_add_nc_u32_e32 v7, v7, v12
	s_delay_alu instid0(VALU_DEP_1) | instskip(NEXT) | instid1(VALU_DEP_1)
	v_mul_hi_u32 v7, v10, v7
	v_mul_lo_u32 v12, v7, s12
	s_delay_alu instid0(VALU_DEP_1) | instskip(NEXT) | instid1(VALU_DEP_1)
	v_dual_add_nc_u32 v13, 1, v7 :: v_dual_sub_nc_u32 v12, v10, v12
	v_subrev_nc_u32_e32 v14, s12, v12
	v_cmp_le_u32_e32 vcc_lo, s12, v12
	s_delay_alu instid0(VALU_DEP_2) | instskip(NEXT) | instid1(VALU_DEP_1)
	v_dual_cndmask_b32 v12, v12, v14 :: v_dual_cndmask_b32 v7, v7, v13
	v_cmp_le_u32_e32 vcc_lo, s12, v12
	s_delay_alu instid0(VALU_DEP_2) | instskip(NEXT) | instid1(VALU_DEP_1)
	v_add_nc_u32_e32 v13, 1, v7
	v_dual_cndmask_b32 v12, v7, v13 :: v_dual_mov_b32 v13, v6
	s_branch .LBB59_120
.LBB59_125:
	s_wait_loadcnt 0x1
	v_mov_b64_e32 v[2:3], 0
	v_dual_mov_b32 v0, v1 :: v_dual_bitop2_b32 v4, s2, v0 bitop3:0x54
	global_store_b64 v4, v[2:3], s[18:19] scale_offset
	s_wait_xcnt 0x0
	s_or_b32 exec_lo, exec_lo, s0
	s_delay_alu instid0(SALU_CYCLE_1)
	s_mov_b32 s0, exec_lo
	v_cmpx_gt_i32_e64 s11, v0
	s_cbranch_execz .LBB59_102
.LBB59_126:
	s_wait_loadcnt 0x1
	v_mov_b64_e32 v[2:3], 0
	v_add_nc_u32_e32 v1, s2, v0
	v_add_nc_u32_e32 v0, 0x100, v0
	global_store_b64 v1, v[2:3], s[18:19] scale_offset
	s_wait_xcnt 0x0
	s_or_b32 exec_lo, exec_lo, s0
	s_delay_alu instid0(SALU_CYCLE_1)
	s_mov_b32 s0, exec_lo
	v_cmpx_gt_i32_e64 s11, v0
	s_cbranch_execz .LBB59_103
.LBB59_127:
	s_wait_loadcnt 0x1
	v_mov_b64_e32 v[2:3], 0
	v_add_nc_u32_e32 v1, s2, v0
	v_add_nc_u32_e32 v0, 0x100, v0
	global_store_b64 v1, v[2:3], s[18:19] scale_offset
	s_wait_xcnt 0x0
	s_or_b32 exec_lo, exec_lo, s0
	s_delay_alu instid0(SALU_CYCLE_1)
	s_mov_b32 s0, exec_lo
	v_cmpx_gt_i32_e64 s11, v0
	s_cbranch_execnz .LBB59_104
	s_branch .LBB59_105
.LBB59_128:
	s_mov_b32 s4, s42
	s_mov_b32 s1, exec_lo
	s_wait_loadcnt 0x1
	v_cmpx_gt_i64_e64 v[2:3], v[4:5]
	s_cbranch_execz .LBB59_139
; %bb.129:
	s_wait_loadcnt 0x0
	s_delay_alu instid0(VALU_DEP_2) | instskip(SKIP_2) | instid1(VALU_DEP_1)
	v_lshlrev_b64_e32 v[6:7], 3, v[8:9]
	s_mov_b32 s4, 0
	s_xor_b32 s6, s38, -1
                                        ; implicit-def: $sgpr5
                                        ; implicit-def: $sgpr8
                                        ; implicit-def: $sgpr7
	v_lshl_add_u64 v[4:5], v[4:5], 3, v[6:7]
	v_add_nc_u64_e32 v[6:7], s[16:17], v[6:7]
	s_delay_alu instid0(VALU_DEP_2) | instskip(NEXT) | instid1(VALU_DEP_2)
	v_add_nc_u64_e32 v[4:5], s[16:17], v[4:5]
	v_lshl_add_u64 v[2:3], v[2:3], 3, v[6:7]
	s_delay_alu instid0(VALU_DEP_2)
	v_add_nc_u64_e32 v[4:5], 8, v[4:5]
	s_branch .LBB59_131
.LBB59_130:                             ;   in Loop: Header=BB59_131 Depth=1
	s_or_b32 exec_lo, exec_lo, s9
	s_xor_b32 s9, s7, -1
	s_and_b32 s10, exec_lo, s8
	s_delay_alu instid0(SALU_CYCLE_1) | instskip(SKIP_2) | instid1(SALU_CYCLE_1)
	s_or_b32 s4, s10, s4
	s_and_not1_b32 s5, s5, exec_lo
	s_and_b32 s9, s9, exec_lo
	s_or_b32 s5, s5, s9
	s_and_not1_b32 exec_lo, exec_lo, s4
	s_cbranch_execz .LBB59_138
.LBB59_131:                             ; =>This Inner Loop Header: Depth=1
	s_or_b32 s7, s7, exec_lo
	s_or_b32 s8, s8, exec_lo
	s_mov_b32 s9, exec_lo
	s_delay_alu instid0(VALU_DEP_1)
	v_cmpx_lt_u64_e64 v[4:5], v[2:3]
	s_cbranch_execz .LBB59_130
; %bb.132:                              ;   in Loop: Header=BB59_131 Depth=1
	global_load_b128 v[6:9], v[4:5], off offset:-8
	s_wait_xcnt 0x0
	v_add_nc_u64_e32 v[4:5], 8, v[4:5]
	s_and_not1_b32 s8, s8, exec_lo
	s_and_not1_b32 s7, s7, exec_lo
	s_wait_loadcnt 0x0
	v_cmp_ge_i64_e32 vcc_lo, v[6:7], v[8:9]
	s_or_b32 s10, s6, vcc_lo
	s_delay_alu instid0(SALU_CYCLE_1) | instskip(NEXT) | instid1(SALU_CYCLE_1)
	s_and_b32 s10, s10, exec_lo
	s_or_b32 s8, s8, s10
	s_branch .LBB59_130
.LBB59_133:
	s_mov_b32 s23, -1
	s_mov_b32 s21, 0
	s_mov_b32 s1, exec_lo
	v_cmpx_gt_i64_e64 v[32:33], v[34:35]
	s_cbranch_execz .LBB59_156
; %bb.134:
	s_delay_alu instid0(VALU_DEP_2) | instskip(SKIP_1) | instid1(VALU_DEP_1)
	v_lshlrev_b64_e32 v[36:37], 3, v[36:37]
	s_xor_b32 s23, s38, -1
                                        ; implicit-def: $sgpr22
                                        ; implicit-def: $sgpr25
                                        ; implicit-def: $sgpr24
	v_lshl_add_u64 v[34:35], v[34:35], 3, v[36:37]
	v_add_nc_u64_e32 v[36:37], s[16:17], v[36:37]
	s_delay_alu instid0(VALU_DEP_2) | instskip(NEXT) | instid1(VALU_DEP_2)
	v_add_nc_u64_e32 v[34:35], s[16:17], v[34:35]
	v_lshl_add_u64 v[32:33], v[32:33], 3, v[36:37]
	s_delay_alu instid0(VALU_DEP_2)
	v_add_nc_u64_e32 v[34:35], 8, v[34:35]
	s_branch .LBB59_136
.LBB59_135:                             ;   in Loop: Header=BB59_136 Depth=1
	s_or_b32 exec_lo, exec_lo, s26
	s_delay_alu instid0(SALU_CYCLE_1) | instskip(NEXT) | instid1(SALU_CYCLE_1)
	s_and_b32 s26, exec_lo, s25
	s_or_b32 s21, s26, s21
	s_and_not1_b32 s22, s22, exec_lo
	s_and_b32 s26, s24, exec_lo
	s_delay_alu instid0(SALU_CYCLE_1)
	s_or_b32 s22, s22, s26
	s_and_not1_b32 exec_lo, exec_lo, s21
	s_cbranch_execz .LBB59_155
.LBB59_136:                             ; =>This Inner Loop Header: Depth=1
	s_or_b32 s24, s24, exec_lo
	s_or_b32 s25, s25, exec_lo
	s_mov_b32 s26, exec_lo
	s_delay_alu instid0(VALU_DEP_1)
	v_cmpx_lt_u64_e64 v[34:35], v[32:33]
	s_cbranch_execz .LBB59_135
; %bb.137:                              ;   in Loop: Header=BB59_136 Depth=1
	global_load_b128 v[36:39], v[34:35], off offset:-8
	s_wait_xcnt 0x0
	v_add_nc_u64_e32 v[34:35], 8, v[34:35]
	s_and_not1_b32 s25, s25, exec_lo
	s_and_not1_b32 s24, s24, exec_lo
	s_wait_loadcnt 0x0
	v_cmp_ge_i64_e32 vcc_lo, v[36:37], v[38:39]
	s_or_b32 s27, s23, vcc_lo
	s_delay_alu instid0(SALU_CYCLE_1) | instskip(NEXT) | instid1(SALU_CYCLE_1)
	s_and_b32 s27, s27, exec_lo
	s_or_b32 s25, s25, s27
	s_branch .LBB59_135
.LBB59_138:
	s_or_b32 exec_lo, exec_lo, s4
	s_delay_alu instid0(SALU_CYCLE_1) | instskip(SKIP_1) | instid1(SALU_CYCLE_1)
	s_and_not1_b32 s4, s42, exec_lo
	s_and_b32 s5, s5, exec_lo
	s_or_b32 s4, s4, s5
.LBB59_139:
	s_or_b32 exec_lo, exec_lo, s1
	s_delay_alu instid0(SALU_CYCLE_1)
	s_and_not1_b32 s1, s42, exec_lo
	s_and_b32 s4, s4, exec_lo
	s_or_b32 s33, s33, exec_lo
	s_or_b32 s42, s1, s4
	s_or_b32 exec_lo, exec_lo, s24
	s_and_saveexec_b32 s1, s42
	s_cbranch_execz .LBB59_96
.LBB59_140:
	s_and_not1_b32 s33, s33, exec_lo
	s_or_b32 s3, s3, exec_lo
	s_trap 2
	s_or_b32 exec_lo, exec_lo, s1
	s_and_saveexec_b32 s1, s3
	s_cbranch_execnz .LBB59_98
	s_branch .LBB59_99
.LBB59_141:
	s_wait_loadcnt 0x2
	v_sub_nc_u64_e32 v[2:3], v[4:5], v[8:9]
	s_and_not1_b32 s37, s37, exec_lo
	s_mov_b32 s38, exec_lo
	s_delay_alu instid0(VALU_DEP_1) | instskip(SKIP_2) | instid1(SALU_CYCLE_1)
	v_cmp_gt_i64_e32 vcc_lo, s[4:5], v[2:3]
	v_cmp_lt_i64_e64 s0, s[6:7], v[2:3]
	s_or_b32 s0, vcc_lo, s0
	s_and_b32 s0, s0, exec_lo
	s_delay_alu instid0(SALU_CYCLE_1)
	s_or_b32 s37, s37, s0
	s_or_b32 exec_lo, exec_lo, s39
	s_and_saveexec_b32 s0, s37
	s_cbranch_execz .LBB59_69
.LBB59_142:
	s_or_b32 s3, s3, exec_lo
	s_and_not1_b32 s38, s38, exec_lo
	s_trap 2
	s_or_b32 exec_lo, exec_lo, s0
	s_mov_b32 s0, 0
	s_and_saveexec_b32 s53, s38
	s_cbranch_execz .LBB59_70
.LBB59_143:
	s_wait_loadcnt 0x2
	v_mov_b64_e32 v[2:3], 0
	s_and_not1_b32 vcc_lo, exec_lo, s52
	s_cbranch_vccnz .LBB59_150
; %bb.144:
	s_wait_loadcnt 0x0
	v_mul_u64_e32 v[10:11], s[8:9], v[12:13]
	v_mov_b64_e32 v[2:3], 0
	s_mov_b32 s37, 0
	v_mov_b32_e32 v6, 0
	s_lshl_b64 s[42:43], s[36:37], 3
	s_mov_b64 s[38:39], 0xffffffff
	s_add_nc_u64 s[40:41], s[12:13], s[42:43]
	s_add_nc_u64 s[42:43], s[14:15], s[42:43]
	s_branch .LBB59_146
.LBB59_145:                             ;   in Loop: Header=BB59_146 Depth=1
	s_or_b32 exec_lo, exec_lo, s0
	s_delay_alu instid0(VALU_DEP_1)
	v_mul_u64_e32 v[14:15], s[44:45], v[12:13]
	s_load_b64 s[44:45], s[42:43], 0x0
	s_add_co_i32 s55, s55, -1
	s_add_nc_u64 s[40:41], s[40:41], -8
	s_cmp_lg_u32 s55, 0
	s_wait_xcnt 0x0
	s_add_nc_u64 s[42:43], s[42:43], -8
	s_delay_alu instid0(VALU_DEP_1) | instskip(SKIP_1) | instid1(VALU_DEP_1)
	v_sub_nc_u64_e32 v[10:11], v[10:11], v[14:15]
	s_wait_kmcnt 0x0
	v_mad_nc_u64_u32 v[2:3], v10, s44, v[2:3]
	s_delay_alu instid0(VALU_DEP_1) | instskip(NEXT) | instid1(VALU_DEP_1)
	v_mad_u32 v1, v11, s44, v3
	v_mad_u32 v3, v10, s45, v1
	v_mov_b64_e32 v[10:11], v[12:13]
	s_cbranch_scc0 .LBB59_150
.LBB59_146:                             ; =>This Inner Loop Header: Depth=1
	s_load_b64 s[44:45], s[40:41], 0x0
                                        ; implicit-def: $vgpr12_vgpr13
	s_mov_b32 s0, exec_lo
	s_wait_kmcnt 0x0
	s_delay_alu instid0(VALU_DEP_1) | instskip(NEXT) | instid1(VALU_DEP_1)
	v_or_b32_e32 v7, s45, v11
	v_cmpx_ne_u64_e32 0, v[6:7]
	s_xor_b32 s52, exec_lo, s0
	s_cbranch_execz .LBB59_148
; %bb.147:                              ;   in Loop: Header=BB59_146 Depth=1
	s_ashr_i32 s46, s45, 31
	v_dual_mov_b32 v17, v6 :: v_dual_ashrrev_i32 v12, 31, v11
	s_mov_b32 s47, s46
	s_delay_alu instid0(SALU_CYCLE_1) | instskip(NEXT) | instid1(VALU_DEP_1)
	s_add_nc_u64 s[48:49], s[44:45], s[46:47]
	v_mov_b32_e32 v13, v12
	s_xor_b64 s[48:49], s[48:49], s[46:47]
	s_delay_alu instid0(SALU_CYCLE_1)
	s_cvt_f32_u32 s0, s48
	s_cvt_f32_u32 s36, s49
	s_sub_nc_u64 s[58:59], 0, s[48:49]
	v_add_nc_u64_e32 v[14:15], v[10:11], v[12:13]
	v_mov_b32_e32 v21, v6
	s_fmamk_f32 s0, s36, 0x4f800000, s0
	s_delay_alu instid0(SALU_CYCLE_3) | instskip(NEXT) | instid1(VALU_DEP_2)
	v_s_rcp_f32 s0, s0
	v_xor_b32_e32 v16, v14, v12
	s_delay_alu instid0(VALU_DEP_3) | instskip(NEXT) | instid1(TRANS32_DEP_1)
	v_dual_mov_b32 v25, v6 :: v_dual_bitop2_b32 v20, v15, v12 bitop3:0x14
	s_mul_f32 s0, s0, 0x5f7ffffc
	s_delay_alu instid0(SALU_CYCLE_3) | instskip(NEXT) | instid1(SALU_CYCLE_3)
	s_mul_f32 s36, s0, 0x2f800000
	s_trunc_f32 s36, s36
	s_delay_alu instid0(SALU_CYCLE_3) | instskip(SKIP_1) | instid1(SALU_CYCLE_2)
	s_fmamk_f32 s0, s36, 0xcf800000, s0
	s_cvt_u32_f32 s57, s36
	s_cvt_u32_f32 s56, s0
	s_delay_alu instid0(SALU_CYCLE_3) | instskip(NEXT) | instid1(SALU_CYCLE_1)
	s_mul_u64 s[60:61], s[58:59], s[56:57]
	s_mul_hi_u32 s63, s56, s61
	s_mul_i32 s62, s56, s61
	s_mul_hi_u32 s36, s56, s60
	s_mul_i32 s47, s57, s60
	s_add_nc_u64 s[62:63], s[36:37], s[62:63]
	s_mul_hi_u32 s0, s57, s60
	s_mul_hi_u32 s64, s57, s61
	s_add_co_u32 s36, s62, s47
	s_add_co_ci_u32 s36, s63, s0
	s_mul_i32 s60, s57, s61
	s_add_co_ci_u32 s61, s64, 0
	s_delay_alu instid0(SALU_CYCLE_1) | instskip(NEXT) | instid1(SALU_CYCLE_1)
	s_add_nc_u64 s[60:61], s[36:37], s[60:61]
	s_add_co_u32 s56, s56, s60
	s_cselect_b32 s0, -1, 0
	s_delay_alu instid0(SALU_CYCLE_1) | instskip(SKIP_1) | instid1(SALU_CYCLE_1)
	s_cmp_lg_u32 s0, 0
	s_add_co_ci_u32 s57, s57, s61
	s_mul_u64 s[58:59], s[58:59], s[56:57]
	s_delay_alu instid0(SALU_CYCLE_1)
	s_mul_hi_u32 s61, s56, s59
	s_mul_i32 s60, s56, s59
	s_mul_hi_u32 s36, s56, s58
	s_mul_i32 s47, s57, s58
	s_add_nc_u64 s[60:61], s[36:37], s[60:61]
	s_mul_hi_u32 s0, s57, s58
	s_mul_hi_u32 s62, s57, s59
	s_add_co_u32 s36, s60, s47
	s_add_co_ci_u32 s36, s61, s0
	s_mul_i32 s58, s57, s59
	s_add_co_ci_u32 s59, s62, 0
	s_delay_alu instid0(SALU_CYCLE_1) | instskip(NEXT) | instid1(SALU_CYCLE_1)
	s_add_nc_u64 s[58:59], s[36:37], s[58:59]
	s_add_co_u32 s0, s56, s58
	s_cselect_b32 s36, -1, 0
	v_mul_hi_u32 v24, v16, s0
	s_cmp_lg_u32 s36, 0
	s_add_co_ci_u32 s36, s57, s59
	s_and_b64 s[56:57], s[0:1], s[38:39]
	v_mul_u64_e32 v[18:19], s[36:37], v[16:17]
	v_mul_u64_e32 v[14:15], s[56:57], v[20:21]
	;; [unrolled: 1-line block ×3, first 2 shown]
	s_delay_alu instid0(VALU_DEP_3) | instskip(NEXT) | instid1(VALU_DEP_1)
	v_add_nc_u64_e32 v[18:19], v[24:25], v[18:19]
	v_add_co_u32 v1, vcc_lo, v18, v14
	s_delay_alu instid0(VALU_DEP_2) | instskip(NEXT) | instid1(VALU_DEP_4)
	v_add_co_ci_u32_e32 v24, vcc_lo, v19, v15, vcc_lo
	v_add_co_ci_u32_e32 v23, vcc_lo, 0, v23, vcc_lo
	s_delay_alu instid0(VALU_DEP_1) | instskip(NEXT) | instid1(VALU_DEP_1)
	v_add_nc_u64_e32 v[14:15], v[24:25], v[22:23]
	v_mul_u64_e32 v[18:19], s[48:49], v[14:15]
	s_delay_alu instid0(VALU_DEP_1) | instskip(NEXT) | instid1(VALU_DEP_2)
	v_sub_nc_u32_e32 v1, v20, v19
	v_sub_co_u32 v7, vcc_lo, v16, v18
	s_delay_alu instid0(VALU_DEP_1) | instskip(NEXT) | instid1(VALU_DEP_3)
	v_sub_co_ci_u32_e64 v20, null, v20, v19, vcc_lo
	v_subrev_co_ci_u32_e64 v1, null, s49, v1, vcc_lo
	s_delay_alu instid0(VALU_DEP_3) | instskip(SKIP_1) | instid1(VALU_DEP_3)
	v_sub_co_u32 v13, s0, v7, s48
	v_add_nc_u64_e32 v[18:19], 1, v[14:15]
	v_subrev_co_ci_u32_e64 v1, null, 0, v1, s0
	s_delay_alu instid0(VALU_DEP_3) | instskip(SKIP_1) | instid1(VALU_DEP_3)
	v_cmp_le_u32_e32 vcc_lo, s48, v13
	v_cndmask_b32_e64 v13, 0, -1, vcc_lo
	v_cmp_le_u32_e32 vcc_lo, s49, v1
	v_cndmask_b32_e64 v16, 0, -1, vcc_lo
	;; [unrolled: 2-line block ×4, first 2 shown]
	v_cmp_eq_u32_e32 vcc_lo, s49, v1
	v_cndmask_b32_e32 v1, v16, v13, vcc_lo
	v_cmp_eq_u32_e32 vcc_lo, s49, v20
	v_add_nc_u64_e32 v[16:17], 2, v[14:15]
	v_cndmask_b32_e32 v7, v21, v7, vcc_lo
	s_delay_alu instid0(VALU_DEP_4) | instskip(NEXT) | instid1(VALU_DEP_2)
	v_cmp_ne_u32_e32 vcc_lo, 0, v1
	v_cmp_ne_u32_e64 s0, 0, v7
	s_delay_alu instid0(VALU_DEP_4) | instskip(NEXT) | instid1(VALU_DEP_1)
	v_dual_cndmask_b32 v1, v19, v17, vcc_lo :: v_dual_cndmask_b32 v7, v18, v16, vcc_lo
	v_dual_cndmask_b32 v1, v15, v1, s0 :: v_dual_bitop2_b32 v12, s46, v12 bitop3:0x14
	s_delay_alu instid0(VALU_DEP_1) | instskip(NEXT) | instid1(VALU_DEP_2)
	v_dual_cndmask_b32 v7, v14, v7, s0 :: v_dual_mov_b32 v13, v12
	v_xor_b32_e32 v15, v1, v12
	s_delay_alu instid0(VALU_DEP_2) | instskip(NEXT) | instid1(VALU_DEP_1)
	v_xor_b32_e32 v14, v7, v12
	v_sub_nc_u64_e32 v[12:13], v[14:15], v[12:13]
.LBB59_148:                             ;   in Loop: Header=BB59_146 Depth=1
	s_and_not1_saveexec_b32 s0, s52
	s_cbranch_execz .LBB59_145
; %bb.149:                              ;   in Loop: Header=BB59_146 Depth=1
	v_cvt_f32_u32_e32 v1, s44
	s_sub_co_i32 s36, 0, s44
	s_delay_alu instid0(VALU_DEP_1) | instskip(SKIP_1) | instid1(TRANS32_DEP_1)
	v_rcp_iflag_f32_e32 v1, v1
	v_nop
	v_mul_f32_e32 v1, 0x4f7ffffe, v1
	s_delay_alu instid0(VALU_DEP_1) | instskip(NEXT) | instid1(VALU_DEP_1)
	v_cvt_u32_f32_e32 v1, v1
	v_mul_lo_u32 v7, s36, v1
	s_delay_alu instid0(VALU_DEP_1) | instskip(NEXT) | instid1(VALU_DEP_1)
	v_mul_hi_u32 v7, v1, v7
	v_add_nc_u32_e32 v1, v1, v7
	s_delay_alu instid0(VALU_DEP_1) | instskip(NEXT) | instid1(VALU_DEP_1)
	v_mul_hi_u32 v1, v10, v1
	v_mul_lo_u32 v7, v1, s44
	s_delay_alu instid0(VALU_DEP_1) | instskip(NEXT) | instid1(VALU_DEP_1)
	v_dual_add_nc_u32 v12, 1, v1 :: v_dual_sub_nc_u32 v7, v10, v7
	v_subrev_nc_u32_e32 v13, s44, v7
	v_cmp_le_u32_e32 vcc_lo, s44, v7
	s_delay_alu instid0(VALU_DEP_2) | instskip(NEXT) | instid1(VALU_DEP_4)
	v_dual_cndmask_b32 v7, v7, v13, vcc_lo :: v_dual_mov_b32 v13, v6
	v_cndmask_b32_e32 v1, v1, v12, vcc_lo
	s_delay_alu instid0(VALU_DEP_2) | instskip(NEXT) | instid1(VALU_DEP_2)
	v_cmp_le_u32_e32 vcc_lo, s44, v7
	v_add_nc_u32_e32 v12, 1, v1
	s_delay_alu instid0(VALU_DEP_1)
	v_cndmask_b32_e32 v12, v1, v12, vcc_lo
	s_branch .LBB59_145
.LBB59_150:
	s_mov_b32 s36, s54
	s_mov_b32 s0, exec_lo
	v_cmpx_gt_i64_e64 v[4:5], v[8:9]
	s_cbranch_execz .LBB59_177
; %bb.151:
	s_delay_alu instid0(VALU_DEP_2) | instskip(SKIP_2) | instid1(VALU_DEP_1)
	v_lshlrev_b64_e32 v[2:3], 3, v[2:3]
	s_mov_b32 s36, 0
	s_xor_b32 s38, s51, -1
                                        ; implicit-def: $sgpr37
                                        ; implicit-def: $sgpr40
                                        ; implicit-def: $sgpr39
	v_lshl_add_u64 v[6:7], v[8:9], 3, v[2:3]
	v_add_nc_u64_e32 v[8:9], s[16:17], v[2:3]
	s_delay_alu instid0(VALU_DEP_2) | instskip(NEXT) | instid1(VALU_DEP_2)
	v_add_nc_u64_e32 v[6:7], s[16:17], v[6:7]
	v_lshl_add_u64 v[4:5], v[4:5], 3, v[8:9]
	s_delay_alu instid0(VALU_DEP_2)
	v_add_nc_u64_e32 v[2:3], 8, v[6:7]
	s_branch .LBB59_153
.LBB59_152:                             ;   in Loop: Header=BB59_153 Depth=1
	s_or_b32 exec_lo, exec_lo, s41
	s_xor_b32 s41, s39, -1
	s_and_b32 s42, exec_lo, s40
	s_delay_alu instid0(SALU_CYCLE_1) | instskip(SKIP_2) | instid1(SALU_CYCLE_1)
	s_or_b32 s36, s42, s36
	s_and_not1_b32 s37, s37, exec_lo
	s_and_b32 s41, s41, exec_lo
	s_or_b32 s37, s37, s41
	s_and_not1_b32 exec_lo, exec_lo, s36
	s_cbranch_execz .LBB59_176
.LBB59_153:                             ; =>This Inner Loop Header: Depth=1
	s_or_b32 s39, s39, exec_lo
	s_or_b32 s40, s40, exec_lo
	s_mov_b32 s41, exec_lo
	s_delay_alu instid0(VALU_DEP_1)
	v_cmpx_lt_u64_e64 v[2:3], v[4:5]
	s_cbranch_execz .LBB59_152
; %bb.154:                              ;   in Loop: Header=BB59_153 Depth=1
	global_load_b128 v[6:9], v[2:3], off offset:-8
	s_wait_xcnt 0x0
	v_add_nc_u64_e32 v[2:3], 8, v[2:3]
	s_and_not1_b32 s40, s40, exec_lo
	s_and_not1_b32 s39, s39, exec_lo
	s_wait_loadcnt 0x0
	v_cmp_ge_i64_e32 vcc_lo, v[6:7], v[8:9]
	s_or_b32 s42, s38, vcc_lo
	s_delay_alu instid0(SALU_CYCLE_1) | instskip(NEXT) | instid1(SALU_CYCLE_1)
	s_and_b32 s42, s42, exec_lo
	s_or_b32 s40, s40, s42
	s_branch .LBB59_152
.LBB59_155:
	s_or_b32 exec_lo, exec_lo, s21
	s_delay_alu instid0(SALU_CYCLE_1)
	s_mov_b32 s21, exec_lo
	s_or_not1_b32 s23, s22, exec_lo
.LBB59_156:
	s_or_b32 exec_lo, exec_lo, s1
	s_delay_alu instid0(SALU_CYCLE_1)
	s_and_b32 s22, s21, exec_lo
	s_xor_b32 s21, exec_lo, -1
	s_and_b32 s1, s23, exec_lo
.LBB59_157:
	s_or_b32 exec_lo, exec_lo, s45
	s_delay_alu instid0(SALU_CYCLE_1)
	s_and_b32 s23, s22, exec_lo
	s_and_b32 s22, s21, exec_lo
	s_xor_b32 s21, exec_lo, -1
	s_and_b32 s1, s1, exec_lo
.LBB59_158:
	s_or_b32 exec_lo, exec_lo, s44
	s_delay_alu instid0(SALU_CYCLE_1)
	s_and_b32 s24, s23, exec_lo
	s_and_b32 s23, s22, exec_lo
	;; [unrolled: 1-line block ×3, first 2 shown]
	s_xor_b32 s21, exec_lo, -1
	s_and_b32 s1, s1, exec_lo
.LBB59_159:
	s_or_b32 exec_lo, exec_lo, s42
	s_delay_alu instid0(SALU_CYCLE_1)
	s_and_b32 s42, s24, exec_lo
	s_and_b32 s44, s23, exec_lo
	;; [unrolled: 1-line block ×4, first 2 shown]
	s_or_not1_b32 s1, s1, exec_lo
	s_or_b32 exec_lo, exec_lo, s33
	s_mov_b32 s33, 0
	s_and_saveexec_b32 s47, s1
	s_cbranch_execz .LBB59_88
.LBB59_160:
	s_mov_b32 s1, -1
	s_mov_b32 s52, 0
	s_mov_b32 s48, s46
	;; [unrolled: 1-line block ×4, first 2 shown]
	s_mov_b32 s51, exec_lo
	v_cmpx_gt_i32_e64 s11, v1
	s_cbranch_execz .LBB59_184
; %bb.161:
	v_cmp_eq_u64_e32 vcc_lo, s[4:5], v[28:29]
	s_mov_b32 s21, -1
	s_mov_b32 s1, 0
	s_mov_b32 s23, s45
	s_mov_b32 s24, s44
	s_mov_b32 s22, 0
	s_and_b32 s25, s43, vcc_lo
	s_delay_alu instid0(SALU_CYCLE_1)
	s_and_saveexec_b32 s33, s25
	s_cbranch_execz .LBB59_183
; %bb.162:
	v_cmp_eq_u64_e32 vcc_lo, s[8:9], v[30:31]
	s_mov_b32 s23, s44
	s_and_b32 s24, s41, vcc_lo
	s_delay_alu instid0(SALU_CYCLE_1)
	s_and_saveexec_b32 s48, s24
	s_cbranch_execz .LBB59_182
; %bb.163:
	v_sub_nc_u64_e32 v[28:29], v[22:23], v[24:25]
	s_delay_alu instid0(VALU_DEP_1)
	v_cmp_le_i64_e32 vcc_lo, s[4:5], v[28:29]
	v_cmp_ge_i64_e64 s1, s[6:7], v[28:29]
	s_and_b32 s22, vcc_lo, s1
	s_mov_b32 s1, 0
	s_and_b32 s23, s40, s22
	s_mov_b32 s22, 0
	s_and_saveexec_b32 s49, s23
	s_cbranch_execz .LBB59_181
; %bb.164:
	v_cmp_lt_i64_e64 s1, s[8:9], 1
	v_mov_b64_e32 v[28:29], 0
	s_xor_b32 s21, s39, -1
	s_delay_alu instid0(SALU_CYCLE_1) | instskip(NEXT) | instid1(SALU_CYCLE_1)
	s_or_b32 s1, s1, s21
	s_and_b32 vcc_lo, exec_lo, s1
	s_cbranch_vccnz .LBB59_171
; %bb.165:
	v_mul_u64_e32 v[30:31], s[8:9], v[26:27]
	s_mov_b32 s23, 0
	v_mov_b64_e32 v[28:29], 0
	s_mov_b32 s21, s23
	v_mov_b32_e32 v26, 0
	s_lshl_b64 s[28:29], s[20:21], 3
	s_mov_b64 s[24:25], 0xffffffff
	s_add_nc_u64 s[26:27], s[12:13], s[28:29]
	s_add_nc_u64 s[28:29], s[14:15], s[28:29]
	s_mov_b32 s21, s10
	s_branch .LBB59_167
.LBB59_166:                             ;   in Loop: Header=BB59_167 Depth=1
	s_or_b32 exec_lo, exec_lo, s1
	s_delay_alu instid0(VALU_DEP_1)
	v_mul_u64_e32 v[34:35], s[30:31], v[32:33]
	s_load_b64 s[30:31], s[28:29], 0x0
	s_add_co_i32 s21, s21, -1
	s_add_nc_u64 s[26:27], s[26:27], -8
	s_cmp_lg_u32 s21, 0
	s_wait_xcnt 0x0
	s_add_nc_u64 s[28:29], s[28:29], -8
	s_delay_alu instid0(VALU_DEP_1) | instskip(SKIP_1) | instid1(VALU_DEP_1)
	v_sub_nc_u64_e32 v[30:31], v[30:31], v[34:35]
	s_wait_kmcnt 0x0
	v_mad_nc_u64_u32 v[28:29], v30, s30, v[28:29]
	s_delay_alu instid0(VALU_DEP_1) | instskip(NEXT) | instid1(VALU_DEP_1)
	v_mad_u32 v27, v31, s30, v29
	v_mad_u32 v29, v30, s31, v27
	v_mov_b64_e32 v[30:31], v[32:33]
	s_cbranch_scc0 .LBB59_171
.LBB59_167:                             ; =>This Inner Loop Header: Depth=1
	s_load_b64 s[30:31], s[26:27], 0x0
                                        ; implicit-def: $vgpr32_vgpr33
	s_mov_b32 s1, exec_lo
	s_wait_kmcnt 0x0
	s_delay_alu instid0(VALU_DEP_1) | instskip(NEXT) | instid1(VALU_DEP_1)
	v_or_b32_e32 v27, s31, v31
	v_cmpx_ne_u64_e32 0, v[26:27]
	s_xor_b32 s50, exec_lo, s1
	s_cbranch_execz .LBB59_169
; %bb.168:                              ;   in Loop: Header=BB59_167 Depth=1
	s_ashr_i32 s34, s31, 31
	v_dual_mov_b32 v37, v26 :: v_dual_ashrrev_i32 v32, 31, v31
	s_mov_b32 s35, s34
	s_delay_alu instid0(SALU_CYCLE_1) | instskip(NEXT) | instid1(VALU_DEP_1)
	s_add_nc_u64 s[36:37], s[30:31], s[34:35]
	v_mov_b32_e32 v33, v32
	s_xor_b64 s[36:37], s[36:37], s[34:35]
	s_delay_alu instid0(SALU_CYCLE_1)
	s_cvt_f32_u32 s1, s36
	s_cvt_f32_u32 s22, s37
	s_sub_nc_u64 s[56:57], 0, s[36:37]
	v_add_nc_u64_e32 v[34:35], v[30:31], v[32:33]
	v_mov_b32_e32 v41, v26
	s_fmamk_f32 s1, s22, 0x4f800000, s1
	s_delay_alu instid0(SALU_CYCLE_3) | instskip(NEXT) | instid1(VALU_DEP_2)
	v_s_rcp_f32 s1, s1
	v_xor_b32_e32 v36, v34, v32
	s_delay_alu instid0(VALU_DEP_3) | instskip(SKIP_1) | instid1(TRANS32_DEP_1)
	v_dual_mov_b32 v45, v26 :: v_dual_bitop2_b32 v40, v35, v32 bitop3:0x14
	v_xor_b32_e32 v32, s34, v32
	s_mul_f32 s1, s1, 0x5f7ffffc
	s_delay_alu instid0(SALU_CYCLE_3) | instskip(NEXT) | instid1(SALU_CYCLE_3)
	s_mul_f32 s22, s1, 0x2f800000
	s_trunc_f32 s22, s22
	s_delay_alu instid0(SALU_CYCLE_3) | instskip(SKIP_1) | instid1(SALU_CYCLE_2)
	s_fmamk_f32 s1, s22, 0xcf800000, s1
	s_cvt_u32_f32 s55, s22
	s_cvt_u32_f32 s54, s1
	s_delay_alu instid0(SALU_CYCLE_3) | instskip(NEXT) | instid1(SALU_CYCLE_1)
	s_mul_u64 s[58:59], s[56:57], s[54:55]
	s_mul_hi_u32 s61, s54, s59
	s_mul_i32 s60, s54, s59
	s_mul_hi_u32 s22, s54, s58
	s_mul_i32 s35, s55, s58
	s_add_nc_u64 s[60:61], s[22:23], s[60:61]
	s_mul_hi_u32 s1, s55, s58
	s_mul_hi_u32 s53, s55, s59
	s_add_co_u32 s22, s60, s35
	s_add_co_ci_u32 s22, s61, s1
	s_mul_i32 s58, s55, s59
	s_add_co_ci_u32 s59, s53, 0
	s_delay_alu instid0(SALU_CYCLE_1) | instskip(NEXT) | instid1(SALU_CYCLE_1)
	s_add_nc_u64 s[58:59], s[22:23], s[58:59]
	s_add_co_u32 s54, s54, s58
	s_cselect_b32 s1, -1, 0
	s_delay_alu instid0(SALU_CYCLE_1) | instskip(SKIP_1) | instid1(SALU_CYCLE_1)
	s_cmp_lg_u32 s1, 0
	s_add_co_ci_u32 s55, s55, s59
	s_mul_u64 s[56:57], s[56:57], s[54:55]
	s_delay_alu instid0(SALU_CYCLE_1)
	s_mul_hi_u32 s59, s54, s57
	s_mul_i32 s58, s54, s57
	s_mul_hi_u32 s22, s54, s56
	s_mul_i32 s35, s55, s56
	s_add_nc_u64 s[58:59], s[22:23], s[58:59]
	s_mul_hi_u32 s1, s55, s56
	s_mul_hi_u32 s53, s55, s57
	s_add_co_u32 s22, s58, s35
	s_add_co_ci_u32 s22, s59, s1
	s_mul_i32 s56, s55, s57
	s_add_co_ci_u32 s57, s53, 0
	s_delay_alu instid0(SALU_CYCLE_1) | instskip(NEXT) | instid1(SALU_CYCLE_1)
	s_add_nc_u64 s[56:57], s[22:23], s[56:57]
	s_add_co_u32 s54, s54, s56
	s_cselect_b32 s1, -1, 0
	v_mul_hi_u32 v44, v36, s54
	s_cmp_lg_u32 s1, 0
	s_add_co_ci_u32 s22, s55, s57
	s_and_b64 s[56:57], s[54:55], s[24:25]
	v_mul_u64_e32 v[38:39], s[22:23], v[36:37]
	v_mul_u64_e32 v[34:35], s[56:57], v[40:41]
	;; [unrolled: 1-line block ×3, first 2 shown]
	s_delay_alu instid0(VALU_DEP_3) | instskip(NEXT) | instid1(VALU_DEP_1)
	v_add_nc_u64_e32 v[38:39], v[44:45], v[38:39]
	v_add_co_u32 v27, vcc_lo, v38, v34
	s_delay_alu instid0(VALU_DEP_2) | instskip(NEXT) | instid1(VALU_DEP_4)
	v_add_co_ci_u32_e32 v44, vcc_lo, v39, v35, vcc_lo
	v_add_co_ci_u32_e32 v43, vcc_lo, 0, v43, vcc_lo
	s_delay_alu instid0(VALU_DEP_1) | instskip(NEXT) | instid1(VALU_DEP_1)
	v_add_nc_u64_e32 v[34:35], v[44:45], v[42:43]
	v_mul_u64_e32 v[38:39], s[36:37], v[34:35]
	s_delay_alu instid0(VALU_DEP_1) | instskip(NEXT) | instid1(VALU_DEP_2)
	v_sub_nc_u32_e32 v27, v40, v39
	v_sub_co_u32 v33, vcc_lo, v36, v38
	s_delay_alu instid0(VALU_DEP_1) | instskip(NEXT) | instid1(VALU_DEP_3)
	v_sub_co_ci_u32_e64 v40, null, v40, v39, vcc_lo
	v_subrev_co_ci_u32_e64 v27, null, s37, v27, vcc_lo
	s_delay_alu instid0(VALU_DEP_3) | instskip(SKIP_1) | instid1(VALU_DEP_3)
	v_sub_co_u32 v36, s1, v33, s36
	v_add_nc_u64_e32 v[38:39], 1, v[34:35]
	v_subrev_co_ci_u32_e64 v27, null, 0, v27, s1
	s_delay_alu instid0(VALU_DEP_3) | instskip(SKIP_1) | instid1(VALU_DEP_3)
	v_cmp_le_u32_e32 vcc_lo, s36, v36
	v_cndmask_b32_e64 v36, 0, -1, vcc_lo
	v_cmp_le_u32_e32 vcc_lo, s37, v27
	v_cndmask_b32_e64 v37, 0, -1, vcc_lo
	;; [unrolled: 2-line block ×4, first 2 shown]
	v_cmp_eq_u32_e32 vcc_lo, s37, v27
	v_cndmask_b32_e32 v27, v37, v36, vcc_lo
	v_cmp_eq_u32_e32 vcc_lo, s37, v40
	v_add_nc_u64_e32 v[36:37], 2, v[34:35]
	v_cndmask_b32_e32 v33, v41, v33, vcc_lo
	s_delay_alu instid0(VALU_DEP_4) | instskip(NEXT) | instid1(VALU_DEP_2)
	v_cmp_ne_u32_e32 vcc_lo, 0, v27
	v_cmp_ne_u32_e64 s1, 0, v33
	s_delay_alu instid0(VALU_DEP_4) | instskip(NEXT) | instid1(VALU_DEP_1)
	v_dual_cndmask_b32 v27, v39, v37, vcc_lo :: v_dual_cndmask_b32 v33, v38, v36, vcc_lo
	v_dual_cndmask_b32 v34, v34, v33, s1 :: v_dual_mov_b32 v33, v32
	s_delay_alu instid0(VALU_DEP_1) | instskip(NEXT) | instid1(VALU_DEP_1)
	v_dual_cndmask_b32 v27, v35, v27, s1 :: v_dual_bitop2_b32 v34, v34, v32 bitop3:0x14
	v_xor_b32_e32 v35, v27, v32
	s_delay_alu instid0(VALU_DEP_1)
	v_sub_nc_u64_e32 v[32:33], v[34:35], v[32:33]
.LBB59_169:                             ;   in Loop: Header=BB59_167 Depth=1
	s_and_not1_saveexec_b32 s1, s50
	s_cbranch_execz .LBB59_166
; %bb.170:                              ;   in Loop: Header=BB59_167 Depth=1
	v_cvt_f32_u32_e32 v27, s30
	s_sub_co_i32 s22, 0, s30
	s_delay_alu instid0(VALU_DEP_1) | instskip(SKIP_1) | instid1(TRANS32_DEP_1)
	v_rcp_iflag_f32_e32 v27, v27
	v_nop
	v_mul_f32_e32 v27, 0x4f7ffffe, v27
	s_delay_alu instid0(VALU_DEP_1) | instskip(NEXT) | instid1(VALU_DEP_1)
	v_cvt_u32_f32_e32 v27, v27
	v_mul_lo_u32 v32, s22, v27
	s_delay_alu instid0(VALU_DEP_1) | instskip(NEXT) | instid1(VALU_DEP_1)
	v_mul_hi_u32 v32, v27, v32
	v_add_nc_u32_e32 v27, v27, v32
	s_delay_alu instid0(VALU_DEP_1) | instskip(NEXT) | instid1(VALU_DEP_1)
	v_mul_hi_u32 v27, v30, v27
	v_mul_lo_u32 v32, v27, s30
	s_delay_alu instid0(VALU_DEP_1) | instskip(NEXT) | instid1(VALU_DEP_1)
	v_dual_add_nc_u32 v33, 1, v27 :: v_dual_sub_nc_u32 v32, v30, v32
	v_subrev_nc_u32_e32 v34, s30, v32
	v_cmp_le_u32_e32 vcc_lo, s30, v32
	s_delay_alu instid0(VALU_DEP_2) | instskip(NEXT) | instid1(VALU_DEP_1)
	v_dual_cndmask_b32 v32, v32, v34 :: v_dual_cndmask_b32 v27, v27, v33
	v_cmp_le_u32_e32 vcc_lo, s30, v32
	s_delay_alu instid0(VALU_DEP_2) | instskip(NEXT) | instid1(VALU_DEP_1)
	v_add_nc_u32_e32 v33, 1, v27
	v_dual_cndmask_b32 v32, v27, v33 :: v_dual_mov_b32 v33, v26
	s_branch .LBB59_166
.LBB59_171:
	s_mov_b32 s23, -1
	s_mov_b32 s21, 0
	s_mov_b32 s1, exec_lo
	v_cmpx_gt_i64_e64 v[22:23], v[24:25]
	s_cbranch_execz .LBB59_180
; %bb.172:
	s_delay_alu instid0(VALU_DEP_2) | instskip(SKIP_1) | instid1(VALU_DEP_1)
	v_lshlrev_b64_e32 v[26:27], 3, v[28:29]
	s_xor_b32 s23, s38, -1
                                        ; implicit-def: $sgpr22
                                        ; implicit-def: $sgpr25
                                        ; implicit-def: $sgpr24
	v_lshl_add_u64 v[24:25], v[24:25], 3, v[26:27]
	v_add_nc_u64_e32 v[26:27], s[16:17], v[26:27]
	s_delay_alu instid0(VALU_DEP_2) | instskip(NEXT) | instid1(VALU_DEP_2)
	v_add_nc_u64_e32 v[24:25], s[16:17], v[24:25]
	v_lshl_add_u64 v[22:23], v[22:23], 3, v[26:27]
	s_delay_alu instid0(VALU_DEP_2)
	v_add_nc_u64_e32 v[24:25], 8, v[24:25]
	s_branch .LBB59_174
.LBB59_173:                             ;   in Loop: Header=BB59_174 Depth=1
	s_or_b32 exec_lo, exec_lo, s26
	s_delay_alu instid0(SALU_CYCLE_1) | instskip(NEXT) | instid1(SALU_CYCLE_1)
	s_and_b32 s26, exec_lo, s25
	s_or_b32 s21, s26, s21
	s_and_not1_b32 s22, s22, exec_lo
	s_and_b32 s26, s24, exec_lo
	s_delay_alu instid0(SALU_CYCLE_1)
	s_or_b32 s22, s22, s26
	s_and_not1_b32 exec_lo, exec_lo, s21
	s_cbranch_execz .LBB59_179
.LBB59_174:                             ; =>This Inner Loop Header: Depth=1
	s_or_b32 s24, s24, exec_lo
	s_or_b32 s25, s25, exec_lo
	s_mov_b32 s26, exec_lo
	s_delay_alu instid0(VALU_DEP_1)
	v_cmpx_lt_u64_e64 v[24:25], v[22:23]
	s_cbranch_execz .LBB59_173
; %bb.175:                              ;   in Loop: Header=BB59_174 Depth=1
	global_load_b128 v[26:29], v[24:25], off offset:-8
	s_wait_xcnt 0x0
	v_add_nc_u64_e32 v[24:25], 8, v[24:25]
	s_and_not1_b32 s25, s25, exec_lo
	s_and_not1_b32 s24, s24, exec_lo
	s_wait_loadcnt 0x0
	v_cmp_ge_i64_e32 vcc_lo, v[26:27], v[28:29]
	s_or_b32 s27, s23, vcc_lo
	s_delay_alu instid0(SALU_CYCLE_1) | instskip(NEXT) | instid1(SALU_CYCLE_1)
	s_and_b32 s27, s27, exec_lo
	s_or_b32 s25, s25, s27
	s_branch .LBB59_173
.LBB59_176:
	s_or_b32 exec_lo, exec_lo, s36
	s_delay_alu instid0(SALU_CYCLE_1) | instskip(SKIP_1) | instid1(SALU_CYCLE_1)
	s_and_not1_b32 s36, s54, exec_lo
	s_and_b32 s37, s37, exec_lo
	s_or_b32 s36, s36, s37
.LBB59_177:
	s_or_b32 exec_lo, exec_lo, s0
	s_delay_alu instid0(SALU_CYCLE_1)
	s_and_not1_b32 s37, s54, exec_lo
	s_and_b32 s36, s36, exec_lo
	s_mov_b32 s0, exec_lo
	s_or_b32 s54, s37, s36
	s_or_b32 exec_lo, exec_lo, s53
	s_and_saveexec_b32 s36, s54
	s_cbranch_execz .LBB59_71
.LBB59_178:
	s_or_b32 s3, s3, exec_lo
	s_and_not1_b32 s0, s0, exec_lo
	s_trap 2
	s_or_b32 exec_lo, exec_lo, s36
	s_and_saveexec_b32 s36, s0
	s_delay_alu instid0(SALU_CYCLE_1)
	s_xor_b32 s0, exec_lo, s36
	s_cbranch_execnz .LBB59_72
	s_branch .LBB59_73
.LBB59_179:
	s_or_b32 exec_lo, exec_lo, s21
	s_delay_alu instid0(SALU_CYCLE_1)
	s_mov_b32 s21, exec_lo
	s_or_not1_b32 s23, s22, exec_lo
.LBB59_180:
	s_or_b32 exec_lo, exec_lo, s1
	s_delay_alu instid0(SALU_CYCLE_1)
	s_and_b32 s22, s21, exec_lo
	s_xor_b32 s21, exec_lo, -1
	s_and_b32 s1, s23, exec_lo
.LBB59_181:
	s_or_b32 exec_lo, exec_lo, s49
	s_delay_alu instid0(SALU_CYCLE_1)
	s_and_not1_b32 s23, s44, exec_lo
	s_and_b32 s21, s21, exec_lo
	s_and_b32 s22, s22, exec_lo
	s_or_b32 s23, s23, s21
	s_xor_b32 s21, exec_lo, -1
	s_and_b32 s1, s1, exec_lo
.LBB59_182:
	s_or_b32 exec_lo, exec_lo, s48
	s_delay_alu instid0(SALU_CYCLE_1)
	s_and_not1_b32 s24, s44, exec_lo
	s_and_b32 s23, s23, exec_lo
	s_and_not1_b32 s25, s45, exec_lo
	s_and_b32 s21, s21, exec_lo
	s_and_b32 s22, s22, exec_lo
	s_or_b32 s24, s24, s23
	s_or_b32 s23, s25, s21
	s_xor_b32 s21, exec_lo, -1
	s_and_b32 s1, s1, exec_lo
.LBB59_183:
	s_or_b32 exec_lo, exec_lo, s33
	s_delay_alu instid0(SALU_CYCLE_1)
	s_and_not1_b32 s25, s44, exec_lo
	s_and_b32 s24, s24, exec_lo
	s_and_b32 s33, s22, exec_lo
	s_or_b32 s49, s25, s24
	s_and_not1_b32 s22, s45, exec_lo
	s_and_b32 s23, s23, exec_lo
	s_and_not1_b32 s24, s46, exec_lo
	s_and_b32 s21, s21, exec_lo
	s_or_b32 s50, s22, s23
	s_or_b32 s48, s24, s21
	s_or_not1_b32 s1, s1, exec_lo
.LBB59_184:
	s_or_b32 exec_lo, exec_lo, s51
	s_mov_b32 s23, 0
	s_and_saveexec_b32 s51, s1
	s_cbranch_execz .LBB59_211
; %bb.185:
	v_or_b32_e32 v22, 0x200, v0
	s_mov_b32 s25, -1
	s_mov_b32 s52, 0
	s_mov_b32 s1, s48
	;; [unrolled: 1-line block ×4, first 2 shown]
	s_mov_b32 s53, exec_lo
	v_cmpx_gt_i32_e64 s11, v22
	s_cbranch_execz .LBB59_206
; %bb.186:
	s_wait_loadcnt 0x4
	v_cmp_eq_u64_e32 vcc_lo, s[4:5], v[20:21]
	s_mov_b32 s1, -1
	s_mov_b32 s24, 0
	s_mov_b32 s25, s50
	s_mov_b32 s23, s49
	s_mov_b32 s21, 0
	s_and_b32 s22, s43, vcc_lo
	s_delay_alu instid0(SALU_CYCLE_1)
	s_and_saveexec_b32 s54, s22
	s_cbranch_execz .LBB59_205
; %bb.187:
	s_wait_loadcnt 0x3
	v_cmp_eq_u64_e32 vcc_lo, s[8:9], v[18:19]
	s_mov_b32 s22, 0
	s_mov_b32 s23, s49
	s_and_b32 s21, s41, vcc_lo
	s_delay_alu instid0(SALU_CYCLE_1)
	s_and_saveexec_b32 s55, s21
	s_cbranch_execz .LBB59_204
; %bb.188:
	s_wait_loadcnt 0x1
	v_sub_nc_u64_e32 v[18:19], v[12:13], v[14:15]
	s_mov_b32 s22, -1
	s_mov_b32 s21, 0
	s_delay_alu instid0(VALU_DEP_1) | instskip(SKIP_2) | instid1(SALU_CYCLE_1)
	v_cmp_le_i64_e32 vcc_lo, s[4:5], v[18:19]
	v_cmp_ge_i64_e64 s1, s[6:7], v[18:19]
	s_and_b32 s1, vcc_lo, s1
	s_and_b32 s23, s40, s1
	s_mov_b32 s1, 0
	s_and_saveexec_b32 s56, s23
	s_cbranch_execz .LBB59_203
; %bb.189:
	v_cmp_lt_i64_e64 s1, s[8:9], 1
	v_mov_b64_e32 v[18:19], 0
	s_xor_b32 s21, s39, -1
	s_delay_alu instid0(SALU_CYCLE_1) | instskip(NEXT) | instid1(SALU_CYCLE_1)
	s_or_b32 s1, s1, s21
	s_and_b32 vcc_lo, exec_lo, s1
	s_cbranch_vccnz .LBB59_196
; %bb.190:
	s_wait_loadcnt 0x0
	v_mul_u64_e32 v[20:21], s[8:9], v[16:17]
	s_mov_b32 s23, 0
	v_mov_b64_e32 v[18:19], 0
	s_mov_b32 s21, s23
	v_mov_b32_e32 v16, 0
	s_lshl_b64 s[28:29], s[20:21], 3
	s_mov_b64 s[24:25], 0xffffffff
	s_add_nc_u64 s[26:27], s[12:13], s[28:29]
	s_add_nc_u64 s[28:29], s[14:15], s[28:29]
	s_mov_b32 s21, s10
	s_branch .LBB59_192
.LBB59_191:                             ;   in Loop: Header=BB59_192 Depth=1
	s_or_b32 exec_lo, exec_lo, s1
	s_delay_alu instid0(VALU_DEP_1)
	v_mul_u64_e32 v[24:25], s[30:31], v[22:23]
	s_load_b64 s[30:31], s[28:29], 0x0
	s_add_co_i32 s21, s21, -1
	s_add_nc_u64 s[26:27], s[26:27], -8
	s_cmp_lg_u32 s21, 0
	s_wait_xcnt 0x0
	s_add_nc_u64 s[28:29], s[28:29], -8
	s_delay_alu instid0(VALU_DEP_1) | instskip(SKIP_1) | instid1(VALU_DEP_1)
	v_sub_nc_u64_e32 v[20:21], v[20:21], v[24:25]
	s_wait_kmcnt 0x0
	v_mad_nc_u64_u32 v[18:19], v20, s30, v[18:19]
	s_delay_alu instid0(VALU_DEP_1) | instskip(NEXT) | instid1(VALU_DEP_1)
	v_mad_u32 v17, v21, s30, v19
	v_mad_u32 v19, v20, s31, v17
	v_mov_b64_e32 v[20:21], v[22:23]
	s_cbranch_scc0 .LBB59_196
.LBB59_192:                             ; =>This Inner Loop Header: Depth=1
	s_load_b64 s[30:31], s[26:27], 0x0
                                        ; implicit-def: $vgpr22_vgpr23
	s_mov_b32 s1, exec_lo
	s_wait_kmcnt 0x0
	s_delay_alu instid0(VALU_DEP_1) | instskip(NEXT) | instid1(VALU_DEP_1)
	v_or_b32_e32 v17, s31, v21
	v_cmpx_ne_u64_e32 0, v[16:17]
	s_xor_b32 s57, exec_lo, s1
	s_cbranch_execz .LBB59_194
; %bb.193:                              ;   in Loop: Header=BB59_192 Depth=1
	s_ashr_i32 s34, s31, 31
	v_dual_mov_b32 v27, v16 :: v_dual_ashrrev_i32 v22, 31, v21
	s_mov_b32 s35, s34
	s_delay_alu instid0(SALU_CYCLE_1) | instskip(NEXT) | instid1(VALU_DEP_1)
	s_add_nc_u64 s[36:37], s[30:31], s[34:35]
	v_mov_b32_e32 v23, v22
	s_xor_b64 s[36:37], s[36:37], s[34:35]
	s_delay_alu instid0(SALU_CYCLE_1)
	s_cvt_f32_u32 s1, s36
	s_cvt_f32_u32 s22, s37
	s_sub_nc_u64 s[60:61], 0, s[36:37]
	v_add_nc_u64_e32 v[24:25], v[20:21], v[22:23]
	v_mov_b32_e32 v31, v16
	s_fmamk_f32 s1, s22, 0x4f800000, s1
	s_delay_alu instid0(SALU_CYCLE_3) | instskip(NEXT) | instid1(VALU_DEP_2)
	v_s_rcp_f32 s1, s1
	v_xor_b32_e32 v26, v24, v22
	s_delay_alu instid0(VALU_DEP_3) | instskip(SKIP_1) | instid1(TRANS32_DEP_1)
	v_dual_mov_b32 v35, v16 :: v_dual_bitop2_b32 v30, v25, v22 bitop3:0x14
	v_xor_b32_e32 v22, s34, v22
	s_mul_f32 s1, s1, 0x5f7ffffc
	s_delay_alu instid0(SALU_CYCLE_3) | instskip(NEXT) | instid1(SALU_CYCLE_3)
	s_mul_f32 s22, s1, 0x2f800000
	s_trunc_f32 s22, s22
	s_delay_alu instid0(SALU_CYCLE_3) | instskip(SKIP_1) | instid1(SALU_CYCLE_2)
	s_fmamk_f32 s1, s22, 0xcf800000, s1
	s_cvt_u32_f32 s59, s22
	s_cvt_u32_f32 s58, s1
	s_delay_alu instid0(SALU_CYCLE_3) | instskip(NEXT) | instid1(SALU_CYCLE_1)
	s_mul_u64 s[62:63], s[60:61], s[58:59]
	s_mul_hi_u32 s65, s58, s63
	s_mul_i32 s64, s58, s63
	s_mul_hi_u32 s22, s58, s62
	s_mul_i32 s35, s59, s62
	s_add_nc_u64 s[64:65], s[22:23], s[64:65]
	s_mul_hi_u32 s1, s59, s62
	s_mul_hi_u32 s66, s59, s63
	s_add_co_u32 s22, s64, s35
	s_add_co_ci_u32 s22, s65, s1
	s_mul_i32 s62, s59, s63
	s_add_co_ci_u32 s63, s66, 0
	s_delay_alu instid0(SALU_CYCLE_1) | instskip(NEXT) | instid1(SALU_CYCLE_1)
	s_add_nc_u64 s[62:63], s[22:23], s[62:63]
	s_add_co_u32 s58, s58, s62
	s_cselect_b32 s1, -1, 0
	s_delay_alu instid0(SALU_CYCLE_1) | instskip(SKIP_1) | instid1(SALU_CYCLE_1)
	s_cmp_lg_u32 s1, 0
	s_add_co_ci_u32 s59, s59, s63
	s_mul_u64 s[60:61], s[60:61], s[58:59]
	s_delay_alu instid0(SALU_CYCLE_1)
	s_mul_hi_u32 s63, s58, s61
	s_mul_i32 s62, s58, s61
	s_mul_hi_u32 s22, s58, s60
	s_mul_i32 s35, s59, s60
	s_add_nc_u64 s[62:63], s[22:23], s[62:63]
	s_mul_hi_u32 s1, s59, s60
	s_mul_hi_u32 s64, s59, s61
	s_add_co_u32 s22, s62, s35
	s_add_co_ci_u32 s22, s63, s1
	s_mul_i32 s60, s59, s61
	s_add_co_ci_u32 s61, s64, 0
	s_delay_alu instid0(SALU_CYCLE_1) | instskip(NEXT) | instid1(SALU_CYCLE_1)
	s_add_nc_u64 s[60:61], s[22:23], s[60:61]
	s_add_co_u32 s58, s58, s60
	s_cselect_b32 s1, -1, 0
	v_mul_hi_u32 v34, v26, s58
	s_cmp_lg_u32 s1, 0
	s_add_co_ci_u32 s22, s59, s61
	s_and_b64 s[60:61], s[58:59], s[24:25]
	v_mul_u64_e32 v[28:29], s[22:23], v[26:27]
	v_mul_u64_e32 v[24:25], s[60:61], v[30:31]
	v_mul_u64_e32 v[32:33], s[22:23], v[30:31]
	s_delay_alu instid0(VALU_DEP_3) | instskip(NEXT) | instid1(VALU_DEP_1)
	v_add_nc_u64_e32 v[28:29], v[34:35], v[28:29]
	v_add_co_u32 v17, vcc_lo, v28, v24
	s_delay_alu instid0(VALU_DEP_2) | instskip(NEXT) | instid1(VALU_DEP_4)
	v_add_co_ci_u32_e32 v34, vcc_lo, v29, v25, vcc_lo
	v_add_co_ci_u32_e32 v33, vcc_lo, 0, v33, vcc_lo
	s_delay_alu instid0(VALU_DEP_1) | instskip(NEXT) | instid1(VALU_DEP_1)
	v_add_nc_u64_e32 v[24:25], v[34:35], v[32:33]
	v_mul_u64_e32 v[28:29], s[36:37], v[24:25]
	s_delay_alu instid0(VALU_DEP_1) | instskip(NEXT) | instid1(VALU_DEP_2)
	v_sub_nc_u32_e32 v17, v30, v29
	v_sub_co_u32 v23, vcc_lo, v26, v28
	s_delay_alu instid0(VALU_DEP_1) | instskip(NEXT) | instid1(VALU_DEP_3)
	v_sub_co_ci_u32_e64 v30, null, v30, v29, vcc_lo
	v_subrev_co_ci_u32_e64 v17, null, s37, v17, vcc_lo
	s_delay_alu instid0(VALU_DEP_3) | instskip(SKIP_1) | instid1(VALU_DEP_3)
	v_sub_co_u32 v26, s1, v23, s36
	v_add_nc_u64_e32 v[28:29], 1, v[24:25]
	v_subrev_co_ci_u32_e64 v17, null, 0, v17, s1
	s_delay_alu instid0(VALU_DEP_3) | instskip(SKIP_1) | instid1(VALU_DEP_3)
	v_cmp_le_u32_e32 vcc_lo, s36, v26
	v_cndmask_b32_e64 v26, 0, -1, vcc_lo
	v_cmp_le_u32_e32 vcc_lo, s37, v17
	v_cndmask_b32_e64 v27, 0, -1, vcc_lo
	;; [unrolled: 2-line block ×4, first 2 shown]
	v_cmp_eq_u32_e32 vcc_lo, s37, v17
	v_cndmask_b32_e32 v17, v27, v26, vcc_lo
	v_cmp_eq_u32_e32 vcc_lo, s37, v30
	v_add_nc_u64_e32 v[26:27], 2, v[24:25]
	v_cndmask_b32_e32 v23, v31, v23, vcc_lo
	s_delay_alu instid0(VALU_DEP_4) | instskip(NEXT) | instid1(VALU_DEP_2)
	v_cmp_ne_u32_e32 vcc_lo, 0, v17
	v_cmp_ne_u32_e64 s1, 0, v23
	s_delay_alu instid0(VALU_DEP_4) | instskip(NEXT) | instid1(VALU_DEP_1)
	v_dual_cndmask_b32 v17, v29, v27, vcc_lo :: v_dual_cndmask_b32 v23, v28, v26, vcc_lo
	v_dual_cndmask_b32 v24, v24, v23, s1 :: v_dual_mov_b32 v23, v22
	s_delay_alu instid0(VALU_DEP_1) | instskip(NEXT) | instid1(VALU_DEP_1)
	v_dual_cndmask_b32 v17, v25, v17, s1 :: v_dual_bitop2_b32 v24, v24, v22 bitop3:0x14
	v_xor_b32_e32 v25, v17, v22
	s_delay_alu instid0(VALU_DEP_1)
	v_sub_nc_u64_e32 v[22:23], v[24:25], v[22:23]
.LBB59_194:                             ;   in Loop: Header=BB59_192 Depth=1
	s_and_not1_saveexec_b32 s1, s57
	s_cbranch_execz .LBB59_191
; %bb.195:                              ;   in Loop: Header=BB59_192 Depth=1
	v_cvt_f32_u32_e32 v17, s30
	s_sub_co_i32 s22, 0, s30
	s_delay_alu instid0(VALU_DEP_1) | instskip(SKIP_1) | instid1(TRANS32_DEP_1)
	v_rcp_iflag_f32_e32 v17, v17
	v_nop
	v_mul_f32_e32 v17, 0x4f7ffffe, v17
	s_delay_alu instid0(VALU_DEP_1) | instskip(NEXT) | instid1(VALU_DEP_1)
	v_cvt_u32_f32_e32 v17, v17
	v_mul_lo_u32 v22, s22, v17
	s_delay_alu instid0(VALU_DEP_1) | instskip(NEXT) | instid1(VALU_DEP_1)
	v_mul_hi_u32 v22, v17, v22
	v_add_nc_u32_e32 v17, v17, v22
	s_delay_alu instid0(VALU_DEP_1) | instskip(NEXT) | instid1(VALU_DEP_1)
	v_mul_hi_u32 v17, v20, v17
	v_mul_lo_u32 v22, v17, s30
	s_delay_alu instid0(VALU_DEP_1) | instskip(NEXT) | instid1(VALU_DEP_1)
	v_dual_add_nc_u32 v23, 1, v17 :: v_dual_sub_nc_u32 v22, v20, v22
	v_subrev_nc_u32_e32 v24, s30, v22
	v_cmp_le_u32_e32 vcc_lo, s30, v22
	s_delay_alu instid0(VALU_DEP_2) | instskip(NEXT) | instid1(VALU_DEP_1)
	v_dual_cndmask_b32 v22, v22, v24 :: v_dual_cndmask_b32 v17, v17, v23
	v_cmp_le_u32_e32 vcc_lo, s30, v22
	s_delay_alu instid0(VALU_DEP_2) | instskip(NEXT) | instid1(VALU_DEP_1)
	v_add_nc_u32_e32 v23, 1, v17
	v_dual_cndmask_b32 v22, v17, v23 :: v_dual_mov_b32 v23, v16
	s_branch .LBB59_191
.LBB59_196:
	s_mov_b32 s21, -1
	s_mov_b32 s23, 0
	s_mov_b32 s1, exec_lo
	v_cmpx_gt_i64_e64 v[12:13], v[14:15]
	s_cbranch_execz .LBB59_202
; %bb.197:
	s_wait_loadcnt 0x0
	s_delay_alu instid0(VALU_DEP_2) | instskip(SKIP_2) | instid1(VALU_DEP_1)
	v_lshlrev_b64_e32 v[16:17], 3, v[18:19]
	s_mov_b32 s21, 0
	s_xor_b32 s23, s38, -1
                                        ; implicit-def: $sgpr22
                                        ; implicit-def: $sgpr25
                                        ; implicit-def: $sgpr24
	v_lshl_add_u64 v[14:15], v[14:15], 3, v[16:17]
	v_add_nc_u64_e32 v[16:17], s[16:17], v[16:17]
	s_delay_alu instid0(VALU_DEP_2) | instskip(NEXT) | instid1(VALU_DEP_2)
	v_add_nc_u64_e32 v[14:15], s[16:17], v[14:15]
	v_lshl_add_u64 v[12:13], v[12:13], 3, v[16:17]
	s_delay_alu instid0(VALU_DEP_2)
	v_add_nc_u64_e32 v[14:15], 8, v[14:15]
	s_branch .LBB59_199
.LBB59_198:                             ;   in Loop: Header=BB59_199 Depth=1
	s_or_b32 exec_lo, exec_lo, s26
	s_delay_alu instid0(SALU_CYCLE_1) | instskip(NEXT) | instid1(SALU_CYCLE_1)
	s_and_b32 s26, exec_lo, s25
	s_or_b32 s21, s26, s21
	s_and_not1_b32 s22, s22, exec_lo
	s_and_b32 s26, s24, exec_lo
	s_delay_alu instid0(SALU_CYCLE_1)
	s_or_b32 s22, s22, s26
	s_and_not1_b32 exec_lo, exec_lo, s21
	s_cbranch_execz .LBB59_201
.LBB59_199:                             ; =>This Inner Loop Header: Depth=1
	s_or_b32 s24, s24, exec_lo
	s_or_b32 s25, s25, exec_lo
	s_mov_b32 s26, exec_lo
	s_delay_alu instid0(VALU_DEP_1)
	v_cmpx_lt_u64_e64 v[14:15], v[12:13]
	s_cbranch_execz .LBB59_198
; %bb.200:                              ;   in Loop: Header=BB59_199 Depth=1
	global_load_b128 v[16:19], v[14:15], off offset:-8
	s_wait_xcnt 0x0
	v_add_nc_u64_e32 v[14:15], 8, v[14:15]
	s_and_not1_b32 s25, s25, exec_lo
	s_and_not1_b32 s24, s24, exec_lo
	s_wait_loadcnt 0x0
	v_cmp_ge_i64_e32 vcc_lo, v[16:17], v[18:19]
	s_or_b32 s27, s23, vcc_lo
	s_delay_alu instid0(SALU_CYCLE_1) | instskip(NEXT) | instid1(SALU_CYCLE_1)
	s_and_b32 s27, s27, exec_lo
	s_or_b32 s25, s25, s27
	s_branch .LBB59_198
.LBB59_201:
	s_or_b32 exec_lo, exec_lo, s21
	s_delay_alu instid0(SALU_CYCLE_1)
	s_mov_b32 s23, exec_lo
	s_or_not1_b32 s21, s22, exec_lo
.LBB59_202:
	s_or_b32 exec_lo, exec_lo, s1
	s_delay_alu instid0(SALU_CYCLE_1)
	s_and_b32 s1, s23, exec_lo
	s_xor_b32 s22, exec_lo, -1
	s_and_b32 s21, s21, exec_lo
.LBB59_203:
	s_or_b32 exec_lo, exec_lo, s56
	s_delay_alu instid0(SALU_CYCLE_1)
	s_and_not1_b32 s23, s49, exec_lo
	s_and_b32 s22, s22, exec_lo
	s_and_b32 s24, s1, exec_lo
	s_or_b32 s23, s23, s22
	s_xor_b32 s1, exec_lo, -1
	s_and_b32 s22, s21, exec_lo
.LBB59_204:
	s_or_b32 exec_lo, exec_lo, s55
	s_delay_alu instid0(SALU_CYCLE_1)
	s_and_b32 s21, s24, exec_lo
	s_and_not1_b32 s24, s49, exec_lo
	s_and_b32 s23, s23, exec_lo
	s_and_not1_b32 s25, s50, exec_lo
	s_and_b32 s1, s1, exec_lo
	s_or_b32 s23, s24, s23
	s_or_b32 s25, s25, s1
	s_xor_b32 s1, exec_lo, -1
	s_and_b32 s24, s22, exec_lo
.LBB59_205:
	s_or_b32 exec_lo, exec_lo, s54
	s_delay_alu instid0(SALU_CYCLE_1)
	s_and_not1_b32 s22, s49, exec_lo
	s_and_b32 s26, s23, exec_lo
	s_and_b32 s23, s21, exec_lo
	s_or_b32 s21, s22, s26
	s_and_not1_b32 s22, s50, exec_lo
	s_and_b32 s25, s25, exec_lo
	s_and_not1_b32 s26, s48, exec_lo
	s_and_b32 s1, s1, exec_lo
	s_or_b32 s22, s22, s25
	s_or_b32 s1, s26, s1
	s_or_not1_b32 s25, s24, exec_lo
.LBB59_206:
	s_or_b32 exec_lo, exec_lo, s53
	s_mov_b32 s26, 0
	s_and_saveexec_b32 s24, s25
	s_cbranch_execz .LBB59_210
; %bb.207:
	s_wait_loadcnt 0x1
	v_or_b32_e32 v12, 0x300, v0
	s_mov_b32 s25, 0
	s_mov_b32 s26, -1
	s_mov_b32 s27, s1
	s_mov_b32 s28, exec_lo
	v_cmpx_gt_i32_e64 s11, v12
	s_xor_b32 s28, exec_lo, s28
; %bb.208:
	v_cmp_ne_u64_e32 vcc_lo, s[4:5], v[10:11]
	s_xor_b32 s26, s43, -1
	s_and_not1_b32 s27, s1, exec_lo
	s_mov_b32 s25, exec_lo
	s_or_b32 s26, s26, vcc_lo
	s_delay_alu instid0(SALU_CYCLE_1)
	s_and_b32 s29, s26, exec_lo
	s_xor_b32 s26, exec_lo, -1
	s_or_b32 s27, s27, s29
; %bb.209:
	s_or_b32 exec_lo, exec_lo, s28
	s_delay_alu instid0(SALU_CYCLE_1)
	s_and_not1_b32 s1, s1, exec_lo
	s_and_b32 s27, s27, exec_lo
	s_and_b32 s26, s26, exec_lo
	s_and_not1_b32 s23, s23, exec_lo
	s_and_b32 s52, s25, exec_lo
	s_or_b32 s1, s1, s27
.LBB59_210:
	s_or_b32 exec_lo, exec_lo, s24
	s_delay_alu instid0(SALU_CYCLE_1)
	s_and_not1_b32 s24, s33, exec_lo
	s_and_b32 s25, s23, exec_lo
	s_and_b32 s21, s21, exec_lo
	s_or_b32 s33, s24, s25
	s_and_not1_b32 s24, s49, exec_lo
	s_and_not1_b32 s25, s50, exec_lo
	s_and_b32 s22, s22, exec_lo
	s_or_b32 s49, s24, s21
	s_and_not1_b32 s21, s48, exec_lo
	s_and_b32 s1, s1, exec_lo
	s_and_b32 s23, s26, exec_lo
	s_or_b32 s50, s25, s22
	s_and_b32 s52, s52, exec_lo
	s_or_b32 s48, s21, s1
.LBB59_211:
	s_or_b32 exec_lo, exec_lo, s51
	s_delay_alu instid0(SALU_CYCLE_1)
	s_and_not1_b32 s1, s42, exec_lo
	s_and_b32 s21, s33, exec_lo
	s_and_b32 s33, s23, exec_lo
	s_or_b32 s42, s1, s21
	s_and_not1_b32 s1, s44, exec_lo
	s_and_b32 s21, s49, exec_lo
	s_and_not1_b32 s22, s45, exec_lo
	s_and_b32 s23, s50, exec_lo
	s_or_b32 s44, s1, s21
	s_and_not1_b32 s1, s46, exec_lo
	s_and_b32 s21, s48, exec_lo
	s_or_b32 s45, s22, s23
	s_and_b32 s48, s52, exec_lo
	s_or_b32 s46, s1, s21
	s_or_b32 exec_lo, exec_lo, s47
	s_and_saveexec_b32 s1, s46
	s_cbranch_execz .LBB59_89
.LBB59_212:
	s_or_b32 s3, s3, exec_lo
	s_and_not1_b32 s48, s48, exec_lo
	s_trap 2
	s_branch .LBB59_89
.LBB59_213:
	s_or_b32 s3, s3, exec_lo
	s_trap 2
	s_branch .LBB59_76
.LBB59_214:
	s_or_b32 s3, s3, exec_lo
	s_and_not1_b32 s1, s1, exec_lo
	s_trap 2
	s_branch .LBB59_92
.LBB59_215:
	s_mov_b32 s3, exec_lo
	s_and_not1_b32 s0, s0, exec_lo
	s_trap 2
	s_branch .LBB59_67
	.section	.rodata,"a",@progbits
	.p2align	6, 0x0
	.amdhsa_kernel _ZN2at6native29vectorized_elementwise_kernelILi2EZZZNS0_12_GLOBAL__N_142_validate_compressed_sparse_indices_kernelILNS2_8CDimNameE0ENS2_18CUDAKernelLauncherENS2_14EmptyVecKernelENS2_8DummyVecELm0EEEvRKNS_6TensorESA_lllENKUlvE1_clEvENKUlvE0_clEvEUllllllE_St5arrayIPcLm6EEEEviT0_T1_
		.amdhsa_group_segment_fixed_size 0
		.amdhsa_private_segment_fixed_size 0
		.amdhsa_kernarg_size 112
		.amdhsa_user_sgpr_count 2
		.amdhsa_user_sgpr_dispatch_ptr 0
		.amdhsa_user_sgpr_queue_ptr 0
		.amdhsa_user_sgpr_kernarg_segment_ptr 1
		.amdhsa_user_sgpr_dispatch_id 0
		.amdhsa_user_sgpr_kernarg_preload_length 0
		.amdhsa_user_sgpr_kernarg_preload_offset 0
		.amdhsa_user_sgpr_private_segment_size 0
		.amdhsa_wavefront_size32 1
		.amdhsa_uses_dynamic_stack 0
		.amdhsa_enable_private_segment 0
		.amdhsa_system_sgpr_workgroup_id_x 1
		.amdhsa_system_sgpr_workgroup_id_y 0
		.amdhsa_system_sgpr_workgroup_id_z 0
		.amdhsa_system_sgpr_workgroup_info 0
		.amdhsa_system_vgpr_workitem_id 0
		.amdhsa_next_free_vgpr 56
		.amdhsa_next_free_sgpr 76
		.amdhsa_named_barrier_count 0
		.amdhsa_reserve_vcc 1
		.amdhsa_float_round_mode_32 0
		.amdhsa_float_round_mode_16_64 0
		.amdhsa_float_denorm_mode_32 3
		.amdhsa_float_denorm_mode_16_64 3
		.amdhsa_fp16_overflow 0
		.amdhsa_memory_ordered 1
		.amdhsa_forward_progress 1
		.amdhsa_inst_pref_size 103
		.amdhsa_round_robin_scheduling 0
		.amdhsa_exception_fp_ieee_invalid_op 0
		.amdhsa_exception_fp_denorm_src 0
		.amdhsa_exception_fp_ieee_div_zero 0
		.amdhsa_exception_fp_ieee_overflow 0
		.amdhsa_exception_fp_ieee_underflow 0
		.amdhsa_exception_fp_ieee_inexact 0
		.amdhsa_exception_int_div_zero 0
	.end_amdhsa_kernel
	.section	.text._ZN2at6native29vectorized_elementwise_kernelILi2EZZZNS0_12_GLOBAL__N_142_validate_compressed_sparse_indices_kernelILNS2_8CDimNameE0ENS2_18CUDAKernelLauncherENS2_14EmptyVecKernelENS2_8DummyVecELm0EEEvRKNS_6TensorESA_lllENKUlvE1_clEvENKUlvE0_clEvEUllllllE_St5arrayIPcLm6EEEEviT0_T1_,"axG",@progbits,_ZN2at6native29vectorized_elementwise_kernelILi2EZZZNS0_12_GLOBAL__N_142_validate_compressed_sparse_indices_kernelILNS2_8CDimNameE0ENS2_18CUDAKernelLauncherENS2_14EmptyVecKernelENS2_8DummyVecELm0EEEvRKNS_6TensorESA_lllENKUlvE1_clEvENKUlvE0_clEvEUllllllE_St5arrayIPcLm6EEEEviT0_T1_,comdat
.Lfunc_end59:
	.size	_ZN2at6native29vectorized_elementwise_kernelILi2EZZZNS0_12_GLOBAL__N_142_validate_compressed_sparse_indices_kernelILNS2_8CDimNameE0ENS2_18CUDAKernelLauncherENS2_14EmptyVecKernelENS2_8DummyVecELm0EEEvRKNS_6TensorESA_lllENKUlvE1_clEvENKUlvE0_clEvEUllllllE_St5arrayIPcLm6EEEEviT0_T1_, .Lfunc_end59-_ZN2at6native29vectorized_elementwise_kernelILi2EZZZNS0_12_GLOBAL__N_142_validate_compressed_sparse_indices_kernelILNS2_8CDimNameE0ENS2_18CUDAKernelLauncherENS2_14EmptyVecKernelENS2_8DummyVecELm0EEEvRKNS_6TensorESA_lllENKUlvE1_clEvENKUlvE0_clEvEUllllllE_St5arrayIPcLm6EEEEviT0_T1_
                                        ; -- End function
	.set _ZN2at6native29vectorized_elementwise_kernelILi2EZZZNS0_12_GLOBAL__N_142_validate_compressed_sparse_indices_kernelILNS2_8CDimNameE0ENS2_18CUDAKernelLauncherENS2_14EmptyVecKernelENS2_8DummyVecELm0EEEvRKNS_6TensorESA_lllENKUlvE1_clEvENKUlvE0_clEvEUllllllE_St5arrayIPcLm6EEEEviT0_T1_.num_vgpr, 56
	.set _ZN2at6native29vectorized_elementwise_kernelILi2EZZZNS0_12_GLOBAL__N_142_validate_compressed_sparse_indices_kernelILNS2_8CDimNameE0ENS2_18CUDAKernelLauncherENS2_14EmptyVecKernelENS2_8DummyVecELm0EEEvRKNS_6TensorESA_lllENKUlvE1_clEvENKUlvE0_clEvEUllllllE_St5arrayIPcLm6EEEEviT0_T1_.num_agpr, 0
	.set _ZN2at6native29vectorized_elementwise_kernelILi2EZZZNS0_12_GLOBAL__N_142_validate_compressed_sparse_indices_kernelILNS2_8CDimNameE0ENS2_18CUDAKernelLauncherENS2_14EmptyVecKernelENS2_8DummyVecELm0EEEvRKNS_6TensorESA_lllENKUlvE1_clEvENKUlvE0_clEvEUllllllE_St5arrayIPcLm6EEEEviT0_T1_.numbered_sgpr, 76
	.set _ZN2at6native29vectorized_elementwise_kernelILi2EZZZNS0_12_GLOBAL__N_142_validate_compressed_sparse_indices_kernelILNS2_8CDimNameE0ENS2_18CUDAKernelLauncherENS2_14EmptyVecKernelENS2_8DummyVecELm0EEEvRKNS_6TensorESA_lllENKUlvE1_clEvENKUlvE0_clEvEUllllllE_St5arrayIPcLm6EEEEviT0_T1_.num_named_barrier, 0
	.set _ZN2at6native29vectorized_elementwise_kernelILi2EZZZNS0_12_GLOBAL__N_142_validate_compressed_sparse_indices_kernelILNS2_8CDimNameE0ENS2_18CUDAKernelLauncherENS2_14EmptyVecKernelENS2_8DummyVecELm0EEEvRKNS_6TensorESA_lllENKUlvE1_clEvENKUlvE0_clEvEUllllllE_St5arrayIPcLm6EEEEviT0_T1_.private_seg_size, 0
	.set _ZN2at6native29vectorized_elementwise_kernelILi2EZZZNS0_12_GLOBAL__N_142_validate_compressed_sparse_indices_kernelILNS2_8CDimNameE0ENS2_18CUDAKernelLauncherENS2_14EmptyVecKernelENS2_8DummyVecELm0EEEvRKNS_6TensorESA_lllENKUlvE1_clEvENKUlvE0_clEvEUllllllE_St5arrayIPcLm6EEEEviT0_T1_.uses_vcc, 1
	.set _ZN2at6native29vectorized_elementwise_kernelILi2EZZZNS0_12_GLOBAL__N_142_validate_compressed_sparse_indices_kernelILNS2_8CDimNameE0ENS2_18CUDAKernelLauncherENS2_14EmptyVecKernelENS2_8DummyVecELm0EEEvRKNS_6TensorESA_lllENKUlvE1_clEvENKUlvE0_clEvEUllllllE_St5arrayIPcLm6EEEEviT0_T1_.uses_flat_scratch, 0
	.set _ZN2at6native29vectorized_elementwise_kernelILi2EZZZNS0_12_GLOBAL__N_142_validate_compressed_sparse_indices_kernelILNS2_8CDimNameE0ENS2_18CUDAKernelLauncherENS2_14EmptyVecKernelENS2_8DummyVecELm0EEEvRKNS_6TensorESA_lllENKUlvE1_clEvENKUlvE0_clEvEUllllllE_St5arrayIPcLm6EEEEviT0_T1_.has_dyn_sized_stack, 0
	.set _ZN2at6native29vectorized_elementwise_kernelILi2EZZZNS0_12_GLOBAL__N_142_validate_compressed_sparse_indices_kernelILNS2_8CDimNameE0ENS2_18CUDAKernelLauncherENS2_14EmptyVecKernelENS2_8DummyVecELm0EEEvRKNS_6TensorESA_lllENKUlvE1_clEvENKUlvE0_clEvEUllllllE_St5arrayIPcLm6EEEEviT0_T1_.has_recursion, 0
	.set _ZN2at6native29vectorized_elementwise_kernelILi2EZZZNS0_12_GLOBAL__N_142_validate_compressed_sparse_indices_kernelILNS2_8CDimNameE0ENS2_18CUDAKernelLauncherENS2_14EmptyVecKernelENS2_8DummyVecELm0EEEvRKNS_6TensorESA_lllENKUlvE1_clEvENKUlvE0_clEvEUllllllE_St5arrayIPcLm6EEEEviT0_T1_.has_indirect_call, 0
	.section	.AMDGPU.csdata,"",@progbits
; Kernel info:
; codeLenInByte = 13120
; TotalNumSgprs: 78
; NumVgprs: 56
; ScratchSize: 0
; MemoryBound: 0
; FloatMode: 240
; IeeeMode: 1
; LDSByteSize: 0 bytes/workgroup (compile time only)
; SGPRBlocks: 0
; VGPRBlocks: 3
; NumSGPRsForWavesPerEU: 78
; NumVGPRsForWavesPerEU: 56
; NamedBarCnt: 0
; Occupancy: 16
; WaveLimiterHint : 1
; COMPUTE_PGM_RSRC2:SCRATCH_EN: 0
; COMPUTE_PGM_RSRC2:USER_SGPR: 2
; COMPUTE_PGM_RSRC2:TRAP_HANDLER: 0
; COMPUTE_PGM_RSRC2:TGID_X_EN: 1
; COMPUTE_PGM_RSRC2:TGID_Y_EN: 0
; COMPUTE_PGM_RSRC2:TGID_Z_EN: 0
; COMPUTE_PGM_RSRC2:TIDIG_COMP_CNT: 0
	.section	.text._ZN2at6native27unrolled_elementwise_kernelIZZZNS0_12_GLOBAL__N_142_validate_compressed_sparse_indices_kernelILNS2_8CDimNameE0ENS2_18CUDAKernelLauncherENS2_14EmptyVecKernelENS2_8DummyVecELm0EEEvRKNS_6TensorESA_lllENKUlvE1_clEvENKUlvE0_clEvEUllllllE_St5arrayIPcLm6EELi4E23TrivialOffsetCalculatorILi5EjESH_ILi1EjENS0_6memory15LoadWithoutCastENSK_16StoreWithoutCastEEEviT_T0_T2_T3_T4_T5_,"axG",@progbits,_ZN2at6native27unrolled_elementwise_kernelIZZZNS0_12_GLOBAL__N_142_validate_compressed_sparse_indices_kernelILNS2_8CDimNameE0ENS2_18CUDAKernelLauncherENS2_14EmptyVecKernelENS2_8DummyVecELm0EEEvRKNS_6TensorESA_lllENKUlvE1_clEvENKUlvE0_clEvEUllllllE_St5arrayIPcLm6EELi4E23TrivialOffsetCalculatorILi5EjESH_ILi1EjENS0_6memory15LoadWithoutCastENSK_16StoreWithoutCastEEEviT_T0_T2_T3_T4_T5_,comdat
	.globl	_ZN2at6native27unrolled_elementwise_kernelIZZZNS0_12_GLOBAL__N_142_validate_compressed_sparse_indices_kernelILNS2_8CDimNameE0ENS2_18CUDAKernelLauncherENS2_14EmptyVecKernelENS2_8DummyVecELm0EEEvRKNS_6TensorESA_lllENKUlvE1_clEvENKUlvE0_clEvEUllllllE_St5arrayIPcLm6EELi4E23TrivialOffsetCalculatorILi5EjESH_ILi1EjENS0_6memory15LoadWithoutCastENSK_16StoreWithoutCastEEEviT_T0_T2_T3_T4_T5_ ; -- Begin function _ZN2at6native27unrolled_elementwise_kernelIZZZNS0_12_GLOBAL__N_142_validate_compressed_sparse_indices_kernelILNS2_8CDimNameE0ENS2_18CUDAKernelLauncherENS2_14EmptyVecKernelENS2_8DummyVecELm0EEEvRKNS_6TensorESA_lllENKUlvE1_clEvENKUlvE0_clEvEUllllllE_St5arrayIPcLm6EELi4E23TrivialOffsetCalculatorILi5EjESH_ILi1EjENS0_6memory15LoadWithoutCastENSK_16StoreWithoutCastEEEviT_T0_T2_T3_T4_T5_
	.p2align	8
	.type	_ZN2at6native27unrolled_elementwise_kernelIZZZNS0_12_GLOBAL__N_142_validate_compressed_sparse_indices_kernelILNS2_8CDimNameE0ENS2_18CUDAKernelLauncherENS2_14EmptyVecKernelENS2_8DummyVecELm0EEEvRKNS_6TensorESA_lllENKUlvE1_clEvENKUlvE0_clEvEUllllllE_St5arrayIPcLm6EELi4E23TrivialOffsetCalculatorILi5EjESH_ILi1EjENS0_6memory15LoadWithoutCastENSK_16StoreWithoutCastEEEviT_T0_T2_T3_T4_T5_,@function
_ZN2at6native27unrolled_elementwise_kernelIZZZNS0_12_GLOBAL__N_142_validate_compressed_sparse_indices_kernelILNS2_8CDimNameE0ENS2_18CUDAKernelLauncherENS2_14EmptyVecKernelENS2_8DummyVecELm0EEEvRKNS_6TensorESA_lllENKUlvE1_clEvENKUlvE0_clEvEUllllllE_St5arrayIPcLm6EELi4E23TrivialOffsetCalculatorILi5EjESH_ILi1EjENS0_6memory15LoadWithoutCastENSK_16StoreWithoutCastEEEviT_T0_T2_T3_T4_T5_: ; @_ZN2at6native27unrolled_elementwise_kernelIZZZNS0_12_GLOBAL__N_142_validate_compressed_sparse_indices_kernelILNS2_8CDimNameE0ENS2_18CUDAKernelLauncherENS2_14EmptyVecKernelENS2_8DummyVecELm0EEEvRKNS_6TensorESA_lllENKUlvE1_clEvENKUlvE0_clEvEUllllllE_St5arrayIPcLm6EELi4E23TrivialOffsetCalculatorILi5EjESH_ILi1EjENS0_6memory15LoadWithoutCastENSK_16StoreWithoutCastEEEviT_T0_T2_T3_T4_T5_
; %bb.0:
	s_load_b32 s2, s[0:1], 0x0
	s_bfe_u32 s4, ttmp6, 0x4000c
	s_clause 0x1
	s_load_b64 s[28:29], s[0:1], 0x68
	s_load_b256 s[20:27], s[0:1], 0x48
	s_add_co_i32 s4, s4, 1
	s_and_b32 s3, ttmp6, 15
	s_mul_i32 s4, ttmp9, s4
	s_getreg_b32 s5, hwreg(HW_REG_IB_STS2, 6, 4)
	s_add_co_i32 s3, s3, s4
	s_cmp_eq_u32 s5, 0
	v_mov_b64_e32 v[28:29], 0
	s_cselect_b32 s3, ttmp9, s3
	v_mov_b64_e32 v[40:41], 0
	s_lshl_b32 s3, s3, 10
	v_mov_b64_e32 v[36:37], 0
	v_mov_b64_e32 v[34:35], 0
	;; [unrolled: 1-line block ×4, first 2 shown]
	v_or_b32_e32 v1, 0x100, v0
	v_mov_b32_e32 v42, v0
	s_wait_kmcnt 0x0
	s_sub_co_i32 s33, s2, s3
	s_delay_alu instid0(SALU_CYCLE_1)
	v_cmp_gt_i32_e64 s2, s33, v0
	s_and_saveexec_b32 s4, s2
	s_cbranch_execz .LBB60_2
; %bb.1:
	v_or_b32_e32 v2, s3, v0
	v_or_b32_e32 v42, 0x100, v0
	s_clause 0x4
	global_load_b64 v[40:41], v2, s[20:21] scale_offset
	global_load_b64 v[36:37], v2, s[22:23] scale_offset
	;; [unrolled: 1-line block ×5, first 2 shown]
.LBB60_2:
	s_wait_xcnt 0x0
	s_or_b32 exec_lo, exec_lo, s4
	v_mov_b64_e32 v[30:31], 0
	v_mov_b64_e32 v[24:25], 0
	;; [unrolled: 1-line block ×4, first 2 shown]
	s_mov_b32 s4, exec_lo
	v_cmpx_gt_i32_e64 s33, v42
	s_cbranch_execz .LBB60_4
; %bb.3:
	v_add_nc_u32_e32 v2, s3, v42
	v_add_nc_u32_e32 v42, 0x100, v42
	s_clause 0x4
	global_load_b64 v[28:29], v2, s[20:21] scale_offset
	global_load_b64 v[30:31], v2, s[22:23] scale_offset
	;; [unrolled: 1-line block ×5, first 2 shown]
.LBB60_4:
	s_wait_xcnt 0x0
	s_or_b32 exec_lo, exec_lo, s4
	v_mov_b64_e32 v[10:11], 0
	v_mov_b64_e32 v[20:21], 0
	;; [unrolled: 1-line block ×6, first 2 shown]
	s_mov_b32 s4, exec_lo
	v_cmpx_gt_i32_e64 s33, v42
	s_cbranch_execz .LBB60_6
; %bb.5:
	v_add_nc_u32_e32 v2, s3, v42
	v_add_nc_u32_e32 v42, 0x100, v42
	s_clause 0x4
	global_load_b64 v[20:21], v2, s[20:21] scale_offset
	global_load_b64 v[18:19], v2, s[22:23] scale_offset
	;; [unrolled: 1-line block ×5, first 2 shown]
.LBB60_6:
	s_wait_xcnt 0x0
	s_or_b32 exec_lo, exec_lo, s4
	s_load_b512 s[4:19], s[0:1], 0x8
	v_mov_b64_e32 v[8:9], 0
	v_mov_b64_e32 v[4:5], 0
	;; [unrolled: 1-line block ×4, first 2 shown]
	s_wait_xcnt 0x0
	s_mov_b32 s0, exec_lo
	v_cmpx_gt_i32_e64 s33, v42
	s_cbranch_execz .LBB60_8
; %bb.7:
	v_add_nc_u32_e32 v42, s3, v42
	s_clause 0x4
	global_load_b64 v[10:11], v42, s[20:21] scale_offset
	global_load_b64 v[8:9], v42, s[22:23] scale_offset
	;; [unrolled: 1-line block ×5, first 2 shown]
.LBB60_8:
	s_wait_xcnt 0x0
	s_or_b32 exec_lo, exec_lo, s0
	s_get_pc_i64 s[0:1]
	s_add_nc_u64 s[0:1], s[0:1], .str.1@rel64+4
	s_get_pc_i64 s[20:21]
	s_add_nc_u64 s[20:21], s[20:21], .str.2@rel64+4
	s_cmp_lg_u64 s[0:1], 0
	s_get_pc_i64 s[0:1]
	s_add_nc_u64 s[0:1], s[0:1], .str.3@rel64+4
	s_cselect_b32 s40, -1, 0
	s_cmp_lg_u64 s[20:21], 0
	s_get_pc_i64 s[22:23]
	s_add_nc_u64 s[22:23], s[22:23], .str.4@rel64+4
	s_cselect_b32 s38, -1, 0
	s_cmp_lg_u64 s[0:1], 0
	s_mov_b32 s0, -1
	s_cselect_b32 s37, -1, 0
	s_wait_kmcnt 0x0
	s_add_co_i32 s20, s10, -1
	s_mov_b32 s45, 0
	s_cmp_gt_i32 s20, -1
	s_mov_b32 s43, 0
	s_cselect_b32 s36, -1, 0
	s_cmp_lg_u64 s[22:23], 0
	s_mov_b32 s42, 0
	s_cselect_b32 s11, -1, 0
	s_mov_b32 s41, 0
	s_mov_b32 s39, 0
	s_and_saveexec_b32 s44, s2
	s_cbranch_execz .LBB60_29
; %bb.9:
	s_wait_loadcnt 0x4
	v_cmp_eq_u64_e32 vcc_lo, s[4:5], v[40:41]
	s_mov_b32 s1, -1
	s_mov_b32 s0, 0
	s_mov_b32 s21, 0
	;; [unrolled: 1-line block ×4, first 2 shown]
	s_and_b32 s24, s40, vcc_lo
	s_delay_alu instid0(SALU_CYCLE_1)
	s_and_saveexec_b32 s39, s24
	s_cbranch_execz .LBB60_28
; %bb.10:
	s_wait_loadcnt 0x3
	v_cmp_eq_u64_e32 vcc_lo, s[8:9], v[36:37]
	s_and_b32 s23, s38, vcc_lo
	s_delay_alu instid0(SALU_CYCLE_1)
	s_and_saveexec_b32 s41, s23
	s_cbranch_execz .LBB60_27
; %bb.11:
	s_wait_loadcnt 0x1
	v_sub_nc_u64_e32 v[36:37], v[32:33], v[34:35]
	s_delay_alu instid0(VALU_DEP_1)
	v_cmp_le_i64_e32 vcc_lo, s[4:5], v[36:37]
	v_cmp_ge_i64_e64 s0, s[6:7], v[36:37]
	s_and_b32 s21, vcc_lo, s0
	s_mov_b32 s0, 0
	s_and_b32 s22, s37, s21
	s_mov_b32 s21, 0
	s_and_saveexec_b32 s42, s22
	s_cbranch_execz .LBB60_26
; %bb.12:
	v_cmp_lt_i64_e64 s0, s[8:9], 1
	v_mov_b64_e32 v[36:37], 0
	s_xor_b32 s1, s36, -1
	s_delay_alu instid0(SALU_CYCLE_1) | instskip(NEXT) | instid1(SALU_CYCLE_1)
	s_or_b32 s0, s0, s1
	s_and_b32 vcc_lo, exec_lo, s0
	s_cbranch_vccnz .LBB60_19
; %bb.13:
	s_wait_loadcnt 0x0
	v_mul_u64_e32 v[40:41], s[8:9], v[38:39]
	s_mov_b32 s1, 0
	v_mov_b64_e32 v[36:37], 0
	s_mov_b32 s21, s1
	v_mov_b32_e32 v38, 0
	s_lshl_b64 s[26:27], s[20:21], 3
	s_mov_b64 s[22:23], 0xffffffff
	s_add_nc_u64 s[24:25], s[12:13], s[26:27]
	s_add_nc_u64 s[26:27], s[14:15], s[26:27]
	s_mov_b32 s21, s10
	s_branch .LBB60_15
.LBB60_14:                              ;   in Loop: Header=BB60_15 Depth=1
	s_or_b32 exec_lo, exec_lo, s0
	s_delay_alu instid0(VALU_DEP_1)
	v_mul_u64_e32 v[44:45], s[28:29], v[42:43]
	s_load_b64 s[28:29], s[26:27], 0x0
	s_add_co_i32 s21, s21, -1
	s_add_nc_u64 s[24:25], s[24:25], -8
	s_cmp_eq_u32 s21, 0
	s_wait_xcnt 0x0
	s_add_nc_u64 s[26:27], s[26:27], -8
	s_delay_alu instid0(VALU_DEP_1) | instskip(SKIP_1) | instid1(VALU_DEP_1)
	v_sub_nc_u64_e32 v[40:41], v[40:41], v[44:45]
	s_wait_kmcnt 0x0
	v_mad_nc_u64_u32 v[36:37], v40, s28, v[36:37]
	s_delay_alu instid0(VALU_DEP_1) | instskip(NEXT) | instid1(VALU_DEP_1)
	v_mad_u32 v37, v41, s28, v37
	v_mad_u32 v37, v40, s29, v37
	v_mov_b64_e32 v[40:41], v[42:43]
	s_cbranch_scc1 .LBB60_19
.LBB60_15:                              ; =>This Inner Loop Header: Depth=1
	s_load_b64 s[28:29], s[24:25], 0x0
                                        ; implicit-def: $vgpr42_vgpr43
	s_mov_b32 s0, exec_lo
	s_wait_kmcnt 0x0
	s_delay_alu instid0(VALU_DEP_1) | instskip(NEXT) | instid1(VALU_DEP_1)
	v_or_b32_e32 v39, s29, v41
	v_cmpx_ne_u64_e32 0, v[38:39]
	s_xor_b32 s43, exec_lo, s0
	s_cbranch_execz .LBB60_17
; %bb.16:                               ;   in Loop: Header=BB60_15 Depth=1
	s_ashr_i32 s30, s29, 31
	v_dual_mov_b32 v47, v38 :: v_dual_ashrrev_i32 v42, 31, v41
	s_mov_b32 s31, s30
	v_mov_b32_e32 v55, v38
	s_add_nc_u64 s[34:35], s[28:29], s[30:31]
	s_delay_alu instid0(VALU_DEP_2) | instskip(SKIP_1) | instid1(SALU_CYCLE_1)
	v_mov_b32_e32 v43, v42
	s_xor_b64 s[34:35], s[34:35], s[30:31]
	s_cvt_f32_u32 s0, s34
	s_cvt_f32_u32 s31, s35
	s_sub_nc_u64 s[48:49], 0, s[34:35]
	v_add_nc_u64_e32 v[44:45], v[40:41], v[42:43]
	v_mov_b32_e32 v51, v38
	s_fmamk_f32 s0, s31, 0x4f800000, s0
	s_delay_alu instid0(SALU_CYCLE_3) | instskip(NEXT) | instid1(VALU_DEP_2)
	v_s_rcp_f32 s0, s0
	v_xor_b32_e32 v46, v44, v42
	s_delay_alu instid0(VALU_DEP_3) | instskip(NEXT) | instid1(TRANS32_DEP_1)
	v_xor_b32_e32 v50, v45, v42
	s_mul_f32 s0, s0, 0x5f7ffffc
	s_delay_alu instid0(SALU_CYCLE_3) | instskip(NEXT) | instid1(SALU_CYCLE_3)
	s_mul_f32 s31, s0, 0x2f800000
	s_trunc_f32 s31, s31
	s_delay_alu instid0(SALU_CYCLE_3) | instskip(SKIP_1) | instid1(SALU_CYCLE_2)
	s_fmamk_f32 s0, s31, 0xcf800000, s0
	s_cvt_u32_f32 s47, s31
	s_cvt_u32_f32 s46, s0
	s_delay_alu instid0(SALU_CYCLE_3) | instskip(NEXT) | instid1(SALU_CYCLE_1)
	s_mul_u64 s[50:51], s[48:49], s[46:47]
	s_mul_hi_u32 s53, s46, s51
	s_mul_i32 s52, s46, s51
	s_mul_hi_u32 s0, s46, s50
	s_mul_i32 s54, s47, s50
	s_add_nc_u64 s[52:53], s[0:1], s[52:53]
	s_mul_hi_u32 s31, s47, s50
	s_mul_hi_u32 s55, s47, s51
	s_add_co_u32 s0, s52, s54
	s_add_co_ci_u32 s0, s53, s31
	s_mul_i32 s50, s47, s51
	s_add_co_ci_u32 s51, s55, 0
	s_delay_alu instid0(SALU_CYCLE_1) | instskip(NEXT) | instid1(SALU_CYCLE_1)
	s_add_nc_u64 s[50:51], s[0:1], s[50:51]
	s_add_co_u32 s46, s46, s50
	s_cselect_b32 s0, -1, 0
	s_delay_alu instid0(SALU_CYCLE_1) | instskip(SKIP_1) | instid1(SALU_CYCLE_1)
	s_cmp_lg_u32 s0, 0
	s_add_co_ci_u32 s47, s47, s51
	s_mul_u64 s[48:49], s[48:49], s[46:47]
	s_delay_alu instid0(SALU_CYCLE_1)
	s_mul_hi_u32 s51, s46, s49
	s_mul_i32 s50, s46, s49
	s_mul_hi_u32 s0, s46, s48
	s_mul_i32 s52, s47, s48
	s_add_nc_u64 s[50:51], s[0:1], s[50:51]
	s_mul_hi_u32 s31, s47, s48
	s_mul_hi_u32 s53, s47, s49
	s_add_co_u32 s0, s50, s52
	s_add_co_ci_u32 s0, s51, s31
	s_mul_i32 s48, s47, s49
	s_add_co_ci_u32 s49, s53, 0
	s_delay_alu instid0(SALU_CYCLE_1) | instskip(NEXT) | instid1(SALU_CYCLE_1)
	s_add_nc_u64 s[48:49], s[0:1], s[48:49]
	s_add_co_u32 s46, s46, s48
	s_cselect_b32 s0, -1, 0
	v_mul_hi_u32 v54, v46, s46
	s_cmp_lg_u32 s0, 0
	s_add_co_ci_u32 s0, s47, s49
	s_and_b64 s[48:49], s[46:47], s[22:23]
	v_mul_u64_e32 v[48:49], s[0:1], v[46:47]
	v_mul_u64_e32 v[44:45], s[48:49], v[50:51]
	;; [unrolled: 1-line block ×3, first 2 shown]
	s_delay_alu instid0(VALU_DEP_3) | instskip(NEXT) | instid1(VALU_DEP_1)
	v_add_nc_u64_e32 v[48:49], v[54:55], v[48:49]
	v_add_co_u32 v39, vcc_lo, v48, v44
	s_delay_alu instid0(VALU_DEP_2) | instskip(NEXT) | instid1(VALU_DEP_4)
	v_add_co_ci_u32_e32 v54, vcc_lo, v49, v45, vcc_lo
	v_add_co_ci_u32_e32 v53, vcc_lo, 0, v53, vcc_lo
	s_delay_alu instid0(VALU_DEP_1) | instskip(NEXT) | instid1(VALU_DEP_1)
	v_add_nc_u64_e32 v[44:45], v[54:55], v[52:53]
	v_mul_u64_e32 v[48:49], s[34:35], v[44:45]
	s_delay_alu instid0(VALU_DEP_1) | instskip(NEXT) | instid1(VALU_DEP_2)
	v_sub_nc_u32_e32 v39, v50, v49
	v_sub_co_u32 v43, vcc_lo, v46, v48
	s_delay_alu instid0(VALU_DEP_1) | instskip(NEXT) | instid1(VALU_DEP_3)
	v_sub_co_ci_u32_e64 v50, null, v50, v49, vcc_lo
	v_subrev_co_ci_u32_e64 v39, null, s35, v39, vcc_lo
	s_delay_alu instid0(VALU_DEP_3) | instskip(SKIP_1) | instid1(VALU_DEP_3)
	v_sub_co_u32 v46, s0, v43, s34
	v_add_nc_u64_e32 v[48:49], 1, v[44:45]
	v_subrev_co_ci_u32_e64 v39, null, 0, v39, s0
	s_delay_alu instid0(VALU_DEP_3) | instskip(SKIP_1) | instid1(VALU_DEP_3)
	v_cmp_le_u32_e32 vcc_lo, s34, v46
	v_cndmask_b32_e64 v46, 0, -1, vcc_lo
	v_cmp_le_u32_e32 vcc_lo, s35, v39
	v_cndmask_b32_e64 v47, 0, -1, vcc_lo
	;; [unrolled: 2-line block ×4, first 2 shown]
	v_cmp_eq_u32_e32 vcc_lo, s35, v39
	v_cndmask_b32_e32 v39, v47, v46, vcc_lo
	v_cmp_eq_u32_e32 vcc_lo, s35, v50
	v_add_nc_u64_e32 v[46:47], 2, v[44:45]
	v_cndmask_b32_e32 v43, v51, v43, vcc_lo
	s_delay_alu instid0(VALU_DEP_4) | instskip(NEXT) | instid1(VALU_DEP_2)
	v_cmp_ne_u32_e32 vcc_lo, 0, v39
	v_cmp_ne_u32_e64 s0, 0, v43
	s_delay_alu instid0(VALU_DEP_4) | instskip(NEXT) | instid1(VALU_DEP_1)
	v_dual_cndmask_b32 v39, v49, v47, vcc_lo :: v_dual_cndmask_b32 v43, v48, v46, vcc_lo
	v_dual_cndmask_b32 v39, v45, v39, s0 :: v_dual_bitop2_b32 v42, s30, v42 bitop3:0x14
	s_delay_alu instid0(VALU_DEP_1) | instskip(NEXT) | instid1(VALU_DEP_2)
	v_dual_cndmask_b32 v44, v44, v43, s0 :: v_dual_mov_b32 v43, v42
	v_xor_b32_e32 v45, v39, v42
	s_delay_alu instid0(VALU_DEP_2) | instskip(NEXT) | instid1(VALU_DEP_1)
	v_xor_b32_e32 v44, v44, v42
	v_sub_nc_u64_e32 v[42:43], v[44:45], v[42:43]
.LBB60_17:                              ;   in Loop: Header=BB60_15 Depth=1
	s_and_not1_saveexec_b32 s0, s43
	s_cbranch_execz .LBB60_14
; %bb.18:                               ;   in Loop: Header=BB60_15 Depth=1
	v_cvt_f32_u32_e32 v39, s28
	s_sub_co_i32 s30, 0, s28
	s_delay_alu instid0(VALU_DEP_1) | instskip(SKIP_1) | instid1(TRANS32_DEP_1)
	v_rcp_iflag_f32_e32 v39, v39
	v_nop
	v_mul_f32_e32 v39, 0x4f7ffffe, v39
	s_delay_alu instid0(VALU_DEP_1) | instskip(NEXT) | instid1(VALU_DEP_1)
	v_cvt_u32_f32_e32 v39, v39
	v_mul_lo_u32 v42, s30, v39
	s_delay_alu instid0(VALU_DEP_1) | instskip(NEXT) | instid1(VALU_DEP_1)
	v_mul_hi_u32 v42, v39, v42
	v_add_nc_u32_e32 v39, v39, v42
	s_delay_alu instid0(VALU_DEP_1) | instskip(NEXT) | instid1(VALU_DEP_1)
	v_mul_hi_u32 v39, v40, v39
	v_mul_lo_u32 v42, v39, s28
	s_delay_alu instid0(VALU_DEP_1) | instskip(NEXT) | instid1(VALU_DEP_1)
	v_dual_add_nc_u32 v43, 1, v39 :: v_dual_sub_nc_u32 v42, v40, v42
	v_subrev_nc_u32_e32 v44, s28, v42
	v_cmp_le_u32_e32 vcc_lo, s28, v42
	s_delay_alu instid0(VALU_DEP_2) | instskip(NEXT) | instid1(VALU_DEP_1)
	v_dual_cndmask_b32 v42, v42, v44 :: v_dual_cndmask_b32 v39, v39, v43
	v_cmp_le_u32_e32 vcc_lo, s28, v42
	s_delay_alu instid0(VALU_DEP_2) | instskip(NEXT) | instid1(VALU_DEP_1)
	v_add_nc_u32_e32 v43, 1, v39
	v_dual_cndmask_b32 v42, v39, v43 :: v_dual_mov_b32 v43, v38
	s_branch .LBB60_14
.LBB60_19:
	s_mov_b32 s22, -1
	s_mov_b32 s1, 0
	s_mov_b32 s0, exec_lo
	v_cmpx_gt_i64_e64 v[32:33], v[34:35]
	s_cbranch_execz .LBB60_25
; %bb.20:
	s_delay_alu instid0(VALU_DEP_2) | instskip(SKIP_1) | instid1(VALU_DEP_1)
	v_lshlrev_b64_e32 v[36:37], 3, v[36:37]
	s_xor_b32 s22, s11, -1
                                        ; implicit-def: $sgpr21
                                        ; implicit-def: $sgpr24
                                        ; implicit-def: $sgpr23
	v_lshl_add_u64 v[34:35], v[34:35], 3, v[36:37]
	v_add_nc_u64_e32 v[36:37], s[16:17], v[36:37]
	s_delay_alu instid0(VALU_DEP_2) | instskip(NEXT) | instid1(VALU_DEP_2)
	v_add_nc_u64_e32 v[34:35], s[16:17], v[34:35]
	v_lshl_add_u64 v[32:33], v[32:33], 3, v[36:37]
	s_delay_alu instid0(VALU_DEP_2)
	v_add_nc_u64_e32 v[34:35], 8, v[34:35]
	s_branch .LBB60_22
.LBB60_21:                              ;   in Loop: Header=BB60_22 Depth=1
	s_or_b32 exec_lo, exec_lo, s25
	s_delay_alu instid0(SALU_CYCLE_1) | instskip(NEXT) | instid1(SALU_CYCLE_1)
	s_and_b32 s25, exec_lo, s24
	s_or_b32 s1, s25, s1
	s_and_not1_b32 s21, s21, exec_lo
	s_and_b32 s25, s23, exec_lo
	s_delay_alu instid0(SALU_CYCLE_1)
	s_or_b32 s21, s21, s25
	s_and_not1_b32 exec_lo, exec_lo, s1
	s_cbranch_execz .LBB60_24
.LBB60_22:                              ; =>This Inner Loop Header: Depth=1
	s_or_b32 s23, s23, exec_lo
	s_or_b32 s24, s24, exec_lo
	s_mov_b32 s25, exec_lo
	s_delay_alu instid0(VALU_DEP_1)
	v_cmpx_lt_u64_e64 v[34:35], v[32:33]
	s_cbranch_execz .LBB60_21
; %bb.23:                               ;   in Loop: Header=BB60_22 Depth=1
	s_wait_loadcnt 0x0
	global_load_b128 v[36:39], v[34:35], off offset:-8
	s_wait_xcnt 0x0
	v_add_nc_u64_e32 v[34:35], 8, v[34:35]
	s_and_not1_b32 s24, s24, exec_lo
	s_and_not1_b32 s23, s23, exec_lo
	s_wait_loadcnt 0x0
	v_cmp_ge_i64_e32 vcc_lo, v[36:37], v[38:39]
	s_or_b32 s26, s22, vcc_lo
	s_delay_alu instid0(SALU_CYCLE_1) | instskip(NEXT) | instid1(SALU_CYCLE_1)
	s_and_b32 s26, s26, exec_lo
	s_or_b32 s24, s24, s26
	s_branch .LBB60_21
.LBB60_24:
	s_or_b32 exec_lo, exec_lo, s1
	s_delay_alu instid0(SALU_CYCLE_1)
	s_mov_b32 s1, exec_lo
	s_or_not1_b32 s22, s21, exec_lo
.LBB60_25:
	s_or_b32 exec_lo, exec_lo, s0
	s_delay_alu instid0(SALU_CYCLE_1)
	s_and_b32 s21, s1, exec_lo
	s_xor_b32 s1, exec_lo, -1
	s_and_b32 s0, s22, exec_lo
.LBB60_26:
	s_or_b32 exec_lo, exec_lo, s42
	s_delay_alu instid0(SALU_CYCLE_1)
	s_and_b32 s22, s21, exec_lo
	s_and_b32 s21, s1, exec_lo
	s_xor_b32 s1, exec_lo, -1
	s_and_b32 s0, s0, exec_lo
.LBB60_27:
	s_or_b32 exec_lo, exec_lo, s41
	s_delay_alu instid0(SALU_CYCLE_1)
	s_and_b32 s23, s22, exec_lo
	s_and_b32 s22, s21, exec_lo
	;; [unrolled: 1-line block ×3, first 2 shown]
	s_xor_b32 s1, exec_lo, -1
	s_and_b32 s0, s0, exec_lo
.LBB60_28:
	s_or_b32 exec_lo, exec_lo, s39
	s_delay_alu instid0(SALU_CYCLE_1)
	s_and_b32 s39, s23, exec_lo
	s_and_b32 s41, s22, exec_lo
	;; [unrolled: 1-line block ×4, first 2 shown]
	s_or_not1_b32 s0, s0, exec_lo
.LBB60_29:
	s_or_b32 exec_lo, exec_lo, s44
	s_mov_b32 s1, 0
	s_and_saveexec_b32 s44, s0
	s_cbranch_execz .LBB60_79
; %bb.30:
	s_mov_b32 s0, -1
	s_mov_b32 s50, 0
	s_mov_b32 s45, s43
	;; [unrolled: 1-line block ×5, first 2 shown]
	s_mov_b32 s49, exec_lo
	v_cmpx_gt_i32_e64 s33, v1
	s_cbranch_execz .LBB60_51
; %bb.31:
	s_wait_loadcnt 0x4
	v_cmp_eq_u64_e32 vcc_lo, s[4:5], v[28:29]
	s_mov_b32 s1, -1
	s_mov_b32 s0, 0
	s_mov_b32 s22, s42
	;; [unrolled: 1-line block ×4, first 2 shown]
	s_and_b32 s24, s40, vcc_lo
	s_delay_alu instid0(SALU_CYCLE_1)
	s_and_saveexec_b32 s45, s24
	s_cbranch_execz .LBB60_50
; %bb.32:
	s_wait_loadcnt 0x3
	v_cmp_eq_u64_e32 vcc_lo, s[8:9], v[30:31]
	s_mov_b32 s22, s41
	s_and_b32 s23, s38, vcc_lo
	s_delay_alu instid0(SALU_CYCLE_1)
	s_and_saveexec_b32 s46, s23
	s_cbranch_execz .LBB60_49
; %bb.33:
	s_wait_loadcnt 0x1
	v_sub_nc_u64_e32 v[28:29], v[22:23], v[24:25]
	s_delay_alu instid0(VALU_DEP_1)
	v_cmp_le_i64_e32 vcc_lo, s[4:5], v[28:29]
	v_cmp_ge_i64_e64 s0, s[6:7], v[28:29]
	s_and_b32 s21, vcc_lo, s0
	s_mov_b32 s0, 0
	s_and_b32 s22, s37, s21
	s_mov_b32 s21, 0
	s_and_saveexec_b32 s47, s22
	s_cbranch_execz .LBB60_48
; %bb.34:
	v_cmp_lt_i64_e64 s0, s[8:9], 1
	v_mov_b64_e32 v[28:29], 0
	s_xor_b32 s1, s36, -1
	s_delay_alu instid0(SALU_CYCLE_1) | instskip(NEXT) | instid1(SALU_CYCLE_1)
	s_or_b32 s0, s0, s1
	s_and_b32 vcc_lo, exec_lo, s0
	s_cbranch_vccnz .LBB60_41
; %bb.35:
	s_wait_loadcnt 0x0
	v_mul_u64_e32 v[30:31], s[8:9], v[26:27]
	s_mov_b32 s1, 0
	v_mov_b64_e32 v[28:29], 0
	s_mov_b32 s21, s1
	v_mov_b32_e32 v26, 0
	s_lshl_b64 s[26:27], s[20:21], 3
	s_mov_b64 s[22:23], 0xffffffff
	s_add_nc_u64 s[24:25], s[12:13], s[26:27]
	s_add_nc_u64 s[26:27], s[14:15], s[26:27]
	s_mov_b32 s21, s10
	s_branch .LBB60_37
.LBB60_36:                              ;   in Loop: Header=BB60_37 Depth=1
	s_or_b32 exec_lo, exec_lo, s0
	s_delay_alu instid0(VALU_DEP_1)
	v_mul_u64_e32 v[34:35], s[28:29], v[32:33]
	s_load_b64 s[28:29], s[26:27], 0x0
	s_add_co_i32 s21, s21, -1
	s_add_nc_u64 s[24:25], s[24:25], -8
	s_cmp_lg_u32 s21, 0
	s_wait_xcnt 0x0
	s_add_nc_u64 s[26:27], s[26:27], -8
	s_delay_alu instid0(VALU_DEP_1) | instskip(SKIP_1) | instid1(VALU_DEP_1)
	v_sub_nc_u64_e32 v[30:31], v[30:31], v[34:35]
	s_wait_kmcnt 0x0
	v_mad_nc_u64_u32 v[28:29], v30, s28, v[28:29]
	s_delay_alu instid0(VALU_DEP_1) | instskip(NEXT) | instid1(VALU_DEP_1)
	v_mad_u32 v27, v31, s28, v29
	v_mad_u32 v29, v30, s29, v27
	v_mov_b64_e32 v[30:31], v[32:33]
	s_cbranch_scc0 .LBB60_41
.LBB60_37:                              ; =>This Inner Loop Header: Depth=1
	s_load_b64 s[28:29], s[24:25], 0x0
                                        ; implicit-def: $vgpr32_vgpr33
	s_mov_b32 s0, exec_lo
	s_wait_kmcnt 0x0
	s_delay_alu instid0(VALU_DEP_1) | instskip(NEXT) | instid1(VALU_DEP_1)
	v_or_b32_e32 v27, s29, v31
	v_cmpx_ne_u64_e32 0, v[26:27]
	s_xor_b32 s48, exec_lo, s0
	s_cbranch_execz .LBB60_39
; %bb.38:                               ;   in Loop: Header=BB60_37 Depth=1
	s_ashr_i32 s30, s29, 31
	v_dual_mov_b32 v37, v26 :: v_dual_ashrrev_i32 v32, 31, v31
	s_mov_b32 s31, s30
	s_delay_alu instid0(SALU_CYCLE_1) | instskip(NEXT) | instid1(VALU_DEP_1)
	s_add_nc_u64 s[34:35], s[28:29], s[30:31]
	v_mov_b32_e32 v33, v32
	s_xor_b64 s[34:35], s[34:35], s[30:31]
	s_delay_alu instid0(SALU_CYCLE_1)
	s_cvt_f32_u32 s0, s34
	s_cvt_f32_u32 s31, s35
	s_sub_nc_u64 s[54:55], 0, s[34:35]
	v_add_nc_u64_e32 v[34:35], v[30:31], v[32:33]
	v_mov_b32_e32 v41, v26
	s_fmamk_f32 s0, s31, 0x4f800000, s0
	s_delay_alu instid0(SALU_CYCLE_3) | instskip(NEXT) | instid1(VALU_DEP_2)
	v_s_rcp_f32 s0, s0
	v_xor_b32_e32 v36, v34, v32
	s_delay_alu instid0(VALU_DEP_3) | instskip(SKIP_1) | instid1(TRANS32_DEP_1)
	v_dual_mov_b32 v45, v26 :: v_dual_bitop2_b32 v40, v35, v32 bitop3:0x14
	v_xor_b32_e32 v32, s30, v32
	s_mul_f32 s0, s0, 0x5f7ffffc
	s_delay_alu instid0(SALU_CYCLE_3) | instskip(NEXT) | instid1(SALU_CYCLE_3)
	s_mul_f32 s31, s0, 0x2f800000
	s_trunc_f32 s31, s31
	s_delay_alu instid0(SALU_CYCLE_3) | instskip(SKIP_1) | instid1(SALU_CYCLE_2)
	s_fmamk_f32 s0, s31, 0xcf800000, s0
	s_cvt_u32_f32 s53, s31
	s_cvt_u32_f32 s52, s0
	s_delay_alu instid0(SALU_CYCLE_3) | instskip(NEXT) | instid1(SALU_CYCLE_1)
	s_mul_u64 s[56:57], s[54:55], s[52:53]
	s_mul_hi_u32 s59, s52, s57
	s_mul_i32 s58, s52, s57
	s_mul_hi_u32 s0, s52, s56
	s_mul_i32 s51, s53, s56
	s_add_nc_u64 s[58:59], s[0:1], s[58:59]
	s_mul_hi_u32 s31, s53, s56
	s_mul_hi_u32 s60, s53, s57
	s_add_co_u32 s0, s58, s51
	s_add_co_ci_u32 s0, s59, s31
	s_mul_i32 s56, s53, s57
	s_add_co_ci_u32 s57, s60, 0
	s_delay_alu instid0(SALU_CYCLE_1) | instskip(NEXT) | instid1(SALU_CYCLE_1)
	s_add_nc_u64 s[56:57], s[0:1], s[56:57]
	s_add_co_u32 s52, s52, s56
	s_cselect_b32 s0, -1, 0
	s_delay_alu instid0(SALU_CYCLE_1) | instskip(SKIP_1) | instid1(SALU_CYCLE_1)
	s_cmp_lg_u32 s0, 0
	s_add_co_ci_u32 s53, s53, s57
	s_mul_u64 s[54:55], s[54:55], s[52:53]
	s_delay_alu instid0(SALU_CYCLE_1)
	s_mul_hi_u32 s57, s52, s55
	s_mul_i32 s56, s52, s55
	s_mul_hi_u32 s0, s52, s54
	s_mul_i32 s51, s53, s54
	s_add_nc_u64 s[56:57], s[0:1], s[56:57]
	s_mul_hi_u32 s31, s53, s54
	s_mul_hi_u32 s58, s53, s55
	s_add_co_u32 s0, s56, s51
	s_add_co_ci_u32 s0, s57, s31
	s_mul_i32 s54, s53, s55
	s_add_co_ci_u32 s55, s58, 0
	s_delay_alu instid0(SALU_CYCLE_1) | instskip(NEXT) | instid1(SALU_CYCLE_1)
	s_add_nc_u64 s[54:55], s[0:1], s[54:55]
	s_add_co_u32 s52, s52, s54
	s_cselect_b32 s0, -1, 0
	v_mul_hi_u32 v44, v36, s52
	s_cmp_lg_u32 s0, 0
	s_add_co_ci_u32 s0, s53, s55
	s_and_b64 s[54:55], s[52:53], s[22:23]
	v_mul_u64_e32 v[38:39], s[0:1], v[36:37]
	v_mul_u64_e32 v[34:35], s[54:55], v[40:41]
	;; [unrolled: 1-line block ×3, first 2 shown]
	s_delay_alu instid0(VALU_DEP_3) | instskip(NEXT) | instid1(VALU_DEP_1)
	v_add_nc_u64_e32 v[38:39], v[44:45], v[38:39]
	v_add_co_u32 v27, vcc_lo, v38, v34
	s_delay_alu instid0(VALU_DEP_2) | instskip(NEXT) | instid1(VALU_DEP_4)
	v_add_co_ci_u32_e32 v44, vcc_lo, v39, v35, vcc_lo
	v_add_co_ci_u32_e32 v43, vcc_lo, 0, v43, vcc_lo
	s_delay_alu instid0(VALU_DEP_1) | instskip(NEXT) | instid1(VALU_DEP_1)
	v_add_nc_u64_e32 v[34:35], v[44:45], v[42:43]
	v_mul_u64_e32 v[38:39], s[34:35], v[34:35]
	s_delay_alu instid0(VALU_DEP_1) | instskip(NEXT) | instid1(VALU_DEP_2)
	v_sub_nc_u32_e32 v27, v40, v39
	v_sub_co_u32 v33, vcc_lo, v36, v38
	s_delay_alu instid0(VALU_DEP_1) | instskip(NEXT) | instid1(VALU_DEP_3)
	v_sub_co_ci_u32_e64 v40, null, v40, v39, vcc_lo
	v_subrev_co_ci_u32_e64 v27, null, s35, v27, vcc_lo
	s_delay_alu instid0(VALU_DEP_3) | instskip(SKIP_1) | instid1(VALU_DEP_3)
	v_sub_co_u32 v36, s0, v33, s34
	v_add_nc_u64_e32 v[38:39], 1, v[34:35]
	v_subrev_co_ci_u32_e64 v27, null, 0, v27, s0
	s_delay_alu instid0(VALU_DEP_3) | instskip(SKIP_1) | instid1(VALU_DEP_3)
	v_cmp_le_u32_e32 vcc_lo, s34, v36
	v_cndmask_b32_e64 v36, 0, -1, vcc_lo
	v_cmp_le_u32_e32 vcc_lo, s35, v27
	v_cndmask_b32_e64 v37, 0, -1, vcc_lo
	;; [unrolled: 2-line block ×4, first 2 shown]
	v_cmp_eq_u32_e32 vcc_lo, s35, v27
	v_cndmask_b32_e32 v27, v37, v36, vcc_lo
	v_cmp_eq_u32_e32 vcc_lo, s35, v40
	v_add_nc_u64_e32 v[36:37], 2, v[34:35]
	v_cndmask_b32_e32 v33, v41, v33, vcc_lo
	s_delay_alu instid0(VALU_DEP_4) | instskip(NEXT) | instid1(VALU_DEP_2)
	v_cmp_ne_u32_e32 vcc_lo, 0, v27
	v_cmp_ne_u32_e64 s0, 0, v33
	s_delay_alu instid0(VALU_DEP_4) | instskip(NEXT) | instid1(VALU_DEP_1)
	v_dual_cndmask_b32 v27, v39, v37, vcc_lo :: v_dual_cndmask_b32 v33, v38, v36, vcc_lo
	v_dual_cndmask_b32 v34, v34, v33, s0 :: v_dual_mov_b32 v33, v32
	s_delay_alu instid0(VALU_DEP_1) | instskip(NEXT) | instid1(VALU_DEP_1)
	v_dual_cndmask_b32 v27, v35, v27, s0 :: v_dual_bitop2_b32 v34, v34, v32 bitop3:0x14
	v_xor_b32_e32 v35, v27, v32
	s_delay_alu instid0(VALU_DEP_1)
	v_sub_nc_u64_e32 v[32:33], v[34:35], v[32:33]
.LBB60_39:                              ;   in Loop: Header=BB60_37 Depth=1
	s_and_not1_saveexec_b32 s0, s48
	s_cbranch_execz .LBB60_36
; %bb.40:                               ;   in Loop: Header=BB60_37 Depth=1
	v_cvt_f32_u32_e32 v27, s28
	s_sub_co_i32 s30, 0, s28
	s_delay_alu instid0(VALU_DEP_1) | instskip(SKIP_1) | instid1(TRANS32_DEP_1)
	v_rcp_iflag_f32_e32 v27, v27
	v_nop
	v_mul_f32_e32 v27, 0x4f7ffffe, v27
	s_delay_alu instid0(VALU_DEP_1) | instskip(NEXT) | instid1(VALU_DEP_1)
	v_cvt_u32_f32_e32 v27, v27
	v_mul_lo_u32 v32, s30, v27
	s_delay_alu instid0(VALU_DEP_1) | instskip(NEXT) | instid1(VALU_DEP_1)
	v_mul_hi_u32 v32, v27, v32
	v_add_nc_u32_e32 v27, v27, v32
	s_delay_alu instid0(VALU_DEP_1) | instskip(NEXT) | instid1(VALU_DEP_1)
	v_mul_hi_u32 v27, v30, v27
	v_mul_lo_u32 v32, v27, s28
	s_delay_alu instid0(VALU_DEP_1) | instskip(NEXT) | instid1(VALU_DEP_1)
	v_dual_add_nc_u32 v33, 1, v27 :: v_dual_sub_nc_u32 v32, v30, v32
	v_subrev_nc_u32_e32 v34, s28, v32
	v_cmp_le_u32_e32 vcc_lo, s28, v32
	s_delay_alu instid0(VALU_DEP_2) | instskip(NEXT) | instid1(VALU_DEP_1)
	v_dual_cndmask_b32 v32, v32, v34 :: v_dual_cndmask_b32 v27, v27, v33
	v_cmp_le_u32_e32 vcc_lo, s28, v32
	s_delay_alu instid0(VALU_DEP_2) | instskip(NEXT) | instid1(VALU_DEP_1)
	v_add_nc_u32_e32 v33, 1, v27
	v_dual_cndmask_b32 v32, v27, v33 :: v_dual_mov_b32 v33, v26
	s_branch .LBB60_36
.LBB60_41:
	s_mov_b32 s22, -1
	s_mov_b32 s1, 0
	s_mov_b32 s0, exec_lo
	v_cmpx_gt_i64_e64 v[22:23], v[24:25]
	s_cbranch_execz .LBB60_47
; %bb.42:
	s_wait_loadcnt 0x0
	s_delay_alu instid0(VALU_DEP_2) | instskip(SKIP_1) | instid1(VALU_DEP_1)
	v_lshlrev_b64_e32 v[26:27], 3, v[28:29]
	s_xor_b32 s22, s11, -1
                                        ; implicit-def: $sgpr21
                                        ; implicit-def: $sgpr24
                                        ; implicit-def: $sgpr23
	v_lshl_add_u64 v[24:25], v[24:25], 3, v[26:27]
	v_add_nc_u64_e32 v[26:27], s[16:17], v[26:27]
	s_delay_alu instid0(VALU_DEP_2) | instskip(NEXT) | instid1(VALU_DEP_2)
	v_add_nc_u64_e32 v[24:25], s[16:17], v[24:25]
	v_lshl_add_u64 v[22:23], v[22:23], 3, v[26:27]
	s_delay_alu instid0(VALU_DEP_2)
	v_add_nc_u64_e32 v[24:25], 8, v[24:25]
	s_branch .LBB60_44
.LBB60_43:                              ;   in Loop: Header=BB60_44 Depth=1
	s_or_b32 exec_lo, exec_lo, s25
	s_delay_alu instid0(SALU_CYCLE_1) | instskip(NEXT) | instid1(SALU_CYCLE_1)
	s_and_b32 s25, exec_lo, s24
	s_or_b32 s1, s25, s1
	s_and_not1_b32 s21, s21, exec_lo
	s_and_b32 s25, s23, exec_lo
	s_delay_alu instid0(SALU_CYCLE_1)
	s_or_b32 s21, s21, s25
	s_and_not1_b32 exec_lo, exec_lo, s1
	s_cbranch_execz .LBB60_46
.LBB60_44:                              ; =>This Inner Loop Header: Depth=1
	s_or_b32 s23, s23, exec_lo
	s_or_b32 s24, s24, exec_lo
	s_mov_b32 s25, exec_lo
	s_delay_alu instid0(VALU_DEP_1)
	v_cmpx_lt_u64_e64 v[24:25], v[22:23]
	s_cbranch_execz .LBB60_43
; %bb.45:                               ;   in Loop: Header=BB60_44 Depth=1
	global_load_b128 v[26:29], v[24:25], off offset:-8
	s_wait_xcnt 0x0
	v_add_nc_u64_e32 v[24:25], 8, v[24:25]
	s_and_not1_b32 s24, s24, exec_lo
	s_and_not1_b32 s23, s23, exec_lo
	s_wait_loadcnt 0x0
	v_cmp_ge_i64_e32 vcc_lo, v[26:27], v[28:29]
	s_or_b32 s26, s22, vcc_lo
	s_delay_alu instid0(SALU_CYCLE_1) | instskip(NEXT) | instid1(SALU_CYCLE_1)
	s_and_b32 s26, s26, exec_lo
	s_or_b32 s24, s24, s26
	s_branch .LBB60_43
.LBB60_46:
	s_or_b32 exec_lo, exec_lo, s1
	s_delay_alu instid0(SALU_CYCLE_1)
	s_mov_b32 s1, exec_lo
	s_or_not1_b32 s22, s21, exec_lo
.LBB60_47:
	s_or_b32 exec_lo, exec_lo, s0
	s_delay_alu instid0(SALU_CYCLE_1)
	s_and_b32 s21, s1, exec_lo
	s_xor_b32 s1, exec_lo, -1
	s_and_b32 s0, s22, exec_lo
.LBB60_48:
	s_or_b32 exec_lo, exec_lo, s47
	s_delay_alu instid0(SALU_CYCLE_1)
	s_and_not1_b32 s22, s41, exec_lo
	s_and_b32 s1, s1, exec_lo
	s_and_b32 s21, s21, exec_lo
	s_or_b32 s22, s22, s1
	s_xor_b32 s1, exec_lo, -1
	s_and_b32 s0, s0, exec_lo
.LBB60_49:
	s_or_b32 exec_lo, exec_lo, s46
	s_delay_alu instid0(SALU_CYCLE_1)
	s_and_not1_b32 s23, s41, exec_lo
	s_and_b32 s22, s22, exec_lo
	s_and_not1_b32 s24, s42, exec_lo
	s_and_b32 s1, s1, exec_lo
	s_and_b32 s21, s21, exec_lo
	s_or_b32 s23, s23, s22
	s_or_b32 s22, s24, s1
	s_xor_b32 s1, exec_lo, -1
	s_and_b32 s0, s0, exec_lo
.LBB60_50:
	s_or_b32 exec_lo, exec_lo, s45
	s_delay_alu instid0(SALU_CYCLE_1)
	s_and_not1_b32 s24, s41, exec_lo
	s_and_b32 s23, s23, exec_lo
	s_and_b32 s48, s21, exec_lo
	s_or_b32 s46, s24, s23
	s_and_not1_b32 s21, s42, exec_lo
	s_and_b32 s22, s22, exec_lo
	s_and_not1_b32 s23, s43, exec_lo
	s_and_b32 s1, s1, exec_lo
	s_or_b32 s47, s21, s22
	s_or_b32 s45, s23, s1
	s_or_not1_b32 s0, s0, exec_lo
.LBB60_51:
	s_or_b32 exec_lo, exec_lo, s49
	s_mov_b32 s22, 0
	s_and_saveexec_b32 s49, s0
	s_cbranch_execz .LBB60_78
; %bb.52:
	s_wait_loadcnt 0x1
	v_or_b32_e32 v22, 0x200, v0
	s_mov_b32 s24, -1
	s_mov_b32 s50, 0
	s_mov_b32 s0, s45
	s_mov_b32 s21, s47
	s_mov_b32 s1, s46
	s_mov_b32 s51, exec_lo
	v_cmpx_gt_i32_e64 s33, v22
	s_cbranch_execz .LBB60_73
; %bb.53:
	v_cmp_eq_u64_e32 vcc_lo, s[4:5], v[20:21]
	s_mov_b32 s0, -1
	s_mov_b32 s23, 0
	s_mov_b32 s24, s47
	;; [unrolled: 1-line block ×4, first 2 shown]
	s_and_b32 s21, s40, vcc_lo
	s_delay_alu instid0(SALU_CYCLE_1)
	s_and_saveexec_b32 s52, s21
	s_cbranch_execz .LBB60_72
; %bb.54:
	v_cmp_eq_u64_e32 vcc_lo, s[8:9], v[18:19]
	s_mov_b32 s21, 0
	s_mov_b32 s22, s46
	s_and_b32 s1, s38, vcc_lo
	s_delay_alu instid0(SALU_CYCLE_1)
	s_and_saveexec_b32 s53, s1
	s_cbranch_execz .LBB60_71
; %bb.55:
	v_sub_nc_u64_e32 v[18:19], v[12:13], v[14:15]
	s_mov_b32 s21, -1
	s_mov_b32 s1, 0
	s_delay_alu instid0(VALU_DEP_1) | instskip(SKIP_2) | instid1(SALU_CYCLE_1)
	v_cmp_le_i64_e32 vcc_lo, s[4:5], v[18:19]
	v_cmp_ge_i64_e64 s0, s[6:7], v[18:19]
	s_and_b32 s0, vcc_lo, s0
	s_and_b32 s22, s37, s0
	s_mov_b32 s0, 0
	s_and_saveexec_b32 s54, s22
	s_cbranch_execz .LBB60_70
; %bb.56:
	v_cmp_lt_i64_e64 s0, s[8:9], 1
	v_mov_b64_e32 v[18:19], 0
	s_xor_b32 s1, s36, -1
	s_delay_alu instid0(SALU_CYCLE_1) | instskip(NEXT) | instid1(SALU_CYCLE_1)
	s_or_b32 s0, s0, s1
	s_and_b32 vcc_lo, exec_lo, s0
	s_cbranch_vccnz .LBB60_63
; %bb.57:
	s_wait_loadcnt 0x0
	v_mul_u64_e32 v[20:21], s[8:9], v[16:17]
	s_mov_b32 s1, 0
	v_mov_b64_e32 v[18:19], 0
	s_mov_b32 s21, s1
	v_mov_b32_e32 v16, 0
	s_lshl_b64 s[26:27], s[20:21], 3
	s_mov_b64 s[22:23], 0xffffffff
	s_add_nc_u64 s[24:25], s[12:13], s[26:27]
	s_add_nc_u64 s[26:27], s[14:15], s[26:27]
	s_mov_b32 s21, s10
	s_branch .LBB60_59
.LBB60_58:                              ;   in Loop: Header=BB60_59 Depth=1
	s_or_b32 exec_lo, exec_lo, s0
	s_delay_alu instid0(VALU_DEP_1)
	v_mul_u64_e32 v[24:25], s[28:29], v[22:23]
	s_load_b64 s[28:29], s[26:27], 0x0
	s_add_co_i32 s21, s21, -1
	s_add_nc_u64 s[24:25], s[24:25], -8
	s_cmp_lg_u32 s21, 0
	s_wait_xcnt 0x0
	s_add_nc_u64 s[26:27], s[26:27], -8
	s_delay_alu instid0(VALU_DEP_1) | instskip(SKIP_1) | instid1(VALU_DEP_1)
	v_sub_nc_u64_e32 v[20:21], v[20:21], v[24:25]
	s_wait_kmcnt 0x0
	v_mad_nc_u64_u32 v[18:19], v20, s28, v[18:19]
	s_delay_alu instid0(VALU_DEP_1) | instskip(NEXT) | instid1(VALU_DEP_1)
	v_mad_u32 v17, v21, s28, v19
	v_mad_u32 v19, v20, s29, v17
	v_mov_b64_e32 v[20:21], v[22:23]
	s_cbranch_scc0 .LBB60_63
.LBB60_59:                              ; =>This Inner Loop Header: Depth=1
	s_load_b64 s[28:29], s[24:25], 0x0
                                        ; implicit-def: $vgpr22_vgpr23
	s_mov_b32 s0, exec_lo
	s_wait_kmcnt 0x0
	s_delay_alu instid0(VALU_DEP_1) | instskip(NEXT) | instid1(VALU_DEP_1)
	v_or_b32_e32 v17, s29, v21
	v_cmpx_ne_u64_e32 0, v[16:17]
	s_xor_b32 s55, exec_lo, s0
	s_cbranch_execz .LBB60_61
; %bb.60:                               ;   in Loop: Header=BB60_59 Depth=1
	s_ashr_i32 s30, s29, 31
	v_dual_mov_b32 v27, v16 :: v_dual_ashrrev_i32 v22, 31, v21
	s_mov_b32 s31, s30
	s_delay_alu instid0(SALU_CYCLE_1) | instskip(NEXT) | instid1(VALU_DEP_1)
	s_add_nc_u64 s[34:35], s[28:29], s[30:31]
	v_mov_b32_e32 v23, v22
	s_xor_b64 s[34:35], s[34:35], s[30:31]
	s_delay_alu instid0(SALU_CYCLE_1)
	s_cvt_f32_u32 s0, s34
	s_cvt_f32_u32 s31, s35
	s_sub_nc_u64 s[58:59], 0, s[34:35]
	v_add_nc_u64_e32 v[24:25], v[20:21], v[22:23]
	v_mov_b32_e32 v31, v16
	s_fmamk_f32 s0, s31, 0x4f800000, s0
	s_delay_alu instid0(SALU_CYCLE_3) | instskip(NEXT) | instid1(VALU_DEP_2)
	v_s_rcp_f32 s0, s0
	v_xor_b32_e32 v26, v24, v22
	s_delay_alu instid0(VALU_DEP_3) | instskip(SKIP_1) | instid1(TRANS32_DEP_1)
	v_dual_mov_b32 v35, v16 :: v_dual_bitop2_b32 v30, v25, v22 bitop3:0x14
	v_xor_b32_e32 v22, s30, v22
	s_mul_f32 s0, s0, 0x5f7ffffc
	s_delay_alu instid0(SALU_CYCLE_3) | instskip(NEXT) | instid1(SALU_CYCLE_3)
	s_mul_f32 s31, s0, 0x2f800000
	s_trunc_f32 s31, s31
	s_delay_alu instid0(SALU_CYCLE_3) | instskip(SKIP_1) | instid1(SALU_CYCLE_2)
	s_fmamk_f32 s0, s31, 0xcf800000, s0
	s_cvt_u32_f32 s57, s31
	s_cvt_u32_f32 s56, s0
	s_delay_alu instid0(SALU_CYCLE_3) | instskip(NEXT) | instid1(SALU_CYCLE_1)
	s_mul_u64 s[60:61], s[58:59], s[56:57]
	s_mul_hi_u32 s63, s56, s61
	s_mul_i32 s62, s56, s61
	s_mul_hi_u32 s0, s56, s60
	s_mul_i32 s64, s57, s60
	s_add_nc_u64 s[62:63], s[0:1], s[62:63]
	s_mul_hi_u32 s31, s57, s60
	s_mul_hi_u32 s65, s57, s61
	s_add_co_u32 s0, s62, s64
	s_add_co_ci_u32 s0, s63, s31
	s_mul_i32 s60, s57, s61
	s_add_co_ci_u32 s61, s65, 0
	s_delay_alu instid0(SALU_CYCLE_1) | instskip(NEXT) | instid1(SALU_CYCLE_1)
	s_add_nc_u64 s[60:61], s[0:1], s[60:61]
	s_add_co_u32 s56, s56, s60
	s_cselect_b32 s0, -1, 0
	s_delay_alu instid0(SALU_CYCLE_1) | instskip(SKIP_1) | instid1(SALU_CYCLE_1)
	s_cmp_lg_u32 s0, 0
	s_add_co_ci_u32 s57, s57, s61
	s_mul_u64 s[58:59], s[58:59], s[56:57]
	s_delay_alu instid0(SALU_CYCLE_1)
	s_mul_hi_u32 s61, s56, s59
	s_mul_i32 s60, s56, s59
	s_mul_hi_u32 s0, s56, s58
	s_mul_i32 s62, s57, s58
	s_add_nc_u64 s[60:61], s[0:1], s[60:61]
	s_mul_hi_u32 s31, s57, s58
	s_mul_hi_u32 s63, s57, s59
	s_add_co_u32 s0, s60, s62
	s_add_co_ci_u32 s0, s61, s31
	s_mul_i32 s58, s57, s59
	s_add_co_ci_u32 s59, s63, 0
	s_delay_alu instid0(SALU_CYCLE_1) | instskip(NEXT) | instid1(SALU_CYCLE_1)
	s_add_nc_u64 s[58:59], s[0:1], s[58:59]
	s_add_co_u32 s56, s56, s58
	s_cselect_b32 s0, -1, 0
	v_mul_hi_u32 v34, v26, s56
	s_cmp_lg_u32 s0, 0
	s_add_co_ci_u32 s0, s57, s59
	s_and_b64 s[58:59], s[56:57], s[22:23]
	v_mul_u64_e32 v[28:29], s[0:1], v[26:27]
	v_mul_u64_e32 v[24:25], s[58:59], v[30:31]
	;; [unrolled: 1-line block ×3, first 2 shown]
	s_delay_alu instid0(VALU_DEP_3) | instskip(NEXT) | instid1(VALU_DEP_1)
	v_add_nc_u64_e32 v[28:29], v[34:35], v[28:29]
	v_add_co_u32 v17, vcc_lo, v28, v24
	s_delay_alu instid0(VALU_DEP_2) | instskip(NEXT) | instid1(VALU_DEP_4)
	v_add_co_ci_u32_e32 v34, vcc_lo, v29, v25, vcc_lo
	v_add_co_ci_u32_e32 v33, vcc_lo, 0, v33, vcc_lo
	s_delay_alu instid0(VALU_DEP_1) | instskip(NEXT) | instid1(VALU_DEP_1)
	v_add_nc_u64_e32 v[24:25], v[34:35], v[32:33]
	v_mul_u64_e32 v[28:29], s[34:35], v[24:25]
	s_delay_alu instid0(VALU_DEP_1) | instskip(NEXT) | instid1(VALU_DEP_2)
	v_sub_nc_u32_e32 v17, v30, v29
	v_sub_co_u32 v23, vcc_lo, v26, v28
	s_delay_alu instid0(VALU_DEP_1) | instskip(NEXT) | instid1(VALU_DEP_3)
	v_sub_co_ci_u32_e64 v30, null, v30, v29, vcc_lo
	v_subrev_co_ci_u32_e64 v17, null, s35, v17, vcc_lo
	s_delay_alu instid0(VALU_DEP_3) | instskip(SKIP_1) | instid1(VALU_DEP_3)
	v_sub_co_u32 v26, s0, v23, s34
	v_add_nc_u64_e32 v[28:29], 1, v[24:25]
	v_subrev_co_ci_u32_e64 v17, null, 0, v17, s0
	s_delay_alu instid0(VALU_DEP_3) | instskip(SKIP_1) | instid1(VALU_DEP_3)
	v_cmp_le_u32_e32 vcc_lo, s34, v26
	v_cndmask_b32_e64 v26, 0, -1, vcc_lo
	v_cmp_le_u32_e32 vcc_lo, s35, v17
	v_cndmask_b32_e64 v27, 0, -1, vcc_lo
	;; [unrolled: 2-line block ×4, first 2 shown]
	v_cmp_eq_u32_e32 vcc_lo, s35, v17
	v_cndmask_b32_e32 v17, v27, v26, vcc_lo
	v_cmp_eq_u32_e32 vcc_lo, s35, v30
	v_add_nc_u64_e32 v[26:27], 2, v[24:25]
	v_cndmask_b32_e32 v23, v31, v23, vcc_lo
	s_delay_alu instid0(VALU_DEP_4) | instskip(NEXT) | instid1(VALU_DEP_2)
	v_cmp_ne_u32_e32 vcc_lo, 0, v17
	v_cmp_ne_u32_e64 s0, 0, v23
	s_delay_alu instid0(VALU_DEP_4) | instskip(NEXT) | instid1(VALU_DEP_1)
	v_dual_cndmask_b32 v17, v29, v27, vcc_lo :: v_dual_cndmask_b32 v23, v28, v26, vcc_lo
	v_dual_cndmask_b32 v24, v24, v23, s0 :: v_dual_mov_b32 v23, v22
	s_delay_alu instid0(VALU_DEP_1) | instskip(NEXT) | instid1(VALU_DEP_1)
	v_dual_cndmask_b32 v17, v25, v17, s0 :: v_dual_bitop2_b32 v24, v24, v22 bitop3:0x14
	v_xor_b32_e32 v25, v17, v22
	s_delay_alu instid0(VALU_DEP_1)
	v_sub_nc_u64_e32 v[22:23], v[24:25], v[22:23]
.LBB60_61:                              ;   in Loop: Header=BB60_59 Depth=1
	s_and_not1_saveexec_b32 s0, s55
	s_cbranch_execz .LBB60_58
; %bb.62:                               ;   in Loop: Header=BB60_59 Depth=1
	v_cvt_f32_u32_e32 v17, s28
	s_sub_co_i32 s30, 0, s28
	s_delay_alu instid0(VALU_DEP_1) | instskip(SKIP_1) | instid1(TRANS32_DEP_1)
	v_rcp_iflag_f32_e32 v17, v17
	v_nop
	v_mul_f32_e32 v17, 0x4f7ffffe, v17
	s_delay_alu instid0(VALU_DEP_1) | instskip(NEXT) | instid1(VALU_DEP_1)
	v_cvt_u32_f32_e32 v17, v17
	v_mul_lo_u32 v22, s30, v17
	s_delay_alu instid0(VALU_DEP_1) | instskip(NEXT) | instid1(VALU_DEP_1)
	v_mul_hi_u32 v22, v17, v22
	v_add_nc_u32_e32 v17, v17, v22
	s_delay_alu instid0(VALU_DEP_1) | instskip(NEXT) | instid1(VALU_DEP_1)
	v_mul_hi_u32 v17, v20, v17
	v_mul_lo_u32 v22, v17, s28
	s_delay_alu instid0(VALU_DEP_1) | instskip(NEXT) | instid1(VALU_DEP_1)
	v_dual_add_nc_u32 v23, 1, v17 :: v_dual_sub_nc_u32 v22, v20, v22
	v_subrev_nc_u32_e32 v24, s28, v22
	v_cmp_le_u32_e32 vcc_lo, s28, v22
	s_delay_alu instid0(VALU_DEP_2) | instskip(NEXT) | instid1(VALU_DEP_1)
	v_dual_cndmask_b32 v22, v22, v24 :: v_dual_cndmask_b32 v17, v17, v23
	v_cmp_le_u32_e32 vcc_lo, s28, v22
	s_delay_alu instid0(VALU_DEP_2) | instskip(NEXT) | instid1(VALU_DEP_1)
	v_add_nc_u32_e32 v23, 1, v17
	v_dual_cndmask_b32 v22, v17, v23 :: v_dual_mov_b32 v23, v16
	s_branch .LBB60_58
.LBB60_63:
	s_mov_b32 s1, -1
	s_mov_b32 s22, 0
	s_mov_b32 s0, exec_lo
	v_cmpx_gt_i64_e64 v[12:13], v[14:15]
	s_cbranch_execz .LBB60_69
; %bb.64:
	s_wait_loadcnt 0x0
	s_delay_alu instid0(VALU_DEP_2) | instskip(SKIP_2) | instid1(VALU_DEP_1)
	v_lshlrev_b64_e32 v[16:17], 3, v[18:19]
	s_mov_b32 s1, 0
	s_xor_b32 s22, s11, -1
                                        ; implicit-def: $sgpr21
                                        ; implicit-def: $sgpr24
                                        ; implicit-def: $sgpr23
	v_lshl_add_u64 v[14:15], v[14:15], 3, v[16:17]
	v_add_nc_u64_e32 v[16:17], s[16:17], v[16:17]
	s_delay_alu instid0(VALU_DEP_2) | instskip(NEXT) | instid1(VALU_DEP_2)
	v_add_nc_u64_e32 v[14:15], s[16:17], v[14:15]
	v_lshl_add_u64 v[12:13], v[12:13], 3, v[16:17]
	s_delay_alu instid0(VALU_DEP_2)
	v_add_nc_u64_e32 v[14:15], 8, v[14:15]
	s_branch .LBB60_66
.LBB60_65:                              ;   in Loop: Header=BB60_66 Depth=1
	s_or_b32 exec_lo, exec_lo, s25
	s_delay_alu instid0(SALU_CYCLE_1) | instskip(NEXT) | instid1(SALU_CYCLE_1)
	s_and_b32 s25, exec_lo, s24
	s_or_b32 s1, s25, s1
	s_and_not1_b32 s21, s21, exec_lo
	s_and_b32 s25, s23, exec_lo
	s_delay_alu instid0(SALU_CYCLE_1)
	s_or_b32 s21, s21, s25
	s_and_not1_b32 exec_lo, exec_lo, s1
	s_cbranch_execz .LBB60_68
.LBB60_66:                              ; =>This Inner Loop Header: Depth=1
	s_or_b32 s23, s23, exec_lo
	s_or_b32 s24, s24, exec_lo
	s_mov_b32 s25, exec_lo
	s_delay_alu instid0(VALU_DEP_1)
	v_cmpx_lt_u64_e64 v[14:15], v[12:13]
	s_cbranch_execz .LBB60_65
; %bb.67:                               ;   in Loop: Header=BB60_66 Depth=1
	global_load_b128 v[16:19], v[14:15], off offset:-8
	s_wait_xcnt 0x0
	v_add_nc_u64_e32 v[14:15], 8, v[14:15]
	s_and_not1_b32 s24, s24, exec_lo
	s_and_not1_b32 s23, s23, exec_lo
	s_wait_loadcnt 0x0
	v_cmp_ge_i64_e32 vcc_lo, v[16:17], v[18:19]
	s_or_b32 s26, s22, vcc_lo
	s_delay_alu instid0(SALU_CYCLE_1) | instskip(NEXT) | instid1(SALU_CYCLE_1)
	s_and_b32 s26, s26, exec_lo
	s_or_b32 s24, s24, s26
	s_branch .LBB60_65
.LBB60_68:
	s_or_b32 exec_lo, exec_lo, s1
	s_delay_alu instid0(SALU_CYCLE_1)
	s_mov_b32 s22, exec_lo
	s_or_not1_b32 s1, s21, exec_lo
.LBB60_69:
	s_or_b32 exec_lo, exec_lo, s0
	s_delay_alu instid0(SALU_CYCLE_1)
	s_and_b32 s0, s22, exec_lo
	s_xor_b32 s21, exec_lo, -1
	s_and_b32 s1, s1, exec_lo
.LBB60_70:
	s_or_b32 exec_lo, exec_lo, s54
	s_delay_alu instid0(SALU_CYCLE_1)
	s_and_not1_b32 s22, s46, exec_lo
	s_and_b32 s21, s21, exec_lo
	s_and_b32 s23, s0, exec_lo
	s_or_b32 s22, s22, s21
	s_xor_b32 s0, exec_lo, -1
	s_and_b32 s21, s1, exec_lo
.LBB60_71:
	s_or_b32 exec_lo, exec_lo, s53
	s_delay_alu instid0(SALU_CYCLE_1)
	s_and_b32 s1, s23, exec_lo
	s_and_not1_b32 s23, s46, exec_lo
	s_and_b32 s22, s22, exec_lo
	s_and_not1_b32 s24, s47, exec_lo
	s_and_b32 s0, s0, exec_lo
	s_or_b32 s22, s23, s22
	s_or_b32 s24, s24, s0
	s_xor_b32 s0, exec_lo, -1
	s_and_b32 s23, s21, exec_lo
.LBB60_72:
	s_or_b32 exec_lo, exec_lo, s52
	s_delay_alu instid0(SALU_CYCLE_1)
	s_and_not1_b32 s21, s46, exec_lo
	s_and_b32 s25, s22, exec_lo
	s_and_b32 s22, s1, exec_lo
	s_or_b32 s1, s21, s25
	s_and_not1_b32 s21, s47, exec_lo
	s_and_b32 s24, s24, exec_lo
	s_and_not1_b32 s25, s45, exec_lo
	s_and_b32 s0, s0, exec_lo
	s_or_b32 s21, s21, s24
	s_or_b32 s0, s25, s0
	s_or_not1_b32 s24, s23, exec_lo
.LBB60_73:
	s_or_b32 exec_lo, exec_lo, s51
	s_mov_b32 s25, 0
	s_and_saveexec_b32 s23, s24
	s_cbranch_execz .LBB60_77
; %bb.74:
	v_or_b32_e32 v12, 0x300, v0
	s_mov_b32 s24, 0
	s_mov_b32 s25, -1
	s_mov_b32 s26, s0
	s_mov_b32 s27, exec_lo
	v_cmpx_gt_i32_e64 s33, v12
	s_xor_b32 s27, exec_lo, s27
; %bb.75:
	v_cmp_ne_u64_e32 vcc_lo, s[4:5], v[10:11]
	s_xor_b32 s25, s40, -1
	s_and_not1_b32 s26, s0, exec_lo
	s_mov_b32 s24, exec_lo
	s_or_b32 s25, s25, vcc_lo
	s_delay_alu instid0(SALU_CYCLE_1)
	s_and_b32 s28, s25, exec_lo
	s_xor_b32 s25, exec_lo, -1
	s_or_b32 s26, s26, s28
; %bb.76:
	s_or_b32 exec_lo, exec_lo, s27
	s_delay_alu instid0(SALU_CYCLE_1)
	s_and_not1_b32 s0, s0, exec_lo
	s_and_b32 s26, s26, exec_lo
	s_and_b32 s25, s25, exec_lo
	s_and_not1_b32 s22, s22, exec_lo
	s_and_b32 s50, s24, exec_lo
	s_or_b32 s0, s0, s26
.LBB60_77:
	s_or_b32 exec_lo, exec_lo, s23
	s_delay_alu instid0(SALU_CYCLE_1)
	s_and_not1_b32 s23, s48, exec_lo
	s_and_b32 s24, s22, exec_lo
	s_and_b32 s1, s1, exec_lo
	s_or_b32 s48, s23, s24
	s_and_not1_b32 s23, s46, exec_lo
	s_and_not1_b32 s24, s47, exec_lo
	s_and_b32 s21, s21, exec_lo
	s_or_b32 s46, s23, s1
	s_and_not1_b32 s1, s45, exec_lo
	s_and_b32 s0, s0, exec_lo
	s_and_b32 s22, s25, exec_lo
	s_or_b32 s47, s24, s21
	s_and_b32 s50, s50, exec_lo
	s_or_b32 s45, s1, s0
.LBB60_78:
	s_or_b32 exec_lo, exec_lo, s49
	s_delay_alu instid0(SALU_CYCLE_1)
	s_and_not1_b32 s0, s39, exec_lo
	s_and_b32 s21, s48, exec_lo
	s_and_b32 s1, s22, exec_lo
	s_or_b32 s39, s0, s21
	s_and_not1_b32 s0, s41, exec_lo
	s_and_b32 s21, s46, exec_lo
	s_and_not1_b32 s22, s42, exec_lo
	s_and_b32 s23, s47, exec_lo
	s_or_b32 s41, s0, s21
	s_and_not1_b32 s0, s43, exec_lo
	s_and_b32 s21, s45, exec_lo
	s_or_b32 s42, s22, s23
	s_and_b32 s45, s50, exec_lo
	s_or_b32 s43, s0, s21
.LBB60_79:
	s_or_b32 exec_lo, exec_lo, s44
	s_mov_b32 s0, 0
	s_mov_b32 s24, 0
	s_and_saveexec_b32 s21, s43
	s_cbranch_execnz .LBB60_115
; %bb.80:
	s_or_b32 exec_lo, exec_lo, s21
	s_and_saveexec_b32 s21, s45
	s_delay_alu instid0(SALU_CYCLE_1)
	s_xor_b32 s21, exec_lo, s21
	s_cbranch_execnz .LBB60_116
.LBB60_81:
	s_or_b32 exec_lo, exec_lo, s21
	s_and_saveexec_b32 s21, s42
	s_cbranch_execnz .LBB60_117
.LBB60_82:
	s_or_b32 exec_lo, exec_lo, s21
	s_mov_b32 s21, 0
	s_and_saveexec_b32 s22, s0
	s_delay_alu instid0(SALU_CYCLE_1)
	s_xor_b32 s22, exec_lo, s22
	s_cbranch_execnz .LBB60_89
; %bb.83:
	s_or_b32 exec_lo, exec_lo, s22
	s_and_saveexec_b32 s0, s41
	s_cbranch_execnz .LBB60_90
.LBB60_84:
	s_or_b32 exec_lo, exec_lo, s0
	s_and_saveexec_b32 s25, s21
	s_cbranch_execnz .LBB60_91
.LBB60_85:
	s_or_b32 exec_lo, exec_lo, s25
	s_and_saveexec_b32 s0, s39
	s_cbranch_execnz .LBB60_105
.LBB60_86:
	s_or_b32 exec_lo, exec_lo, s0
	s_and_saveexec_b32 s0, s24
	s_delay_alu instid0(SALU_CYCLE_1)
	s_xor_b32 s0, exec_lo, s0
	s_cbranch_execnz .LBB60_106
.LBB60_87:
	s_or_b32 exec_lo, exec_lo, s0
	s_and_saveexec_b32 s0, s1
	s_delay_alu instid0(SALU_CYCLE_1)
	s_xor_b32 s0, exec_lo, s0
	s_cbranch_execnz .LBB60_107
.LBB60_88:
	s_endpgm
.LBB60_89:
	s_wait_loadcnt 0x1
	v_sub_nc_u64_e32 v[8:9], v[2:3], v[4:5]
	s_mov_b32 s21, exec_lo
	s_delay_alu instid0(VALU_DEP_1) | instskip(SKIP_3) | instid1(SALU_CYCLE_1)
	v_cmp_le_i64_e32 vcc_lo, s[4:5], v[8:9]
	v_cmp_ge_i64_e64 s0, s[6:7], v[8:9]
	s_and_not1_b32 s4, s41, exec_lo
	s_and_b32 s0, vcc_lo, s0
	s_and_b32 s0, s37, s0
	s_delay_alu instid0(SALU_CYCLE_1) | instskip(NEXT) | instid1(SALU_CYCLE_1)
	s_xor_b32 s0, s0, -1
	s_and_b32 s0, s0, exec_lo
	s_delay_alu instid0(SALU_CYCLE_1)
	s_or_b32 s41, s4, s0
	s_or_b32 exec_lo, exec_lo, s22
	s_and_saveexec_b32 s0, s41
	s_cbranch_execz .LBB60_84
.LBB60_90:
	s_or_b32 s24, s24, exec_lo
	s_and_not1_b32 s21, s21, exec_lo
	s_trap 2
	s_or_b32 exec_lo, exec_lo, s0
	s_and_saveexec_b32 s25, s21
	s_cbranch_execz .LBB60_85
.LBB60_91:
	v_cmp_lt_i64_e64 s0, s[8:9], 1
	s_wait_loadcnt 0x3
	v_mov_b64_e32 v[8:9], 0
	s_xor_b32 s4, s36, -1
	s_delay_alu instid0(SALU_CYCLE_1) | instskip(NEXT) | instid1(SALU_CYCLE_1)
	s_or_b32 s0, s0, s4
	s_and_b32 vcc_lo, exec_lo, s0
	s_cbranch_vccnz .LBB60_98
; %bb.92:
	s_wait_loadcnt 0x0
	v_mul_u64_e32 v[10:11], s[8:9], v[6:7]
	v_mov_b64_e32 v[8:9], 0
	s_mov_b32 s21, 0
	v_mov_b32_e32 v6, 0
	s_lshl_b64 s[8:9], s[20:21], 3
	s_mov_b64 s[4:5], 0xffffffff
	s_add_nc_u64 s[6:7], s[12:13], s[8:9]
	s_add_nc_u64 s[8:9], s[14:15], s[8:9]
	s_branch .LBB60_94
.LBB60_93:                              ;   in Loop: Header=BB60_94 Depth=1
	s_or_b32 exec_lo, exec_lo, s0
	s_delay_alu instid0(VALU_DEP_1)
	v_mul_u64_e32 v[14:15], s[12:13], v[12:13]
	s_load_b64 s[12:13], s[8:9], 0x0
	s_add_co_i32 s10, s10, -1
	s_add_nc_u64 s[6:7], s[6:7], -8
	s_cmp_lg_u32 s10, 0
	s_wait_xcnt 0x0
	s_add_nc_u64 s[8:9], s[8:9], -8
	s_delay_alu instid0(VALU_DEP_1) | instskip(SKIP_1) | instid1(VALU_DEP_1)
	v_sub_nc_u64_e32 v[10:11], v[10:11], v[14:15]
	s_wait_kmcnt 0x0
	v_mad_nc_u64_u32 v[8:9], v10, s12, v[8:9]
	s_delay_alu instid0(VALU_DEP_1) | instskip(NEXT) | instid1(VALU_DEP_1)
	v_mad_u32 v7, v11, s12, v9
	v_mad_u32 v9, v10, s13, v7
	v_mov_b64_e32 v[10:11], v[12:13]
	s_cbranch_scc0 .LBB60_98
.LBB60_94:                              ; =>This Inner Loop Header: Depth=1
	s_load_b64 s[12:13], s[6:7], 0x0
                                        ; implicit-def: $vgpr12_vgpr13
	s_mov_b32 s0, exec_lo
	s_wait_kmcnt 0x0
	s_delay_alu instid0(VALU_DEP_1) | instskip(NEXT) | instid1(VALU_DEP_1)
	v_or_b32_e32 v7, s13, v11
	v_cmpx_ne_u64_e32 0, v[6:7]
	s_xor_b32 s26, exec_lo, s0
	s_cbranch_execz .LBB60_96
; %bb.95:                               ;   in Loop: Header=BB60_94 Depth=1
	s_ashr_i32 s14, s13, 31
	v_dual_mov_b32 v17, v6 :: v_dual_ashrrev_i32 v12, 31, v11
	s_mov_b32 s15, s14
	s_delay_alu instid0(SALU_CYCLE_1) | instskip(NEXT) | instid1(VALU_DEP_1)
	s_add_nc_u64 s[22:23], s[12:13], s[14:15]
	v_mov_b32_e32 v13, v12
	s_xor_b64 s[22:23], s[22:23], s[14:15]
	s_delay_alu instid0(SALU_CYCLE_1)
	s_cvt_f32_u32 s0, s22
	s_cvt_f32_u32 s15, s23
	s_sub_nc_u64 s[30:31], 0, s[22:23]
	v_add_nc_u64_e32 v[14:15], v[10:11], v[12:13]
	v_mov_b32_e32 v21, v6
	s_fmamk_f32 s0, s15, 0x4f800000, s0
	s_delay_alu instid0(SALU_CYCLE_3) | instskip(NEXT) | instid1(VALU_DEP_2)
	v_s_rcp_f32 s0, s0
	v_xor_b32_e32 v16, v14, v12
	s_delay_alu instid0(VALU_DEP_3) | instskip(SKIP_1) | instid1(TRANS32_DEP_1)
	v_dual_mov_b32 v25, v6 :: v_dual_bitop2_b32 v20, v15, v12 bitop3:0x14
	v_xor_b32_e32 v12, s14, v12
	s_mul_f32 s0, s0, 0x5f7ffffc
	s_delay_alu instid0(SALU_CYCLE_3) | instskip(NEXT) | instid1(SALU_CYCLE_3)
	s_mul_f32 s15, s0, 0x2f800000
	s_trunc_f32 s15, s15
	s_delay_alu instid0(SALU_CYCLE_3) | instskip(SKIP_1) | instid1(SALU_CYCLE_2)
	s_fmamk_f32 s0, s15, 0xcf800000, s0
	s_cvt_u32_f32 s29, s15
	s_cvt_u32_f32 s28, s0
	s_delay_alu instid0(SALU_CYCLE_3) | instskip(NEXT) | instid1(SALU_CYCLE_1)
	s_mul_u64 s[34:35], s[30:31], s[28:29]
	s_mul_hi_u32 s37, s28, s35
	s_mul_i32 s36, s28, s35
	s_mul_hi_u32 s20, s28, s34
	s_mul_i32 s15, s29, s34
	s_add_nc_u64 s[36:37], s[20:21], s[36:37]
	s_mul_hi_u32 s0, s29, s34
	s_mul_hi_u32 s27, s29, s35
	s_add_co_u32 s15, s36, s15
	s_add_co_ci_u32 s20, s37, s0
	s_mul_i32 s34, s29, s35
	s_add_co_ci_u32 s35, s27, 0
	s_delay_alu instid0(SALU_CYCLE_1) | instskip(NEXT) | instid1(SALU_CYCLE_1)
	s_add_nc_u64 s[34:35], s[20:21], s[34:35]
	s_add_co_u32 s28, s28, s34
	s_cselect_b32 s0, -1, 0
	s_delay_alu instid0(SALU_CYCLE_1) | instskip(SKIP_1) | instid1(SALU_CYCLE_1)
	s_cmp_lg_u32 s0, 0
	s_add_co_ci_u32 s29, s29, s35
	s_mul_u64 s[30:31], s[30:31], s[28:29]
	s_delay_alu instid0(SALU_CYCLE_1)
	s_mul_hi_u32 s35, s28, s31
	s_mul_i32 s34, s28, s31
	s_mul_hi_u32 s20, s28, s30
	s_mul_i32 s15, s29, s30
	s_add_nc_u64 s[34:35], s[20:21], s[34:35]
	s_mul_hi_u32 s0, s29, s30
	s_mul_hi_u32 s27, s29, s31
	s_add_co_u32 s15, s34, s15
	s_add_co_ci_u32 s20, s35, s0
	s_mul_i32 s30, s29, s31
	s_add_co_ci_u32 s31, s27, 0
	s_delay_alu instid0(SALU_CYCLE_1) | instskip(NEXT) | instid1(SALU_CYCLE_1)
	s_add_nc_u64 s[30:31], s[20:21], s[30:31]
	s_add_co_u32 s0, s28, s30
	s_cselect_b32 s15, -1, 0
	v_mul_hi_u32 v24, v16, s0
	s_cmp_lg_u32 s15, 0
	s_add_co_ci_u32 s20, s29, s31
	s_and_b64 s[28:29], s[0:1], s[4:5]
	v_mul_u64_e32 v[18:19], s[20:21], v[16:17]
	v_mul_u64_e32 v[14:15], s[28:29], v[20:21]
	;; [unrolled: 1-line block ×3, first 2 shown]
	s_delay_alu instid0(VALU_DEP_3) | instskip(NEXT) | instid1(VALU_DEP_1)
	v_add_nc_u64_e32 v[18:19], v[24:25], v[18:19]
	v_add_co_u32 v7, vcc_lo, v18, v14
	s_delay_alu instid0(VALU_DEP_2) | instskip(NEXT) | instid1(VALU_DEP_4)
	v_add_co_ci_u32_e32 v24, vcc_lo, v19, v15, vcc_lo
	v_add_co_ci_u32_e32 v23, vcc_lo, 0, v23, vcc_lo
	s_delay_alu instid0(VALU_DEP_1) | instskip(NEXT) | instid1(VALU_DEP_1)
	v_add_nc_u64_e32 v[14:15], v[24:25], v[22:23]
	v_mul_u64_e32 v[18:19], s[22:23], v[14:15]
	s_delay_alu instid0(VALU_DEP_1) | instskip(NEXT) | instid1(VALU_DEP_2)
	v_sub_nc_u32_e32 v7, v20, v19
	v_sub_co_u32 v13, vcc_lo, v16, v18
	s_delay_alu instid0(VALU_DEP_1) | instskip(NEXT) | instid1(VALU_DEP_3)
	v_sub_co_ci_u32_e64 v20, null, v20, v19, vcc_lo
	v_subrev_co_ci_u32_e64 v7, null, s23, v7, vcc_lo
	s_delay_alu instid0(VALU_DEP_3) | instskip(SKIP_1) | instid1(VALU_DEP_3)
	v_sub_co_u32 v16, s0, v13, s22
	v_add_nc_u64_e32 v[18:19], 1, v[14:15]
	v_subrev_co_ci_u32_e64 v7, null, 0, v7, s0
	s_delay_alu instid0(VALU_DEP_3) | instskip(SKIP_1) | instid1(VALU_DEP_3)
	v_cmp_le_u32_e32 vcc_lo, s22, v16
	v_cndmask_b32_e64 v16, 0, -1, vcc_lo
	v_cmp_le_u32_e32 vcc_lo, s23, v7
	v_cndmask_b32_e64 v17, 0, -1, vcc_lo
	;; [unrolled: 2-line block ×4, first 2 shown]
	v_cmp_eq_u32_e32 vcc_lo, s23, v7
	v_cndmask_b32_e32 v7, v17, v16, vcc_lo
	v_cmp_eq_u32_e32 vcc_lo, s23, v20
	v_add_nc_u64_e32 v[16:17], 2, v[14:15]
	v_cndmask_b32_e32 v13, v21, v13, vcc_lo
	s_delay_alu instid0(VALU_DEP_4) | instskip(NEXT) | instid1(VALU_DEP_2)
	v_cmp_ne_u32_e32 vcc_lo, 0, v7
	v_cmp_ne_u32_e64 s0, 0, v13
	s_delay_alu instid0(VALU_DEP_4) | instskip(NEXT) | instid1(VALU_DEP_1)
	v_dual_cndmask_b32 v7, v19, v17, vcc_lo :: v_dual_cndmask_b32 v13, v18, v16, vcc_lo
	v_dual_cndmask_b32 v14, v14, v13, s0 :: v_dual_mov_b32 v13, v12
	s_delay_alu instid0(VALU_DEP_1) | instskip(NEXT) | instid1(VALU_DEP_1)
	v_dual_cndmask_b32 v7, v15, v7, s0 :: v_dual_bitop2_b32 v14, v14, v12 bitop3:0x14
	v_xor_b32_e32 v15, v7, v12
	s_delay_alu instid0(VALU_DEP_1)
	v_sub_nc_u64_e32 v[12:13], v[14:15], v[12:13]
.LBB60_96:                              ;   in Loop: Header=BB60_94 Depth=1
	s_and_not1_saveexec_b32 s0, s26
	s_cbranch_execz .LBB60_93
; %bb.97:                               ;   in Loop: Header=BB60_94 Depth=1
	v_cvt_f32_u32_e32 v7, s12
	s_sub_co_i32 s14, 0, s12
	s_delay_alu instid0(VALU_DEP_1) | instskip(SKIP_1) | instid1(TRANS32_DEP_1)
	v_rcp_iflag_f32_e32 v7, v7
	v_nop
	v_mul_f32_e32 v7, 0x4f7ffffe, v7
	s_delay_alu instid0(VALU_DEP_1) | instskip(NEXT) | instid1(VALU_DEP_1)
	v_cvt_u32_f32_e32 v7, v7
	v_mul_lo_u32 v12, s14, v7
	s_delay_alu instid0(VALU_DEP_1) | instskip(NEXT) | instid1(VALU_DEP_1)
	v_mul_hi_u32 v12, v7, v12
	v_add_nc_u32_e32 v7, v7, v12
	s_delay_alu instid0(VALU_DEP_1) | instskip(NEXT) | instid1(VALU_DEP_1)
	v_mul_hi_u32 v7, v10, v7
	v_mul_lo_u32 v12, v7, s12
	s_delay_alu instid0(VALU_DEP_1) | instskip(NEXT) | instid1(VALU_DEP_1)
	v_dual_add_nc_u32 v13, 1, v7 :: v_dual_sub_nc_u32 v12, v10, v12
	v_subrev_nc_u32_e32 v14, s12, v12
	v_cmp_le_u32_e32 vcc_lo, s12, v12
	s_delay_alu instid0(VALU_DEP_2) | instskip(NEXT) | instid1(VALU_DEP_1)
	v_dual_cndmask_b32 v12, v12, v14 :: v_dual_cndmask_b32 v7, v7, v13
	v_cmp_le_u32_e32 vcc_lo, s12, v12
	s_delay_alu instid0(VALU_DEP_2) | instskip(NEXT) | instid1(VALU_DEP_1)
	v_add_nc_u32_e32 v13, 1, v7
	v_dual_cndmask_b32 v12, v7, v13 :: v_dual_mov_b32 v13, v6
	s_branch .LBB60_93
.LBB60_98:
	s_mov_b32 s4, s39
	s_mov_b32 s0, exec_lo
	s_wait_loadcnt 0x1
	v_cmpx_gt_i64_e64 v[2:3], v[4:5]
	s_cbranch_execz .LBB60_104
; %bb.99:
	s_wait_loadcnt 0x0
	s_delay_alu instid0(VALU_DEP_2) | instskip(SKIP_2) | instid1(VALU_DEP_1)
	v_lshlrev_b64_e32 v[6:7], 3, v[8:9]
	s_mov_b32 s4, 0
	s_xor_b32 s6, s11, -1
                                        ; implicit-def: $sgpr5
                                        ; implicit-def: $sgpr8
                                        ; implicit-def: $sgpr7
	v_lshl_add_u64 v[4:5], v[4:5], 3, v[6:7]
	v_add_nc_u64_e32 v[6:7], s[16:17], v[6:7]
	s_delay_alu instid0(VALU_DEP_2) | instskip(NEXT) | instid1(VALU_DEP_2)
	v_add_nc_u64_e32 v[4:5], s[16:17], v[4:5]
	v_lshl_add_u64 v[2:3], v[2:3], 3, v[6:7]
	s_delay_alu instid0(VALU_DEP_2)
	v_add_nc_u64_e32 v[4:5], 8, v[4:5]
	s_branch .LBB60_101
.LBB60_100:                             ;   in Loop: Header=BB60_101 Depth=1
	s_or_b32 exec_lo, exec_lo, s9
	s_xor_b32 s9, s7, -1
	s_and_b32 s10, exec_lo, s8
	s_delay_alu instid0(SALU_CYCLE_1) | instskip(SKIP_2) | instid1(SALU_CYCLE_1)
	s_or_b32 s4, s10, s4
	s_and_not1_b32 s5, s5, exec_lo
	s_and_b32 s9, s9, exec_lo
	s_or_b32 s5, s5, s9
	s_and_not1_b32 exec_lo, exec_lo, s4
	s_cbranch_execz .LBB60_103
.LBB60_101:                             ; =>This Inner Loop Header: Depth=1
	s_or_b32 s7, s7, exec_lo
	s_or_b32 s8, s8, exec_lo
	s_mov_b32 s9, exec_lo
	s_delay_alu instid0(VALU_DEP_1)
	v_cmpx_lt_u64_e64 v[4:5], v[2:3]
	s_cbranch_execz .LBB60_100
; %bb.102:                              ;   in Loop: Header=BB60_101 Depth=1
	global_load_b128 v[6:9], v[4:5], off offset:-8
	s_wait_xcnt 0x0
	v_add_nc_u64_e32 v[4:5], 8, v[4:5]
	s_and_not1_b32 s8, s8, exec_lo
	s_and_not1_b32 s7, s7, exec_lo
	s_wait_loadcnt 0x0
	v_cmp_ge_i64_e32 vcc_lo, v[6:7], v[8:9]
	s_or_b32 s10, s6, vcc_lo
	s_delay_alu instid0(SALU_CYCLE_1) | instskip(NEXT) | instid1(SALU_CYCLE_1)
	s_and_b32 s10, s10, exec_lo
	s_or_b32 s8, s8, s10
	s_branch .LBB60_100
.LBB60_103:
	s_or_b32 exec_lo, exec_lo, s4
	s_delay_alu instid0(SALU_CYCLE_1) | instskip(SKIP_1) | instid1(SALU_CYCLE_1)
	s_and_not1_b32 s4, s39, exec_lo
	s_and_b32 s5, s5, exec_lo
	s_or_b32 s4, s4, s5
.LBB60_104:
	s_or_b32 exec_lo, exec_lo, s0
	s_delay_alu instid0(SALU_CYCLE_1)
	s_and_not1_b32 s0, s39, exec_lo
	s_and_b32 s4, s4, exec_lo
	s_or_b32 s1, s1, exec_lo
	s_or_b32 s39, s0, s4
	s_or_b32 exec_lo, exec_lo, s25
	s_and_saveexec_b32 s0, s39
	s_cbranch_execz .LBB60_86
.LBB60_105:
	s_and_not1_b32 s1, s1, exec_lo
	s_or_b32 s24, s24, exec_lo
	s_trap 2
	s_or_b32 exec_lo, exec_lo, s0
	s_and_saveexec_b32 s0, s24
	s_delay_alu instid0(SALU_CYCLE_1)
	s_xor_b32 s0, exec_lo, s0
	s_cbranch_execz .LBB60_87
.LBB60_106:
	; divergent unreachable
	s_or_b32 exec_lo, exec_lo, s0
	s_and_saveexec_b32 s0, s1
	s_delay_alu instid0(SALU_CYCLE_1)
	s_xor_b32 s0, exec_lo, s0
	s_cbranch_execz .LBB60_88
.LBB60_107:
	s_and_saveexec_b32 s0, s2
	s_delay_alu instid0(SALU_CYCLE_1)
	s_xor_b32 s0, exec_lo, s0
	s_cbranch_execnz .LBB60_111
; %bb.108:
	s_or_b32 exec_lo, exec_lo, s0
	s_delay_alu instid0(SALU_CYCLE_1)
	s_mov_b32 s0, exec_lo
	v_cmpx_gt_i32_e64 s33, v0
	s_cbranch_execnz .LBB60_112
.LBB60_109:
	s_or_b32 exec_lo, exec_lo, s0
	s_delay_alu instid0(SALU_CYCLE_1)
	s_mov_b32 s0, exec_lo
	v_cmpx_gt_i32_e64 s33, v0
	s_cbranch_execnz .LBB60_113
.LBB60_110:
	s_or_b32 exec_lo, exec_lo, s0
	s_delay_alu instid0(SALU_CYCLE_1)
	s_mov_b32 s0, exec_lo
	v_cmpx_gt_i32_e64 s33, v0
	s_cbranch_execz .LBB60_88
	s_branch .LBB60_114
.LBB60_111:
	s_wait_loadcnt 0x1
	v_mov_b64_e32 v[2:3], 0
	v_dual_mov_b32 v0, v1 :: v_dual_bitop2_b32 v4, s3, v0 bitop3:0x54
	global_store_b64 v4, v[2:3], s[18:19] scale_offset
	s_wait_xcnt 0x0
	s_or_b32 exec_lo, exec_lo, s0
	s_delay_alu instid0(SALU_CYCLE_1)
	s_mov_b32 s0, exec_lo
	v_cmpx_gt_i32_e64 s33, v0
	s_cbranch_execz .LBB60_109
.LBB60_112:
	v_add_nc_u32_e32 v1, 0x100, v0
	s_wait_loadcnt 0x1
	v_mov_b64_e32 v[2:3], 0
	s_delay_alu instid0(VALU_DEP_2) | instskip(SKIP_3) | instid1(SALU_CYCLE_1)
	v_dual_add_nc_u32 v4, s3, v0 :: v_dual_mov_b32 v0, v1
	global_store_b64 v4, v[2:3], s[18:19] scale_offset
	s_wait_xcnt 0x0
	s_or_b32 exec_lo, exec_lo, s0
	s_mov_b32 s0, exec_lo
	v_cmpx_gt_i32_e64 s33, v0
	s_cbranch_execz .LBB60_110
.LBB60_113:
	v_add_nc_u32_e32 v1, 0x100, v0
	s_wait_loadcnt 0x1
	v_mov_b64_e32 v[2:3], 0
	s_delay_alu instid0(VALU_DEP_2) | instskip(SKIP_3) | instid1(SALU_CYCLE_1)
	v_dual_add_nc_u32 v4, s3, v0 :: v_dual_mov_b32 v0, v1
	global_store_b64 v4, v[2:3], s[18:19] scale_offset
	s_wait_xcnt 0x0
	s_or_b32 exec_lo, exec_lo, s0
	s_mov_b32 s0, exec_lo
	v_cmpx_gt_i32_e64 s33, v0
	s_cbranch_execz .LBB60_88
.LBB60_114:
	s_wait_loadcnt 0x1
	v_mov_b64_e32 v[2:3], 0
	v_add_nc_u32_e32 v0, s3, v0
	global_store_b64 v0, v[2:3], s[18:19] scale_offset
	s_endpgm
.LBB60_115:
	s_mov_b32 s24, exec_lo
	s_and_not1_b32 s45, s45, exec_lo
	s_trap 2
	s_or_b32 exec_lo, exec_lo, s21
	s_and_saveexec_b32 s21, s45
	s_delay_alu instid0(SALU_CYCLE_1)
	s_xor_b32 s21, exec_lo, s21
	s_cbranch_execz .LBB60_81
.LBB60_116:
	s_wait_loadcnt 0x3
	v_cmp_ne_u64_e32 vcc_lo, s[8:9], v[8:9]
	s_xor_b32 s22, s38, -1
	s_and_not1_b32 s23, s42, exec_lo
	s_mov_b32 s0, exec_lo
	s_or_b32 s22, s22, vcc_lo
	s_delay_alu instid0(SALU_CYCLE_1) | instskip(NEXT) | instid1(SALU_CYCLE_1)
	s_and_b32 s22, s22, exec_lo
	s_or_b32 s42, s23, s22
	s_or_b32 exec_lo, exec_lo, s21
	s_and_saveexec_b32 s21, s42
	s_cbranch_execz .LBB60_82
.LBB60_117:
	s_or_b32 s24, s24, exec_lo
	s_and_not1_b32 s0, s0, exec_lo
	s_trap 2
	s_branch .LBB60_82
	.section	.rodata,"a",@progbits
	.p2align	6, 0x0
	.amdhsa_kernel _ZN2at6native27unrolled_elementwise_kernelIZZZNS0_12_GLOBAL__N_142_validate_compressed_sparse_indices_kernelILNS2_8CDimNameE0ENS2_18CUDAKernelLauncherENS2_14EmptyVecKernelENS2_8DummyVecELm0EEEvRKNS_6TensorESA_lllENKUlvE1_clEvENKUlvE0_clEvEUllllllE_St5arrayIPcLm6EELi4E23TrivialOffsetCalculatorILi5EjESH_ILi1EjENS0_6memory15LoadWithoutCastENSK_16StoreWithoutCastEEEviT_T0_T2_T3_T4_T5_
		.amdhsa_group_segment_fixed_size 0
		.amdhsa_private_segment_fixed_size 0
		.amdhsa_kernarg_size 116
		.amdhsa_user_sgpr_count 2
		.amdhsa_user_sgpr_dispatch_ptr 0
		.amdhsa_user_sgpr_queue_ptr 0
		.amdhsa_user_sgpr_kernarg_segment_ptr 1
		.amdhsa_user_sgpr_dispatch_id 0
		.amdhsa_user_sgpr_kernarg_preload_length 0
		.amdhsa_user_sgpr_kernarg_preload_offset 0
		.amdhsa_user_sgpr_private_segment_size 0
		.amdhsa_wavefront_size32 1
		.amdhsa_uses_dynamic_stack 0
		.amdhsa_enable_private_segment 0
		.amdhsa_system_sgpr_workgroup_id_x 1
		.amdhsa_system_sgpr_workgroup_id_y 0
		.amdhsa_system_sgpr_workgroup_id_z 0
		.amdhsa_system_sgpr_workgroup_info 0
		.amdhsa_system_vgpr_workitem_id 0
		.amdhsa_next_free_vgpr 56
		.amdhsa_next_free_sgpr 66
		.amdhsa_named_barrier_count 0
		.amdhsa_reserve_vcc 1
		.amdhsa_float_round_mode_32 0
		.amdhsa_float_round_mode_16_64 0
		.amdhsa_float_denorm_mode_32 3
		.amdhsa_float_denorm_mode_16_64 3
		.amdhsa_fp16_overflow 0
		.amdhsa_memory_ordered 1
		.amdhsa_forward_progress 1
		.amdhsa_inst_pref_size 56
		.amdhsa_round_robin_scheduling 0
		.amdhsa_exception_fp_ieee_invalid_op 0
		.amdhsa_exception_fp_denorm_src 0
		.amdhsa_exception_fp_ieee_div_zero 0
		.amdhsa_exception_fp_ieee_overflow 0
		.amdhsa_exception_fp_ieee_underflow 0
		.amdhsa_exception_fp_ieee_inexact 0
		.amdhsa_exception_int_div_zero 0
	.end_amdhsa_kernel
	.section	.text._ZN2at6native27unrolled_elementwise_kernelIZZZNS0_12_GLOBAL__N_142_validate_compressed_sparse_indices_kernelILNS2_8CDimNameE0ENS2_18CUDAKernelLauncherENS2_14EmptyVecKernelENS2_8DummyVecELm0EEEvRKNS_6TensorESA_lllENKUlvE1_clEvENKUlvE0_clEvEUllllllE_St5arrayIPcLm6EELi4E23TrivialOffsetCalculatorILi5EjESH_ILi1EjENS0_6memory15LoadWithoutCastENSK_16StoreWithoutCastEEEviT_T0_T2_T3_T4_T5_,"axG",@progbits,_ZN2at6native27unrolled_elementwise_kernelIZZZNS0_12_GLOBAL__N_142_validate_compressed_sparse_indices_kernelILNS2_8CDimNameE0ENS2_18CUDAKernelLauncherENS2_14EmptyVecKernelENS2_8DummyVecELm0EEEvRKNS_6TensorESA_lllENKUlvE1_clEvENKUlvE0_clEvEUllllllE_St5arrayIPcLm6EELi4E23TrivialOffsetCalculatorILi5EjESH_ILi1EjENS0_6memory15LoadWithoutCastENSK_16StoreWithoutCastEEEviT_T0_T2_T3_T4_T5_,comdat
.Lfunc_end60:
	.size	_ZN2at6native27unrolled_elementwise_kernelIZZZNS0_12_GLOBAL__N_142_validate_compressed_sparse_indices_kernelILNS2_8CDimNameE0ENS2_18CUDAKernelLauncherENS2_14EmptyVecKernelENS2_8DummyVecELm0EEEvRKNS_6TensorESA_lllENKUlvE1_clEvENKUlvE0_clEvEUllllllE_St5arrayIPcLm6EELi4E23TrivialOffsetCalculatorILi5EjESH_ILi1EjENS0_6memory15LoadWithoutCastENSK_16StoreWithoutCastEEEviT_T0_T2_T3_T4_T5_, .Lfunc_end60-_ZN2at6native27unrolled_elementwise_kernelIZZZNS0_12_GLOBAL__N_142_validate_compressed_sparse_indices_kernelILNS2_8CDimNameE0ENS2_18CUDAKernelLauncherENS2_14EmptyVecKernelENS2_8DummyVecELm0EEEvRKNS_6TensorESA_lllENKUlvE1_clEvENKUlvE0_clEvEUllllllE_St5arrayIPcLm6EELi4E23TrivialOffsetCalculatorILi5EjESH_ILi1EjENS0_6memory15LoadWithoutCastENSK_16StoreWithoutCastEEEviT_T0_T2_T3_T4_T5_
                                        ; -- End function
	.set _ZN2at6native27unrolled_elementwise_kernelIZZZNS0_12_GLOBAL__N_142_validate_compressed_sparse_indices_kernelILNS2_8CDimNameE0ENS2_18CUDAKernelLauncherENS2_14EmptyVecKernelENS2_8DummyVecELm0EEEvRKNS_6TensorESA_lllENKUlvE1_clEvENKUlvE0_clEvEUllllllE_St5arrayIPcLm6EELi4E23TrivialOffsetCalculatorILi5EjESH_ILi1EjENS0_6memory15LoadWithoutCastENSK_16StoreWithoutCastEEEviT_T0_T2_T3_T4_T5_.num_vgpr, 56
	.set _ZN2at6native27unrolled_elementwise_kernelIZZZNS0_12_GLOBAL__N_142_validate_compressed_sparse_indices_kernelILNS2_8CDimNameE0ENS2_18CUDAKernelLauncherENS2_14EmptyVecKernelENS2_8DummyVecELm0EEEvRKNS_6TensorESA_lllENKUlvE1_clEvENKUlvE0_clEvEUllllllE_St5arrayIPcLm6EELi4E23TrivialOffsetCalculatorILi5EjESH_ILi1EjENS0_6memory15LoadWithoutCastENSK_16StoreWithoutCastEEEviT_T0_T2_T3_T4_T5_.num_agpr, 0
	.set _ZN2at6native27unrolled_elementwise_kernelIZZZNS0_12_GLOBAL__N_142_validate_compressed_sparse_indices_kernelILNS2_8CDimNameE0ENS2_18CUDAKernelLauncherENS2_14EmptyVecKernelENS2_8DummyVecELm0EEEvRKNS_6TensorESA_lllENKUlvE1_clEvENKUlvE0_clEvEUllllllE_St5arrayIPcLm6EELi4E23TrivialOffsetCalculatorILi5EjESH_ILi1EjENS0_6memory15LoadWithoutCastENSK_16StoreWithoutCastEEEviT_T0_T2_T3_T4_T5_.numbered_sgpr, 66
	.set _ZN2at6native27unrolled_elementwise_kernelIZZZNS0_12_GLOBAL__N_142_validate_compressed_sparse_indices_kernelILNS2_8CDimNameE0ENS2_18CUDAKernelLauncherENS2_14EmptyVecKernelENS2_8DummyVecELm0EEEvRKNS_6TensorESA_lllENKUlvE1_clEvENKUlvE0_clEvEUllllllE_St5arrayIPcLm6EELi4E23TrivialOffsetCalculatorILi5EjESH_ILi1EjENS0_6memory15LoadWithoutCastENSK_16StoreWithoutCastEEEviT_T0_T2_T3_T4_T5_.num_named_barrier, 0
	.set _ZN2at6native27unrolled_elementwise_kernelIZZZNS0_12_GLOBAL__N_142_validate_compressed_sparse_indices_kernelILNS2_8CDimNameE0ENS2_18CUDAKernelLauncherENS2_14EmptyVecKernelENS2_8DummyVecELm0EEEvRKNS_6TensorESA_lllENKUlvE1_clEvENKUlvE0_clEvEUllllllE_St5arrayIPcLm6EELi4E23TrivialOffsetCalculatorILi5EjESH_ILi1EjENS0_6memory15LoadWithoutCastENSK_16StoreWithoutCastEEEviT_T0_T2_T3_T4_T5_.private_seg_size, 0
	.set _ZN2at6native27unrolled_elementwise_kernelIZZZNS0_12_GLOBAL__N_142_validate_compressed_sparse_indices_kernelILNS2_8CDimNameE0ENS2_18CUDAKernelLauncherENS2_14EmptyVecKernelENS2_8DummyVecELm0EEEvRKNS_6TensorESA_lllENKUlvE1_clEvENKUlvE0_clEvEUllllllE_St5arrayIPcLm6EELi4E23TrivialOffsetCalculatorILi5EjESH_ILi1EjENS0_6memory15LoadWithoutCastENSK_16StoreWithoutCastEEEviT_T0_T2_T3_T4_T5_.uses_vcc, 1
	.set _ZN2at6native27unrolled_elementwise_kernelIZZZNS0_12_GLOBAL__N_142_validate_compressed_sparse_indices_kernelILNS2_8CDimNameE0ENS2_18CUDAKernelLauncherENS2_14EmptyVecKernelENS2_8DummyVecELm0EEEvRKNS_6TensorESA_lllENKUlvE1_clEvENKUlvE0_clEvEUllllllE_St5arrayIPcLm6EELi4E23TrivialOffsetCalculatorILi5EjESH_ILi1EjENS0_6memory15LoadWithoutCastENSK_16StoreWithoutCastEEEviT_T0_T2_T3_T4_T5_.uses_flat_scratch, 0
	.set _ZN2at6native27unrolled_elementwise_kernelIZZZNS0_12_GLOBAL__N_142_validate_compressed_sparse_indices_kernelILNS2_8CDimNameE0ENS2_18CUDAKernelLauncherENS2_14EmptyVecKernelENS2_8DummyVecELm0EEEvRKNS_6TensorESA_lllENKUlvE1_clEvENKUlvE0_clEvEUllllllE_St5arrayIPcLm6EELi4E23TrivialOffsetCalculatorILi5EjESH_ILi1EjENS0_6memory15LoadWithoutCastENSK_16StoreWithoutCastEEEviT_T0_T2_T3_T4_T5_.has_dyn_sized_stack, 0
	.set _ZN2at6native27unrolled_elementwise_kernelIZZZNS0_12_GLOBAL__N_142_validate_compressed_sparse_indices_kernelILNS2_8CDimNameE0ENS2_18CUDAKernelLauncherENS2_14EmptyVecKernelENS2_8DummyVecELm0EEEvRKNS_6TensorESA_lllENKUlvE1_clEvENKUlvE0_clEvEUllllllE_St5arrayIPcLm6EELi4E23TrivialOffsetCalculatorILi5EjESH_ILi1EjENS0_6memory15LoadWithoutCastENSK_16StoreWithoutCastEEEviT_T0_T2_T3_T4_T5_.has_recursion, 0
	.set _ZN2at6native27unrolled_elementwise_kernelIZZZNS0_12_GLOBAL__N_142_validate_compressed_sparse_indices_kernelILNS2_8CDimNameE0ENS2_18CUDAKernelLauncherENS2_14EmptyVecKernelENS2_8DummyVecELm0EEEvRKNS_6TensorESA_lllENKUlvE1_clEvENKUlvE0_clEvEUllllllE_St5arrayIPcLm6EELi4E23TrivialOffsetCalculatorILi5EjESH_ILi1EjENS0_6memory15LoadWithoutCastENSK_16StoreWithoutCastEEEviT_T0_T2_T3_T4_T5_.has_indirect_call, 0
	.section	.AMDGPU.csdata,"",@progbits
; Kernel info:
; codeLenInByte = 7164
; TotalNumSgprs: 68
; NumVgprs: 56
; ScratchSize: 0
; MemoryBound: 0
; FloatMode: 240
; IeeeMode: 1
; LDSByteSize: 0 bytes/workgroup (compile time only)
; SGPRBlocks: 0
; VGPRBlocks: 3
; NumSGPRsForWavesPerEU: 68
; NumVGPRsForWavesPerEU: 56
; NamedBarCnt: 0
; Occupancy: 16
; WaveLimiterHint : 0
; COMPUTE_PGM_RSRC2:SCRATCH_EN: 0
; COMPUTE_PGM_RSRC2:USER_SGPR: 2
; COMPUTE_PGM_RSRC2:TRAP_HANDLER: 0
; COMPUTE_PGM_RSRC2:TGID_X_EN: 1
; COMPUTE_PGM_RSRC2:TGID_Y_EN: 0
; COMPUTE_PGM_RSRC2:TGID_Z_EN: 0
; COMPUTE_PGM_RSRC2:TIDIG_COMP_CNT: 0
	.section	.text._ZN2at6native32elementwise_kernel_manual_unrollILi128ELi4EZNS0_22gpu_kernel_impl_nocastIZZZNS0_12_GLOBAL__N_142_validate_compressed_sparse_indices_kernelILNS3_8CDimNameE0ENS3_18CUDAKernelLauncherENS3_14EmptyVecKernelENS3_8DummyVecELm0EEEvRKNS_6TensorESB_lllENKUlvE1_clEvENKUlvE0_clEvEUllllllE_EEvRNS_18TensorIteratorBaseERKT_EUlibE_EEviT1_,"axG",@progbits,_ZN2at6native32elementwise_kernel_manual_unrollILi128ELi4EZNS0_22gpu_kernel_impl_nocastIZZZNS0_12_GLOBAL__N_142_validate_compressed_sparse_indices_kernelILNS3_8CDimNameE0ENS3_18CUDAKernelLauncherENS3_14EmptyVecKernelENS3_8DummyVecELm0EEEvRKNS_6TensorESB_lllENKUlvE1_clEvENKUlvE0_clEvEUllllllE_EEvRNS_18TensorIteratorBaseERKT_EUlibE_EEviT1_,comdat
	.globl	_ZN2at6native32elementwise_kernel_manual_unrollILi128ELi4EZNS0_22gpu_kernel_impl_nocastIZZZNS0_12_GLOBAL__N_142_validate_compressed_sparse_indices_kernelILNS3_8CDimNameE0ENS3_18CUDAKernelLauncherENS3_14EmptyVecKernelENS3_8DummyVecELm0EEEvRKNS_6TensorESB_lllENKUlvE1_clEvENKUlvE0_clEvEUllllllE_EEvRNS_18TensorIteratorBaseERKT_EUlibE_EEviT1_ ; -- Begin function _ZN2at6native32elementwise_kernel_manual_unrollILi128ELi4EZNS0_22gpu_kernel_impl_nocastIZZZNS0_12_GLOBAL__N_142_validate_compressed_sparse_indices_kernelILNS3_8CDimNameE0ENS3_18CUDAKernelLauncherENS3_14EmptyVecKernelENS3_8DummyVecELm0EEEvRKNS_6TensorESB_lllENKUlvE1_clEvENKUlvE0_clEvEUllllllE_EEvRNS_18TensorIteratorBaseERKT_EUlibE_EEviT1_
	.p2align	8
	.type	_ZN2at6native32elementwise_kernel_manual_unrollILi128ELi4EZNS0_22gpu_kernel_impl_nocastIZZZNS0_12_GLOBAL__N_142_validate_compressed_sparse_indices_kernelILNS3_8CDimNameE0ENS3_18CUDAKernelLauncherENS3_14EmptyVecKernelENS3_8DummyVecELm0EEEvRKNS_6TensorESB_lllENKUlvE1_clEvENKUlvE0_clEvEUllllllE_EEvRNS_18TensorIteratorBaseERKT_EUlibE_EEviT1_,@function
_ZN2at6native32elementwise_kernel_manual_unrollILi128ELi4EZNS0_22gpu_kernel_impl_nocastIZZZNS0_12_GLOBAL__N_142_validate_compressed_sparse_indices_kernelILNS3_8CDimNameE0ENS3_18CUDAKernelLauncherENS3_14EmptyVecKernelENS3_8DummyVecELm0EEEvRKNS_6TensorESB_lllENKUlvE1_clEvENKUlvE0_clEvEUllllllE_EEvRNS_18TensorIteratorBaseERKT_EUlibE_EEviT1_: ; @_ZN2at6native32elementwise_kernel_manual_unrollILi128ELi4EZNS0_22gpu_kernel_impl_nocastIZZZNS0_12_GLOBAL__N_142_validate_compressed_sparse_indices_kernelILNS3_8CDimNameE0ENS3_18CUDAKernelLauncherENS3_14EmptyVecKernelENS3_8DummyVecELm0EEEvRKNS_6TensorESB_lllENKUlvE1_clEvENKUlvE0_clEvEUllllllE_EEvRNS_18TensorIteratorBaseERKT_EUlibE_EEviT1_
; %bb.0:
	s_clause 0x1
	s_load_b32 s33, s[0:1], 0x8
	s_load_b32 s80, s[0:1], 0x0
	s_bfe_u32 s2, ttmp6, 0x4000c
	s_and_b32 s3, ttmp6, 15
	s_add_co_i32 s2, s2, 1
	s_getreg_b32 s4, hwreg(HW_REG_IB_STS2, 6, 4)
	s_mul_i32 s2, ttmp9, s2
	s_mov_b32 s71, 0
	s_add_co_i32 s3, s3, s2
	s_cmp_eq_u32 s4, 0
	s_mov_b32 s51, -1
	s_cselect_b32 s2, ttmp9, s3
	s_mov_b32 s36, 0
	v_lshl_or_b32 v0, s2, 9, v0
	s_add_nc_u64 s[2:3], s[0:1], 8
	s_get_pc_i64 s[34:35]
	s_add_nc_u64 s[34:35], s[34:35], .str.1@rel64+4
	s_wait_xcnt 0x0
	s_mov_b32 s0, exec_lo
	v_or_b32_e32 v2, 0x180, v0
	s_wait_kmcnt 0x0
	s_add_co_i32 s70, s33, -1
	s_delay_alu instid0(SALU_CYCLE_1)
	s_cmp_gt_u32 s70, 1
	s_cselect_b32 s72, -1, 0
	v_cmpx_le_i32_e64 s80, v2
	s_xor_b32 s73, exec_lo, s0
	s_cbranch_execz .LBB61_137
; %bb.1:
	s_clause 0x5
	s_load_b256 s[20:27], s[2:3], 0x288
	s_load_b128 s[44:47], s[2:3], 0x4
	s_load_b64 s[0:1], s[2:3], 0x14
	s_load_b256 s[36:43], s[2:3], 0xc4
	s_load_b512 s[4:19], s[2:3], 0x248
	s_load_b64 s[48:49], s[2:3], 0x2a8
	s_cmp_lg_u32 s33, 0
	s_get_pc_i64 s[28:29]
	s_add_nc_u64 s[28:29], s[28:29], .str.2@rel64+4
	s_cselect_b32 s81, -1, 0
	s_min_u32 s78, s70, 15
	s_cmp_gt_u32 s33, 1
	s_get_pc_i64 s[30:31]
	s_add_nc_u64 s[30:31], s[30:31], .str.3@rel64+4
	s_cselect_b32 s77, -1, 0
	s_cmp_lg_u64 s[34:35], 0
	s_mov_b32 s53, 0
	s_cselect_b32 s76, -1, 0
	s_cmp_lg_u64 s[28:29], 0
	s_get_pc_i64 s[28:29]
	s_add_nc_u64 s[28:29], s[28:29], .str.4@rel64+4
	s_cselect_b32 s75, -1, 0
	s_cmp_lg_u64 s[30:31], 0
	s_mov_b32 s55, s53
	s_cselect_b32 s74, -1, 0
	s_wait_kmcnt 0x0
	s_add_co_i32 s50, s22, -1
	s_mov_b32 s52, s45
	s_cmp_gt_i32 s50, -1
	s_mov_b32 s54, s0
	s_cselect_b32 s45, -1, 0
	s_cmp_lg_u64 s[28:29], 0
	s_mov_b32 s84, s53
	s_cselect_b32 s23, -1, 0
	s_mov_b32 s83, s53
	s_mov_b32 s82, s53
	;; [unrolled: 1-line block ×3, first 2 shown]
	s_mov_b32 s85, exec_lo
	v_cmpx_gt_i32_e64 s80, v0
	s_cbranch_execz .LBB61_35
; %bb.2:
	s_and_not1_b32 vcc_lo, exec_lo, s72
	s_cbranch_vccnz .LBB61_8
; %bb.3:
	s_and_not1_b32 vcc_lo, exec_lo, s81
	s_cbranch_vccnz .LBB61_9
; %bb.4:
	v_dual_mov_b32 v6, 0 :: v_dual_mov_b32 v1, v0
	v_dual_mov_b32 v8, 0 :: v_dual_mov_b32 v5, 0
	;; [unrolled: 1-line block ×3, first 2 shown]
	v_mov_b32_e32 v7, 0
	s_add_co_i32 s0, s78, 1
	s_mov_b64 s[28:29], 0xffffffffffffffd0
	s_and_b32 s0, s0, 30
	s_add_nc_u64 s[56:57], s[2:3], s[28:29]
	s_mov_b64 s[58:59], s[2:3]
.LBB61_5:                               ; =>This Inner Loop Header: Depth=1
	s_clause 0x1
	s_load_b128 s[88:91], s[58:59], 0x4
	s_load_b64 s[28:29], s[58:59], 0x14
	s_clause 0x1
	s_load_b256 s[60:67], s[56:57], 0xf4
	s_load_b128 s[92:95], s[56:57], 0x114
	s_add_co_i32 s0, s0, -2
	s_wait_xcnt 0x0
	s_add_nc_u64 s[58:59], s[58:59], 24
	s_cmp_lg_u32 s0, 0
	s_add_nc_u64 s[56:57], s[56:57], 48
	s_wait_kmcnt 0x0
	v_mul_hi_u32 v2, s89, v1
	s_delay_alu instid0(VALU_DEP_1) | instskip(NEXT) | instid1(VALU_DEP_1)
	v_add_nc_u32_e32 v2, v1, v2
	v_lshrrev_b32_e32 v2, s90, v2
	s_delay_alu instid0(VALU_DEP_1) | instskip(SKIP_1) | instid1(VALU_DEP_1)
	v_mul_hi_u32 v3, s28, v2
	v_mul_lo_u32 v9, v2, s88
	v_dual_add_nc_u32 v3, v2, v3 :: v_dual_sub_nc_u32 v9, v1, v9
	s_delay_alu instid0(VALU_DEP_1) | instskip(NEXT) | instid1(VALU_DEP_2)
	v_lshrrev_b32_e32 v1, s29, v3
	v_mad_u32 v3, v9, s61, v7
	v_mad_u32 v10, v9, s60, v14
	;; [unrolled: 1-line block ×4, first 2 shown]
	v_mul_lo_u32 v7, v1, s91
	v_mad_u32 v8, s65, v9, v8
	v_mad_u32 v6, s64, v9, v6
	s_delay_alu instid0(VALU_DEP_3) | instskip(NEXT) | instid1(VALU_DEP_1)
	v_sub_nc_u32_e32 v2, v2, v7
	v_mad_u32 v7, v2, s67, v3
	v_mad_u32 v14, v2, s66, v10
	;; [unrolled: 1-line block ×6, first 2 shown]
	s_cbranch_scc1 .LBB61_5
; %bb.6:
	s_bitcmp1_b32 s78, 0
	s_cselect_b32 s0, -1, 0
	s_delay_alu instid0(SALU_CYCLE_1)
	s_and_b32 vcc_lo, exec_lo, s0
	s_cbranch_vccnz .LBB61_10
; %bb.7:
	s_load_b96 s[28:30], s[58:59], 0x4
	s_wait_kmcnt 0x0
	v_mul_hi_u32 v2, s29, v1
	s_delay_alu instid0(VALU_DEP_1) | instskip(NEXT) | instid1(VALU_DEP_1)
	v_add_nc_u32_e32 v2, v1, v2
	v_lshrrev_b32_e32 v2, s30, v2
	s_clause 0x1
	s_load_b128 s[60:63], s[56:57], 0xf4
	s_load_b64 s[30:31], s[56:57], 0x104
	s_delay_alu instid0(VALU_DEP_1) | instskip(NEXT) | instid1(VALU_DEP_1)
	v_mul_lo_u32 v2, v2, s28
	v_sub_nc_u32_e32 v1, v1, v2
	s_wait_kmcnt 0x0
	s_delay_alu instid0(VALU_DEP_1)
	v_mad_u32 v14, v1, s60, v14
	v_mad_u32 v7, v1, s61, v7
	v_mad_u32 v5, v1, s62, v5
	v_mad_u32 v4, v1, s63, v4
	v_mad_u32 v6, s30, v1, v6
	v_mad_u32 v8, s31, v1, v8
	s_cbranch_execz .LBB61_11
	s_branch .LBB61_13
.LBB61_8:
                                        ; implicit-def: $vgpr7
                                        ; implicit-def: $vgpr14
                                        ; implicit-def: $vgpr4
                                        ; implicit-def: $vgpr5
                                        ; implicit-def: $vgpr8
                                        ; implicit-def: $vgpr6
	s_branch .LBB61_11
.LBB61_9:
	v_dual_mov_b32 v7, 0 :: v_dual_mov_b32 v14, 0
	v_dual_mov_b32 v4, 0 :: v_dual_mov_b32 v5, 0
	;; [unrolled: 1-line block ×3, first 2 shown]
.LBB61_10:
	s_cbranch_execnz .LBB61_13
.LBB61_11:
	v_mov_b32_e32 v1, 0
	s_and_not1_b32 vcc_lo, exec_lo, s77
	s_delay_alu instid0(VALU_DEP_1) | instskip(NEXT) | instid1(VALU_DEP_1)
	v_mul_u64_e32 v[2:3], s[52:53], v[0:1]
	v_add_nc_u32_e32 v2, v0, v3
	s_delay_alu instid0(VALU_DEP_1) | instskip(NEXT) | instid1(VALU_DEP_1)
	v_lshrrev_b32_e32 v2, s46, v2
	v_mul_lo_u32 v3, v2, s44
	s_delay_alu instid0(VALU_DEP_1) | instskip(NEXT) | instid1(VALU_DEP_1)
	v_sub_nc_u32_e32 v3, v0, v3
	v_mul_lo_u32 v7, v3, s37
	v_mul_lo_u32 v14, v3, s36
	v_mul_lo_u32 v4, v3, s39
	v_mul_lo_u32 v5, v3, s38
	v_mul_lo_u32 v8, s41, v3
	v_mul_lo_u32 v6, s40, v3
	s_cbranch_vccnz .LBB61_13
; %bb.12:
	v_mov_b32_e32 v3, v1
	s_load_b128 s[28:31], s[2:3], 0xe4
	s_delay_alu instid0(VALU_DEP_1) | instskip(NEXT) | instid1(VALU_DEP_1)
	v_mul_u64_e32 v[10:11], s[54:55], v[2:3]
	v_add_nc_u32_e32 v1, v2, v11
	s_delay_alu instid0(VALU_DEP_1) | instskip(NEXT) | instid1(VALU_DEP_1)
	v_lshrrev_b32_e32 v1, s1, v1
	v_mul_lo_u32 v1, v1, s47
	s_delay_alu instid0(VALU_DEP_1) | instskip(NEXT) | instid1(VALU_DEP_1)
	v_sub_nc_u32_e32 v1, v2, v1
	v_mad_u32 v14, v1, s42, v14
	v_mad_u32 v7, v1, s43, v7
	s_wait_kmcnt 0x0
	v_mad_u32 v5, v1, s28, v5
	v_mad_u32 v4, v1, s29, v4
	;; [unrolled: 1-line block ×4, first 2 shown]
.LBB61_13:
	global_load_b64 v[2:3], v7, s[6:7]
	s_mov_b32 s51, -1
	s_mov_b32 s0, 0
	s_mov_b32 s56, 0
	;; [unrolled: 1-line block ×4, first 2 shown]
	s_wait_loadcnt 0x0
	v_cmp_eq_u64_e32 vcc_lo, s[16:17], v[2:3]
	s_and_b32 s28, s76, vcc_lo
	s_delay_alu instid0(SALU_CYCLE_1)
	s_and_saveexec_b32 s79, s28
	s_cbranch_execz .LBB61_34
; %bb.14:
	global_load_b64 v[2:3], v5, s[8:9]
	s_wait_loadcnt 0x0
	v_cmp_eq_u64_e32 vcc_lo, s[20:21], v[2:3]
	s_and_b32 s28, s75, vcc_lo
	s_delay_alu instid0(SALU_CYCLE_1)
	s_and_saveexec_b32 s82, s28
	s_cbranch_execz .LBB61_33
; %bb.15:
	global_load_b64 v[4:5], v4, s[10:11]
	global_load_b64 v[2:3], v6, s[12:13]
	s_wait_loadcnt 0x0
	v_sub_nc_u64_e32 v[6:7], v[2:3], v[4:5]
	s_delay_alu instid0(VALU_DEP_1) | instskip(SKIP_4) | instid1(SALU_CYCLE_1)
	v_cmp_le_i64_e32 vcc_lo, s[16:17], v[6:7]
	v_cmp_ge_i64_e64 s0, s[18:19], v[6:7]
	s_and_b32 s28, vcc_lo, s0
	s_mov_b32 s0, 0
	s_and_b32 s28, s74, s28
	s_and_saveexec_b32 s83, s28
	s_cbranch_execz .LBB61_32
; %bb.16:
	v_cmp_lt_i64_e64 s0, s[20:21], 1
	v_mov_b64_e32 v[6:7], 0
	s_xor_b32 s28, s45, -1
	s_delay_alu instid0(SALU_CYCLE_1) | instskip(NEXT) | instid1(SALU_CYCLE_1)
	s_or_b32 s0, s0, s28
	s_and_b32 vcc_lo, exec_lo, s0
	s_cbranch_vccnz .LBB61_23
; %bb.17:
	global_load_b64 v[6:7], v8, s[14:15]
	s_mov_b32 s51, s57
	s_wait_xcnt 0x0
	v_mov_b32_e32 v8, 0
	s_lshl_b64 s[28:29], s[50:51], 3
	s_mov_b64 s[58:59], 0xffffffff
	s_add_nc_u64 s[60:61], s[24:25], s[28:29]
	s_add_nc_u64 s[62:63], s[26:27], s[28:29]
	s_mov_b32 s51, s22
	s_wait_loadcnt 0x0
	v_mul_u64_e32 v[10:11], s[20:21], v[6:7]
	v_mov_b64_e32 v[6:7], 0
	s_branch .LBB61_19
.LBB61_18:                              ;   in Loop: Header=BB61_19 Depth=1
	s_or_b32 exec_lo, exec_lo, s0
	s_delay_alu instid0(VALU_DEP_1)
	v_mul_u64_e32 v[16:17], s[64:65], v[12:13]
	s_load_b64 s[28:29], s[62:63], 0x0
	s_add_co_i32 s51, s51, -1
	s_add_nc_u64 s[60:61], s[60:61], -8
	s_cmp_eq_u32 s51, 0
	s_wait_xcnt 0x0
	s_add_nc_u64 s[62:63], s[62:63], -8
	s_delay_alu instid0(VALU_DEP_1) | instskip(SKIP_1) | instid1(VALU_DEP_1)
	v_sub_nc_u64_e32 v[10:11], v[10:11], v[16:17]
	s_wait_kmcnt 0x0
	v_mad_nc_u64_u32 v[6:7], v10, s28, v[6:7]
	s_delay_alu instid0(VALU_DEP_1) | instskip(NEXT) | instid1(VALU_DEP_1)
	v_mad_u32 v1, v11, s28, v7
	v_mad_u32 v7, v10, s29, v1
	v_mov_b64_e32 v[10:11], v[12:13]
	s_cbranch_scc1 .LBB61_23
.LBB61_19:                              ; =>This Inner Loop Header: Depth=1
	s_load_b64 s[64:65], s[60:61], 0x0
                                        ; implicit-def: $vgpr12_vgpr13
	s_mov_b32 s0, exec_lo
	s_wait_kmcnt 0x0
	s_delay_alu instid0(VALU_DEP_1) | instskip(NEXT) | instid1(VALU_DEP_1)
	v_or_b32_e32 v9, s65, v11
	v_cmpx_ne_u64_e32 0, v[8:9]
	s_xor_b32 s84, exec_lo, s0
	s_cbranch_execz .LBB61_21
; %bb.20:                               ;   in Loop: Header=BB61_19 Depth=1
	s_ashr_i32 s66, s65, 31
	v_dual_mov_b32 v19, v8 :: v_dual_ashrrev_i32 v12, 31, v11
	s_mov_b32 s67, s66
	v_mov_b32_e32 v23, v8
	s_add_nc_u64 s[28:29], s[64:65], s[66:67]
	s_delay_alu instid0(VALU_DEP_2)
	v_mov_b32_e32 v13, v12
	s_xor_b64 s[68:69], s[28:29], s[66:67]
	v_mov_b32_e32 v27, v8
	s_cvt_f32_u32 s0, s68
	s_cvt_f32_u32 s28, s69
	s_sub_nc_u64 s[30:31], 0, s[68:69]
	v_add_nc_u64_e32 v[16:17], v[10:11], v[12:13]
	s_delay_alu instid0(SALU_CYCLE_1) | instskip(NEXT) | instid1(SALU_CYCLE_3)
	s_fmamk_f32 s0, s28, 0x4f800000, s0
	v_s_rcp_f32 s0, s0
	s_delay_alu instid0(VALU_DEP_1) | instskip(NEXT) | instid1(VALU_DEP_2)
	v_xor_b32_e32 v22, v17, v12
	v_xor_b32_e32 v18, v16, v12
	s_delay_alu instid0(TRANS32_DEP_1) | instskip(NEXT) | instid1(SALU_CYCLE_3)
	s_mul_f32 s0, s0, 0x5f7ffffc
	s_mul_f32 s28, s0, 0x2f800000
	s_delay_alu instid0(SALU_CYCLE_3) | instskip(NEXT) | instid1(SALU_CYCLE_3)
	s_trunc_f32 s28, s28
	s_fmamk_f32 s0, s28, 0xcf800000, s0
	s_cvt_u32_f32 s29, s28
	s_delay_alu instid0(SALU_CYCLE_2) | instskip(NEXT) | instid1(SALU_CYCLE_3)
	s_cvt_u32_f32 s28, s0
	s_mul_u64 s[86:87], s[30:31], s[28:29]
	s_delay_alu instid0(SALU_CYCLE_1)
	s_mul_hi_u32 s89, s28, s87
	s_mul_i32 s88, s28, s87
	s_mul_hi_u32 s56, s28, s86
	s_mul_i32 s67, s29, s86
	s_add_nc_u64 s[88:89], s[56:57], s[88:89]
	s_mul_hi_u32 s0, s29, s86
	s_mul_hi_u32 s90, s29, s87
	s_add_co_u32 s56, s88, s67
	s_add_co_ci_u32 s56, s89, s0
	s_mul_i32 s86, s29, s87
	s_add_co_ci_u32 s87, s90, 0
	s_delay_alu instid0(SALU_CYCLE_1) | instskip(NEXT) | instid1(SALU_CYCLE_1)
	s_add_nc_u64 s[86:87], s[56:57], s[86:87]
	s_add_co_u32 s28, s28, s86
	s_cselect_b32 s0, -1, 0
	s_delay_alu instid0(SALU_CYCLE_1) | instskip(SKIP_1) | instid1(SALU_CYCLE_1)
	s_cmp_lg_u32 s0, 0
	s_add_co_ci_u32 s29, s29, s87
	s_mul_u64 s[30:31], s[30:31], s[28:29]
	s_delay_alu instid0(SALU_CYCLE_1)
	s_mul_hi_u32 s87, s28, s31
	s_mul_i32 s86, s28, s31
	s_mul_hi_u32 s56, s28, s30
	s_mul_i32 s67, s29, s30
	s_add_nc_u64 s[86:87], s[56:57], s[86:87]
	s_mul_hi_u32 s0, s29, s30
	s_mul_hi_u32 s88, s29, s31
	s_mul_i32 s30, s29, s31
	s_add_co_u32 s31, s86, s67
	s_add_co_ci_u32 s56, s87, s0
	s_add_co_ci_u32 s31, s88, 0
	s_delay_alu instid0(SALU_CYCLE_1) | instskip(NEXT) | instid1(SALU_CYCLE_1)
	s_add_nc_u64 s[30:31], s[56:57], s[30:31]
	s_add_co_u32 s0, s28, s30
	s_cselect_b32 s28, -1, 0
	v_mul_hi_u32 v26, v18, s0
	s_cmp_lg_u32 s28, 0
	s_add_co_ci_u32 s56, s29, s31
	s_and_b64 s[28:29], s[0:1], s[58:59]
	v_mul_u64_e32 v[20:21], s[56:57], v[18:19]
	v_mul_u64_e32 v[16:17], s[28:29], v[22:23]
	;; [unrolled: 1-line block ×3, first 2 shown]
	s_delay_alu instid0(VALU_DEP_3) | instskip(NEXT) | instid1(VALU_DEP_1)
	v_add_nc_u64_e32 v[20:21], v[26:27], v[20:21]
	v_add_co_u32 v1, vcc_lo, v20, v16
	s_delay_alu instid0(VALU_DEP_2) | instskip(NEXT) | instid1(VALU_DEP_4)
	v_add_co_ci_u32_e32 v26, vcc_lo, v21, v17, vcc_lo
	v_add_co_ci_u32_e32 v25, vcc_lo, 0, v25, vcc_lo
	s_delay_alu instid0(VALU_DEP_1) | instskip(NEXT) | instid1(VALU_DEP_1)
	v_add_nc_u64_e32 v[16:17], v[26:27], v[24:25]
	v_mul_u64_e32 v[20:21], s[68:69], v[16:17]
	s_delay_alu instid0(VALU_DEP_1) | instskip(NEXT) | instid1(VALU_DEP_2)
	v_sub_nc_u32_e32 v1, v22, v21
	v_sub_co_u32 v9, vcc_lo, v18, v20
	s_delay_alu instid0(VALU_DEP_1) | instskip(NEXT) | instid1(VALU_DEP_3)
	v_sub_co_ci_u32_e64 v15, null, v22, v21, vcc_lo
	v_subrev_co_ci_u32_e64 v1, null, s69, v1, vcc_lo
	s_delay_alu instid0(VALU_DEP_3) | instskip(SKIP_1) | instid1(VALU_DEP_3)
	v_sub_co_u32 v13, s0, v9, s68
	v_add_nc_u64_e32 v[20:21], 1, v[16:17]
	v_subrev_co_ci_u32_e64 v1, null, 0, v1, s0
	s_delay_alu instid0(VALU_DEP_3) | instskip(SKIP_1) | instid1(VALU_DEP_3)
	v_cmp_le_u32_e32 vcc_lo, s68, v13
	v_cndmask_b32_e64 v13, 0, -1, vcc_lo
	v_cmp_le_u32_e32 vcc_lo, s69, v1
	v_cndmask_b32_e64 v18, 0, -1, vcc_lo
	;; [unrolled: 2-line block ×4, first 2 shown]
	v_cmp_eq_u32_e32 vcc_lo, s69, v1
	v_cndmask_b32_e32 v1, v18, v13, vcc_lo
	v_cmp_eq_u32_e32 vcc_lo, s69, v15
	v_add_nc_u64_e32 v[18:19], 2, v[16:17]
	v_cndmask_b32_e32 v9, v22, v9, vcc_lo
	s_delay_alu instid0(VALU_DEP_4) | instskip(NEXT) | instid1(VALU_DEP_3)
	v_cmp_ne_u32_e32 vcc_lo, 0, v1
	v_cndmask_b32_e32 v1, v21, v19, vcc_lo
	s_delay_alu instid0(VALU_DEP_3) | instskip(SKIP_1) | instid1(VALU_DEP_2)
	v_cmp_ne_u32_e64 s0, 0, v9
	v_dual_cndmask_b32 v9, v20, v18, vcc_lo :: v_dual_bitop2_b32 v12, s66, v12 bitop3:0x14
	v_cndmask_b32_e64 v1, v17, v1, s0
	s_delay_alu instid0(VALU_DEP_1) | instskip(NEXT) | instid1(VALU_DEP_1)
	v_dual_cndmask_b32 v9, v16, v9, s0 :: v_dual_bitop2_b32 v17, v1, v12 bitop3:0x14
	v_dual_mov_b32 v13, v12 :: v_dual_bitop2_b32 v16, v9, v12 bitop3:0x14
	s_delay_alu instid0(VALU_DEP_1)
	v_sub_nc_u64_e32 v[12:13], v[16:17], v[12:13]
.LBB61_21:                              ;   in Loop: Header=BB61_19 Depth=1
	s_and_not1_saveexec_b32 s0, s84
	s_cbranch_execz .LBB61_18
; %bb.22:                               ;   in Loop: Header=BB61_19 Depth=1
	v_cvt_f32_u32_e32 v1, s64
	s_sub_co_i32 s28, 0, s64
	s_delay_alu instid0(VALU_DEP_1) | instskip(SKIP_1) | instid1(TRANS32_DEP_1)
	v_rcp_iflag_f32_e32 v1, v1
	v_nop
	v_mul_f32_e32 v1, 0x4f7ffffe, v1
	s_delay_alu instid0(VALU_DEP_1) | instskip(NEXT) | instid1(VALU_DEP_1)
	v_cvt_u32_f32_e32 v1, v1
	v_mul_lo_u32 v9, s28, v1
	s_delay_alu instid0(VALU_DEP_1) | instskip(NEXT) | instid1(VALU_DEP_1)
	v_mul_hi_u32 v9, v1, v9
	v_add_nc_u32_e32 v1, v1, v9
	s_delay_alu instid0(VALU_DEP_1) | instskip(NEXT) | instid1(VALU_DEP_1)
	v_mul_hi_u32 v1, v10, v1
	v_mul_lo_u32 v9, v1, s64
	v_add_nc_u32_e32 v12, 1, v1
	s_delay_alu instid0(VALU_DEP_2) | instskip(NEXT) | instid1(VALU_DEP_1)
	v_sub_nc_u32_e32 v9, v10, v9
	v_subrev_nc_u32_e32 v13, s64, v9
	v_cmp_le_u32_e32 vcc_lo, s64, v9
	s_delay_alu instid0(VALU_DEP_2) | instskip(SKIP_1) | instid1(VALU_DEP_2)
	v_dual_cndmask_b32 v9, v9, v13, vcc_lo :: v_dual_mov_b32 v13, v8
	v_cndmask_b32_e32 v1, v1, v12, vcc_lo
	v_cmp_le_u32_e32 vcc_lo, s64, v9
	s_delay_alu instid0(VALU_DEP_2) | instskip(NEXT) | instid1(VALU_DEP_1)
	v_add_nc_u32_e32 v12, 1, v1
	v_cndmask_b32_e32 v12, v1, v12, vcc_lo
	s_branch .LBB61_18
.LBB61_23:
	s_mov_b32 s57, -1
	s_mov_b32 s0, 0
	s_mov_b32 s56, 0
	s_mov_b32 s51, exec_lo
	v_cmpx_gt_i64_e64 v[2:3], v[4:5]
	s_cbranch_execz .LBB61_29
; %bb.24:
	s_delay_alu instid0(VALU_DEP_2) | instskip(SKIP_1) | instid1(VALU_DEP_1)
	v_lshlrev_b64_e32 v[6:7], 3, v[6:7]
	s_xor_b32 s58, s23, -1
                                        ; implicit-def: $sgpr57
                                        ; implicit-def: $sgpr60
                                        ; implicit-def: $sgpr59
	v_lshl_add_u64 v[4:5], v[4:5], 3, v[6:7]
	v_add_nc_u64_e32 v[6:7], s[48:49], v[6:7]
	s_delay_alu instid0(VALU_DEP_2) | instskip(NEXT) | instid1(VALU_DEP_2)
	v_add_nc_u64_e32 v[4:5], s[48:49], v[4:5]
	v_lshl_add_u64 v[2:3], v[2:3], 3, v[6:7]
	s_delay_alu instid0(VALU_DEP_2)
	v_add_nc_u64_e32 v[4:5], 8, v[4:5]
	s_branch .LBB61_26
.LBB61_25:                              ;   in Loop: Header=BB61_26 Depth=1
	s_or_b32 exec_lo, exec_lo, s61
	s_delay_alu instid0(SALU_CYCLE_1) | instskip(NEXT) | instid1(SALU_CYCLE_1)
	s_and_b32 s28, exec_lo, s60
	s_or_b32 s56, s28, s56
	s_and_not1_b32 s28, s57, exec_lo
	s_and_b32 s29, s59, exec_lo
	s_delay_alu instid0(SALU_CYCLE_1)
	s_or_b32 s57, s28, s29
	s_and_not1_b32 exec_lo, exec_lo, s56
	s_cbranch_execz .LBB61_28
.LBB61_26:                              ; =>This Inner Loop Header: Depth=1
	s_or_b32 s59, s59, exec_lo
	s_or_b32 s60, s60, exec_lo
	s_mov_b32 s61, exec_lo
	s_delay_alu instid0(VALU_DEP_1)
	v_cmpx_lt_u64_e64 v[4:5], v[2:3]
	s_cbranch_execz .LBB61_25
; %bb.27:                               ;   in Loop: Header=BB61_26 Depth=1
	global_load_b128 v[6:9], v[4:5], off offset:-8
	s_wait_xcnt 0x0
	v_add_nc_u64_e32 v[4:5], 8, v[4:5]
	s_and_not1_b32 s29, s60, exec_lo
	s_and_not1_b32 s59, s59, exec_lo
	s_wait_loadcnt 0x0
	v_cmp_ge_i64_e32 vcc_lo, v[6:7], v[8:9]
	s_or_b32 s28, s58, vcc_lo
	s_delay_alu instid0(SALU_CYCLE_1) | instskip(NEXT) | instid1(SALU_CYCLE_1)
	s_and_b32 s28, s28, exec_lo
	s_or_b32 s60, s29, s28
	s_branch .LBB61_25
.LBB61_28:
	s_or_b32 exec_lo, exec_lo, s56
	s_delay_alu instid0(SALU_CYCLE_1)
	s_mov_b32 s56, exec_lo
	s_or_not1_b32 s57, s57, exec_lo
.LBB61_29:
	s_or_b32 exec_lo, exec_lo, s51
	s_and_saveexec_b32 s51, s57
	s_cbranch_execz .LBB61_31
; %bb.30:
	v_mov_b64_e32 v[2:3], 0
	v_add_nc_u32_e32 v0, 0x80, v0
	s_mov_b32 s0, exec_lo
	s_and_not1_b32 s56, s56, exec_lo
	global_store_b64 v14, v[2:3], s[4:5]
.LBB61_31:
	s_wait_xcnt 0x0
	s_or_b32 exec_lo, exec_lo, s51
	s_delay_alu instid0(SALU_CYCLE_1)
	s_and_b32 s56, s56, exec_lo
	s_xor_b32 s51, exec_lo, -1
	s_and_b32 s0, s0, exec_lo
.LBB61_32:
	s_or_b32 exec_lo, exec_lo, s83
	s_delay_alu instid0(SALU_CYCLE_1)
	s_and_b32 s57, s56, exec_lo
	s_and_b32 s56, s51, exec_lo
	s_xor_b32 s51, exec_lo, -1
	s_and_b32 s0, s0, exec_lo
.LBB61_33:
	s_or_b32 exec_lo, exec_lo, s82
	s_delay_alu instid0(SALU_CYCLE_1)
	s_and_b32 s58, s57, exec_lo
	s_and_b32 s57, s56, exec_lo
	;; [unrolled: 1-line block ×3, first 2 shown]
	s_xor_b32 s51, exec_lo, -1
	s_and_b32 s0, s0, exec_lo
.LBB61_34:
	s_or_b32 exec_lo, exec_lo, s79
	s_delay_alu instid0(SALU_CYCLE_1)
	s_and_b32 s79, s58, exec_lo
	s_and_b32 s82, s57, exec_lo
	;; [unrolled: 1-line block ×4, first 2 shown]
	s_or_not1_b32 s51, s0, exec_lo
.LBB61_35:
	s_or_b32 exec_lo, exec_lo, s85
                                        ; implicit-def: $vgpr12
                                        ; implicit-def: $vgpr4
                                        ; implicit-def: $vgpr7
                                        ; implicit-def: $vgpr6
                                        ; implicit-def: $vgpr5
	s_and_saveexec_b32 s85, s51
	s_cbranch_execz .LBB61_124
; %bb.36:
	s_mov_b32 s51, -1
	s_mov_b32 s86, s84
	s_mov_b32 s89, s83
	;; [unrolled: 1-line block ×4, first 2 shown]
	s_mov_b32 s90, exec_lo
	v_cmpx_gt_i32_e64 s80, v0
	s_cbranch_execz .LBB61_70
; %bb.37:
	s_and_not1_b32 vcc_lo, exec_lo, s72
	s_cbranch_vccnz .LBB61_43
; %bb.38:
	s_and_not1_b32 vcc_lo, exec_lo, s81
	s_cbranch_vccnz .LBB61_44
; %bb.39:
	v_dual_mov_b32 v6, 0 :: v_dual_mov_b32 v1, v0
	v_dual_mov_b32 v8, 0 :: v_dual_mov_b32 v5, 0
	;; [unrolled: 1-line block ×3, first 2 shown]
	v_mov_b32_e32 v7, 0
	s_add_co_i32 s0, s78, 1
	s_mov_b64 s[28:29], 0xffffffffffffffd0
	s_and_b32 s0, s0, 30
	s_add_nc_u64 s[56:57], s[2:3], s[28:29]
	s_mov_b64 s[58:59], s[2:3]
.LBB61_40:                              ; =>This Inner Loop Header: Depth=1
	s_clause 0x1
	s_load_b128 s[92:95], s[58:59], 0x4
	s_load_b64 s[28:29], s[58:59], 0x14
	s_clause 0x1
	s_load_b256 s[60:67], s[56:57], 0xf4
	s_load_b128 s[96:99], s[56:57], 0x114
	s_add_co_i32 s0, s0, -2
	s_wait_xcnt 0x0
	s_add_nc_u64 s[58:59], s[58:59], 24
	s_cmp_eq_u32 s0, 0
	s_add_nc_u64 s[56:57], s[56:57], 48
	s_wait_kmcnt 0x0
	v_mul_hi_u32 v2, s93, v1
	s_delay_alu instid0(VALU_DEP_1) | instskip(NEXT) | instid1(VALU_DEP_1)
	v_add_nc_u32_e32 v2, v1, v2
	v_lshrrev_b32_e32 v2, s94, v2
	s_delay_alu instid0(VALU_DEP_1) | instskip(SKIP_1) | instid1(VALU_DEP_1)
	v_mul_hi_u32 v3, s28, v2
	v_mul_lo_u32 v9, v2, s92
	v_dual_add_nc_u32 v3, v2, v3 :: v_dual_sub_nc_u32 v9, v1, v9
	s_delay_alu instid0(VALU_DEP_1) | instskip(NEXT) | instid1(VALU_DEP_2)
	v_lshrrev_b32_e32 v1, s29, v3
	v_mad_u32 v3, v9, s61, v7
	v_mad_u32 v10, v9, s60, v14
	;; [unrolled: 1-line block ×4, first 2 shown]
	v_mul_lo_u32 v7, v1, s95
	v_mad_u32 v8, s65, v9, v8
	v_mad_u32 v6, s64, v9, v6
	s_delay_alu instid0(VALU_DEP_3) | instskip(NEXT) | instid1(VALU_DEP_1)
	v_sub_nc_u32_e32 v2, v2, v7
	v_mad_u32 v7, v2, s67, v3
	v_mad_u32 v14, v2, s66, v10
	;; [unrolled: 1-line block ×6, first 2 shown]
	s_cbranch_scc0 .LBB61_40
; %bb.41:
	s_bitcmp1_b32 s78, 0
	s_cselect_b32 s0, -1, 0
	s_delay_alu instid0(SALU_CYCLE_1)
	s_and_b32 vcc_lo, exec_lo, s0
	s_cbranch_vccnz .LBB61_45
; %bb.42:
	s_load_b96 s[28:30], s[58:59], 0x4
	s_wait_kmcnt 0x0
	v_mul_hi_u32 v2, s29, v1
	s_delay_alu instid0(VALU_DEP_1) | instskip(NEXT) | instid1(VALU_DEP_1)
	v_add_nc_u32_e32 v2, v1, v2
	v_lshrrev_b32_e32 v2, s30, v2
	s_clause 0x1
	s_load_b128 s[60:63], s[56:57], 0xf4
	s_load_b64 s[30:31], s[56:57], 0x104
	s_delay_alu instid0(VALU_DEP_1) | instskip(NEXT) | instid1(VALU_DEP_1)
	v_mul_lo_u32 v2, v2, s28
	v_sub_nc_u32_e32 v1, v1, v2
	s_wait_kmcnt 0x0
	s_delay_alu instid0(VALU_DEP_1)
	v_mad_u32 v14, v1, s60, v14
	v_mad_u32 v7, v1, s61, v7
	;; [unrolled: 1-line block ×6, first 2 shown]
	s_branch .LBB61_45
.LBB61_43:
                                        ; implicit-def: $vgpr7
                                        ; implicit-def: $vgpr14
                                        ; implicit-def: $vgpr4
                                        ; implicit-def: $vgpr5
                                        ; implicit-def: $vgpr8
                                        ; implicit-def: $vgpr6
	s_branch .LBB61_46
.LBB61_44:
	v_dual_mov_b32 v7, 0 :: v_dual_mov_b32 v14, 0
	v_dual_mov_b32 v4, 0 :: v_dual_mov_b32 v5, 0
	;; [unrolled: 1-line block ×3, first 2 shown]
.LBB61_45:
	s_cbranch_execnz .LBB61_48
.LBB61_46:
	v_mov_b32_e32 v1, 0
	s_and_not1_b32 vcc_lo, exec_lo, s77
	s_delay_alu instid0(VALU_DEP_1) | instskip(NEXT) | instid1(VALU_DEP_1)
	v_mul_u64_e32 v[2:3], s[52:53], v[0:1]
	v_add_nc_u32_e32 v2, v0, v3
	s_delay_alu instid0(VALU_DEP_1) | instskip(NEXT) | instid1(VALU_DEP_1)
	v_lshrrev_b32_e32 v2, s46, v2
	v_mul_lo_u32 v3, v2, s44
	s_delay_alu instid0(VALU_DEP_1) | instskip(NEXT) | instid1(VALU_DEP_1)
	v_sub_nc_u32_e32 v3, v0, v3
	v_mul_lo_u32 v7, v3, s37
	v_mul_lo_u32 v14, v3, s36
	;; [unrolled: 1-line block ×6, first 2 shown]
	s_cbranch_vccnz .LBB61_48
; %bb.47:
	v_mov_b32_e32 v3, v1
	s_load_b128 s[28:31], s[2:3], 0xe4
	s_delay_alu instid0(VALU_DEP_1) | instskip(NEXT) | instid1(VALU_DEP_1)
	v_mul_u64_e32 v[10:11], s[54:55], v[2:3]
	v_add_nc_u32_e32 v1, v2, v11
	s_delay_alu instid0(VALU_DEP_1) | instskip(NEXT) | instid1(VALU_DEP_1)
	v_lshrrev_b32_e32 v1, s1, v1
	v_mul_lo_u32 v1, v1, s47
	s_delay_alu instid0(VALU_DEP_1) | instskip(NEXT) | instid1(VALU_DEP_1)
	v_sub_nc_u32_e32 v1, v2, v1
	v_mad_u32 v14, v1, s42, v14
	v_mad_u32 v7, v1, s43, v7
	s_wait_kmcnt 0x0
	v_mad_u32 v5, v1, s28, v5
	v_mad_u32 v4, v1, s29, v4
	;; [unrolled: 1-line block ×4, first 2 shown]
.LBB61_48:
	global_load_b64 v[2:3], v7, s[6:7]
	s_mov_b32 s0, 0
	s_mov_b32 s51, -1
	s_mov_b32 s56, s83
	s_mov_b32 s58, s82
	s_mov_b32 s57, s79
	s_wait_loadcnt 0x0
	v_cmp_eq_u64_e32 vcc_lo, s[16:17], v[2:3]
	s_and_b32 s28, s76, vcc_lo
	s_wait_xcnt 0x0
	s_and_saveexec_b32 s86, s28
	s_cbranch_execz .LBB61_69
; %bb.49:
	global_load_b64 v[2:3], v5, s[8:9]
	s_mov_b32 s58, s82
	s_mov_b32 s57, s79
	s_wait_loadcnt 0x0
	v_cmp_eq_u64_e32 vcc_lo, s[20:21], v[2:3]
	s_and_b32 s28, s75, vcc_lo
	s_wait_xcnt 0x0
	s_and_saveexec_b32 s87, s28
	s_cbranch_execz .LBB61_68
; %bb.50:
	global_load_b64 v[4:5], v4, s[10:11]
	global_load_b64 v[2:3], v6, s[12:13]
	s_mov_b32 s56, 0
	s_mov_b32 s51, s79
	s_wait_loadcnt 0x0
	v_sub_nc_u64_e32 v[6:7], v[2:3], v[4:5]
	s_delay_alu instid0(VALU_DEP_1) | instskip(SKIP_4) | instid1(SALU_CYCLE_1)
	v_cmp_le_i64_e32 vcc_lo, s[16:17], v[6:7]
	v_cmp_ge_i64_e64 s0, s[18:19], v[6:7]
	s_and_b32 s28, vcc_lo, s0
	s_mov_b32 s0, -1
	s_and_b32 s28, s74, s28
	s_and_saveexec_b32 s88, s28
	s_cbranch_execz .LBB61_67
; %bb.51:
	v_cmp_lt_i64_e64 s0, s[20:21], 1
	v_mov_b64_e32 v[6:7], 0
	s_xor_b32 s28, s45, -1
	s_delay_alu instid0(SALU_CYCLE_1) | instskip(NEXT) | instid1(SALU_CYCLE_1)
	s_or_b32 s0, s0, s28
	s_and_b32 vcc_lo, exec_lo, s0
	s_cbranch_vccnz .LBB61_58
; %bb.52:
	global_load_b64 v[6:7], v8, s[14:15]
	s_mov_b32 s57, 0
	s_wait_xcnt 0x0
	v_mov_b32_e32 v8, 0
	s_mov_b32 s51, s57
	s_mov_b64 s[58:59], 0xffffffff
	s_lshl_b64 s[28:29], s[50:51], 3
	s_mov_b32 s51, s22
	s_add_nc_u64 s[60:61], s[24:25], s[28:29]
	s_add_nc_u64 s[62:63], s[26:27], s[28:29]
	s_wait_loadcnt 0x0
	v_mul_u64_e32 v[10:11], s[20:21], v[6:7]
	v_mov_b64_e32 v[6:7], 0
	s_branch .LBB61_54
.LBB61_53:                              ;   in Loop: Header=BB61_54 Depth=1
	s_or_b32 exec_lo, exec_lo, s0
	global_load_b64 v[16:17], v8, s[62:63]
	v_mul_u64_e32 v[18:19], s[64:65], v[12:13]
	s_add_co_i32 s51, s51, -1
	s_add_nc_u64 s[60:61], s[60:61], -8
	s_cmp_lg_u32 s51, 0
	s_wait_xcnt 0x0
	s_add_nc_u64 s[62:63], s[62:63], -8
	s_delay_alu instid0(VALU_DEP_1) | instskip(SKIP_1) | instid1(VALU_DEP_1)
	v_sub_nc_u64_e32 v[10:11], v[10:11], v[18:19]
	s_wait_loadcnt 0x0
	v_mad_nc_u64_u32 v[6:7], v10, v16, v[6:7]
	s_delay_alu instid0(VALU_DEP_1) | instskip(NEXT) | instid1(VALU_DEP_1)
	v_mad_u32 v1, v11, v16, v7
	v_mad_u32 v7, v10, v17, v1
	v_mov_b64_e32 v[10:11], v[12:13]
	s_cbranch_scc0 .LBB61_58
.LBB61_54:                              ; =>This Inner Loop Header: Depth=1
	global_load_b64 v[12:13], v8, s[60:61]
	s_mov_b32 s0, exec_lo
	s_wait_loadcnt 0x0
	v_or_b32_e32 v9, v11, v13
	v_readfirstlane_b32 s64, v12
	v_readfirstlane_b32 s65, v13
                                        ; implicit-def: $vgpr12_vgpr13
	s_wait_xcnt 0x0
	s_delay_alu instid0(VALU_DEP_3)
	v_cmpx_ne_u64_e32 0, v[8:9]
	s_xor_b32 s89, exec_lo, s0
	s_cbranch_execz .LBB61_56
; %bb.55:                               ;   in Loop: Header=BB61_54 Depth=1
	s_ashr_i32 s66, s65, 31
	v_dual_mov_b32 v19, v8 :: v_dual_ashrrev_i32 v12, 31, v11
	s_mov_b32 s67, s66
	v_mov_b32_e32 v23, v8
	s_add_nc_u64 s[28:29], s[64:65], s[66:67]
	s_delay_alu instid0(VALU_DEP_2)
	v_mov_b32_e32 v13, v12
	s_xor_b64 s[68:69], s[28:29], s[66:67]
	v_mov_b32_e32 v27, v8
	s_cvt_f32_u32 s0, s68
	s_cvt_f32_u32 s28, s69
	s_sub_nc_u64 s[30:31], 0, s[68:69]
	v_add_nc_u64_e32 v[16:17], v[10:11], v[12:13]
	s_delay_alu instid0(SALU_CYCLE_1) | instskip(NEXT) | instid1(SALU_CYCLE_3)
	s_fmamk_f32 s0, s28, 0x4f800000, s0
	v_s_rcp_f32 s0, s0
	s_delay_alu instid0(VALU_DEP_1) | instskip(NEXT) | instid1(VALU_DEP_2)
	v_xor_b32_e32 v22, v17, v12
	v_xor_b32_e32 v18, v16, v12
	s_delay_alu instid0(TRANS32_DEP_1) | instskip(NEXT) | instid1(SALU_CYCLE_3)
	s_mul_f32 s0, s0, 0x5f7ffffc
	s_mul_f32 s28, s0, 0x2f800000
	s_delay_alu instid0(SALU_CYCLE_3) | instskip(NEXT) | instid1(SALU_CYCLE_3)
	s_trunc_f32 s28, s28
	s_fmamk_f32 s0, s28, 0xcf800000, s0
	s_cvt_u32_f32 s29, s28
	s_delay_alu instid0(SALU_CYCLE_2) | instskip(NEXT) | instid1(SALU_CYCLE_3)
	s_cvt_u32_f32 s28, s0
	s_mul_u64 s[92:93], s[30:31], s[28:29]
	s_delay_alu instid0(SALU_CYCLE_1)
	s_mul_hi_u32 s95, s28, s93
	s_mul_i32 s94, s28, s93
	s_mul_hi_u32 s56, s28, s92
	s_mul_i32 s67, s29, s92
	s_add_nc_u64 s[94:95], s[56:57], s[94:95]
	s_mul_hi_u32 s0, s29, s92
	s_mul_hi_u32 s91, s29, s93
	s_add_co_u32 s56, s94, s67
	s_add_co_ci_u32 s56, s95, s0
	s_mul_i32 s92, s29, s93
	s_add_co_ci_u32 s93, s91, 0
	s_delay_alu instid0(SALU_CYCLE_1) | instskip(NEXT) | instid1(SALU_CYCLE_1)
	s_add_nc_u64 s[92:93], s[56:57], s[92:93]
	s_add_co_u32 s28, s28, s92
	s_cselect_b32 s0, -1, 0
	s_delay_alu instid0(SALU_CYCLE_1) | instskip(SKIP_1) | instid1(SALU_CYCLE_1)
	s_cmp_lg_u32 s0, 0
	s_add_co_ci_u32 s29, s29, s93
	s_mul_u64 s[30:31], s[30:31], s[28:29]
	s_delay_alu instid0(SALU_CYCLE_1)
	s_mul_hi_u32 s93, s28, s31
	s_mul_i32 s92, s28, s31
	s_mul_hi_u32 s56, s28, s30
	s_mul_i32 s67, s29, s30
	s_add_nc_u64 s[92:93], s[56:57], s[92:93]
	s_mul_hi_u32 s0, s29, s30
	s_mul_hi_u32 s91, s29, s31
	s_mul_i32 s30, s29, s31
	s_add_co_u32 s31, s92, s67
	s_add_co_ci_u32 s56, s93, s0
	s_add_co_ci_u32 s31, s91, 0
	s_delay_alu instid0(SALU_CYCLE_1) | instskip(NEXT) | instid1(SALU_CYCLE_1)
	s_add_nc_u64 s[30:31], s[56:57], s[30:31]
	s_add_co_u32 s0, s28, s30
	s_cselect_b32 s28, -1, 0
	v_mul_hi_u32 v26, v18, s0
	s_cmp_lg_u32 s28, 0
	s_add_co_ci_u32 s56, s29, s31
	s_and_b64 s[28:29], s[0:1], s[58:59]
	v_mul_u64_e32 v[20:21], s[56:57], v[18:19]
	v_mul_u64_e32 v[16:17], s[28:29], v[22:23]
	;; [unrolled: 1-line block ×3, first 2 shown]
	s_delay_alu instid0(VALU_DEP_3) | instskip(NEXT) | instid1(VALU_DEP_1)
	v_add_nc_u64_e32 v[20:21], v[26:27], v[20:21]
	v_add_co_u32 v1, vcc_lo, v20, v16
	s_delay_alu instid0(VALU_DEP_2) | instskip(NEXT) | instid1(VALU_DEP_4)
	v_add_co_ci_u32_e32 v26, vcc_lo, v21, v17, vcc_lo
	v_add_co_ci_u32_e32 v25, vcc_lo, 0, v25, vcc_lo
	s_delay_alu instid0(VALU_DEP_1) | instskip(NEXT) | instid1(VALU_DEP_1)
	v_add_nc_u64_e32 v[16:17], v[26:27], v[24:25]
	v_mul_u64_e32 v[20:21], s[68:69], v[16:17]
	s_delay_alu instid0(VALU_DEP_1) | instskip(NEXT) | instid1(VALU_DEP_2)
	v_sub_nc_u32_e32 v1, v22, v21
	v_sub_co_u32 v9, vcc_lo, v18, v20
	s_delay_alu instid0(VALU_DEP_1) | instskip(NEXT) | instid1(VALU_DEP_3)
	v_sub_co_ci_u32_e64 v15, null, v22, v21, vcc_lo
	v_subrev_co_ci_u32_e64 v1, null, s69, v1, vcc_lo
	s_delay_alu instid0(VALU_DEP_3) | instskip(SKIP_1) | instid1(VALU_DEP_3)
	v_sub_co_u32 v13, s0, v9, s68
	v_add_nc_u64_e32 v[20:21], 1, v[16:17]
	v_subrev_co_ci_u32_e64 v1, null, 0, v1, s0
	s_delay_alu instid0(VALU_DEP_3) | instskip(SKIP_1) | instid1(VALU_DEP_3)
	v_cmp_le_u32_e32 vcc_lo, s68, v13
	v_cndmask_b32_e64 v13, 0, -1, vcc_lo
	v_cmp_le_u32_e32 vcc_lo, s69, v1
	v_cndmask_b32_e64 v18, 0, -1, vcc_lo
	;; [unrolled: 2-line block ×4, first 2 shown]
	v_cmp_eq_u32_e32 vcc_lo, s69, v1
	v_cndmask_b32_e32 v1, v18, v13, vcc_lo
	v_cmp_eq_u32_e32 vcc_lo, s69, v15
	v_add_nc_u64_e32 v[18:19], 2, v[16:17]
	v_cndmask_b32_e32 v9, v22, v9, vcc_lo
	s_delay_alu instid0(VALU_DEP_4) | instskip(NEXT) | instid1(VALU_DEP_3)
	v_cmp_ne_u32_e32 vcc_lo, 0, v1
	v_cndmask_b32_e32 v1, v21, v19, vcc_lo
	s_delay_alu instid0(VALU_DEP_3) | instskip(SKIP_1) | instid1(VALU_DEP_2)
	v_cmp_ne_u32_e64 s0, 0, v9
	v_dual_cndmask_b32 v9, v20, v18, vcc_lo :: v_dual_bitop2_b32 v12, s66, v12 bitop3:0x14
	v_cndmask_b32_e64 v1, v17, v1, s0
	s_delay_alu instid0(VALU_DEP_1) | instskip(NEXT) | instid1(VALU_DEP_1)
	v_dual_cndmask_b32 v9, v16, v9, s0 :: v_dual_bitop2_b32 v17, v1, v12 bitop3:0x14
	v_dual_mov_b32 v13, v12 :: v_dual_bitop2_b32 v16, v9, v12 bitop3:0x14
	s_delay_alu instid0(VALU_DEP_1)
	v_sub_nc_u64_e32 v[12:13], v[16:17], v[12:13]
.LBB61_56:                              ;   in Loop: Header=BB61_54 Depth=1
	s_and_not1_saveexec_b32 s0, s89
	s_cbranch_execz .LBB61_53
; %bb.57:                               ;   in Loop: Header=BB61_54 Depth=1
	v_cvt_f32_u32_e32 v1, s64
	s_sub_co_i32 s28, 0, s64
	s_delay_alu instid0(VALU_DEP_1) | instskip(SKIP_1) | instid1(TRANS32_DEP_1)
	v_rcp_iflag_f32_e32 v1, v1
	v_nop
	v_mul_f32_e32 v1, 0x4f7ffffe, v1
	s_delay_alu instid0(VALU_DEP_1) | instskip(NEXT) | instid1(VALU_DEP_1)
	v_cvt_u32_f32_e32 v1, v1
	v_mul_lo_u32 v9, s28, v1
	s_delay_alu instid0(VALU_DEP_1) | instskip(NEXT) | instid1(VALU_DEP_1)
	v_mul_hi_u32 v9, v1, v9
	v_add_nc_u32_e32 v1, v1, v9
	s_delay_alu instid0(VALU_DEP_1) | instskip(NEXT) | instid1(VALU_DEP_1)
	v_mul_hi_u32 v1, v10, v1
	v_mul_lo_u32 v9, v1, s64
	v_add_nc_u32_e32 v12, 1, v1
	s_delay_alu instid0(VALU_DEP_2) | instskip(NEXT) | instid1(VALU_DEP_1)
	v_sub_nc_u32_e32 v9, v10, v9
	v_subrev_nc_u32_e32 v13, s64, v9
	v_cmp_le_u32_e32 vcc_lo, s64, v9
	s_delay_alu instid0(VALU_DEP_2) | instskip(SKIP_1) | instid1(VALU_DEP_2)
	v_dual_cndmask_b32 v9, v9, v13, vcc_lo :: v_dual_mov_b32 v13, v8
	v_cndmask_b32_e32 v1, v1, v12, vcc_lo
	v_cmp_le_u32_e32 vcc_lo, s64, v9
	s_delay_alu instid0(VALU_DEP_2) | instskip(NEXT) | instid1(VALU_DEP_1)
	v_add_nc_u32_e32 v12, 1, v1
	v_cndmask_b32_e32 v12, v1, v12, vcc_lo
	s_branch .LBB61_53
.LBB61_58:
	s_mov_b32 s57, -1
	s_mov_b32 s51, s79
	s_mov_b32 s0, exec_lo
	v_cmpx_gt_i64_e64 v[2:3], v[4:5]
	s_cbranch_execz .LBB61_64
; %bb.59:
	s_delay_alu instid0(VALU_DEP_2) | instskip(SKIP_2) | instid1(VALU_DEP_1)
	v_lshlrev_b64_e32 v[6:7], 3, v[6:7]
	s_mov_b32 s51, 0
	s_xor_b32 s57, s23, -1
                                        ; implicit-def: $sgpr56
                                        ; implicit-def: $sgpr59
                                        ; implicit-def: $sgpr58
	v_lshl_add_u64 v[4:5], v[4:5], 3, v[6:7]
	v_add_nc_u64_e32 v[6:7], s[48:49], v[6:7]
	s_delay_alu instid0(VALU_DEP_2) | instskip(NEXT) | instid1(VALU_DEP_2)
	v_add_nc_u64_e32 v[4:5], s[48:49], v[4:5]
	v_lshl_add_u64 v[2:3], v[2:3], 3, v[6:7]
	s_delay_alu instid0(VALU_DEP_2)
	v_add_nc_u64_e32 v[4:5], 8, v[4:5]
	s_branch .LBB61_61
.LBB61_60:                              ;   in Loop: Header=BB61_61 Depth=1
	s_or_b32 exec_lo, exec_lo, s60
	s_delay_alu instid0(SALU_CYCLE_1) | instskip(NEXT) | instid1(SALU_CYCLE_1)
	s_and_b32 s28, exec_lo, s59
	s_or_b32 s51, s28, s51
	s_and_not1_b32 s28, s56, exec_lo
	s_and_b32 s29, s58, exec_lo
	s_delay_alu instid0(SALU_CYCLE_1)
	s_or_b32 s56, s28, s29
	s_and_not1_b32 exec_lo, exec_lo, s51
	s_cbranch_execz .LBB61_63
.LBB61_61:                              ; =>This Inner Loop Header: Depth=1
	s_or_b32 s58, s58, exec_lo
	s_or_b32 s59, s59, exec_lo
	s_mov_b32 s60, exec_lo
	s_delay_alu instid0(VALU_DEP_1)
	v_cmpx_lt_u64_e64 v[4:5], v[2:3]
	s_cbranch_execz .LBB61_60
; %bb.62:                               ;   in Loop: Header=BB61_61 Depth=1
	global_load_b128 v[6:9], v[4:5], off offset:-8
	s_wait_xcnt 0x0
	v_add_nc_u64_e32 v[4:5], 8, v[4:5]
	s_and_not1_b32 s29, s59, exec_lo
	s_and_not1_b32 s58, s58, exec_lo
	s_wait_loadcnt 0x0
	v_cmp_ge_i64_e32 vcc_lo, v[6:7], v[8:9]
	s_or_b32 s28, s57, vcc_lo
	s_delay_alu instid0(SALU_CYCLE_1) | instskip(NEXT) | instid1(SALU_CYCLE_1)
	s_and_b32 s28, s28, exec_lo
	s_or_b32 s59, s29, s28
	s_branch .LBB61_60
.LBB61_63:
	s_or_b32 exec_lo, exec_lo, s51
	s_delay_alu instid0(SALU_CYCLE_1)
	s_or_b32 s51, s79, exec_lo
	s_or_not1_b32 s57, s56, exec_lo
.LBB61_64:
	s_or_b32 exec_lo, exec_lo, s0
	s_mov_b32 s56, 0
	s_and_saveexec_b32 s0, s57
	s_cbranch_execz .LBB61_66
; %bb.65:
	v_mov_b64_e32 v[2:3], 0
	v_add_nc_u32_e32 v0, 0x80, v0
	s_mov_b32 s56, exec_lo
	s_and_not1_b32 s51, s51, exec_lo
	global_store_b64 v14, v[2:3], s[4:5]
.LBB61_66:
	s_wait_xcnt 0x0
	s_or_b32 exec_lo, exec_lo, s0
	s_delay_alu instid0(SALU_CYCLE_1)
	s_and_not1_b32 s0, s79, exec_lo
	s_and_b32 s28, s51, exec_lo
	s_and_b32 s56, s56, exec_lo
	s_or_b32 s51, s0, s28
	s_xor_b32 s0, exec_lo, -1
.LBB61_67:
	s_or_b32 exec_lo, exec_lo, s88
	s_delay_alu instid0(SALU_CYCLE_1)
	s_and_not1_b32 s28, s79, exec_lo
	s_and_b32 s29, s51, exec_lo
	s_and_not1_b32 s30, s82, exec_lo
	s_and_b32 s0, s0, exec_lo
	s_or_b32 s57, s28, s29
	s_or_b32 s58, s30, s0
	s_xor_b32 s51, exec_lo, -1
	s_and_b32 s0, s56, exec_lo
.LBB61_68:
	s_or_b32 exec_lo, exec_lo, s87
	s_delay_alu instid0(SALU_CYCLE_1)
	s_and_not1_b32 s28, s79, exec_lo
	s_and_b32 s29, s57, exec_lo
	s_and_not1_b32 s30, s83, exec_lo
	s_or_b32 s57, s28, s29
	s_and_not1_b32 s28, s82, exec_lo
	s_and_b32 s29, s58, exec_lo
	s_and_b32 s31, s51, exec_lo
	s_or_b32 s58, s28, s29
	s_or_b32 s56, s30, s31
	s_xor_b32 s51, exec_lo, -1
	s_and_b32 s0, s0, exec_lo
.LBB61_69:
	s_or_b32 exec_lo, exec_lo, s86
	s_delay_alu instid0(SALU_CYCLE_1)
	s_and_not1_b32 s28, s79, exec_lo
	s_and_b32 s29, s57, exec_lo
	s_and_not1_b32 s30, s82, exec_lo
	s_and_b32 s31, s58, exec_lo
	s_or_b32 s87, s28, s29
	s_or_b32 s88, s30, s31
	s_and_not1_b32 s28, s83, exec_lo
	s_and_b32 s29, s56, exec_lo
	s_and_not1_b32 s30, s84, exec_lo
	s_and_b32 s31, s51, exec_lo
	s_or_b32 s89, s28, s29
	s_or_b32 s86, s30, s31
	s_or_not1_b32 s51, s0, exec_lo
.LBB61_70:
	s_or_b32 exec_lo, exec_lo, s90
	s_mov_b32 s0, 0
                                        ; implicit-def: $vgpr12
                                        ; implicit-def: $vgpr4
                                        ; implicit-def: $vgpr7
                                        ; implicit-def: $vgpr6
                                        ; implicit-def: $vgpr5
	s_and_saveexec_b32 s90, s51
	s_cbranch_execz .LBB61_123
; %bb.71:
	s_mov_b32 s57, -1
	s_mov_b32 s0, s86
	s_mov_b32 s60, s89
	;; [unrolled: 1-line block ×4, first 2 shown]
	s_mov_b32 s91, exec_lo
	v_cmpx_gt_i32_e64 s80, v0
	s_cbranch_execz .LBB61_106
; %bb.72:
	s_and_not1_b32 vcc_lo, exec_lo, s72
	s_cbranch_vccnz .LBB61_78
; %bb.73:
	s_and_not1_b32 vcc_lo, exec_lo, s81
	s_cbranch_vccnz .LBB61_79
; %bb.74:
	v_dual_mov_b32 v6, 0 :: v_dual_mov_b32 v1, v0
	v_dual_mov_b32 v8, 0 :: v_dual_mov_b32 v5, 0
	;; [unrolled: 1-line block ×3, first 2 shown]
	v_mov_b32_e32 v7, 0
	s_add_co_i32 s0, s78, 1
	s_mov_b64 s[28:29], 0xffffffffffffffd0
	s_and_b32 s0, s0, 30
	s_add_nc_u64 s[56:57], s[2:3], s[28:29]
	s_mov_b64 s[58:59], s[2:3]
.LBB61_75:                              ; =>This Inner Loop Header: Depth=1
	s_clause 0x1
	s_load_b128 s[92:95], s[58:59], 0x4
	s_load_b64 s[28:29], s[58:59], 0x14
	s_clause 0x1
	s_load_b256 s[60:67], s[56:57], 0xf4
	s_load_b128 s[96:99], s[56:57], 0x114
	s_add_co_i32 s0, s0, -2
	s_wait_xcnt 0x0
	s_add_nc_u64 s[58:59], s[58:59], 24
	s_cmp_eq_u32 s0, 0
	s_add_nc_u64 s[56:57], s[56:57], 48
	s_wait_kmcnt 0x0
	v_mul_hi_u32 v2, s93, v1
	s_delay_alu instid0(VALU_DEP_1) | instskip(NEXT) | instid1(VALU_DEP_1)
	v_add_nc_u32_e32 v2, v1, v2
	v_lshrrev_b32_e32 v2, s94, v2
	s_delay_alu instid0(VALU_DEP_1) | instskip(SKIP_1) | instid1(VALU_DEP_1)
	v_mul_hi_u32 v3, s28, v2
	v_mul_lo_u32 v9, v2, s92
	v_dual_add_nc_u32 v3, v2, v3 :: v_dual_sub_nc_u32 v9, v1, v9
	s_delay_alu instid0(VALU_DEP_1) | instskip(NEXT) | instid1(VALU_DEP_2)
	v_lshrrev_b32_e32 v1, s29, v3
	v_mad_u32 v3, v9, s61, v7
	v_mad_u32 v10, v9, s60, v14
	;; [unrolled: 1-line block ×4, first 2 shown]
	v_mul_lo_u32 v7, v1, s95
	v_mad_u32 v8, s65, v9, v8
	v_mad_u32 v6, s64, v9, v6
	s_delay_alu instid0(VALU_DEP_3) | instskip(NEXT) | instid1(VALU_DEP_1)
	v_sub_nc_u32_e32 v2, v2, v7
	v_mad_u32 v7, v2, s67, v3
	v_mad_u32 v14, v2, s66, v10
	;; [unrolled: 1-line block ×6, first 2 shown]
	s_cbranch_scc0 .LBB61_75
; %bb.76:
	s_bitcmp1_b32 s78, 0
	s_cselect_b32 s0, -1, 0
	s_delay_alu instid0(SALU_CYCLE_1)
	s_and_b32 vcc_lo, exec_lo, s0
	s_cbranch_vccnz .LBB61_80
; %bb.77:
	s_load_b96 s[28:30], s[58:59], 0x4
	s_wait_kmcnt 0x0
	v_mul_hi_u32 v2, s29, v1
	s_delay_alu instid0(VALU_DEP_1) | instskip(NEXT) | instid1(VALU_DEP_1)
	v_add_nc_u32_e32 v2, v1, v2
	v_lshrrev_b32_e32 v2, s30, v2
	s_clause 0x1
	s_load_b128 s[60:63], s[56:57], 0xf4
	s_load_b64 s[30:31], s[56:57], 0x104
	s_delay_alu instid0(VALU_DEP_1) | instskip(NEXT) | instid1(VALU_DEP_1)
	v_mul_lo_u32 v2, v2, s28
	v_sub_nc_u32_e32 v1, v1, v2
	s_wait_kmcnt 0x0
	s_delay_alu instid0(VALU_DEP_1)
	v_mad_u32 v14, v1, s60, v14
	v_mad_u32 v7, v1, s61, v7
	;; [unrolled: 1-line block ×6, first 2 shown]
	s_branch .LBB61_80
.LBB61_78:
	s_mov_b32 s0, -1
                                        ; implicit-def: $vgpr7
                                        ; implicit-def: $vgpr14
                                        ; implicit-def: $vgpr4
                                        ; implicit-def: $vgpr5
                                        ; implicit-def: $vgpr8
                                        ; implicit-def: $vgpr6
	s_branch .LBB61_81
.LBB61_79:
	v_dual_mov_b32 v7, 0 :: v_dual_mov_b32 v14, 0
	v_dual_mov_b32 v4, 0 :: v_dual_mov_b32 v5, 0
	;; [unrolled: 1-line block ×3, first 2 shown]
.LBB61_80:
	s_mov_b32 s0, 0
.LBB61_81:
	s_delay_alu instid0(SALU_CYCLE_1)
	s_and_not1_b32 vcc_lo, exec_lo, s0
	s_cbranch_vccnz .LBB61_84
; %bb.82:
	v_mov_b32_e32 v1, 0
	s_and_not1_b32 vcc_lo, exec_lo, s77
	s_delay_alu instid0(VALU_DEP_1) | instskip(NEXT) | instid1(VALU_DEP_1)
	v_mul_u64_e32 v[2:3], s[52:53], v[0:1]
	v_add_nc_u32_e32 v2, v0, v3
	s_delay_alu instid0(VALU_DEP_1) | instskip(NEXT) | instid1(VALU_DEP_1)
	v_lshrrev_b32_e32 v2, s46, v2
	v_mul_lo_u32 v3, v2, s44
	s_delay_alu instid0(VALU_DEP_1) | instskip(NEXT) | instid1(VALU_DEP_1)
	v_sub_nc_u32_e32 v3, v0, v3
	v_mul_lo_u32 v7, v3, s37
	v_mul_lo_u32 v14, v3, s36
	v_mul_lo_u32 v4, v3, s39
	v_mul_lo_u32 v5, v3, s38
	v_mul_lo_u32 v8, s41, v3
	v_mul_lo_u32 v6, s40, v3
	s_cbranch_vccnz .LBB61_84
; %bb.83:
	v_mov_b32_e32 v3, v1
	s_load_b128 s[28:31], s[2:3], 0xe4
	s_delay_alu instid0(VALU_DEP_1) | instskip(NEXT) | instid1(VALU_DEP_1)
	v_mul_u64_e32 v[10:11], s[54:55], v[2:3]
	v_add_nc_u32_e32 v1, v2, v11
	s_delay_alu instid0(VALU_DEP_1) | instskip(NEXT) | instid1(VALU_DEP_1)
	v_lshrrev_b32_e32 v1, s1, v1
	v_mul_lo_u32 v1, v1, s47
	s_delay_alu instid0(VALU_DEP_1) | instskip(NEXT) | instid1(VALU_DEP_1)
	v_sub_nc_u32_e32 v1, v2, v1
	v_mad_u32 v14, v1, s42, v14
	v_mad_u32 v7, v1, s43, v7
	s_wait_kmcnt 0x0
	v_mad_u32 v5, v1, s28, v5
	v_mad_u32 v4, v1, s29, v4
	;; [unrolled: 1-line block ×4, first 2 shown]
.LBB61_84:
	global_load_b64 v[2:3], v7, s[6:7]
	s_mov_b32 s56, 0
	s_mov_b32 s0, -1
	s_mov_b32 s57, s89
	s_mov_b32 s59, s88
	;; [unrolled: 1-line block ×3, first 2 shown]
	s_wait_loadcnt 0x0
	v_cmp_eq_u64_e32 vcc_lo, s[16:17], v[2:3]
	s_and_b32 s28, s76, vcc_lo
	s_wait_xcnt 0x0
	s_and_saveexec_b32 s92, s28
	s_cbranch_execz .LBB61_105
; %bb.85:
	global_load_b64 v[2:3], v5, s[8:9]
	s_mov_b32 s51, 0
	s_mov_b32 s56, s88
	;; [unrolled: 1-line block ×3, first 2 shown]
	s_wait_loadcnt 0x0
	v_cmp_eq_u64_e32 vcc_lo, s[20:21], v[2:3]
	s_and_b32 s28, s75, vcc_lo
	s_wait_xcnt 0x0
	s_and_saveexec_b32 s93, s28
	s_cbranch_execz .LBB61_104
; %bb.86:
	global_load_b64 v[4:5], v4, s[10:11]
	global_load_b64 v[2:3], v6, s[12:13]
	s_mov_b32 s57, s87
	s_wait_loadcnt 0x0
	v_sub_nc_u64_e32 v[6:7], v[2:3], v[4:5]
	s_delay_alu instid0(VALU_DEP_1) | instskip(SKIP_4) | instid1(SALU_CYCLE_1)
	v_cmp_le_i64_e32 vcc_lo, s[16:17], v[6:7]
	v_cmp_ge_i64_e64 s0, s[18:19], v[6:7]
	s_and_b32 s28, vcc_lo, s0
	s_mov_b32 s0, -1
	s_and_b32 s28, s74, s28
	s_and_saveexec_b32 s94, s28
	s_cbranch_execz .LBB61_103
; %bb.87:
	v_cmp_lt_i64_e64 s0, s[20:21], 1
	v_mov_b64_e32 v[6:7], 0
	s_xor_b32 s28, s45, -1
	s_delay_alu instid0(SALU_CYCLE_1) | instskip(NEXT) | instid1(SALU_CYCLE_1)
	s_or_b32 s0, s0, s28
	s_and_b32 vcc_lo, exec_lo, s0
	s_cbranch_vccnz .LBB61_94
; %bb.88:
	global_load_b64 v[6:7], v8, s[14:15]
	s_mov_b32 s57, 0
	s_wait_xcnt 0x0
	v_mov_b32_e32 v8, 0
	s_mov_b32 s51, s57
	s_mov_b64 s[58:59], 0xffffffff
	s_lshl_b64 s[28:29], s[50:51], 3
	s_mov_b32 s51, s22
	s_add_nc_u64 s[60:61], s[24:25], s[28:29]
	s_add_nc_u64 s[62:63], s[26:27], s[28:29]
	s_wait_loadcnt 0x0
	v_mul_u64_e32 v[10:11], s[20:21], v[6:7]
	v_mov_b64_e32 v[6:7], 0
	s_branch .LBB61_90
.LBB61_89:                              ;   in Loop: Header=BB61_90 Depth=1
	s_or_b32 exec_lo, exec_lo, s0
	global_load_b64 v[16:17], v8, s[62:63]
	v_mul_u64_e32 v[18:19], s[64:65], v[12:13]
	s_add_co_i32 s51, s51, -1
	s_add_nc_u64 s[60:61], s[60:61], -8
	s_cmp_lg_u32 s51, 0
	s_wait_xcnt 0x0
	s_add_nc_u64 s[62:63], s[62:63], -8
	s_delay_alu instid0(VALU_DEP_1) | instskip(SKIP_1) | instid1(VALU_DEP_1)
	v_sub_nc_u64_e32 v[10:11], v[10:11], v[18:19]
	s_wait_loadcnt 0x0
	v_mad_nc_u64_u32 v[6:7], v10, v16, v[6:7]
	s_delay_alu instid0(VALU_DEP_1) | instskip(NEXT) | instid1(VALU_DEP_1)
	v_mad_u32 v1, v11, v16, v7
	v_mad_u32 v7, v10, v17, v1
	v_mov_b64_e32 v[10:11], v[12:13]
	s_cbranch_scc0 .LBB61_94
.LBB61_90:                              ; =>This Inner Loop Header: Depth=1
	global_load_b64 v[12:13], v8, s[60:61]
	s_mov_b32 s0, exec_lo
	s_wait_loadcnt 0x0
	v_or_b32_e32 v9, v11, v13
	v_readfirstlane_b32 s64, v12
	v_readfirstlane_b32 s65, v13
                                        ; implicit-def: $vgpr12_vgpr13
	s_wait_xcnt 0x0
	s_delay_alu instid0(VALU_DEP_3)
	v_cmpx_ne_u64_e32 0, v[8:9]
	s_xor_b32 s95, exec_lo, s0
	s_cbranch_execz .LBB61_92
; %bb.91:                               ;   in Loop: Header=BB61_90 Depth=1
	s_ashr_i32 s66, s65, 31
	v_dual_mov_b32 v19, v8 :: v_dual_ashrrev_i32 v12, 31, v11
	s_mov_b32 s67, s66
	v_mov_b32_e32 v23, v8
	s_add_nc_u64 s[28:29], s[64:65], s[66:67]
	s_delay_alu instid0(VALU_DEP_2)
	v_mov_b32_e32 v13, v12
	s_xor_b64 s[68:69], s[28:29], s[66:67]
	v_mov_b32_e32 v27, v8
	s_cvt_f32_u32 s0, s68
	s_cvt_f32_u32 s28, s69
	s_sub_nc_u64 s[30:31], 0, s[68:69]
	v_add_nc_u64_e32 v[16:17], v[10:11], v[12:13]
	s_delay_alu instid0(SALU_CYCLE_1) | instskip(NEXT) | instid1(SALU_CYCLE_3)
	s_fmamk_f32 s0, s28, 0x4f800000, s0
	v_s_rcp_f32 s0, s0
	s_delay_alu instid0(VALU_DEP_1) | instskip(NEXT) | instid1(VALU_DEP_2)
	v_xor_b32_e32 v22, v17, v12
	v_xor_b32_e32 v18, v16, v12
	s_delay_alu instid0(TRANS32_DEP_1) | instskip(NEXT) | instid1(SALU_CYCLE_3)
	s_mul_f32 s0, s0, 0x5f7ffffc
	s_mul_f32 s28, s0, 0x2f800000
	s_delay_alu instid0(SALU_CYCLE_3) | instskip(NEXT) | instid1(SALU_CYCLE_3)
	s_trunc_f32 s28, s28
	s_fmamk_f32 s0, s28, 0xcf800000, s0
	s_cvt_u32_f32 s29, s28
	s_delay_alu instid0(SALU_CYCLE_2) | instskip(NEXT) | instid1(SALU_CYCLE_3)
	s_cvt_u32_f32 s28, s0
	s_mul_u64 s[96:97], s[30:31], s[28:29]
	s_delay_alu instid0(SALU_CYCLE_1)
	s_mul_hi_u32 s99, s28, s97
	s_mul_i32 s98, s28, s97
	s_mul_hi_u32 s56, s28, s96
	s_mul_i32 s67, s29, s96
	s_add_nc_u64 s[98:99], s[56:57], s[98:99]
	s_mul_hi_u32 s0, s29, s96
	s_mul_hi_u32 s100, s29, s97
	s_add_co_u32 s56, s98, s67
	s_add_co_ci_u32 s56, s99, s0
	s_mul_i32 s96, s29, s97
	s_add_co_ci_u32 s97, s100, 0
	s_delay_alu instid0(SALU_CYCLE_1) | instskip(NEXT) | instid1(SALU_CYCLE_1)
	s_add_nc_u64 s[96:97], s[56:57], s[96:97]
	s_add_co_u32 s28, s28, s96
	s_cselect_b32 s0, -1, 0
	s_delay_alu instid0(SALU_CYCLE_1) | instskip(SKIP_1) | instid1(SALU_CYCLE_1)
	s_cmp_lg_u32 s0, 0
	s_add_co_ci_u32 s29, s29, s97
	s_mul_u64 s[30:31], s[30:31], s[28:29]
	s_delay_alu instid0(SALU_CYCLE_1)
	s_mul_hi_u32 s97, s28, s31
	s_mul_i32 s96, s28, s31
	s_mul_hi_u32 s56, s28, s30
	s_mul_i32 s67, s29, s30
	s_add_nc_u64 s[96:97], s[56:57], s[96:97]
	s_mul_hi_u32 s0, s29, s30
	s_mul_hi_u32 s98, s29, s31
	s_mul_i32 s30, s29, s31
	s_add_co_u32 s31, s96, s67
	s_add_co_ci_u32 s56, s97, s0
	s_add_co_ci_u32 s31, s98, 0
	s_delay_alu instid0(SALU_CYCLE_1) | instskip(NEXT) | instid1(SALU_CYCLE_1)
	s_add_nc_u64 s[30:31], s[56:57], s[30:31]
	s_add_co_u32 s0, s28, s30
	s_cselect_b32 s28, -1, 0
	v_mul_hi_u32 v26, v18, s0
	s_cmp_lg_u32 s28, 0
	s_add_co_ci_u32 s56, s29, s31
	s_and_b64 s[28:29], s[0:1], s[58:59]
	v_mul_u64_e32 v[20:21], s[56:57], v[18:19]
	v_mul_u64_e32 v[16:17], s[28:29], v[22:23]
	;; [unrolled: 1-line block ×3, first 2 shown]
	s_delay_alu instid0(VALU_DEP_3) | instskip(NEXT) | instid1(VALU_DEP_1)
	v_add_nc_u64_e32 v[20:21], v[26:27], v[20:21]
	v_add_co_u32 v1, vcc_lo, v20, v16
	s_delay_alu instid0(VALU_DEP_2) | instskip(NEXT) | instid1(VALU_DEP_4)
	v_add_co_ci_u32_e32 v26, vcc_lo, v21, v17, vcc_lo
	v_add_co_ci_u32_e32 v25, vcc_lo, 0, v25, vcc_lo
	s_delay_alu instid0(VALU_DEP_1) | instskip(NEXT) | instid1(VALU_DEP_1)
	v_add_nc_u64_e32 v[16:17], v[26:27], v[24:25]
	v_mul_u64_e32 v[20:21], s[68:69], v[16:17]
	s_delay_alu instid0(VALU_DEP_1) | instskip(NEXT) | instid1(VALU_DEP_2)
	v_sub_nc_u32_e32 v1, v22, v21
	v_sub_co_u32 v9, vcc_lo, v18, v20
	s_delay_alu instid0(VALU_DEP_1) | instskip(NEXT) | instid1(VALU_DEP_3)
	v_sub_co_ci_u32_e64 v15, null, v22, v21, vcc_lo
	v_subrev_co_ci_u32_e64 v1, null, s69, v1, vcc_lo
	s_delay_alu instid0(VALU_DEP_3) | instskip(SKIP_1) | instid1(VALU_DEP_3)
	v_sub_co_u32 v13, s0, v9, s68
	v_add_nc_u64_e32 v[20:21], 1, v[16:17]
	v_subrev_co_ci_u32_e64 v1, null, 0, v1, s0
	s_delay_alu instid0(VALU_DEP_3) | instskip(SKIP_1) | instid1(VALU_DEP_3)
	v_cmp_le_u32_e32 vcc_lo, s68, v13
	v_cndmask_b32_e64 v13, 0, -1, vcc_lo
	v_cmp_le_u32_e32 vcc_lo, s69, v1
	v_cndmask_b32_e64 v18, 0, -1, vcc_lo
	;; [unrolled: 2-line block ×4, first 2 shown]
	v_cmp_eq_u32_e32 vcc_lo, s69, v1
	v_cndmask_b32_e32 v1, v18, v13, vcc_lo
	v_cmp_eq_u32_e32 vcc_lo, s69, v15
	v_add_nc_u64_e32 v[18:19], 2, v[16:17]
	v_cndmask_b32_e32 v9, v22, v9, vcc_lo
	s_delay_alu instid0(VALU_DEP_4) | instskip(NEXT) | instid1(VALU_DEP_3)
	v_cmp_ne_u32_e32 vcc_lo, 0, v1
	v_cndmask_b32_e32 v1, v21, v19, vcc_lo
	s_delay_alu instid0(VALU_DEP_3) | instskip(SKIP_1) | instid1(VALU_DEP_2)
	v_cmp_ne_u32_e64 s0, 0, v9
	v_dual_cndmask_b32 v9, v20, v18, vcc_lo :: v_dual_bitop2_b32 v12, s66, v12 bitop3:0x14
	v_cndmask_b32_e64 v1, v17, v1, s0
	s_delay_alu instid0(VALU_DEP_1) | instskip(NEXT) | instid1(VALU_DEP_1)
	v_dual_cndmask_b32 v9, v16, v9, s0 :: v_dual_bitop2_b32 v17, v1, v12 bitop3:0x14
	v_dual_mov_b32 v13, v12 :: v_dual_bitop2_b32 v16, v9, v12 bitop3:0x14
	s_delay_alu instid0(VALU_DEP_1)
	v_sub_nc_u64_e32 v[12:13], v[16:17], v[12:13]
.LBB61_92:                              ;   in Loop: Header=BB61_90 Depth=1
	s_and_not1_saveexec_b32 s0, s95
	s_cbranch_execz .LBB61_89
; %bb.93:                               ;   in Loop: Header=BB61_90 Depth=1
	v_cvt_f32_u32_e32 v1, s64
	s_sub_co_i32 s28, 0, s64
	s_delay_alu instid0(VALU_DEP_1) | instskip(SKIP_1) | instid1(TRANS32_DEP_1)
	v_rcp_iflag_f32_e32 v1, v1
	v_nop
	v_mul_f32_e32 v1, 0x4f7ffffe, v1
	s_delay_alu instid0(VALU_DEP_1) | instskip(NEXT) | instid1(VALU_DEP_1)
	v_cvt_u32_f32_e32 v1, v1
	v_mul_lo_u32 v9, s28, v1
	s_delay_alu instid0(VALU_DEP_1) | instskip(NEXT) | instid1(VALU_DEP_1)
	v_mul_hi_u32 v9, v1, v9
	v_add_nc_u32_e32 v1, v1, v9
	s_delay_alu instid0(VALU_DEP_1) | instskip(NEXT) | instid1(VALU_DEP_1)
	v_mul_hi_u32 v1, v10, v1
	v_mul_lo_u32 v9, v1, s64
	v_add_nc_u32_e32 v12, 1, v1
	s_delay_alu instid0(VALU_DEP_2) | instskip(NEXT) | instid1(VALU_DEP_1)
	v_sub_nc_u32_e32 v9, v10, v9
	v_subrev_nc_u32_e32 v13, s64, v9
	v_cmp_le_u32_e32 vcc_lo, s64, v9
	s_delay_alu instid0(VALU_DEP_2) | instskip(SKIP_1) | instid1(VALU_DEP_2)
	v_dual_cndmask_b32 v9, v9, v13, vcc_lo :: v_dual_mov_b32 v13, v8
	v_cndmask_b32_e32 v1, v1, v12, vcc_lo
	v_cmp_le_u32_e32 vcc_lo, s64, v9
	s_delay_alu instid0(VALU_DEP_2) | instskip(NEXT) | instid1(VALU_DEP_1)
	v_add_nc_u32_e32 v12, 1, v1
	v_cndmask_b32_e32 v12, v1, v12, vcc_lo
	s_branch .LBB61_89
.LBB61_94:
	s_mov_b32 s57, -1
	s_mov_b32 s51, s87
	s_mov_b32 s0, exec_lo
	v_cmpx_gt_i64_e64 v[2:3], v[4:5]
	s_cbranch_execz .LBB61_100
; %bb.95:
	s_delay_alu instid0(VALU_DEP_2) | instskip(SKIP_2) | instid1(VALU_DEP_1)
	v_lshlrev_b64_e32 v[6:7], 3, v[6:7]
	s_mov_b32 s51, 0
	s_xor_b32 s57, s23, -1
                                        ; implicit-def: $sgpr56
                                        ; implicit-def: $sgpr59
                                        ; implicit-def: $sgpr58
	v_lshl_add_u64 v[4:5], v[4:5], 3, v[6:7]
	v_add_nc_u64_e32 v[6:7], s[48:49], v[6:7]
	s_delay_alu instid0(VALU_DEP_2) | instskip(NEXT) | instid1(VALU_DEP_2)
	v_add_nc_u64_e32 v[4:5], s[48:49], v[4:5]
	v_lshl_add_u64 v[2:3], v[2:3], 3, v[6:7]
	s_delay_alu instid0(VALU_DEP_2)
	v_add_nc_u64_e32 v[4:5], 8, v[4:5]
	s_branch .LBB61_97
.LBB61_96:                              ;   in Loop: Header=BB61_97 Depth=1
	s_or_b32 exec_lo, exec_lo, s60
	s_delay_alu instid0(SALU_CYCLE_1) | instskip(NEXT) | instid1(SALU_CYCLE_1)
	s_and_b32 s28, exec_lo, s59
	s_or_b32 s51, s28, s51
	s_and_not1_b32 s28, s56, exec_lo
	s_and_b32 s29, s58, exec_lo
	s_delay_alu instid0(SALU_CYCLE_1)
	s_or_b32 s56, s28, s29
	s_and_not1_b32 exec_lo, exec_lo, s51
	s_cbranch_execz .LBB61_99
.LBB61_97:                              ; =>This Inner Loop Header: Depth=1
	s_or_b32 s58, s58, exec_lo
	s_or_b32 s59, s59, exec_lo
	s_mov_b32 s60, exec_lo
	s_delay_alu instid0(VALU_DEP_1)
	v_cmpx_lt_u64_e64 v[4:5], v[2:3]
	s_cbranch_execz .LBB61_96
; %bb.98:                               ;   in Loop: Header=BB61_97 Depth=1
	global_load_b128 v[6:9], v[4:5], off offset:-8
	s_wait_xcnt 0x0
	v_add_nc_u64_e32 v[4:5], 8, v[4:5]
	s_and_not1_b32 s29, s59, exec_lo
	s_and_not1_b32 s58, s58, exec_lo
	s_wait_loadcnt 0x0
	v_cmp_ge_i64_e32 vcc_lo, v[6:7], v[8:9]
	s_or_b32 s28, s57, vcc_lo
	s_delay_alu instid0(SALU_CYCLE_1) | instskip(NEXT) | instid1(SALU_CYCLE_1)
	s_and_b32 s28, s28, exec_lo
	s_or_b32 s59, s29, s28
	s_branch .LBB61_96
.LBB61_99:
	s_or_b32 exec_lo, exec_lo, s51
	s_delay_alu instid0(SALU_CYCLE_1)
	s_or_b32 s51, s87, exec_lo
	s_or_not1_b32 s57, s56, exec_lo
.LBB61_100:
	s_or_b32 exec_lo, exec_lo, s0
	s_mov_b32 s56, 0
	s_and_saveexec_b32 s0, s57
	s_cbranch_execz .LBB61_102
; %bb.101:
	v_mov_b64_e32 v[2:3], 0
	v_add_nc_u32_e32 v0, 0x80, v0
	s_mov_b32 s56, exec_lo
	s_and_not1_b32 s51, s51, exec_lo
	global_store_b64 v14, v[2:3], s[4:5]
.LBB61_102:
	s_wait_xcnt 0x0
	s_or_b32 exec_lo, exec_lo, s0
	s_delay_alu instid0(SALU_CYCLE_1)
	s_and_not1_b32 s0, s87, exec_lo
	s_and_b32 s28, s51, exec_lo
	s_and_b32 s51, s56, exec_lo
	s_or_b32 s57, s0, s28
	s_xor_b32 s0, exec_lo, -1
.LBB61_103:
	s_or_b32 exec_lo, exec_lo, s94
	s_delay_alu instid0(SALU_CYCLE_1)
	s_and_not1_b32 s28, s87, exec_lo
	s_and_b32 s29, s57, exec_lo
	s_and_not1_b32 s30, s88, exec_lo
	s_and_b32 s0, s0, exec_lo
	s_or_b32 s57, s28, s29
	s_or_b32 s56, s30, s0
	s_xor_b32 s0, exec_lo, -1
	s_and_b32 s51, s51, exec_lo
.LBB61_104:
	s_or_b32 exec_lo, exec_lo, s93
	s_delay_alu instid0(SALU_CYCLE_1)
	s_and_not1_b32 s28, s87, exec_lo
	s_and_b32 s29, s57, exec_lo
	s_and_not1_b32 s30, s89, exec_lo
	s_or_b32 s58, s28, s29
	s_and_not1_b32 s28, s88, exec_lo
	s_and_b32 s29, s56, exec_lo
	s_and_b32 s0, s0, exec_lo
	s_or_b32 s59, s28, s29
	s_or_b32 s57, s30, s0
	s_xor_b32 s0, exec_lo, -1
	s_and_b32 s56, s51, exec_lo
.LBB61_105:
	s_or_b32 exec_lo, exec_lo, s92
	s_delay_alu instid0(SALU_CYCLE_1)
	s_and_not1_b32 s28, s87, exec_lo
	s_and_b32 s29, s58, exec_lo
	s_and_not1_b32 s30, s88, exec_lo
	s_and_b32 s31, s59, exec_lo
	s_or_b32 s61, s28, s29
	s_or_b32 s51, s30, s31
	s_and_not1_b32 s28, s89, exec_lo
	s_and_b32 s29, s57, exec_lo
	s_and_not1_b32 s30, s86, exec_lo
	s_and_b32 s0, s0, exec_lo
	s_or_b32 s60, s28, s29
	s_or_b32 s0, s30, s0
	s_or_not1_b32 s57, s56, exec_lo
.LBB61_106:
	s_or_b32 exec_lo, exec_lo, s91
	s_mov_b32 s56, 0
                                        ; implicit-def: $vgpr12
                                        ; implicit-def: $vgpr4
                                        ; implicit-def: $vgpr7
                                        ; implicit-def: $vgpr6
                                        ; implicit-def: $vgpr5
	s_and_saveexec_b32 s62, s57
	s_cbranch_execz .LBB61_122
; %bb.107:
	s_mov_b32 s57, s0
	s_mov_b32 s63, exec_lo
                                        ; implicit-def: $vgpr12
                                        ; implicit-def: $vgpr4
                                        ; implicit-def: $vgpr7
                                        ; implicit-def: $vgpr6
                                        ; implicit-def: $vgpr5
	v_cmpx_gt_i32_e64 s80, v0
	s_cbranch_execz .LBB61_121
; %bb.108:
	s_and_not1_b32 vcc_lo, exec_lo, s72
	s_cbranch_vccnz .LBB61_114
; %bb.109:
	s_and_not1_b32 vcc_lo, exec_lo, s81
	s_cbranch_vccnz .LBB61_115
; %bb.110:
	v_dual_mov_b32 v5, 0 :: v_dual_mov_b32 v1, v0
	v_dual_mov_b32 v6, 0 :: v_dual_mov_b32 v7, 0
	;; [unrolled: 1-line block ×3, first 2 shown]
	v_mov_b32_e32 v8, 0
	s_add_co_i32 s30, s78, 1
	s_mov_b64 s[28:29], 0xffffffffffffffd0
	s_and_b32 s64, s30, 30
	s_add_nc_u64 s[56:57], s[2:3], s[28:29]
	s_mov_b64 s[58:59], s[2:3]
.LBB61_111:                             ; =>This Inner Loop Header: Depth=1
	s_clause 0x1
	s_load_b128 s[100:103], s[58:59], 0x4
	s_load_b64 s[66:67], s[58:59], 0x14
	s_clause 0x1
	s_load_b256 s[92:99], s[56:57], 0xf4
	s_load_b128 s[28:31], s[56:57], 0x114
	s_add_co_i32 s64, s64, -2
	s_wait_xcnt 0x0
	s_add_nc_u64 s[58:59], s[58:59], 24
	s_cmp_eq_u32 s64, 0
	s_add_nc_u64 s[56:57], s[56:57], 48
	s_wait_kmcnt 0x0
	v_mul_hi_u32 v2, s101, v1
	s_delay_alu instid0(VALU_DEP_1) | instskip(NEXT) | instid1(VALU_DEP_1)
	v_add_nc_u32_e32 v2, v1, v2
	v_lshrrev_b32_e32 v2, s102, v2
	s_delay_alu instid0(VALU_DEP_1) | instskip(SKIP_1) | instid1(VALU_DEP_1)
	v_mul_hi_u32 v3, s66, v2
	v_mul_lo_u32 v9, v2, s100
	v_dual_add_nc_u32 v3, v2, v3 :: v_dual_sub_nc_u32 v9, v1, v9
	s_delay_alu instid0(VALU_DEP_1) | instskip(NEXT) | instid1(VALU_DEP_2)
	v_lshrrev_b32_e32 v1, s67, v3
	v_mad_u32 v3, v9, s93, v8
	v_mad_u32 v10, v9, s92, v12
	;; [unrolled: 1-line block ×4, first 2 shown]
	v_mul_lo_u32 v8, v1, s103
	v_mad_u32 v6, s97, v9, v6
	v_mad_u32 v5, s96, v9, v5
	s_delay_alu instid0(VALU_DEP_3) | instskip(NEXT) | instid1(VALU_DEP_1)
	v_sub_nc_u32_e32 v2, v2, v8
	v_mad_u32 v8, v2, s99, v3
	v_mad_u32 v12, v2, s98, v10
	;; [unrolled: 1-line block ×6, first 2 shown]
	s_cbranch_scc0 .LBB61_111
; %bb.112:
	s_bitcmp1_b32 s78, 0
	s_cselect_b32 s28, -1, 0
	s_delay_alu instid0(SALU_CYCLE_1)
	s_and_b32 vcc_lo, exec_lo, s28
	s_cbranch_vccnz .LBB61_116
; %bb.113:
	s_load_b96 s[64:66], s[58:59], 0x4
	s_load_b128 s[28:31], s[56:57], 0xf4
	s_wait_xcnt 0x0
	s_load_b64 s[58:59], s[56:57], 0x104
	s_wait_kmcnt 0x0
	v_mul_hi_u32 v2, s65, v1
	s_delay_alu instid0(VALU_DEP_1) | instskip(NEXT) | instid1(VALU_DEP_1)
	v_add_nc_u32_e32 v2, v1, v2
	v_lshrrev_b32_e32 v2, s66, v2
	s_delay_alu instid0(VALU_DEP_1) | instskip(NEXT) | instid1(VALU_DEP_1)
	v_mul_lo_u32 v2, v2, s64
	v_sub_nc_u32_e32 v1, v1, v2
	s_delay_alu instid0(VALU_DEP_1)
	v_mad_u32 v12, v1, s28, v12
	v_mad_u32 v8, v1, s29, v8
	;; [unrolled: 1-line block ×6, first 2 shown]
	s_branch .LBB61_116
.LBB61_114:
	s_mov_b32 s56, -1
                                        ; implicit-def: $vgpr8
                                        ; implicit-def: $vgpr12
                                        ; implicit-def: $vgpr4
                                        ; implicit-def: $vgpr7
                                        ; implicit-def: $vgpr6
                                        ; implicit-def: $vgpr5
	s_branch .LBB61_117
.LBB61_115:
	v_dual_mov_b32 v8, 0 :: v_dual_mov_b32 v12, 0
	v_dual_mov_b32 v4, 0 :: v_dual_mov_b32 v7, 0
	;; [unrolled: 1-line block ×3, first 2 shown]
.LBB61_116:
	s_mov_b32 s56, 0
.LBB61_117:
	s_delay_alu instid0(SALU_CYCLE_1)
	s_and_not1_b32 vcc_lo, exec_lo, s56
	s_cbranch_vccnz .LBB61_120
; %bb.118:
	v_mov_b32_e32 v1, 0
	s_and_not1_b32 vcc_lo, exec_lo, s77
	s_delay_alu instid0(VALU_DEP_1) | instskip(NEXT) | instid1(VALU_DEP_1)
	v_mul_u64_e32 v[2:3], s[52:53], v[0:1]
	v_add_nc_u32_e32 v2, v0, v3
	s_delay_alu instid0(VALU_DEP_1) | instskip(NEXT) | instid1(VALU_DEP_1)
	v_lshrrev_b32_e32 v2, s46, v2
	v_mul_lo_u32 v3, v2, s44
	s_delay_alu instid0(VALU_DEP_1) | instskip(NEXT) | instid1(VALU_DEP_1)
	v_sub_nc_u32_e32 v0, v0, v3
	v_mul_lo_u32 v8, v0, s37
	v_mul_lo_u32 v12, v0, s36
	;; [unrolled: 1-line block ×6, first 2 shown]
	s_cbranch_vccnz .LBB61_120
; %bb.119:
	v_mov_b32_e32 v3, v1
	s_load_b128 s[28:31], s[2:3], 0xe4
	s_delay_alu instid0(VALU_DEP_1) | instskip(NEXT) | instid1(VALU_DEP_1)
	v_mul_u64_e32 v[0:1], s[54:55], v[2:3]
	v_add_nc_u32_e32 v0, v2, v1
	s_delay_alu instid0(VALU_DEP_1) | instskip(NEXT) | instid1(VALU_DEP_1)
	v_lshrrev_b32_e32 v0, s1, v0
	v_mul_lo_u32 v0, v0, s47
	s_delay_alu instid0(VALU_DEP_1) | instskip(NEXT) | instid1(VALU_DEP_1)
	v_sub_nc_u32_e32 v0, v2, v0
	v_mad_u32 v12, v0, s42, v12
	v_mad_u32 v8, v0, s43, v8
	s_wait_kmcnt 0x0
	v_mad_u32 v7, v0, s28, v7
	v_mad_u32 v4, v0, s29, v4
	;; [unrolled: 1-line block ×4, first 2 shown]
.LBB61_120:
	global_load_b64 v[0:1], v8, s[6:7]
	s_xor_b32 s1, s76, -1
	s_wait_xcnt 0x0
	s_and_not1_b32 s6, s0, exec_lo
	s_mov_b32 s56, exec_lo
	s_wait_loadcnt 0x0
	v_cmp_ne_u64_e32 vcc_lo, s[16:17], v[0:1]
	s_or_b32 s1, s1, vcc_lo
	s_delay_alu instid0(SALU_CYCLE_1) | instskip(NEXT) | instid1(SALU_CYCLE_1)
	s_and_b32 s1, s1, exec_lo
	s_or_b32 s57, s6, s1
.LBB61_121:
	s_or_b32 exec_lo, exec_lo, s63
	s_delay_alu instid0(SALU_CYCLE_1)
	s_and_not1_b32 s0, s0, exec_lo
	s_and_b32 s1, s57, exec_lo
	s_and_b32 s56, s56, exec_lo
	s_or_b32 s0, s0, s1
.LBB61_122:
	s_or_b32 exec_lo, exec_lo, s62
	s_delay_alu instid0(SALU_CYCLE_1)
	s_and_not1_b32 s1, s87, exec_lo
	s_and_b32 s6, s61, exec_lo
	s_and_not1_b32 s7, s89, exec_lo
	s_or_b32 s87, s1, s6
	s_and_not1_b32 s1, s88, exec_lo
	s_and_b32 s6, s51, exec_lo
	s_and_b32 s28, s60, exec_lo
	s_or_b32 s88, s1, s6
	s_and_not1_b32 s1, s86, exec_lo
	s_and_b32 s6, s0, exec_lo
	s_or_b32 s89, s7, s28
	s_and_b32 s0, s56, exec_lo
	s_or_b32 s86, s1, s6
.LBB61_123:
	s_or_b32 exec_lo, exec_lo, s90
	s_delay_alu instid0(SALU_CYCLE_1)
	s_and_not1_b32 s1, s79, exec_lo
	s_and_b32 s6, s87, exec_lo
	s_and_not1_b32 s7, s83, exec_lo
	s_or_b32 s79, s1, s6
	s_and_not1_b32 s1, s82, exec_lo
	s_and_b32 s6, s88, exec_lo
	s_and_b32 s28, s89, exec_lo
	s_or_b32 s82, s1, s6
	s_and_not1_b32 s1, s84, exec_lo
	s_and_b32 s6, s86, exec_lo
	s_or_b32 s83, s7, s28
	s_and_b32 s53, s0, exec_lo
	s_or_b32 s84, s1, s6
.LBB61_124:
	s_or_b32 exec_lo, exec_lo, s85
	s_mov_b32 s0, 0
	s_mov_b32 s1, 0
	s_and_saveexec_b32 s6, s84
	s_cbranch_execnz .LBB61_128
; %bb.125:
	s_or_b32 exec_lo, exec_lo, s6
	s_and_saveexec_b32 s6, s53
	s_delay_alu instid0(SALU_CYCLE_1)
	s_xor_b32 s6, exec_lo, s6
	s_cbranch_execz .LBB61_129
.LBB61_126:
	global_load_b64 v[0:1], v7, s[8:9]
	s_xor_b32 s7, s75, -1
	s_wait_xcnt 0x0
	s_and_not1_b32 s8, s83, exec_lo
	s_mov_b32 s0, exec_lo
	s_wait_loadcnt 0x0
	v_cmp_ne_u64_e32 vcc_lo, s[20:21], v[0:1]
	s_or_b32 s7, s7, vcc_lo
	s_delay_alu instid0(SALU_CYCLE_1) | instskip(NEXT) | instid1(SALU_CYCLE_1)
	s_and_b32 s7, s7, exec_lo
	s_or_b32 s83, s8, s7
	s_or_b32 exec_lo, exec_lo, s6
	s_and_saveexec_b32 s6, s83
	s_cbranch_execz .LBB61_130
.LBB61_127:
	s_or_b32 s1, s1, exec_lo
	s_and_not1_b32 s0, s0, exec_lo
	s_trap 2
	s_branch .LBB61_130
.LBB61_128:
	s_mov_b32 s1, exec_lo
	s_and_not1_b32 s53, s53, exec_lo
	s_trap 2
	s_or_b32 exec_lo, exec_lo, s6
	s_and_saveexec_b32 s6, s53
	s_delay_alu instid0(SALU_CYCLE_1)
	s_xor_b32 s6, exec_lo, s6
	s_cbranch_execnz .LBB61_126
.LBB61_129:
	s_or_b32 exec_lo, exec_lo, s6
	s_and_saveexec_b32 s6, s83
	s_cbranch_execnz .LBB61_127
.LBB61_130:
	s_or_b32 exec_lo, exec_lo, s6
	s_mov_b32 s6, 0
                                        ; implicit-def: $vgpr0_vgpr1
                                        ; implicit-def: $vgpr2_vgpr3
	s_and_saveexec_b32 s7, s0
	s_delay_alu instid0(SALU_CYCLE_1)
	s_xor_b32 s7, exec_lo, s7
	s_cbranch_execz .LBB61_147
; %bb.131:
	global_load_b64 v[2:3], v4, s[10:11]
	global_load_b64 v[0:1], v5, s[12:13]
	s_and_not1_b32 s8, s82, exec_lo
	s_mov_b32 s6, exec_lo
	s_wait_loadcnt 0x0
	v_sub_nc_u64_e32 v[4:5], v[0:1], v[2:3]
	s_delay_alu instid0(VALU_DEP_1) | instskip(SKIP_2) | instid1(SALU_CYCLE_1)
	v_cmp_le_i64_e32 vcc_lo, s[16:17], v[4:5]
	v_cmp_ge_i64_e64 s0, s[18:19], v[4:5]
	s_and_b32 s0, vcc_lo, s0
	s_and_b32 s0, s74, s0
	s_delay_alu instid0(SALU_CYCLE_1) | instskip(NEXT) | instid1(SALU_CYCLE_1)
	s_xor_b32 s0, s0, -1
	s_and_b32 s0, s0, exec_lo
	s_delay_alu instid0(SALU_CYCLE_1)
	s_or_b32 s82, s8, s0
	s_or_b32 exec_lo, exec_lo, s7
	s_and_saveexec_b32 s0, s82
	s_cbranch_execz .LBB61_148
.LBB61_132:
	s_or_b32 s1, s1, exec_lo
	s_and_not1_b32 s6, s6, exec_lo
	s_trap 2
	s_or_b32 exec_lo, exec_lo, s0
	s_mov_b32 s0, 0
	s_and_saveexec_b32 s18, s6
	s_cbranch_execnz .LBB61_149
.LBB61_133:
	s_or_b32 exec_lo, exec_lo, s18
	s_and_saveexec_b32 s6, s79
	s_cbranch_execnz .LBB61_167
.LBB61_134:
	s_or_b32 exec_lo, exec_lo, s6
	s_and_saveexec_b32 s6, s0
	s_delay_alu instid0(SALU_CYCLE_1)
	s_xor_b32 s0, exec_lo, s6
	s_cbranch_execz .LBB61_136
.LBB61_135:
	v_mov_b64_e32 v[0:1], 0
	global_store_b64 v12, v[0:1], s[4:5]
.LBB61_136:
	s_wait_xcnt 0x0
	s_or_b32 exec_lo, exec_lo, s0
	s_delay_alu instid0(SALU_CYCLE_1)
	s_and_b32 s36, s1, exec_lo
                                        ; implicit-def: $vgpr2
                                        ; implicit-def: $vgpr0
.LBB61_137:
	s_or_saveexec_b32 s37, s73
                                        ; implicit-def: $sgpr4_sgpr5_sgpr6_sgpr7_sgpr8_sgpr9_sgpr10_sgpr11_sgpr12_sgpr13_sgpr14_sgpr15_sgpr16_sgpr17_sgpr18_sgpr19
                                        ; implicit-def: $vgpr19
                                        ; implicit-def: $vgpr18
                                        ; implicit-def: $vgpr17
                                        ; implicit-def: $vgpr16
	s_delay_alu instid0(SALU_CYCLE_1)
	s_xor_b32 exec_lo, exec_lo, s37
	s_cbranch_execz .LBB61_144
; %bb.138:
	v_cndmask_b32_e64 v4, 0, 1, s72
	s_and_not1_b32 vcc_lo, exec_lo, s72
	s_cbranch_vccnz .LBB61_156
; %bb.139:
	s_cmp_lg_u32 s33, 0
	s_mov_b32 s6, 0
	s_cbranch_scc0 .LBB61_168
; %bb.140:
	s_min_u32 s7, s70, 15
	v_dual_mov_b32 v8, 0 :: v_dual_mov_b32 v5, v0
	v_dual_mov_b32 v10, 0 :: v_dual_mov_b32 v1, 0
	;; [unrolled: 1-line block ×3, first 2 shown]
	v_mov_b32_e32 v3, 0
	s_add_co_i32 s4, s7, 1
	s_mov_b64 s[0:1], 0xffffffffffffffd0
	s_and_b32 s8, s4, 30
	s_add_nc_u64 s[0:1], s[2:3], s[0:1]
	s_mov_b64 s[4:5], s[2:3]
.LBB61_141:                             ; =>This Inner Loop Header: Depth=1
	s_clause 0x1
	s_load_b128 s[20:23], s[4:5], 0x4
	s_load_b64 s[10:11], s[4:5], 0x14
	s_clause 0x1
	s_load_b256 s[12:19], s[0:1], 0xf4
	s_load_b128 s[24:27], s[0:1], 0x114
	s_add_co_i32 s8, s8, -2
	s_wait_xcnt 0x0
	s_add_nc_u64 s[4:5], s[4:5], 24
	s_cmp_lg_u32 s8, 0
	s_add_nc_u64 s[0:1], s[0:1], 48
	s_wait_kmcnt 0x0
	v_mul_hi_u32 v6, s21, v5
	s_delay_alu instid0(VALU_DEP_1) | instskip(NEXT) | instid1(VALU_DEP_1)
	v_add_nc_u32_e32 v6, v5, v6
	v_lshrrev_b32_e32 v6, s22, v6
	s_delay_alu instid0(VALU_DEP_1) | instskip(SKIP_1) | instid1(VALU_DEP_2)
	v_mul_hi_u32 v7, s10, v6
	v_mul_lo_u32 v11, v6, s20
	v_add_nc_u32_e32 v7, v6, v7
	s_delay_alu instid0(VALU_DEP_2) | instskip(NEXT) | instid1(VALU_DEP_2)
	v_sub_nc_u32_e32 v11, v5, v11
	v_lshrrev_b32_e32 v5, s11, v7
	s_delay_alu instid0(VALU_DEP_2)
	v_mad_u32 v3, v11, s13, v3
	v_mad_u32 v12, v11, s12, v16
	;; [unrolled: 1-line block ×4, first 2 shown]
	v_mul_lo_u32 v7, v5, s23
	v_mad_u32 v10, s17, v11, v10
	v_mad_u32 v8, s16, v11, v8
	s_delay_alu instid0(VALU_DEP_3) | instskip(NEXT) | instid1(VALU_DEP_1)
	v_sub_nc_u32_e32 v6, v6, v7
	v_mad_u32 v3, v6, s19, v3
	v_mad_u32 v16, v6, s18, v12
	v_mad_u32 v9, v6, s25, v9
	v_mad_u32 v1, v6, s24, v1
	v_mad_u32 v10, s27, v6, v10
	v_mad_u32 v8, s26, v6, v8
	s_cbranch_scc1 .LBB61_141
; %bb.142:
	s_bitcmp1_b32 s7, 0
	s_cselect_b32 s7, -1, 0
	s_delay_alu instid0(SALU_CYCLE_1)
	s_and_b32 vcc_lo, exec_lo, s7
	s_cbranch_vccnz .LBB61_157
; %bb.143:
	s_load_b96 s[12:14], s[4:5], 0x4
	s_load_b128 s[8:11], s[0:1], 0xf4
	s_wait_xcnt 0x0
	s_load_b64 s[4:5], s[0:1], 0x104
	s_wait_kmcnt 0x0
	v_mul_hi_u32 v6, s13, v5
	s_delay_alu instid0(VALU_DEP_1) | instskip(NEXT) | instid1(VALU_DEP_1)
	v_add_nc_u32_e32 v6, v5, v6
	v_lshrrev_b32_e32 v6, s14, v6
	s_delay_alu instid0(VALU_DEP_1) | instskip(NEXT) | instid1(VALU_DEP_1)
	v_mul_lo_u32 v6, v6, s12
	v_sub_nc_u32_e32 v5, v5, v6
	s_delay_alu instid0(VALU_DEP_1)
	v_mad_u32 v16, v5, s8, v16
	v_mad_u32 v3, v5, s9, v3
	;; [unrolled: 1-line block ×6, first 2 shown]
	s_and_not1_b32 vcc_lo, exec_lo, s6
	s_cbranch_vccz .LBB61_158
	s_branch .LBB61_169
.LBB61_144:
	s_or_b32 exec_lo, exec_lo, s37
	s_and_saveexec_b32 s0, s36
	s_cbranch_execz .LBB61_308
.LBB61_145:
	; divergent unreachable
	s_or_b32 exec_lo, exec_lo, s0
	s_and_saveexec_b32 s0, s71
	s_cbranch_execnz .LBB61_309
.LBB61_146:
	s_endpgm
.LBB61_147:
	s_or_b32 exec_lo, exec_lo, s7
	s_and_saveexec_b32 s0, s82
	s_cbranch_execnz .LBB61_132
.LBB61_148:
	s_or_b32 exec_lo, exec_lo, s0
	s_mov_b32 s0, 0
	s_and_saveexec_b32 s18, s6
	s_cbranch_execz .LBB61_133
.LBB61_149:
	v_cmp_lt_i64_e64 s0, s[20:21], 1
	v_mov_b64_e32 v[4:5], 0
	s_xor_b32 s6, s45, -1
	s_delay_alu instid0(SALU_CYCLE_1) | instskip(NEXT) | instid1(SALU_CYCLE_1)
	s_or_b32 s0, s0, s6
	s_and_b32 vcc_lo, exec_lo, s0
	s_cbranch_vccnz .LBB61_160
; %bb.150:
	global_load_b64 v[4:5], v6, s[14:15]
	s_mov_b32 s51, 0
	s_wait_xcnt 0x0
	v_mov_b32_e32 v6, 0
	s_lshl_b64 s[10:11], s[50:51], 3
	s_mov_b64 s[6:7], 0xffffffff
	s_add_nc_u64 s[8:9], s[24:25], s[10:11]
	s_add_nc_u64 s[10:11], s[26:27], s[10:11]
	s_wait_loadcnt 0x0
	v_mul_u64_e32 v[8:9], s[20:21], v[4:5]
	v_mov_b64_e32 v[4:5], 0
	s_branch .LBB61_152
.LBB61_151:                             ;   in Loop: Header=BB61_152 Depth=1
	s_or_b32 exec_lo, exec_lo, s0
	global_load_b64 v[14:15], v6, s[10:11]
	v_mul_u64_e32 v[16:17], s[12:13], v[10:11]
	s_add_co_i32 s22, s22, -1
	s_add_nc_u64 s[8:9], s[8:9], -8
	s_cmp_lg_u32 s22, 0
	s_wait_xcnt 0x0
	s_add_nc_u64 s[10:11], s[10:11], -8
	s_delay_alu instid0(VALU_DEP_1) | instskip(SKIP_1) | instid1(VALU_DEP_1)
	v_sub_nc_u64_e32 v[8:9], v[8:9], v[16:17]
	s_wait_loadcnt 0x0
	v_mad_nc_u64_u32 v[4:5], v8, v14, v[4:5]
	s_delay_alu instid0(VALU_DEP_1) | instskip(NEXT) | instid1(VALU_DEP_1)
	v_mad_u32 v5, v9, v14, v5
	v_mad_u32 v5, v8, v15, v5
	v_mov_b64_e32 v[8:9], v[10:11]
	s_cbranch_scc0 .LBB61_160
.LBB61_152:                             ; =>This Inner Loop Header: Depth=1
	global_load_b64 v[10:11], v6, s[8:9]
	s_mov_b32 s0, exec_lo
	s_wait_loadcnt 0x0
	v_or_b32_e32 v7, v9, v11
	v_readfirstlane_b32 s12, v10
	v_readfirstlane_b32 s13, v11
                                        ; implicit-def: $vgpr10_vgpr11
	s_wait_xcnt 0x0
	s_delay_alu instid0(VALU_DEP_3)
	v_cmpx_ne_u64_e32 0, v[6:7]
	s_xor_b32 s19, exec_lo, s0
	s_cbranch_execz .LBB61_154
; %bb.153:                              ;   in Loop: Header=BB61_152 Depth=1
	s_ashr_i32 s14, s13, 31
	v_dual_mov_b32 v17, v6 :: v_dual_ashrrev_i32 v10, 31, v9
	s_mov_b32 s15, s14
	v_mov_b32_e32 v21, v6
	s_add_nc_u64 s[16:17], s[12:13], s[14:15]
	s_delay_alu instid0(VALU_DEP_2)
	v_mov_b32_e32 v11, v10
	s_xor_b64 s[16:17], s[16:17], s[14:15]
	v_mov_b32_e32 v25, v6
	s_cvt_f32_u32 s0, s16
	s_cvt_f32_u32 s15, s17
	s_sub_nc_u64 s[24:25], 0, s[16:17]
	v_add_nc_u64_e32 v[14:15], v[8:9], v[10:11]
	s_delay_alu instid0(SALU_CYCLE_1) | instskip(NEXT) | instid1(SALU_CYCLE_3)
	s_fmamk_f32 s0, s15, 0x4f800000, s0
	v_s_rcp_f32 s0, s0
	s_delay_alu instid0(VALU_DEP_1) | instskip(NEXT) | instid1(VALU_DEP_2)
	v_xor_b32_e32 v20, v15, v10
	v_xor_b32_e32 v16, v14, v10
	s_delay_alu instid0(TRANS32_DEP_1) | instskip(NEXT) | instid1(SALU_CYCLE_3)
	s_mul_f32 s0, s0, 0x5f7ffffc
	s_mul_f32 s15, s0, 0x2f800000
	s_delay_alu instid0(SALU_CYCLE_3) | instskip(NEXT) | instid1(SALU_CYCLE_3)
	s_trunc_f32 s15, s15
	s_fmamk_f32 s0, s15, 0xcf800000, s0
	s_cvt_u32_f32 s21, s15
	s_delay_alu instid0(SALU_CYCLE_2) | instskip(NEXT) | instid1(SALU_CYCLE_3)
	s_cvt_u32_f32 s20, s0
	s_mul_u64 s[26:27], s[24:25], s[20:21]
	s_delay_alu instid0(SALU_CYCLE_1)
	s_mul_hi_u32 s29, s20, s27
	s_mul_i32 s28, s20, s27
	s_mul_hi_u32 s50, s20, s26
	s_mul_i32 s15, s21, s26
	s_add_nc_u64 s[28:29], s[50:51], s[28:29]
	s_mul_hi_u32 s0, s21, s26
	s_mul_hi_u32 s30, s21, s27
	s_add_co_u32 s15, s28, s15
	s_add_co_ci_u32 s50, s29, s0
	s_mul_i32 s26, s21, s27
	s_add_co_ci_u32 s27, s30, 0
	s_delay_alu instid0(SALU_CYCLE_1) | instskip(NEXT) | instid1(SALU_CYCLE_1)
	s_add_nc_u64 s[26:27], s[50:51], s[26:27]
	s_add_co_u32 s20, s20, s26
	s_cselect_b32 s0, -1, 0
	s_delay_alu instid0(SALU_CYCLE_1) | instskip(SKIP_1) | instid1(SALU_CYCLE_1)
	s_cmp_lg_u32 s0, 0
	s_add_co_ci_u32 s21, s21, s27
	s_mul_u64 s[24:25], s[24:25], s[20:21]
	s_delay_alu instid0(SALU_CYCLE_1)
	s_mul_hi_u32 s27, s20, s25
	s_mul_i32 s26, s20, s25
	s_mul_hi_u32 s50, s20, s24
	s_mul_i32 s15, s21, s24
	s_add_nc_u64 s[26:27], s[50:51], s[26:27]
	s_mul_hi_u32 s0, s21, s24
	s_mul_hi_u32 s28, s21, s25
	s_add_co_u32 s15, s26, s15
	s_add_co_ci_u32 s50, s27, s0
	s_mul_i32 s24, s21, s25
	s_add_co_ci_u32 s25, s28, 0
	s_delay_alu instid0(SALU_CYCLE_1) | instskip(NEXT) | instid1(SALU_CYCLE_1)
	s_add_nc_u64 s[24:25], s[50:51], s[24:25]
	s_add_co_u32 s0, s20, s24
	s_cselect_b32 s15, -1, 0
	v_mul_hi_u32 v24, v16, s0
	s_cmp_lg_u32 s15, 0
	s_add_co_ci_u32 s50, s21, s25
	s_and_b64 s[20:21], s[0:1], s[6:7]
	v_mul_u64_e32 v[18:19], s[50:51], v[16:17]
	v_mul_u64_e32 v[14:15], s[20:21], v[20:21]
	;; [unrolled: 1-line block ×3, first 2 shown]
	s_delay_alu instid0(VALU_DEP_3) | instskip(NEXT) | instid1(VALU_DEP_1)
	v_add_nc_u64_e32 v[18:19], v[24:25], v[18:19]
	v_add_co_u32 v7, vcc_lo, v18, v14
	s_delay_alu instid0(VALU_DEP_2) | instskip(NEXT) | instid1(VALU_DEP_4)
	v_add_co_ci_u32_e32 v24, vcc_lo, v19, v15, vcc_lo
	v_add_co_ci_u32_e32 v23, vcc_lo, 0, v23, vcc_lo
	s_delay_alu instid0(VALU_DEP_1) | instskip(NEXT) | instid1(VALU_DEP_1)
	v_add_nc_u64_e32 v[14:15], v[24:25], v[22:23]
	v_mul_u64_e32 v[18:19], s[16:17], v[14:15]
	s_delay_alu instid0(VALU_DEP_1) | instskip(NEXT) | instid1(VALU_DEP_2)
	v_sub_nc_u32_e32 v7, v20, v19
	v_sub_co_u32 v11, vcc_lo, v16, v18
	s_delay_alu instid0(VALU_DEP_1) | instskip(NEXT) | instid1(VALU_DEP_3)
	v_sub_co_ci_u32_e64 v20, null, v20, v19, vcc_lo
	v_subrev_co_ci_u32_e64 v7, null, s17, v7, vcc_lo
	s_delay_alu instid0(VALU_DEP_3) | instskip(SKIP_1) | instid1(VALU_DEP_3)
	v_sub_co_u32 v13, s0, v11, s16
	v_add_nc_u64_e32 v[18:19], 1, v[14:15]
	v_subrev_co_ci_u32_e64 v7, null, 0, v7, s0
	s_delay_alu instid0(VALU_DEP_3) | instskip(SKIP_1) | instid1(VALU_DEP_3)
	v_cmp_le_u32_e32 vcc_lo, s16, v13
	v_cndmask_b32_e64 v13, 0, -1, vcc_lo
	v_cmp_le_u32_e32 vcc_lo, s17, v7
	v_cndmask_b32_e64 v16, 0, -1, vcc_lo
	;; [unrolled: 2-line block ×4, first 2 shown]
	v_cmp_eq_u32_e32 vcc_lo, s17, v7
	v_cndmask_b32_e32 v7, v16, v13, vcc_lo
	v_cmp_eq_u32_e32 vcc_lo, s17, v20
	v_add_nc_u64_e32 v[16:17], 2, v[14:15]
	v_cndmask_b32_e32 v11, v21, v11, vcc_lo
	s_delay_alu instid0(VALU_DEP_4) | instskip(NEXT) | instid1(VALU_DEP_2)
	v_cmp_ne_u32_e32 vcc_lo, 0, v7
	v_cmp_ne_u32_e64 s0, 0, v11
	s_delay_alu instid0(VALU_DEP_4) | instskip(NEXT) | instid1(VALU_DEP_1)
	v_dual_cndmask_b32 v7, v19, v17, vcc_lo :: v_dual_cndmask_b32 v11, v18, v16, vcc_lo
	v_dual_cndmask_b32 v7, v15, v7, s0 :: v_dual_bitop2_b32 v10, s14, v10 bitop3:0x14
	s_delay_alu instid0(VALU_DEP_1) | instskip(NEXT) | instid1(VALU_DEP_1)
	v_dual_cndmask_b32 v13, v14, v11, s0 :: v_dual_bitop2_b32 v15, v7, v10 bitop3:0x14
	v_dual_mov_b32 v11, v10 :: v_dual_bitop2_b32 v14, v13, v10 bitop3:0x14
	s_delay_alu instid0(VALU_DEP_1)
	v_sub_nc_u64_e32 v[10:11], v[14:15], v[10:11]
.LBB61_154:                             ;   in Loop: Header=BB61_152 Depth=1
	s_and_not1_saveexec_b32 s0, s19
	s_cbranch_execz .LBB61_151
; %bb.155:                              ;   in Loop: Header=BB61_152 Depth=1
	v_cvt_f32_u32_e32 v7, s12
	s_sub_co_i32 s14, 0, s12
	s_delay_alu instid0(VALU_DEP_1) | instskip(SKIP_1) | instid1(TRANS32_DEP_1)
	v_rcp_iflag_f32_e32 v7, v7
	v_nop
	v_mul_f32_e32 v7, 0x4f7ffffe, v7
	s_delay_alu instid0(VALU_DEP_1) | instskip(NEXT) | instid1(VALU_DEP_1)
	v_cvt_u32_f32_e32 v7, v7
	v_mul_lo_u32 v10, s14, v7
	s_delay_alu instid0(VALU_DEP_1) | instskip(NEXT) | instid1(VALU_DEP_1)
	v_mul_hi_u32 v10, v7, v10
	v_add_nc_u32_e32 v7, v7, v10
	s_delay_alu instid0(VALU_DEP_1) | instskip(NEXT) | instid1(VALU_DEP_1)
	v_mul_hi_u32 v7, v8, v7
	v_mul_lo_u32 v10, v7, s12
	s_delay_alu instid0(VALU_DEP_1) | instskip(NEXT) | instid1(VALU_DEP_1)
	v_dual_add_nc_u32 v11, 1, v7 :: v_dual_sub_nc_u32 v10, v8, v10
	v_subrev_nc_u32_e32 v13, s12, v10
	v_cmp_le_u32_e32 vcc_lo, s12, v10
	s_delay_alu instid0(VALU_DEP_2) | instskip(NEXT) | instid1(VALU_DEP_1)
	v_dual_cndmask_b32 v10, v10, v13 :: v_dual_cndmask_b32 v7, v7, v11
	v_cmp_le_u32_e32 vcc_lo, s12, v10
	s_delay_alu instid0(VALU_DEP_2) | instskip(NEXT) | instid1(VALU_DEP_1)
	v_add_nc_u32_e32 v11, 1, v7
	v_dual_cndmask_b32 v10, v7, v11 :: v_dual_mov_b32 v11, v6
	s_branch .LBB61_151
.LBB61_156:
	s_mov_b32 s6, -1
                                        ; implicit-def: $vgpr3
                                        ; implicit-def: $vgpr16
                                        ; implicit-def: $vgpr9
                                        ; implicit-def: $vgpr1
                                        ; implicit-def: $vgpr10
                                        ; implicit-def: $vgpr8
.LBB61_157:
	s_delay_alu instid0(SALU_CYCLE_1)
	s_and_not1_b32 vcc_lo, exec_lo, s6
	s_cbranch_vccnz .LBB61_169
.LBB61_158:
	s_clause 0x2
	s_load_b96 s[8:10], s[2:3], 0x4
	s_load_b128 s[4:7], s[2:3], 0xc4
	s_load_b64 s[0:1], s[2:3], 0xd4
	s_cmp_lt_u32 s33, 2
	s_wait_kmcnt 0x0
	v_mul_hi_u32 v1, s9, v0
	s_delay_alu instid0(VALU_DEP_1) | instskip(NEXT) | instid1(VALU_DEP_1)
	v_add_nc_u32_e32 v1, v0, v1
	v_lshrrev_b32_e32 v5, s10, v1
	s_delay_alu instid0(VALU_DEP_1) | instskip(NEXT) | instid1(VALU_DEP_1)
	v_mul_lo_u32 v1, v5, s8
	v_sub_nc_u32_e32 v6, v0, v1
	s_delay_alu instid0(VALU_DEP_1)
	v_mul_lo_u32 v3, v6, s5
	v_mul_lo_u32 v16, v6, s4
	;; [unrolled: 1-line block ×6, first 2 shown]
	s_cbranch_scc1 .LBB61_169
; %bb.159:
	s_clause 0x2
	s_load_b96 s[8:10], s[2:3], 0x10
	s_load_b128 s[4:7], s[2:3], 0xdc
	s_load_b64 s[0:1], s[2:3], 0xec
	s_wait_kmcnt 0x0
	v_mul_hi_u32 v6, s9, v5
	s_delay_alu instid0(VALU_DEP_1) | instskip(NEXT) | instid1(VALU_DEP_1)
	v_add_nc_u32_e32 v6, v5, v6
	v_lshrrev_b32_e32 v6, s10, v6
	s_delay_alu instid0(VALU_DEP_1) | instskip(NEXT) | instid1(VALU_DEP_1)
	v_mul_lo_u32 v6, v6, s8
	v_sub_nc_u32_e32 v5, v5, v6
	s_delay_alu instid0(VALU_DEP_1)
	v_mad_u32 v16, v5, s4, v16
	v_mad_u32 v3, v5, s5, v3
	;; [unrolled: 1-line block ×6, first 2 shown]
	s_branch .LBB61_169
.LBB61_160:
	s_mov_b32 s6, s79
	s_mov_b32 s0, exec_lo
	v_cmpx_gt_i64_e64 v[0:1], v[2:3]
	s_cbranch_execz .LBB61_166
; %bb.161:
	s_delay_alu instid0(VALU_DEP_2) | instskip(SKIP_2) | instid1(VALU_DEP_1)
	v_lshlrev_b64_e32 v[4:5], 3, v[4:5]
	s_mov_b32 s6, 0
	s_xor_b32 s8, s23, -1
                                        ; implicit-def: $sgpr7
                                        ; implicit-def: $sgpr10
                                        ; implicit-def: $sgpr9
	v_lshl_add_u64 v[2:3], v[2:3], 3, v[4:5]
	v_add_nc_u64_e32 v[4:5], s[48:49], v[4:5]
	s_delay_alu instid0(VALU_DEP_2) | instskip(NEXT) | instid1(VALU_DEP_2)
	v_add_nc_u64_e32 v[2:3], s[48:49], v[2:3]
	v_lshl_add_u64 v[0:1], v[0:1], 3, v[4:5]
	s_delay_alu instid0(VALU_DEP_2)
	v_add_nc_u64_e32 v[2:3], 8, v[2:3]
	s_branch .LBB61_163
.LBB61_162:                             ;   in Loop: Header=BB61_163 Depth=1
	s_or_b32 exec_lo, exec_lo, s11
	s_xor_b32 s11, s9, -1
	s_and_b32 s12, exec_lo, s10
	s_delay_alu instid0(SALU_CYCLE_1) | instskip(SKIP_2) | instid1(SALU_CYCLE_1)
	s_or_b32 s6, s12, s6
	s_and_not1_b32 s7, s7, exec_lo
	s_and_b32 s11, s11, exec_lo
	s_or_b32 s7, s7, s11
	s_and_not1_b32 exec_lo, exec_lo, s6
	s_cbranch_execz .LBB61_165
.LBB61_163:                             ; =>This Inner Loop Header: Depth=1
	s_or_b32 s9, s9, exec_lo
	s_or_b32 s10, s10, exec_lo
	s_mov_b32 s11, exec_lo
	s_delay_alu instid0(VALU_DEP_1)
	v_cmpx_lt_u64_e64 v[2:3], v[0:1]
	s_cbranch_execz .LBB61_162
; %bb.164:                              ;   in Loop: Header=BB61_163 Depth=1
	global_load_b128 v[4:7], v[2:3], off offset:-8
	s_wait_xcnt 0x0
	v_add_nc_u64_e32 v[2:3], 8, v[2:3]
	s_and_not1_b32 s10, s10, exec_lo
	s_and_not1_b32 s9, s9, exec_lo
	s_wait_loadcnt 0x0
	v_cmp_ge_i64_e32 vcc_lo, v[4:5], v[6:7]
	s_or_b32 s12, s8, vcc_lo
	s_delay_alu instid0(SALU_CYCLE_1) | instskip(NEXT) | instid1(SALU_CYCLE_1)
	s_and_b32 s12, s12, exec_lo
	s_or_b32 s10, s10, s12
	s_branch .LBB61_162
.LBB61_165:
	s_or_b32 exec_lo, exec_lo, s6
	s_delay_alu instid0(SALU_CYCLE_1) | instskip(SKIP_1) | instid1(SALU_CYCLE_1)
	s_and_not1_b32 s6, s79, exec_lo
	s_and_b32 s7, s7, exec_lo
	s_or_b32 s6, s6, s7
.LBB61_166:
	s_or_b32 exec_lo, exec_lo, s0
	s_delay_alu instid0(SALU_CYCLE_1)
	s_and_not1_b32 s7, s79, exec_lo
	s_and_b32 s6, s6, exec_lo
	s_mov_b32 s0, exec_lo
	s_or_b32 s79, s7, s6
	s_or_b32 exec_lo, exec_lo, s18
	s_and_saveexec_b32 s6, s79
	s_cbranch_execz .LBB61_134
.LBB61_167:
	s_or_b32 s1, s1, exec_lo
	s_and_not1_b32 s0, s0, exec_lo
	s_trap 2
	s_or_b32 exec_lo, exec_lo, s6
	s_and_saveexec_b32 s6, s0
	s_delay_alu instid0(SALU_CYCLE_1)
	s_xor_b32 s0, exec_lo, s6
	s_cbranch_execnz .LBB61_135
	s_branch .LBB61_136
.LBB61_168:
	v_dual_mov_b32 v3, 0 :: v_dual_mov_b32 v16, 0
	v_dual_mov_b32 v9, 0 :: v_dual_mov_b32 v1, 0
	;; [unrolled: 1-line block ×3, first 2 shown]
	s_and_not1_b32 vcc_lo, exec_lo, s6
	s_cbranch_vccz .LBB61_158
.LBB61_169:
	v_cmp_ne_u32_e32 vcc_lo, 1, v4
	v_add_nc_u32_e32 v5, 0x80, v0
	s_cbranch_vccnz .LBB61_175
; %bb.170:
	s_cmp_lg_u32 s33, 0
	s_mov_b32 s6, 0
	s_cbranch_scc0 .LBB61_179
; %bb.171:
	s_min_u32 s7, s70, 15
	v_dual_mov_b32 v31, 0 :: v_dual_mov_b32 v6, v5
	v_dual_mov_b32 v30, 0 :: v_dual_mov_b32 v33, 0
	v_dual_mov_b32 v32, 0 :: v_dual_mov_b32 v17, 0
	v_mov_b32_e32 v34, 0
	s_add_co_i32 s4, s7, 1
	s_mov_b64 s[0:1], 0xffffffffffffffd0
	s_and_b32 s8, s4, 30
	s_add_nc_u64 s[0:1], s[2:3], s[0:1]
	s_mov_b64 s[4:5], s[2:3]
.LBB61_172:                             ; =>This Inner Loop Header: Depth=1
	s_clause 0x1
	s_load_b128 s[20:23], s[4:5], 0x4
	s_load_b64 s[10:11], s[4:5], 0x14
	s_clause 0x1
	s_load_b256 s[12:19], s[0:1], 0xf4
	s_load_b128 s[24:27], s[0:1], 0x114
	s_add_co_i32 s8, s8, -2
	s_wait_xcnt 0x0
	s_add_nc_u64 s[4:5], s[4:5], 24
	s_cmp_lg_u32 s8, 0
	s_add_nc_u64 s[0:1], s[0:1], 48
	s_wait_kmcnt 0x0
	v_mul_hi_u32 v7, s21, v6
	s_delay_alu instid0(VALU_DEP_1) | instskip(NEXT) | instid1(VALU_DEP_1)
	v_add_nc_u32_e32 v7, v6, v7
	v_lshrrev_b32_e32 v7, s22, v7
	s_delay_alu instid0(VALU_DEP_1) | instskip(SKIP_1) | instid1(VALU_DEP_1)
	v_mul_hi_u32 v11, s10, v7
	v_mul_lo_u32 v12, v7, s20
	v_dual_add_nc_u32 v11, v7, v11 :: v_dual_sub_nc_u32 v12, v6, v12
	s_delay_alu instid0(VALU_DEP_1) | instskip(NEXT) | instid1(VALU_DEP_2)
	v_lshrrev_b32_e32 v6, s11, v11
	v_mad_u32 v11, v12, s13, v34
	v_mad_u32 v14, v12, s12, v17
	;; [unrolled: 1-line block ×4, first 2 shown]
	v_mul_lo_u32 v13, v6, s23
	v_mad_u32 v19, s17, v12, v30
	v_mad_u32 v12, s16, v12, v31
	s_delay_alu instid0(VALU_DEP_3) | instskip(NEXT) | instid1(VALU_DEP_1)
	v_sub_nc_u32_e32 v7, v7, v13
	v_mad_u32 v34, v7, s19, v11
	v_mad_u32 v17, v7, s18, v14
	;; [unrolled: 1-line block ×6, first 2 shown]
	s_cbranch_scc1 .LBB61_172
; %bb.173:
	s_bitcmp1_b32 s7, 0
	s_cselect_b32 s7, -1, 0
	s_delay_alu instid0(SALU_CYCLE_1)
	s_and_b32 vcc_lo, exec_lo, s7
	s_cbranch_vccnz .LBB61_176
; %bb.174:
	s_load_b96 s[12:14], s[4:5], 0x4
	s_load_b128 s[8:11], s[0:1], 0xf4
	s_wait_xcnt 0x0
	s_load_b64 s[4:5], s[0:1], 0x104
	s_wait_kmcnt 0x0
	v_mul_hi_u32 v7, s13, v6
	s_delay_alu instid0(VALU_DEP_1) | instskip(NEXT) | instid1(VALU_DEP_1)
	v_add_nc_u32_e32 v7, v6, v7
	v_lshrrev_b32_e32 v7, s14, v7
	s_delay_alu instid0(VALU_DEP_1) | instskip(NEXT) | instid1(VALU_DEP_1)
	v_mul_lo_u32 v7, v7, s12
	v_sub_nc_u32_e32 v6, v6, v7
	s_delay_alu instid0(VALU_DEP_1)
	v_mad_u32 v17, v6, s8, v17
	v_mad_u32 v34, v6, s9, v34
	;; [unrolled: 1-line block ×6, first 2 shown]
	s_and_not1_b32 vcc_lo, exec_lo, s6
	s_cbranch_vccz .LBB61_177
	s_branch .LBB61_180
.LBB61_175:
	s_mov_b32 s6, -1
                                        ; implicit-def: $vgpr34
                                        ; implicit-def: $vgpr17
                                        ; implicit-def: $vgpr32
                                        ; implicit-def: $vgpr33
                                        ; implicit-def: $vgpr30
                                        ; implicit-def: $vgpr31
.LBB61_176:
	s_delay_alu instid0(SALU_CYCLE_1)
	s_and_not1_b32 vcc_lo, exec_lo, s6
	s_cbranch_vccnz .LBB61_180
.LBB61_177:
	s_clause 0x2
	s_load_b96 s[8:10], s[2:3], 0x4
	s_load_b128 s[4:7], s[2:3], 0xc4
	s_load_b64 s[0:1], s[2:3], 0xd4
	s_cmp_lt_u32 s33, 2
	s_wait_kmcnt 0x0
	v_mul_hi_u32 v6, s9, v5
	s_delay_alu instid0(VALU_DEP_1) | instskip(NEXT) | instid1(VALU_DEP_1)
	v_add_nc_u32_e32 v6, v5, v6
	v_lshrrev_b32_e32 v6, s10, v6
	s_delay_alu instid0(VALU_DEP_1) | instskip(NEXT) | instid1(VALU_DEP_1)
	v_mul_lo_u32 v7, v6, s8
	v_sub_nc_u32_e32 v5, v5, v7
	s_delay_alu instid0(VALU_DEP_1)
	v_mul_lo_u32 v34, v5, s5
	v_mul_lo_u32 v17, v5, s4
	;; [unrolled: 1-line block ×6, first 2 shown]
	s_cbranch_scc1 .LBB61_180
; %bb.178:
	s_clause 0x2
	s_load_b96 s[8:10], s[2:3], 0x10
	s_load_b128 s[4:7], s[2:3], 0xdc
	s_load_b64 s[0:1], s[2:3], 0xec
	s_wait_kmcnt 0x0
	v_mul_hi_u32 v5, s9, v6
	s_delay_alu instid0(VALU_DEP_1) | instskip(NEXT) | instid1(VALU_DEP_1)
	v_add_nc_u32_e32 v5, v6, v5
	v_lshrrev_b32_e32 v5, s10, v5
	s_delay_alu instid0(VALU_DEP_1) | instskip(NEXT) | instid1(VALU_DEP_1)
	v_mul_lo_u32 v5, v5, s8
	v_sub_nc_u32_e32 v5, v6, v5
	s_delay_alu instid0(VALU_DEP_1)
	v_mad_u32 v17, v5, s4, v17
	v_mad_u32 v34, v5, s5, v34
	;; [unrolled: 1-line block ×6, first 2 shown]
	s_branch .LBB61_180
.LBB61_179:
	v_dual_mov_b32 v34, 0 :: v_dual_mov_b32 v17, 0
	v_dual_mov_b32 v32, 0 :: v_dual_mov_b32 v33, 0
	;; [unrolled: 1-line block ×3, first 2 shown]
	s_and_not1_b32 vcc_lo, exec_lo, s6
	s_cbranch_vccz .LBB61_177
.LBB61_180:
	v_cmp_ne_u32_e32 vcc_lo, 1, v4
	v_add_nc_u32_e32 v0, 0x100, v0
	s_cbranch_vccnz .LBB61_186
; %bb.181:
	s_cmp_lg_u32 s33, 0
	s_mov_b32 s6, 0
	s_cbranch_scc0 .LBB61_190
; %bb.182:
	s_min_u32 s7, s70, 15
	v_dual_mov_b32 v26, 0 :: v_dual_mov_b32 v5, v0
	v_dual_mov_b32 v25, 0 :: v_dual_mov_b32 v28, 0
	;; [unrolled: 1-line block ×3, first 2 shown]
	v_mov_b32_e32 v29, 0
	s_add_co_i32 s4, s7, 1
	s_mov_b64 s[0:1], 0xffffffffffffffd0
	s_and_b32 s8, s4, 30
	s_add_nc_u64 s[0:1], s[2:3], s[0:1]
	s_mov_b64 s[4:5], s[2:3]
.LBB61_183:                             ; =>This Inner Loop Header: Depth=1
	s_clause 0x1
	s_load_b128 s[20:23], s[4:5], 0x4
	s_load_b64 s[10:11], s[4:5], 0x14
	s_clause 0x1
	s_load_b256 s[12:19], s[0:1], 0xf4
	s_load_b128 s[24:27], s[0:1], 0x114
	s_add_co_i32 s8, s8, -2
	s_wait_xcnt 0x0
	s_add_nc_u64 s[4:5], s[4:5], 24
	s_cmp_lg_u32 s8, 0
	s_add_nc_u64 s[0:1], s[0:1], 48
	s_wait_kmcnt 0x0
	v_mul_hi_u32 v6, s21, v5
	s_delay_alu instid0(VALU_DEP_1) | instskip(NEXT) | instid1(VALU_DEP_1)
	v_add_nc_u32_e32 v6, v5, v6
	v_lshrrev_b32_e32 v6, s22, v6
	s_delay_alu instid0(VALU_DEP_1) | instskip(SKIP_1) | instid1(VALU_DEP_2)
	v_mul_hi_u32 v7, s10, v6
	v_mul_lo_u32 v11, v6, s20
	v_add_nc_u32_e32 v7, v6, v7
	s_delay_alu instid0(VALU_DEP_2) | instskip(NEXT) | instid1(VALU_DEP_2)
	v_sub_nc_u32_e32 v11, v5, v11
	v_lshrrev_b32_e32 v5, s11, v7
	s_delay_alu instid0(VALU_DEP_2)
	v_mad_u32 v7, v11, s13, v29
	v_mad_u32 v13, v11, s12, v18
	;; [unrolled: 1-line block ×4, first 2 shown]
	v_mul_lo_u32 v12, v5, s23
	v_mad_u32 v19, s17, v11, v25
	v_mad_u32 v11, s16, v11, v26
	s_delay_alu instid0(VALU_DEP_3) | instskip(NEXT) | instid1(VALU_DEP_1)
	v_sub_nc_u32_e32 v6, v6, v12
	v_mad_u32 v29, v6, s19, v7
	v_mad_u32 v18, v6, s18, v13
	;; [unrolled: 1-line block ×6, first 2 shown]
	s_cbranch_scc1 .LBB61_183
; %bb.184:
	s_bitcmp1_b32 s7, 0
	s_cselect_b32 s7, -1, 0
	s_delay_alu instid0(SALU_CYCLE_1)
	s_and_b32 vcc_lo, exec_lo, s7
	s_cbranch_vccnz .LBB61_187
; %bb.185:
	s_load_b96 s[12:14], s[4:5], 0x4
	s_load_b128 s[8:11], s[0:1], 0xf4
	s_wait_xcnt 0x0
	s_load_b64 s[4:5], s[0:1], 0x104
	s_wait_kmcnt 0x0
	v_mul_hi_u32 v6, s13, v5
	s_delay_alu instid0(VALU_DEP_1) | instskip(NEXT) | instid1(VALU_DEP_1)
	v_add_nc_u32_e32 v6, v5, v6
	v_lshrrev_b32_e32 v6, s14, v6
	s_delay_alu instid0(VALU_DEP_1) | instskip(NEXT) | instid1(VALU_DEP_1)
	v_mul_lo_u32 v6, v6, s12
	v_sub_nc_u32_e32 v5, v5, v6
	s_delay_alu instid0(VALU_DEP_1)
	v_mad_u32 v18, v5, s8, v18
	v_mad_u32 v29, v5, s9, v29
	;; [unrolled: 1-line block ×6, first 2 shown]
	s_and_not1_b32 vcc_lo, exec_lo, s6
	s_cbranch_vccz .LBB61_188
	s_branch .LBB61_191
.LBB61_186:
	s_mov_b32 s6, -1
                                        ; implicit-def: $vgpr29
                                        ; implicit-def: $vgpr18
                                        ; implicit-def: $vgpr27
                                        ; implicit-def: $vgpr28
                                        ; implicit-def: $vgpr25
                                        ; implicit-def: $vgpr26
.LBB61_187:
	s_delay_alu instid0(SALU_CYCLE_1)
	s_and_not1_b32 vcc_lo, exec_lo, s6
	s_cbranch_vccnz .LBB61_191
.LBB61_188:
	s_clause 0x2
	s_load_b96 s[8:10], s[2:3], 0x4
	s_load_b128 s[4:7], s[2:3], 0xc4
	s_load_b64 s[0:1], s[2:3], 0xd4
	s_cmp_lt_u32 s33, 2
	s_wait_kmcnt 0x0
	v_mul_hi_u32 v5, s9, v0
	s_delay_alu instid0(VALU_DEP_1) | instskip(NEXT) | instid1(VALU_DEP_1)
	v_add_nc_u32_e32 v5, v0, v5
	v_lshrrev_b32_e32 v5, s10, v5
	s_delay_alu instid0(VALU_DEP_1) | instskip(NEXT) | instid1(VALU_DEP_1)
	v_mul_lo_u32 v6, v5, s8
	v_sub_nc_u32_e32 v0, v0, v6
	s_delay_alu instid0(VALU_DEP_1)
	v_mul_lo_u32 v29, v0, s5
	v_mul_lo_u32 v18, v0, s4
	;; [unrolled: 1-line block ×6, first 2 shown]
	s_cbranch_scc1 .LBB61_191
; %bb.189:
	s_clause 0x2
	s_load_b96 s[8:10], s[2:3], 0x10
	s_load_b128 s[4:7], s[2:3], 0xdc
	s_load_b64 s[0:1], s[2:3], 0xec
	s_wait_kmcnt 0x0
	v_mul_hi_u32 v0, s9, v5
	s_delay_alu instid0(VALU_DEP_1) | instskip(NEXT) | instid1(VALU_DEP_1)
	v_add_nc_u32_e32 v0, v5, v0
	v_lshrrev_b32_e32 v0, s10, v0
	s_delay_alu instid0(VALU_DEP_1) | instskip(NEXT) | instid1(VALU_DEP_1)
	v_mul_lo_u32 v0, v0, s8
	v_sub_nc_u32_e32 v0, v5, v0
	s_delay_alu instid0(VALU_DEP_1)
	v_mad_u32 v18, v0, s4, v18
	v_mad_u32 v29, v0, s5, v29
	;; [unrolled: 1-line block ×6, first 2 shown]
	s_branch .LBB61_191
.LBB61_190:
	v_dual_mov_b32 v29, 0 :: v_dual_mov_b32 v18, 0
	v_dual_mov_b32 v27, 0 :: v_dual_mov_b32 v28, 0
	;; [unrolled: 1-line block ×3, first 2 shown]
	s_and_not1_b32 vcc_lo, exec_lo, s6
	s_cbranch_vccz .LBB61_188
.LBB61_191:
	v_cmp_ne_u32_e32 vcc_lo, 1, v4
	s_cbranch_vccnz .LBB61_197
; %bb.192:
	s_cmp_lg_u32 s33, 0
	s_mov_b32 s6, 0
	s_cbranch_scc0 .LBB61_201
; %bb.193:
	s_min_u32 s7, s70, 15
	v_dual_mov_b32 v21, 0 :: v_dual_mov_b32 v0, v2
	v_dual_mov_b32 v20, 0 :: v_dual_mov_b32 v23, 0
	;; [unrolled: 1-line block ×3, first 2 shown]
	v_mov_b32_e32 v24, 0
	s_add_co_i32 s4, s7, 1
	s_mov_b64 s[0:1], 0xffffffffffffffd0
	s_and_b32 s8, s4, 30
	s_add_nc_u64 s[0:1], s[2:3], s[0:1]
	s_mov_b64 s[4:5], s[2:3]
.LBB61_194:                             ; =>This Inner Loop Header: Depth=1
	s_clause 0x1
	s_load_b128 s[20:23], s[4:5], 0x4
	s_load_b64 s[10:11], s[4:5], 0x14
	s_clause 0x1
	s_load_b256 s[12:19], s[0:1], 0xf4
	s_load_b128 s[24:27], s[0:1], 0x114
	s_add_co_i32 s8, s8, -2
	s_wait_xcnt 0x0
	s_add_nc_u64 s[4:5], s[4:5], 24
	s_cmp_lg_u32 s8, 0
	s_add_nc_u64 s[0:1], s[0:1], 48
	s_wait_kmcnt 0x0
	v_mul_hi_u32 v4, s21, v0
	s_delay_alu instid0(VALU_DEP_1) | instskip(NEXT) | instid1(VALU_DEP_1)
	v_add_nc_u32_e32 v4, v0, v4
	v_lshrrev_b32_e32 v4, s22, v4
	s_delay_alu instid0(VALU_DEP_1) | instskip(SKIP_1) | instid1(VALU_DEP_2)
	v_mul_hi_u32 v5, s10, v4
	v_mul_lo_u32 v6, v4, s20
	v_add_nc_u32_e32 v5, v4, v5
	s_delay_alu instid0(VALU_DEP_1) | instskip(NEXT) | instid1(VALU_DEP_1)
	v_dual_sub_nc_u32 v6, v0, v6 :: v_dual_lshrrev_b32 v0, s11, v5
	v_mad_u32 v5, v6, s13, v24
	v_mad_u32 v11, v6, s12, v19
	v_mad_u32 v12, v6, s15, v22
	v_mad_u32 v13, v6, s14, v23
	v_mul_lo_u32 v7, v0, s23
	v_mad_u32 v14, s17, v6, v20
	v_mad_u32 v6, s16, v6, v21
	s_delay_alu instid0(VALU_DEP_3) | instskip(NEXT) | instid1(VALU_DEP_1)
	v_sub_nc_u32_e32 v4, v4, v7
	v_mad_u32 v24, v4, s19, v5
	v_mad_u32 v19, v4, s18, v11
	;; [unrolled: 1-line block ×6, first 2 shown]
	s_cbranch_scc1 .LBB61_194
; %bb.195:
	s_bitcmp1_b32 s7, 0
	s_cselect_b32 s7, -1, 0
	s_delay_alu instid0(SALU_CYCLE_1)
	s_and_b32 vcc_lo, exec_lo, s7
	s_cbranch_vccnz .LBB61_198
; %bb.196:
	s_load_b96 s[12:14], s[4:5], 0x4
	s_load_b128 s[8:11], s[0:1], 0xf4
	s_wait_xcnt 0x0
	s_load_b64 s[4:5], s[0:1], 0x104
	s_wait_kmcnt 0x0
	v_mul_hi_u32 v4, s13, v0
	s_delay_alu instid0(VALU_DEP_1) | instskip(NEXT) | instid1(VALU_DEP_1)
	v_add_nc_u32_e32 v4, v0, v4
	v_lshrrev_b32_e32 v4, s14, v4
	s_delay_alu instid0(VALU_DEP_1) | instskip(NEXT) | instid1(VALU_DEP_1)
	v_mul_lo_u32 v4, v4, s12
	v_sub_nc_u32_e32 v0, v0, v4
	s_delay_alu instid0(VALU_DEP_1)
	v_mad_u32 v19, v0, s8, v19
	v_mad_u32 v24, v0, s9, v24
	;; [unrolled: 1-line block ×6, first 2 shown]
	s_and_not1_b32 vcc_lo, exec_lo, s6
	s_cbranch_vccz .LBB61_199
	s_branch .LBB61_202
.LBB61_197:
	s_mov_b32 s6, -1
                                        ; implicit-def: $vgpr24
                                        ; implicit-def: $vgpr19
                                        ; implicit-def: $vgpr22
                                        ; implicit-def: $vgpr23
                                        ; implicit-def: $vgpr20
                                        ; implicit-def: $vgpr21
.LBB61_198:
	s_delay_alu instid0(SALU_CYCLE_1)
	s_and_not1_b32 vcc_lo, exec_lo, s6
	s_cbranch_vccnz .LBB61_202
.LBB61_199:
	s_clause 0x2
	s_load_b96 s[8:10], s[2:3], 0x4
	s_load_b128 s[4:7], s[2:3], 0xc4
	s_load_b64 s[0:1], s[2:3], 0xd4
	s_cmp_lt_u32 s33, 2
	s_wait_kmcnt 0x0
	v_mul_hi_u32 v0, s9, v2
	s_delay_alu instid0(VALU_DEP_1) | instskip(NEXT) | instid1(VALU_DEP_1)
	v_add_nc_u32_e32 v0, v2, v0
	v_lshrrev_b32_e32 v0, s10, v0
	s_delay_alu instid0(VALU_DEP_1) | instskip(NEXT) | instid1(VALU_DEP_1)
	v_mul_lo_u32 v4, v0, s8
	v_sub_nc_u32_e32 v2, v2, v4
	s_delay_alu instid0(VALU_DEP_1)
	v_mul_lo_u32 v24, v2, s5
	v_mul_lo_u32 v19, v2, s4
	v_mul_lo_u32 v22, v2, s7
	v_mul_lo_u32 v23, v2, s6
	v_mul_lo_u32 v20, s1, v2
	v_mul_lo_u32 v21, s0, v2
	s_cbranch_scc1 .LBB61_202
; %bb.200:
	s_clause 0x2
	s_load_b96 s[8:10], s[2:3], 0x10
	s_load_b128 s[4:7], s[2:3], 0xdc
	s_load_b64 s[0:1], s[2:3], 0xec
	s_wait_kmcnt 0x0
	v_mul_hi_u32 v2, s9, v0
	s_delay_alu instid0(VALU_DEP_1) | instskip(NEXT) | instid1(VALU_DEP_1)
	v_add_nc_u32_e32 v2, v0, v2
	v_lshrrev_b32_e32 v2, s10, v2
	s_delay_alu instid0(VALU_DEP_1) | instskip(NEXT) | instid1(VALU_DEP_1)
	v_mul_lo_u32 v2, v2, s8
	v_sub_nc_u32_e32 v0, v0, v2
	s_delay_alu instid0(VALU_DEP_1)
	v_mad_u32 v19, v0, s4, v19
	v_mad_u32 v24, v0, s5, v24
	;; [unrolled: 1-line block ×6, first 2 shown]
	s_branch .LBB61_202
.LBB61_201:
	v_dual_mov_b32 v24, 0 :: v_dual_mov_b32 v19, 0
	v_dual_mov_b32 v22, 0 :: v_dual_mov_b32 v23, 0
	;; [unrolled: 1-line block ×3, first 2 shown]
	s_and_not1_b32 vcc_lo, exec_lo, s6
	s_cbranch_vccz .LBB61_199
.LBB61_202:
	s_load_b256 s[4:11], s[2:3], 0x248
	s_cmp_eq_u64 s[34:35], 0
	s_mov_b32 s33, s36
	s_wait_kmcnt 0x0
	global_load_b64 v[2:3], v3, s[6:7]
	s_clause 0x1
	s_load_b64 s[0:1], s[2:3], 0x278
	s_load_b128 s[12:15], s[2:3], 0x268
	s_wait_loadcnt 0x0
	s_wait_kmcnt 0x0
	v_cmp_ne_u64_e32 vcc_lo, s[0:1], v[2:3]
	s_cselect_b32 s0, -1, 0
	s_delay_alu instid0(SALU_CYCLE_1) | instskip(NEXT) | instid1(SALU_CYCLE_1)
	s_or_b32 s0, s0, vcc_lo
	s_and_saveexec_b32 s1, s0
	s_delay_alu instid0(SALU_CYCLE_1)
	s_xor_b32 s0, exec_lo, s1
	s_cbranch_execnz .LBB61_258
; %bb.203:
	s_or_saveexec_b32 s38, s0
	s_mov_b32 s0, 0
	s_xor_b32 exec_lo, exec_lo, s38
	s_cbranch_execz .LBB61_307
.LBB61_204:
	global_load_b64 v[0:1], v1, s[8:9]
	s_load_b64 s[0:1], s[2:3], 0x288
	s_get_pc_i64 s[16:17]
	s_add_nc_u64 s[16:17], s[16:17], .str.2@rel64+4
	s_mov_b32 s39, s33
	s_cmp_eq_u64 s[16:17], 0
	s_wait_loadcnt 0x0
	s_wait_kmcnt 0x0
	v_cmp_ne_u64_e32 vcc_lo, s[0:1], v[0:1]
	s_cselect_b32 s0, -1, 0
	s_delay_alu instid0(SALU_CYCLE_1) | instskip(NEXT) | instid1(SALU_CYCLE_1)
	s_or_b32 s0, s0, vcc_lo
	s_and_saveexec_b32 s1, s0
	s_delay_alu instid0(SALU_CYCLE_1)
	s_xor_b32 s0, exec_lo, s1
	s_cbranch_execnz .LBB61_264
; %bb.205:
	s_or_saveexec_b32 s40, s0
	s_mov_b32 s0, 0
	s_xor_b32 exec_lo, exec_lo, s40
	s_cbranch_execz .LBB61_306
.LBB61_206:
	global_load_b64 v[6:7], v9, s[10:11]
	global_load_b64 v[4:5], v8, s[12:13]
	s_load_b64 s[18:19], s[2:3], 0x280
	s_get_pc_i64 s[16:17]
	s_add_nc_u64 s[16:17], s[16:17], .str.3@rel64+4
	s_mov_b32 s41, s39
	s_wait_loadcnt 0x0
	v_sub_nc_u64_e32 v[8:9], v[4:5], v[6:7]
	s_delay_alu instid0(VALU_DEP_1)
	v_cmp_gt_i64_e32 vcc_lo, v[2:3], v[8:9]
	s_wait_kmcnt 0x0
	v_cmp_lt_i64_e64 s0, s[18:19], v[8:9]
	s_or_b32 s0, vcc_lo, s0
	s_cmp_eq_u64 s[16:17], 0
	s_cselect_b32 s1, -1, 0
	s_delay_alu instid0(SALU_CYCLE_1) | instskip(NEXT) | instid1(SALU_CYCLE_1)
	s_or_b32 s0, s1, s0
	s_and_saveexec_b32 s1, s0
	s_delay_alu instid0(SALU_CYCLE_1)
	s_xor_b32 s0, exec_lo, s1
	s_cbranch_execnz .LBB61_282
; %bb.207:
	s_or_saveexec_b32 s42, s0
	s_mov_b32 s0, 0
	s_xor_b32 exec_lo, exec_lo, s42
	s_cbranch_execz .LBB61_305
.LBB61_208:
	s_load_b32 s43, s[2:3], 0x290
	v_cmp_lt_i64_e32 vcc_lo, 0, v[0:1]
	v_mov_b64_e32 v[8:9], 0
	s_wait_kmcnt 0x0
	s_add_co_i32 s16, s43, -1
	s_delay_alu instid0(SALU_CYCLE_1) | instskip(SKIP_1) | instid1(SALU_CYCLE_1)
	s_cmp_gt_i32 s16, -1
	s_cselect_b32 s0, -1, 0
	s_and_b32 s50, vcc_lo, s0
	s_delay_alu instid0(SALU_CYCLE_1)
	s_and_saveexec_b32 s34, s50
	s_cbranch_execz .LBB61_215
; %bb.209:
	global_load_b64 v[8:9], v10, s[14:15]
	s_load_b128 s[24:27], s[2:3], 0x298
	s_mov_b32 s1, 0
	v_mov_b32_e32 v12, 0
	s_mov_b32 s17, s1
	s_mov_b64 s[20:21], 0xffffffff
	s_lshl_b64 s[28:29], s[16:17], 3
	s_mov_b32 s17, s43
	s_wait_kmcnt 0x0
	s_add_nc_u64 s[22:23], s[24:25], s[28:29]
	s_add_nc_u64 s[24:25], s[26:27], s[28:29]
	s_wait_loadcnt 0x0
	v_mul_u64_e32 v[10:11], v[8:9], v[0:1]
	v_mov_b64_e32 v[8:9], 0
	s_branch .LBB61_211
.LBB61_210:                             ;   in Loop: Header=BB61_211 Depth=1
	s_or_b32 exec_lo, exec_lo, s0
	global_load_b64 v[36:37], v12, s[24:25]
	v_mul_u64_e32 v[38:39], s[26:27], v[14:15]
	s_add_co_i32 s17, s17, -1
	s_add_nc_u64 s[22:23], s[22:23], -8
	s_cmp_eq_u32 s17, 0
	s_wait_xcnt 0x0
	s_add_nc_u64 s[24:25], s[24:25], -8
	s_delay_alu instid0(VALU_DEP_1) | instskip(SKIP_1) | instid1(VALU_DEP_1)
	v_sub_nc_u64_e32 v[10:11], v[10:11], v[38:39]
	s_wait_loadcnt 0x0
	v_mad_nc_u64_u32 v[8:9], v10, v36, v[8:9]
	s_delay_alu instid0(VALU_DEP_1) | instskip(NEXT) | instid1(VALU_DEP_1)
	v_mad_u32 v9, v11, v36, v9
	v_mad_u32 v9, v10, v37, v9
	v_mov_b64_e32 v[10:11], v[14:15]
	s_cbranch_scc1 .LBB61_215
.LBB61_211:                             ; =>This Inner Loop Header: Depth=1
	global_load_b64 v[14:15], v12, s[22:23]
	s_mov_b32 s0, exec_lo
	s_wait_loadcnt 0x0
	v_or_b32_e32 v13, v11, v15
	v_readfirstlane_b32 s26, v14
	v_readfirstlane_b32 s27, v15
                                        ; implicit-def: $vgpr14_vgpr15
	s_wait_xcnt 0x0
	s_delay_alu instid0(VALU_DEP_3)
	v_cmpx_ne_u64_e32 0, v[12:13]
	s_xor_b32 s35, exec_lo, s0
	s_cbranch_execz .LBB61_213
; %bb.212:                              ;   in Loop: Header=BB61_211 Depth=1
	s_ashr_i32 s28, s27, 31
	v_dual_mov_b32 v39, v12 :: v_dual_ashrrev_i32 v14, 31, v11
	s_mov_b32 s29, s28
	s_delay_alu instid0(SALU_CYCLE_1) | instskip(NEXT) | instid1(VALU_DEP_1)
	s_add_nc_u64 s[30:31], s[26:27], s[28:29]
	v_mov_b32_e32 v15, v14
	s_xor_b64 s[30:31], s[30:31], s[28:29]
	s_delay_alu instid0(SALU_CYCLE_1)
	s_cvt_f32_u32 s0, s30
	s_cvt_f32_u32 s29, s31
	s_sub_nc_u64 s[46:47], 0, s[30:31]
	v_add_nc_u64_e32 v[36:37], v[10:11], v[14:15]
	v_mov_b32_e32 v43, v12
	s_fmamk_f32 s0, s29, 0x4f800000, s0
	s_delay_alu instid0(SALU_CYCLE_3) | instskip(NEXT) | instid1(VALU_DEP_2)
	v_s_rcp_f32 s0, s0
	v_xor_b32_e32 v38, v36, v14
	s_delay_alu instid0(VALU_DEP_3) | instskip(SKIP_1) | instid1(TRANS32_DEP_1)
	v_dual_mov_b32 v47, v12 :: v_dual_bitop2_b32 v42, v37, v14 bitop3:0x14
	v_xor_b32_e32 v14, s28, v14
	s_mul_f32 s0, s0, 0x5f7ffffc
	s_delay_alu instid0(SALU_CYCLE_3) | instskip(NEXT) | instid1(SALU_CYCLE_3)
	s_mul_f32 s29, s0, 0x2f800000
	s_trunc_f32 s29, s29
	s_delay_alu instid0(SALU_CYCLE_3) | instskip(SKIP_1) | instid1(SALU_CYCLE_2)
	s_fmamk_f32 s0, s29, 0xcf800000, s0
	s_cvt_u32_f32 s45, s29
	s_cvt_u32_f32 s44, s0
	s_delay_alu instid0(SALU_CYCLE_3) | instskip(NEXT) | instid1(SALU_CYCLE_1)
	s_mul_u64 s[48:49], s[46:47], s[44:45]
	s_mul_hi_u32 s53, s44, s49
	s_mul_i32 s52, s44, s49
	s_mul_hi_u32 s0, s44, s48
	s_mul_i32 s51, s45, s48
	s_add_nc_u64 s[52:53], s[0:1], s[52:53]
	s_mul_hi_u32 s29, s45, s48
	s_mul_hi_u32 s54, s45, s49
	s_add_co_u32 s0, s52, s51
	s_add_co_ci_u32 s0, s53, s29
	s_mul_i32 s48, s45, s49
	s_add_co_ci_u32 s49, s54, 0
	s_delay_alu instid0(SALU_CYCLE_1) | instskip(NEXT) | instid1(SALU_CYCLE_1)
	s_add_nc_u64 s[48:49], s[0:1], s[48:49]
	s_add_co_u32 s44, s44, s48
	s_cselect_b32 s0, -1, 0
	s_delay_alu instid0(SALU_CYCLE_1) | instskip(SKIP_1) | instid1(SALU_CYCLE_1)
	s_cmp_lg_u32 s0, 0
	s_add_co_ci_u32 s45, s45, s49
	s_mul_u64 s[46:47], s[46:47], s[44:45]
	s_delay_alu instid0(SALU_CYCLE_1)
	s_mul_hi_u32 s49, s44, s47
	s_mul_i32 s48, s44, s47
	s_mul_hi_u32 s0, s44, s46
	s_mul_i32 s51, s45, s46
	s_add_nc_u64 s[48:49], s[0:1], s[48:49]
	s_mul_hi_u32 s29, s45, s46
	s_mul_hi_u32 s52, s45, s47
	s_add_co_u32 s0, s48, s51
	s_add_co_ci_u32 s0, s49, s29
	s_mul_i32 s46, s45, s47
	s_add_co_ci_u32 s47, s52, 0
	s_delay_alu instid0(SALU_CYCLE_1) | instskip(NEXT) | instid1(SALU_CYCLE_1)
	s_add_nc_u64 s[46:47], s[0:1], s[46:47]
	s_add_co_u32 s44, s44, s46
	s_cselect_b32 s0, -1, 0
	v_mul_hi_u32 v46, v38, s44
	s_cmp_lg_u32 s0, 0
	s_add_co_ci_u32 s0, s45, s47
	s_and_b64 s[46:47], s[44:45], s[20:21]
	v_mul_u64_e32 v[40:41], s[0:1], v[38:39]
	v_mul_u64_e32 v[36:37], s[46:47], v[42:43]
	;; [unrolled: 1-line block ×3, first 2 shown]
	s_delay_alu instid0(VALU_DEP_3) | instskip(NEXT) | instid1(VALU_DEP_1)
	v_add_nc_u64_e32 v[40:41], v[46:47], v[40:41]
	v_add_co_u32 v13, vcc_lo, v40, v36
	s_delay_alu instid0(VALU_DEP_2) | instskip(NEXT) | instid1(VALU_DEP_4)
	v_add_co_ci_u32_e32 v46, vcc_lo, v41, v37, vcc_lo
	v_add_co_ci_u32_e32 v45, vcc_lo, 0, v45, vcc_lo
	s_delay_alu instid0(VALU_DEP_1) | instskip(NEXT) | instid1(VALU_DEP_1)
	v_add_nc_u64_e32 v[36:37], v[46:47], v[44:45]
	v_mul_u64_e32 v[40:41], s[30:31], v[36:37]
	s_delay_alu instid0(VALU_DEP_1) | instskip(NEXT) | instid1(VALU_DEP_2)
	v_sub_nc_u32_e32 v13, v42, v41
	v_sub_co_u32 v15, vcc_lo, v38, v40
	s_delay_alu instid0(VALU_DEP_1) | instskip(NEXT) | instid1(VALU_DEP_3)
	v_sub_co_ci_u32_e64 v42, null, v42, v41, vcc_lo
	v_subrev_co_ci_u32_e64 v13, null, s31, v13, vcc_lo
	s_delay_alu instid0(VALU_DEP_3) | instskip(SKIP_1) | instid1(VALU_DEP_3)
	v_sub_co_u32 v35, s0, v15, s30
	v_add_nc_u64_e32 v[40:41], 1, v[36:37]
	v_subrev_co_ci_u32_e64 v13, null, 0, v13, s0
	s_delay_alu instid0(VALU_DEP_3) | instskip(SKIP_1) | instid1(VALU_DEP_3)
	v_cmp_le_u32_e32 vcc_lo, s30, v35
	v_cndmask_b32_e64 v35, 0, -1, vcc_lo
	v_cmp_le_u32_e32 vcc_lo, s31, v13
	v_cndmask_b32_e64 v38, 0, -1, vcc_lo
	;; [unrolled: 2-line block ×4, first 2 shown]
	v_cmp_eq_u32_e32 vcc_lo, s31, v13
	v_cndmask_b32_e32 v13, v38, v35, vcc_lo
	v_cmp_eq_u32_e32 vcc_lo, s31, v42
	v_add_nc_u64_e32 v[38:39], 2, v[36:37]
	v_cndmask_b32_e32 v15, v43, v15, vcc_lo
	s_delay_alu instid0(VALU_DEP_4) | instskip(NEXT) | instid1(VALU_DEP_2)
	v_cmp_ne_u32_e32 vcc_lo, 0, v13
	v_cmp_ne_u32_e64 s0, 0, v15
	s_delay_alu instid0(VALU_DEP_4) | instskip(NEXT) | instid1(VALU_DEP_1)
	v_dual_cndmask_b32 v13, v41, v39, vcc_lo :: v_dual_cndmask_b32 v15, v40, v38, vcc_lo
	v_dual_cndmask_b32 v35, v36, v15, s0 :: v_dual_mov_b32 v15, v14
	s_delay_alu instid0(VALU_DEP_1) | instskip(NEXT) | instid1(VALU_DEP_1)
	v_dual_cndmask_b32 v13, v37, v13, s0 :: v_dual_bitop2_b32 v36, v35, v14 bitop3:0x14
	v_xor_b32_e32 v37, v13, v14
	s_delay_alu instid0(VALU_DEP_1)
	v_sub_nc_u64_e32 v[14:15], v[36:37], v[14:15]
.LBB61_213:                             ;   in Loop: Header=BB61_211 Depth=1
	s_and_not1_saveexec_b32 s0, s35
	s_cbranch_execz .LBB61_210
; %bb.214:                              ;   in Loop: Header=BB61_211 Depth=1
	v_cvt_f32_u32_e32 v13, s26
	s_sub_co_i32 s28, 0, s26
	s_delay_alu instid0(VALU_DEP_1) | instskip(SKIP_1) | instid1(TRANS32_DEP_1)
	v_rcp_iflag_f32_e32 v13, v13
	v_nop
	v_mul_f32_e32 v13, 0x4f7ffffe, v13
	s_delay_alu instid0(VALU_DEP_1) | instskip(NEXT) | instid1(VALU_DEP_1)
	v_cvt_u32_f32_e32 v13, v13
	v_mul_lo_u32 v14, s28, v13
	s_delay_alu instid0(VALU_DEP_1) | instskip(NEXT) | instid1(VALU_DEP_1)
	v_mul_hi_u32 v14, v13, v14
	v_add_nc_u32_e32 v13, v13, v14
	s_delay_alu instid0(VALU_DEP_1) | instskip(NEXT) | instid1(VALU_DEP_1)
	v_mul_hi_u32 v13, v10, v13
	v_mul_lo_u32 v14, v13, s26
	s_delay_alu instid0(VALU_DEP_1) | instskip(NEXT) | instid1(VALU_DEP_1)
	v_dual_add_nc_u32 v15, 1, v13 :: v_dual_sub_nc_u32 v14, v10, v14
	v_subrev_nc_u32_e32 v35, s26, v14
	v_cmp_le_u32_e32 vcc_lo, s26, v14
	s_delay_alu instid0(VALU_DEP_2) | instskip(NEXT) | instid1(VALU_DEP_4)
	v_cndmask_b32_e32 v14, v14, v35, vcc_lo
	v_cndmask_b32_e32 v13, v13, v15, vcc_lo
	s_delay_alu instid0(VALU_DEP_2) | instskip(NEXT) | instid1(VALU_DEP_2)
	v_cmp_le_u32_e32 vcc_lo, s26, v14
	v_add_nc_u32_e32 v15, 1, v13
	s_delay_alu instid0(VALU_DEP_1)
	v_dual_cndmask_b32 v14, v13, v15 :: v_dual_mov_b32 v15, v12
	s_branch .LBB61_210
.LBB61_215:
	s_or_b32 exec_lo, exec_lo, s34
	s_load_b64 s[20:21], s[2:3], 0x2a8
	s_get_pc_i64 s[0:1]
	s_add_nc_u64 s[0:1], s[0:1], .str.4@rel64+4
	s_mov_b32 s44, s41
	s_cmp_lg_u64 s[0:1], 0
	s_mov_b32 s1, -1
	s_cselect_b32 s49, -1, 0
	s_mov_b32 s0, exec_lo
	v_cmpx_gt_i64_e64 v[4:5], v[6:7]
	s_cbranch_execz .LBB61_222
; %bb.216:
	v_lshlrev_b64_e32 v[8:9], 3, v[8:9]
	s_mov_b32 s17, 0
	s_xor_b32 s22, s49, -1
                                        ; implicit-def: $sgpr1
                                        ; implicit-def: $sgpr24
                                        ; implicit-def: $sgpr23
	s_delay_alu instid0(VALU_DEP_1) | instskip(SKIP_2) | instid1(VALU_DEP_2)
	v_lshl_add_u64 v[6:7], v[6:7], 3, v[8:9]
	s_wait_kmcnt 0x0
	v_add_nc_u64_e32 v[8:9], s[20:21], v[8:9]
	v_add_nc_u64_e32 v[6:7], s[20:21], v[6:7]
	s_delay_alu instid0(VALU_DEP_2) | instskip(NEXT) | instid1(VALU_DEP_2)
	v_lshl_add_u64 v[4:5], v[4:5], 3, v[8:9]
	v_add_nc_u64_e32 v[6:7], 8, v[6:7]
	s_branch .LBB61_218
.LBB61_217:                             ;   in Loop: Header=BB61_218 Depth=1
	s_or_b32 exec_lo, exec_lo, s25
	s_xor_b32 s25, s23, -1
	s_and_b32 s26, exec_lo, s24
	s_delay_alu instid0(SALU_CYCLE_1) | instskip(SKIP_2) | instid1(SALU_CYCLE_1)
	s_or_b32 s17, s26, s17
	s_and_not1_b32 s1, s1, exec_lo
	s_and_b32 s25, s25, exec_lo
	s_or_b32 s1, s1, s25
	s_and_not1_b32 exec_lo, exec_lo, s17
	s_cbranch_execz .LBB61_220
.LBB61_218:                             ; =>This Inner Loop Header: Depth=1
	s_or_b32 s23, s23, exec_lo
	s_or_b32 s24, s24, exec_lo
	s_mov_b32 s25, exec_lo
	s_delay_alu instid0(VALU_DEP_1)
	v_cmpx_lt_u64_e64 v[6:7], v[4:5]
	s_cbranch_execz .LBB61_217
; %bb.219:                              ;   in Loop: Header=BB61_218 Depth=1
	global_load_b128 v[8:11], v[6:7], off offset:-8
	s_wait_xcnt 0x0
	v_add_nc_u64_e32 v[6:7], 8, v[6:7]
	s_and_not1_b32 s24, s24, exec_lo
	s_and_not1_b32 s23, s23, exec_lo
	s_wait_loadcnt 0x0
	v_cmp_ge_i64_e32 vcc_lo, v[8:9], v[10:11]
	s_or_b32 s26, s22, vcc_lo
	s_delay_alu instid0(SALU_CYCLE_1) | instskip(NEXT) | instid1(SALU_CYCLE_1)
	s_and_b32 s26, s26, exec_lo
	s_or_b32 s24, s24, s26
	s_branch .LBB61_217
.LBB61_220:
	s_or_b32 exec_lo, exec_lo, s17
	s_mov_b32 s17, -1
	s_mov_b32 s22, s41
	s_and_saveexec_b32 s23, s1
	s_delay_alu instid0(SALU_CYCLE_1)
	s_xor_b32 s1, exec_lo, s23
	s_cbranch_execnz .LBB61_257
.LBB61_221:
	s_or_b32 exec_lo, exec_lo, s1
	s_delay_alu instid0(SALU_CYCLE_1) | instskip(SKIP_1) | instid1(SALU_CYCLE_1)
	s_and_not1_b32 s1, s41, exec_lo
	s_and_b32 s22, s22, exec_lo
	s_or_b32 s44, s1, s22
	s_or_not1_b32 s1, s17, exec_lo
.LBB61_222:
	s_or_b32 exec_lo, exec_lo, s0
	s_mov_b32 s0, 0
	s_and_saveexec_b32 s45, s1
	s_cbranch_execz .LBB61_304
; %bb.223:
	global_load_b64 v[4:5], v34, s[6:7]
	s_mov_b32 s46, s44
	s_mov_b32 s0, exec_lo
	s_wait_loadcnt 0x0
	v_cmpx_ne_u64_e64 v[4:5], v[2:3]
	s_xor_b32 s0, exec_lo, s0
	s_cbranch_execnz .LBB61_283
; %bb.224:
	s_or_saveexec_b32 s47, s0
	s_mov_b32 s0, 0
	s_xor_b32 exec_lo, exec_lo, s47
	s_cbranch_execz .LBB61_303
.LBB61_225:
	global_load_b64 v[4:5], v33, s[8:9]
	s_mov_b32 s48, s46
	s_mov_b32 s0, exec_lo
	s_wait_loadcnt 0x0
	v_cmpx_ne_u64_e64 v[4:5], v[0:1]
	s_xor_b32 s0, exec_lo, s0
	s_cbranch_execnz .LBB61_289
; %bb.226:
	s_or_saveexec_b32 s51, s0
	s_mov_b32 s0, 0
	s_xor_b32 exec_lo, exec_lo, s51
	s_cbranch_execz .LBB61_302
.LBB61_227:
	global_load_b64 v[6:7], v32, s[10:11]
	global_load_b64 v[4:5], v31, s[12:13]
	s_mov_b32 s52, s48
	s_wait_loadcnt 0x0
	v_sub_nc_u64_e32 v[8:9], v[4:5], v[6:7]
	s_delay_alu instid0(VALU_DEP_1) | instskip(SKIP_4) | instid1(SALU_CYCLE_1)
	v_cmp_gt_i64_e32 vcc_lo, v[2:3], v[8:9]
	v_cmp_lt_i64_e64 s0, s[18:19], v[8:9]
	s_or_b32 s0, vcc_lo, s0
	s_wait_xcnt 0x0
	s_and_saveexec_b32 s1, s0
	s_xor_b32 s0, exec_lo, s1
	s_cbranch_execnz .LBB61_311
; %bb.228:
	s_or_saveexec_b32 s53, s0
	s_mov_b32 s0, 0
	s_xor_b32 exec_lo, exec_lo, s53
	s_cbranch_execz .LBB61_301
.LBB61_229:
	v_mov_b64_e32 v[8:9], 0
	s_and_saveexec_b32 s54, s50
	s_cbranch_execz .LBB61_236
; %bb.230:
	global_load_b64 v[8:9], v30, s[14:15]
	s_load_b128 s[24:27], s[2:3], 0x298
	s_mov_b32 s1, 0
	v_mov_b32_e32 v12, 0
	s_mov_b32 s17, s1
	s_mov_b64 s[22:23], 0xffffffff
	s_lshl_b64 s[28:29], s[16:17], 3
	s_mov_b32 s17, s43
	s_wait_kmcnt 0x0
	s_add_nc_u64 s[24:25], s[24:25], s[28:29]
	s_add_nc_u64 s[26:27], s[26:27], s[28:29]
	s_wait_loadcnt 0x0
	v_mul_u64_e32 v[10:11], v[8:9], v[0:1]
	v_mov_b64_e32 v[8:9], 0
	s_branch .LBB61_232
.LBB61_231:                             ;   in Loop: Header=BB61_232 Depth=1
	s_or_b32 exec_lo, exec_lo, s0
	global_load_b64 v[30:31], v12, s[26:27]
	v_mul_u64_e32 v[32:33], s[28:29], v[14:15]
	s_add_co_i32 s17, s17, -1
	s_add_nc_u64 s[24:25], s[24:25], -8
	s_cmp_eq_u32 s17, 0
	s_wait_xcnt 0x0
	s_add_nc_u64 s[26:27], s[26:27], -8
	s_delay_alu instid0(VALU_DEP_1) | instskip(SKIP_1) | instid1(VALU_DEP_1)
	v_sub_nc_u64_e32 v[10:11], v[10:11], v[32:33]
	s_wait_loadcnt 0x0
	v_mad_nc_u64_u32 v[8:9], v10, v30, v[8:9]
	s_delay_alu instid0(VALU_DEP_1) | instskip(NEXT) | instid1(VALU_DEP_1)
	v_mad_u32 v9, v11, v30, v9
	v_mad_u32 v9, v10, v31, v9
	v_mov_b64_e32 v[10:11], v[14:15]
	s_cbranch_scc1 .LBB61_236
.LBB61_232:                             ; =>This Inner Loop Header: Depth=1
	global_load_b64 v[14:15], v12, s[24:25]
	s_mov_b32 s0, exec_lo
	s_wait_loadcnt 0x0
	v_or_b32_e32 v13, v11, v15
	v_readfirstlane_b32 s28, v14
	v_readfirstlane_b32 s29, v15
                                        ; implicit-def: $vgpr14_vgpr15
	s_wait_xcnt 0x0
	s_delay_alu instid0(VALU_DEP_3)
	v_cmpx_ne_u64_e32 0, v[12:13]
	s_xor_b32 s55, exec_lo, s0
	s_cbranch_execz .LBB61_234
; %bb.233:                              ;   in Loop: Header=BB61_232 Depth=1
	s_ashr_i32 s30, s29, 31
	v_dual_mov_b32 v33, v12 :: v_dual_ashrrev_i32 v14, 31, v11
	s_mov_b32 s31, s30
	v_mov_b32_e32 v37, v12
	s_add_nc_u64 s[34:35], s[28:29], s[30:31]
	s_delay_alu instid0(VALU_DEP_2)
	v_mov_b32_e32 v15, v14
	s_xor_b64 s[34:35], s[34:35], s[30:31]
	v_mov_b32_e32 v41, v12
	s_cvt_f32_u32 s0, s34
	s_cvt_f32_u32 s31, s35
	s_sub_nc_u64 s[58:59], 0, s[34:35]
	v_add_nc_u64_e32 v[30:31], v[10:11], v[14:15]
	s_delay_alu instid0(SALU_CYCLE_1) | instskip(NEXT) | instid1(SALU_CYCLE_3)
	s_fmamk_f32 s0, s31, 0x4f800000, s0
	v_s_rcp_f32 s0, s0
	s_delay_alu instid0(VALU_DEP_1) | instskip(NEXT) | instid1(VALU_DEP_2)
	v_xor_b32_e32 v32, v30, v14
	v_xor_b32_e32 v36, v31, v14
	s_delay_alu instid0(TRANS32_DEP_1) | instskip(NEXT) | instid1(SALU_CYCLE_3)
	s_mul_f32 s0, s0, 0x5f7ffffc
	s_mul_f32 s31, s0, 0x2f800000
	s_delay_alu instid0(SALU_CYCLE_3) | instskip(NEXT) | instid1(SALU_CYCLE_3)
	s_trunc_f32 s31, s31
	s_fmamk_f32 s0, s31, 0xcf800000, s0
	s_cvt_u32_f32 s57, s31
	s_delay_alu instid0(SALU_CYCLE_2) | instskip(NEXT) | instid1(SALU_CYCLE_3)
	s_cvt_u32_f32 s56, s0
	s_mul_u64 s[60:61], s[58:59], s[56:57]
	s_delay_alu instid0(SALU_CYCLE_1)
	s_mul_hi_u32 s63, s56, s61
	s_mul_i32 s62, s56, s61
	s_mul_hi_u32 s0, s56, s60
	s_mul_i32 s64, s57, s60
	s_add_nc_u64 s[62:63], s[0:1], s[62:63]
	s_mul_hi_u32 s31, s57, s60
	s_mul_hi_u32 s65, s57, s61
	s_add_co_u32 s0, s62, s64
	s_add_co_ci_u32 s0, s63, s31
	s_mul_i32 s60, s57, s61
	s_add_co_ci_u32 s61, s65, 0
	s_delay_alu instid0(SALU_CYCLE_1) | instskip(NEXT) | instid1(SALU_CYCLE_1)
	s_add_nc_u64 s[60:61], s[0:1], s[60:61]
	s_add_co_u32 s56, s56, s60
	s_cselect_b32 s0, -1, 0
	s_delay_alu instid0(SALU_CYCLE_1) | instskip(SKIP_1) | instid1(SALU_CYCLE_1)
	s_cmp_lg_u32 s0, 0
	s_add_co_ci_u32 s57, s57, s61
	s_mul_u64 s[58:59], s[58:59], s[56:57]
	s_delay_alu instid0(SALU_CYCLE_1)
	s_mul_hi_u32 s61, s56, s59
	s_mul_i32 s60, s56, s59
	s_mul_hi_u32 s0, s56, s58
	s_mul_i32 s62, s57, s58
	s_add_nc_u64 s[60:61], s[0:1], s[60:61]
	s_mul_hi_u32 s31, s57, s58
	s_mul_hi_u32 s63, s57, s59
	s_add_co_u32 s0, s60, s62
	s_add_co_ci_u32 s0, s61, s31
	s_mul_i32 s58, s57, s59
	s_add_co_ci_u32 s59, s63, 0
	s_delay_alu instid0(SALU_CYCLE_1) | instskip(NEXT) | instid1(SALU_CYCLE_1)
	s_add_nc_u64 s[58:59], s[0:1], s[58:59]
	s_add_co_u32 s56, s56, s58
	s_cselect_b32 s0, -1, 0
	v_mul_hi_u32 v40, v32, s56
	s_cmp_lg_u32 s0, 0
	s_add_co_ci_u32 s0, s57, s59
	s_and_b64 s[58:59], s[56:57], s[22:23]
	v_mul_u64_e32 v[34:35], s[0:1], v[32:33]
	v_mul_u64_e32 v[30:31], s[58:59], v[36:37]
	;; [unrolled: 1-line block ×3, first 2 shown]
	s_delay_alu instid0(VALU_DEP_3) | instskip(NEXT) | instid1(VALU_DEP_1)
	v_add_nc_u64_e32 v[34:35], v[40:41], v[34:35]
	v_add_co_u32 v13, vcc_lo, v34, v30
	s_delay_alu instid0(VALU_DEP_2) | instskip(NEXT) | instid1(VALU_DEP_4)
	v_add_co_ci_u32_e32 v40, vcc_lo, v35, v31, vcc_lo
	v_add_co_ci_u32_e32 v39, vcc_lo, 0, v39, vcc_lo
	s_delay_alu instid0(VALU_DEP_1) | instskip(NEXT) | instid1(VALU_DEP_1)
	v_add_nc_u64_e32 v[30:31], v[40:41], v[38:39]
	v_mul_u64_e32 v[34:35], s[34:35], v[30:31]
	s_delay_alu instid0(VALU_DEP_1) | instskip(NEXT) | instid1(VALU_DEP_2)
	v_sub_nc_u32_e32 v13, v36, v35
	v_sub_co_u32 v15, vcc_lo, v32, v34
	s_delay_alu instid0(VALU_DEP_1) | instskip(NEXT) | instid1(VALU_DEP_3)
	v_sub_co_ci_u32_e64 v36, null, v36, v35, vcc_lo
	v_subrev_co_ci_u32_e64 v13, null, s35, v13, vcc_lo
	s_delay_alu instid0(VALU_DEP_3) | instskip(SKIP_1) | instid1(VALU_DEP_3)
	v_sub_co_u32 v32, s0, v15, s34
	v_add_nc_u64_e32 v[34:35], 1, v[30:31]
	v_subrev_co_ci_u32_e64 v13, null, 0, v13, s0
	s_delay_alu instid0(VALU_DEP_3) | instskip(SKIP_1) | instid1(VALU_DEP_3)
	v_cmp_le_u32_e32 vcc_lo, s34, v32
	v_cndmask_b32_e64 v32, 0, -1, vcc_lo
	v_cmp_le_u32_e32 vcc_lo, s35, v13
	v_cndmask_b32_e64 v33, 0, -1, vcc_lo
	;; [unrolled: 2-line block ×4, first 2 shown]
	v_cmp_eq_u32_e32 vcc_lo, s35, v13
	v_cndmask_b32_e32 v13, v33, v32, vcc_lo
	v_cmp_eq_u32_e32 vcc_lo, s35, v36
	v_add_nc_u64_e32 v[32:33], 2, v[30:31]
	v_cndmask_b32_e32 v15, v37, v15, vcc_lo
	s_delay_alu instid0(VALU_DEP_4) | instskip(NEXT) | instid1(VALU_DEP_3)
	v_cmp_ne_u32_e32 vcc_lo, 0, v13
	v_cndmask_b32_e32 v13, v35, v33, vcc_lo
	s_delay_alu instid0(VALU_DEP_3) | instskip(SKIP_1) | instid1(VALU_DEP_1)
	v_cmp_ne_u32_e64 s0, 0, v15
	v_dual_cndmask_b32 v15, v34, v32, vcc_lo :: v_dual_bitop2_b32 v14, s30, v14 bitop3:0x14
	v_dual_cndmask_b32 v13, v31, v13, s0 :: v_dual_cndmask_b32 v30, v30, v15, s0
	s_delay_alu instid0(VALU_DEP_1) | instskip(NEXT) | instid1(VALU_DEP_2)
	v_dual_mov_b32 v15, v14 :: v_dual_bitop2_b32 v31, v13, v14 bitop3:0x14
	v_xor_b32_e32 v30, v30, v14
	s_delay_alu instid0(VALU_DEP_1)
	v_sub_nc_u64_e32 v[14:15], v[30:31], v[14:15]
.LBB61_234:                             ;   in Loop: Header=BB61_232 Depth=1
	s_and_not1_saveexec_b32 s0, s55
	s_cbranch_execz .LBB61_231
; %bb.235:                              ;   in Loop: Header=BB61_232 Depth=1
	v_cvt_f32_u32_e32 v13, s28
	s_sub_co_i32 s30, 0, s28
	s_delay_alu instid0(VALU_DEP_1) | instskip(SKIP_1) | instid1(TRANS32_DEP_1)
	v_rcp_iflag_f32_e32 v13, v13
	v_nop
	v_mul_f32_e32 v13, 0x4f7ffffe, v13
	s_delay_alu instid0(VALU_DEP_1) | instskip(NEXT) | instid1(VALU_DEP_1)
	v_cvt_u32_f32_e32 v13, v13
	v_mul_lo_u32 v14, s30, v13
	s_delay_alu instid0(VALU_DEP_1) | instskip(NEXT) | instid1(VALU_DEP_1)
	v_mul_hi_u32 v14, v13, v14
	v_add_nc_u32_e32 v13, v13, v14
	s_delay_alu instid0(VALU_DEP_1) | instskip(NEXT) | instid1(VALU_DEP_1)
	v_mul_hi_u32 v13, v10, v13
	v_mul_lo_u32 v14, v13, s28
	s_delay_alu instid0(VALU_DEP_1) | instskip(NEXT) | instid1(VALU_DEP_1)
	v_sub_nc_u32_e32 v14, v10, v14
	v_subrev_nc_u32_e32 v30, s28, v14
	v_cmp_le_u32_e32 vcc_lo, s28, v14
	s_delay_alu instid0(VALU_DEP_2) | instskip(NEXT) | instid1(VALU_DEP_1)
	v_dual_cndmask_b32 v14, v14, v30 :: v_dual_add_nc_u32 v15, 1, v13
	v_cndmask_b32_e32 v13, v13, v15, vcc_lo
	s_delay_alu instid0(VALU_DEP_2) | instskip(NEXT) | instid1(VALU_DEP_2)
	v_cmp_le_u32_e32 vcc_lo, s28, v14
	v_add_nc_u32_e32 v15, 1, v13
	s_delay_alu instid0(VALU_DEP_1)
	v_dual_cndmask_b32 v14, v13, v15 :: v_dual_mov_b32 v15, v12
	s_branch .LBB61_231
.LBB61_236:
	s_or_b32 exec_lo, exec_lo, s54
	s_mov_b32 s1, -1
	s_mov_b32 s54, s52
	s_mov_b32 s0, exec_lo
	v_cmpx_gt_i64_e64 v[4:5], v[6:7]
	s_cbranch_execz .LBB61_243
; %bb.237:
	s_delay_alu instid0(VALU_DEP_2) | instskip(SKIP_2) | instid1(VALU_DEP_1)
	v_lshlrev_b64_e32 v[8:9], 3, v[8:9]
	s_mov_b32 s17, 0
	s_xor_b32 s22, s49, -1
                                        ; implicit-def: $sgpr1
                                        ; implicit-def: $sgpr24
                                        ; implicit-def: $sgpr23
	v_lshl_add_u64 v[6:7], v[6:7], 3, v[8:9]
	s_wait_kmcnt 0x0
	v_add_nc_u64_e32 v[8:9], s[20:21], v[8:9]
	s_delay_alu instid0(VALU_DEP_2) | instskip(NEXT) | instid1(VALU_DEP_2)
	v_add_nc_u64_e32 v[6:7], s[20:21], v[6:7]
	v_lshl_add_u64 v[4:5], v[4:5], 3, v[8:9]
	s_delay_alu instid0(VALU_DEP_2)
	v_add_nc_u64_e32 v[6:7], 8, v[6:7]
	s_branch .LBB61_239
.LBB61_238:                             ;   in Loop: Header=BB61_239 Depth=1
	s_or_b32 exec_lo, exec_lo, s25
	s_xor_b32 s25, s23, -1
	s_and_b32 s26, exec_lo, s24
	s_delay_alu instid0(SALU_CYCLE_1) | instskip(SKIP_2) | instid1(SALU_CYCLE_1)
	s_or_b32 s17, s26, s17
	s_and_not1_b32 s1, s1, exec_lo
	s_and_b32 s25, s25, exec_lo
	s_or_b32 s1, s1, s25
	s_and_not1_b32 exec_lo, exec_lo, s17
	s_cbranch_execz .LBB61_241
.LBB61_239:                             ; =>This Inner Loop Header: Depth=1
	s_or_b32 s23, s23, exec_lo
	s_or_b32 s24, s24, exec_lo
	s_mov_b32 s25, exec_lo
	s_delay_alu instid0(VALU_DEP_1)
	v_cmpx_lt_u64_e64 v[6:7], v[4:5]
	s_cbranch_execz .LBB61_238
; %bb.240:                              ;   in Loop: Header=BB61_239 Depth=1
	global_load_b128 v[8:11], v[6:7], off offset:-8
	s_wait_xcnt 0x0
	v_add_nc_u64_e32 v[6:7], 8, v[6:7]
	s_and_not1_b32 s24, s24, exec_lo
	s_and_not1_b32 s23, s23, exec_lo
	s_wait_loadcnt 0x0
	v_cmp_ge_i64_e32 vcc_lo, v[8:9], v[10:11]
	s_or_b32 s26, s22, vcc_lo
	s_delay_alu instid0(SALU_CYCLE_1) | instskip(NEXT) | instid1(SALU_CYCLE_1)
	s_and_b32 s26, s26, exec_lo
	s_or_b32 s24, s24, s26
	s_branch .LBB61_238
.LBB61_241:
	s_or_b32 exec_lo, exec_lo, s17
	s_mov_b32 s17, -1
	s_mov_b32 s22, s52
	s_and_saveexec_b32 s23, s1
	s_delay_alu instid0(SALU_CYCLE_1)
	s_xor_b32 s1, exec_lo, s23
	s_cbranch_execnz .LBB61_281
.LBB61_242:
	s_or_b32 exec_lo, exec_lo, s1
	s_delay_alu instid0(SALU_CYCLE_1) | instskip(SKIP_1) | instid1(SALU_CYCLE_1)
	s_and_not1_b32 s1, s52, exec_lo
	s_and_b32 s22, s22, exec_lo
	s_or_b32 s54, s1, s22
	s_or_not1_b32 s1, s17, exec_lo
.LBB61_243:
	s_or_b32 exec_lo, exec_lo, s0
	s_mov_b32 s0, 0
	s_and_saveexec_b32 s55, s1
	s_cbranch_execz .LBB61_300
; %bb.244:
	global_load_b64 v[4:5], v29, s[6:7]
	s_mov_b32 s56, s54
	s_mov_b32 s0, exec_lo
	s_wait_loadcnt 0x0
	v_cmpx_ne_u64_e64 v[4:5], v[2:3]
	s_xor_b32 s0, exec_lo, s0
	s_cbranch_execnz .LBB61_312
; %bb.245:
	s_or_saveexec_b32 s57, s0
	s_mov_b32 s0, 0
	s_xor_b32 exec_lo, exec_lo, s57
	s_cbranch_execz .LBB61_299
.LBB61_246:
	global_load_b64 v[4:5], v28, s[8:9]
	s_mov_b32 s58, s56
	s_mov_b32 s0, exec_lo
	s_wait_loadcnt 0x0
	v_cmpx_ne_u64_e64 v[4:5], v[0:1]
	s_xor_b32 s0, exec_lo, s0
	s_cbranch_execnz .LBB61_313
; %bb.247:
	s_or_saveexec_b32 s59, s0
	s_mov_b32 s0, 0
	s_xor_b32 exec_lo, exec_lo, s59
	s_cbranch_execz .LBB61_298
.LBB61_248:
	global_load_b64 v[6:7], v27, s[10:11]
	global_load_b64 v[4:5], v26, s[12:13]
	s_mov_b32 s60, s58
	s_wait_loadcnt 0x0
	v_sub_nc_u64_e32 v[8:9], v[4:5], v[6:7]
	s_delay_alu instid0(VALU_DEP_1) | instskip(SKIP_4) | instid1(SALU_CYCLE_1)
	v_cmp_gt_i64_e32 vcc_lo, v[2:3], v[8:9]
	v_cmp_lt_i64_e64 s0, s[18:19], v[8:9]
	s_or_b32 s0, vcc_lo, s0
	s_wait_xcnt 0x0
	s_and_saveexec_b32 s1, s0
	s_xor_b32 s0, exec_lo, s1
	s_cbranch_execnz .LBB61_315
; %bb.249:
	s_or_saveexec_b32 s61, s0
	s_mov_b32 s0, 0
	s_xor_b32 exec_lo, exec_lo, s61
	s_cbranch_execz .LBB61_297
.LBB61_250:
	v_mov_b64_e32 v[8:9], 0
	s_and_saveexec_b32 s62, s50
	s_cbranch_execz .LBB61_259
; %bb.251:
	global_load_b64 v[8:9], v25, s[14:15]
	s_load_b128 s[24:27], s[2:3], 0x298
	s_mov_b32 s1, 0
	v_mov_b32_e32 v12, 0
	s_mov_b32 s17, s1
	s_mov_b64 s[22:23], 0xffffffff
	s_lshl_b64 s[28:29], s[16:17], 3
	s_mov_b32 s17, s43
	s_wait_kmcnt 0x0
	s_add_nc_u64 s[24:25], s[24:25], s[28:29]
	s_add_nc_u64 s[26:27], s[26:27], s[28:29]
	s_wait_loadcnt 0x0
	v_mul_u64_e32 v[10:11], v[8:9], v[0:1]
	v_mov_b64_e32 v[8:9], 0
	s_branch .LBB61_253
.LBB61_252:                             ;   in Loop: Header=BB61_253 Depth=1
	s_or_b32 exec_lo, exec_lo, s0
	global_load_b64 v[26:27], v12, s[26:27]
	v_mul_u64_e32 v[28:29], s[28:29], v[14:15]
	s_add_co_i32 s17, s17, -1
	s_add_nc_u64 s[24:25], s[24:25], -8
	s_cmp_eq_u32 s17, 0
	s_wait_xcnt 0x0
	s_add_nc_u64 s[26:27], s[26:27], -8
	s_delay_alu instid0(VALU_DEP_1) | instskip(SKIP_1) | instid1(VALU_DEP_1)
	v_sub_nc_u64_e32 v[10:11], v[10:11], v[28:29]
	s_wait_loadcnt 0x0
	v_mad_nc_u64_u32 v[8:9], v10, v26, v[8:9]
	s_delay_alu instid0(VALU_DEP_1) | instskip(NEXT) | instid1(VALU_DEP_1)
	v_mad_u32 v9, v11, v26, v9
	v_mad_u32 v9, v10, v27, v9
	v_mov_b64_e32 v[10:11], v[14:15]
	s_cbranch_scc1 .LBB61_259
.LBB61_253:                             ; =>This Inner Loop Header: Depth=1
	global_load_b64 v[14:15], v12, s[24:25]
	s_mov_b32 s0, exec_lo
	s_wait_loadcnt 0x0
	v_or_b32_e32 v13, v11, v15
	v_readfirstlane_b32 s28, v14
	v_readfirstlane_b32 s29, v15
                                        ; implicit-def: $vgpr14_vgpr15
	s_wait_xcnt 0x0
	s_delay_alu instid0(VALU_DEP_3)
	v_cmpx_ne_u64_e32 0, v[12:13]
	s_xor_b32 s63, exec_lo, s0
	s_cbranch_execz .LBB61_255
; %bb.254:                              ;   in Loop: Header=BB61_253 Depth=1
	s_ashr_i32 s30, s29, 31
	v_dual_mov_b32 v29, v12 :: v_dual_ashrrev_i32 v14, 31, v11
	s_mov_b32 s31, s30
	v_mov_b32_e32 v33, v12
	s_add_nc_u64 s[34:35], s[28:29], s[30:31]
	s_delay_alu instid0(VALU_DEP_2)
	v_mov_b32_e32 v15, v14
	s_xor_b64 s[34:35], s[34:35], s[30:31]
	v_mov_b32_e32 v37, v12
	s_cvt_f32_u32 s0, s34
	s_cvt_f32_u32 s31, s35
	s_sub_nc_u64 s[66:67], 0, s[34:35]
	v_add_nc_u64_e32 v[26:27], v[10:11], v[14:15]
	s_delay_alu instid0(SALU_CYCLE_1) | instskip(NEXT) | instid1(SALU_CYCLE_3)
	s_fmamk_f32 s0, s31, 0x4f800000, s0
	v_s_rcp_f32 s0, s0
	s_delay_alu instid0(VALU_DEP_1) | instskip(NEXT) | instid1(VALU_DEP_2)
	v_xor_b32_e32 v28, v26, v14
	v_xor_b32_e32 v32, v27, v14
	s_delay_alu instid0(TRANS32_DEP_1) | instskip(NEXT) | instid1(SALU_CYCLE_3)
	s_mul_f32 s0, s0, 0x5f7ffffc
	s_mul_f32 s31, s0, 0x2f800000
	s_delay_alu instid0(SALU_CYCLE_3) | instskip(NEXT) | instid1(SALU_CYCLE_3)
	s_trunc_f32 s31, s31
	s_fmamk_f32 s0, s31, 0xcf800000, s0
	s_cvt_u32_f32 s65, s31
	s_delay_alu instid0(SALU_CYCLE_2) | instskip(NEXT) | instid1(SALU_CYCLE_3)
	s_cvt_u32_f32 s64, s0
	s_mul_u64 s[68:69], s[66:67], s[64:65]
	s_delay_alu instid0(SALU_CYCLE_1)
	s_mul_hi_u32 s71, s64, s69
	s_mul_i32 s70, s64, s69
	s_mul_hi_u32 s0, s64, s68
	s_mul_i32 s72, s65, s68
	s_add_nc_u64 s[70:71], s[0:1], s[70:71]
	s_mul_hi_u32 s31, s65, s68
	s_mul_hi_u32 s73, s65, s69
	s_add_co_u32 s0, s70, s72
	s_add_co_ci_u32 s0, s71, s31
	s_mul_i32 s68, s65, s69
	s_add_co_ci_u32 s69, s73, 0
	s_delay_alu instid0(SALU_CYCLE_1) | instskip(NEXT) | instid1(SALU_CYCLE_1)
	s_add_nc_u64 s[68:69], s[0:1], s[68:69]
	s_add_co_u32 s64, s64, s68
	s_cselect_b32 s0, -1, 0
	s_delay_alu instid0(SALU_CYCLE_1) | instskip(SKIP_1) | instid1(SALU_CYCLE_1)
	s_cmp_lg_u32 s0, 0
	s_add_co_ci_u32 s65, s65, s69
	s_mul_u64 s[66:67], s[66:67], s[64:65]
	s_delay_alu instid0(SALU_CYCLE_1)
	s_mul_hi_u32 s69, s64, s67
	s_mul_i32 s68, s64, s67
	s_mul_hi_u32 s0, s64, s66
	s_mul_i32 s70, s65, s66
	s_add_nc_u64 s[68:69], s[0:1], s[68:69]
	s_mul_hi_u32 s31, s65, s66
	s_mul_hi_u32 s71, s65, s67
	s_add_co_u32 s0, s68, s70
	s_add_co_ci_u32 s0, s69, s31
	s_mul_i32 s66, s65, s67
	s_add_co_ci_u32 s67, s71, 0
	s_delay_alu instid0(SALU_CYCLE_1) | instskip(NEXT) | instid1(SALU_CYCLE_1)
	s_add_nc_u64 s[66:67], s[0:1], s[66:67]
	s_add_co_u32 s64, s64, s66
	s_cselect_b32 s0, -1, 0
	v_mul_hi_u32 v36, v28, s64
	s_cmp_lg_u32 s0, 0
	s_add_co_ci_u32 s0, s65, s67
	s_and_b64 s[66:67], s[64:65], s[22:23]
	v_mul_u64_e32 v[30:31], s[0:1], v[28:29]
	v_mul_u64_e32 v[26:27], s[66:67], v[32:33]
	v_mul_u64_e32 v[34:35], s[0:1], v[32:33]
	s_delay_alu instid0(VALU_DEP_3) | instskip(NEXT) | instid1(VALU_DEP_1)
	v_add_nc_u64_e32 v[30:31], v[36:37], v[30:31]
	v_add_co_u32 v13, vcc_lo, v30, v26
	s_delay_alu instid0(VALU_DEP_2) | instskip(NEXT) | instid1(VALU_DEP_4)
	v_add_co_ci_u32_e32 v36, vcc_lo, v31, v27, vcc_lo
	v_add_co_ci_u32_e32 v35, vcc_lo, 0, v35, vcc_lo
	s_delay_alu instid0(VALU_DEP_1) | instskip(NEXT) | instid1(VALU_DEP_1)
	v_add_nc_u64_e32 v[26:27], v[36:37], v[34:35]
	v_mul_u64_e32 v[30:31], s[34:35], v[26:27]
	s_delay_alu instid0(VALU_DEP_1) | instskip(NEXT) | instid1(VALU_DEP_2)
	v_sub_nc_u32_e32 v13, v32, v31
	v_sub_co_u32 v15, vcc_lo, v28, v30
	s_delay_alu instid0(VALU_DEP_1) | instskip(NEXT) | instid1(VALU_DEP_3)
	v_sub_co_ci_u32_e64 v32, null, v32, v31, vcc_lo
	v_subrev_co_ci_u32_e64 v13, null, s35, v13, vcc_lo
	s_delay_alu instid0(VALU_DEP_3) | instskip(SKIP_1) | instid1(VALU_DEP_3)
	v_sub_co_u32 v25, s0, v15, s34
	v_add_nc_u64_e32 v[30:31], 1, v[26:27]
	v_subrev_co_ci_u32_e64 v13, null, 0, v13, s0
	s_delay_alu instid0(VALU_DEP_3) | instskip(SKIP_1) | instid1(VALU_DEP_3)
	v_cmp_le_u32_e32 vcc_lo, s34, v25
	v_cndmask_b32_e64 v25, 0, -1, vcc_lo
	v_cmp_le_u32_e32 vcc_lo, s35, v13
	v_cndmask_b32_e64 v28, 0, -1, vcc_lo
	;; [unrolled: 2-line block ×4, first 2 shown]
	v_cmp_eq_u32_e32 vcc_lo, s35, v13
	v_cndmask_b32_e32 v13, v28, v25, vcc_lo
	v_cmp_eq_u32_e32 vcc_lo, s35, v32
	v_add_nc_u64_e32 v[28:29], 2, v[26:27]
	v_cndmask_b32_e32 v15, v33, v15, vcc_lo
	s_delay_alu instid0(VALU_DEP_4) | instskip(NEXT) | instid1(VALU_DEP_3)
	v_cmp_ne_u32_e32 vcc_lo, 0, v13
	v_cndmask_b32_e32 v13, v31, v29, vcc_lo
	s_delay_alu instid0(VALU_DEP_3) | instskip(SKIP_1) | instid1(VALU_DEP_1)
	v_cmp_ne_u32_e64 s0, 0, v15
	v_dual_cndmask_b32 v15, v30, v28, vcc_lo :: v_dual_bitop2_b32 v14, s30, v14 bitop3:0x14
	v_dual_cndmask_b32 v13, v27, v13, s0 :: v_dual_cndmask_b32 v25, v26, v15, s0
	s_delay_alu instid0(VALU_DEP_1) | instskip(NEXT) | instid1(VALU_DEP_2)
	v_dual_mov_b32 v15, v14 :: v_dual_bitop2_b32 v27, v13, v14 bitop3:0x14
	v_xor_b32_e32 v26, v25, v14
	s_delay_alu instid0(VALU_DEP_1)
	v_sub_nc_u64_e32 v[14:15], v[26:27], v[14:15]
.LBB61_255:                             ;   in Loop: Header=BB61_253 Depth=1
	s_and_not1_saveexec_b32 s0, s63
	s_cbranch_execz .LBB61_252
; %bb.256:                              ;   in Loop: Header=BB61_253 Depth=1
	v_cvt_f32_u32_e32 v13, s28
	s_sub_co_i32 s30, 0, s28
	s_delay_alu instid0(VALU_DEP_1) | instskip(SKIP_1) | instid1(TRANS32_DEP_1)
	v_rcp_iflag_f32_e32 v13, v13
	v_nop
	v_mul_f32_e32 v13, 0x4f7ffffe, v13
	s_delay_alu instid0(VALU_DEP_1) | instskip(NEXT) | instid1(VALU_DEP_1)
	v_cvt_u32_f32_e32 v13, v13
	v_mul_lo_u32 v14, s30, v13
	s_delay_alu instid0(VALU_DEP_1) | instskip(NEXT) | instid1(VALU_DEP_1)
	v_mul_hi_u32 v14, v13, v14
	v_add_nc_u32_e32 v13, v13, v14
	s_delay_alu instid0(VALU_DEP_1) | instskip(NEXT) | instid1(VALU_DEP_1)
	v_mul_hi_u32 v13, v10, v13
	v_mul_lo_u32 v14, v13, s28
	s_delay_alu instid0(VALU_DEP_1) | instskip(NEXT) | instid1(VALU_DEP_1)
	v_dual_add_nc_u32 v15, 1, v13 :: v_dual_sub_nc_u32 v14, v10, v14
	v_subrev_nc_u32_e32 v25, s28, v14
	v_cmp_le_u32_e32 vcc_lo, s28, v14
	s_delay_alu instid0(VALU_DEP_2) | instskip(NEXT) | instid1(VALU_DEP_1)
	v_dual_cndmask_b32 v14, v14, v25 :: v_dual_cndmask_b32 v13, v13, v15
	v_cmp_le_u32_e32 vcc_lo, s28, v14
	s_delay_alu instid0(VALU_DEP_2) | instskip(NEXT) | instid1(VALU_DEP_1)
	v_add_nc_u32_e32 v15, 1, v13
	v_dual_cndmask_b32 v14, v13, v15 :: v_dual_mov_b32 v15, v12
	s_branch .LBB61_252
.LBB61_257:
	s_or_b32 s22, s41, exec_lo
	s_xor_b32 s17, exec_lo, -1
	s_trap 2
	s_branch .LBB61_221
.LBB61_258:
	s_or_b32 s33, s36, exec_lo
	s_trap 2
                                        ; implicit-def: $vgpr8
                                        ; implicit-def: $vgpr10
                                        ; implicit-def: $vgpr1
                                        ; implicit-def: $vgpr9
                                        ; implicit-def: $vgpr31
                                        ; implicit-def: $vgpr30
                                        ; implicit-def: $vgpr33
                                        ; implicit-def: $vgpr32
                                        ; implicit-def: $vgpr34
                                        ; implicit-def: $vgpr26
                                        ; implicit-def: $vgpr25
                                        ; implicit-def: $vgpr28
                                        ; implicit-def: $vgpr27
                                        ; implicit-def: $vgpr29
                                        ; implicit-def: $vgpr21
                                        ; implicit-def: $vgpr20
                                        ; implicit-def: $vgpr23
                                        ; implicit-def: $vgpr22
                                        ; implicit-def: $vgpr24
                                        ; implicit-def: $vgpr2_vgpr3
	s_or_saveexec_b32 s38, s0
	s_mov_b32 s0, 0
	s_xor_b32 exec_lo, exec_lo, s38
	s_cbranch_execnz .LBB61_204
	s_branch .LBB61_307
.LBB61_259:
	s_or_b32 exec_lo, exec_lo, s62
	s_mov_b32 s17, -1
	s_mov_b32 s1, s60
	s_mov_b32 s0, exec_lo
	v_cmpx_gt_i64_e64 v[4:5], v[6:7]
	s_cbranch_execz .LBB61_267
; %bb.260:
	s_delay_alu instid0(VALU_DEP_2) | instskip(SKIP_2) | instid1(VALU_DEP_1)
	v_lshlrev_b64_e32 v[8:9], 3, v[8:9]
	s_mov_b32 s17, 0
	s_xor_b32 s22, s49, -1
                                        ; implicit-def: $sgpr1
                                        ; implicit-def: $sgpr24
                                        ; implicit-def: $sgpr23
	v_lshl_add_u64 v[6:7], v[6:7], 3, v[8:9]
	s_wait_kmcnt 0x0
	v_add_nc_u64_e32 v[8:9], s[20:21], v[8:9]
	s_delay_alu instid0(VALU_DEP_2) | instskip(NEXT) | instid1(VALU_DEP_2)
	v_add_nc_u64_e32 v[6:7], s[20:21], v[6:7]
	v_lshl_add_u64 v[4:5], v[4:5], 3, v[8:9]
	s_delay_alu instid0(VALU_DEP_2)
	v_add_nc_u64_e32 v[6:7], 8, v[6:7]
	s_branch .LBB61_262
.LBB61_261:                             ;   in Loop: Header=BB61_262 Depth=1
	s_or_b32 exec_lo, exec_lo, s25
	s_xor_b32 s25, s23, -1
	s_and_b32 s26, exec_lo, s24
	s_delay_alu instid0(SALU_CYCLE_1) | instskip(SKIP_2) | instid1(SALU_CYCLE_1)
	s_or_b32 s17, s26, s17
	s_and_not1_b32 s1, s1, exec_lo
	s_and_b32 s25, s25, exec_lo
	s_or_b32 s1, s1, s25
	s_and_not1_b32 exec_lo, exec_lo, s17
	s_cbranch_execz .LBB61_265
.LBB61_262:                             ; =>This Inner Loop Header: Depth=1
	s_or_b32 s23, s23, exec_lo
	s_or_b32 s24, s24, exec_lo
	s_mov_b32 s25, exec_lo
	s_delay_alu instid0(VALU_DEP_1)
	v_cmpx_lt_u64_e64 v[6:7], v[4:5]
	s_cbranch_execz .LBB61_261
; %bb.263:                              ;   in Loop: Header=BB61_262 Depth=1
	global_load_b128 v[8:11], v[6:7], off offset:-8
	s_wait_xcnt 0x0
	v_add_nc_u64_e32 v[6:7], 8, v[6:7]
	s_and_not1_b32 s24, s24, exec_lo
	s_and_not1_b32 s23, s23, exec_lo
	s_wait_loadcnt 0x0
	v_cmp_ge_i64_e32 vcc_lo, v[8:9], v[10:11]
	s_or_b32 s26, s22, vcc_lo
	s_delay_alu instid0(SALU_CYCLE_1) | instskip(NEXT) | instid1(SALU_CYCLE_1)
	s_and_b32 s26, s26, exec_lo
	s_or_b32 s24, s24, s26
	s_branch .LBB61_261
.LBB61_264:
	s_or_b32 s39, s33, exec_lo
	s_trap 2
                                        ; implicit-def: $vgpr0_vgpr1
                                        ; implicit-def: $vgpr8
                                        ; implicit-def: $vgpr10
                                        ; implicit-def: $vgpr9
                                        ; implicit-def: $vgpr31
                                        ; implicit-def: $vgpr30
                                        ; implicit-def: $vgpr33
                                        ; implicit-def: $vgpr32
                                        ; implicit-def: $vgpr34
                                        ; implicit-def: $vgpr26
                                        ; implicit-def: $vgpr25
                                        ; implicit-def: $vgpr28
                                        ; implicit-def: $vgpr27
                                        ; implicit-def: $vgpr29
                                        ; implicit-def: $vgpr21
                                        ; implicit-def: $vgpr20
                                        ; implicit-def: $vgpr23
                                        ; implicit-def: $vgpr22
                                        ; implicit-def: $vgpr24
                                        ; implicit-def: $vgpr2_vgpr3
	s_or_saveexec_b32 s40, s0
	s_mov_b32 s0, 0
	s_xor_b32 exec_lo, exec_lo, s40
	s_cbranch_execnz .LBB61_206
	s_branch .LBB61_306
.LBB61_265:
	s_or_b32 exec_lo, exec_lo, s17
	s_mov_b32 s17, -1
	s_mov_b32 s22, s60
	s_and_saveexec_b32 s23, s1
	s_delay_alu instid0(SALU_CYCLE_1)
	s_xor_b32 s1, exec_lo, s23
	s_cbranch_execnz .LBB61_310
.LBB61_266:
	s_or_b32 exec_lo, exec_lo, s1
	s_delay_alu instid0(SALU_CYCLE_1)
	s_and_not1_b32 s1, s60, exec_lo
	s_and_b32 s22, s22, exec_lo
	s_or_not1_b32 s17, s17, exec_lo
	s_or_b32 s1, s1, s22
.LBB61_267:
	s_or_b32 exec_lo, exec_lo, s0
	s_mov_b32 s0, 0
	s_and_saveexec_b32 s22, s17
	s_cbranch_execz .LBB61_296
; %bb.268:
	global_load_b64 v[4:5], v24, s[6:7]
	s_mov_b32 s23, s1
	s_mov_b32 s0, exec_lo
	s_wait_loadcnt 0x0
	v_cmpx_ne_u64_e64 v[4:5], v[2:3]
	s_xor_b32 s0, exec_lo, s0
	s_cbranch_execnz .LBB61_316
; %bb.269:
	s_or_saveexec_b32 s24, s0
	s_mov_b32 s0, 0
	s_xor_b32 exec_lo, exec_lo, s24
	s_cbranch_execz .LBB61_295
.LBB61_270:
	global_load_b64 v[4:5], v23, s[8:9]
	s_mov_b32 s25, s23
	s_mov_b32 s0, exec_lo
	s_wait_loadcnt 0x0
	v_cmpx_ne_u64_e64 v[4:5], v[0:1]
	s_xor_b32 s0, exec_lo, s0
	s_cbranch_execnz .LBB61_317
; %bb.271:
	s_or_saveexec_b32 s26, s0
	s_mov_b32 s0, 0
	s_xor_b32 exec_lo, exec_lo, s26
	s_cbranch_execz .LBB61_294
.LBB61_272:
	global_load_b64 v[6:7], v22, s[10:11]
	global_load_b64 v[4:5], v21, s[12:13]
	s_wait_loadcnt 0x0
	v_sub_nc_u64_e32 v[8:9], v[4:5], v[6:7]
	s_delay_alu instid0(VALU_DEP_1)
	v_cmp_gt_i64_e32 vcc_lo, v[2:3], v[8:9]
	v_cmp_lt_i64_e64 s0, s[18:19], v[8:9]
	s_mov_b32 s18, s25
	s_or_b32 s0, vcc_lo, s0
	s_wait_xcnt 0x0
	s_and_saveexec_b32 s6, s0
	s_delay_alu instid0(SALU_CYCLE_1)
	s_xor_b32 s0, exec_lo, s6
	s_cbranch_execnz .LBB61_318
; %bb.273:
	s_or_saveexec_b32 s19, s0
	s_mov_b32 s0, 0
	s_xor_b32 exec_lo, exec_lo, s19
	s_cbranch_execz .LBB61_293
.LBB61_274:
	v_mov_b64_e32 v[2:3], 0
	s_and_saveexec_b32 s27, s50
	s_cbranch_execz .LBB61_284
; %bb.275:
	global_load_b64 v[2:3], v20, s[14:15]
	s_load_b128 s[8:11], s[2:3], 0x298
	s_mov_b32 s17, 0
	v_mov_b32_e32 v8, 0
	s_lshl_b64 s[12:13], s[16:17], 3
	s_wait_xcnt 0x0
	s_mov_b64 s[2:3], 0xffffffff
	s_wait_kmcnt 0x0
	s_add_nc_u64 s[6:7], s[8:9], s[12:13]
	s_add_nc_u64 s[8:9], s[10:11], s[12:13]
	s_wait_loadcnt 0x0
	v_mul_u64_e32 v[0:1], v[2:3], v[0:1]
	v_mov_b64_e32 v[2:3], 0
	s_branch .LBB61_277
.LBB61_276:                             ;   in Loop: Header=BB61_277 Depth=1
	s_or_b32 exec_lo, exec_lo, s0
	global_load_b64 v[12:13], v8, s[8:9]
	v_mul_u64_e32 v[14:15], s[10:11], v[10:11]
	s_add_co_i32 s43, s43, -1
	s_add_nc_u64 s[6:7], s[6:7], -8
	s_cmp_eq_u32 s43, 0
	s_wait_xcnt 0x0
	s_add_nc_u64 s[8:9], s[8:9], -8
	s_delay_alu instid0(VALU_DEP_1) | instskip(SKIP_1) | instid1(VALU_DEP_1)
	v_sub_nc_u64_e32 v[0:1], v[0:1], v[14:15]
	s_wait_loadcnt 0x0
	v_mad_nc_u64_u32 v[2:3], v0, v12, v[2:3]
	s_delay_alu instid0(VALU_DEP_1) | instskip(NEXT) | instid1(VALU_DEP_1)
	v_mad_u32 v1, v1, v12, v3
	v_mad_u32 v3, v0, v13, v1
	v_mov_b64_e32 v[0:1], v[10:11]
	s_cbranch_scc1 .LBB61_284
.LBB61_277:                             ; =>This Inner Loop Header: Depth=1
	global_load_b64 v[10:11], v8, s[6:7]
	s_mov_b32 s0, exec_lo
	s_wait_loadcnt 0x0
	v_or_b32_e32 v9, v1, v11
	v_readfirstlane_b32 s10, v10
	v_readfirstlane_b32 s11, v11
                                        ; implicit-def: $vgpr10_vgpr11
	s_wait_xcnt 0x0
	s_delay_alu instid0(VALU_DEP_3)
	v_cmpx_ne_u64_e32 0, v[8:9]
	s_xor_b32 s28, exec_lo, s0
	s_cbranch_execz .LBB61_279
; %bb.278:                              ;   in Loop: Header=BB61_277 Depth=1
	s_ashr_i32 s12, s11, 31
	v_dual_mov_b32 v15, v8 :: v_dual_ashrrev_i32 v10, 31, v1
	s_mov_b32 s13, s12
	s_delay_alu instid0(SALU_CYCLE_1) | instskip(NEXT) | instid1(VALU_DEP_1)
	s_add_nc_u64 s[14:15], s[10:11], s[12:13]
	v_mov_b32_e32 v11, v10
	s_xor_b64 s[14:15], s[14:15], s[12:13]
	s_delay_alu instid0(SALU_CYCLE_1)
	s_cvt_f32_u32 s0, s14
	s_cvt_f32_u32 s13, s15
	s_sub_nc_u64 s[34:35], 0, s[14:15]
	v_add_nc_u64_e32 v[12:13], v[0:1], v[10:11]
	v_mov_b32_e32 v23, v8
	s_fmamk_f32 s0, s13, 0x4f800000, s0
	s_delay_alu instid0(SALU_CYCLE_3) | instskip(NEXT) | instid1(VALU_DEP_2)
	v_s_rcp_f32 s0, s0
	v_xor_b32_e32 v14, v12, v10
	s_delay_alu instid0(VALU_DEP_3) | instskip(SKIP_1) | instid1(TRANS32_DEP_1)
	v_dual_mov_b32 v27, v8 :: v_dual_bitop2_b32 v22, v13, v10 bitop3:0x14
	v_xor_b32_e32 v10, s12, v10
	s_mul_f32 s0, s0, 0x5f7ffffc
	s_delay_alu instid0(SALU_CYCLE_3) | instskip(NEXT) | instid1(SALU_CYCLE_3)
	s_mul_f32 s13, s0, 0x2f800000
	s_trunc_f32 s13, s13
	s_delay_alu instid0(SALU_CYCLE_3) | instskip(SKIP_1) | instid1(SALU_CYCLE_2)
	s_fmamk_f32 s0, s13, 0xcf800000, s0
	s_cvt_u32_f32 s31, s13
	s_cvt_u32_f32 s30, s0
	s_delay_alu instid0(SALU_CYCLE_3) | instskip(NEXT) | instid1(SALU_CYCLE_1)
	s_mul_u64 s[62:63], s[34:35], s[30:31]
	s_mul_hi_u32 s65, s30, s63
	s_mul_i32 s64, s30, s63
	s_mul_hi_u32 s16, s30, s62
	s_mul_i32 s13, s31, s62
	s_add_nc_u64 s[64:65], s[16:17], s[64:65]
	s_mul_hi_u32 s0, s31, s62
	s_mul_hi_u32 s29, s31, s63
	s_add_co_u32 s13, s64, s13
	s_add_co_ci_u32 s16, s65, s0
	s_mul_i32 s62, s31, s63
	s_add_co_ci_u32 s63, s29, 0
	s_delay_alu instid0(SALU_CYCLE_1) | instskip(NEXT) | instid1(SALU_CYCLE_1)
	s_add_nc_u64 s[62:63], s[16:17], s[62:63]
	s_add_co_u32 s30, s30, s62
	s_cselect_b32 s0, -1, 0
	s_delay_alu instid0(SALU_CYCLE_1) | instskip(SKIP_1) | instid1(SALU_CYCLE_1)
	s_cmp_lg_u32 s0, 0
	s_add_co_ci_u32 s31, s31, s63
	s_mul_u64 s[34:35], s[34:35], s[30:31]
	s_delay_alu instid0(SALU_CYCLE_1)
	s_mul_hi_u32 s63, s30, s35
	s_mul_i32 s62, s30, s35
	s_mul_hi_u32 s16, s30, s34
	s_mul_i32 s13, s31, s34
	s_add_nc_u64 s[62:63], s[16:17], s[62:63]
	s_mul_hi_u32 s0, s31, s34
	s_mul_hi_u32 s29, s31, s35
	s_add_co_u32 s13, s62, s13
	s_add_co_ci_u32 s16, s63, s0
	s_mul_i32 s34, s31, s35
	s_add_co_ci_u32 s35, s29, 0
	s_delay_alu instid0(SALU_CYCLE_1) | instskip(NEXT) | instid1(SALU_CYCLE_1)
	s_add_nc_u64 s[34:35], s[16:17], s[34:35]
	s_add_co_u32 s0, s30, s34
	s_cselect_b32 s13, -1, 0
	v_mul_hi_u32 v26, v14, s0
	s_cmp_lg_u32 s13, 0
	s_add_co_ci_u32 s16, s31, s35
	s_and_b64 s[30:31], s[0:1], s[2:3]
	v_mul_u64_e32 v[20:21], s[16:17], v[14:15]
	v_mul_u64_e32 v[12:13], s[30:31], v[22:23]
	;; [unrolled: 1-line block ×3, first 2 shown]
	s_delay_alu instid0(VALU_DEP_3) | instskip(NEXT) | instid1(VALU_DEP_1)
	v_add_nc_u64_e32 v[20:21], v[26:27], v[20:21]
	v_add_co_u32 v9, vcc_lo, v20, v12
	s_delay_alu instid0(VALU_DEP_2) | instskip(NEXT) | instid1(VALU_DEP_4)
	v_add_co_ci_u32_e32 v26, vcc_lo, v21, v13, vcc_lo
	v_add_co_ci_u32_e32 v25, vcc_lo, 0, v25, vcc_lo
	s_delay_alu instid0(VALU_DEP_1) | instskip(NEXT) | instid1(VALU_DEP_1)
	v_add_nc_u64_e32 v[12:13], v[26:27], v[24:25]
	v_mul_u64_e32 v[20:21], s[14:15], v[12:13]
	s_delay_alu instid0(VALU_DEP_1) | instskip(NEXT) | instid1(VALU_DEP_2)
	v_sub_nc_u32_e32 v9, v22, v21
	v_sub_co_u32 v11, vcc_lo, v14, v20
	s_delay_alu instid0(VALU_DEP_1) | instskip(NEXT) | instid1(VALU_DEP_3)
	v_sub_co_ci_u32_e64 v22, null, v22, v21, vcc_lo
	v_subrev_co_ci_u32_e64 v9, null, s15, v9, vcc_lo
	s_delay_alu instid0(VALU_DEP_3) | instskip(SKIP_1) | instid1(VALU_DEP_3)
	v_sub_co_u32 v14, s0, v11, s14
	v_add_nc_u64_e32 v[20:21], 1, v[12:13]
	v_subrev_co_ci_u32_e64 v9, null, 0, v9, s0
	s_delay_alu instid0(VALU_DEP_3) | instskip(SKIP_1) | instid1(VALU_DEP_3)
	v_cmp_le_u32_e32 vcc_lo, s14, v14
	v_cndmask_b32_e64 v14, 0, -1, vcc_lo
	v_cmp_le_u32_e32 vcc_lo, s15, v9
	v_cndmask_b32_e64 v15, 0, -1, vcc_lo
	;; [unrolled: 2-line block ×4, first 2 shown]
	v_cmp_eq_u32_e32 vcc_lo, s15, v9
	v_cndmask_b32_e32 v9, v15, v14, vcc_lo
	v_cmp_eq_u32_e32 vcc_lo, s15, v22
	v_add_nc_u64_e32 v[14:15], 2, v[12:13]
	v_cndmask_b32_e32 v11, v23, v11, vcc_lo
	s_delay_alu instid0(VALU_DEP_4) | instskip(NEXT) | instid1(VALU_DEP_2)
	v_cmp_ne_u32_e32 vcc_lo, 0, v9
	v_cmp_ne_u32_e64 s0, 0, v11
	s_delay_alu instid0(VALU_DEP_4) | instskip(NEXT) | instid1(VALU_DEP_1)
	v_dual_cndmask_b32 v9, v21, v15, vcc_lo :: v_dual_cndmask_b32 v11, v20, v14, vcc_lo
	v_dual_cndmask_b32 v12, v12, v11, s0 :: v_dual_mov_b32 v11, v10
	s_delay_alu instid0(VALU_DEP_1) | instskip(NEXT) | instid1(VALU_DEP_1)
	v_dual_cndmask_b32 v9, v13, v9, s0 :: v_dual_bitop2_b32 v12, v12, v10 bitop3:0x14
	v_xor_b32_e32 v13, v9, v10
	s_delay_alu instid0(VALU_DEP_1)
	v_sub_nc_u64_e32 v[10:11], v[12:13], v[10:11]
.LBB61_279:                             ;   in Loop: Header=BB61_277 Depth=1
	s_and_not1_saveexec_b32 s0, s28
	s_cbranch_execz .LBB61_276
; %bb.280:                              ;   in Loop: Header=BB61_277 Depth=1
	v_cvt_f32_u32_e32 v9, s10
	s_sub_co_i32 s12, 0, s10
	s_delay_alu instid0(VALU_DEP_1) | instskip(SKIP_1) | instid1(TRANS32_DEP_1)
	v_rcp_iflag_f32_e32 v9, v9
	v_nop
	v_mul_f32_e32 v9, 0x4f7ffffe, v9
	s_delay_alu instid0(VALU_DEP_1) | instskip(NEXT) | instid1(VALU_DEP_1)
	v_cvt_u32_f32_e32 v9, v9
	v_mul_lo_u32 v10, s12, v9
	s_delay_alu instid0(VALU_DEP_1) | instskip(NEXT) | instid1(VALU_DEP_1)
	v_mul_hi_u32 v10, v9, v10
	v_add_nc_u32_e32 v9, v9, v10
	s_delay_alu instid0(VALU_DEP_1) | instskip(NEXT) | instid1(VALU_DEP_1)
	v_mul_hi_u32 v9, v0, v9
	v_mul_lo_u32 v10, v9, s10
	s_delay_alu instid0(VALU_DEP_1) | instskip(NEXT) | instid1(VALU_DEP_1)
	v_dual_add_nc_u32 v11, 1, v9 :: v_dual_sub_nc_u32 v10, v0, v10
	v_subrev_nc_u32_e32 v12, s10, v10
	v_cmp_le_u32_e32 vcc_lo, s10, v10
	s_delay_alu instid0(VALU_DEP_2) | instskip(NEXT) | instid1(VALU_DEP_1)
	v_dual_cndmask_b32 v10, v10, v12 :: v_dual_cndmask_b32 v9, v9, v11
	v_cmp_le_u32_e32 vcc_lo, s10, v10
	s_delay_alu instid0(VALU_DEP_2) | instskip(NEXT) | instid1(VALU_DEP_1)
	v_add_nc_u32_e32 v11, 1, v9
	v_dual_cndmask_b32 v10, v9, v11 :: v_dual_mov_b32 v11, v8
	s_branch .LBB61_276
.LBB61_281:
	s_or_b32 s22, s52, exec_lo
	s_xor_b32 s17, exec_lo, -1
	s_trap 2
	s_branch .LBB61_242
.LBB61_282:
	s_or_b32 s41, s39, exec_lo
	s_trap 2
                                        ; implicit-def: $vgpr6_vgpr7
                                        ; implicit-def: $vgpr4_vgpr5
                                        ; implicit-def: $vgpr0_vgpr1
                                        ; implicit-def: $vgpr10
                                        ; implicit-def: $vgpr31
                                        ; implicit-def: $vgpr30
                                        ; implicit-def: $vgpr33
                                        ; implicit-def: $vgpr32
                                        ; implicit-def: $vgpr34
                                        ; implicit-def: $vgpr26
                                        ; implicit-def: $vgpr25
                                        ; implicit-def: $vgpr28
                                        ; implicit-def: $vgpr27
                                        ; implicit-def: $vgpr29
                                        ; implicit-def: $vgpr21
                                        ; implicit-def: $vgpr20
                                        ; implicit-def: $vgpr23
                                        ; implicit-def: $vgpr22
                                        ; implicit-def: $vgpr24
                                        ; implicit-def: $vgpr2_vgpr3
	s_or_saveexec_b32 s42, s0
	s_mov_b32 s0, 0
	s_xor_b32 exec_lo, exec_lo, s42
	s_cbranch_execnz .LBB61_208
	s_branch .LBB61_305
.LBB61_283:
	s_or_b32 s46, s44, exec_lo
	s_trap 2
                                        ; implicit-def: $vgpr0_vgpr1
                                        ; implicit-def: $vgpr31
                                        ; implicit-def: $vgpr30
                                        ; implicit-def: $vgpr33
                                        ; implicit-def: $vgpr32
                                        ; implicit-def: $vgpr26
                                        ; implicit-def: $vgpr25
                                        ; implicit-def: $vgpr28
                                        ; implicit-def: $vgpr27
                                        ; implicit-def: $vgpr29
                                        ; implicit-def: $vgpr21
                                        ; implicit-def: $vgpr20
                                        ; implicit-def: $vgpr23
                                        ; implicit-def: $vgpr22
                                        ; implicit-def: $vgpr24
                                        ; implicit-def: $vgpr2_vgpr3
	s_or_saveexec_b32 s47, s0
	s_mov_b32 s0, 0
	s_xor_b32 exec_lo, exec_lo, s47
	s_cbranch_execnz .LBB61_225
	s_branch .LBB61_303
.LBB61_284:
	s_or_b32 exec_lo, exec_lo, s27
	s_mov_b32 s2, -1
	s_mov_b32 s3, s18
	s_mov_b32 s0, exec_lo
	v_cmpx_gt_i64_e64 v[4:5], v[6:7]
	s_cbranch_execz .LBB61_292
; %bb.285:
	s_delay_alu instid0(VALU_DEP_2) | instskip(SKIP_2) | instid1(VALU_DEP_1)
	v_lshlrev_b64_e32 v[0:1], 3, v[2:3]
	s_mov_b32 s3, 0
	s_xor_b32 s6, s49, -1
                                        ; implicit-def: $sgpr2
                                        ; implicit-def: $sgpr8
                                        ; implicit-def: $sgpr7
	v_lshl_add_u64 v[2:3], v[6:7], 3, v[0:1]
	s_wait_kmcnt 0x0
	v_add_nc_u64_e32 v[6:7], s[20:21], v[0:1]
	s_delay_alu instid0(VALU_DEP_2) | instskip(NEXT) | instid1(VALU_DEP_1)
	v_add_nc_u64_e32 v[2:3], s[20:21], v[2:3]
	v_add_nc_u64_e32 v[0:1], 8, v[2:3]
	s_delay_alu instid0(VALU_DEP_3)
	v_lshl_add_u64 v[2:3], v[4:5], 3, v[6:7]
	s_branch .LBB61_287
.LBB61_286:                             ;   in Loop: Header=BB61_287 Depth=1
	s_or_b32 exec_lo, exec_lo, s9
	s_xor_b32 s9, s7, -1
	s_and_b32 s10, exec_lo, s8
	s_delay_alu instid0(SALU_CYCLE_1) | instskip(SKIP_2) | instid1(SALU_CYCLE_1)
	s_or_b32 s3, s10, s3
	s_and_not1_b32 s2, s2, exec_lo
	s_and_b32 s9, s9, exec_lo
	s_or_b32 s2, s2, s9
	s_and_not1_b32 exec_lo, exec_lo, s3
	s_cbranch_execz .LBB61_290
.LBB61_287:                             ; =>This Inner Loop Header: Depth=1
	s_or_b32 s7, s7, exec_lo
	s_or_b32 s8, s8, exec_lo
	s_mov_b32 s9, exec_lo
	s_delay_alu instid0(VALU_DEP_2)
	v_cmpx_lt_u64_e64 v[0:1], v[2:3]
	s_cbranch_execz .LBB61_286
; %bb.288:                              ;   in Loop: Header=BB61_287 Depth=1
	global_load_b128 v[4:7], v[0:1], off offset:-8
	s_wait_xcnt 0x0
	v_add_nc_u64_e32 v[0:1], 8, v[0:1]
	s_and_not1_b32 s8, s8, exec_lo
	s_and_not1_b32 s7, s7, exec_lo
	s_wait_loadcnt 0x0
	v_cmp_ge_i64_e32 vcc_lo, v[4:5], v[6:7]
	s_or_b32 s10, s6, vcc_lo
	s_delay_alu instid0(SALU_CYCLE_1) | instskip(NEXT) | instid1(SALU_CYCLE_1)
	s_and_b32 s10, s10, exec_lo
	s_or_b32 s8, s8, s10
	s_branch .LBB61_286
.LBB61_289:
	s_or_b32 s48, s46, exec_lo
	s_trap 2
                                        ; implicit-def: $vgpr0_vgpr1
                                        ; implicit-def: $vgpr31
                                        ; implicit-def: $vgpr30
                                        ; implicit-def: $vgpr32
                                        ; implicit-def: $vgpr26
                                        ; implicit-def: $vgpr25
                                        ; implicit-def: $vgpr28
                                        ; implicit-def: $vgpr27
                                        ; implicit-def: $vgpr29
                                        ; implicit-def: $vgpr21
                                        ; implicit-def: $vgpr20
                                        ; implicit-def: $vgpr23
                                        ; implicit-def: $vgpr22
                                        ; implicit-def: $vgpr24
                                        ; implicit-def: $vgpr2_vgpr3
	s_or_saveexec_b32 s51, s0
	s_mov_b32 s0, 0
	s_xor_b32 exec_lo, exec_lo, s51
	s_cbranch_execnz .LBB61_227
	s_branch .LBB61_302
.LBB61_290:
	s_or_b32 exec_lo, exec_lo, s3
	s_mov_b32 s3, -1
	s_mov_b32 s6, s18
	s_and_saveexec_b32 s7, s2
	s_delay_alu instid0(SALU_CYCLE_1)
	s_xor_b32 s2, exec_lo, s7
	s_cbranch_execnz .LBB61_314
.LBB61_291:
	s_or_b32 exec_lo, exec_lo, s2
	s_delay_alu instid0(SALU_CYCLE_1)
	s_and_not1_b32 s7, s18, exec_lo
	s_and_b32 s6, s6, exec_lo
	s_or_not1_b32 s2, s3, exec_lo
	s_or_b32 s3, s7, s6
.LBB61_292:
	s_or_b32 exec_lo, exec_lo, s0
	s_delay_alu instid0(SALU_CYCLE_1)
	s_and_not1_b32 s6, s18, exec_lo
	s_and_b32 s3, s3, exec_lo
	s_and_b32 s0, s2, exec_lo
	s_or_b32 s18, s6, s3
.LBB61_293:
	s_or_b32 exec_lo, exec_lo, s19
	s_delay_alu instid0(SALU_CYCLE_1)
	s_and_not1_b32 s2, s25, exec_lo
	s_and_b32 s3, s18, exec_lo
	s_and_b32 s0, s0, exec_lo
	s_or_b32 s25, s2, s3
.LBB61_294:
	s_or_b32 exec_lo, exec_lo, s26
	s_delay_alu instid0(SALU_CYCLE_1)
	s_and_not1_b32 s2, s23, exec_lo
	s_and_b32 s3, s25, exec_lo
	s_and_b32 s0, s0, exec_lo
	s_or_b32 s23, s2, s3
.LBB61_295:
	s_or_b32 exec_lo, exec_lo, s24
	s_delay_alu instid0(SALU_CYCLE_1)
	s_and_not1_b32 s1, s1, exec_lo
	s_and_b32 s2, s23, exec_lo
	s_and_b32 s0, s0, exec_lo
	s_or_b32 s1, s1, s2
.LBB61_296:
	s_or_b32 exec_lo, exec_lo, s22
	s_delay_alu instid0(SALU_CYCLE_1)
	s_and_not1_b32 s2, s60, exec_lo
	s_and_b32 s1, s1, exec_lo
	s_and_b32 s0, s0, exec_lo
	s_or_b32 s60, s2, s1
.LBB61_297:
	s_or_b32 exec_lo, exec_lo, s61
	s_delay_alu instid0(SALU_CYCLE_1)
	s_and_not1_b32 s1, s58, exec_lo
	s_and_b32 s2, s60, exec_lo
	s_and_b32 s0, s0, exec_lo
	s_or_b32 s58, s1, s2
.LBB61_298:
	s_or_b32 exec_lo, exec_lo, s59
	s_delay_alu instid0(SALU_CYCLE_1)
	s_and_not1_b32 s1, s56, exec_lo
	s_and_b32 s2, s58, exec_lo
	s_and_b32 s0, s0, exec_lo
	s_or_b32 s56, s1, s2
.LBB61_299:
	s_or_b32 exec_lo, exec_lo, s57
	s_delay_alu instid0(SALU_CYCLE_1)
	s_and_not1_b32 s1, s54, exec_lo
	s_and_b32 s2, s56, exec_lo
	s_and_b32 s0, s0, exec_lo
	s_or_b32 s54, s1, s2
.LBB61_300:
	s_or_b32 exec_lo, exec_lo, s55
	s_delay_alu instid0(SALU_CYCLE_1)
	s_and_not1_b32 s1, s52, exec_lo
	s_and_b32 s2, s54, exec_lo
	s_and_b32 s0, s0, exec_lo
	s_or_b32 s52, s1, s2
.LBB61_301:
	s_or_b32 exec_lo, exec_lo, s53
	s_delay_alu instid0(SALU_CYCLE_1)
	s_and_not1_b32 s1, s48, exec_lo
	s_and_b32 s2, s52, exec_lo
	s_and_b32 s0, s0, exec_lo
	s_or_b32 s48, s1, s2
.LBB61_302:
	s_or_b32 exec_lo, exec_lo, s51
	s_delay_alu instid0(SALU_CYCLE_1)
	s_and_not1_b32 s1, s46, exec_lo
	s_and_b32 s2, s48, exec_lo
	s_and_b32 s0, s0, exec_lo
	s_or_b32 s46, s1, s2
.LBB61_303:
	s_or_b32 exec_lo, exec_lo, s47
	s_delay_alu instid0(SALU_CYCLE_1)
	s_and_not1_b32 s1, s44, exec_lo
	s_and_b32 s2, s46, exec_lo
	s_and_b32 s0, s0, exec_lo
	s_or_b32 s44, s1, s2
.LBB61_304:
	s_or_b32 exec_lo, exec_lo, s45
	s_delay_alu instid0(SALU_CYCLE_1)
	s_and_not1_b32 s1, s41, exec_lo
	s_wait_xcnt 0x0
	s_and_b32 s2, s44, exec_lo
	s_and_b32 s0, s0, exec_lo
	s_or_b32 s41, s1, s2
.LBB61_305:
	s_or_b32 exec_lo, exec_lo, s42
	s_delay_alu instid0(SALU_CYCLE_1)
	s_and_not1_b32 s1, s39, exec_lo
	s_and_b32 s2, s41, exec_lo
	s_and_b32 s0, s0, exec_lo
	s_or_b32 s39, s1, s2
.LBB61_306:
	s_or_b32 exec_lo, exec_lo, s40
	s_delay_alu instid0(SALU_CYCLE_1)
	s_and_not1_b32 s1, s33, exec_lo
	s_and_b32 s2, s39, exec_lo
	s_and_b32 s0, s0, exec_lo
	s_or_b32 s33, s1, s2
.LBB61_307:
	s_or_b32 exec_lo, exec_lo, s38
	s_delay_alu instid0(SALU_CYCLE_1)
	s_and_not1_b32 s1, s36, exec_lo
	s_and_b32 s2, s33, exec_lo
	s_and_b32 s71, s0, exec_lo
	s_or_b32 s36, s1, s2
	s_or_b32 exec_lo, exec_lo, s37
	s_and_saveexec_b32 s0, s36
	s_cbranch_execnz .LBB61_145
.LBB61_308:
	s_or_b32 exec_lo, exec_lo, s0
	s_and_saveexec_b32 s0, s71
	s_cbranch_execz .LBB61_146
.LBB61_309:
	v_mov_b64_e32 v[0:1], 0
	s_clause 0x3
	global_store_b64 v16, v[0:1], s[4:5]
	global_store_b64 v17, v[0:1], s[4:5]
	;; [unrolled: 1-line block ×4, first 2 shown]
	s_endpgm
.LBB61_310:
	s_or_b32 s22, s60, exec_lo
	s_xor_b32 s17, exec_lo, -1
	s_trap 2
	s_branch .LBB61_266
.LBB61_311:
	s_or_b32 s52, s48, exec_lo
	s_trap 2
                                        ; implicit-def: $vgpr6_vgpr7
                                        ; implicit-def: $vgpr4_vgpr5
                                        ; implicit-def: $vgpr0_vgpr1
                                        ; implicit-def: $vgpr30
                                        ; implicit-def: $vgpr26
                                        ; implicit-def: $vgpr25
                                        ; implicit-def: $vgpr28
                                        ; implicit-def: $vgpr27
                                        ; implicit-def: $vgpr29
                                        ; implicit-def: $vgpr21
                                        ; implicit-def: $vgpr20
                                        ; implicit-def: $vgpr23
                                        ; implicit-def: $vgpr22
                                        ; implicit-def: $vgpr24
                                        ; implicit-def: $vgpr2_vgpr3
	s_or_saveexec_b32 s53, s0
	s_mov_b32 s0, 0
	s_xor_b32 exec_lo, exec_lo, s53
	s_cbranch_execnz .LBB61_229
	s_branch .LBB61_301
.LBB61_312:
	s_or_b32 s56, s54, exec_lo
	s_trap 2
                                        ; implicit-def: $vgpr0_vgpr1
                                        ; implicit-def: $vgpr26
                                        ; implicit-def: $vgpr25
                                        ; implicit-def: $vgpr28
                                        ; implicit-def: $vgpr27
                                        ; implicit-def: $vgpr21
                                        ; implicit-def: $vgpr20
                                        ; implicit-def: $vgpr23
                                        ; implicit-def: $vgpr22
                                        ; implicit-def: $vgpr24
                                        ; implicit-def: $vgpr2_vgpr3
	s_or_saveexec_b32 s57, s0
	s_mov_b32 s0, 0
	s_xor_b32 exec_lo, exec_lo, s57
	s_cbranch_execnz .LBB61_246
	s_branch .LBB61_299
.LBB61_313:
	s_or_b32 s58, s56, exec_lo
	s_trap 2
                                        ; implicit-def: $vgpr0_vgpr1
                                        ; implicit-def: $vgpr26
                                        ; implicit-def: $vgpr25
                                        ; implicit-def: $vgpr27
                                        ; implicit-def: $vgpr21
                                        ; implicit-def: $vgpr20
                                        ; implicit-def: $vgpr23
                                        ; implicit-def: $vgpr22
                                        ; implicit-def: $vgpr24
                                        ; implicit-def: $vgpr2_vgpr3
	s_or_saveexec_b32 s59, s0
	s_mov_b32 s0, 0
	s_xor_b32 exec_lo, exec_lo, s59
	s_cbranch_execnz .LBB61_248
	s_branch .LBB61_298
.LBB61_314:
	s_xor_b32 s3, exec_lo, -1
	s_or_b32 s6, s18, exec_lo
	s_trap 2
	s_branch .LBB61_291
.LBB61_315:
	s_or_b32 s60, s58, exec_lo
	s_trap 2
                                        ; implicit-def: $vgpr6_vgpr7
                                        ; implicit-def: $vgpr4_vgpr5
                                        ; implicit-def: $vgpr0_vgpr1
                                        ; implicit-def: $vgpr25
                                        ; implicit-def: $vgpr21
                                        ; implicit-def: $vgpr20
                                        ; implicit-def: $vgpr23
                                        ; implicit-def: $vgpr22
                                        ; implicit-def: $vgpr24
                                        ; implicit-def: $vgpr2_vgpr3
	s_or_saveexec_b32 s61, s0
	s_mov_b32 s0, 0
	s_xor_b32 exec_lo, exec_lo, s61
	s_cbranch_execnz .LBB61_250
	s_branch .LBB61_297
.LBB61_316:
	s_or_b32 s23, s1, exec_lo
	s_trap 2
                                        ; implicit-def: $vgpr23
                                        ; implicit-def: $vgpr0_vgpr1
                                        ; implicit-def: $vgpr22
                                        ; implicit-def: $vgpr21
                                        ; implicit-def: $vgpr2_vgpr3
                                        ; implicit-def: $vgpr20
	s_or_saveexec_b32 s24, s0
	s_mov_b32 s0, 0
	s_xor_b32 exec_lo, exec_lo, s24
	s_cbranch_execnz .LBB61_270
	s_branch .LBB61_295
.LBB61_317:
	s_or_b32 s25, s23, exec_lo
	s_trap 2
                                        ; implicit-def: $vgpr22
                                        ; implicit-def: $vgpr21
                                        ; implicit-def: $vgpr2_vgpr3
                                        ; implicit-def: $vgpr20
                                        ; implicit-def: $vgpr0_vgpr1
	s_or_saveexec_b32 s26, s0
	s_mov_b32 s0, 0
	s_xor_b32 exec_lo, exec_lo, s26
	s_cbranch_execnz .LBB61_272
	s_branch .LBB61_294
.LBB61_318:
	s_or_b32 s18, s25, exec_lo
	s_trap 2
                                        ; implicit-def: $vgpr4_vgpr5
                                        ; implicit-def: $vgpr6_vgpr7
                                        ; implicit-def: $vgpr20
                                        ; implicit-def: $vgpr0_vgpr1
	s_or_saveexec_b32 s19, s0
	s_mov_b32 s0, 0
	s_xor_b32 exec_lo, exec_lo, s19
	s_cbranch_execnz .LBB61_274
	s_branch .LBB61_293
	.section	.rodata,"a",@progbits
	.p2align	6, 0x0
	.amdhsa_kernel _ZN2at6native32elementwise_kernel_manual_unrollILi128ELi4EZNS0_22gpu_kernel_impl_nocastIZZZNS0_12_GLOBAL__N_142_validate_compressed_sparse_indices_kernelILNS3_8CDimNameE0ENS3_18CUDAKernelLauncherENS3_14EmptyVecKernelENS3_8DummyVecELm0EEEvRKNS_6TensorESB_lllENKUlvE1_clEvENKUlvE0_clEvEUllllllE_EEvRNS_18TensorIteratorBaseERKT_EUlibE_EEviT1_
		.amdhsa_group_segment_fixed_size 0
		.amdhsa_private_segment_fixed_size 0
		.amdhsa_kernarg_size 696
		.amdhsa_user_sgpr_count 2
		.amdhsa_user_sgpr_dispatch_ptr 0
		.amdhsa_user_sgpr_queue_ptr 0
		.amdhsa_user_sgpr_kernarg_segment_ptr 1
		.amdhsa_user_sgpr_dispatch_id 0
		.amdhsa_user_sgpr_kernarg_preload_length 0
		.amdhsa_user_sgpr_kernarg_preload_offset 0
		.amdhsa_user_sgpr_private_segment_size 0
		.amdhsa_wavefront_size32 1
		.amdhsa_uses_dynamic_stack 0
		.amdhsa_enable_private_segment 0
		.amdhsa_system_sgpr_workgroup_id_x 1
		.amdhsa_system_sgpr_workgroup_id_y 0
		.amdhsa_system_sgpr_workgroup_id_z 0
		.amdhsa_system_sgpr_workgroup_info 0
		.amdhsa_system_vgpr_workitem_id 0
		.amdhsa_next_free_vgpr 48
		.amdhsa_next_free_sgpr 104
		.amdhsa_named_barrier_count 0
		.amdhsa_reserve_vcc 1
		.amdhsa_float_round_mode_32 0
		.amdhsa_float_round_mode_16_64 0
		.amdhsa_float_denorm_mode_32 3
		.amdhsa_float_denorm_mode_16_64 3
		.amdhsa_fp16_overflow 0
		.amdhsa_memory_ordered 1
		.amdhsa_forward_progress 1
		.amdhsa_inst_pref_size 154
		.amdhsa_round_robin_scheduling 0
		.amdhsa_exception_fp_ieee_invalid_op 0
		.amdhsa_exception_fp_denorm_src 0
		.amdhsa_exception_fp_ieee_div_zero 0
		.amdhsa_exception_fp_ieee_overflow 0
		.amdhsa_exception_fp_ieee_underflow 0
		.amdhsa_exception_fp_ieee_inexact 0
		.amdhsa_exception_int_div_zero 0
	.end_amdhsa_kernel
	.section	.text._ZN2at6native32elementwise_kernel_manual_unrollILi128ELi4EZNS0_22gpu_kernel_impl_nocastIZZZNS0_12_GLOBAL__N_142_validate_compressed_sparse_indices_kernelILNS3_8CDimNameE0ENS3_18CUDAKernelLauncherENS3_14EmptyVecKernelENS3_8DummyVecELm0EEEvRKNS_6TensorESB_lllENKUlvE1_clEvENKUlvE0_clEvEUllllllE_EEvRNS_18TensorIteratorBaseERKT_EUlibE_EEviT1_,"axG",@progbits,_ZN2at6native32elementwise_kernel_manual_unrollILi128ELi4EZNS0_22gpu_kernel_impl_nocastIZZZNS0_12_GLOBAL__N_142_validate_compressed_sparse_indices_kernelILNS3_8CDimNameE0ENS3_18CUDAKernelLauncherENS3_14EmptyVecKernelENS3_8DummyVecELm0EEEvRKNS_6TensorESB_lllENKUlvE1_clEvENKUlvE0_clEvEUllllllE_EEvRNS_18TensorIteratorBaseERKT_EUlibE_EEviT1_,comdat
.Lfunc_end61:
	.size	_ZN2at6native32elementwise_kernel_manual_unrollILi128ELi4EZNS0_22gpu_kernel_impl_nocastIZZZNS0_12_GLOBAL__N_142_validate_compressed_sparse_indices_kernelILNS3_8CDimNameE0ENS3_18CUDAKernelLauncherENS3_14EmptyVecKernelENS3_8DummyVecELm0EEEvRKNS_6TensorESB_lllENKUlvE1_clEvENKUlvE0_clEvEUllllllE_EEvRNS_18TensorIteratorBaseERKT_EUlibE_EEviT1_, .Lfunc_end61-_ZN2at6native32elementwise_kernel_manual_unrollILi128ELi4EZNS0_22gpu_kernel_impl_nocastIZZZNS0_12_GLOBAL__N_142_validate_compressed_sparse_indices_kernelILNS3_8CDimNameE0ENS3_18CUDAKernelLauncherENS3_14EmptyVecKernelENS3_8DummyVecELm0EEEvRKNS_6TensorESB_lllENKUlvE1_clEvENKUlvE0_clEvEUllllllE_EEvRNS_18TensorIteratorBaseERKT_EUlibE_EEviT1_
                                        ; -- End function
	.set _ZN2at6native32elementwise_kernel_manual_unrollILi128ELi4EZNS0_22gpu_kernel_impl_nocastIZZZNS0_12_GLOBAL__N_142_validate_compressed_sparse_indices_kernelILNS3_8CDimNameE0ENS3_18CUDAKernelLauncherENS3_14EmptyVecKernelENS3_8DummyVecELm0EEEvRKNS_6TensorESB_lllENKUlvE1_clEvENKUlvE0_clEvEUllllllE_EEvRNS_18TensorIteratorBaseERKT_EUlibE_EEviT1_.num_vgpr, 48
	.set _ZN2at6native32elementwise_kernel_manual_unrollILi128ELi4EZNS0_22gpu_kernel_impl_nocastIZZZNS0_12_GLOBAL__N_142_validate_compressed_sparse_indices_kernelILNS3_8CDimNameE0ENS3_18CUDAKernelLauncherENS3_14EmptyVecKernelENS3_8DummyVecELm0EEEvRKNS_6TensorESB_lllENKUlvE1_clEvENKUlvE0_clEvEUllllllE_EEvRNS_18TensorIteratorBaseERKT_EUlibE_EEviT1_.num_agpr, 0
	.set _ZN2at6native32elementwise_kernel_manual_unrollILi128ELi4EZNS0_22gpu_kernel_impl_nocastIZZZNS0_12_GLOBAL__N_142_validate_compressed_sparse_indices_kernelILNS3_8CDimNameE0ENS3_18CUDAKernelLauncherENS3_14EmptyVecKernelENS3_8DummyVecELm0EEEvRKNS_6TensorESB_lllENKUlvE1_clEvENKUlvE0_clEvEUllllllE_EEvRNS_18TensorIteratorBaseERKT_EUlibE_EEviT1_.numbered_sgpr, 104
	.set _ZN2at6native32elementwise_kernel_manual_unrollILi128ELi4EZNS0_22gpu_kernel_impl_nocastIZZZNS0_12_GLOBAL__N_142_validate_compressed_sparse_indices_kernelILNS3_8CDimNameE0ENS3_18CUDAKernelLauncherENS3_14EmptyVecKernelENS3_8DummyVecELm0EEEvRKNS_6TensorESB_lllENKUlvE1_clEvENKUlvE0_clEvEUllllllE_EEvRNS_18TensorIteratorBaseERKT_EUlibE_EEviT1_.num_named_barrier, 0
	.set _ZN2at6native32elementwise_kernel_manual_unrollILi128ELi4EZNS0_22gpu_kernel_impl_nocastIZZZNS0_12_GLOBAL__N_142_validate_compressed_sparse_indices_kernelILNS3_8CDimNameE0ENS3_18CUDAKernelLauncherENS3_14EmptyVecKernelENS3_8DummyVecELm0EEEvRKNS_6TensorESB_lllENKUlvE1_clEvENKUlvE0_clEvEUllllllE_EEvRNS_18TensorIteratorBaseERKT_EUlibE_EEviT1_.private_seg_size, 0
	.set _ZN2at6native32elementwise_kernel_manual_unrollILi128ELi4EZNS0_22gpu_kernel_impl_nocastIZZZNS0_12_GLOBAL__N_142_validate_compressed_sparse_indices_kernelILNS3_8CDimNameE0ENS3_18CUDAKernelLauncherENS3_14EmptyVecKernelENS3_8DummyVecELm0EEEvRKNS_6TensorESB_lllENKUlvE1_clEvENKUlvE0_clEvEUllllllE_EEvRNS_18TensorIteratorBaseERKT_EUlibE_EEviT1_.uses_vcc, 1
	.set _ZN2at6native32elementwise_kernel_manual_unrollILi128ELi4EZNS0_22gpu_kernel_impl_nocastIZZZNS0_12_GLOBAL__N_142_validate_compressed_sparse_indices_kernelILNS3_8CDimNameE0ENS3_18CUDAKernelLauncherENS3_14EmptyVecKernelENS3_8DummyVecELm0EEEvRKNS_6TensorESB_lllENKUlvE1_clEvENKUlvE0_clEvEUllllllE_EEvRNS_18TensorIteratorBaseERKT_EUlibE_EEviT1_.uses_flat_scratch, 0
	.set _ZN2at6native32elementwise_kernel_manual_unrollILi128ELi4EZNS0_22gpu_kernel_impl_nocastIZZZNS0_12_GLOBAL__N_142_validate_compressed_sparse_indices_kernelILNS3_8CDimNameE0ENS3_18CUDAKernelLauncherENS3_14EmptyVecKernelENS3_8DummyVecELm0EEEvRKNS_6TensorESB_lllENKUlvE1_clEvENKUlvE0_clEvEUllllllE_EEvRNS_18TensorIteratorBaseERKT_EUlibE_EEviT1_.has_dyn_sized_stack, 0
	.set _ZN2at6native32elementwise_kernel_manual_unrollILi128ELi4EZNS0_22gpu_kernel_impl_nocastIZZZNS0_12_GLOBAL__N_142_validate_compressed_sparse_indices_kernelILNS3_8CDimNameE0ENS3_18CUDAKernelLauncherENS3_14EmptyVecKernelENS3_8DummyVecELm0EEEvRKNS_6TensorESB_lllENKUlvE1_clEvENKUlvE0_clEvEUllllllE_EEvRNS_18TensorIteratorBaseERKT_EUlibE_EEviT1_.has_recursion, 0
	.set _ZN2at6native32elementwise_kernel_manual_unrollILi128ELi4EZNS0_22gpu_kernel_impl_nocastIZZZNS0_12_GLOBAL__N_142_validate_compressed_sparse_indices_kernelILNS3_8CDimNameE0ENS3_18CUDAKernelLauncherENS3_14EmptyVecKernelENS3_8DummyVecELm0EEEvRKNS_6TensorESB_lllENKUlvE1_clEvENKUlvE0_clEvEUllllllE_EEvRNS_18TensorIteratorBaseERKT_EUlibE_EEviT1_.has_indirect_call, 0
	.section	.AMDGPU.csdata,"",@progbits
; Kernel info:
; codeLenInByte = 19680
; TotalNumSgprs: 106
; NumVgprs: 48
; ScratchSize: 0
; MemoryBound: 0
; FloatMode: 240
; IeeeMode: 1
; LDSByteSize: 0 bytes/workgroup (compile time only)
; SGPRBlocks: 0
; VGPRBlocks: 2
; NumSGPRsForWavesPerEU: 106
; NumVGPRsForWavesPerEU: 48
; NamedBarCnt: 0
; Occupancy: 16
; WaveLimiterHint : 1
; COMPUTE_PGM_RSRC2:SCRATCH_EN: 0
; COMPUTE_PGM_RSRC2:USER_SGPR: 2
; COMPUTE_PGM_RSRC2:TRAP_HANDLER: 0
; COMPUTE_PGM_RSRC2:TGID_X_EN: 1
; COMPUTE_PGM_RSRC2:TGID_Y_EN: 0
; COMPUTE_PGM_RSRC2:TGID_Z_EN: 0
; COMPUTE_PGM_RSRC2:TIDIG_COMP_CNT: 0
	.section	.text._ZN2at6native32elementwise_kernel_manual_unrollILi128ELi4EZNS0_15gpu_kernel_implIZZZNS0_12_GLOBAL__N_142_validate_compressed_sparse_indices_kernelILNS3_8CDimNameE0ENS3_18CUDAKernelLauncherENS3_14EmptyVecKernelENS3_8DummyVecELm0EEEvRKNS_6TensorESB_lllENKUlvE1_clEvENKUlvE0_clEvEUllllllE_EEvRNS_18TensorIteratorBaseERKT_EUlibE_EEviT1_,"axG",@progbits,_ZN2at6native32elementwise_kernel_manual_unrollILi128ELi4EZNS0_15gpu_kernel_implIZZZNS0_12_GLOBAL__N_142_validate_compressed_sparse_indices_kernelILNS3_8CDimNameE0ENS3_18CUDAKernelLauncherENS3_14EmptyVecKernelENS3_8DummyVecELm0EEEvRKNS_6TensorESB_lllENKUlvE1_clEvENKUlvE0_clEvEUllllllE_EEvRNS_18TensorIteratorBaseERKT_EUlibE_EEviT1_,comdat
	.globl	_ZN2at6native32elementwise_kernel_manual_unrollILi128ELi4EZNS0_15gpu_kernel_implIZZZNS0_12_GLOBAL__N_142_validate_compressed_sparse_indices_kernelILNS3_8CDimNameE0ENS3_18CUDAKernelLauncherENS3_14EmptyVecKernelENS3_8DummyVecELm0EEEvRKNS_6TensorESB_lllENKUlvE1_clEvENKUlvE0_clEvEUllllllE_EEvRNS_18TensorIteratorBaseERKT_EUlibE_EEviT1_ ; -- Begin function _ZN2at6native32elementwise_kernel_manual_unrollILi128ELi4EZNS0_15gpu_kernel_implIZZZNS0_12_GLOBAL__N_142_validate_compressed_sparse_indices_kernelILNS3_8CDimNameE0ENS3_18CUDAKernelLauncherENS3_14EmptyVecKernelENS3_8DummyVecELm0EEEvRKNS_6TensorESB_lllENKUlvE1_clEvENKUlvE0_clEvEUllllllE_EEvRNS_18TensorIteratorBaseERKT_EUlibE_EEviT1_
	.p2align	8
	.type	_ZN2at6native32elementwise_kernel_manual_unrollILi128ELi4EZNS0_15gpu_kernel_implIZZZNS0_12_GLOBAL__N_142_validate_compressed_sparse_indices_kernelILNS3_8CDimNameE0ENS3_18CUDAKernelLauncherENS3_14EmptyVecKernelENS3_8DummyVecELm0EEEvRKNS_6TensorESB_lllENKUlvE1_clEvENKUlvE0_clEvEUllllllE_EEvRNS_18TensorIteratorBaseERKT_EUlibE_EEviT1_,@function
_ZN2at6native32elementwise_kernel_manual_unrollILi128ELi4EZNS0_15gpu_kernel_implIZZZNS0_12_GLOBAL__N_142_validate_compressed_sparse_indices_kernelILNS3_8CDimNameE0ENS3_18CUDAKernelLauncherENS3_14EmptyVecKernelENS3_8DummyVecELm0EEEvRKNS_6TensorESB_lllENKUlvE1_clEvENKUlvE0_clEvEUllllllE_EEvRNS_18TensorIteratorBaseERKT_EUlibE_EEviT1_: ; @_ZN2at6native32elementwise_kernel_manual_unrollILi128ELi4EZNS0_15gpu_kernel_implIZZZNS0_12_GLOBAL__N_142_validate_compressed_sparse_indices_kernelILNS3_8CDimNameE0ENS3_18CUDAKernelLauncherENS3_14EmptyVecKernelENS3_8DummyVecELm0EEEvRKNS_6TensorESB_lllENKUlvE1_clEvENKUlvE0_clEvEUllllllE_EEvRNS_18TensorIteratorBaseERKT_EUlibE_EEviT1_
; %bb.0:
	s_load_b256 s[20:27], s[0:1], 0x70
	s_bfe_u32 s28, ttmp6, 0x4000c
	s_load_b256 s[36:43], s[0:1], 0x50
	s_add_co_i32 s28, s28, 1
	s_and_b32 s30, ttmp6, 15
	s_clause 0x3
	s_load_b32 s62, s[0:1], 0x0
	s_load_b256 s[4:11], s[0:1], 0x8
	s_load_b256 s[12:19], s[0:1], 0x28
	s_load_b64 s[2:3], s[0:1], 0x48
	s_wait_xcnt 0x0
	s_mul_i32 s0, ttmp9, s28
	s_getreg_b32 s31, hwreg(HW_REG_IB_STS2, 6, 4)
	s_add_co_i32 s30, s30, s0
	s_wait_kmcnt 0x0
	s_mov_b32 s43, 0
	s_mov_b32 s52, 0
	s_lshr_b64 s[28:29], s[26:27], 24
	s_lshr_b32 s54, s26, 8
	s_lshr_b32 s33, s26, 16
	;; [unrolled: 1-line block ×3, first 2 shown]
	s_cmp_eq_u32 s31, 0
	s_cselect_b32 s0, ttmp9, s30
	s_delay_alu instid0(SALU_CYCLE_1) | instskip(SKIP_1) | instid1(VALU_DEP_1)
	v_lshl_or_b32 v22, s0, 9, v0
	s_mov_b32 s0, exec_lo
	v_or_b32_e32 v0, 0x180, v22
	s_delay_alu instid0(VALU_DEP_1)
	v_cmpx_le_i32_e64 s62, v0
	s_xor_b32 s55, exec_lo, s0
	s_cbranch_execz .LBB62_2803
; %bb.1:
	s_get_pc_i64 s[0:1]
	s_add_nc_u64 s[0:1], s[0:1], .str.1@rel64+4
	s_get_pc_i64 s[30:31]
	s_add_nc_u64 s[30:31], s[30:31], .str.2@rel64+4
	s_cmp_lg_u64 s[0:1], 0
	s_get_pc_i64 s[0:1]
	s_add_nc_u64 s[0:1], s[0:1], .str.3@rel64+4
	s_cselect_b32 s60, -1, 0
	s_cmp_lg_u64 s[30:31], 0
	s_get_pc_i64 s[34:35]
	s_add_nc_u64 s[34:35], s[34:35], .str.4@rel64+4
	s_cselect_b32 s59, -1, 0
	s_cmp_lg_u64 s[0:1], 0
	s_mov_b32 s1, -1
	s_cselect_b32 s58, -1, 0
	s_add_co_i32 s30, s42, -1
	s_mov_b32 s73, 0
	s_cmp_gt_i32 s30, -1
	s_mov_b32 s71, 0
	s_cselect_b32 s57, -1, 0
	s_cmp_lg_u64 s[34:35], 0
	s_mov_b32 s70, 0
	s_cselect_b32 s56, -1, 0
	s_mov_b32 s69, 0
	s_mov_b32 s68, 0
	;; [unrolled: 1-line block ×8, first 2 shown]
	s_mov_b32 s72, exec_lo
	v_cmpx_gt_i32_e64 s62, v22
	s_cbranch_execz .LBB62_630
; %bb.2:
	v_mul_lo_u32 v0, v22, s17
	s_and_b32 s0, s54, 0xff
	s_delay_alu instid0(SALU_CYCLE_1) | instskip(NEXT) | instid1(VALU_DEP_1)
	s_cmp_lt_i32 s0, 11
	v_ashrrev_i32_e32 v1, 31, v0
	s_delay_alu instid0(VALU_DEP_1)
	v_add_nc_u64_e32 v[2:3], s[6:7], v[0:1]
	s_cbranch_scc1 .LBB62_9
; %bb.3:
	s_and_b32 s1, 0xffff, s0
	s_delay_alu instid0(SALU_CYCLE_1)
	s_cmp_gt_i32 s1, 25
	s_cbranch_scc0 .LBB62_11
; %bb.4:
	s_cmp_gt_i32 s1, 28
	s_cbranch_scc0 .LBB62_12
; %bb.5:
	s_cmp_gt_i32 s1, 43
	s_cbranch_scc0 .LBB62_13
; %bb.6:
	s_cmp_gt_i32 s1, 45
	s_cbranch_scc0 .LBB62_14
; %bb.7:
	s_cmp_eq_u32 s1, 46
	s_mov_b32 s34, 0
	s_cbranch_scc0 .LBB62_15
; %bb.8:
	global_load_b32 v0, v[2:3], off
	s_mov_b32 s31, -1
	s_wait_loadcnt 0x0
	v_lshlrev_b32_e32 v0, 16, v0
	s_delay_alu instid0(VALU_DEP_1) | instskip(NEXT) | instid1(VALU_DEP_1)
	v_trunc_f32_e32 v0, v0
	v_mul_f32_e64 v1, 0x2f800000, |v0|
	s_delay_alu instid0(VALU_DEP_1) | instskip(NEXT) | instid1(VALU_DEP_1)
	v_floor_f32_e32 v1, v1
	v_fma_f32 v4, 0xcf800000, v1, |v0|
	v_ashrrev_i32_e32 v0, 31, v0
	v_cvt_u32_f32_e32 v5, v1
	s_delay_alu instid0(VALU_DEP_3) | instskip(NEXT) | instid1(VALU_DEP_2)
	v_cvt_u32_f32_e32 v4, v4
	v_dual_mov_b32 v1, v0 :: v_dual_bitop2_b32 v5, v5, v0 bitop3:0x14
	s_delay_alu instid0(VALU_DEP_2) | instskip(NEXT) | instid1(VALU_DEP_1)
	v_xor_b32_e32 v4, v4, v0
	v_sub_nc_u64_e32 v[0:1], v[4:5], v[0:1]
	s_branch .LBB62_17
.LBB62_9:
	s_mov_b32 s31, 0
                                        ; implicit-def: $vgpr0_vgpr1
	s_and_b32 vcc_lo, exec_lo, s1
	s_cbranch_vccnz .LBB62_77
.LBB62_10:
	s_and_not1_b32 vcc_lo, exec_lo, s31
	s_cbranch_vccz .LBB62_124
	s_branch .LBB62_628
.LBB62_11:
	s_mov_b32 s31, 0
                                        ; implicit-def: $vgpr0_vgpr1
	s_cbranch_execnz .LBB62_44
	s_branch .LBB62_76
.LBB62_12:
	s_mov_b32 s34, -1
	s_mov_b32 s31, 0
                                        ; implicit-def: $vgpr0_vgpr1
	s_branch .LBB62_27
.LBB62_13:
	s_mov_b32 s34, -1
	s_mov_b32 s31, 0
                                        ; implicit-def: $vgpr0_vgpr1
	s_branch .LBB62_22
.LBB62_14:
	s_mov_b32 s34, -1
	s_branch .LBB62_16
.LBB62_15:
	s_mov_b32 s71, -1
.LBB62_16:
	s_mov_b32 s31, 0
                                        ; implicit-def: $vgpr0_vgpr1
.LBB62_17:
	s_and_b32 vcc_lo, exec_lo, s34
	s_cbranch_vccz .LBB62_21
; %bb.18:
	s_cmp_eq_u32 s1, 44
	s_cbranch_scc0 .LBB62_20
; %bb.19:
	global_load_u8 v6, v[2:3], off
	s_mov_b32 s71, 0
	s_mov_b32 s31, -1
	s_wait_loadcnt 0x0
	v_cmp_ne_u32_e32 vcc_lo, 0, v6
	v_lshlrev_b32_e32 v0, 23, v6
	s_delay_alu instid0(VALU_DEP_1) | instskip(NEXT) | instid1(VALU_DEP_1)
	v_trunc_f32_e32 v0, v0
	v_mul_f32_e64 v1, 0x2f800000, |v0|
	s_delay_alu instid0(VALU_DEP_1) | instskip(NEXT) | instid1(VALU_DEP_1)
	v_floor_f32_e32 v1, v1
	v_fma_f32 v4, 0xcf800000, v1, |v0|
	v_ashrrev_i32_e32 v0, 31, v0
	v_cvt_u32_f32_e32 v5, v1
	s_delay_alu instid0(VALU_DEP_3) | instskip(NEXT) | instid1(VALU_DEP_2)
	v_cvt_u32_f32_e32 v4, v4
	v_dual_mov_b32 v1, v0 :: v_dual_bitop2_b32 v5, v5, v0 bitop3:0x14
	s_delay_alu instid0(VALU_DEP_2) | instskip(NEXT) | instid1(VALU_DEP_1)
	v_xor_b32_e32 v4, v4, v0
	v_sub_nc_u64_e32 v[0:1], v[4:5], v[0:1]
	s_delay_alu instid0(VALU_DEP_1)
	v_dual_cndmask_b32 v1, 0, v1 :: v_dual_cndmask_b32 v0, 0, v0
	s_branch .LBB62_21
.LBB62_20:
	s_mov_b32 s71, -1
                                        ; implicit-def: $vgpr0_vgpr1
.LBB62_21:
	s_mov_b32 s34, 0
.LBB62_22:
	s_delay_alu instid0(SALU_CYCLE_1)
	s_and_b32 vcc_lo, exec_lo, s34
	s_cbranch_vccz .LBB62_26
; %bb.23:
	s_cmp_eq_u32 s1, 29
	s_cbranch_scc0 .LBB62_25
; %bb.24:
	global_load_b64 v[0:1], v[2:3], off
	s_mov_b32 s31, -1
	s_mov_b32 s71, 0
	s_branch .LBB62_26
.LBB62_25:
	s_mov_b32 s71, -1
                                        ; implicit-def: $vgpr0_vgpr1
.LBB62_26:
	s_mov_b32 s34, 0
.LBB62_27:
	s_delay_alu instid0(SALU_CYCLE_1)
	s_and_b32 vcc_lo, exec_lo, s34
	s_cbranch_vccz .LBB62_43
; %bb.28:
	s_cmp_lt_i32 s1, 27
	s_cbranch_scc1 .LBB62_31
; %bb.29:
	s_cmp_gt_i32 s1, 27
	s_cbranch_scc0 .LBB62_32
; %bb.30:
	s_wait_loadcnt 0x0
	global_load_b32 v0, v[2:3], off
	v_mov_b32_e32 v1, 0
	s_mov_b32 s31, 0
	s_branch .LBB62_33
.LBB62_31:
	s_mov_b32 s31, -1
                                        ; implicit-def: $vgpr0_vgpr1
	s_branch .LBB62_36
.LBB62_32:
	s_mov_b32 s31, -1
                                        ; implicit-def: $vgpr0_vgpr1
.LBB62_33:
	s_delay_alu instid0(SALU_CYCLE_1)
	s_and_not1_b32 vcc_lo, exec_lo, s31
	s_cbranch_vccnz .LBB62_35
; %bb.34:
	s_wait_loadcnt 0x0
	global_load_u16 v0, v[2:3], off
	s_mov_b32 s31, 0
	s_delay_alu instid0(SALU_CYCLE_1)
	v_mov_b32_e32 v1, s31
	s_wait_loadcnt 0x0
	v_and_b32_e32 v0, 0xffff, v0
.LBB62_35:
	s_mov_b32 s31, 0
.LBB62_36:
	s_delay_alu instid0(SALU_CYCLE_1)
	s_and_not1_b32 vcc_lo, exec_lo, s31
	s_cbranch_vccnz .LBB62_42
; %bb.37:
	global_load_u8 v4, v[2:3], off
	s_mov_b32 s34, 0
	s_mov_b32 s31, exec_lo
	s_wait_loadcnt 0x0
	v_cmpx_lt_i16_e32 0x7f, v4
	s_xor_b32 s31, exec_lo, s31
	s_cbranch_execz .LBB62_53
; %bb.38:
	v_cmp_ne_u16_e32 vcc_lo, 0x80, v4
	s_and_b32 s34, vcc_lo, exec_lo
	s_and_not1_saveexec_b32 s31, s31
	s_cbranch_execnz .LBB62_54
.LBB62_39:
	s_or_b32 exec_lo, exec_lo, s31
	v_mov_b64_e32 v[0:1], 0
	s_and_saveexec_b32 s31, s34
	s_cbranch_execz .LBB62_41
.LBB62_40:
	v_and_b32_e32 v0, 0xffff, v4
	s_delay_alu instid0(VALU_DEP_1) | instskip(SKIP_1) | instid1(VALU_DEP_2)
	v_and_b32_e32 v1, 7, v0
	v_bfe_u32 v7, v0, 3, 4
	v_clz_i32_u32_e32 v5, v1
	s_delay_alu instid0(VALU_DEP_2) | instskip(NEXT) | instid1(VALU_DEP_2)
	v_cmp_eq_u32_e32 vcc_lo, 0, v7
	v_min_u32_e32 v5, 32, v5
	s_delay_alu instid0(VALU_DEP_1) | instskip(NEXT) | instid1(VALU_DEP_1)
	v_subrev_nc_u32_e32 v6, 28, v5
	v_dual_lshlrev_b32 v0, v6, v0 :: v_dual_sub_nc_u32 v5, 29, v5
	s_delay_alu instid0(VALU_DEP_1) | instskip(NEXT) | instid1(VALU_DEP_2)
	v_and_b32_e32 v0, 7, v0
	v_dual_cndmask_b32 v5, v7, v5 :: v_dual_lshlrev_b32 v4, 24, v4
	s_delay_alu instid0(VALU_DEP_2) | instskip(NEXT) | instid1(VALU_DEP_2)
	v_cndmask_b32_e32 v0, v1, v0, vcc_lo
	v_and_b32_e32 v1, 0x80000000, v4
	s_delay_alu instid0(VALU_DEP_3) | instskip(NEXT) | instid1(VALU_DEP_3)
	v_lshl_add_u32 v4, v5, 23, 0x3b800000
	v_lshlrev_b32_e32 v0, 20, v0
	s_delay_alu instid0(VALU_DEP_1) | instskip(NEXT) | instid1(VALU_DEP_1)
	v_or3_b32 v0, v1, v4, v0
	v_trunc_f32_e32 v0, v0
	s_delay_alu instid0(VALU_DEP_1) | instskip(NEXT) | instid1(VALU_DEP_1)
	v_mul_f32_e64 v1, 0x2f800000, |v0|
	v_floor_f32_e32 v1, v1
	s_delay_alu instid0(VALU_DEP_1) | instskip(SKIP_2) | instid1(VALU_DEP_3)
	v_fma_f32 v4, 0xcf800000, v1, |v0|
	v_ashrrev_i32_e32 v0, 31, v0
	v_cvt_u32_f32_e32 v5, v1
	v_cvt_u32_f32_e32 v4, v4
	s_delay_alu instid0(VALU_DEP_2) | instskip(NEXT) | instid1(VALU_DEP_2)
	v_dual_mov_b32 v1, v0 :: v_dual_bitop2_b32 v5, v5, v0 bitop3:0x14
	v_xor_b32_e32 v4, v4, v0
	s_delay_alu instid0(VALU_DEP_1)
	v_sub_nc_u64_e32 v[0:1], v[4:5], v[0:1]
.LBB62_41:
	s_or_b32 exec_lo, exec_lo, s31
.LBB62_42:
	s_mov_b32 s31, -1
.LBB62_43:
	s_branch .LBB62_76
.LBB62_44:
	s_cmp_gt_i32 s1, 22
	s_cbranch_scc0 .LBB62_52
; %bb.45:
	s_cmp_lt_i32 s1, 24
	s_cbranch_scc1 .LBB62_55
; %bb.46:
	s_cmp_gt_i32 s1, 24
	s_cbranch_scc0 .LBB62_56
; %bb.47:
	global_load_u8 v4, v[2:3], off
	s_mov_b32 s34, 0
	s_mov_b32 s31, exec_lo
	s_wait_loadcnt 0x0
	v_cmpx_lt_i16_e32 0x7f, v4
	s_xor_b32 s31, exec_lo, s31
	s_cbranch_execz .LBB62_68
; %bb.48:
	v_cmp_ne_u16_e32 vcc_lo, 0x80, v4
	s_and_b32 s34, vcc_lo, exec_lo
	s_and_not1_saveexec_b32 s31, s31
	s_cbranch_execnz .LBB62_69
.LBB62_49:
	s_or_b32 exec_lo, exec_lo, s31
	v_mov_b64_e32 v[0:1], 0
	s_and_saveexec_b32 s31, s34
	s_cbranch_execz .LBB62_51
.LBB62_50:
	v_and_b32_e32 v0, 0xffff, v4
	s_delay_alu instid0(VALU_DEP_1) | instskip(SKIP_1) | instid1(VALU_DEP_2)
	v_and_b32_e32 v1, 3, v0
	v_bfe_u32 v7, v0, 2, 5
	v_clz_i32_u32_e32 v5, v1
	s_delay_alu instid0(VALU_DEP_2) | instskip(NEXT) | instid1(VALU_DEP_2)
	v_cmp_eq_u32_e32 vcc_lo, 0, v7
	v_min_u32_e32 v5, 32, v5
	s_delay_alu instid0(VALU_DEP_1) | instskip(NEXT) | instid1(VALU_DEP_1)
	v_subrev_nc_u32_e32 v6, 29, v5
	v_dual_lshlrev_b32 v0, v6, v0 :: v_dual_sub_nc_u32 v5, 30, v5
	s_delay_alu instid0(VALU_DEP_1) | instskip(NEXT) | instid1(VALU_DEP_2)
	v_and_b32_e32 v0, 3, v0
	v_dual_cndmask_b32 v5, v7, v5 :: v_dual_lshlrev_b32 v4, 24, v4
	s_delay_alu instid0(VALU_DEP_2) | instskip(NEXT) | instid1(VALU_DEP_2)
	v_cndmask_b32_e32 v0, v1, v0, vcc_lo
	v_and_b32_e32 v1, 0x80000000, v4
	s_delay_alu instid0(VALU_DEP_3) | instskip(NEXT) | instid1(VALU_DEP_3)
	v_lshl_add_u32 v4, v5, 23, 0x37800000
	v_lshlrev_b32_e32 v0, 21, v0
	s_delay_alu instid0(VALU_DEP_1) | instskip(NEXT) | instid1(VALU_DEP_1)
	v_or3_b32 v0, v1, v4, v0
	v_trunc_f32_e32 v0, v0
	s_delay_alu instid0(VALU_DEP_1) | instskip(NEXT) | instid1(VALU_DEP_1)
	v_mul_f32_e64 v1, 0x2f800000, |v0|
	v_floor_f32_e32 v1, v1
	s_delay_alu instid0(VALU_DEP_1) | instskip(SKIP_2) | instid1(VALU_DEP_3)
	v_fma_f32 v4, 0xcf800000, v1, |v0|
	v_ashrrev_i32_e32 v0, 31, v0
	v_cvt_u32_f32_e32 v5, v1
	v_cvt_u32_f32_e32 v4, v4
	s_delay_alu instid0(VALU_DEP_2) | instskip(NEXT) | instid1(VALU_DEP_2)
	v_dual_mov_b32 v1, v0 :: v_dual_bitop2_b32 v5, v5, v0 bitop3:0x14
	v_xor_b32_e32 v4, v4, v0
	s_delay_alu instid0(VALU_DEP_1)
	v_sub_nc_u64_e32 v[0:1], v[4:5], v[0:1]
.LBB62_51:
	s_or_b32 exec_lo, exec_lo, s31
	s_mov_b32 s31, 0
	s_branch .LBB62_57
.LBB62_52:
	s_mov_b32 s34, -1
                                        ; implicit-def: $vgpr0_vgpr1
	s_branch .LBB62_63
.LBB62_53:
	s_and_not1_saveexec_b32 s31, s31
	s_cbranch_execz .LBB62_39
.LBB62_54:
	v_cmp_ne_u16_e32 vcc_lo, 0, v4
	s_and_not1_b32 s34, s34, exec_lo
	s_and_b32 s35, vcc_lo, exec_lo
	s_delay_alu instid0(SALU_CYCLE_1)
	s_or_b32 s34, s34, s35
	s_or_b32 exec_lo, exec_lo, s31
	v_mov_b64_e32 v[0:1], 0
	s_and_saveexec_b32 s31, s34
	s_cbranch_execnz .LBB62_40
	s_branch .LBB62_41
.LBB62_55:
	s_mov_b32 s31, -1
                                        ; implicit-def: $vgpr0_vgpr1
	s_branch .LBB62_60
.LBB62_56:
	s_mov_b32 s31, -1
                                        ; implicit-def: $vgpr0_vgpr1
.LBB62_57:
	s_delay_alu instid0(SALU_CYCLE_1)
	s_and_b32 vcc_lo, exec_lo, s31
	s_cbranch_vccz .LBB62_59
; %bb.58:
	s_wait_loadcnt 0x0
	global_load_u8 v0, v[2:3], off
	s_wait_loadcnt 0x0
	v_lshlrev_b32_e32 v0, 24, v0
	s_delay_alu instid0(VALU_DEP_1) | instskip(NEXT) | instid1(VALU_DEP_1)
	v_and_b32_e32 v1, 0x7f000000, v0
	v_clz_i32_u32_e32 v4, v1
	v_cmp_ne_u32_e32 vcc_lo, 0, v1
	v_add_nc_u32_e32 v6, 0x1000000, v1
	s_delay_alu instid0(VALU_DEP_3) | instskip(NEXT) | instid1(VALU_DEP_1)
	v_min_u32_e32 v4, 32, v4
	v_sub_nc_u32_e64 v4, v4, 4 clamp
	s_delay_alu instid0(VALU_DEP_1) | instskip(NEXT) | instid1(VALU_DEP_1)
	v_dual_lshlrev_b32 v5, v4, v1 :: v_dual_lshlrev_b32 v4, 23, v4
	v_lshrrev_b32_e32 v5, 4, v5
	s_delay_alu instid0(VALU_DEP_1) | instskip(NEXT) | instid1(VALU_DEP_1)
	v_dual_sub_nc_u32 v4, v5, v4 :: v_dual_ashrrev_i32 v5, 8, v6
	v_add_nc_u32_e32 v4, 0x3c000000, v4
	s_delay_alu instid0(VALU_DEP_1) | instskip(NEXT) | instid1(VALU_DEP_1)
	v_and_or_b32 v4, 0x7f800000, v5, v4
	v_cndmask_b32_e32 v1, 0, v4, vcc_lo
	s_delay_alu instid0(VALU_DEP_1) | instskip(NEXT) | instid1(VALU_DEP_1)
	v_and_or_b32 v0, 0x80000000, v0, v1
	v_trunc_f32_e32 v0, v0
	s_delay_alu instid0(VALU_DEP_1) | instskip(NEXT) | instid1(VALU_DEP_1)
	v_mul_f32_e64 v1, 0x2f800000, |v0|
	v_floor_f32_e32 v1, v1
	s_delay_alu instid0(VALU_DEP_1) | instskip(SKIP_2) | instid1(VALU_DEP_3)
	v_fma_f32 v4, 0xcf800000, v1, |v0|
	v_ashrrev_i32_e32 v0, 31, v0
	v_cvt_u32_f32_e32 v5, v1
	v_cvt_u32_f32_e32 v4, v4
	s_delay_alu instid0(VALU_DEP_2) | instskip(NEXT) | instid1(VALU_DEP_2)
	v_dual_mov_b32 v1, v0 :: v_dual_bitop2_b32 v5, v5, v0 bitop3:0x14
	v_xor_b32_e32 v4, v4, v0
	s_delay_alu instid0(VALU_DEP_1)
	v_sub_nc_u64_e32 v[0:1], v[4:5], v[0:1]
.LBB62_59:
	s_mov_b32 s31, 0
.LBB62_60:
	s_delay_alu instid0(SALU_CYCLE_1)
	s_and_not1_b32 vcc_lo, exec_lo, s31
	s_cbranch_vccnz .LBB62_62
; %bb.61:
	s_wait_loadcnt 0x0
	global_load_u8 v0, v[2:3], off
	s_wait_loadcnt 0x0
	v_lshlrev_b32_e32 v1, 25, v0
	v_lshlrev_b16 v0, 8, v0
	s_delay_alu instid0(VALU_DEP_1) | instskip(SKIP_1) | instid1(VALU_DEP_2)
	v_and_or_b32 v5, 0x7f00, v0, 0.5
	v_bfe_i32 v0, v0, 0, 16
	v_add_f32_e32 v5, -0.5, v5
	v_lshrrev_b32_e32 v4, 4, v1
	v_cmp_gt_u32_e32 vcc_lo, 0x8000000, v1
	s_delay_alu instid0(VALU_DEP_2) | instskip(NEXT) | instid1(VALU_DEP_1)
	v_or_b32_e32 v4, 0x70000000, v4
	v_mul_f32_e32 v4, 0x7800000, v4
	s_delay_alu instid0(VALU_DEP_1) | instskip(NEXT) | instid1(VALU_DEP_1)
	v_cndmask_b32_e32 v1, v4, v5, vcc_lo
	v_and_or_b32 v0, 0x80000000, v0, v1
	s_delay_alu instid0(VALU_DEP_1) | instskip(NEXT) | instid1(VALU_DEP_1)
	v_trunc_f32_e32 v0, v0
	v_mul_f32_e64 v1, 0x2f800000, |v0|
	s_delay_alu instid0(VALU_DEP_1) | instskip(NEXT) | instid1(VALU_DEP_1)
	v_floor_f32_e32 v1, v1
	v_fma_f32 v4, 0xcf800000, v1, |v0|
	v_ashrrev_i32_e32 v0, 31, v0
	v_cvt_u32_f32_e32 v5, v1
	s_delay_alu instid0(VALU_DEP_3) | instskip(NEXT) | instid1(VALU_DEP_2)
	v_cvt_u32_f32_e32 v4, v4
	v_dual_mov_b32 v1, v0 :: v_dual_bitop2_b32 v5, v5, v0 bitop3:0x14
	s_delay_alu instid0(VALU_DEP_2) | instskip(NEXT) | instid1(VALU_DEP_1)
	v_xor_b32_e32 v4, v4, v0
	v_sub_nc_u64_e32 v[0:1], v[4:5], v[0:1]
.LBB62_62:
	s_mov_b32 s34, 0
	s_mov_b32 s31, -1
.LBB62_63:
	s_and_not1_b32 vcc_lo, exec_lo, s34
	s_cbranch_vccnz .LBB62_76
; %bb.64:
	s_cmp_gt_i32 s1, 14
	s_cbranch_scc0 .LBB62_67
; %bb.65:
	s_cmp_eq_u32 s1, 15
	s_cbranch_scc0 .LBB62_70
; %bb.66:
	s_wait_loadcnt 0x0
	global_load_u16 v0, v[2:3], off
	s_mov_b32 s31, -1
	s_mov_b32 s71, 0
	s_wait_loadcnt 0x0
	v_lshlrev_b32_e32 v0, 16, v0
	s_delay_alu instid0(VALU_DEP_1) | instskip(NEXT) | instid1(VALU_DEP_1)
	v_trunc_f32_e32 v0, v0
	v_mul_f32_e64 v1, 0x2f800000, |v0|
	s_delay_alu instid0(VALU_DEP_1) | instskip(NEXT) | instid1(VALU_DEP_1)
	v_floor_f32_e32 v1, v1
	v_fma_f32 v4, 0xcf800000, v1, |v0|
	v_ashrrev_i32_e32 v0, 31, v0
	v_cvt_u32_f32_e32 v5, v1
	s_delay_alu instid0(VALU_DEP_3) | instskip(NEXT) | instid1(VALU_DEP_2)
	v_cvt_u32_f32_e32 v4, v4
	v_dual_mov_b32 v1, v0 :: v_dual_bitop2_b32 v5, v5, v0 bitop3:0x14
	s_delay_alu instid0(VALU_DEP_2) | instskip(NEXT) | instid1(VALU_DEP_1)
	v_xor_b32_e32 v4, v4, v0
	v_sub_nc_u64_e32 v[0:1], v[4:5], v[0:1]
	s_branch .LBB62_71
.LBB62_67:
	s_mov_b32 s34, -1
                                        ; implicit-def: $vgpr0_vgpr1
	s_branch .LBB62_72
.LBB62_68:
	s_and_not1_saveexec_b32 s31, s31
	s_cbranch_execz .LBB62_49
.LBB62_69:
	v_cmp_ne_u16_e32 vcc_lo, 0, v4
	s_and_not1_b32 s34, s34, exec_lo
	s_and_b32 s35, vcc_lo, exec_lo
	s_delay_alu instid0(SALU_CYCLE_1)
	s_or_b32 s34, s34, s35
	s_or_b32 exec_lo, exec_lo, s31
	v_mov_b64_e32 v[0:1], 0
	s_and_saveexec_b32 s31, s34
	s_cbranch_execnz .LBB62_50
	s_branch .LBB62_51
.LBB62_70:
	s_mov_b32 s71, -1
                                        ; implicit-def: $vgpr0_vgpr1
.LBB62_71:
	s_mov_b32 s34, 0
.LBB62_72:
	s_delay_alu instid0(SALU_CYCLE_1)
	s_and_b32 vcc_lo, exec_lo, s34
	s_cbranch_vccz .LBB62_76
; %bb.73:
	s_cmp_eq_u32 s1, 11
	s_cbranch_scc0 .LBB62_75
; %bb.74:
	s_wait_loadcnt 0x0
	global_load_u8 v0, v[2:3], off
	s_mov_b32 s71, 0
	s_mov_b32 s31, -1
	v_mov_b32_e32 v1, s71
	s_wait_loadcnt 0x0
	v_cmp_ne_u16_e32 vcc_lo, 0, v0
	v_cndmask_b32_e64 v0, 0, 1, vcc_lo
	s_branch .LBB62_76
.LBB62_75:
	s_mov_b32 s71, -1
                                        ; implicit-def: $vgpr0_vgpr1
.LBB62_76:
	s_branch .LBB62_10
.LBB62_77:
	s_and_b32 s0, 0xffff, s0
	s_delay_alu instid0(SALU_CYCLE_1)
	s_cmp_lt_i32 s0, 5
	s_cbranch_scc1 .LBB62_82
; %bb.78:
	s_cmp_lt_i32 s0, 8
	s_cbranch_scc1 .LBB62_83
; %bb.79:
	s_cmp_lt_i32 s0, 9
	s_cbranch_scc1 .LBB62_84
; %bb.80:
	s_cmp_gt_i32 s0, 9
	s_cbranch_scc0 .LBB62_85
; %bb.81:
	s_wait_loadcnt 0x0
	global_load_b64 v[0:1], v[2:3], off
	s_mov_b32 s1, 0
	s_wait_loadcnt 0x0
	v_trunc_f64_e32 v[0:1], v[0:1]
	s_delay_alu instid0(VALU_DEP_1) | instskip(NEXT) | instid1(VALU_DEP_1)
	v_ldexp_f64 v[4:5], v[0:1], 0xffffffe0
	v_floor_f64_e32 v[4:5], v[4:5]
	s_delay_alu instid0(VALU_DEP_1) | instskip(SKIP_1) | instid1(VALU_DEP_2)
	v_fmamk_f64 v[6:7], v[4:5], 0xc1f00000, v[0:1]
	v_cvt_i32_f64_e32 v1, v[4:5]
	v_cvt_u32_f64_e32 v0, v[6:7]
	s_branch .LBB62_86
.LBB62_82:
                                        ; implicit-def: $vgpr0_vgpr1
	s_branch .LBB62_104
.LBB62_83:
	s_mov_b32 s1, -1
                                        ; implicit-def: $vgpr0_vgpr1
	s_branch .LBB62_92
.LBB62_84:
	s_mov_b32 s1, -1
                                        ; implicit-def: $vgpr0_vgpr1
	s_branch .LBB62_89
.LBB62_85:
	s_mov_b32 s1, -1
                                        ; implicit-def: $vgpr0_vgpr1
.LBB62_86:
	s_delay_alu instid0(SALU_CYCLE_1)
	s_and_not1_b32 vcc_lo, exec_lo, s1
	s_cbranch_vccnz .LBB62_88
; %bb.87:
	s_wait_loadcnt 0x0
	global_load_b32 v0, v[2:3], off
	s_wait_loadcnt 0x0
	v_trunc_f32_e32 v0, v0
	s_delay_alu instid0(VALU_DEP_1) | instskip(NEXT) | instid1(VALU_DEP_1)
	v_mul_f32_e64 v1, 0x2f800000, |v0|
	v_floor_f32_e32 v1, v1
	s_delay_alu instid0(VALU_DEP_1) | instskip(SKIP_2) | instid1(VALU_DEP_3)
	v_fma_f32 v4, 0xcf800000, v1, |v0|
	v_ashrrev_i32_e32 v0, 31, v0
	v_cvt_u32_f32_e32 v5, v1
	v_cvt_u32_f32_e32 v4, v4
	s_delay_alu instid0(VALU_DEP_2) | instskip(NEXT) | instid1(VALU_DEP_2)
	v_dual_mov_b32 v1, v0 :: v_dual_bitop2_b32 v5, v5, v0 bitop3:0x14
	v_xor_b32_e32 v4, v4, v0
	s_delay_alu instid0(VALU_DEP_1)
	v_sub_nc_u64_e32 v[0:1], v[4:5], v[0:1]
.LBB62_88:
	s_mov_b32 s1, 0
.LBB62_89:
	s_delay_alu instid0(SALU_CYCLE_1)
	s_and_not1_b32 vcc_lo, exec_lo, s1
	s_cbranch_vccnz .LBB62_91
; %bb.90:
	s_wait_loadcnt 0x0
	global_load_b32 v0, v[2:3], off
	s_wait_loadcnt 0x0
	v_cvt_f32_f16_e32 v0, v0
	s_delay_alu instid0(VALU_DEP_1) | instskip(NEXT) | instid1(VALU_DEP_1)
	v_cvt_i32_f32_e32 v0, v0
	v_ashrrev_i32_e32 v1, 31, v0
.LBB62_91:
	s_mov_b32 s1, 0
.LBB62_92:
	s_delay_alu instid0(SALU_CYCLE_1)
	s_and_not1_b32 vcc_lo, exec_lo, s1
	s_cbranch_vccnz .LBB62_103
; %bb.93:
	s_cmp_lt_i32 s0, 6
	s_cbranch_scc1 .LBB62_96
; %bb.94:
	s_cmp_gt_i32 s0, 6
	s_cbranch_scc0 .LBB62_97
; %bb.95:
	s_wait_loadcnt 0x0
	global_load_b64 v[0:1], v[2:3], off
	s_mov_b32 s1, 0
	s_wait_loadcnt 0x0
	v_trunc_f64_e32 v[0:1], v[0:1]
	s_delay_alu instid0(VALU_DEP_1) | instskip(NEXT) | instid1(VALU_DEP_1)
	v_ldexp_f64 v[4:5], v[0:1], 0xffffffe0
	v_floor_f64_e32 v[4:5], v[4:5]
	s_delay_alu instid0(VALU_DEP_1) | instskip(SKIP_1) | instid1(VALU_DEP_2)
	v_fmamk_f64 v[6:7], v[4:5], 0xc1f00000, v[0:1]
	v_cvt_i32_f64_e32 v1, v[4:5]
	v_cvt_u32_f64_e32 v0, v[6:7]
	s_branch .LBB62_98
.LBB62_96:
	s_mov_b32 s1, -1
                                        ; implicit-def: $vgpr0_vgpr1
	s_branch .LBB62_101
.LBB62_97:
	s_mov_b32 s1, -1
                                        ; implicit-def: $vgpr0_vgpr1
.LBB62_98:
	s_delay_alu instid0(SALU_CYCLE_1)
	s_and_not1_b32 vcc_lo, exec_lo, s1
	s_cbranch_vccnz .LBB62_100
; %bb.99:
	s_wait_loadcnt 0x0
	global_load_b32 v0, v[2:3], off
	s_wait_loadcnt 0x0
	v_trunc_f32_e32 v0, v0
	s_delay_alu instid0(VALU_DEP_1) | instskip(NEXT) | instid1(VALU_DEP_1)
	v_mul_f32_e64 v1, 0x2f800000, |v0|
	v_floor_f32_e32 v1, v1
	s_delay_alu instid0(VALU_DEP_1) | instskip(SKIP_2) | instid1(VALU_DEP_3)
	v_fma_f32 v4, 0xcf800000, v1, |v0|
	v_ashrrev_i32_e32 v0, 31, v0
	v_cvt_u32_f32_e32 v5, v1
	v_cvt_u32_f32_e32 v4, v4
	s_delay_alu instid0(VALU_DEP_2) | instskip(NEXT) | instid1(VALU_DEP_2)
	v_dual_mov_b32 v1, v0 :: v_dual_bitop2_b32 v5, v5, v0 bitop3:0x14
	v_xor_b32_e32 v4, v4, v0
	s_delay_alu instid0(VALU_DEP_1)
	v_sub_nc_u64_e32 v[0:1], v[4:5], v[0:1]
.LBB62_100:
	s_mov_b32 s1, 0
.LBB62_101:
	s_delay_alu instid0(SALU_CYCLE_1)
	s_and_not1_b32 vcc_lo, exec_lo, s1
	s_cbranch_vccnz .LBB62_103
; %bb.102:
	s_wait_loadcnt 0x0
	global_load_u16 v0, v[2:3], off
	s_wait_loadcnt 0x0
	v_cvt_f32_f16_e32 v0, v0
	s_delay_alu instid0(VALU_DEP_1) | instskip(NEXT) | instid1(VALU_DEP_1)
	v_cvt_i32_f32_e32 v0, v0
	v_ashrrev_i32_e32 v1, 31, v0
.LBB62_103:
	s_cbranch_execnz .LBB62_123
.LBB62_104:
	s_cmp_lt_i32 s0, 2
	s_cbranch_scc1 .LBB62_108
; %bb.105:
	s_cmp_lt_i32 s0, 3
	s_cbranch_scc1 .LBB62_109
; %bb.106:
	s_cmp_gt_i32 s0, 3
	s_cbranch_scc0 .LBB62_110
; %bb.107:
	s_wait_loadcnt 0x0
	global_load_b64 v[0:1], v[2:3], off
	s_mov_b32 s1, 0
	s_branch .LBB62_111
.LBB62_108:
	s_mov_b32 s1, -1
                                        ; implicit-def: $vgpr0_vgpr1
	s_branch .LBB62_117
.LBB62_109:
	s_mov_b32 s1, -1
                                        ; implicit-def: $vgpr0_vgpr1
	s_branch .LBB62_114
.LBB62_110:
	s_mov_b32 s1, -1
                                        ; implicit-def: $vgpr0_vgpr1
.LBB62_111:
	s_delay_alu instid0(SALU_CYCLE_1)
	s_and_not1_b32 vcc_lo, exec_lo, s1
	s_cbranch_vccnz .LBB62_113
; %bb.112:
	s_wait_loadcnt 0x0
	global_load_b32 v0, v[2:3], off
	s_wait_loadcnt 0x0
	v_ashrrev_i32_e32 v1, 31, v0
.LBB62_113:
	s_mov_b32 s1, 0
.LBB62_114:
	s_delay_alu instid0(SALU_CYCLE_1)
	s_and_not1_b32 vcc_lo, exec_lo, s1
	s_cbranch_vccnz .LBB62_116
; %bb.115:
	s_wait_loadcnt 0x0
	global_load_u16 v0, v[2:3], off
	s_wait_loadcnt 0x0
	v_bfe_i32 v0, v0, 0, 16
	s_delay_alu instid0(VALU_DEP_1)
	v_ashrrev_i32_e32 v1, 31, v0
.LBB62_116:
	s_mov_b32 s1, 0
.LBB62_117:
	s_delay_alu instid0(SALU_CYCLE_1)
	s_and_not1_b32 vcc_lo, exec_lo, s1
	s_cbranch_vccnz .LBB62_123
; %bb.118:
	s_cmp_gt_i32 s0, 0
	s_mov_b32 s0, 0
	s_cbranch_scc0 .LBB62_120
; %bb.119:
	s_wait_loadcnt 0x0
	global_load_i8 v0, v[2:3], off
	s_wait_loadcnt 0x0
	v_bfe_i32 v0, v0, 0, 16
	s_delay_alu instid0(VALU_DEP_1)
	v_ashrrev_i32_e32 v1, 31, v0
	s_branch .LBB62_121
.LBB62_120:
	s_mov_b32 s0, -1
                                        ; implicit-def: $vgpr0_vgpr1
.LBB62_121:
	s_delay_alu instid0(SALU_CYCLE_1)
	s_and_not1_b32 vcc_lo, exec_lo, s0
	s_cbranch_vccnz .LBB62_123
; %bb.122:
	s_wait_loadcnt 0x0
	global_load_u8 v0, v[2:3], off
	s_mov_b32 s0, 0
	s_delay_alu instid0(SALU_CYCLE_1)
	v_mov_b32_e32 v1, s0
	s_wait_loadcnt 0x0
	v_and_b32_e32 v0, 0xffff, v0
.LBB62_123:
.LBB62_124:
	s_wait_xcnt 0x0
	v_mul_lo_u32 v2, v22, s18
	s_and_b32 s0, s33, 0xff
	s_delay_alu instid0(SALU_CYCLE_1) | instskip(NEXT) | instid1(VALU_DEP_1)
	s_cmp_lt_i32 s0, 11
	v_ashrrev_i32_e32 v3, 31, v2
	s_delay_alu instid0(VALU_DEP_1)
	v_add_nc_u64_e32 v[4:5], s[8:9], v[2:3]
	s_cbranch_scc1 .LBB62_131
; %bb.125:
	s_and_b32 s1, 0xffff, s0
	s_delay_alu instid0(SALU_CYCLE_1)
	s_cmp_gt_i32 s1, 25
	s_cbranch_scc0 .LBB62_133
; %bb.126:
	s_cmp_gt_i32 s1, 28
	s_cbranch_scc0 .LBB62_134
; %bb.127:
	;; [unrolled: 3-line block ×4, first 2 shown]
	s_cmp_eq_u32 s1, 46
	s_mov_b32 s34, 0
	s_cbranch_scc0 .LBB62_137
; %bb.130:
	global_load_b32 v2, v[4:5], off
	s_mov_b32 s31, -1
	s_wait_loadcnt 0x0
	v_lshlrev_b32_e32 v2, 16, v2
	s_delay_alu instid0(VALU_DEP_1) | instskip(NEXT) | instid1(VALU_DEP_1)
	v_trunc_f32_e32 v2, v2
	v_mul_f32_e64 v3, 0x2f800000, |v2|
	s_delay_alu instid0(VALU_DEP_1) | instskip(NEXT) | instid1(VALU_DEP_1)
	v_floor_f32_e32 v3, v3
	v_fma_f32 v6, 0xcf800000, v3, |v2|
	v_ashrrev_i32_e32 v2, 31, v2
	v_cvt_u32_f32_e32 v7, v3
	s_delay_alu instid0(VALU_DEP_3) | instskip(NEXT) | instid1(VALU_DEP_2)
	v_cvt_u32_f32_e32 v6, v6
	v_dual_mov_b32 v3, v2 :: v_dual_bitop2_b32 v7, v7, v2 bitop3:0x14
	s_delay_alu instid0(VALU_DEP_2) | instskip(NEXT) | instid1(VALU_DEP_1)
	v_xor_b32_e32 v6, v6, v2
	v_sub_nc_u64_e32 v[2:3], v[6:7], v[2:3]
	s_branch .LBB62_139
.LBB62_131:
	s_mov_b32 s31, 0
                                        ; implicit-def: $vgpr2_vgpr3
	s_cbranch_execnz .LBB62_200
.LBB62_132:
	s_and_not1_b32 vcc_lo, exec_lo, s31
	s_cbranch_vccnz .LBB62_628
	s_branch .LBB62_248
.LBB62_133:
	s_mov_b32 s34, -1
	s_mov_b32 s31, 0
                                        ; implicit-def: $vgpr2_vgpr3
	s_branch .LBB62_166
.LBB62_134:
	s_mov_b32 s34, -1
	s_mov_b32 s31, 0
                                        ; implicit-def: $vgpr2_vgpr3
	s_branch .LBB62_149
.LBB62_135:
	s_mov_b32 s34, -1
	s_mov_b32 s31, 0
                                        ; implicit-def: $vgpr2_vgpr3
	s_branch .LBB62_144
.LBB62_136:
	s_mov_b32 s34, -1
	s_branch .LBB62_138
.LBB62_137:
	s_mov_b32 s70, -1
.LBB62_138:
	s_mov_b32 s31, 0
                                        ; implicit-def: $vgpr2_vgpr3
.LBB62_139:
	s_and_b32 vcc_lo, exec_lo, s34
	s_cbranch_vccz .LBB62_143
; %bb.140:
	s_cmp_eq_u32 s1, 44
	s_cbranch_scc0 .LBB62_142
; %bb.141:
	global_load_u8 v8, v[4:5], off
	s_mov_b32 s70, 0
	s_mov_b32 s31, -1
	s_wait_loadcnt 0x0
	v_cmp_ne_u32_e32 vcc_lo, 0, v8
	v_lshlrev_b32_e32 v2, 23, v8
	s_delay_alu instid0(VALU_DEP_1) | instskip(NEXT) | instid1(VALU_DEP_1)
	v_trunc_f32_e32 v2, v2
	v_mul_f32_e64 v3, 0x2f800000, |v2|
	s_delay_alu instid0(VALU_DEP_1) | instskip(NEXT) | instid1(VALU_DEP_1)
	v_floor_f32_e32 v3, v3
	v_fma_f32 v6, 0xcf800000, v3, |v2|
	v_ashrrev_i32_e32 v2, 31, v2
	v_cvt_u32_f32_e32 v7, v3
	s_delay_alu instid0(VALU_DEP_3) | instskip(NEXT) | instid1(VALU_DEP_2)
	v_cvt_u32_f32_e32 v6, v6
	v_dual_mov_b32 v3, v2 :: v_dual_bitop2_b32 v7, v7, v2 bitop3:0x14
	s_delay_alu instid0(VALU_DEP_2) | instskip(NEXT) | instid1(VALU_DEP_1)
	v_xor_b32_e32 v6, v6, v2
	v_sub_nc_u64_e32 v[2:3], v[6:7], v[2:3]
	s_delay_alu instid0(VALU_DEP_1)
	v_dual_cndmask_b32 v3, 0, v3 :: v_dual_cndmask_b32 v2, 0, v2
	s_branch .LBB62_143
.LBB62_142:
	s_mov_b32 s70, -1
                                        ; implicit-def: $vgpr2_vgpr3
.LBB62_143:
	s_mov_b32 s34, 0
.LBB62_144:
	s_delay_alu instid0(SALU_CYCLE_1)
	s_and_b32 vcc_lo, exec_lo, s34
	s_cbranch_vccz .LBB62_148
; %bb.145:
	s_cmp_eq_u32 s1, 29
	s_cbranch_scc0 .LBB62_147
; %bb.146:
	global_load_b64 v[2:3], v[4:5], off
	s_mov_b32 s31, -1
	s_mov_b32 s70, 0
	s_branch .LBB62_148
.LBB62_147:
	s_mov_b32 s70, -1
                                        ; implicit-def: $vgpr2_vgpr3
.LBB62_148:
	s_mov_b32 s34, 0
.LBB62_149:
	s_delay_alu instid0(SALU_CYCLE_1)
	s_and_b32 vcc_lo, exec_lo, s34
	s_cbranch_vccz .LBB62_165
; %bb.150:
	s_cmp_lt_i32 s1, 27
	s_cbranch_scc1 .LBB62_153
; %bb.151:
	s_cmp_gt_i32 s1, 27
	s_cbranch_scc0 .LBB62_154
; %bb.152:
	s_wait_loadcnt 0x0
	global_load_b32 v2, v[4:5], off
	v_mov_b32_e32 v3, 0
	s_mov_b32 s31, 0
	s_branch .LBB62_155
.LBB62_153:
	s_mov_b32 s31, -1
                                        ; implicit-def: $vgpr2_vgpr3
	s_branch .LBB62_158
.LBB62_154:
	s_mov_b32 s31, -1
                                        ; implicit-def: $vgpr2_vgpr3
.LBB62_155:
	s_delay_alu instid0(SALU_CYCLE_1)
	s_and_not1_b32 vcc_lo, exec_lo, s31
	s_cbranch_vccnz .LBB62_157
; %bb.156:
	s_wait_loadcnt 0x0
	global_load_u16 v2, v[4:5], off
	s_mov_b32 s31, 0
	s_delay_alu instid0(SALU_CYCLE_1)
	v_mov_b32_e32 v3, s31
	s_wait_loadcnt 0x0
	v_and_b32_e32 v2, 0xffff, v2
.LBB62_157:
	s_mov_b32 s31, 0
.LBB62_158:
	s_delay_alu instid0(SALU_CYCLE_1)
	s_and_not1_b32 vcc_lo, exec_lo, s31
	s_cbranch_vccnz .LBB62_164
; %bb.159:
	global_load_u8 v6, v[4:5], off
	s_mov_b32 s34, 0
	s_mov_b32 s31, exec_lo
	s_wait_loadcnt 0x0
	v_cmpx_lt_i16_e32 0x7f, v6
	s_xor_b32 s31, exec_lo, s31
	s_cbranch_execz .LBB62_176
; %bb.160:
	v_cmp_ne_u16_e32 vcc_lo, 0x80, v6
	s_and_b32 s34, vcc_lo, exec_lo
	s_and_not1_saveexec_b32 s31, s31
	s_cbranch_execnz .LBB62_177
.LBB62_161:
	s_or_b32 exec_lo, exec_lo, s31
	v_mov_b64_e32 v[2:3], 0
	s_and_saveexec_b32 s31, s34
	s_cbranch_execz .LBB62_163
.LBB62_162:
	v_and_b32_e32 v2, 0xffff, v6
	s_delay_alu instid0(VALU_DEP_1) | instskip(SKIP_1) | instid1(VALU_DEP_2)
	v_and_b32_e32 v3, 7, v2
	v_bfe_u32 v9, v2, 3, 4
	v_clz_i32_u32_e32 v7, v3
	s_delay_alu instid0(VALU_DEP_2) | instskip(NEXT) | instid1(VALU_DEP_2)
	v_cmp_eq_u32_e32 vcc_lo, 0, v9
	v_min_u32_e32 v7, 32, v7
	s_delay_alu instid0(VALU_DEP_1) | instskip(NEXT) | instid1(VALU_DEP_1)
	v_subrev_nc_u32_e32 v8, 28, v7
	v_dual_lshlrev_b32 v2, v8, v2 :: v_dual_sub_nc_u32 v7, 29, v7
	s_delay_alu instid0(VALU_DEP_1) | instskip(NEXT) | instid1(VALU_DEP_2)
	v_and_b32_e32 v2, 7, v2
	v_dual_cndmask_b32 v7, v9, v7 :: v_dual_lshlrev_b32 v6, 24, v6
	s_delay_alu instid0(VALU_DEP_2) | instskip(NEXT) | instid1(VALU_DEP_2)
	v_cndmask_b32_e32 v2, v3, v2, vcc_lo
	v_and_b32_e32 v3, 0x80000000, v6
	s_delay_alu instid0(VALU_DEP_3) | instskip(NEXT) | instid1(VALU_DEP_3)
	v_lshl_add_u32 v6, v7, 23, 0x3b800000
	v_lshlrev_b32_e32 v2, 20, v2
	s_delay_alu instid0(VALU_DEP_1) | instskip(NEXT) | instid1(VALU_DEP_1)
	v_or3_b32 v2, v3, v6, v2
	v_trunc_f32_e32 v2, v2
	s_delay_alu instid0(VALU_DEP_1) | instskip(NEXT) | instid1(VALU_DEP_1)
	v_mul_f32_e64 v3, 0x2f800000, |v2|
	v_floor_f32_e32 v3, v3
	s_delay_alu instid0(VALU_DEP_1) | instskip(SKIP_2) | instid1(VALU_DEP_3)
	v_fma_f32 v6, 0xcf800000, v3, |v2|
	v_ashrrev_i32_e32 v2, 31, v2
	v_cvt_u32_f32_e32 v7, v3
	v_cvt_u32_f32_e32 v6, v6
	s_delay_alu instid0(VALU_DEP_2) | instskip(NEXT) | instid1(VALU_DEP_2)
	v_dual_mov_b32 v3, v2 :: v_dual_bitop2_b32 v7, v7, v2 bitop3:0x14
	v_xor_b32_e32 v6, v6, v2
	s_delay_alu instid0(VALU_DEP_1)
	v_sub_nc_u64_e32 v[2:3], v[6:7], v[2:3]
.LBB62_163:
	s_or_b32 exec_lo, exec_lo, s31
.LBB62_164:
	s_mov_b32 s31, -1
.LBB62_165:
	s_mov_b32 s34, 0
.LBB62_166:
	s_delay_alu instid0(SALU_CYCLE_1)
	s_and_b32 vcc_lo, exec_lo, s34
	s_cbranch_vccz .LBB62_199
; %bb.167:
	s_cmp_gt_i32 s1, 22
	s_cbranch_scc0 .LBB62_175
; %bb.168:
	s_cmp_lt_i32 s1, 24
	s_cbranch_scc1 .LBB62_178
; %bb.169:
	s_cmp_gt_i32 s1, 24
	s_cbranch_scc0 .LBB62_179
; %bb.170:
	global_load_u8 v6, v[4:5], off
	s_mov_b32 s34, 0
	s_mov_b32 s31, exec_lo
	s_wait_loadcnt 0x0
	v_cmpx_lt_i16_e32 0x7f, v6
	s_xor_b32 s31, exec_lo, s31
	s_cbranch_execz .LBB62_191
; %bb.171:
	v_cmp_ne_u16_e32 vcc_lo, 0x80, v6
	s_and_b32 s34, vcc_lo, exec_lo
	s_and_not1_saveexec_b32 s31, s31
	s_cbranch_execnz .LBB62_192
.LBB62_172:
	s_or_b32 exec_lo, exec_lo, s31
	v_mov_b64_e32 v[2:3], 0
	s_and_saveexec_b32 s31, s34
	s_cbranch_execz .LBB62_174
.LBB62_173:
	v_and_b32_e32 v2, 0xffff, v6
	s_delay_alu instid0(VALU_DEP_1) | instskip(SKIP_1) | instid1(VALU_DEP_2)
	v_and_b32_e32 v3, 3, v2
	v_bfe_u32 v9, v2, 2, 5
	v_clz_i32_u32_e32 v7, v3
	s_delay_alu instid0(VALU_DEP_2) | instskip(NEXT) | instid1(VALU_DEP_2)
	v_cmp_eq_u32_e32 vcc_lo, 0, v9
	v_min_u32_e32 v7, 32, v7
	s_delay_alu instid0(VALU_DEP_1) | instskip(NEXT) | instid1(VALU_DEP_1)
	v_subrev_nc_u32_e32 v8, 29, v7
	v_dual_lshlrev_b32 v2, v8, v2 :: v_dual_sub_nc_u32 v7, 30, v7
	s_delay_alu instid0(VALU_DEP_1) | instskip(NEXT) | instid1(VALU_DEP_2)
	v_and_b32_e32 v2, 3, v2
	v_dual_cndmask_b32 v7, v9, v7 :: v_dual_lshlrev_b32 v6, 24, v6
	s_delay_alu instid0(VALU_DEP_2) | instskip(NEXT) | instid1(VALU_DEP_2)
	v_cndmask_b32_e32 v2, v3, v2, vcc_lo
	v_and_b32_e32 v3, 0x80000000, v6
	s_delay_alu instid0(VALU_DEP_3) | instskip(NEXT) | instid1(VALU_DEP_3)
	v_lshl_add_u32 v6, v7, 23, 0x37800000
	v_lshlrev_b32_e32 v2, 21, v2
	s_delay_alu instid0(VALU_DEP_1) | instskip(NEXT) | instid1(VALU_DEP_1)
	v_or3_b32 v2, v3, v6, v2
	v_trunc_f32_e32 v2, v2
	s_delay_alu instid0(VALU_DEP_1) | instskip(NEXT) | instid1(VALU_DEP_1)
	v_mul_f32_e64 v3, 0x2f800000, |v2|
	v_floor_f32_e32 v3, v3
	s_delay_alu instid0(VALU_DEP_1) | instskip(SKIP_2) | instid1(VALU_DEP_3)
	v_fma_f32 v6, 0xcf800000, v3, |v2|
	v_ashrrev_i32_e32 v2, 31, v2
	v_cvt_u32_f32_e32 v7, v3
	v_cvt_u32_f32_e32 v6, v6
	s_delay_alu instid0(VALU_DEP_2) | instskip(NEXT) | instid1(VALU_DEP_2)
	v_dual_mov_b32 v3, v2 :: v_dual_bitop2_b32 v7, v7, v2 bitop3:0x14
	v_xor_b32_e32 v6, v6, v2
	s_delay_alu instid0(VALU_DEP_1)
	v_sub_nc_u64_e32 v[2:3], v[6:7], v[2:3]
.LBB62_174:
	s_or_b32 exec_lo, exec_lo, s31
	s_mov_b32 s31, 0
	s_branch .LBB62_180
.LBB62_175:
	s_mov_b32 s34, -1
                                        ; implicit-def: $vgpr2_vgpr3
	s_branch .LBB62_186
.LBB62_176:
	s_and_not1_saveexec_b32 s31, s31
	s_cbranch_execz .LBB62_161
.LBB62_177:
	v_cmp_ne_u16_e32 vcc_lo, 0, v6
	s_and_not1_b32 s34, s34, exec_lo
	s_and_b32 s35, vcc_lo, exec_lo
	s_delay_alu instid0(SALU_CYCLE_1)
	s_or_b32 s34, s34, s35
	s_or_b32 exec_lo, exec_lo, s31
	v_mov_b64_e32 v[2:3], 0
	s_and_saveexec_b32 s31, s34
	s_cbranch_execnz .LBB62_162
	s_branch .LBB62_163
.LBB62_178:
	s_mov_b32 s31, -1
                                        ; implicit-def: $vgpr2_vgpr3
	s_branch .LBB62_183
.LBB62_179:
	s_mov_b32 s31, -1
                                        ; implicit-def: $vgpr2_vgpr3
.LBB62_180:
	s_delay_alu instid0(SALU_CYCLE_1)
	s_and_b32 vcc_lo, exec_lo, s31
	s_cbranch_vccz .LBB62_182
; %bb.181:
	s_wait_loadcnt 0x0
	global_load_u8 v2, v[4:5], off
	s_wait_loadcnt 0x0
	v_lshlrev_b32_e32 v2, 24, v2
	s_delay_alu instid0(VALU_DEP_1) | instskip(NEXT) | instid1(VALU_DEP_1)
	v_and_b32_e32 v3, 0x7f000000, v2
	v_clz_i32_u32_e32 v6, v3
	v_cmp_ne_u32_e32 vcc_lo, 0, v3
	v_add_nc_u32_e32 v8, 0x1000000, v3
	s_delay_alu instid0(VALU_DEP_3) | instskip(NEXT) | instid1(VALU_DEP_1)
	v_min_u32_e32 v6, 32, v6
	v_sub_nc_u32_e64 v6, v6, 4 clamp
	s_delay_alu instid0(VALU_DEP_1) | instskip(NEXT) | instid1(VALU_DEP_1)
	v_dual_lshlrev_b32 v7, v6, v3 :: v_dual_lshlrev_b32 v6, 23, v6
	v_lshrrev_b32_e32 v7, 4, v7
	s_delay_alu instid0(VALU_DEP_1) | instskip(NEXT) | instid1(VALU_DEP_1)
	v_dual_sub_nc_u32 v6, v7, v6 :: v_dual_ashrrev_i32 v7, 8, v8
	v_add_nc_u32_e32 v6, 0x3c000000, v6
	s_delay_alu instid0(VALU_DEP_1) | instskip(NEXT) | instid1(VALU_DEP_1)
	v_and_or_b32 v6, 0x7f800000, v7, v6
	v_cndmask_b32_e32 v3, 0, v6, vcc_lo
	s_delay_alu instid0(VALU_DEP_1) | instskip(NEXT) | instid1(VALU_DEP_1)
	v_and_or_b32 v2, 0x80000000, v2, v3
	v_trunc_f32_e32 v2, v2
	s_delay_alu instid0(VALU_DEP_1) | instskip(NEXT) | instid1(VALU_DEP_1)
	v_mul_f32_e64 v3, 0x2f800000, |v2|
	v_floor_f32_e32 v3, v3
	s_delay_alu instid0(VALU_DEP_1) | instskip(SKIP_2) | instid1(VALU_DEP_3)
	v_fma_f32 v6, 0xcf800000, v3, |v2|
	v_ashrrev_i32_e32 v2, 31, v2
	v_cvt_u32_f32_e32 v7, v3
	v_cvt_u32_f32_e32 v6, v6
	s_delay_alu instid0(VALU_DEP_2) | instskip(NEXT) | instid1(VALU_DEP_2)
	v_dual_mov_b32 v3, v2 :: v_dual_bitop2_b32 v7, v7, v2 bitop3:0x14
	v_xor_b32_e32 v6, v6, v2
	s_delay_alu instid0(VALU_DEP_1)
	v_sub_nc_u64_e32 v[2:3], v[6:7], v[2:3]
.LBB62_182:
	s_mov_b32 s31, 0
.LBB62_183:
	s_delay_alu instid0(SALU_CYCLE_1)
	s_and_not1_b32 vcc_lo, exec_lo, s31
	s_cbranch_vccnz .LBB62_185
; %bb.184:
	s_wait_loadcnt 0x0
	global_load_u8 v2, v[4:5], off
	s_wait_loadcnt 0x0
	v_lshlrev_b32_e32 v3, 25, v2
	v_lshlrev_b16 v2, 8, v2
	s_delay_alu instid0(VALU_DEP_1) | instskip(SKIP_1) | instid1(VALU_DEP_2)
	v_and_or_b32 v7, 0x7f00, v2, 0.5
	v_bfe_i32 v2, v2, 0, 16
	v_add_f32_e32 v7, -0.5, v7
	v_lshrrev_b32_e32 v6, 4, v3
	v_cmp_gt_u32_e32 vcc_lo, 0x8000000, v3
	s_delay_alu instid0(VALU_DEP_2) | instskip(NEXT) | instid1(VALU_DEP_1)
	v_or_b32_e32 v6, 0x70000000, v6
	v_mul_f32_e32 v6, 0x7800000, v6
	s_delay_alu instid0(VALU_DEP_1) | instskip(NEXT) | instid1(VALU_DEP_1)
	v_cndmask_b32_e32 v3, v6, v7, vcc_lo
	v_and_or_b32 v2, 0x80000000, v2, v3
	s_delay_alu instid0(VALU_DEP_1) | instskip(NEXT) | instid1(VALU_DEP_1)
	v_trunc_f32_e32 v2, v2
	v_mul_f32_e64 v3, 0x2f800000, |v2|
	s_delay_alu instid0(VALU_DEP_1) | instskip(NEXT) | instid1(VALU_DEP_1)
	v_floor_f32_e32 v3, v3
	v_fma_f32 v6, 0xcf800000, v3, |v2|
	v_ashrrev_i32_e32 v2, 31, v2
	v_cvt_u32_f32_e32 v7, v3
	s_delay_alu instid0(VALU_DEP_3) | instskip(NEXT) | instid1(VALU_DEP_2)
	v_cvt_u32_f32_e32 v6, v6
	v_dual_mov_b32 v3, v2 :: v_dual_bitop2_b32 v7, v7, v2 bitop3:0x14
	s_delay_alu instid0(VALU_DEP_2) | instskip(NEXT) | instid1(VALU_DEP_1)
	v_xor_b32_e32 v6, v6, v2
	v_sub_nc_u64_e32 v[2:3], v[6:7], v[2:3]
.LBB62_185:
	s_mov_b32 s34, 0
	s_mov_b32 s31, -1
.LBB62_186:
	s_and_not1_b32 vcc_lo, exec_lo, s34
	s_cbranch_vccnz .LBB62_199
; %bb.187:
	s_cmp_gt_i32 s1, 14
	s_cbranch_scc0 .LBB62_190
; %bb.188:
	s_cmp_eq_u32 s1, 15
	s_cbranch_scc0 .LBB62_193
; %bb.189:
	s_wait_loadcnt 0x0
	global_load_u16 v2, v[4:5], off
	s_mov_b32 s31, -1
	s_mov_b32 s70, 0
	s_wait_loadcnt 0x0
	v_lshlrev_b32_e32 v2, 16, v2
	s_delay_alu instid0(VALU_DEP_1) | instskip(NEXT) | instid1(VALU_DEP_1)
	v_trunc_f32_e32 v2, v2
	v_mul_f32_e64 v3, 0x2f800000, |v2|
	s_delay_alu instid0(VALU_DEP_1) | instskip(NEXT) | instid1(VALU_DEP_1)
	v_floor_f32_e32 v3, v3
	v_fma_f32 v6, 0xcf800000, v3, |v2|
	v_ashrrev_i32_e32 v2, 31, v2
	v_cvt_u32_f32_e32 v7, v3
	s_delay_alu instid0(VALU_DEP_3) | instskip(NEXT) | instid1(VALU_DEP_2)
	v_cvt_u32_f32_e32 v6, v6
	v_dual_mov_b32 v3, v2 :: v_dual_bitop2_b32 v7, v7, v2 bitop3:0x14
	s_delay_alu instid0(VALU_DEP_2) | instskip(NEXT) | instid1(VALU_DEP_1)
	v_xor_b32_e32 v6, v6, v2
	v_sub_nc_u64_e32 v[2:3], v[6:7], v[2:3]
	s_branch .LBB62_194
.LBB62_190:
	s_mov_b32 s34, -1
                                        ; implicit-def: $vgpr2_vgpr3
	s_branch .LBB62_195
.LBB62_191:
	s_and_not1_saveexec_b32 s31, s31
	s_cbranch_execz .LBB62_172
.LBB62_192:
	v_cmp_ne_u16_e32 vcc_lo, 0, v6
	s_and_not1_b32 s34, s34, exec_lo
	s_and_b32 s35, vcc_lo, exec_lo
	s_delay_alu instid0(SALU_CYCLE_1)
	s_or_b32 s34, s34, s35
	s_or_b32 exec_lo, exec_lo, s31
	v_mov_b64_e32 v[2:3], 0
	s_and_saveexec_b32 s31, s34
	s_cbranch_execnz .LBB62_173
	s_branch .LBB62_174
.LBB62_193:
	s_mov_b32 s70, -1
                                        ; implicit-def: $vgpr2_vgpr3
.LBB62_194:
	s_mov_b32 s34, 0
.LBB62_195:
	s_delay_alu instid0(SALU_CYCLE_1)
	s_and_b32 vcc_lo, exec_lo, s34
	s_cbranch_vccz .LBB62_199
; %bb.196:
	s_cmp_eq_u32 s1, 11
	s_cbranch_scc0 .LBB62_198
; %bb.197:
	s_wait_loadcnt 0x0
	global_load_u8 v2, v[4:5], off
	s_mov_b32 s70, 0
	s_mov_b32 s31, -1
	v_mov_b32_e32 v3, s70
	s_wait_loadcnt 0x0
	v_cmp_ne_u16_e32 vcc_lo, 0, v2
	v_cndmask_b32_e64 v2, 0, 1, vcc_lo
	s_branch .LBB62_199
.LBB62_198:
	s_mov_b32 s70, -1
                                        ; implicit-def: $vgpr2_vgpr3
.LBB62_199:
	s_branch .LBB62_132
.LBB62_200:
	s_and_b32 s0, 0xffff, s0
	s_delay_alu instid0(SALU_CYCLE_1)
	s_cmp_lt_i32 s0, 5
	s_cbranch_scc1 .LBB62_205
; %bb.201:
	s_cmp_lt_i32 s0, 8
	s_cbranch_scc1 .LBB62_206
; %bb.202:
	;; [unrolled: 3-line block ×3, first 2 shown]
	s_cmp_gt_i32 s0, 9
	s_cbranch_scc0 .LBB62_208
; %bb.204:
	s_wait_loadcnt 0x0
	global_load_b64 v[2:3], v[4:5], off
	s_mov_b32 s1, 0
	s_wait_loadcnt 0x0
	v_trunc_f64_e32 v[2:3], v[2:3]
	s_delay_alu instid0(VALU_DEP_1) | instskip(NEXT) | instid1(VALU_DEP_1)
	v_ldexp_f64 v[6:7], v[2:3], 0xffffffe0
	v_floor_f64_e32 v[6:7], v[6:7]
	s_delay_alu instid0(VALU_DEP_1) | instskip(SKIP_1) | instid1(VALU_DEP_2)
	v_fmamk_f64 v[8:9], v[6:7], 0xc1f00000, v[2:3]
	v_cvt_i32_f64_e32 v3, v[6:7]
	v_cvt_u32_f64_e32 v2, v[8:9]
	s_branch .LBB62_209
.LBB62_205:
	s_mov_b32 s1, -1
                                        ; implicit-def: $vgpr2_vgpr3
	s_branch .LBB62_227
.LBB62_206:
	s_mov_b32 s1, -1
                                        ; implicit-def: $vgpr2_vgpr3
	s_branch .LBB62_215
.LBB62_207:
	s_mov_b32 s1, -1
                                        ; implicit-def: $vgpr2_vgpr3
	s_branch .LBB62_212
.LBB62_208:
	s_mov_b32 s1, -1
                                        ; implicit-def: $vgpr2_vgpr3
.LBB62_209:
	s_delay_alu instid0(SALU_CYCLE_1)
	s_and_not1_b32 vcc_lo, exec_lo, s1
	s_cbranch_vccnz .LBB62_211
; %bb.210:
	s_wait_loadcnt 0x0
	global_load_b32 v2, v[4:5], off
	s_wait_loadcnt 0x0
	v_trunc_f32_e32 v2, v2
	s_delay_alu instid0(VALU_DEP_1) | instskip(NEXT) | instid1(VALU_DEP_1)
	v_mul_f32_e64 v3, 0x2f800000, |v2|
	v_floor_f32_e32 v3, v3
	s_delay_alu instid0(VALU_DEP_1) | instskip(SKIP_2) | instid1(VALU_DEP_3)
	v_fma_f32 v6, 0xcf800000, v3, |v2|
	v_ashrrev_i32_e32 v2, 31, v2
	v_cvt_u32_f32_e32 v7, v3
	v_cvt_u32_f32_e32 v6, v6
	s_delay_alu instid0(VALU_DEP_2) | instskip(NEXT) | instid1(VALU_DEP_2)
	v_dual_mov_b32 v3, v2 :: v_dual_bitop2_b32 v7, v7, v2 bitop3:0x14
	v_xor_b32_e32 v6, v6, v2
	s_delay_alu instid0(VALU_DEP_1)
	v_sub_nc_u64_e32 v[2:3], v[6:7], v[2:3]
.LBB62_211:
	s_mov_b32 s1, 0
.LBB62_212:
	s_delay_alu instid0(SALU_CYCLE_1)
	s_and_not1_b32 vcc_lo, exec_lo, s1
	s_cbranch_vccnz .LBB62_214
; %bb.213:
	s_wait_loadcnt 0x0
	global_load_b32 v2, v[4:5], off
	s_wait_loadcnt 0x0
	v_cvt_f32_f16_e32 v2, v2
	s_delay_alu instid0(VALU_DEP_1) | instskip(NEXT) | instid1(VALU_DEP_1)
	v_cvt_i32_f32_e32 v2, v2
	v_ashrrev_i32_e32 v3, 31, v2
.LBB62_214:
	s_mov_b32 s1, 0
.LBB62_215:
	s_delay_alu instid0(SALU_CYCLE_1)
	s_and_not1_b32 vcc_lo, exec_lo, s1
	s_cbranch_vccnz .LBB62_226
; %bb.216:
	s_cmp_lt_i32 s0, 6
	s_cbranch_scc1 .LBB62_219
; %bb.217:
	s_cmp_gt_i32 s0, 6
	s_cbranch_scc0 .LBB62_220
; %bb.218:
	s_wait_loadcnt 0x0
	global_load_b64 v[2:3], v[4:5], off
	s_mov_b32 s1, 0
	s_wait_loadcnt 0x0
	v_trunc_f64_e32 v[2:3], v[2:3]
	s_delay_alu instid0(VALU_DEP_1) | instskip(NEXT) | instid1(VALU_DEP_1)
	v_ldexp_f64 v[6:7], v[2:3], 0xffffffe0
	v_floor_f64_e32 v[6:7], v[6:7]
	s_delay_alu instid0(VALU_DEP_1) | instskip(SKIP_1) | instid1(VALU_DEP_2)
	v_fmamk_f64 v[8:9], v[6:7], 0xc1f00000, v[2:3]
	v_cvt_i32_f64_e32 v3, v[6:7]
	v_cvt_u32_f64_e32 v2, v[8:9]
	s_branch .LBB62_221
.LBB62_219:
	s_mov_b32 s1, -1
                                        ; implicit-def: $vgpr2_vgpr3
	s_branch .LBB62_224
.LBB62_220:
	s_mov_b32 s1, -1
                                        ; implicit-def: $vgpr2_vgpr3
.LBB62_221:
	s_delay_alu instid0(SALU_CYCLE_1)
	s_and_not1_b32 vcc_lo, exec_lo, s1
	s_cbranch_vccnz .LBB62_223
; %bb.222:
	s_wait_loadcnt 0x0
	global_load_b32 v2, v[4:5], off
	s_wait_loadcnt 0x0
	v_trunc_f32_e32 v2, v2
	s_delay_alu instid0(VALU_DEP_1) | instskip(NEXT) | instid1(VALU_DEP_1)
	v_mul_f32_e64 v3, 0x2f800000, |v2|
	v_floor_f32_e32 v3, v3
	s_delay_alu instid0(VALU_DEP_1) | instskip(SKIP_2) | instid1(VALU_DEP_3)
	v_fma_f32 v6, 0xcf800000, v3, |v2|
	v_ashrrev_i32_e32 v2, 31, v2
	v_cvt_u32_f32_e32 v7, v3
	v_cvt_u32_f32_e32 v6, v6
	s_delay_alu instid0(VALU_DEP_2) | instskip(NEXT) | instid1(VALU_DEP_2)
	v_dual_mov_b32 v3, v2 :: v_dual_bitop2_b32 v7, v7, v2 bitop3:0x14
	v_xor_b32_e32 v6, v6, v2
	s_delay_alu instid0(VALU_DEP_1)
	v_sub_nc_u64_e32 v[2:3], v[6:7], v[2:3]
.LBB62_223:
	s_mov_b32 s1, 0
.LBB62_224:
	s_delay_alu instid0(SALU_CYCLE_1)
	s_and_not1_b32 vcc_lo, exec_lo, s1
	s_cbranch_vccnz .LBB62_226
; %bb.225:
	s_wait_loadcnt 0x0
	global_load_u16 v2, v[4:5], off
	s_wait_loadcnt 0x0
	v_cvt_f32_f16_e32 v2, v2
	s_delay_alu instid0(VALU_DEP_1) | instskip(NEXT) | instid1(VALU_DEP_1)
	v_cvt_i32_f32_e32 v2, v2
	v_ashrrev_i32_e32 v3, 31, v2
.LBB62_226:
	s_mov_b32 s1, 0
.LBB62_227:
	s_delay_alu instid0(SALU_CYCLE_1)
	s_and_not1_b32 vcc_lo, exec_lo, s1
	s_cbranch_vccnz .LBB62_247
; %bb.228:
	s_cmp_lt_i32 s0, 2
	s_cbranch_scc1 .LBB62_232
; %bb.229:
	s_cmp_lt_i32 s0, 3
	s_cbranch_scc1 .LBB62_233
; %bb.230:
	s_cmp_gt_i32 s0, 3
	s_cbranch_scc0 .LBB62_234
; %bb.231:
	s_wait_loadcnt 0x0
	global_load_b64 v[2:3], v[4:5], off
	s_mov_b32 s1, 0
	s_branch .LBB62_235
.LBB62_232:
	s_mov_b32 s1, -1
                                        ; implicit-def: $vgpr2_vgpr3
	s_branch .LBB62_241
.LBB62_233:
	s_mov_b32 s1, -1
                                        ; implicit-def: $vgpr2_vgpr3
	s_branch .LBB62_238
.LBB62_234:
	s_mov_b32 s1, -1
                                        ; implicit-def: $vgpr2_vgpr3
.LBB62_235:
	s_delay_alu instid0(SALU_CYCLE_1)
	s_and_not1_b32 vcc_lo, exec_lo, s1
	s_cbranch_vccnz .LBB62_237
; %bb.236:
	s_wait_loadcnt 0x0
	global_load_b32 v2, v[4:5], off
	s_wait_loadcnt 0x0
	v_ashrrev_i32_e32 v3, 31, v2
.LBB62_237:
	s_mov_b32 s1, 0
.LBB62_238:
	s_delay_alu instid0(SALU_CYCLE_1)
	s_and_not1_b32 vcc_lo, exec_lo, s1
	s_cbranch_vccnz .LBB62_240
; %bb.239:
	s_wait_loadcnt 0x0
	global_load_u16 v2, v[4:5], off
	s_wait_loadcnt 0x0
	v_bfe_i32 v2, v2, 0, 16
	s_delay_alu instid0(VALU_DEP_1)
	v_ashrrev_i32_e32 v3, 31, v2
.LBB62_240:
	s_mov_b32 s1, 0
.LBB62_241:
	s_delay_alu instid0(SALU_CYCLE_1)
	s_and_not1_b32 vcc_lo, exec_lo, s1
	s_cbranch_vccnz .LBB62_247
; %bb.242:
	s_cmp_gt_i32 s0, 0
	s_mov_b32 s0, 0
	s_cbranch_scc0 .LBB62_244
; %bb.243:
	s_wait_loadcnt 0x0
	global_load_i8 v2, v[4:5], off
	s_wait_loadcnt 0x0
	v_bfe_i32 v2, v2, 0, 16
	s_delay_alu instid0(VALU_DEP_1)
	v_ashrrev_i32_e32 v3, 31, v2
	s_branch .LBB62_245
.LBB62_244:
	s_mov_b32 s0, -1
                                        ; implicit-def: $vgpr2_vgpr3
.LBB62_245:
	s_delay_alu instid0(SALU_CYCLE_1)
	s_and_not1_b32 vcc_lo, exec_lo, s0
	s_cbranch_vccnz .LBB62_247
; %bb.246:
	s_wait_loadcnt 0x0
	global_load_u8 v2, v[4:5], off
	s_mov_b32 s0, 0
	s_delay_alu instid0(SALU_CYCLE_1)
	v_mov_b32_e32 v3, s0
	s_wait_loadcnt 0x0
	v_and_b32_e32 v2, 0xffff, v2
.LBB62_247:
.LBB62_248:
	s_wait_xcnt 0x0
	v_mul_lo_u32 v4, v22, s19
	s_and_b32 s0, s28, 0xff
	s_delay_alu instid0(SALU_CYCLE_1) | instskip(NEXT) | instid1(VALU_DEP_1)
	s_cmp_lt_i32 s0, 11
	v_ashrrev_i32_e32 v5, 31, v4
	s_delay_alu instid0(VALU_DEP_1)
	v_add_nc_u64_e32 v[6:7], s[10:11], v[4:5]
	s_cbranch_scc1 .LBB62_255
; %bb.249:
	s_and_b32 s1, 0xffff, s0
	s_delay_alu instid0(SALU_CYCLE_1)
	s_cmp_gt_i32 s1, 25
	s_cbranch_scc0 .LBB62_256
; %bb.250:
	s_cmp_gt_i32 s1, 28
	s_cbranch_scc0 .LBB62_257
; %bb.251:
	;; [unrolled: 3-line block ×4, first 2 shown]
	s_cmp_eq_u32 s1, 46
	s_mov_b32 s34, 0
	s_cbranch_scc0 .LBB62_260
; %bb.254:
	global_load_b32 v4, v[6:7], off
	s_mov_b32 s31, -1
	s_wait_loadcnt 0x0
	v_lshlrev_b32_e32 v4, 16, v4
	s_delay_alu instid0(VALU_DEP_1) | instskip(NEXT) | instid1(VALU_DEP_1)
	v_trunc_f32_e32 v4, v4
	v_mul_f32_e64 v5, 0x2f800000, |v4|
	s_delay_alu instid0(VALU_DEP_1) | instskip(NEXT) | instid1(VALU_DEP_1)
	v_floor_f32_e32 v5, v5
	v_fma_f32 v8, 0xcf800000, v5, |v4|
	v_ashrrev_i32_e32 v4, 31, v4
	v_cvt_u32_f32_e32 v9, v5
	s_delay_alu instid0(VALU_DEP_3) | instskip(NEXT) | instid1(VALU_DEP_2)
	v_cvt_u32_f32_e32 v8, v8
	v_dual_mov_b32 v5, v4 :: v_dual_bitop2_b32 v9, v9, v4 bitop3:0x14
	s_delay_alu instid0(VALU_DEP_2) | instskip(NEXT) | instid1(VALU_DEP_1)
	v_xor_b32_e32 v8, v8, v4
	v_sub_nc_u64_e32 v[4:5], v[8:9], v[4:5]
	s_branch .LBB62_262
.LBB62_255:
	s_mov_b32 s1, -1
	s_mov_b32 s31, 0
                                        ; implicit-def: $vgpr4_vgpr5
	s_branch .LBB62_323
.LBB62_256:
	s_mov_b32 s34, -1
	s_mov_b32 s31, 0
                                        ; implicit-def: $vgpr4_vgpr5
	s_branch .LBB62_289
.LBB62_257:
	s_mov_b32 s34, -1
	s_mov_b32 s31, 0
                                        ; implicit-def: $vgpr4_vgpr5
	s_branch .LBB62_272
.LBB62_258:
	s_mov_b32 s34, -1
	s_mov_b32 s31, 0
                                        ; implicit-def: $vgpr4_vgpr5
	s_branch .LBB62_267
.LBB62_259:
	s_mov_b32 s34, -1
	s_branch .LBB62_261
.LBB62_260:
	s_mov_b32 s69, -1
.LBB62_261:
	s_mov_b32 s31, 0
                                        ; implicit-def: $vgpr4_vgpr5
.LBB62_262:
	s_and_b32 vcc_lo, exec_lo, s34
	s_cbranch_vccz .LBB62_266
; %bb.263:
	s_cmp_eq_u32 s1, 44
	s_cbranch_scc0 .LBB62_265
; %bb.264:
	global_load_u8 v10, v[6:7], off
	s_mov_b32 s69, 0
	s_mov_b32 s31, -1
	s_wait_loadcnt 0x0
	v_cmp_ne_u32_e32 vcc_lo, 0, v10
	v_lshlrev_b32_e32 v4, 23, v10
	s_delay_alu instid0(VALU_DEP_1) | instskip(NEXT) | instid1(VALU_DEP_1)
	v_trunc_f32_e32 v4, v4
	v_mul_f32_e64 v5, 0x2f800000, |v4|
	s_delay_alu instid0(VALU_DEP_1) | instskip(NEXT) | instid1(VALU_DEP_1)
	v_floor_f32_e32 v5, v5
	v_fma_f32 v8, 0xcf800000, v5, |v4|
	v_ashrrev_i32_e32 v4, 31, v4
	v_cvt_u32_f32_e32 v9, v5
	s_delay_alu instid0(VALU_DEP_3) | instskip(NEXT) | instid1(VALU_DEP_2)
	v_cvt_u32_f32_e32 v8, v8
	v_dual_mov_b32 v5, v4 :: v_dual_bitop2_b32 v9, v9, v4 bitop3:0x14
	s_delay_alu instid0(VALU_DEP_2) | instskip(NEXT) | instid1(VALU_DEP_1)
	v_xor_b32_e32 v8, v8, v4
	v_sub_nc_u64_e32 v[4:5], v[8:9], v[4:5]
	s_delay_alu instid0(VALU_DEP_1)
	v_dual_cndmask_b32 v5, 0, v5 :: v_dual_cndmask_b32 v4, 0, v4
	s_branch .LBB62_266
.LBB62_265:
	s_mov_b32 s69, -1
                                        ; implicit-def: $vgpr4_vgpr5
.LBB62_266:
	s_mov_b32 s34, 0
.LBB62_267:
	s_delay_alu instid0(SALU_CYCLE_1)
	s_and_b32 vcc_lo, exec_lo, s34
	s_cbranch_vccz .LBB62_271
; %bb.268:
	s_cmp_eq_u32 s1, 29
	s_cbranch_scc0 .LBB62_270
; %bb.269:
	global_load_b64 v[4:5], v[6:7], off
	s_mov_b32 s31, -1
	s_mov_b32 s69, 0
	s_branch .LBB62_271
.LBB62_270:
	s_mov_b32 s69, -1
                                        ; implicit-def: $vgpr4_vgpr5
.LBB62_271:
	s_mov_b32 s34, 0
.LBB62_272:
	s_delay_alu instid0(SALU_CYCLE_1)
	s_and_b32 vcc_lo, exec_lo, s34
	s_cbranch_vccz .LBB62_288
; %bb.273:
	s_cmp_lt_i32 s1, 27
	s_cbranch_scc1 .LBB62_276
; %bb.274:
	s_cmp_gt_i32 s1, 27
	s_cbranch_scc0 .LBB62_277
; %bb.275:
	s_wait_loadcnt 0x0
	global_load_b32 v4, v[6:7], off
	v_mov_b32_e32 v5, 0
	s_mov_b32 s31, 0
	s_branch .LBB62_278
.LBB62_276:
	s_mov_b32 s31, -1
                                        ; implicit-def: $vgpr4_vgpr5
	s_branch .LBB62_281
.LBB62_277:
	s_mov_b32 s31, -1
                                        ; implicit-def: $vgpr4_vgpr5
.LBB62_278:
	s_delay_alu instid0(SALU_CYCLE_1)
	s_and_not1_b32 vcc_lo, exec_lo, s31
	s_cbranch_vccnz .LBB62_280
; %bb.279:
	s_wait_loadcnt 0x0
	global_load_u16 v4, v[6:7], off
	s_mov_b32 s31, 0
	s_delay_alu instid0(SALU_CYCLE_1)
	v_mov_b32_e32 v5, s31
	s_wait_loadcnt 0x0
	v_and_b32_e32 v4, 0xffff, v4
.LBB62_280:
	s_mov_b32 s31, 0
.LBB62_281:
	s_delay_alu instid0(SALU_CYCLE_1)
	s_and_not1_b32 vcc_lo, exec_lo, s31
	s_cbranch_vccnz .LBB62_287
; %bb.282:
	global_load_u8 v8, v[6:7], off
	s_mov_b32 s34, 0
	s_mov_b32 s31, exec_lo
	s_wait_loadcnt 0x0
	v_cmpx_lt_i16_e32 0x7f, v8
	s_xor_b32 s31, exec_lo, s31
	s_cbranch_execz .LBB62_299
; %bb.283:
	v_cmp_ne_u16_e32 vcc_lo, 0x80, v8
	s_and_b32 s34, vcc_lo, exec_lo
	s_and_not1_saveexec_b32 s31, s31
	s_cbranch_execnz .LBB62_300
.LBB62_284:
	s_or_b32 exec_lo, exec_lo, s31
	v_mov_b64_e32 v[4:5], 0
	s_and_saveexec_b32 s31, s34
	s_cbranch_execz .LBB62_286
.LBB62_285:
	v_and_b32_e32 v4, 0xffff, v8
	s_delay_alu instid0(VALU_DEP_1) | instskip(SKIP_1) | instid1(VALU_DEP_2)
	v_and_b32_e32 v5, 7, v4
	v_bfe_u32 v11, v4, 3, 4
	v_clz_i32_u32_e32 v9, v5
	s_delay_alu instid0(VALU_DEP_2) | instskip(NEXT) | instid1(VALU_DEP_2)
	v_cmp_eq_u32_e32 vcc_lo, 0, v11
	v_min_u32_e32 v9, 32, v9
	s_delay_alu instid0(VALU_DEP_1) | instskip(NEXT) | instid1(VALU_DEP_1)
	v_subrev_nc_u32_e32 v10, 28, v9
	v_dual_lshlrev_b32 v4, v10, v4 :: v_dual_sub_nc_u32 v9, 29, v9
	s_delay_alu instid0(VALU_DEP_1) | instskip(NEXT) | instid1(VALU_DEP_2)
	v_and_b32_e32 v4, 7, v4
	v_dual_cndmask_b32 v9, v11, v9 :: v_dual_lshlrev_b32 v8, 24, v8
	s_delay_alu instid0(VALU_DEP_2) | instskip(NEXT) | instid1(VALU_DEP_2)
	v_cndmask_b32_e32 v4, v5, v4, vcc_lo
	v_and_b32_e32 v5, 0x80000000, v8
	s_delay_alu instid0(VALU_DEP_3) | instskip(NEXT) | instid1(VALU_DEP_3)
	v_lshl_add_u32 v8, v9, 23, 0x3b800000
	v_lshlrev_b32_e32 v4, 20, v4
	s_delay_alu instid0(VALU_DEP_1) | instskip(NEXT) | instid1(VALU_DEP_1)
	v_or3_b32 v4, v5, v8, v4
	v_trunc_f32_e32 v4, v4
	s_delay_alu instid0(VALU_DEP_1) | instskip(NEXT) | instid1(VALU_DEP_1)
	v_mul_f32_e64 v5, 0x2f800000, |v4|
	v_floor_f32_e32 v5, v5
	s_delay_alu instid0(VALU_DEP_1) | instskip(SKIP_2) | instid1(VALU_DEP_3)
	v_fma_f32 v8, 0xcf800000, v5, |v4|
	v_ashrrev_i32_e32 v4, 31, v4
	v_cvt_u32_f32_e32 v9, v5
	v_cvt_u32_f32_e32 v8, v8
	s_delay_alu instid0(VALU_DEP_2) | instskip(NEXT) | instid1(VALU_DEP_2)
	v_dual_mov_b32 v5, v4 :: v_dual_bitop2_b32 v9, v9, v4 bitop3:0x14
	v_xor_b32_e32 v8, v8, v4
	s_delay_alu instid0(VALU_DEP_1)
	v_sub_nc_u64_e32 v[4:5], v[8:9], v[4:5]
.LBB62_286:
	s_or_b32 exec_lo, exec_lo, s31
.LBB62_287:
	s_mov_b32 s31, -1
.LBB62_288:
	s_mov_b32 s34, 0
.LBB62_289:
	s_delay_alu instid0(SALU_CYCLE_1)
	s_and_b32 vcc_lo, exec_lo, s34
	s_cbranch_vccz .LBB62_322
; %bb.290:
	s_cmp_gt_i32 s1, 22
	s_cbranch_scc0 .LBB62_298
; %bb.291:
	s_cmp_lt_i32 s1, 24
	s_cbranch_scc1 .LBB62_301
; %bb.292:
	s_cmp_gt_i32 s1, 24
	s_cbranch_scc0 .LBB62_302
; %bb.293:
	global_load_u8 v8, v[6:7], off
	s_mov_b32 s34, 0
	s_mov_b32 s31, exec_lo
	s_wait_loadcnt 0x0
	v_cmpx_lt_i16_e32 0x7f, v8
	s_xor_b32 s31, exec_lo, s31
	s_cbranch_execz .LBB62_314
; %bb.294:
	v_cmp_ne_u16_e32 vcc_lo, 0x80, v8
	s_and_b32 s34, vcc_lo, exec_lo
	s_and_not1_saveexec_b32 s31, s31
	s_cbranch_execnz .LBB62_315
.LBB62_295:
	s_or_b32 exec_lo, exec_lo, s31
	v_mov_b64_e32 v[4:5], 0
	s_and_saveexec_b32 s31, s34
	s_cbranch_execz .LBB62_297
.LBB62_296:
	v_and_b32_e32 v4, 0xffff, v8
	s_delay_alu instid0(VALU_DEP_1) | instskip(SKIP_1) | instid1(VALU_DEP_2)
	v_and_b32_e32 v5, 3, v4
	v_bfe_u32 v11, v4, 2, 5
	v_clz_i32_u32_e32 v9, v5
	s_delay_alu instid0(VALU_DEP_2) | instskip(NEXT) | instid1(VALU_DEP_2)
	v_cmp_eq_u32_e32 vcc_lo, 0, v11
	v_min_u32_e32 v9, 32, v9
	s_delay_alu instid0(VALU_DEP_1) | instskip(NEXT) | instid1(VALU_DEP_1)
	v_subrev_nc_u32_e32 v10, 29, v9
	v_dual_lshlrev_b32 v4, v10, v4 :: v_dual_sub_nc_u32 v9, 30, v9
	s_delay_alu instid0(VALU_DEP_1) | instskip(NEXT) | instid1(VALU_DEP_2)
	v_and_b32_e32 v4, 3, v4
	v_dual_cndmask_b32 v9, v11, v9 :: v_dual_lshlrev_b32 v8, 24, v8
	s_delay_alu instid0(VALU_DEP_2) | instskip(NEXT) | instid1(VALU_DEP_2)
	v_cndmask_b32_e32 v4, v5, v4, vcc_lo
	v_and_b32_e32 v5, 0x80000000, v8
	s_delay_alu instid0(VALU_DEP_3) | instskip(NEXT) | instid1(VALU_DEP_3)
	v_lshl_add_u32 v8, v9, 23, 0x37800000
	v_lshlrev_b32_e32 v4, 21, v4
	s_delay_alu instid0(VALU_DEP_1) | instskip(NEXT) | instid1(VALU_DEP_1)
	v_or3_b32 v4, v5, v8, v4
	v_trunc_f32_e32 v4, v4
	s_delay_alu instid0(VALU_DEP_1) | instskip(NEXT) | instid1(VALU_DEP_1)
	v_mul_f32_e64 v5, 0x2f800000, |v4|
	v_floor_f32_e32 v5, v5
	s_delay_alu instid0(VALU_DEP_1) | instskip(SKIP_2) | instid1(VALU_DEP_3)
	v_fma_f32 v8, 0xcf800000, v5, |v4|
	v_ashrrev_i32_e32 v4, 31, v4
	v_cvt_u32_f32_e32 v9, v5
	v_cvt_u32_f32_e32 v8, v8
	s_delay_alu instid0(VALU_DEP_2) | instskip(NEXT) | instid1(VALU_DEP_2)
	v_dual_mov_b32 v5, v4 :: v_dual_bitop2_b32 v9, v9, v4 bitop3:0x14
	v_xor_b32_e32 v8, v8, v4
	s_delay_alu instid0(VALU_DEP_1)
	v_sub_nc_u64_e32 v[4:5], v[8:9], v[4:5]
.LBB62_297:
	s_or_b32 exec_lo, exec_lo, s31
	s_mov_b32 s31, 0
	s_branch .LBB62_303
.LBB62_298:
	s_mov_b32 s34, -1
                                        ; implicit-def: $vgpr4_vgpr5
	s_branch .LBB62_309
.LBB62_299:
	s_and_not1_saveexec_b32 s31, s31
	s_cbranch_execz .LBB62_284
.LBB62_300:
	v_cmp_ne_u16_e32 vcc_lo, 0, v8
	s_and_not1_b32 s34, s34, exec_lo
	s_and_b32 s35, vcc_lo, exec_lo
	s_delay_alu instid0(SALU_CYCLE_1)
	s_or_b32 s34, s34, s35
	s_or_b32 exec_lo, exec_lo, s31
	v_mov_b64_e32 v[4:5], 0
	s_and_saveexec_b32 s31, s34
	s_cbranch_execnz .LBB62_285
	s_branch .LBB62_286
.LBB62_301:
	s_mov_b32 s31, -1
                                        ; implicit-def: $vgpr4_vgpr5
	s_branch .LBB62_306
.LBB62_302:
	s_mov_b32 s31, -1
                                        ; implicit-def: $vgpr4_vgpr5
.LBB62_303:
	s_delay_alu instid0(SALU_CYCLE_1)
	s_and_b32 vcc_lo, exec_lo, s31
	s_cbranch_vccz .LBB62_305
; %bb.304:
	s_wait_loadcnt 0x0
	global_load_u8 v4, v[6:7], off
	s_wait_loadcnt 0x0
	v_lshlrev_b32_e32 v4, 24, v4
	s_delay_alu instid0(VALU_DEP_1) | instskip(NEXT) | instid1(VALU_DEP_1)
	v_and_b32_e32 v5, 0x7f000000, v4
	v_clz_i32_u32_e32 v8, v5
	v_cmp_ne_u32_e32 vcc_lo, 0, v5
	v_add_nc_u32_e32 v10, 0x1000000, v5
	s_delay_alu instid0(VALU_DEP_3) | instskip(NEXT) | instid1(VALU_DEP_1)
	v_min_u32_e32 v8, 32, v8
	v_sub_nc_u32_e64 v8, v8, 4 clamp
	s_delay_alu instid0(VALU_DEP_1) | instskip(NEXT) | instid1(VALU_DEP_1)
	v_dual_lshlrev_b32 v9, v8, v5 :: v_dual_lshlrev_b32 v8, 23, v8
	v_lshrrev_b32_e32 v9, 4, v9
	s_delay_alu instid0(VALU_DEP_1) | instskip(NEXT) | instid1(VALU_DEP_1)
	v_dual_sub_nc_u32 v8, v9, v8 :: v_dual_ashrrev_i32 v9, 8, v10
	v_add_nc_u32_e32 v8, 0x3c000000, v8
	s_delay_alu instid0(VALU_DEP_1) | instskip(NEXT) | instid1(VALU_DEP_1)
	v_and_or_b32 v8, 0x7f800000, v9, v8
	v_cndmask_b32_e32 v5, 0, v8, vcc_lo
	s_delay_alu instid0(VALU_DEP_1) | instskip(NEXT) | instid1(VALU_DEP_1)
	v_and_or_b32 v4, 0x80000000, v4, v5
	v_trunc_f32_e32 v4, v4
	s_delay_alu instid0(VALU_DEP_1) | instskip(NEXT) | instid1(VALU_DEP_1)
	v_mul_f32_e64 v5, 0x2f800000, |v4|
	v_floor_f32_e32 v5, v5
	s_delay_alu instid0(VALU_DEP_1) | instskip(SKIP_2) | instid1(VALU_DEP_3)
	v_fma_f32 v8, 0xcf800000, v5, |v4|
	v_ashrrev_i32_e32 v4, 31, v4
	v_cvt_u32_f32_e32 v9, v5
	v_cvt_u32_f32_e32 v8, v8
	s_delay_alu instid0(VALU_DEP_2) | instskip(NEXT) | instid1(VALU_DEP_2)
	v_dual_mov_b32 v5, v4 :: v_dual_bitop2_b32 v9, v9, v4 bitop3:0x14
	v_xor_b32_e32 v8, v8, v4
	s_delay_alu instid0(VALU_DEP_1)
	v_sub_nc_u64_e32 v[4:5], v[8:9], v[4:5]
.LBB62_305:
	s_mov_b32 s31, 0
.LBB62_306:
	s_delay_alu instid0(SALU_CYCLE_1)
	s_and_not1_b32 vcc_lo, exec_lo, s31
	s_cbranch_vccnz .LBB62_308
; %bb.307:
	s_wait_loadcnt 0x0
	global_load_u8 v4, v[6:7], off
	s_wait_loadcnt 0x0
	v_lshlrev_b32_e32 v5, 25, v4
	v_lshlrev_b16 v4, 8, v4
	s_delay_alu instid0(VALU_DEP_1) | instskip(SKIP_1) | instid1(VALU_DEP_2)
	v_and_or_b32 v9, 0x7f00, v4, 0.5
	v_bfe_i32 v4, v4, 0, 16
	v_add_f32_e32 v9, -0.5, v9
	v_lshrrev_b32_e32 v8, 4, v5
	v_cmp_gt_u32_e32 vcc_lo, 0x8000000, v5
	s_delay_alu instid0(VALU_DEP_2) | instskip(NEXT) | instid1(VALU_DEP_1)
	v_or_b32_e32 v8, 0x70000000, v8
	v_mul_f32_e32 v8, 0x7800000, v8
	s_delay_alu instid0(VALU_DEP_1) | instskip(NEXT) | instid1(VALU_DEP_1)
	v_cndmask_b32_e32 v5, v8, v9, vcc_lo
	v_and_or_b32 v4, 0x80000000, v4, v5
	s_delay_alu instid0(VALU_DEP_1) | instskip(NEXT) | instid1(VALU_DEP_1)
	v_trunc_f32_e32 v4, v4
	v_mul_f32_e64 v5, 0x2f800000, |v4|
	s_delay_alu instid0(VALU_DEP_1) | instskip(NEXT) | instid1(VALU_DEP_1)
	v_floor_f32_e32 v5, v5
	v_fma_f32 v8, 0xcf800000, v5, |v4|
	v_ashrrev_i32_e32 v4, 31, v4
	v_cvt_u32_f32_e32 v9, v5
	s_delay_alu instid0(VALU_DEP_3) | instskip(NEXT) | instid1(VALU_DEP_2)
	v_cvt_u32_f32_e32 v8, v8
	v_dual_mov_b32 v5, v4 :: v_dual_bitop2_b32 v9, v9, v4 bitop3:0x14
	s_delay_alu instid0(VALU_DEP_2) | instskip(NEXT) | instid1(VALU_DEP_1)
	v_xor_b32_e32 v8, v8, v4
	v_sub_nc_u64_e32 v[4:5], v[8:9], v[4:5]
.LBB62_308:
	s_mov_b32 s34, 0
	s_mov_b32 s31, -1
.LBB62_309:
	s_and_not1_b32 vcc_lo, exec_lo, s34
	s_cbranch_vccnz .LBB62_322
; %bb.310:
	s_cmp_gt_i32 s1, 14
	s_cbranch_scc0 .LBB62_313
; %bb.311:
	s_cmp_eq_u32 s1, 15
	s_cbranch_scc0 .LBB62_316
; %bb.312:
	s_wait_loadcnt 0x0
	global_load_u16 v4, v[6:7], off
	s_mov_b32 s31, -1
	s_mov_b32 s69, 0
	s_wait_loadcnt 0x0
	v_lshlrev_b32_e32 v4, 16, v4
	s_delay_alu instid0(VALU_DEP_1) | instskip(NEXT) | instid1(VALU_DEP_1)
	v_trunc_f32_e32 v4, v4
	v_mul_f32_e64 v5, 0x2f800000, |v4|
	s_delay_alu instid0(VALU_DEP_1) | instskip(NEXT) | instid1(VALU_DEP_1)
	v_floor_f32_e32 v5, v5
	v_fma_f32 v8, 0xcf800000, v5, |v4|
	v_ashrrev_i32_e32 v4, 31, v4
	v_cvt_u32_f32_e32 v9, v5
	s_delay_alu instid0(VALU_DEP_3) | instskip(NEXT) | instid1(VALU_DEP_2)
	v_cvt_u32_f32_e32 v8, v8
	v_dual_mov_b32 v5, v4 :: v_dual_bitop2_b32 v9, v9, v4 bitop3:0x14
	s_delay_alu instid0(VALU_DEP_2) | instskip(NEXT) | instid1(VALU_DEP_1)
	v_xor_b32_e32 v8, v8, v4
	v_sub_nc_u64_e32 v[4:5], v[8:9], v[4:5]
	s_branch .LBB62_317
.LBB62_313:
	s_mov_b32 s34, -1
                                        ; implicit-def: $vgpr4_vgpr5
	s_branch .LBB62_318
.LBB62_314:
	s_and_not1_saveexec_b32 s31, s31
	s_cbranch_execz .LBB62_295
.LBB62_315:
	v_cmp_ne_u16_e32 vcc_lo, 0, v8
	s_and_not1_b32 s34, s34, exec_lo
	s_and_b32 s35, vcc_lo, exec_lo
	s_delay_alu instid0(SALU_CYCLE_1)
	s_or_b32 s34, s34, s35
	s_or_b32 exec_lo, exec_lo, s31
	v_mov_b64_e32 v[4:5], 0
	s_and_saveexec_b32 s31, s34
	s_cbranch_execnz .LBB62_296
	s_branch .LBB62_297
.LBB62_316:
	s_mov_b32 s69, -1
                                        ; implicit-def: $vgpr4_vgpr5
.LBB62_317:
	s_mov_b32 s34, 0
.LBB62_318:
	s_delay_alu instid0(SALU_CYCLE_1)
	s_and_b32 vcc_lo, exec_lo, s34
	s_cbranch_vccz .LBB62_322
; %bb.319:
	s_cmp_eq_u32 s1, 11
	s_cbranch_scc0 .LBB62_321
; %bb.320:
	s_wait_loadcnt 0x0
	global_load_u8 v4, v[6:7], off
	s_mov_b32 s69, 0
	s_mov_b32 s31, -1
	v_mov_b32_e32 v5, s69
	s_wait_loadcnt 0x0
	v_cmp_ne_u16_e32 vcc_lo, 0, v4
	v_cndmask_b32_e64 v4, 0, 1, vcc_lo
	s_branch .LBB62_322
.LBB62_321:
	s_mov_b32 s69, -1
                                        ; implicit-def: $vgpr4_vgpr5
.LBB62_322:
	s_mov_b32 s1, 0
.LBB62_323:
	s_delay_alu instid0(SALU_CYCLE_1)
	s_and_b32 vcc_lo, exec_lo, s1
	s_cbranch_vccz .LBB62_372
; %bb.324:
	s_and_b32 s0, 0xffff, s0
	s_delay_alu instid0(SALU_CYCLE_1)
	s_cmp_lt_i32 s0, 5
	s_cbranch_scc1 .LBB62_329
; %bb.325:
	s_cmp_lt_i32 s0, 8
	s_cbranch_scc1 .LBB62_330
; %bb.326:
	;; [unrolled: 3-line block ×3, first 2 shown]
	s_cmp_gt_i32 s0, 9
	s_cbranch_scc0 .LBB62_332
; %bb.328:
	s_wait_loadcnt 0x0
	global_load_b64 v[4:5], v[6:7], off
	s_mov_b32 s1, 0
	s_wait_loadcnt 0x0
	v_trunc_f64_e32 v[4:5], v[4:5]
	s_delay_alu instid0(VALU_DEP_1) | instskip(NEXT) | instid1(VALU_DEP_1)
	v_ldexp_f64 v[8:9], v[4:5], 0xffffffe0
	v_floor_f64_e32 v[8:9], v[8:9]
	s_delay_alu instid0(VALU_DEP_1) | instskip(SKIP_1) | instid1(VALU_DEP_2)
	v_fmamk_f64 v[10:11], v[8:9], 0xc1f00000, v[4:5]
	v_cvt_i32_f64_e32 v5, v[8:9]
	v_cvt_u32_f64_e32 v4, v[10:11]
	s_branch .LBB62_333
.LBB62_329:
	s_mov_b32 s1, -1
                                        ; implicit-def: $vgpr4_vgpr5
	s_branch .LBB62_351
.LBB62_330:
	s_mov_b32 s1, -1
                                        ; implicit-def: $vgpr4_vgpr5
	s_branch .LBB62_339
.LBB62_331:
	s_mov_b32 s1, -1
                                        ; implicit-def: $vgpr4_vgpr5
	s_branch .LBB62_336
.LBB62_332:
	s_mov_b32 s1, -1
                                        ; implicit-def: $vgpr4_vgpr5
.LBB62_333:
	s_delay_alu instid0(SALU_CYCLE_1)
	s_and_not1_b32 vcc_lo, exec_lo, s1
	s_cbranch_vccnz .LBB62_335
; %bb.334:
	s_wait_loadcnt 0x0
	global_load_b32 v4, v[6:7], off
	s_wait_loadcnt 0x0
	v_trunc_f32_e32 v4, v4
	s_delay_alu instid0(VALU_DEP_1) | instskip(NEXT) | instid1(VALU_DEP_1)
	v_mul_f32_e64 v5, 0x2f800000, |v4|
	v_floor_f32_e32 v5, v5
	s_delay_alu instid0(VALU_DEP_1) | instskip(SKIP_2) | instid1(VALU_DEP_3)
	v_fma_f32 v8, 0xcf800000, v5, |v4|
	v_ashrrev_i32_e32 v4, 31, v4
	v_cvt_u32_f32_e32 v9, v5
	v_cvt_u32_f32_e32 v8, v8
	s_delay_alu instid0(VALU_DEP_2) | instskip(NEXT) | instid1(VALU_DEP_2)
	v_dual_mov_b32 v5, v4 :: v_dual_bitop2_b32 v9, v9, v4 bitop3:0x14
	v_xor_b32_e32 v8, v8, v4
	s_delay_alu instid0(VALU_DEP_1)
	v_sub_nc_u64_e32 v[4:5], v[8:9], v[4:5]
.LBB62_335:
	s_mov_b32 s1, 0
.LBB62_336:
	s_delay_alu instid0(SALU_CYCLE_1)
	s_and_not1_b32 vcc_lo, exec_lo, s1
	s_cbranch_vccnz .LBB62_338
; %bb.337:
	s_wait_loadcnt 0x0
	global_load_b32 v4, v[6:7], off
	s_wait_loadcnt 0x0
	v_cvt_f32_f16_e32 v4, v4
	s_delay_alu instid0(VALU_DEP_1) | instskip(NEXT) | instid1(VALU_DEP_1)
	v_cvt_i32_f32_e32 v4, v4
	v_ashrrev_i32_e32 v5, 31, v4
.LBB62_338:
	s_mov_b32 s1, 0
.LBB62_339:
	s_delay_alu instid0(SALU_CYCLE_1)
	s_and_not1_b32 vcc_lo, exec_lo, s1
	s_cbranch_vccnz .LBB62_350
; %bb.340:
	s_cmp_lt_i32 s0, 6
	s_cbranch_scc1 .LBB62_343
; %bb.341:
	s_cmp_gt_i32 s0, 6
	s_cbranch_scc0 .LBB62_344
; %bb.342:
	s_wait_loadcnt 0x0
	global_load_b64 v[4:5], v[6:7], off
	s_mov_b32 s1, 0
	s_wait_loadcnt 0x0
	v_trunc_f64_e32 v[4:5], v[4:5]
	s_delay_alu instid0(VALU_DEP_1) | instskip(NEXT) | instid1(VALU_DEP_1)
	v_ldexp_f64 v[8:9], v[4:5], 0xffffffe0
	v_floor_f64_e32 v[8:9], v[8:9]
	s_delay_alu instid0(VALU_DEP_1) | instskip(SKIP_1) | instid1(VALU_DEP_2)
	v_fmamk_f64 v[10:11], v[8:9], 0xc1f00000, v[4:5]
	v_cvt_i32_f64_e32 v5, v[8:9]
	v_cvt_u32_f64_e32 v4, v[10:11]
	s_branch .LBB62_345
.LBB62_343:
	s_mov_b32 s1, -1
                                        ; implicit-def: $vgpr4_vgpr5
	s_branch .LBB62_348
.LBB62_344:
	s_mov_b32 s1, -1
                                        ; implicit-def: $vgpr4_vgpr5
.LBB62_345:
	s_delay_alu instid0(SALU_CYCLE_1)
	s_and_not1_b32 vcc_lo, exec_lo, s1
	s_cbranch_vccnz .LBB62_347
; %bb.346:
	s_wait_loadcnt 0x0
	global_load_b32 v4, v[6:7], off
	s_wait_loadcnt 0x0
	v_trunc_f32_e32 v4, v4
	s_delay_alu instid0(VALU_DEP_1) | instskip(NEXT) | instid1(VALU_DEP_1)
	v_mul_f32_e64 v5, 0x2f800000, |v4|
	v_floor_f32_e32 v5, v5
	s_delay_alu instid0(VALU_DEP_1) | instskip(SKIP_2) | instid1(VALU_DEP_3)
	v_fma_f32 v8, 0xcf800000, v5, |v4|
	v_ashrrev_i32_e32 v4, 31, v4
	v_cvt_u32_f32_e32 v9, v5
	v_cvt_u32_f32_e32 v8, v8
	s_delay_alu instid0(VALU_DEP_2) | instskip(NEXT) | instid1(VALU_DEP_2)
	v_dual_mov_b32 v5, v4 :: v_dual_bitop2_b32 v9, v9, v4 bitop3:0x14
	v_xor_b32_e32 v8, v8, v4
	s_delay_alu instid0(VALU_DEP_1)
	v_sub_nc_u64_e32 v[4:5], v[8:9], v[4:5]
.LBB62_347:
	s_mov_b32 s1, 0
.LBB62_348:
	s_delay_alu instid0(SALU_CYCLE_1)
	s_and_not1_b32 vcc_lo, exec_lo, s1
	s_cbranch_vccnz .LBB62_350
; %bb.349:
	s_wait_loadcnt 0x0
	global_load_u16 v4, v[6:7], off
	s_wait_loadcnt 0x0
	v_cvt_f32_f16_e32 v4, v4
	s_delay_alu instid0(VALU_DEP_1) | instskip(NEXT) | instid1(VALU_DEP_1)
	v_cvt_i32_f32_e32 v4, v4
	v_ashrrev_i32_e32 v5, 31, v4
.LBB62_350:
	s_mov_b32 s1, 0
.LBB62_351:
	s_delay_alu instid0(SALU_CYCLE_1)
	s_and_not1_b32 vcc_lo, exec_lo, s1
	s_cbranch_vccnz .LBB62_371
; %bb.352:
	s_cmp_lt_i32 s0, 2
	s_cbranch_scc1 .LBB62_356
; %bb.353:
	s_cmp_lt_i32 s0, 3
	s_cbranch_scc1 .LBB62_357
; %bb.354:
	s_cmp_gt_i32 s0, 3
	s_cbranch_scc0 .LBB62_358
; %bb.355:
	s_wait_loadcnt 0x0
	global_load_b64 v[4:5], v[6:7], off
	s_mov_b32 s1, 0
	s_branch .LBB62_359
.LBB62_356:
	s_mov_b32 s1, -1
                                        ; implicit-def: $vgpr4_vgpr5
	s_branch .LBB62_365
.LBB62_357:
	s_mov_b32 s1, -1
                                        ; implicit-def: $vgpr4_vgpr5
	s_branch .LBB62_362
.LBB62_358:
	s_mov_b32 s1, -1
                                        ; implicit-def: $vgpr4_vgpr5
.LBB62_359:
	s_delay_alu instid0(SALU_CYCLE_1)
	s_and_not1_b32 vcc_lo, exec_lo, s1
	s_cbranch_vccnz .LBB62_361
; %bb.360:
	s_wait_loadcnt 0x0
	global_load_b32 v4, v[6:7], off
	s_wait_loadcnt 0x0
	v_ashrrev_i32_e32 v5, 31, v4
.LBB62_361:
	s_mov_b32 s1, 0
.LBB62_362:
	s_delay_alu instid0(SALU_CYCLE_1)
	s_and_not1_b32 vcc_lo, exec_lo, s1
	s_cbranch_vccnz .LBB62_364
; %bb.363:
	s_wait_loadcnt 0x0
	global_load_u16 v4, v[6:7], off
	s_wait_loadcnt 0x0
	v_bfe_i32 v4, v4, 0, 16
	s_delay_alu instid0(VALU_DEP_1)
	v_ashrrev_i32_e32 v5, 31, v4
.LBB62_364:
	s_mov_b32 s1, 0
.LBB62_365:
	s_delay_alu instid0(SALU_CYCLE_1)
	s_and_not1_b32 vcc_lo, exec_lo, s1
	s_cbranch_vccnz .LBB62_371
; %bb.366:
	s_cmp_gt_i32 s0, 0
	s_mov_b32 s0, 0
	s_cbranch_scc0 .LBB62_368
; %bb.367:
	s_wait_loadcnt 0x0
	global_load_i8 v4, v[6:7], off
	s_wait_loadcnt 0x0
	v_bfe_i32 v4, v4, 0, 16
	s_delay_alu instid0(VALU_DEP_1)
	v_ashrrev_i32_e32 v5, 31, v4
	s_branch .LBB62_369
.LBB62_368:
	s_mov_b32 s0, -1
                                        ; implicit-def: $vgpr4_vgpr5
.LBB62_369:
	s_delay_alu instid0(SALU_CYCLE_1)
	s_and_not1_b32 vcc_lo, exec_lo, s0
	s_cbranch_vccnz .LBB62_371
; %bb.370:
	s_wait_loadcnt 0x0
	global_load_u8 v4, v[6:7], off
	s_mov_b32 s0, 0
	s_delay_alu instid0(SALU_CYCLE_1)
	v_mov_b32_e32 v5, s0
	s_wait_loadcnt 0x0
	v_and_b32_e32 v4, 0xffff, v4
.LBB62_371:
	s_mov_b32 s31, -1
.LBB62_372:
	s_delay_alu instid0(SALU_CYCLE_1)
	s_and_not1_b32 vcc_lo, exec_lo, s31
	s_cbranch_vccnz .LBB62_628
; %bb.373:
	s_wait_xcnt 0x0
	v_mul_lo_u32 v6, v22, s2
	s_and_b32 s0, s27, 0xff
	s_delay_alu instid0(SALU_CYCLE_1) | instskip(NEXT) | instid1(VALU_DEP_1)
	s_cmp_lt_i32 s0, 11
	v_ashrrev_i32_e32 v7, 31, v6
	s_delay_alu instid0(VALU_DEP_1)
	v_add_nc_u64_e32 v[8:9], s[12:13], v[6:7]
	s_cbranch_scc1 .LBB62_380
; %bb.374:
	s_and_b32 s1, 0xffff, s0
	s_delay_alu instid0(SALU_CYCLE_1)
	s_cmp_gt_i32 s1, 25
	s_cbranch_scc0 .LBB62_381
; %bb.375:
	s_cmp_gt_i32 s1, 28
	s_cbranch_scc0 .LBB62_382
; %bb.376:
	;; [unrolled: 3-line block ×4, first 2 shown]
	s_cmp_eq_u32 s1, 46
	s_mov_b32 s34, 0
	s_cbranch_scc0 .LBB62_385
; %bb.379:
	global_load_b32 v6, v[8:9], off
	s_mov_b32 s31, -1
	s_wait_loadcnt 0x0
	v_lshlrev_b32_e32 v6, 16, v6
	s_delay_alu instid0(VALU_DEP_1) | instskip(NEXT) | instid1(VALU_DEP_1)
	v_trunc_f32_e32 v6, v6
	v_mul_f32_e64 v7, 0x2f800000, |v6|
	s_delay_alu instid0(VALU_DEP_1) | instskip(NEXT) | instid1(VALU_DEP_1)
	v_floor_f32_e32 v7, v7
	v_fma_f32 v10, 0xcf800000, v7, |v6|
	v_ashrrev_i32_e32 v6, 31, v6
	v_cvt_u32_f32_e32 v11, v7
	s_delay_alu instid0(VALU_DEP_3) | instskip(NEXT) | instid1(VALU_DEP_2)
	v_cvt_u32_f32_e32 v10, v10
	v_dual_mov_b32 v7, v6 :: v_dual_bitop2_b32 v11, v11, v6 bitop3:0x14
	s_delay_alu instid0(VALU_DEP_2) | instskip(NEXT) | instid1(VALU_DEP_1)
	v_xor_b32_e32 v10, v10, v6
	v_sub_nc_u64_e32 v[6:7], v[10:11], v[6:7]
	s_branch .LBB62_387
.LBB62_380:
	s_mov_b32 s1, -1
	s_mov_b32 s31, 0
                                        ; implicit-def: $vgpr6_vgpr7
	s_branch .LBB62_448
.LBB62_381:
	s_mov_b32 s34, -1
	s_mov_b32 s31, 0
                                        ; implicit-def: $vgpr6_vgpr7
	s_branch .LBB62_414
.LBB62_382:
	s_mov_b32 s34, -1
	s_mov_b32 s31, 0
                                        ; implicit-def: $vgpr6_vgpr7
	s_branch .LBB62_397
.LBB62_383:
	s_mov_b32 s34, -1
	s_mov_b32 s31, 0
                                        ; implicit-def: $vgpr6_vgpr7
	s_branch .LBB62_392
.LBB62_384:
	s_mov_b32 s34, -1
	s_branch .LBB62_386
.LBB62_385:
	s_mov_b32 s68, -1
.LBB62_386:
	s_mov_b32 s31, 0
                                        ; implicit-def: $vgpr6_vgpr7
.LBB62_387:
	s_and_b32 vcc_lo, exec_lo, s34
	s_cbranch_vccz .LBB62_391
; %bb.388:
	s_cmp_eq_u32 s1, 44
	s_cbranch_scc0 .LBB62_390
; %bb.389:
	global_load_u8 v12, v[8:9], off
	s_mov_b32 s68, 0
	s_mov_b32 s31, -1
	s_wait_loadcnt 0x0
	v_cmp_ne_u32_e32 vcc_lo, 0, v12
	v_lshlrev_b32_e32 v6, 23, v12
	s_delay_alu instid0(VALU_DEP_1) | instskip(NEXT) | instid1(VALU_DEP_1)
	v_trunc_f32_e32 v6, v6
	v_mul_f32_e64 v7, 0x2f800000, |v6|
	s_delay_alu instid0(VALU_DEP_1) | instskip(NEXT) | instid1(VALU_DEP_1)
	v_floor_f32_e32 v7, v7
	v_fma_f32 v10, 0xcf800000, v7, |v6|
	v_ashrrev_i32_e32 v6, 31, v6
	v_cvt_u32_f32_e32 v11, v7
	s_delay_alu instid0(VALU_DEP_3) | instskip(NEXT) | instid1(VALU_DEP_2)
	v_cvt_u32_f32_e32 v10, v10
	v_dual_mov_b32 v7, v6 :: v_dual_bitop2_b32 v11, v11, v6 bitop3:0x14
	s_delay_alu instid0(VALU_DEP_2) | instskip(NEXT) | instid1(VALU_DEP_1)
	v_xor_b32_e32 v10, v10, v6
	v_sub_nc_u64_e32 v[6:7], v[10:11], v[6:7]
	s_delay_alu instid0(VALU_DEP_1)
	v_dual_cndmask_b32 v7, 0, v7 :: v_dual_cndmask_b32 v6, 0, v6
	s_branch .LBB62_391
.LBB62_390:
	s_mov_b32 s68, -1
                                        ; implicit-def: $vgpr6_vgpr7
.LBB62_391:
	s_mov_b32 s34, 0
.LBB62_392:
	s_delay_alu instid0(SALU_CYCLE_1)
	s_and_b32 vcc_lo, exec_lo, s34
	s_cbranch_vccz .LBB62_396
; %bb.393:
	s_cmp_eq_u32 s1, 29
	s_cbranch_scc0 .LBB62_395
; %bb.394:
	global_load_b64 v[6:7], v[8:9], off
	s_mov_b32 s31, -1
	s_mov_b32 s68, 0
	s_branch .LBB62_396
.LBB62_395:
	s_mov_b32 s68, -1
                                        ; implicit-def: $vgpr6_vgpr7
.LBB62_396:
	s_mov_b32 s34, 0
.LBB62_397:
	s_delay_alu instid0(SALU_CYCLE_1)
	s_and_b32 vcc_lo, exec_lo, s34
	s_cbranch_vccz .LBB62_413
; %bb.398:
	s_cmp_lt_i32 s1, 27
	s_cbranch_scc1 .LBB62_401
; %bb.399:
	s_cmp_gt_i32 s1, 27
	s_cbranch_scc0 .LBB62_402
; %bb.400:
	s_wait_loadcnt 0x0
	global_load_b32 v6, v[8:9], off
	v_mov_b32_e32 v7, 0
	s_mov_b32 s31, 0
	s_branch .LBB62_403
.LBB62_401:
	s_mov_b32 s31, -1
                                        ; implicit-def: $vgpr6_vgpr7
	s_branch .LBB62_406
.LBB62_402:
	s_mov_b32 s31, -1
                                        ; implicit-def: $vgpr6_vgpr7
.LBB62_403:
	s_delay_alu instid0(SALU_CYCLE_1)
	s_and_not1_b32 vcc_lo, exec_lo, s31
	s_cbranch_vccnz .LBB62_405
; %bb.404:
	s_wait_loadcnt 0x0
	global_load_u16 v6, v[8:9], off
	s_mov_b32 s31, 0
	s_delay_alu instid0(SALU_CYCLE_1)
	v_mov_b32_e32 v7, s31
	s_wait_loadcnt 0x0
	v_and_b32_e32 v6, 0xffff, v6
.LBB62_405:
	s_mov_b32 s31, 0
.LBB62_406:
	s_delay_alu instid0(SALU_CYCLE_1)
	s_and_not1_b32 vcc_lo, exec_lo, s31
	s_cbranch_vccnz .LBB62_412
; %bb.407:
	global_load_u8 v10, v[8:9], off
	s_mov_b32 s34, 0
	s_mov_b32 s31, exec_lo
	s_wait_loadcnt 0x0
	v_cmpx_lt_i16_e32 0x7f, v10
	s_xor_b32 s31, exec_lo, s31
	s_cbranch_execz .LBB62_424
; %bb.408:
	v_cmp_ne_u16_e32 vcc_lo, 0x80, v10
	s_and_b32 s34, vcc_lo, exec_lo
	s_and_not1_saveexec_b32 s31, s31
	s_cbranch_execnz .LBB62_425
.LBB62_409:
	s_or_b32 exec_lo, exec_lo, s31
	v_mov_b64_e32 v[6:7], 0
	s_and_saveexec_b32 s31, s34
	s_cbranch_execz .LBB62_411
.LBB62_410:
	v_and_b32_e32 v6, 0xffff, v10
	s_delay_alu instid0(VALU_DEP_1) | instskip(SKIP_1) | instid1(VALU_DEP_2)
	v_and_b32_e32 v7, 7, v6
	v_bfe_u32 v13, v6, 3, 4
	v_clz_i32_u32_e32 v11, v7
	s_delay_alu instid0(VALU_DEP_2) | instskip(NEXT) | instid1(VALU_DEP_2)
	v_cmp_eq_u32_e32 vcc_lo, 0, v13
	v_min_u32_e32 v11, 32, v11
	s_delay_alu instid0(VALU_DEP_1) | instskip(NEXT) | instid1(VALU_DEP_1)
	v_subrev_nc_u32_e32 v12, 28, v11
	v_dual_lshlrev_b32 v6, v12, v6 :: v_dual_sub_nc_u32 v11, 29, v11
	s_delay_alu instid0(VALU_DEP_1) | instskip(NEXT) | instid1(VALU_DEP_2)
	v_and_b32_e32 v6, 7, v6
	v_dual_cndmask_b32 v11, v13, v11 :: v_dual_lshlrev_b32 v10, 24, v10
	s_delay_alu instid0(VALU_DEP_2) | instskip(NEXT) | instid1(VALU_DEP_2)
	v_cndmask_b32_e32 v6, v7, v6, vcc_lo
	v_and_b32_e32 v7, 0x80000000, v10
	s_delay_alu instid0(VALU_DEP_3) | instskip(NEXT) | instid1(VALU_DEP_3)
	v_lshl_add_u32 v10, v11, 23, 0x3b800000
	v_lshlrev_b32_e32 v6, 20, v6
	s_delay_alu instid0(VALU_DEP_1) | instskip(NEXT) | instid1(VALU_DEP_1)
	v_or3_b32 v6, v7, v10, v6
	v_trunc_f32_e32 v6, v6
	s_delay_alu instid0(VALU_DEP_1) | instskip(NEXT) | instid1(VALU_DEP_1)
	v_mul_f32_e64 v7, 0x2f800000, |v6|
	v_floor_f32_e32 v7, v7
	s_delay_alu instid0(VALU_DEP_1) | instskip(SKIP_2) | instid1(VALU_DEP_3)
	v_fma_f32 v10, 0xcf800000, v7, |v6|
	v_ashrrev_i32_e32 v6, 31, v6
	v_cvt_u32_f32_e32 v11, v7
	v_cvt_u32_f32_e32 v10, v10
	s_delay_alu instid0(VALU_DEP_2) | instskip(NEXT) | instid1(VALU_DEP_2)
	v_dual_mov_b32 v7, v6 :: v_dual_bitop2_b32 v11, v11, v6 bitop3:0x14
	v_xor_b32_e32 v10, v10, v6
	s_delay_alu instid0(VALU_DEP_1)
	v_sub_nc_u64_e32 v[6:7], v[10:11], v[6:7]
.LBB62_411:
	s_or_b32 exec_lo, exec_lo, s31
.LBB62_412:
	s_mov_b32 s31, -1
.LBB62_413:
	s_mov_b32 s34, 0
.LBB62_414:
	s_delay_alu instid0(SALU_CYCLE_1)
	s_and_b32 vcc_lo, exec_lo, s34
	s_cbranch_vccz .LBB62_447
; %bb.415:
	s_cmp_gt_i32 s1, 22
	s_cbranch_scc0 .LBB62_423
; %bb.416:
	s_cmp_lt_i32 s1, 24
	s_cbranch_scc1 .LBB62_426
; %bb.417:
	s_cmp_gt_i32 s1, 24
	s_cbranch_scc0 .LBB62_427
; %bb.418:
	global_load_u8 v10, v[8:9], off
	s_mov_b32 s34, 0
	s_mov_b32 s31, exec_lo
	s_wait_loadcnt 0x0
	v_cmpx_lt_i16_e32 0x7f, v10
	s_xor_b32 s31, exec_lo, s31
	s_cbranch_execz .LBB62_439
; %bb.419:
	v_cmp_ne_u16_e32 vcc_lo, 0x80, v10
	s_and_b32 s34, vcc_lo, exec_lo
	s_and_not1_saveexec_b32 s31, s31
	s_cbranch_execnz .LBB62_440
.LBB62_420:
	s_or_b32 exec_lo, exec_lo, s31
	v_mov_b64_e32 v[6:7], 0
	s_and_saveexec_b32 s31, s34
	s_cbranch_execz .LBB62_422
.LBB62_421:
	v_and_b32_e32 v6, 0xffff, v10
	s_delay_alu instid0(VALU_DEP_1) | instskip(SKIP_1) | instid1(VALU_DEP_2)
	v_and_b32_e32 v7, 3, v6
	v_bfe_u32 v13, v6, 2, 5
	v_clz_i32_u32_e32 v11, v7
	s_delay_alu instid0(VALU_DEP_2) | instskip(NEXT) | instid1(VALU_DEP_2)
	v_cmp_eq_u32_e32 vcc_lo, 0, v13
	v_min_u32_e32 v11, 32, v11
	s_delay_alu instid0(VALU_DEP_1) | instskip(NEXT) | instid1(VALU_DEP_1)
	v_subrev_nc_u32_e32 v12, 29, v11
	v_dual_lshlrev_b32 v6, v12, v6 :: v_dual_sub_nc_u32 v11, 30, v11
	s_delay_alu instid0(VALU_DEP_1) | instskip(NEXT) | instid1(VALU_DEP_2)
	v_and_b32_e32 v6, 3, v6
	v_dual_cndmask_b32 v11, v13, v11 :: v_dual_lshlrev_b32 v10, 24, v10
	s_delay_alu instid0(VALU_DEP_2) | instskip(NEXT) | instid1(VALU_DEP_2)
	v_cndmask_b32_e32 v6, v7, v6, vcc_lo
	v_and_b32_e32 v7, 0x80000000, v10
	s_delay_alu instid0(VALU_DEP_3) | instskip(NEXT) | instid1(VALU_DEP_3)
	v_lshl_add_u32 v10, v11, 23, 0x37800000
	v_lshlrev_b32_e32 v6, 21, v6
	s_delay_alu instid0(VALU_DEP_1) | instskip(NEXT) | instid1(VALU_DEP_1)
	v_or3_b32 v6, v7, v10, v6
	v_trunc_f32_e32 v6, v6
	s_delay_alu instid0(VALU_DEP_1) | instskip(NEXT) | instid1(VALU_DEP_1)
	v_mul_f32_e64 v7, 0x2f800000, |v6|
	v_floor_f32_e32 v7, v7
	s_delay_alu instid0(VALU_DEP_1) | instskip(SKIP_2) | instid1(VALU_DEP_3)
	v_fma_f32 v10, 0xcf800000, v7, |v6|
	v_ashrrev_i32_e32 v6, 31, v6
	v_cvt_u32_f32_e32 v11, v7
	v_cvt_u32_f32_e32 v10, v10
	s_delay_alu instid0(VALU_DEP_2) | instskip(NEXT) | instid1(VALU_DEP_2)
	v_dual_mov_b32 v7, v6 :: v_dual_bitop2_b32 v11, v11, v6 bitop3:0x14
	v_xor_b32_e32 v10, v10, v6
	s_delay_alu instid0(VALU_DEP_1)
	v_sub_nc_u64_e32 v[6:7], v[10:11], v[6:7]
.LBB62_422:
	s_or_b32 exec_lo, exec_lo, s31
	s_mov_b32 s31, 0
	s_branch .LBB62_428
.LBB62_423:
	s_mov_b32 s34, -1
                                        ; implicit-def: $vgpr6_vgpr7
	s_branch .LBB62_434
.LBB62_424:
	s_and_not1_saveexec_b32 s31, s31
	s_cbranch_execz .LBB62_409
.LBB62_425:
	v_cmp_ne_u16_e32 vcc_lo, 0, v10
	s_and_not1_b32 s34, s34, exec_lo
	s_and_b32 s35, vcc_lo, exec_lo
	s_delay_alu instid0(SALU_CYCLE_1)
	s_or_b32 s34, s34, s35
	s_or_b32 exec_lo, exec_lo, s31
	v_mov_b64_e32 v[6:7], 0
	s_and_saveexec_b32 s31, s34
	s_cbranch_execnz .LBB62_410
	s_branch .LBB62_411
.LBB62_426:
	s_mov_b32 s31, -1
                                        ; implicit-def: $vgpr6_vgpr7
	s_branch .LBB62_431
.LBB62_427:
	s_mov_b32 s31, -1
                                        ; implicit-def: $vgpr6_vgpr7
.LBB62_428:
	s_delay_alu instid0(SALU_CYCLE_1)
	s_and_b32 vcc_lo, exec_lo, s31
	s_cbranch_vccz .LBB62_430
; %bb.429:
	s_wait_loadcnt 0x0
	global_load_u8 v6, v[8:9], off
	s_wait_loadcnt 0x0
	v_lshlrev_b32_e32 v6, 24, v6
	s_delay_alu instid0(VALU_DEP_1) | instskip(NEXT) | instid1(VALU_DEP_1)
	v_and_b32_e32 v7, 0x7f000000, v6
	v_clz_i32_u32_e32 v10, v7
	v_cmp_ne_u32_e32 vcc_lo, 0, v7
	v_add_nc_u32_e32 v12, 0x1000000, v7
	s_delay_alu instid0(VALU_DEP_3) | instskip(NEXT) | instid1(VALU_DEP_1)
	v_min_u32_e32 v10, 32, v10
	v_sub_nc_u32_e64 v10, v10, 4 clamp
	s_delay_alu instid0(VALU_DEP_1) | instskip(NEXT) | instid1(VALU_DEP_1)
	v_dual_lshlrev_b32 v11, v10, v7 :: v_dual_lshlrev_b32 v10, 23, v10
	v_lshrrev_b32_e32 v11, 4, v11
	s_delay_alu instid0(VALU_DEP_1) | instskip(NEXT) | instid1(VALU_DEP_1)
	v_dual_sub_nc_u32 v10, v11, v10 :: v_dual_ashrrev_i32 v11, 8, v12
	v_add_nc_u32_e32 v10, 0x3c000000, v10
	s_delay_alu instid0(VALU_DEP_1) | instskip(NEXT) | instid1(VALU_DEP_1)
	v_and_or_b32 v10, 0x7f800000, v11, v10
	v_cndmask_b32_e32 v7, 0, v10, vcc_lo
	s_delay_alu instid0(VALU_DEP_1) | instskip(NEXT) | instid1(VALU_DEP_1)
	v_and_or_b32 v6, 0x80000000, v6, v7
	v_trunc_f32_e32 v6, v6
	s_delay_alu instid0(VALU_DEP_1) | instskip(NEXT) | instid1(VALU_DEP_1)
	v_mul_f32_e64 v7, 0x2f800000, |v6|
	v_floor_f32_e32 v7, v7
	s_delay_alu instid0(VALU_DEP_1) | instskip(SKIP_2) | instid1(VALU_DEP_3)
	v_fma_f32 v10, 0xcf800000, v7, |v6|
	v_ashrrev_i32_e32 v6, 31, v6
	v_cvt_u32_f32_e32 v11, v7
	v_cvt_u32_f32_e32 v10, v10
	s_delay_alu instid0(VALU_DEP_2) | instskip(NEXT) | instid1(VALU_DEP_2)
	v_dual_mov_b32 v7, v6 :: v_dual_bitop2_b32 v11, v11, v6 bitop3:0x14
	v_xor_b32_e32 v10, v10, v6
	s_delay_alu instid0(VALU_DEP_1)
	v_sub_nc_u64_e32 v[6:7], v[10:11], v[6:7]
.LBB62_430:
	s_mov_b32 s31, 0
.LBB62_431:
	s_delay_alu instid0(SALU_CYCLE_1)
	s_and_not1_b32 vcc_lo, exec_lo, s31
	s_cbranch_vccnz .LBB62_433
; %bb.432:
	s_wait_loadcnt 0x0
	global_load_u8 v6, v[8:9], off
	s_wait_loadcnt 0x0
	v_lshlrev_b32_e32 v7, 25, v6
	v_lshlrev_b16 v6, 8, v6
	s_delay_alu instid0(VALU_DEP_1) | instskip(SKIP_1) | instid1(VALU_DEP_2)
	v_and_or_b32 v11, 0x7f00, v6, 0.5
	v_bfe_i32 v6, v6, 0, 16
	v_add_f32_e32 v11, -0.5, v11
	v_lshrrev_b32_e32 v10, 4, v7
	v_cmp_gt_u32_e32 vcc_lo, 0x8000000, v7
	s_delay_alu instid0(VALU_DEP_2) | instskip(NEXT) | instid1(VALU_DEP_1)
	v_or_b32_e32 v10, 0x70000000, v10
	v_mul_f32_e32 v10, 0x7800000, v10
	s_delay_alu instid0(VALU_DEP_1) | instskip(NEXT) | instid1(VALU_DEP_1)
	v_cndmask_b32_e32 v7, v10, v11, vcc_lo
	v_and_or_b32 v6, 0x80000000, v6, v7
	s_delay_alu instid0(VALU_DEP_1) | instskip(NEXT) | instid1(VALU_DEP_1)
	v_trunc_f32_e32 v6, v6
	v_mul_f32_e64 v7, 0x2f800000, |v6|
	s_delay_alu instid0(VALU_DEP_1) | instskip(NEXT) | instid1(VALU_DEP_1)
	v_floor_f32_e32 v7, v7
	v_fma_f32 v10, 0xcf800000, v7, |v6|
	v_ashrrev_i32_e32 v6, 31, v6
	v_cvt_u32_f32_e32 v11, v7
	s_delay_alu instid0(VALU_DEP_3) | instskip(NEXT) | instid1(VALU_DEP_2)
	v_cvt_u32_f32_e32 v10, v10
	v_dual_mov_b32 v7, v6 :: v_dual_bitop2_b32 v11, v11, v6 bitop3:0x14
	s_delay_alu instid0(VALU_DEP_2) | instskip(NEXT) | instid1(VALU_DEP_1)
	v_xor_b32_e32 v10, v10, v6
	v_sub_nc_u64_e32 v[6:7], v[10:11], v[6:7]
.LBB62_433:
	s_mov_b32 s34, 0
	s_mov_b32 s31, -1
.LBB62_434:
	s_and_not1_b32 vcc_lo, exec_lo, s34
	s_cbranch_vccnz .LBB62_447
; %bb.435:
	s_cmp_gt_i32 s1, 14
	s_cbranch_scc0 .LBB62_438
; %bb.436:
	s_cmp_eq_u32 s1, 15
	s_cbranch_scc0 .LBB62_441
; %bb.437:
	s_wait_loadcnt 0x0
	global_load_u16 v6, v[8:9], off
	s_mov_b32 s31, -1
	s_mov_b32 s68, 0
	s_wait_loadcnt 0x0
	v_lshlrev_b32_e32 v6, 16, v6
	s_delay_alu instid0(VALU_DEP_1) | instskip(NEXT) | instid1(VALU_DEP_1)
	v_trunc_f32_e32 v6, v6
	v_mul_f32_e64 v7, 0x2f800000, |v6|
	s_delay_alu instid0(VALU_DEP_1) | instskip(NEXT) | instid1(VALU_DEP_1)
	v_floor_f32_e32 v7, v7
	v_fma_f32 v10, 0xcf800000, v7, |v6|
	v_ashrrev_i32_e32 v6, 31, v6
	v_cvt_u32_f32_e32 v11, v7
	s_delay_alu instid0(VALU_DEP_3) | instskip(NEXT) | instid1(VALU_DEP_2)
	v_cvt_u32_f32_e32 v10, v10
	v_dual_mov_b32 v7, v6 :: v_dual_bitop2_b32 v11, v11, v6 bitop3:0x14
	s_delay_alu instid0(VALU_DEP_2) | instskip(NEXT) | instid1(VALU_DEP_1)
	v_xor_b32_e32 v10, v10, v6
	v_sub_nc_u64_e32 v[6:7], v[10:11], v[6:7]
	s_branch .LBB62_442
.LBB62_438:
	s_mov_b32 s34, -1
                                        ; implicit-def: $vgpr6_vgpr7
	s_branch .LBB62_443
.LBB62_439:
	s_and_not1_saveexec_b32 s31, s31
	s_cbranch_execz .LBB62_420
.LBB62_440:
	v_cmp_ne_u16_e32 vcc_lo, 0, v10
	s_and_not1_b32 s34, s34, exec_lo
	s_and_b32 s35, vcc_lo, exec_lo
	s_delay_alu instid0(SALU_CYCLE_1)
	s_or_b32 s34, s34, s35
	s_or_b32 exec_lo, exec_lo, s31
	v_mov_b64_e32 v[6:7], 0
	s_and_saveexec_b32 s31, s34
	s_cbranch_execnz .LBB62_421
	s_branch .LBB62_422
.LBB62_441:
	s_mov_b32 s68, -1
                                        ; implicit-def: $vgpr6_vgpr7
.LBB62_442:
	s_mov_b32 s34, 0
.LBB62_443:
	s_delay_alu instid0(SALU_CYCLE_1)
	s_and_b32 vcc_lo, exec_lo, s34
	s_cbranch_vccz .LBB62_447
; %bb.444:
	s_cmp_eq_u32 s1, 11
	s_cbranch_scc0 .LBB62_446
; %bb.445:
	s_wait_loadcnt 0x0
	global_load_u8 v6, v[8:9], off
	s_mov_b32 s68, 0
	s_mov_b32 s31, -1
	v_mov_b32_e32 v7, s68
	s_wait_loadcnt 0x0
	v_cmp_ne_u16_e32 vcc_lo, 0, v6
	v_cndmask_b32_e64 v6, 0, 1, vcc_lo
	s_branch .LBB62_447
.LBB62_446:
	s_mov_b32 s68, -1
                                        ; implicit-def: $vgpr6_vgpr7
.LBB62_447:
	s_mov_b32 s1, 0
.LBB62_448:
	s_delay_alu instid0(SALU_CYCLE_1)
	s_and_b32 vcc_lo, exec_lo, s1
	s_cbranch_vccz .LBB62_497
; %bb.449:
	s_and_b32 s0, 0xffff, s0
	s_delay_alu instid0(SALU_CYCLE_1)
	s_cmp_lt_i32 s0, 5
	s_cbranch_scc1 .LBB62_454
; %bb.450:
	s_cmp_lt_i32 s0, 8
	s_cbranch_scc1 .LBB62_455
; %bb.451:
	;; [unrolled: 3-line block ×3, first 2 shown]
	s_cmp_gt_i32 s0, 9
	s_cbranch_scc0 .LBB62_457
; %bb.453:
	s_wait_loadcnt 0x0
	global_load_b64 v[6:7], v[8:9], off
	s_mov_b32 s1, 0
	s_wait_loadcnt 0x0
	v_trunc_f64_e32 v[6:7], v[6:7]
	s_delay_alu instid0(VALU_DEP_1) | instskip(NEXT) | instid1(VALU_DEP_1)
	v_ldexp_f64 v[10:11], v[6:7], 0xffffffe0
	v_floor_f64_e32 v[10:11], v[10:11]
	s_delay_alu instid0(VALU_DEP_1) | instskip(SKIP_1) | instid1(VALU_DEP_2)
	v_fmamk_f64 v[12:13], v[10:11], 0xc1f00000, v[6:7]
	v_cvt_i32_f64_e32 v7, v[10:11]
	v_cvt_u32_f64_e32 v6, v[12:13]
	s_branch .LBB62_458
.LBB62_454:
	s_mov_b32 s1, -1
                                        ; implicit-def: $vgpr6_vgpr7
	s_branch .LBB62_476
.LBB62_455:
	s_mov_b32 s1, -1
                                        ; implicit-def: $vgpr6_vgpr7
	s_branch .LBB62_464
.LBB62_456:
	s_mov_b32 s1, -1
                                        ; implicit-def: $vgpr6_vgpr7
	s_branch .LBB62_461
.LBB62_457:
	s_mov_b32 s1, -1
                                        ; implicit-def: $vgpr6_vgpr7
.LBB62_458:
	s_delay_alu instid0(SALU_CYCLE_1)
	s_and_not1_b32 vcc_lo, exec_lo, s1
	s_cbranch_vccnz .LBB62_460
; %bb.459:
	s_wait_loadcnt 0x0
	global_load_b32 v6, v[8:9], off
	s_wait_loadcnt 0x0
	v_trunc_f32_e32 v6, v6
	s_delay_alu instid0(VALU_DEP_1) | instskip(NEXT) | instid1(VALU_DEP_1)
	v_mul_f32_e64 v7, 0x2f800000, |v6|
	v_floor_f32_e32 v7, v7
	s_delay_alu instid0(VALU_DEP_1) | instskip(SKIP_2) | instid1(VALU_DEP_3)
	v_fma_f32 v10, 0xcf800000, v7, |v6|
	v_ashrrev_i32_e32 v6, 31, v6
	v_cvt_u32_f32_e32 v11, v7
	v_cvt_u32_f32_e32 v10, v10
	s_delay_alu instid0(VALU_DEP_2) | instskip(NEXT) | instid1(VALU_DEP_2)
	v_dual_mov_b32 v7, v6 :: v_dual_bitop2_b32 v11, v11, v6 bitop3:0x14
	v_xor_b32_e32 v10, v10, v6
	s_delay_alu instid0(VALU_DEP_1)
	v_sub_nc_u64_e32 v[6:7], v[10:11], v[6:7]
.LBB62_460:
	s_mov_b32 s1, 0
.LBB62_461:
	s_delay_alu instid0(SALU_CYCLE_1)
	s_and_not1_b32 vcc_lo, exec_lo, s1
	s_cbranch_vccnz .LBB62_463
; %bb.462:
	s_wait_loadcnt 0x0
	global_load_b32 v6, v[8:9], off
	s_wait_loadcnt 0x0
	v_cvt_f32_f16_e32 v6, v6
	s_delay_alu instid0(VALU_DEP_1) | instskip(NEXT) | instid1(VALU_DEP_1)
	v_cvt_i32_f32_e32 v6, v6
	v_ashrrev_i32_e32 v7, 31, v6
.LBB62_463:
	s_mov_b32 s1, 0
.LBB62_464:
	s_delay_alu instid0(SALU_CYCLE_1)
	s_and_not1_b32 vcc_lo, exec_lo, s1
	s_cbranch_vccnz .LBB62_475
; %bb.465:
	s_cmp_lt_i32 s0, 6
	s_cbranch_scc1 .LBB62_468
; %bb.466:
	s_cmp_gt_i32 s0, 6
	s_cbranch_scc0 .LBB62_469
; %bb.467:
	s_wait_loadcnt 0x0
	global_load_b64 v[6:7], v[8:9], off
	s_mov_b32 s1, 0
	s_wait_loadcnt 0x0
	v_trunc_f64_e32 v[6:7], v[6:7]
	s_delay_alu instid0(VALU_DEP_1) | instskip(NEXT) | instid1(VALU_DEP_1)
	v_ldexp_f64 v[10:11], v[6:7], 0xffffffe0
	v_floor_f64_e32 v[10:11], v[10:11]
	s_delay_alu instid0(VALU_DEP_1) | instskip(SKIP_1) | instid1(VALU_DEP_2)
	v_fmamk_f64 v[12:13], v[10:11], 0xc1f00000, v[6:7]
	v_cvt_i32_f64_e32 v7, v[10:11]
	v_cvt_u32_f64_e32 v6, v[12:13]
	s_branch .LBB62_470
.LBB62_468:
	s_mov_b32 s1, -1
                                        ; implicit-def: $vgpr6_vgpr7
	s_branch .LBB62_473
.LBB62_469:
	s_mov_b32 s1, -1
                                        ; implicit-def: $vgpr6_vgpr7
.LBB62_470:
	s_delay_alu instid0(SALU_CYCLE_1)
	s_and_not1_b32 vcc_lo, exec_lo, s1
	s_cbranch_vccnz .LBB62_472
; %bb.471:
	s_wait_loadcnt 0x0
	global_load_b32 v6, v[8:9], off
	s_wait_loadcnt 0x0
	v_trunc_f32_e32 v6, v6
	s_delay_alu instid0(VALU_DEP_1) | instskip(NEXT) | instid1(VALU_DEP_1)
	v_mul_f32_e64 v7, 0x2f800000, |v6|
	v_floor_f32_e32 v7, v7
	s_delay_alu instid0(VALU_DEP_1) | instskip(SKIP_2) | instid1(VALU_DEP_3)
	v_fma_f32 v10, 0xcf800000, v7, |v6|
	v_ashrrev_i32_e32 v6, 31, v6
	v_cvt_u32_f32_e32 v11, v7
	v_cvt_u32_f32_e32 v10, v10
	s_delay_alu instid0(VALU_DEP_2) | instskip(NEXT) | instid1(VALU_DEP_2)
	v_dual_mov_b32 v7, v6 :: v_dual_bitop2_b32 v11, v11, v6 bitop3:0x14
	v_xor_b32_e32 v10, v10, v6
	s_delay_alu instid0(VALU_DEP_1)
	v_sub_nc_u64_e32 v[6:7], v[10:11], v[6:7]
.LBB62_472:
	s_mov_b32 s1, 0
.LBB62_473:
	s_delay_alu instid0(SALU_CYCLE_1)
	s_and_not1_b32 vcc_lo, exec_lo, s1
	s_cbranch_vccnz .LBB62_475
; %bb.474:
	s_wait_loadcnt 0x0
	global_load_u16 v6, v[8:9], off
	s_wait_loadcnt 0x0
	v_cvt_f32_f16_e32 v6, v6
	s_delay_alu instid0(VALU_DEP_1) | instskip(NEXT) | instid1(VALU_DEP_1)
	v_cvt_i32_f32_e32 v6, v6
	v_ashrrev_i32_e32 v7, 31, v6
.LBB62_475:
	s_mov_b32 s1, 0
.LBB62_476:
	s_delay_alu instid0(SALU_CYCLE_1)
	s_and_not1_b32 vcc_lo, exec_lo, s1
	s_cbranch_vccnz .LBB62_496
; %bb.477:
	s_cmp_lt_i32 s0, 2
	s_cbranch_scc1 .LBB62_481
; %bb.478:
	s_cmp_lt_i32 s0, 3
	s_cbranch_scc1 .LBB62_482
; %bb.479:
	s_cmp_gt_i32 s0, 3
	s_cbranch_scc0 .LBB62_483
; %bb.480:
	s_wait_loadcnt 0x0
	global_load_b64 v[6:7], v[8:9], off
	s_mov_b32 s1, 0
	s_branch .LBB62_484
.LBB62_481:
	s_mov_b32 s1, -1
                                        ; implicit-def: $vgpr6_vgpr7
	s_branch .LBB62_490
.LBB62_482:
	s_mov_b32 s1, -1
                                        ; implicit-def: $vgpr6_vgpr7
	s_branch .LBB62_487
.LBB62_483:
	s_mov_b32 s1, -1
                                        ; implicit-def: $vgpr6_vgpr7
.LBB62_484:
	s_delay_alu instid0(SALU_CYCLE_1)
	s_and_not1_b32 vcc_lo, exec_lo, s1
	s_cbranch_vccnz .LBB62_486
; %bb.485:
	s_wait_loadcnt 0x0
	global_load_b32 v6, v[8:9], off
	s_wait_loadcnt 0x0
	v_ashrrev_i32_e32 v7, 31, v6
.LBB62_486:
	s_mov_b32 s1, 0
.LBB62_487:
	s_delay_alu instid0(SALU_CYCLE_1)
	s_and_not1_b32 vcc_lo, exec_lo, s1
	s_cbranch_vccnz .LBB62_489
; %bb.488:
	s_wait_loadcnt 0x0
	global_load_u16 v6, v[8:9], off
	s_wait_loadcnt 0x0
	v_bfe_i32 v6, v6, 0, 16
	s_delay_alu instid0(VALU_DEP_1)
	v_ashrrev_i32_e32 v7, 31, v6
.LBB62_489:
	s_mov_b32 s1, 0
.LBB62_490:
	s_delay_alu instid0(SALU_CYCLE_1)
	s_and_not1_b32 vcc_lo, exec_lo, s1
	s_cbranch_vccnz .LBB62_496
; %bb.491:
	s_cmp_gt_i32 s0, 0
	s_mov_b32 s0, 0
	s_cbranch_scc0 .LBB62_493
; %bb.492:
	s_wait_loadcnt 0x0
	global_load_i8 v6, v[8:9], off
	s_wait_loadcnt 0x0
	v_bfe_i32 v6, v6, 0, 16
	s_delay_alu instid0(VALU_DEP_1)
	v_ashrrev_i32_e32 v7, 31, v6
	s_branch .LBB62_494
.LBB62_493:
	s_mov_b32 s0, -1
                                        ; implicit-def: $vgpr6_vgpr7
.LBB62_494:
	s_delay_alu instid0(SALU_CYCLE_1)
	s_and_not1_b32 vcc_lo, exec_lo, s0
	s_cbranch_vccnz .LBB62_496
; %bb.495:
	s_wait_loadcnt 0x0
	global_load_u8 v6, v[8:9], off
	s_mov_b32 s0, 0
	s_delay_alu instid0(SALU_CYCLE_1)
	v_mov_b32_e32 v7, s0
	s_wait_loadcnt 0x0
	v_and_b32_e32 v6, 0xffff, v6
.LBB62_496:
	s_mov_b32 s31, -1
.LBB62_497:
	s_delay_alu instid0(SALU_CYCLE_1)
	s_and_not1_b32 vcc_lo, exec_lo, s31
	s_cbranch_vccnz .LBB62_628
; %bb.498:
	s_wait_xcnt 0x0
	v_mul_lo_u32 v8, v22, s3
	s_and_b32 s0, s29, 0xff
	s_delay_alu instid0(SALU_CYCLE_1) | instskip(NEXT) | instid1(VALU_DEP_1)
	s_cmp_lt_i32 s0, 11
	v_ashrrev_i32_e32 v9, 31, v8
	s_delay_alu instid0(VALU_DEP_1)
	v_add_nc_u64_e32 v[8:9], s[14:15], v[8:9]
	s_cbranch_scc1 .LBB62_505
; %bb.499:
	s_and_b32 s1, 0xffff, s0
	s_delay_alu instid0(SALU_CYCLE_1)
	s_cmp_gt_i32 s1, 25
	s_cbranch_scc0 .LBB62_506
; %bb.500:
	s_cmp_gt_i32 s1, 28
	s_cbranch_scc0 .LBB62_507
; %bb.501:
	;; [unrolled: 3-line block ×4, first 2 shown]
	s_cmp_eq_u32 s1, 46
	s_mov_b32 s34, 0
	s_cbranch_scc0 .LBB62_510
; %bb.504:
	global_load_b32 v10, v[8:9], off
	s_mov_b32 s31, -1
	s_wait_loadcnt 0x0
	v_lshlrev_b32_e32 v10, 16, v10
	s_delay_alu instid0(VALU_DEP_1) | instskip(NEXT) | instid1(VALU_DEP_1)
	v_trunc_f32_e32 v10, v10
	v_mul_f32_e64 v11, 0x2f800000, |v10|
	s_delay_alu instid0(VALU_DEP_1) | instskip(NEXT) | instid1(VALU_DEP_1)
	v_floor_f32_e32 v11, v11
	v_fma_f32 v12, 0xcf800000, v11, |v10|
	v_ashrrev_i32_e32 v10, 31, v10
	v_cvt_u32_f32_e32 v13, v11
	s_delay_alu instid0(VALU_DEP_3) | instskip(NEXT) | instid1(VALU_DEP_2)
	v_cvt_u32_f32_e32 v12, v12
	v_dual_mov_b32 v11, v10 :: v_dual_bitop2_b32 v13, v13, v10 bitop3:0x14
	s_delay_alu instid0(VALU_DEP_2) | instskip(NEXT) | instid1(VALU_DEP_1)
	v_xor_b32_e32 v12, v12, v10
	v_sub_nc_u64_e32 v[10:11], v[12:13], v[10:11]
	s_branch .LBB62_512
.LBB62_505:
	s_mov_b32 s1, -1
	s_mov_b32 s31, 0
                                        ; implicit-def: $vgpr10_vgpr11
	s_branch .LBB62_573
.LBB62_506:
	s_mov_b32 s34, -1
	s_mov_b32 s31, 0
                                        ; implicit-def: $vgpr10_vgpr11
	s_branch .LBB62_539
.LBB62_507:
	s_mov_b32 s34, -1
	s_mov_b32 s31, 0
                                        ; implicit-def: $vgpr10_vgpr11
	s_branch .LBB62_522
.LBB62_508:
	s_mov_b32 s34, -1
	s_mov_b32 s31, 0
                                        ; implicit-def: $vgpr10_vgpr11
	s_branch .LBB62_517
.LBB62_509:
	s_mov_b32 s34, -1
	s_branch .LBB62_511
.LBB62_510:
	s_mov_b32 s67, -1
.LBB62_511:
	s_mov_b32 s31, 0
                                        ; implicit-def: $vgpr10_vgpr11
.LBB62_512:
	s_and_b32 vcc_lo, exec_lo, s34
	s_cbranch_vccz .LBB62_516
; %bb.513:
	s_cmp_eq_u32 s1, 44
	s_cbranch_scc0 .LBB62_515
; %bb.514:
	global_load_u8 v14, v[8:9], off
	s_mov_b32 s67, 0
	s_mov_b32 s31, -1
	s_wait_loadcnt 0x0
	v_cmp_ne_u32_e32 vcc_lo, 0, v14
	v_lshlrev_b32_e32 v10, 23, v14
	s_delay_alu instid0(VALU_DEP_1) | instskip(NEXT) | instid1(VALU_DEP_1)
	v_trunc_f32_e32 v10, v10
	v_mul_f32_e64 v11, 0x2f800000, |v10|
	s_delay_alu instid0(VALU_DEP_1) | instskip(NEXT) | instid1(VALU_DEP_1)
	v_floor_f32_e32 v11, v11
	v_fma_f32 v12, 0xcf800000, v11, |v10|
	v_ashrrev_i32_e32 v10, 31, v10
	v_cvt_u32_f32_e32 v13, v11
	s_delay_alu instid0(VALU_DEP_3) | instskip(NEXT) | instid1(VALU_DEP_2)
	v_cvt_u32_f32_e32 v12, v12
	v_dual_mov_b32 v11, v10 :: v_dual_bitop2_b32 v13, v13, v10 bitop3:0x14
	s_delay_alu instid0(VALU_DEP_2) | instskip(NEXT) | instid1(VALU_DEP_1)
	v_xor_b32_e32 v12, v12, v10
	v_sub_nc_u64_e32 v[10:11], v[12:13], v[10:11]
	s_delay_alu instid0(VALU_DEP_1)
	v_dual_cndmask_b32 v11, 0, v11 :: v_dual_cndmask_b32 v10, 0, v10
	s_branch .LBB62_516
.LBB62_515:
	s_mov_b32 s67, -1
                                        ; implicit-def: $vgpr10_vgpr11
.LBB62_516:
	s_mov_b32 s34, 0
.LBB62_517:
	s_delay_alu instid0(SALU_CYCLE_1)
	s_and_b32 vcc_lo, exec_lo, s34
	s_cbranch_vccz .LBB62_521
; %bb.518:
	s_cmp_eq_u32 s1, 29
	s_cbranch_scc0 .LBB62_520
; %bb.519:
	global_load_b64 v[10:11], v[8:9], off
	s_mov_b32 s31, -1
	s_mov_b32 s67, 0
	s_branch .LBB62_521
.LBB62_520:
	s_mov_b32 s67, -1
                                        ; implicit-def: $vgpr10_vgpr11
.LBB62_521:
	s_mov_b32 s34, 0
.LBB62_522:
	s_delay_alu instid0(SALU_CYCLE_1)
	s_and_b32 vcc_lo, exec_lo, s34
	s_cbranch_vccz .LBB62_538
; %bb.523:
	s_cmp_lt_i32 s1, 27
	s_cbranch_scc1 .LBB62_526
; %bb.524:
	s_cmp_gt_i32 s1, 27
	s_cbranch_scc0 .LBB62_527
; %bb.525:
	s_wait_loadcnt 0x0
	global_load_b32 v10, v[8:9], off
	v_mov_b32_e32 v11, 0
	s_mov_b32 s31, 0
	s_branch .LBB62_528
.LBB62_526:
	s_mov_b32 s31, -1
                                        ; implicit-def: $vgpr10_vgpr11
	s_branch .LBB62_531
.LBB62_527:
	s_mov_b32 s31, -1
                                        ; implicit-def: $vgpr10_vgpr11
.LBB62_528:
	s_delay_alu instid0(SALU_CYCLE_1)
	s_and_not1_b32 vcc_lo, exec_lo, s31
	s_cbranch_vccnz .LBB62_530
; %bb.529:
	s_wait_loadcnt 0x0
	global_load_u16 v10, v[8:9], off
	s_mov_b32 s31, 0
	s_delay_alu instid0(SALU_CYCLE_1)
	v_mov_b32_e32 v11, s31
	s_wait_loadcnt 0x0
	v_and_b32_e32 v10, 0xffff, v10
.LBB62_530:
	s_mov_b32 s31, 0
.LBB62_531:
	s_delay_alu instid0(SALU_CYCLE_1)
	s_and_not1_b32 vcc_lo, exec_lo, s31
	s_cbranch_vccnz .LBB62_537
; %bb.532:
	global_load_u8 v12, v[8:9], off
	s_mov_b32 s34, 0
	s_mov_b32 s31, exec_lo
	s_wait_loadcnt 0x0
	v_cmpx_lt_i16_e32 0x7f, v12
	s_xor_b32 s31, exec_lo, s31
	s_cbranch_execz .LBB62_549
; %bb.533:
	v_cmp_ne_u16_e32 vcc_lo, 0x80, v12
	s_and_b32 s34, vcc_lo, exec_lo
	s_and_not1_saveexec_b32 s31, s31
	s_cbranch_execnz .LBB62_550
.LBB62_534:
	s_or_b32 exec_lo, exec_lo, s31
	v_mov_b64_e32 v[10:11], 0
	s_and_saveexec_b32 s31, s34
	s_cbranch_execz .LBB62_536
.LBB62_535:
	v_and_b32_e32 v10, 0xffff, v12
	s_delay_alu instid0(VALU_DEP_1) | instskip(SKIP_1) | instid1(VALU_DEP_2)
	v_and_b32_e32 v11, 7, v10
	v_bfe_u32 v15, v10, 3, 4
	v_clz_i32_u32_e32 v13, v11
	s_delay_alu instid0(VALU_DEP_2) | instskip(NEXT) | instid1(VALU_DEP_2)
	v_cmp_eq_u32_e32 vcc_lo, 0, v15
	v_min_u32_e32 v13, 32, v13
	s_delay_alu instid0(VALU_DEP_1) | instskip(NEXT) | instid1(VALU_DEP_1)
	v_subrev_nc_u32_e32 v14, 28, v13
	v_dual_lshlrev_b32 v10, v14, v10 :: v_dual_sub_nc_u32 v13, 29, v13
	s_delay_alu instid0(VALU_DEP_1) | instskip(NEXT) | instid1(VALU_DEP_2)
	v_dual_lshlrev_b32 v12, 24, v12 :: v_dual_bitop2_b32 v10, 7, v10 bitop3:0x40
	v_cndmask_b32_e32 v13, v15, v13, vcc_lo
	s_delay_alu instid0(VALU_DEP_2) | instskip(NEXT) | instid1(VALU_DEP_3)
	v_cndmask_b32_e32 v10, v11, v10, vcc_lo
	v_and_b32_e32 v11, 0x80000000, v12
	s_delay_alu instid0(VALU_DEP_3) | instskip(NEXT) | instid1(VALU_DEP_3)
	v_lshl_add_u32 v12, v13, 23, 0x3b800000
	v_lshlrev_b32_e32 v10, 20, v10
	s_delay_alu instid0(VALU_DEP_1) | instskip(NEXT) | instid1(VALU_DEP_1)
	v_or3_b32 v10, v11, v12, v10
	v_trunc_f32_e32 v10, v10
	s_delay_alu instid0(VALU_DEP_1) | instskip(NEXT) | instid1(VALU_DEP_1)
	v_mul_f32_e64 v11, 0x2f800000, |v10|
	v_floor_f32_e32 v11, v11
	s_delay_alu instid0(VALU_DEP_1) | instskip(SKIP_2) | instid1(VALU_DEP_3)
	v_fma_f32 v12, 0xcf800000, v11, |v10|
	v_ashrrev_i32_e32 v10, 31, v10
	v_cvt_u32_f32_e32 v13, v11
	v_cvt_u32_f32_e32 v12, v12
	s_delay_alu instid0(VALU_DEP_2) | instskip(NEXT) | instid1(VALU_DEP_2)
	v_dual_mov_b32 v11, v10 :: v_dual_bitop2_b32 v13, v13, v10 bitop3:0x14
	v_xor_b32_e32 v12, v12, v10
	s_delay_alu instid0(VALU_DEP_1)
	v_sub_nc_u64_e32 v[10:11], v[12:13], v[10:11]
.LBB62_536:
	s_or_b32 exec_lo, exec_lo, s31
.LBB62_537:
	s_mov_b32 s31, -1
.LBB62_538:
	s_mov_b32 s34, 0
.LBB62_539:
	s_delay_alu instid0(SALU_CYCLE_1)
	s_and_b32 vcc_lo, exec_lo, s34
	s_cbranch_vccz .LBB62_572
; %bb.540:
	s_cmp_gt_i32 s1, 22
	s_cbranch_scc0 .LBB62_548
; %bb.541:
	s_cmp_lt_i32 s1, 24
	s_cbranch_scc1 .LBB62_551
; %bb.542:
	s_cmp_gt_i32 s1, 24
	s_cbranch_scc0 .LBB62_552
; %bb.543:
	global_load_u8 v12, v[8:9], off
	s_mov_b32 s34, 0
	s_mov_b32 s31, exec_lo
	s_wait_loadcnt 0x0
	v_cmpx_lt_i16_e32 0x7f, v12
	s_xor_b32 s31, exec_lo, s31
	s_cbranch_execz .LBB62_564
; %bb.544:
	v_cmp_ne_u16_e32 vcc_lo, 0x80, v12
	s_and_b32 s34, vcc_lo, exec_lo
	s_and_not1_saveexec_b32 s31, s31
	s_cbranch_execnz .LBB62_565
.LBB62_545:
	s_or_b32 exec_lo, exec_lo, s31
	v_mov_b64_e32 v[10:11], 0
	s_and_saveexec_b32 s31, s34
	s_cbranch_execz .LBB62_547
.LBB62_546:
	v_and_b32_e32 v10, 0xffff, v12
	s_delay_alu instid0(VALU_DEP_1) | instskip(SKIP_1) | instid1(VALU_DEP_2)
	v_and_b32_e32 v11, 3, v10
	v_bfe_u32 v15, v10, 2, 5
	v_clz_i32_u32_e32 v13, v11
	s_delay_alu instid0(VALU_DEP_2) | instskip(NEXT) | instid1(VALU_DEP_2)
	v_cmp_eq_u32_e32 vcc_lo, 0, v15
	v_min_u32_e32 v13, 32, v13
	s_delay_alu instid0(VALU_DEP_1) | instskip(NEXT) | instid1(VALU_DEP_1)
	v_subrev_nc_u32_e32 v14, 29, v13
	v_dual_lshlrev_b32 v10, v14, v10 :: v_dual_sub_nc_u32 v13, 30, v13
	s_delay_alu instid0(VALU_DEP_1) | instskip(NEXT) | instid1(VALU_DEP_2)
	v_dual_lshlrev_b32 v12, 24, v12 :: v_dual_bitop2_b32 v10, 3, v10 bitop3:0x40
	v_cndmask_b32_e32 v13, v15, v13, vcc_lo
	s_delay_alu instid0(VALU_DEP_2) | instskip(NEXT) | instid1(VALU_DEP_3)
	v_cndmask_b32_e32 v10, v11, v10, vcc_lo
	v_and_b32_e32 v11, 0x80000000, v12
	s_delay_alu instid0(VALU_DEP_3) | instskip(NEXT) | instid1(VALU_DEP_3)
	v_lshl_add_u32 v12, v13, 23, 0x37800000
	v_lshlrev_b32_e32 v10, 21, v10
	s_delay_alu instid0(VALU_DEP_1) | instskip(NEXT) | instid1(VALU_DEP_1)
	v_or3_b32 v10, v11, v12, v10
	v_trunc_f32_e32 v10, v10
	s_delay_alu instid0(VALU_DEP_1) | instskip(NEXT) | instid1(VALU_DEP_1)
	v_mul_f32_e64 v11, 0x2f800000, |v10|
	v_floor_f32_e32 v11, v11
	s_delay_alu instid0(VALU_DEP_1) | instskip(SKIP_2) | instid1(VALU_DEP_3)
	v_fma_f32 v12, 0xcf800000, v11, |v10|
	v_ashrrev_i32_e32 v10, 31, v10
	v_cvt_u32_f32_e32 v13, v11
	v_cvt_u32_f32_e32 v12, v12
	s_delay_alu instid0(VALU_DEP_2) | instskip(NEXT) | instid1(VALU_DEP_2)
	v_dual_mov_b32 v11, v10 :: v_dual_bitop2_b32 v13, v13, v10 bitop3:0x14
	v_xor_b32_e32 v12, v12, v10
	s_delay_alu instid0(VALU_DEP_1)
	v_sub_nc_u64_e32 v[10:11], v[12:13], v[10:11]
.LBB62_547:
	s_or_b32 exec_lo, exec_lo, s31
	s_mov_b32 s31, 0
	s_branch .LBB62_553
.LBB62_548:
	s_mov_b32 s34, -1
                                        ; implicit-def: $vgpr10_vgpr11
	s_branch .LBB62_559
.LBB62_549:
	s_and_not1_saveexec_b32 s31, s31
	s_cbranch_execz .LBB62_534
.LBB62_550:
	v_cmp_ne_u16_e32 vcc_lo, 0, v12
	s_and_not1_b32 s34, s34, exec_lo
	s_and_b32 s35, vcc_lo, exec_lo
	s_delay_alu instid0(SALU_CYCLE_1)
	s_or_b32 s34, s34, s35
	s_or_b32 exec_lo, exec_lo, s31
	v_mov_b64_e32 v[10:11], 0
	s_and_saveexec_b32 s31, s34
	s_cbranch_execnz .LBB62_535
	s_branch .LBB62_536
.LBB62_551:
	s_mov_b32 s31, -1
                                        ; implicit-def: $vgpr10_vgpr11
	s_branch .LBB62_556
.LBB62_552:
	s_mov_b32 s31, -1
                                        ; implicit-def: $vgpr10_vgpr11
.LBB62_553:
	s_delay_alu instid0(SALU_CYCLE_1)
	s_and_b32 vcc_lo, exec_lo, s31
	s_cbranch_vccz .LBB62_555
; %bb.554:
	s_wait_loadcnt 0x0
	global_load_u8 v10, v[8:9], off
	s_wait_loadcnt 0x0
	v_lshlrev_b32_e32 v10, 24, v10
	s_delay_alu instid0(VALU_DEP_1) | instskip(NEXT) | instid1(VALU_DEP_1)
	v_and_b32_e32 v11, 0x7f000000, v10
	v_clz_i32_u32_e32 v12, v11
	v_cmp_ne_u32_e32 vcc_lo, 0, v11
	v_add_nc_u32_e32 v14, 0x1000000, v11
	s_delay_alu instid0(VALU_DEP_3) | instskip(NEXT) | instid1(VALU_DEP_1)
	v_min_u32_e32 v12, 32, v12
	v_sub_nc_u32_e64 v12, v12, 4 clamp
	s_delay_alu instid0(VALU_DEP_1) | instskip(NEXT) | instid1(VALU_DEP_1)
	v_dual_lshlrev_b32 v13, v12, v11 :: v_dual_lshlrev_b32 v12, 23, v12
	v_lshrrev_b32_e32 v13, 4, v13
	s_delay_alu instid0(VALU_DEP_1) | instskip(NEXT) | instid1(VALU_DEP_1)
	v_dual_sub_nc_u32 v12, v13, v12 :: v_dual_ashrrev_i32 v13, 8, v14
	v_add_nc_u32_e32 v12, 0x3c000000, v12
	s_delay_alu instid0(VALU_DEP_1) | instskip(NEXT) | instid1(VALU_DEP_1)
	v_and_or_b32 v12, 0x7f800000, v13, v12
	v_cndmask_b32_e32 v11, 0, v12, vcc_lo
	s_delay_alu instid0(VALU_DEP_1) | instskip(NEXT) | instid1(VALU_DEP_1)
	v_and_or_b32 v10, 0x80000000, v10, v11
	v_trunc_f32_e32 v10, v10
	s_delay_alu instid0(VALU_DEP_1) | instskip(NEXT) | instid1(VALU_DEP_1)
	v_mul_f32_e64 v11, 0x2f800000, |v10|
	v_floor_f32_e32 v11, v11
	s_delay_alu instid0(VALU_DEP_1) | instskip(SKIP_2) | instid1(VALU_DEP_3)
	v_fma_f32 v12, 0xcf800000, v11, |v10|
	v_ashrrev_i32_e32 v10, 31, v10
	v_cvt_u32_f32_e32 v13, v11
	v_cvt_u32_f32_e32 v12, v12
	s_delay_alu instid0(VALU_DEP_2) | instskip(NEXT) | instid1(VALU_DEP_2)
	v_dual_mov_b32 v11, v10 :: v_dual_bitop2_b32 v13, v13, v10 bitop3:0x14
	v_xor_b32_e32 v12, v12, v10
	s_delay_alu instid0(VALU_DEP_1)
	v_sub_nc_u64_e32 v[10:11], v[12:13], v[10:11]
.LBB62_555:
	s_mov_b32 s31, 0
.LBB62_556:
	s_delay_alu instid0(SALU_CYCLE_1)
	s_and_not1_b32 vcc_lo, exec_lo, s31
	s_cbranch_vccnz .LBB62_558
; %bb.557:
	s_wait_loadcnt 0x0
	global_load_u8 v10, v[8:9], off
	s_wait_loadcnt 0x0
	v_lshlrev_b32_e32 v11, 25, v10
	v_lshlrev_b16 v10, 8, v10
	s_delay_alu instid0(VALU_DEP_1) | instskip(SKIP_1) | instid1(VALU_DEP_2)
	v_and_or_b32 v13, 0x7f00, v10, 0.5
	v_bfe_i32 v10, v10, 0, 16
	v_dual_add_f32 v13, -0.5, v13 :: v_dual_lshrrev_b32 v12, 4, v11
	v_cmp_gt_u32_e32 vcc_lo, 0x8000000, v11
	s_delay_alu instid0(VALU_DEP_2) | instskip(NEXT) | instid1(VALU_DEP_1)
	v_or_b32_e32 v12, 0x70000000, v12
	v_mul_f32_e32 v12, 0x7800000, v12
	s_delay_alu instid0(VALU_DEP_1) | instskip(NEXT) | instid1(VALU_DEP_1)
	v_cndmask_b32_e32 v11, v12, v13, vcc_lo
	v_and_or_b32 v10, 0x80000000, v10, v11
	s_delay_alu instid0(VALU_DEP_1) | instskip(NEXT) | instid1(VALU_DEP_1)
	v_trunc_f32_e32 v10, v10
	v_mul_f32_e64 v11, 0x2f800000, |v10|
	s_delay_alu instid0(VALU_DEP_1) | instskip(NEXT) | instid1(VALU_DEP_1)
	v_floor_f32_e32 v11, v11
	v_fma_f32 v12, 0xcf800000, v11, |v10|
	v_ashrrev_i32_e32 v10, 31, v10
	v_cvt_u32_f32_e32 v13, v11
	s_delay_alu instid0(VALU_DEP_3) | instskip(NEXT) | instid1(VALU_DEP_2)
	v_cvt_u32_f32_e32 v12, v12
	v_dual_mov_b32 v11, v10 :: v_dual_bitop2_b32 v13, v13, v10 bitop3:0x14
	s_delay_alu instid0(VALU_DEP_2) | instskip(NEXT) | instid1(VALU_DEP_1)
	v_xor_b32_e32 v12, v12, v10
	v_sub_nc_u64_e32 v[10:11], v[12:13], v[10:11]
.LBB62_558:
	s_mov_b32 s34, 0
	s_mov_b32 s31, -1
.LBB62_559:
	s_and_not1_b32 vcc_lo, exec_lo, s34
	s_cbranch_vccnz .LBB62_572
; %bb.560:
	s_cmp_gt_i32 s1, 14
	s_cbranch_scc0 .LBB62_563
; %bb.561:
	s_cmp_eq_u32 s1, 15
	s_cbranch_scc0 .LBB62_566
; %bb.562:
	s_wait_loadcnt 0x0
	global_load_u16 v10, v[8:9], off
	s_mov_b32 s31, -1
	s_mov_b32 s67, 0
	s_wait_loadcnt 0x0
	v_lshlrev_b32_e32 v10, 16, v10
	s_delay_alu instid0(VALU_DEP_1) | instskip(NEXT) | instid1(VALU_DEP_1)
	v_trunc_f32_e32 v10, v10
	v_mul_f32_e64 v11, 0x2f800000, |v10|
	s_delay_alu instid0(VALU_DEP_1) | instskip(NEXT) | instid1(VALU_DEP_1)
	v_floor_f32_e32 v11, v11
	v_fma_f32 v12, 0xcf800000, v11, |v10|
	v_ashrrev_i32_e32 v10, 31, v10
	v_cvt_u32_f32_e32 v13, v11
	s_delay_alu instid0(VALU_DEP_3) | instskip(NEXT) | instid1(VALU_DEP_2)
	v_cvt_u32_f32_e32 v12, v12
	v_dual_mov_b32 v11, v10 :: v_dual_bitop2_b32 v13, v13, v10 bitop3:0x14
	s_delay_alu instid0(VALU_DEP_2) | instskip(NEXT) | instid1(VALU_DEP_1)
	v_xor_b32_e32 v12, v12, v10
	v_sub_nc_u64_e32 v[10:11], v[12:13], v[10:11]
	s_branch .LBB62_567
.LBB62_563:
	s_mov_b32 s34, -1
                                        ; implicit-def: $vgpr10_vgpr11
	s_branch .LBB62_568
.LBB62_564:
	s_and_not1_saveexec_b32 s31, s31
	s_cbranch_execz .LBB62_545
.LBB62_565:
	v_cmp_ne_u16_e32 vcc_lo, 0, v12
	s_and_not1_b32 s34, s34, exec_lo
	s_and_b32 s35, vcc_lo, exec_lo
	s_delay_alu instid0(SALU_CYCLE_1)
	s_or_b32 s34, s34, s35
	s_or_b32 exec_lo, exec_lo, s31
	v_mov_b64_e32 v[10:11], 0
	s_and_saveexec_b32 s31, s34
	s_cbranch_execnz .LBB62_546
	s_branch .LBB62_547
.LBB62_566:
	s_mov_b32 s67, -1
                                        ; implicit-def: $vgpr10_vgpr11
.LBB62_567:
	s_mov_b32 s34, 0
.LBB62_568:
	s_delay_alu instid0(SALU_CYCLE_1)
	s_and_b32 vcc_lo, exec_lo, s34
	s_cbranch_vccz .LBB62_572
; %bb.569:
	s_cmp_eq_u32 s1, 11
	s_cbranch_scc0 .LBB62_571
; %bb.570:
	s_wait_loadcnt 0x0
	global_load_u8 v10, v[8:9], off
	s_mov_b32 s67, 0
	s_mov_b32 s31, -1
	v_mov_b32_e32 v11, s67
	s_wait_loadcnt 0x0
	v_cmp_ne_u16_e32 vcc_lo, 0, v10
	v_cndmask_b32_e64 v10, 0, 1, vcc_lo
	s_branch .LBB62_572
.LBB62_571:
	s_mov_b32 s67, -1
                                        ; implicit-def: $vgpr10_vgpr11
.LBB62_572:
	s_mov_b32 s1, 0
.LBB62_573:
	s_delay_alu instid0(SALU_CYCLE_1)
	s_and_b32 vcc_lo, exec_lo, s1
	s_cbranch_vccz .LBB62_622
; %bb.574:
	s_and_b32 s0, 0xffff, s0
	s_delay_alu instid0(SALU_CYCLE_1)
	s_cmp_lt_i32 s0, 5
	s_cbranch_scc1 .LBB62_579
; %bb.575:
	s_cmp_lt_i32 s0, 8
	s_cbranch_scc1 .LBB62_580
; %bb.576:
	;; [unrolled: 3-line block ×3, first 2 shown]
	s_cmp_gt_i32 s0, 9
	s_cbranch_scc0 .LBB62_582
; %bb.578:
	s_wait_loadcnt 0x0
	global_load_b64 v[10:11], v[8:9], off
	s_mov_b32 s1, 0
	s_wait_loadcnt 0x0
	v_trunc_f64_e32 v[10:11], v[10:11]
	s_delay_alu instid0(VALU_DEP_1) | instskip(NEXT) | instid1(VALU_DEP_1)
	v_ldexp_f64 v[12:13], v[10:11], 0xffffffe0
	v_floor_f64_e32 v[12:13], v[12:13]
	s_delay_alu instid0(VALU_DEP_1) | instskip(SKIP_1) | instid1(VALU_DEP_2)
	v_fmamk_f64 v[14:15], v[12:13], 0xc1f00000, v[10:11]
	v_cvt_i32_f64_e32 v11, v[12:13]
	v_cvt_u32_f64_e32 v10, v[14:15]
	s_branch .LBB62_583
.LBB62_579:
	s_mov_b32 s1, -1
                                        ; implicit-def: $vgpr10_vgpr11
	s_branch .LBB62_601
.LBB62_580:
	s_mov_b32 s1, -1
                                        ; implicit-def: $vgpr10_vgpr11
	s_branch .LBB62_589
.LBB62_581:
	s_mov_b32 s1, -1
                                        ; implicit-def: $vgpr10_vgpr11
	s_branch .LBB62_586
.LBB62_582:
	s_mov_b32 s1, -1
                                        ; implicit-def: $vgpr10_vgpr11
.LBB62_583:
	s_delay_alu instid0(SALU_CYCLE_1)
	s_and_not1_b32 vcc_lo, exec_lo, s1
	s_cbranch_vccnz .LBB62_585
; %bb.584:
	s_wait_loadcnt 0x0
	global_load_b32 v10, v[8:9], off
	s_wait_loadcnt 0x0
	v_trunc_f32_e32 v10, v10
	s_delay_alu instid0(VALU_DEP_1) | instskip(NEXT) | instid1(VALU_DEP_1)
	v_mul_f32_e64 v11, 0x2f800000, |v10|
	v_floor_f32_e32 v11, v11
	s_delay_alu instid0(VALU_DEP_1) | instskip(SKIP_2) | instid1(VALU_DEP_3)
	v_fma_f32 v12, 0xcf800000, v11, |v10|
	v_ashrrev_i32_e32 v10, 31, v10
	v_cvt_u32_f32_e32 v13, v11
	v_cvt_u32_f32_e32 v12, v12
	s_delay_alu instid0(VALU_DEP_2) | instskip(NEXT) | instid1(VALU_DEP_2)
	v_dual_mov_b32 v11, v10 :: v_dual_bitop2_b32 v13, v13, v10 bitop3:0x14
	v_xor_b32_e32 v12, v12, v10
	s_delay_alu instid0(VALU_DEP_1)
	v_sub_nc_u64_e32 v[10:11], v[12:13], v[10:11]
.LBB62_585:
	s_mov_b32 s1, 0
.LBB62_586:
	s_delay_alu instid0(SALU_CYCLE_1)
	s_and_not1_b32 vcc_lo, exec_lo, s1
	s_cbranch_vccnz .LBB62_588
; %bb.587:
	s_wait_loadcnt 0x0
	global_load_b32 v10, v[8:9], off
	s_wait_loadcnt 0x0
	v_cvt_f32_f16_e32 v10, v10
	s_delay_alu instid0(VALU_DEP_1) | instskip(NEXT) | instid1(VALU_DEP_1)
	v_cvt_i32_f32_e32 v10, v10
	v_ashrrev_i32_e32 v11, 31, v10
.LBB62_588:
	s_mov_b32 s1, 0
.LBB62_589:
	s_delay_alu instid0(SALU_CYCLE_1)
	s_and_not1_b32 vcc_lo, exec_lo, s1
	s_cbranch_vccnz .LBB62_600
; %bb.590:
	s_cmp_lt_i32 s0, 6
	s_cbranch_scc1 .LBB62_593
; %bb.591:
	s_cmp_gt_i32 s0, 6
	s_cbranch_scc0 .LBB62_594
; %bb.592:
	s_wait_loadcnt 0x0
	global_load_b64 v[10:11], v[8:9], off
	s_mov_b32 s1, 0
	s_wait_loadcnt 0x0
	v_trunc_f64_e32 v[10:11], v[10:11]
	s_delay_alu instid0(VALU_DEP_1) | instskip(NEXT) | instid1(VALU_DEP_1)
	v_ldexp_f64 v[12:13], v[10:11], 0xffffffe0
	v_floor_f64_e32 v[12:13], v[12:13]
	s_delay_alu instid0(VALU_DEP_1) | instskip(SKIP_1) | instid1(VALU_DEP_2)
	v_fmamk_f64 v[14:15], v[12:13], 0xc1f00000, v[10:11]
	v_cvt_i32_f64_e32 v11, v[12:13]
	v_cvt_u32_f64_e32 v10, v[14:15]
	s_branch .LBB62_595
.LBB62_593:
	s_mov_b32 s1, -1
                                        ; implicit-def: $vgpr10_vgpr11
	s_branch .LBB62_598
.LBB62_594:
	s_mov_b32 s1, -1
                                        ; implicit-def: $vgpr10_vgpr11
.LBB62_595:
	s_delay_alu instid0(SALU_CYCLE_1)
	s_and_not1_b32 vcc_lo, exec_lo, s1
	s_cbranch_vccnz .LBB62_597
; %bb.596:
	s_wait_loadcnt 0x0
	global_load_b32 v10, v[8:9], off
	s_wait_loadcnt 0x0
	v_trunc_f32_e32 v10, v10
	s_delay_alu instid0(VALU_DEP_1) | instskip(NEXT) | instid1(VALU_DEP_1)
	v_mul_f32_e64 v11, 0x2f800000, |v10|
	v_floor_f32_e32 v11, v11
	s_delay_alu instid0(VALU_DEP_1) | instskip(SKIP_2) | instid1(VALU_DEP_3)
	v_fma_f32 v12, 0xcf800000, v11, |v10|
	v_ashrrev_i32_e32 v10, 31, v10
	v_cvt_u32_f32_e32 v13, v11
	v_cvt_u32_f32_e32 v12, v12
	s_delay_alu instid0(VALU_DEP_2) | instskip(NEXT) | instid1(VALU_DEP_2)
	v_dual_mov_b32 v11, v10 :: v_dual_bitop2_b32 v13, v13, v10 bitop3:0x14
	v_xor_b32_e32 v12, v12, v10
	s_delay_alu instid0(VALU_DEP_1)
	v_sub_nc_u64_e32 v[10:11], v[12:13], v[10:11]
.LBB62_597:
	s_mov_b32 s1, 0
.LBB62_598:
	s_delay_alu instid0(SALU_CYCLE_1)
	s_and_not1_b32 vcc_lo, exec_lo, s1
	s_cbranch_vccnz .LBB62_600
; %bb.599:
	s_wait_loadcnt 0x0
	global_load_u16 v10, v[8:9], off
	s_wait_loadcnt 0x0
	v_cvt_f32_f16_e32 v10, v10
	s_delay_alu instid0(VALU_DEP_1) | instskip(NEXT) | instid1(VALU_DEP_1)
	v_cvt_i32_f32_e32 v10, v10
	v_ashrrev_i32_e32 v11, 31, v10
.LBB62_600:
	s_mov_b32 s1, 0
.LBB62_601:
	s_delay_alu instid0(SALU_CYCLE_1)
	s_and_not1_b32 vcc_lo, exec_lo, s1
	s_cbranch_vccnz .LBB62_621
; %bb.602:
	s_cmp_lt_i32 s0, 2
	s_cbranch_scc1 .LBB62_606
; %bb.603:
	s_cmp_lt_i32 s0, 3
	s_cbranch_scc1 .LBB62_607
; %bb.604:
	s_cmp_gt_i32 s0, 3
	s_cbranch_scc0 .LBB62_608
; %bb.605:
	s_wait_loadcnt 0x0
	global_load_b64 v[10:11], v[8:9], off
	s_mov_b32 s1, 0
	s_branch .LBB62_609
.LBB62_606:
	s_mov_b32 s1, -1
                                        ; implicit-def: $vgpr10_vgpr11
	s_branch .LBB62_615
.LBB62_607:
	s_mov_b32 s1, -1
                                        ; implicit-def: $vgpr10_vgpr11
	s_branch .LBB62_612
.LBB62_608:
	s_mov_b32 s1, -1
                                        ; implicit-def: $vgpr10_vgpr11
.LBB62_609:
	s_delay_alu instid0(SALU_CYCLE_1)
	s_and_not1_b32 vcc_lo, exec_lo, s1
	s_cbranch_vccnz .LBB62_611
; %bb.610:
	s_wait_loadcnt 0x0
	global_load_b32 v10, v[8:9], off
	s_wait_loadcnt 0x0
	v_ashrrev_i32_e32 v11, 31, v10
.LBB62_611:
	s_mov_b32 s1, 0
.LBB62_612:
	s_delay_alu instid0(SALU_CYCLE_1)
	s_and_not1_b32 vcc_lo, exec_lo, s1
	s_cbranch_vccnz .LBB62_614
; %bb.613:
	s_wait_loadcnt 0x0
	global_load_u16 v10, v[8:9], off
	s_wait_loadcnt 0x0
	v_bfe_i32 v10, v10, 0, 16
	s_delay_alu instid0(VALU_DEP_1)
	v_ashrrev_i32_e32 v11, 31, v10
.LBB62_614:
	s_mov_b32 s1, 0
.LBB62_615:
	s_delay_alu instid0(SALU_CYCLE_1)
	s_and_not1_b32 vcc_lo, exec_lo, s1
	s_cbranch_vccnz .LBB62_621
; %bb.616:
	s_cmp_gt_i32 s0, 0
	s_mov_b32 s0, 0
	s_cbranch_scc0 .LBB62_618
; %bb.617:
	s_wait_loadcnt 0x0
	global_load_i8 v10, v[8:9], off
	s_wait_loadcnt 0x0
	v_bfe_i32 v10, v10, 0, 16
	s_delay_alu instid0(VALU_DEP_1)
	v_ashrrev_i32_e32 v11, 31, v10
	s_branch .LBB62_619
.LBB62_618:
	s_mov_b32 s0, -1
                                        ; implicit-def: $vgpr10_vgpr11
.LBB62_619:
	s_delay_alu instid0(SALU_CYCLE_1)
	s_and_not1_b32 vcc_lo, exec_lo, s0
	s_cbranch_vccnz .LBB62_621
; %bb.620:
	global_load_u8 v8, v[8:9], off
	s_mov_b32 s0, 0
	s_wait_loadcnt 0x1
	v_mov_b32_e32 v11, s0
	s_wait_loadcnt 0x0
	v_and_b32_e32 v10, 0xffff, v8
.LBB62_621:
	s_mov_b32 s31, -1
.LBB62_622:
	s_delay_alu instid0(SALU_CYCLE_1)
	s_and_not1_b32 vcc_lo, exec_lo, s31
	s_cbranch_vccnz .LBB62_628
; %bb.623:
	s_wait_loadcnt 0x0
	v_cmp_eq_u64_e32 vcc_lo, s[36:37], v[0:1]
	s_mov_b32 s1, -1
	s_mov_b32 s0, 0
	s_mov_b32 s31, 0
	;; [unrolled: 1-line block ×5, first 2 shown]
	s_and_b32 s45, s60, vcc_lo
	s_delay_alu instid0(SALU_CYCLE_1)
	s_and_saveexec_b32 s61, s45
	s_cbranch_execz .LBB62_3937
; %bb.624:
	v_cmp_eq_u64_e32 vcc_lo, s[40:41], v[2:3]
	s_and_b32 s31, s59, vcc_lo
	s_delay_alu instid0(SALU_CYCLE_1)
	s_and_saveexec_b32 s63, s31
	s_cbranch_execz .LBB62_1919
; %bb.625:
	v_sub_nc_u64_e32 v[0:1], v[6:7], v[4:5]
	s_mov_b32 s31, 0
	s_delay_alu instid0(VALU_DEP_1)
	v_cmp_le_i64_e32 vcc_lo, s[36:37], v[0:1]
	v_cmp_ge_i64_e64 s0, s[38:39], v[0:1]
	s_and_b32 s34, vcc_lo, s0
	s_mov_b32 s0, 0
	s_and_b32 s35, s58, s34
	s_mov_b32 s34, 0
	s_and_saveexec_b32 s64, s35
	s_cbranch_execz .LBB62_1918
; %bb.626:
	v_cmp_lt_i64_e64 s0, s[40:41], 1
	v_mov_b64_e32 v[0:1], 0
	s_xor_b32 s1, s57, -1
	s_delay_alu instid0(SALU_CYCLE_1) | instskip(NEXT) | instid1(SALU_CYCLE_1)
	s_or_b32 s0, s1, s0
	s_and_b32 vcc_lo, exec_lo, s0
	s_cbranch_vccnz .LBB62_662
; %bb.627:
	v_mul_u64_e32 v[8:9], s[40:41], v[10:11]
	s_mov_b32 s1, 0
	v_mov_b64_e32 v[0:1], 0
	s_mov_b32 s31, s1
	v_mov_b32_e32 v2, 0
	s_lshl_b64 s[46:47], s[30:31], 3
	s_mov_b64 s[34:35], 0xffffffff
	s_add_nc_u64 s[44:45], s[20:21], s[46:47]
	s_add_nc_u64 s[46:47], s[22:23], s[46:47]
	s_mov_b32 s31, s42
	s_branch .LBB62_643
.LBB62_628:
	s_mov_b32 s0, 0
	s_mov_b32 s1, 0
	;; [unrolled: 1-line block ×6, first 2 shown]
                                        ; implicit-def: $vgpr22
.LBB62_629:
	s_delay_alu instid0(SALU_CYCLE_1)
	s_and_b32 s61, s44, exec_lo
	s_and_b32 s63, s35, exec_lo
	;; [unrolled: 1-line block ×10, first 2 shown]
	s_or_not1_b32 s1, s0, exec_lo
.LBB62_630:
	s_wait_xcnt 0x0
	s_or_b32 exec_lo, exec_lo, s72
	s_mov_b32 s35, 0
	s_mov_b32 s34, 0
                                        ; implicit-def: $sgpr0
                                        ; implicit-def: $vgpr2_vgpr3
                                        ; implicit-def: $vgpr0_vgpr1
	s_and_saveexec_b32 s72, s1
	s_cbranch_execz .LBB62_639
; %bb.631:
	s_mov_b32 s35, -1
	s_mov_b32 s73, s71
	s_mov_b32 s75, s70
	;; [unrolled: 1-line block ×10, first 2 shown]
	s_mov_b32 s83, exec_lo
	v_cmpx_gt_i32_e64 s62, v22
	s_cbranch_execz .LBB62_1299
; %bb.632:
	s_wait_loadcnt 0x0
	v_mul_lo_u32 v0, v22, s17
	s_and_b32 s0, s54, 0xff
	s_delay_alu instid0(SALU_CYCLE_1) | instskip(NEXT) | instid1(VALU_DEP_1)
	s_cmp_lt_i32 s0, 11
	v_ashrrev_i32_e32 v1, 31, v0
	s_delay_alu instid0(VALU_DEP_1)
	v_add_nc_u64_e32 v[2:3], s[6:7], v[0:1]
	s_cbranch_scc1 .LBB62_647
; %bb.633:
	s_and_b32 s1, 0xffff, s0
	s_delay_alu instid0(SALU_CYCLE_1)
	s_cmp_gt_i32 s1, 25
	s_cbranch_scc0 .LBB62_656
; %bb.634:
	s_cmp_gt_i32 s1, 28
	s_cbranch_scc0 .LBB62_658
; %bb.635:
	;; [unrolled: 3-line block ×4, first 2 shown]
	s_cmp_eq_u32 s1, 46
	s_cbranch_scc0 .LBB62_678
; %bb.638:
	global_load_b32 v0, v[2:3], off
	s_mov_b32 s31, -1
	s_mov_b32 s73, 0
	s_wait_loadcnt 0x0
	v_lshlrev_b32_e32 v0, 16, v0
	s_delay_alu instid0(VALU_DEP_1) | instskip(NEXT) | instid1(VALU_DEP_1)
	v_trunc_f32_e32 v0, v0
	v_mul_f32_e64 v1, 0x2f800000, |v0|
	s_delay_alu instid0(VALU_DEP_1) | instskip(NEXT) | instid1(VALU_DEP_1)
	v_floor_f32_e32 v1, v1
	v_fma_f32 v4, 0xcf800000, v1, |v0|
	v_ashrrev_i32_e32 v0, 31, v0
	v_cvt_u32_f32_e32 v5, v1
	s_delay_alu instid0(VALU_DEP_3) | instskip(NEXT) | instid1(VALU_DEP_2)
	v_cvt_u32_f32_e32 v4, v4
	v_dual_mov_b32 v1, v0 :: v_dual_bitop2_b32 v5, v5, v0 bitop3:0x14
	s_delay_alu instid0(VALU_DEP_2) | instskip(NEXT) | instid1(VALU_DEP_1)
	v_xor_b32_e32 v4, v4, v0
	v_sub_nc_u64_e32 v[0:1], v[4:5], v[0:1]
	s_branch .LBB62_680
.LBB62_639:
	s_or_b32 exec_lo, exec_lo, s72
	s_mov_b32 s1, 0
	s_and_saveexec_b32 s31, s71
	s_cbranch_execnz .LBB62_2140
.LBB62_640:
	s_or_b32 exec_lo, exec_lo, s31
	s_and_saveexec_b32 s31, s73
	s_delay_alu instid0(SALU_CYCLE_1)
	s_xor_b32 s31, exec_lo, s31
	s_cbranch_execz .LBB62_2141
.LBB62_641:
	s_wait_loadcnt 0x0
	global_load_u8 v0, v[2:3], off
	s_mov_b32 s44, 0
	s_or_b32 s34, s34, exec_lo
	v_mov_b32_e32 v1, s44
	s_wait_loadcnt 0x0
	v_cmp_ne_u16_e32 vcc_lo, 0, v0
	v_cndmask_b32_e64 v0, 0, 1, vcc_lo
	s_wait_xcnt 0x0
	s_or_b32 exec_lo, exec_lo, s31
	s_and_saveexec_b32 s31, s35
	s_cbranch_execz .LBB62_2187
	s_branch .LBB62_2142
.LBB62_642:                             ;   in Loop: Header=BB62_643 Depth=1
	s_or_b32 exec_lo, exec_lo, s0
	s_delay_alu instid0(VALU_DEP_1)
	v_mul_u64_e32 v[12:13], s[48:49], v[10:11]
	s_load_b64 s[48:49], s[46:47], 0x0
	s_add_co_i32 s31, s31, -1
	s_add_nc_u64 s[44:45], s[44:45], -8
	s_cmp_eq_u32 s31, 0
	s_wait_xcnt 0x0
	s_add_nc_u64 s[46:47], s[46:47], -8
	s_delay_alu instid0(VALU_DEP_1) | instskip(SKIP_1) | instid1(VALU_DEP_1)
	v_sub_nc_u64_e32 v[8:9], v[8:9], v[12:13]
	s_wait_kmcnt 0x0
	v_mad_nc_u64_u32 v[0:1], v8, s48, v[0:1]
	s_delay_alu instid0(VALU_DEP_1) | instskip(NEXT) | instid1(VALU_DEP_1)
	v_mad_u32 v1, v9, s48, v1
	v_mad_u32 v1, v8, s49, v1
	v_mov_b64_e32 v[8:9], v[10:11]
	s_cbranch_scc1 .LBB62_662
.LBB62_643:                             ; =>This Inner Loop Header: Depth=1
	s_load_b64 s[48:49], s[44:45], 0x0
                                        ; implicit-def: $vgpr10_vgpr11
	s_mov_b32 s0, exec_lo
	s_wait_kmcnt 0x0
	s_delay_alu instid0(VALU_DEP_1) | instskip(NEXT) | instid1(VALU_DEP_1)
	v_or_b32_e32 v3, s49, v9
	v_cmpx_ne_u64_e32 0, v[2:3]
	s_xor_b32 s65, exec_lo, s0
	s_cbranch_execz .LBB62_645
; %bb.644:                              ;   in Loop: Header=BB62_643 Depth=1
	s_ashr_i32 s50, s49, 31
	v_dual_mov_b32 v15, v2 :: v_dual_ashrrev_i32 v10, 31, v9
	s_mov_b32 s51, s50
	v_mov_b32_e32 v25, v2
	s_add_nc_u64 s[52:53], s[48:49], s[50:51]
	s_delay_alu instid0(VALU_DEP_2) | instskip(SKIP_1) | instid1(SALU_CYCLE_1)
	v_mov_b32_e32 v11, v10
	s_xor_b64 s[52:53], s[52:53], s[50:51]
	s_cvt_f32_u32 s0, s52
	s_cvt_f32_u32 s51, s53
	s_sub_nc_u64 s[76:77], 0, s[52:53]
	v_add_nc_u64_e32 v[12:13], v[8:9], v[10:11]
	v_mov_b32_e32 v19, v2
	s_fmamk_f32 s0, s51, 0x4f800000, s0
	s_delay_alu instid0(SALU_CYCLE_3) | instskip(NEXT) | instid1(VALU_DEP_2)
	v_s_rcp_f32 s0, s0
	v_xor_b32_e32 v14, v12, v10
	s_delay_alu instid0(VALU_DEP_3) | instskip(NEXT) | instid1(TRANS32_DEP_1)
	v_xor_b32_e32 v18, v13, v10
	s_mul_f32 s0, s0, 0x5f7ffffc
	s_delay_alu instid0(SALU_CYCLE_3) | instskip(NEXT) | instid1(SALU_CYCLE_3)
	s_mul_f32 s51, s0, 0x2f800000
	s_trunc_f32 s51, s51
	s_delay_alu instid0(SALU_CYCLE_3) | instskip(SKIP_1) | instid1(SALU_CYCLE_2)
	s_fmamk_f32 s0, s51, 0xcf800000, s0
	s_cvt_u32_f32 s75, s51
	s_cvt_u32_f32 s74, s0
	s_delay_alu instid0(SALU_CYCLE_3) | instskip(NEXT) | instid1(SALU_CYCLE_1)
	s_mul_u64 s[78:79], s[76:77], s[74:75]
	s_mul_hi_u32 s81, s74, s79
	s_mul_i32 s80, s74, s79
	s_mul_hi_u32 s0, s74, s78
	s_mul_i32 s66, s75, s78
	s_add_nc_u64 s[80:81], s[0:1], s[80:81]
	s_mul_hi_u32 s51, s75, s78
	s_mul_hi_u32 s82, s75, s79
	s_add_co_u32 s0, s80, s66
	s_add_co_ci_u32 s0, s81, s51
	s_mul_i32 s78, s75, s79
	s_add_co_ci_u32 s79, s82, 0
	s_delay_alu instid0(SALU_CYCLE_1) | instskip(NEXT) | instid1(SALU_CYCLE_1)
	s_add_nc_u64 s[78:79], s[0:1], s[78:79]
	s_add_co_u32 s74, s74, s78
	s_cselect_b32 s0, -1, 0
	s_delay_alu instid0(SALU_CYCLE_1) | instskip(SKIP_1) | instid1(SALU_CYCLE_1)
	s_cmp_lg_u32 s0, 0
	s_add_co_ci_u32 s75, s75, s79
	s_mul_u64 s[76:77], s[76:77], s[74:75]
	s_delay_alu instid0(SALU_CYCLE_1)
	s_mul_hi_u32 s79, s74, s77
	s_mul_i32 s78, s74, s77
	s_mul_hi_u32 s0, s74, s76
	s_mul_i32 s66, s75, s76
	s_add_nc_u64 s[78:79], s[0:1], s[78:79]
	s_mul_hi_u32 s51, s75, s76
	s_mul_hi_u32 s80, s75, s77
	s_add_co_u32 s0, s78, s66
	s_add_co_ci_u32 s0, s79, s51
	s_mul_i32 s76, s75, s77
	s_add_co_ci_u32 s77, s80, 0
	s_delay_alu instid0(SALU_CYCLE_1) | instskip(NEXT) | instid1(SALU_CYCLE_1)
	s_add_nc_u64 s[76:77], s[0:1], s[76:77]
	s_add_co_u32 s66, s74, s76
	s_cselect_b32 s0, -1, 0
	v_mul_hi_u32 v24, v14, s66
	s_cmp_lg_u32 s0, 0
	s_add_co_ci_u32 s0, s75, s77
	s_and_b64 s[74:75], s[66:67], s[34:35]
	v_mul_u64_e32 v[16:17], s[0:1], v[14:15]
	v_mul_u64_e32 v[12:13], s[74:75], v[18:19]
	;; [unrolled: 1-line block ×3, first 2 shown]
	s_delay_alu instid0(VALU_DEP_3) | instskip(NEXT) | instid1(VALU_DEP_1)
	v_add_nc_u64_e32 v[16:17], v[24:25], v[16:17]
	v_add_co_u32 v3, vcc_lo, v16, v12
	s_delay_alu instid0(VALU_DEP_2) | instskip(NEXT) | instid1(VALU_DEP_4)
	v_add_co_ci_u32_e32 v24, vcc_lo, v17, v13, vcc_lo
	v_add_co_ci_u32_e32 v21, vcc_lo, 0, v21, vcc_lo
	s_delay_alu instid0(VALU_DEP_1) | instskip(NEXT) | instid1(VALU_DEP_1)
	v_add_nc_u64_e32 v[12:13], v[24:25], v[20:21]
	v_mul_u64_e32 v[16:17], s[52:53], v[12:13]
	s_delay_alu instid0(VALU_DEP_1) | instskip(NEXT) | instid1(VALU_DEP_2)
	v_sub_nc_u32_e32 v3, v18, v17
	v_sub_co_u32 v11, vcc_lo, v14, v16
	s_delay_alu instid0(VALU_DEP_1) | instskip(NEXT) | instid1(VALU_DEP_3)
	v_sub_co_ci_u32_e64 v18, null, v18, v17, vcc_lo
	v_subrev_co_ci_u32_e64 v3, null, s53, v3, vcc_lo
	s_delay_alu instid0(VALU_DEP_3) | instskip(SKIP_1) | instid1(VALU_DEP_3)
	v_sub_co_u32 v14, s0, v11, s52
	v_add_nc_u64_e32 v[16:17], 1, v[12:13]
	v_subrev_co_ci_u32_e64 v3, null, 0, v3, s0
	s_delay_alu instid0(VALU_DEP_3) | instskip(SKIP_1) | instid1(VALU_DEP_3)
	v_cmp_le_u32_e32 vcc_lo, s52, v14
	v_cndmask_b32_e64 v14, 0, -1, vcc_lo
	v_cmp_le_u32_e32 vcc_lo, s53, v3
	v_cndmask_b32_e64 v15, 0, -1, vcc_lo
	;; [unrolled: 2-line block ×4, first 2 shown]
	v_cmp_eq_u32_e32 vcc_lo, s53, v3
	v_cndmask_b32_e32 v3, v15, v14, vcc_lo
	v_cmp_eq_u32_e32 vcc_lo, s53, v18
	v_add_nc_u64_e32 v[14:15], 2, v[12:13]
	v_cndmask_b32_e32 v11, v19, v11, vcc_lo
	s_delay_alu instid0(VALU_DEP_4) | instskip(NEXT) | instid1(VALU_DEP_2)
	v_cmp_ne_u32_e32 vcc_lo, 0, v3
	v_cmp_ne_u32_e64 s0, 0, v11
	s_delay_alu instid0(VALU_DEP_4) | instskip(NEXT) | instid1(VALU_DEP_1)
	v_dual_cndmask_b32 v3, v17, v15, vcc_lo :: v_dual_cndmask_b32 v11, v16, v14, vcc_lo
	v_dual_cndmask_b32 v3, v13, v3, s0 :: v_dual_bitop2_b32 v10, s50, v10 bitop3:0x14
	s_delay_alu instid0(VALU_DEP_1) | instskip(NEXT) | instid1(VALU_DEP_2)
	v_dual_cndmask_b32 v12, v12, v11, s0 :: v_dual_mov_b32 v11, v10
	v_xor_b32_e32 v13, v3, v10
	s_delay_alu instid0(VALU_DEP_2) | instskip(NEXT) | instid1(VALU_DEP_1)
	v_xor_b32_e32 v12, v12, v10
	v_sub_nc_u64_e32 v[10:11], v[12:13], v[10:11]
.LBB62_645:                             ;   in Loop: Header=BB62_643 Depth=1
	s_and_not1_saveexec_b32 s0, s65
	s_cbranch_execz .LBB62_642
; %bb.646:                              ;   in Loop: Header=BB62_643 Depth=1
	v_cvt_f32_u32_e32 v3, s48
	s_sub_co_i32 s50, 0, s48
	s_delay_alu instid0(VALU_DEP_1) | instskip(SKIP_1) | instid1(TRANS32_DEP_1)
	v_rcp_iflag_f32_e32 v3, v3
	v_nop
	v_mul_f32_e32 v3, 0x4f7ffffe, v3
	s_delay_alu instid0(VALU_DEP_1) | instskip(NEXT) | instid1(VALU_DEP_1)
	v_cvt_u32_f32_e32 v3, v3
	v_mul_lo_u32 v10, s50, v3
	s_delay_alu instid0(VALU_DEP_1) | instskip(NEXT) | instid1(VALU_DEP_1)
	v_mul_hi_u32 v10, v3, v10
	v_add_nc_u32_e32 v3, v3, v10
	s_delay_alu instid0(VALU_DEP_1) | instskip(NEXT) | instid1(VALU_DEP_1)
	v_mul_hi_u32 v3, v8, v3
	v_mul_lo_u32 v10, v3, s48
	s_delay_alu instid0(VALU_DEP_1) | instskip(NEXT) | instid1(VALU_DEP_1)
	v_dual_add_nc_u32 v11, 1, v3 :: v_dual_sub_nc_u32 v10, v8, v10
	v_subrev_nc_u32_e32 v12, s48, v10
	v_cmp_le_u32_e32 vcc_lo, s48, v10
	s_delay_alu instid0(VALU_DEP_2) | instskip(NEXT) | instid1(VALU_DEP_1)
	v_dual_cndmask_b32 v10, v10, v12 :: v_dual_cndmask_b32 v3, v3, v11
	v_cmp_le_u32_e32 vcc_lo, s48, v10
	s_delay_alu instid0(VALU_DEP_2) | instskip(NEXT) | instid1(VALU_DEP_1)
	v_add_nc_u32_e32 v11, 1, v3
	v_dual_cndmask_b32 v10, v3, v11 :: v_dual_mov_b32 v11, v2
	s_branch .LBB62_642
.LBB62_647:
	s_mov_b32 s31, 0
	s_mov_b32 s73, s71
                                        ; implicit-def: $vgpr0_vgpr1
	s_cbranch_execnz .LBB62_742
.LBB62_648:
	s_and_not1_b32 vcc_lo, exec_lo, s31
	s_cbranch_vccnz .LBB62_790
.LBB62_649:
	s_wait_xcnt 0x0
	v_mul_lo_u32 v2, v22, s18
	s_and_b32 s0, s33, 0xff
	s_delay_alu instid0(SALU_CYCLE_1) | instskip(NEXT) | instid1(VALU_DEP_1)
	s_cmp_lt_i32 s0, 11
	v_ashrrev_i32_e32 v3, 31, v2
	s_delay_alu instid0(VALU_DEP_1)
	v_add_nc_u64_e32 v[4:5], s[8:9], v[2:3]
	s_cbranch_scc1 .LBB62_657
; %bb.650:
	s_and_b32 s1, 0xffff, s0
	s_delay_alu instid0(SALU_CYCLE_1)
	s_cmp_gt_i32 s1, 25
	s_cbranch_scc0 .LBB62_659
; %bb.651:
	s_cmp_gt_i32 s1, 28
	s_cbranch_scc0 .LBB62_661
; %bb.652:
	;; [unrolled: 3-line block ×4, first 2 shown]
	s_cmp_eq_u32 s1, 46
	s_mov_b32 s34, 0
	s_cbranch_scc0 .LBB62_792
; %bb.655:
	global_load_b32 v2, v[4:5], off
	s_mov_b32 s31, -1
	s_mov_b32 s75, 0
	s_wait_loadcnt 0x0
	v_lshlrev_b32_e32 v2, 16, v2
	s_delay_alu instid0(VALU_DEP_1) | instskip(NEXT) | instid1(VALU_DEP_1)
	v_trunc_f32_e32 v2, v2
	v_mul_f32_e64 v3, 0x2f800000, |v2|
	s_delay_alu instid0(VALU_DEP_1) | instskip(NEXT) | instid1(VALU_DEP_1)
	v_floor_f32_e32 v3, v3
	v_fma_f32 v6, 0xcf800000, v3, |v2|
	v_ashrrev_i32_e32 v2, 31, v2
	v_cvt_u32_f32_e32 v7, v3
	s_delay_alu instid0(VALU_DEP_3) | instskip(NEXT) | instid1(VALU_DEP_2)
	v_cvt_u32_f32_e32 v6, v6
	v_dual_mov_b32 v3, v2 :: v_dual_bitop2_b32 v7, v7, v2 bitop3:0x14
	s_delay_alu instid0(VALU_DEP_2) | instskip(NEXT) | instid1(VALU_DEP_1)
	v_xor_b32_e32 v6, v6, v2
	v_sub_nc_u64_e32 v[2:3], v[6:7], v[2:3]
	s_branch .LBB62_794
.LBB62_656:
	s_mov_b32 s34, -1
	s_mov_b32 s31, 0
	s_mov_b32 s73, s71
                                        ; implicit-def: $vgpr0_vgpr1
	s_branch .LBB62_708
.LBB62_657:
	s_mov_b32 s1, -1
	s_mov_b32 s31, 0
	s_mov_b32 s75, s70
                                        ; implicit-def: $vgpr2_vgpr3
	s_branch .LBB62_855
.LBB62_658:
	s_mov_b32 s34, -1
	s_mov_b32 s31, 0
	s_mov_b32 s73, s71
                                        ; implicit-def: $vgpr0_vgpr1
	s_branch .LBB62_691
.LBB62_659:
	s_mov_b32 s34, -1
	s_mov_b32 s31, 0
	s_mov_b32 s75, s70
                                        ; implicit-def: $vgpr2_vgpr3
	s_branch .LBB62_821
.LBB62_660:
	s_mov_b32 s34, -1
	s_mov_b32 s31, 0
	s_mov_b32 s73, s71
                                        ; implicit-def: $vgpr0_vgpr1
	s_branch .LBB62_686
.LBB62_661:
	s_mov_b32 s34, -1
	s_mov_b32 s31, 0
	s_mov_b32 s75, s70
                                        ; implicit-def: $vgpr2_vgpr3
	s_branch .LBB62_804
.LBB62_662:
	s_mov_b32 s35, -1
	s_mov_b32 s31, 0
	s_mov_b32 s0, 0
	s_mov_b32 s1, exec_lo
	v_cmpx_gt_i64_e64 v[6:7], v[4:5]
	s_cbranch_execz .LBB62_670
; %bb.663:
	s_delay_alu instid0(VALU_DEP_2) | instskip(SKIP_1) | instid1(VALU_DEP_1)
	v_lshlrev_b64_e32 v[0:1], 3, v[0:1]
	s_xor_b32 s35, s56, -1
                                        ; implicit-def: $sgpr34
                                        ; implicit-def: $sgpr45
                                        ; implicit-def: $sgpr44
	v_lshl_add_u64 v[2:3], v[4:5], 3, v[0:1]
	v_add_nc_u64_e32 v[4:5], s[24:25], v[0:1]
	s_delay_alu instid0(VALU_DEP_2) | instskip(NEXT) | instid1(VALU_DEP_1)
	v_add_nc_u64_e32 v[2:3], s[24:25], v[2:3]
	v_add_nc_u64_e32 v[0:1], 8, v[2:3]
	s_delay_alu instid0(VALU_DEP_3)
	v_lshl_add_u64 v[2:3], v[6:7], 3, v[4:5]
	s_branch .LBB62_665
.LBB62_664:                             ;   in Loop: Header=BB62_665 Depth=1
	s_or_b32 exec_lo, exec_lo, s46
	s_delay_alu instid0(SALU_CYCLE_1) | instskip(NEXT) | instid1(SALU_CYCLE_1)
	s_and_b32 s46, exec_lo, s45
	s_or_b32 s0, s46, s0
	s_and_not1_b32 s34, s34, exec_lo
	s_and_b32 s46, s44, exec_lo
	s_delay_alu instid0(SALU_CYCLE_1)
	s_or_b32 s34, s34, s46
	s_and_not1_b32 exec_lo, exec_lo, s0
	s_cbranch_execz .LBB62_669
.LBB62_665:                             ; =>This Inner Loop Header: Depth=1
	s_or_b32 s44, s44, exec_lo
	s_or_b32 s45, s45, exec_lo
	s_mov_b32 s46, exec_lo
	s_delay_alu instid0(VALU_DEP_2)
	v_cmpx_lt_u64_e64 v[0:1], v[2:3]
	s_cbranch_execz .LBB62_664
; %bb.666:                              ;   in Loop: Header=BB62_665 Depth=1
	global_load_b128 v[4:7], v[0:1], off offset:-8
	s_wait_xcnt 0x0
	v_add_nc_u64_e32 v[0:1], 8, v[0:1]
	s_and_not1_b32 s45, s45, exec_lo
	s_and_not1_b32 s44, s44, exec_lo
	s_wait_loadcnt 0x0
	v_cmp_ge_i64_e32 vcc_lo, v[4:5], v[6:7]
	s_or_b32 s47, s35, vcc_lo
	s_delay_alu instid0(SALU_CYCLE_1) | instskip(NEXT) | instid1(SALU_CYCLE_1)
	s_and_b32 s47, s47, exec_lo
	s_or_b32 s45, s45, s47
	s_branch .LBB62_664
.LBB62_667:
	s_mov_b32 s34, -1
	s_mov_b32 s31, 0
	s_mov_b32 s73, s71
	s_branch .LBB62_679
.LBB62_668:
	s_mov_b32 s34, -1
	s_mov_b32 s31, 0
	s_mov_b32 s75, s70
                                        ; implicit-def: $vgpr2_vgpr3
	s_branch .LBB62_799
.LBB62_669:
	s_or_b32 exec_lo, exec_lo, s0
	s_delay_alu instid0(SALU_CYCLE_1)
	s_mov_b32 s0, exec_lo
	s_or_not1_b32 s35, s34, exec_lo
.LBB62_670:
	s_or_b32 exec_lo, exec_lo, s1
	s_mov_b32 s34, 0
	s_and_saveexec_b32 s1, s35
	s_cbranch_execz .LBB62_1917
; %bb.671:
	v_mul_lo_u32 v0, v22, s16
	s_and_b32 s34, s26, 0xff
	s_delay_alu instid0(SALU_CYCLE_1) | instskip(NEXT) | instid1(VALU_DEP_1)
	s_cmp_lt_i32 s34, 11
	v_ashrrev_i32_e32 v1, 31, v0
	s_delay_alu instid0(VALU_DEP_1)
	v_add_nc_u64_e32 v[0:1], s[4:5], v[0:1]
	s_cbranch_scc1 .LBB62_791
; %bb.672:
	s_and_b32 s35, 0xffff, s34
	s_delay_alu instid0(SALU_CYCLE_1)
	s_cmp_gt_i32 s35, 25
	s_cbranch_scc0 .LBB62_918
; %bb.673:
	s_cmp_gt_i32 s35, 28
	s_cbranch_scc0 .LBB62_1045
; %bb.674:
	;; [unrolled: 3-line block ×4, first 2 shown]
	s_mov_b32 s45, 0
	s_mov_b32 s31, -1
	s_cmp_eq_u32 s35, 46
	s_mov_b32 s44, 0
	s_cbranch_scc0 .LBB62_1835
; %bb.677:
	v_mov_b32_e32 v2, 0
	s_mov_b32 s44, -1
	s_mov_b32 s31, 0
	global_store_b32 v[0:1], v2, off
	s_branch .LBB62_1835
.LBB62_678:
	s_mov_b32 s73, -1
	s_mov_b32 s31, 0
.LBB62_679:
                                        ; implicit-def: $vgpr0_vgpr1
.LBB62_680:
	s_and_b32 vcc_lo, exec_lo, s34
	s_cbranch_vccz .LBB62_685
; %bb.681:
	s_cmp_eq_u32 s1, 44
	s_cbranch_scc0 .LBB62_684
; %bb.682:
	global_load_u8 v6, v[2:3], off
	s_mov_b32 s73, 0
	s_mov_b32 s31, -1
	s_wait_loadcnt 0x0
	v_cmp_ne_u32_e32 vcc_lo, 0, v6
	v_lshlrev_b32_e32 v0, 23, v6
	s_delay_alu instid0(VALU_DEP_1) | instskip(NEXT) | instid1(VALU_DEP_1)
	v_trunc_f32_e32 v0, v0
	v_mul_f32_e64 v1, 0x2f800000, |v0|
	s_delay_alu instid0(VALU_DEP_1) | instskip(NEXT) | instid1(VALU_DEP_1)
	v_floor_f32_e32 v1, v1
	v_fma_f32 v4, 0xcf800000, v1, |v0|
	v_ashrrev_i32_e32 v0, 31, v0
	v_cvt_u32_f32_e32 v5, v1
	s_delay_alu instid0(VALU_DEP_3) | instskip(NEXT) | instid1(VALU_DEP_2)
	v_cvt_u32_f32_e32 v4, v4
	v_dual_mov_b32 v1, v0 :: v_dual_bitop2_b32 v5, v5, v0 bitop3:0x14
	s_delay_alu instid0(VALU_DEP_2) | instskip(NEXT) | instid1(VALU_DEP_1)
	v_xor_b32_e32 v4, v4, v0
	v_sub_nc_u64_e32 v[0:1], v[4:5], v[0:1]
	s_delay_alu instid0(VALU_DEP_1)
	v_dual_cndmask_b32 v1, 0, v1 :: v_dual_cndmask_b32 v0, 0, v0
	s_branch .LBB62_685
.LBB62_683:
	s_mov_b32 s34, -1
	s_mov_b32 s31, 0
	s_mov_b32 s75, s70
	s_branch .LBB62_793
.LBB62_684:
	s_mov_b32 s73, -1
                                        ; implicit-def: $vgpr0_vgpr1
.LBB62_685:
	s_mov_b32 s34, 0
.LBB62_686:
	s_delay_alu instid0(SALU_CYCLE_1)
	s_and_b32 vcc_lo, exec_lo, s34
	s_cbranch_vccz .LBB62_690
; %bb.687:
	s_cmp_eq_u32 s1, 29
	s_cbranch_scc0 .LBB62_689
; %bb.688:
	global_load_b64 v[0:1], v[2:3], off
	s_mov_b32 s31, -1
	s_mov_b32 s73, 0
	s_branch .LBB62_690
.LBB62_689:
	s_mov_b32 s73, -1
                                        ; implicit-def: $vgpr0_vgpr1
.LBB62_690:
	s_mov_b32 s34, 0
.LBB62_691:
	s_delay_alu instid0(SALU_CYCLE_1)
	s_and_b32 vcc_lo, exec_lo, s34
	s_cbranch_vccz .LBB62_707
; %bb.692:
	s_cmp_lt_i32 s1, 27
	s_cbranch_scc1 .LBB62_695
; %bb.693:
	s_cmp_gt_i32 s1, 27
	s_cbranch_scc0 .LBB62_696
; %bb.694:
	s_wait_loadcnt 0x0
	global_load_b32 v0, v[2:3], off
	v_mov_b32_e32 v1, 0
	s_mov_b32 s31, 0
	s_branch .LBB62_697
.LBB62_695:
	s_mov_b32 s31, -1
                                        ; implicit-def: $vgpr0_vgpr1
	s_branch .LBB62_700
.LBB62_696:
	s_mov_b32 s31, -1
                                        ; implicit-def: $vgpr0_vgpr1
.LBB62_697:
	s_delay_alu instid0(SALU_CYCLE_1)
	s_and_not1_b32 vcc_lo, exec_lo, s31
	s_cbranch_vccnz .LBB62_699
; %bb.698:
	s_wait_loadcnt 0x0
	global_load_u16 v0, v[2:3], off
	s_mov_b32 s31, 0
	s_delay_alu instid0(SALU_CYCLE_1)
	v_mov_b32_e32 v1, s31
	s_wait_loadcnt 0x0
	v_and_b32_e32 v0, 0xffff, v0
.LBB62_699:
	s_mov_b32 s31, 0
.LBB62_700:
	s_delay_alu instid0(SALU_CYCLE_1)
	s_and_not1_b32 vcc_lo, exec_lo, s31
	s_cbranch_vccnz .LBB62_706
; %bb.701:
	global_load_u8 v4, v[2:3], off
	s_mov_b32 s34, 0
	s_mov_b32 s31, exec_lo
	s_wait_loadcnt 0x0
	v_cmpx_lt_i16_e32 0x7f, v4
	s_xor_b32 s31, exec_lo, s31
	s_cbranch_execz .LBB62_718
; %bb.702:
	v_cmp_ne_u16_e32 vcc_lo, 0x80, v4
	s_and_b32 s34, vcc_lo, exec_lo
	s_and_not1_saveexec_b32 s31, s31
	s_cbranch_execnz .LBB62_719
.LBB62_703:
	s_or_b32 exec_lo, exec_lo, s31
	v_mov_b64_e32 v[0:1], 0
	s_and_saveexec_b32 s31, s34
	s_cbranch_execz .LBB62_705
.LBB62_704:
	v_and_b32_e32 v0, 0xffff, v4
	s_delay_alu instid0(VALU_DEP_1) | instskip(SKIP_1) | instid1(VALU_DEP_2)
	v_and_b32_e32 v1, 7, v0
	v_bfe_u32 v7, v0, 3, 4
	v_clz_i32_u32_e32 v5, v1
	s_delay_alu instid0(VALU_DEP_2) | instskip(NEXT) | instid1(VALU_DEP_2)
	v_cmp_eq_u32_e32 vcc_lo, 0, v7
	v_min_u32_e32 v5, 32, v5
	s_delay_alu instid0(VALU_DEP_1) | instskip(NEXT) | instid1(VALU_DEP_1)
	v_subrev_nc_u32_e32 v6, 28, v5
	v_dual_lshlrev_b32 v0, v6, v0 :: v_dual_sub_nc_u32 v5, 29, v5
	s_delay_alu instid0(VALU_DEP_1) | instskip(NEXT) | instid1(VALU_DEP_2)
	v_and_b32_e32 v0, 7, v0
	v_dual_cndmask_b32 v5, v7, v5 :: v_dual_lshlrev_b32 v4, 24, v4
	s_delay_alu instid0(VALU_DEP_2) | instskip(NEXT) | instid1(VALU_DEP_2)
	v_cndmask_b32_e32 v0, v1, v0, vcc_lo
	v_and_b32_e32 v1, 0x80000000, v4
	s_delay_alu instid0(VALU_DEP_3) | instskip(NEXT) | instid1(VALU_DEP_3)
	v_lshl_add_u32 v4, v5, 23, 0x3b800000
	v_lshlrev_b32_e32 v0, 20, v0
	s_delay_alu instid0(VALU_DEP_1) | instskip(NEXT) | instid1(VALU_DEP_1)
	v_or3_b32 v0, v1, v4, v0
	v_trunc_f32_e32 v0, v0
	s_delay_alu instid0(VALU_DEP_1) | instskip(NEXT) | instid1(VALU_DEP_1)
	v_mul_f32_e64 v1, 0x2f800000, |v0|
	v_floor_f32_e32 v1, v1
	s_delay_alu instid0(VALU_DEP_1) | instskip(SKIP_2) | instid1(VALU_DEP_3)
	v_fma_f32 v4, 0xcf800000, v1, |v0|
	v_ashrrev_i32_e32 v0, 31, v0
	v_cvt_u32_f32_e32 v5, v1
	v_cvt_u32_f32_e32 v4, v4
	s_delay_alu instid0(VALU_DEP_2) | instskip(NEXT) | instid1(VALU_DEP_2)
	v_dual_mov_b32 v1, v0 :: v_dual_bitop2_b32 v5, v5, v0 bitop3:0x14
	v_xor_b32_e32 v4, v4, v0
	s_delay_alu instid0(VALU_DEP_1)
	v_sub_nc_u64_e32 v[0:1], v[4:5], v[0:1]
.LBB62_705:
	s_or_b32 exec_lo, exec_lo, s31
.LBB62_706:
	s_mov_b32 s31, -1
.LBB62_707:
	s_mov_b32 s34, 0
.LBB62_708:
	s_delay_alu instid0(SALU_CYCLE_1)
	s_and_b32 vcc_lo, exec_lo, s34
	s_cbranch_vccz .LBB62_741
; %bb.709:
	s_cmp_gt_i32 s1, 22
	s_cbranch_scc0 .LBB62_717
; %bb.710:
	s_cmp_lt_i32 s1, 24
	s_cbranch_scc1 .LBB62_720
; %bb.711:
	s_cmp_gt_i32 s1, 24
	s_cbranch_scc0 .LBB62_721
; %bb.712:
	global_load_u8 v4, v[2:3], off
	s_mov_b32 s34, 0
	s_mov_b32 s31, exec_lo
	s_wait_loadcnt 0x0
	v_cmpx_lt_i16_e32 0x7f, v4
	s_xor_b32 s31, exec_lo, s31
	s_cbranch_execz .LBB62_733
; %bb.713:
	v_cmp_ne_u16_e32 vcc_lo, 0x80, v4
	s_and_b32 s34, vcc_lo, exec_lo
	s_and_not1_saveexec_b32 s31, s31
	s_cbranch_execnz .LBB62_734
.LBB62_714:
	s_or_b32 exec_lo, exec_lo, s31
	v_mov_b64_e32 v[0:1], 0
	s_and_saveexec_b32 s31, s34
	s_cbranch_execz .LBB62_716
.LBB62_715:
	v_and_b32_e32 v0, 0xffff, v4
	s_delay_alu instid0(VALU_DEP_1) | instskip(SKIP_1) | instid1(VALU_DEP_2)
	v_and_b32_e32 v1, 3, v0
	v_bfe_u32 v7, v0, 2, 5
	v_clz_i32_u32_e32 v5, v1
	s_delay_alu instid0(VALU_DEP_2) | instskip(NEXT) | instid1(VALU_DEP_2)
	v_cmp_eq_u32_e32 vcc_lo, 0, v7
	v_min_u32_e32 v5, 32, v5
	s_delay_alu instid0(VALU_DEP_1) | instskip(NEXT) | instid1(VALU_DEP_1)
	v_subrev_nc_u32_e32 v6, 29, v5
	v_dual_lshlrev_b32 v0, v6, v0 :: v_dual_sub_nc_u32 v5, 30, v5
	s_delay_alu instid0(VALU_DEP_1) | instskip(NEXT) | instid1(VALU_DEP_2)
	v_and_b32_e32 v0, 3, v0
	v_dual_cndmask_b32 v5, v7, v5 :: v_dual_lshlrev_b32 v4, 24, v4
	s_delay_alu instid0(VALU_DEP_2) | instskip(NEXT) | instid1(VALU_DEP_2)
	v_cndmask_b32_e32 v0, v1, v0, vcc_lo
	v_and_b32_e32 v1, 0x80000000, v4
	s_delay_alu instid0(VALU_DEP_3) | instskip(NEXT) | instid1(VALU_DEP_3)
	v_lshl_add_u32 v4, v5, 23, 0x37800000
	v_lshlrev_b32_e32 v0, 21, v0
	s_delay_alu instid0(VALU_DEP_1) | instskip(NEXT) | instid1(VALU_DEP_1)
	v_or3_b32 v0, v1, v4, v0
	v_trunc_f32_e32 v0, v0
	s_delay_alu instid0(VALU_DEP_1) | instskip(NEXT) | instid1(VALU_DEP_1)
	v_mul_f32_e64 v1, 0x2f800000, |v0|
	v_floor_f32_e32 v1, v1
	s_delay_alu instid0(VALU_DEP_1) | instskip(SKIP_2) | instid1(VALU_DEP_3)
	v_fma_f32 v4, 0xcf800000, v1, |v0|
	v_ashrrev_i32_e32 v0, 31, v0
	v_cvt_u32_f32_e32 v5, v1
	v_cvt_u32_f32_e32 v4, v4
	s_delay_alu instid0(VALU_DEP_2) | instskip(NEXT) | instid1(VALU_DEP_2)
	v_dual_mov_b32 v1, v0 :: v_dual_bitop2_b32 v5, v5, v0 bitop3:0x14
	v_xor_b32_e32 v4, v4, v0
	s_delay_alu instid0(VALU_DEP_1)
	v_sub_nc_u64_e32 v[0:1], v[4:5], v[0:1]
.LBB62_716:
	s_or_b32 exec_lo, exec_lo, s31
	s_mov_b32 s31, 0
	s_branch .LBB62_722
.LBB62_717:
	s_mov_b32 s34, -1
                                        ; implicit-def: $vgpr0_vgpr1
	s_branch .LBB62_728
.LBB62_718:
	s_and_not1_saveexec_b32 s31, s31
	s_cbranch_execz .LBB62_703
.LBB62_719:
	v_cmp_ne_u16_e32 vcc_lo, 0, v4
	s_and_not1_b32 s34, s34, exec_lo
	s_and_b32 s35, vcc_lo, exec_lo
	s_delay_alu instid0(SALU_CYCLE_1)
	s_or_b32 s34, s34, s35
	s_or_b32 exec_lo, exec_lo, s31
	v_mov_b64_e32 v[0:1], 0
	s_and_saveexec_b32 s31, s34
	s_cbranch_execnz .LBB62_704
	s_branch .LBB62_705
.LBB62_720:
	s_mov_b32 s31, -1
                                        ; implicit-def: $vgpr0_vgpr1
	s_branch .LBB62_725
.LBB62_721:
	s_mov_b32 s31, -1
                                        ; implicit-def: $vgpr0_vgpr1
.LBB62_722:
	s_delay_alu instid0(SALU_CYCLE_1)
	s_and_b32 vcc_lo, exec_lo, s31
	s_cbranch_vccz .LBB62_724
; %bb.723:
	s_wait_loadcnt 0x0
	global_load_u8 v0, v[2:3], off
	s_wait_loadcnt 0x0
	v_lshlrev_b32_e32 v0, 24, v0
	s_delay_alu instid0(VALU_DEP_1) | instskip(NEXT) | instid1(VALU_DEP_1)
	v_and_b32_e32 v1, 0x7f000000, v0
	v_clz_i32_u32_e32 v4, v1
	v_cmp_ne_u32_e32 vcc_lo, 0, v1
	v_add_nc_u32_e32 v6, 0x1000000, v1
	s_delay_alu instid0(VALU_DEP_3) | instskip(NEXT) | instid1(VALU_DEP_1)
	v_min_u32_e32 v4, 32, v4
	v_sub_nc_u32_e64 v4, v4, 4 clamp
	s_delay_alu instid0(VALU_DEP_1) | instskip(NEXT) | instid1(VALU_DEP_1)
	v_dual_lshlrev_b32 v5, v4, v1 :: v_dual_lshlrev_b32 v4, 23, v4
	v_lshrrev_b32_e32 v5, 4, v5
	s_delay_alu instid0(VALU_DEP_1) | instskip(NEXT) | instid1(VALU_DEP_1)
	v_dual_sub_nc_u32 v4, v5, v4 :: v_dual_ashrrev_i32 v5, 8, v6
	v_add_nc_u32_e32 v4, 0x3c000000, v4
	s_delay_alu instid0(VALU_DEP_1) | instskip(NEXT) | instid1(VALU_DEP_1)
	v_and_or_b32 v4, 0x7f800000, v5, v4
	v_cndmask_b32_e32 v1, 0, v4, vcc_lo
	s_delay_alu instid0(VALU_DEP_1) | instskip(NEXT) | instid1(VALU_DEP_1)
	v_and_or_b32 v0, 0x80000000, v0, v1
	v_trunc_f32_e32 v0, v0
	s_delay_alu instid0(VALU_DEP_1) | instskip(NEXT) | instid1(VALU_DEP_1)
	v_mul_f32_e64 v1, 0x2f800000, |v0|
	v_floor_f32_e32 v1, v1
	s_delay_alu instid0(VALU_DEP_1) | instskip(SKIP_2) | instid1(VALU_DEP_3)
	v_fma_f32 v4, 0xcf800000, v1, |v0|
	v_ashrrev_i32_e32 v0, 31, v0
	v_cvt_u32_f32_e32 v5, v1
	v_cvt_u32_f32_e32 v4, v4
	s_delay_alu instid0(VALU_DEP_2) | instskip(NEXT) | instid1(VALU_DEP_2)
	v_dual_mov_b32 v1, v0 :: v_dual_bitop2_b32 v5, v5, v0 bitop3:0x14
	v_xor_b32_e32 v4, v4, v0
	s_delay_alu instid0(VALU_DEP_1)
	v_sub_nc_u64_e32 v[0:1], v[4:5], v[0:1]
.LBB62_724:
	s_mov_b32 s31, 0
.LBB62_725:
	s_delay_alu instid0(SALU_CYCLE_1)
	s_and_not1_b32 vcc_lo, exec_lo, s31
	s_cbranch_vccnz .LBB62_727
; %bb.726:
	s_wait_loadcnt 0x0
	global_load_u8 v0, v[2:3], off
	s_wait_loadcnt 0x0
	v_lshlrev_b32_e32 v1, 25, v0
	v_lshlrev_b16 v0, 8, v0
	s_delay_alu instid0(VALU_DEP_1) | instskip(SKIP_1) | instid1(VALU_DEP_2)
	v_and_or_b32 v5, 0x7f00, v0, 0.5
	v_bfe_i32 v0, v0, 0, 16
	v_add_f32_e32 v5, -0.5, v5
	v_lshrrev_b32_e32 v4, 4, v1
	v_cmp_gt_u32_e32 vcc_lo, 0x8000000, v1
	s_delay_alu instid0(VALU_DEP_2) | instskip(NEXT) | instid1(VALU_DEP_1)
	v_or_b32_e32 v4, 0x70000000, v4
	v_mul_f32_e32 v4, 0x7800000, v4
	s_delay_alu instid0(VALU_DEP_1) | instskip(NEXT) | instid1(VALU_DEP_1)
	v_cndmask_b32_e32 v1, v4, v5, vcc_lo
	v_and_or_b32 v0, 0x80000000, v0, v1
	s_delay_alu instid0(VALU_DEP_1) | instskip(NEXT) | instid1(VALU_DEP_1)
	v_trunc_f32_e32 v0, v0
	v_mul_f32_e64 v1, 0x2f800000, |v0|
	s_delay_alu instid0(VALU_DEP_1) | instskip(NEXT) | instid1(VALU_DEP_1)
	v_floor_f32_e32 v1, v1
	v_fma_f32 v4, 0xcf800000, v1, |v0|
	v_ashrrev_i32_e32 v0, 31, v0
	v_cvt_u32_f32_e32 v5, v1
	s_delay_alu instid0(VALU_DEP_3) | instskip(NEXT) | instid1(VALU_DEP_2)
	v_cvt_u32_f32_e32 v4, v4
	v_dual_mov_b32 v1, v0 :: v_dual_bitop2_b32 v5, v5, v0 bitop3:0x14
	s_delay_alu instid0(VALU_DEP_2) | instskip(NEXT) | instid1(VALU_DEP_1)
	v_xor_b32_e32 v4, v4, v0
	v_sub_nc_u64_e32 v[0:1], v[4:5], v[0:1]
.LBB62_727:
	s_mov_b32 s34, 0
	s_mov_b32 s31, -1
.LBB62_728:
	s_and_not1_b32 vcc_lo, exec_lo, s34
	s_cbranch_vccnz .LBB62_741
; %bb.729:
	s_cmp_gt_i32 s1, 14
	s_cbranch_scc0 .LBB62_732
; %bb.730:
	s_cmp_eq_u32 s1, 15
	s_cbranch_scc0 .LBB62_735
; %bb.731:
	s_wait_loadcnt 0x0
	global_load_u16 v0, v[2:3], off
	s_mov_b32 s31, -1
	s_mov_b32 s73, 0
	s_wait_loadcnt 0x0
	v_lshlrev_b32_e32 v0, 16, v0
	s_delay_alu instid0(VALU_DEP_1) | instskip(NEXT) | instid1(VALU_DEP_1)
	v_trunc_f32_e32 v0, v0
	v_mul_f32_e64 v1, 0x2f800000, |v0|
	s_delay_alu instid0(VALU_DEP_1) | instskip(NEXT) | instid1(VALU_DEP_1)
	v_floor_f32_e32 v1, v1
	v_fma_f32 v4, 0xcf800000, v1, |v0|
	v_ashrrev_i32_e32 v0, 31, v0
	v_cvt_u32_f32_e32 v5, v1
	s_delay_alu instid0(VALU_DEP_3) | instskip(NEXT) | instid1(VALU_DEP_2)
	v_cvt_u32_f32_e32 v4, v4
	v_dual_mov_b32 v1, v0 :: v_dual_bitop2_b32 v5, v5, v0 bitop3:0x14
	s_delay_alu instid0(VALU_DEP_2) | instskip(NEXT) | instid1(VALU_DEP_1)
	v_xor_b32_e32 v4, v4, v0
	v_sub_nc_u64_e32 v[0:1], v[4:5], v[0:1]
	s_branch .LBB62_736
.LBB62_732:
	s_mov_b32 s34, -1
                                        ; implicit-def: $vgpr0_vgpr1
	s_branch .LBB62_737
.LBB62_733:
	s_and_not1_saveexec_b32 s31, s31
	s_cbranch_execz .LBB62_714
.LBB62_734:
	v_cmp_ne_u16_e32 vcc_lo, 0, v4
	s_and_not1_b32 s34, s34, exec_lo
	s_and_b32 s35, vcc_lo, exec_lo
	s_delay_alu instid0(SALU_CYCLE_1)
	s_or_b32 s34, s34, s35
	s_or_b32 exec_lo, exec_lo, s31
	v_mov_b64_e32 v[0:1], 0
	s_and_saveexec_b32 s31, s34
	s_cbranch_execnz .LBB62_715
	s_branch .LBB62_716
.LBB62_735:
	s_mov_b32 s73, -1
                                        ; implicit-def: $vgpr0_vgpr1
.LBB62_736:
	s_mov_b32 s34, 0
.LBB62_737:
	s_delay_alu instid0(SALU_CYCLE_1)
	s_and_b32 vcc_lo, exec_lo, s34
	s_cbranch_vccz .LBB62_741
; %bb.738:
	s_cmp_eq_u32 s1, 11
	s_cbranch_scc0 .LBB62_740
; %bb.739:
	s_wait_loadcnt 0x0
	global_load_u8 v0, v[2:3], off
	s_mov_b32 s73, 0
	s_mov_b32 s31, -1
	v_mov_b32_e32 v1, s73
	s_wait_loadcnt 0x0
	v_cmp_ne_u16_e32 vcc_lo, 0, v0
	v_cndmask_b32_e64 v0, 0, 1, vcc_lo
	s_branch .LBB62_741
.LBB62_740:
	s_mov_b32 s73, -1
                                        ; implicit-def: $vgpr0_vgpr1
.LBB62_741:
	s_branch .LBB62_648
.LBB62_742:
	s_and_b32 s0, 0xffff, s0
	s_delay_alu instid0(SALU_CYCLE_1)
	s_cmp_lt_i32 s0, 5
	s_cbranch_scc1 .LBB62_747
; %bb.743:
	s_cmp_lt_i32 s0, 8
	s_cbranch_scc1 .LBB62_748
; %bb.744:
	;; [unrolled: 3-line block ×3, first 2 shown]
	s_cmp_gt_i32 s0, 9
	s_cbranch_scc0 .LBB62_750
; %bb.746:
	s_wait_loadcnt 0x0
	global_load_b64 v[0:1], v[2:3], off
	s_mov_b32 s1, 0
	s_wait_loadcnt 0x0
	v_trunc_f64_e32 v[0:1], v[0:1]
	s_delay_alu instid0(VALU_DEP_1) | instskip(NEXT) | instid1(VALU_DEP_1)
	v_ldexp_f64 v[4:5], v[0:1], 0xffffffe0
	v_floor_f64_e32 v[4:5], v[4:5]
	s_delay_alu instid0(VALU_DEP_1) | instskip(SKIP_1) | instid1(VALU_DEP_2)
	v_fmamk_f64 v[6:7], v[4:5], 0xc1f00000, v[0:1]
	v_cvt_i32_f64_e32 v1, v[4:5]
	v_cvt_u32_f64_e32 v0, v[6:7]
	s_branch .LBB62_751
.LBB62_747:
	s_mov_b32 s1, -1
                                        ; implicit-def: $vgpr0_vgpr1
	s_branch .LBB62_769
.LBB62_748:
	s_mov_b32 s1, -1
                                        ; implicit-def: $vgpr0_vgpr1
	s_branch .LBB62_757
.LBB62_749:
	s_mov_b32 s1, -1
                                        ; implicit-def: $vgpr0_vgpr1
	s_branch .LBB62_754
.LBB62_750:
	s_mov_b32 s1, -1
                                        ; implicit-def: $vgpr0_vgpr1
.LBB62_751:
	s_delay_alu instid0(SALU_CYCLE_1)
	s_and_not1_b32 vcc_lo, exec_lo, s1
	s_cbranch_vccnz .LBB62_753
; %bb.752:
	s_wait_loadcnt 0x0
	global_load_b32 v0, v[2:3], off
	s_wait_loadcnt 0x0
	v_trunc_f32_e32 v0, v0
	s_delay_alu instid0(VALU_DEP_1) | instskip(NEXT) | instid1(VALU_DEP_1)
	v_mul_f32_e64 v1, 0x2f800000, |v0|
	v_floor_f32_e32 v1, v1
	s_delay_alu instid0(VALU_DEP_1) | instskip(SKIP_2) | instid1(VALU_DEP_3)
	v_fma_f32 v4, 0xcf800000, v1, |v0|
	v_ashrrev_i32_e32 v0, 31, v0
	v_cvt_u32_f32_e32 v5, v1
	v_cvt_u32_f32_e32 v4, v4
	s_delay_alu instid0(VALU_DEP_2) | instskip(NEXT) | instid1(VALU_DEP_2)
	v_dual_mov_b32 v1, v0 :: v_dual_bitop2_b32 v5, v5, v0 bitop3:0x14
	v_xor_b32_e32 v4, v4, v0
	s_delay_alu instid0(VALU_DEP_1)
	v_sub_nc_u64_e32 v[0:1], v[4:5], v[0:1]
.LBB62_753:
	s_mov_b32 s1, 0
.LBB62_754:
	s_delay_alu instid0(SALU_CYCLE_1)
	s_and_not1_b32 vcc_lo, exec_lo, s1
	s_cbranch_vccnz .LBB62_756
; %bb.755:
	s_wait_loadcnt 0x0
	global_load_b32 v0, v[2:3], off
	s_wait_loadcnt 0x0
	v_cvt_f32_f16_e32 v0, v0
	s_delay_alu instid0(VALU_DEP_1) | instskip(NEXT) | instid1(VALU_DEP_1)
	v_cvt_i32_f32_e32 v0, v0
	v_ashrrev_i32_e32 v1, 31, v0
.LBB62_756:
	s_mov_b32 s1, 0
.LBB62_757:
	s_delay_alu instid0(SALU_CYCLE_1)
	s_and_not1_b32 vcc_lo, exec_lo, s1
	s_cbranch_vccnz .LBB62_768
; %bb.758:
	s_cmp_lt_i32 s0, 6
	s_cbranch_scc1 .LBB62_761
; %bb.759:
	s_cmp_gt_i32 s0, 6
	s_cbranch_scc0 .LBB62_762
; %bb.760:
	s_wait_loadcnt 0x0
	global_load_b64 v[0:1], v[2:3], off
	s_mov_b32 s1, 0
	s_wait_loadcnt 0x0
	v_trunc_f64_e32 v[0:1], v[0:1]
	s_delay_alu instid0(VALU_DEP_1) | instskip(NEXT) | instid1(VALU_DEP_1)
	v_ldexp_f64 v[4:5], v[0:1], 0xffffffe0
	v_floor_f64_e32 v[4:5], v[4:5]
	s_delay_alu instid0(VALU_DEP_1) | instskip(SKIP_1) | instid1(VALU_DEP_2)
	v_fmamk_f64 v[6:7], v[4:5], 0xc1f00000, v[0:1]
	v_cvt_i32_f64_e32 v1, v[4:5]
	v_cvt_u32_f64_e32 v0, v[6:7]
	s_branch .LBB62_763
.LBB62_761:
	s_mov_b32 s1, -1
                                        ; implicit-def: $vgpr0_vgpr1
	s_branch .LBB62_766
.LBB62_762:
	s_mov_b32 s1, -1
                                        ; implicit-def: $vgpr0_vgpr1
.LBB62_763:
	s_delay_alu instid0(SALU_CYCLE_1)
	s_and_not1_b32 vcc_lo, exec_lo, s1
	s_cbranch_vccnz .LBB62_765
; %bb.764:
	s_wait_loadcnt 0x0
	global_load_b32 v0, v[2:3], off
	s_wait_loadcnt 0x0
	v_trunc_f32_e32 v0, v0
	s_delay_alu instid0(VALU_DEP_1) | instskip(NEXT) | instid1(VALU_DEP_1)
	v_mul_f32_e64 v1, 0x2f800000, |v0|
	v_floor_f32_e32 v1, v1
	s_delay_alu instid0(VALU_DEP_1) | instskip(SKIP_2) | instid1(VALU_DEP_3)
	v_fma_f32 v4, 0xcf800000, v1, |v0|
	v_ashrrev_i32_e32 v0, 31, v0
	v_cvt_u32_f32_e32 v5, v1
	v_cvt_u32_f32_e32 v4, v4
	s_delay_alu instid0(VALU_DEP_2) | instskip(NEXT) | instid1(VALU_DEP_2)
	v_dual_mov_b32 v1, v0 :: v_dual_bitop2_b32 v5, v5, v0 bitop3:0x14
	v_xor_b32_e32 v4, v4, v0
	s_delay_alu instid0(VALU_DEP_1)
	v_sub_nc_u64_e32 v[0:1], v[4:5], v[0:1]
.LBB62_765:
	s_mov_b32 s1, 0
.LBB62_766:
	s_delay_alu instid0(SALU_CYCLE_1)
	s_and_not1_b32 vcc_lo, exec_lo, s1
	s_cbranch_vccnz .LBB62_768
; %bb.767:
	s_wait_loadcnt 0x0
	global_load_u16 v0, v[2:3], off
	s_wait_loadcnt 0x0
	v_cvt_f32_f16_e32 v0, v0
	s_delay_alu instid0(VALU_DEP_1) | instskip(NEXT) | instid1(VALU_DEP_1)
	v_cvt_i32_f32_e32 v0, v0
	v_ashrrev_i32_e32 v1, 31, v0
.LBB62_768:
	s_mov_b32 s1, 0
.LBB62_769:
	s_delay_alu instid0(SALU_CYCLE_1)
	s_and_not1_b32 vcc_lo, exec_lo, s1
	s_cbranch_vccnz .LBB62_789
; %bb.770:
	s_cmp_lt_i32 s0, 2
	s_cbranch_scc1 .LBB62_774
; %bb.771:
	s_cmp_lt_i32 s0, 3
	s_cbranch_scc1 .LBB62_775
; %bb.772:
	s_cmp_gt_i32 s0, 3
	s_cbranch_scc0 .LBB62_776
; %bb.773:
	s_wait_loadcnt 0x0
	global_load_b64 v[0:1], v[2:3], off
	s_mov_b32 s1, 0
	s_branch .LBB62_777
.LBB62_774:
	s_mov_b32 s1, -1
                                        ; implicit-def: $vgpr0_vgpr1
	s_branch .LBB62_783
.LBB62_775:
	s_mov_b32 s1, -1
                                        ; implicit-def: $vgpr0_vgpr1
	s_branch .LBB62_780
.LBB62_776:
	s_mov_b32 s1, -1
                                        ; implicit-def: $vgpr0_vgpr1
.LBB62_777:
	s_delay_alu instid0(SALU_CYCLE_1)
	s_and_not1_b32 vcc_lo, exec_lo, s1
	s_cbranch_vccnz .LBB62_779
; %bb.778:
	s_wait_loadcnt 0x0
	global_load_b32 v0, v[2:3], off
	s_wait_loadcnt 0x0
	v_ashrrev_i32_e32 v1, 31, v0
.LBB62_779:
	s_mov_b32 s1, 0
.LBB62_780:
	s_delay_alu instid0(SALU_CYCLE_1)
	s_and_not1_b32 vcc_lo, exec_lo, s1
	s_cbranch_vccnz .LBB62_782
; %bb.781:
	s_wait_loadcnt 0x0
	global_load_u16 v0, v[2:3], off
	s_wait_loadcnt 0x0
	v_bfe_i32 v0, v0, 0, 16
	s_delay_alu instid0(VALU_DEP_1)
	v_ashrrev_i32_e32 v1, 31, v0
.LBB62_782:
	s_mov_b32 s1, 0
.LBB62_783:
	s_delay_alu instid0(SALU_CYCLE_1)
	s_and_not1_b32 vcc_lo, exec_lo, s1
	s_cbranch_vccnz .LBB62_789
; %bb.784:
	s_cmp_gt_i32 s0, 0
	s_mov_b32 s0, 0
	s_cbranch_scc0 .LBB62_786
; %bb.785:
	s_wait_loadcnt 0x0
	global_load_i8 v0, v[2:3], off
	s_wait_loadcnt 0x0
	v_bfe_i32 v0, v0, 0, 16
	s_delay_alu instid0(VALU_DEP_1)
	v_ashrrev_i32_e32 v1, 31, v0
	s_branch .LBB62_787
.LBB62_786:
	s_mov_b32 s0, -1
                                        ; implicit-def: $vgpr0_vgpr1
.LBB62_787:
	s_delay_alu instid0(SALU_CYCLE_1)
	s_and_not1_b32 vcc_lo, exec_lo, s0
	s_cbranch_vccnz .LBB62_789
; %bb.788:
	s_wait_loadcnt 0x0
	global_load_u8 v0, v[2:3], off
	s_mov_b32 s0, 0
	s_delay_alu instid0(SALU_CYCLE_1)
	v_mov_b32_e32 v1, s0
	s_wait_loadcnt 0x0
	v_and_b32_e32 v0, 0xffff, v0
.LBB62_789:
	s_branch .LBB62_649
.LBB62_790:
	s_mov_b32 s0, 0
	s_mov_b32 s1, s61
	;; [unrolled: 1-line block ×10, first 2 shown]
	s_branch .LBB62_1297
.LBB62_791:
	s_mov_b32 s35, -1
	s_mov_b32 s31, 0
	s_mov_b32 s44, 0
	s_branch .LBB62_1874
.LBB62_792:
	s_mov_b32 s75, -1
	s_mov_b32 s31, 0
.LBB62_793:
                                        ; implicit-def: $vgpr2_vgpr3
.LBB62_794:
	s_and_b32 vcc_lo, exec_lo, s34
	s_cbranch_vccz .LBB62_798
; %bb.795:
	s_cmp_eq_u32 s1, 44
	s_cbranch_scc0 .LBB62_797
; %bb.796:
	global_load_u8 v8, v[4:5], off
	s_mov_b32 s75, 0
	s_mov_b32 s31, -1
	s_wait_loadcnt 0x0
	v_cmp_ne_u32_e32 vcc_lo, 0, v8
	v_lshlrev_b32_e32 v2, 23, v8
	s_delay_alu instid0(VALU_DEP_1) | instskip(NEXT) | instid1(VALU_DEP_1)
	v_trunc_f32_e32 v2, v2
	v_mul_f32_e64 v3, 0x2f800000, |v2|
	s_delay_alu instid0(VALU_DEP_1) | instskip(NEXT) | instid1(VALU_DEP_1)
	v_floor_f32_e32 v3, v3
	v_fma_f32 v6, 0xcf800000, v3, |v2|
	v_ashrrev_i32_e32 v2, 31, v2
	v_cvt_u32_f32_e32 v7, v3
	s_delay_alu instid0(VALU_DEP_3) | instskip(NEXT) | instid1(VALU_DEP_2)
	v_cvt_u32_f32_e32 v6, v6
	v_dual_mov_b32 v3, v2 :: v_dual_bitop2_b32 v7, v7, v2 bitop3:0x14
	s_delay_alu instid0(VALU_DEP_2) | instskip(NEXT) | instid1(VALU_DEP_1)
	v_xor_b32_e32 v6, v6, v2
	v_sub_nc_u64_e32 v[2:3], v[6:7], v[2:3]
	s_delay_alu instid0(VALU_DEP_1)
	v_dual_cndmask_b32 v3, 0, v3 :: v_dual_cndmask_b32 v2, 0, v2
	s_branch .LBB62_798
.LBB62_797:
	s_mov_b32 s75, -1
                                        ; implicit-def: $vgpr2_vgpr3
.LBB62_798:
	s_mov_b32 s34, 0
.LBB62_799:
	s_delay_alu instid0(SALU_CYCLE_1)
	s_and_b32 vcc_lo, exec_lo, s34
	s_cbranch_vccz .LBB62_803
; %bb.800:
	s_cmp_eq_u32 s1, 29
	s_cbranch_scc0 .LBB62_802
; %bb.801:
	global_load_b64 v[2:3], v[4:5], off
	s_mov_b32 s31, -1
	s_mov_b32 s75, 0
	s_branch .LBB62_803
.LBB62_802:
	s_mov_b32 s75, -1
                                        ; implicit-def: $vgpr2_vgpr3
.LBB62_803:
	s_mov_b32 s34, 0
.LBB62_804:
	s_delay_alu instid0(SALU_CYCLE_1)
	s_and_b32 vcc_lo, exec_lo, s34
	s_cbranch_vccz .LBB62_820
; %bb.805:
	s_cmp_lt_i32 s1, 27
	s_cbranch_scc1 .LBB62_808
; %bb.806:
	s_cmp_gt_i32 s1, 27
	s_cbranch_scc0 .LBB62_809
; %bb.807:
	s_wait_loadcnt 0x0
	global_load_b32 v2, v[4:5], off
	v_mov_b32_e32 v3, 0
	s_mov_b32 s31, 0
	s_branch .LBB62_810
.LBB62_808:
	s_mov_b32 s31, -1
                                        ; implicit-def: $vgpr2_vgpr3
	s_branch .LBB62_813
.LBB62_809:
	s_mov_b32 s31, -1
                                        ; implicit-def: $vgpr2_vgpr3
.LBB62_810:
	s_delay_alu instid0(SALU_CYCLE_1)
	s_and_not1_b32 vcc_lo, exec_lo, s31
	s_cbranch_vccnz .LBB62_812
; %bb.811:
	s_wait_loadcnt 0x0
	global_load_u16 v2, v[4:5], off
	s_mov_b32 s31, 0
	s_delay_alu instid0(SALU_CYCLE_1)
	v_mov_b32_e32 v3, s31
	s_wait_loadcnt 0x0
	v_and_b32_e32 v2, 0xffff, v2
.LBB62_812:
	s_mov_b32 s31, 0
.LBB62_813:
	s_delay_alu instid0(SALU_CYCLE_1)
	s_and_not1_b32 vcc_lo, exec_lo, s31
	s_cbranch_vccnz .LBB62_819
; %bb.814:
	global_load_u8 v6, v[4:5], off
	s_mov_b32 s34, 0
	s_mov_b32 s31, exec_lo
	s_wait_loadcnt 0x0
	v_cmpx_lt_i16_e32 0x7f, v6
	s_xor_b32 s31, exec_lo, s31
	s_cbranch_execz .LBB62_831
; %bb.815:
	v_cmp_ne_u16_e32 vcc_lo, 0x80, v6
	s_and_b32 s34, vcc_lo, exec_lo
	s_and_not1_saveexec_b32 s31, s31
	s_cbranch_execnz .LBB62_832
.LBB62_816:
	s_or_b32 exec_lo, exec_lo, s31
	v_mov_b64_e32 v[2:3], 0
	s_and_saveexec_b32 s31, s34
	s_cbranch_execz .LBB62_818
.LBB62_817:
	v_and_b32_e32 v2, 0xffff, v6
	s_delay_alu instid0(VALU_DEP_1) | instskip(SKIP_1) | instid1(VALU_DEP_2)
	v_and_b32_e32 v3, 7, v2
	v_bfe_u32 v9, v2, 3, 4
	v_clz_i32_u32_e32 v7, v3
	s_delay_alu instid0(VALU_DEP_2) | instskip(NEXT) | instid1(VALU_DEP_2)
	v_cmp_eq_u32_e32 vcc_lo, 0, v9
	v_min_u32_e32 v7, 32, v7
	s_delay_alu instid0(VALU_DEP_1) | instskip(NEXT) | instid1(VALU_DEP_1)
	v_subrev_nc_u32_e32 v8, 28, v7
	v_dual_lshlrev_b32 v2, v8, v2 :: v_dual_sub_nc_u32 v7, 29, v7
	s_delay_alu instid0(VALU_DEP_1) | instskip(NEXT) | instid1(VALU_DEP_2)
	v_and_b32_e32 v2, 7, v2
	v_dual_cndmask_b32 v7, v9, v7 :: v_dual_lshlrev_b32 v6, 24, v6
	s_delay_alu instid0(VALU_DEP_2) | instskip(NEXT) | instid1(VALU_DEP_2)
	v_cndmask_b32_e32 v2, v3, v2, vcc_lo
	v_and_b32_e32 v3, 0x80000000, v6
	s_delay_alu instid0(VALU_DEP_3) | instskip(NEXT) | instid1(VALU_DEP_3)
	v_lshl_add_u32 v6, v7, 23, 0x3b800000
	v_lshlrev_b32_e32 v2, 20, v2
	s_delay_alu instid0(VALU_DEP_1) | instskip(NEXT) | instid1(VALU_DEP_1)
	v_or3_b32 v2, v3, v6, v2
	v_trunc_f32_e32 v2, v2
	s_delay_alu instid0(VALU_DEP_1) | instskip(NEXT) | instid1(VALU_DEP_1)
	v_mul_f32_e64 v3, 0x2f800000, |v2|
	v_floor_f32_e32 v3, v3
	s_delay_alu instid0(VALU_DEP_1) | instskip(SKIP_2) | instid1(VALU_DEP_3)
	v_fma_f32 v6, 0xcf800000, v3, |v2|
	v_ashrrev_i32_e32 v2, 31, v2
	v_cvt_u32_f32_e32 v7, v3
	v_cvt_u32_f32_e32 v6, v6
	s_delay_alu instid0(VALU_DEP_2) | instskip(NEXT) | instid1(VALU_DEP_2)
	v_dual_mov_b32 v3, v2 :: v_dual_bitop2_b32 v7, v7, v2 bitop3:0x14
	v_xor_b32_e32 v6, v6, v2
	s_delay_alu instid0(VALU_DEP_1)
	v_sub_nc_u64_e32 v[2:3], v[6:7], v[2:3]
.LBB62_818:
	s_or_b32 exec_lo, exec_lo, s31
.LBB62_819:
	s_mov_b32 s31, -1
.LBB62_820:
	s_mov_b32 s34, 0
.LBB62_821:
	s_delay_alu instid0(SALU_CYCLE_1)
	s_and_b32 vcc_lo, exec_lo, s34
	s_cbranch_vccz .LBB62_854
; %bb.822:
	s_cmp_gt_i32 s1, 22
	s_cbranch_scc0 .LBB62_830
; %bb.823:
	s_cmp_lt_i32 s1, 24
	s_cbranch_scc1 .LBB62_833
; %bb.824:
	s_cmp_gt_i32 s1, 24
	s_cbranch_scc0 .LBB62_834
; %bb.825:
	global_load_u8 v6, v[4:5], off
	s_mov_b32 s34, 0
	s_mov_b32 s31, exec_lo
	s_wait_loadcnt 0x0
	v_cmpx_lt_i16_e32 0x7f, v6
	s_xor_b32 s31, exec_lo, s31
	s_cbranch_execz .LBB62_846
; %bb.826:
	v_cmp_ne_u16_e32 vcc_lo, 0x80, v6
	s_and_b32 s34, vcc_lo, exec_lo
	s_and_not1_saveexec_b32 s31, s31
	s_cbranch_execnz .LBB62_847
.LBB62_827:
	s_or_b32 exec_lo, exec_lo, s31
	v_mov_b64_e32 v[2:3], 0
	s_and_saveexec_b32 s31, s34
	s_cbranch_execz .LBB62_829
.LBB62_828:
	v_and_b32_e32 v2, 0xffff, v6
	s_delay_alu instid0(VALU_DEP_1) | instskip(SKIP_1) | instid1(VALU_DEP_2)
	v_and_b32_e32 v3, 3, v2
	v_bfe_u32 v9, v2, 2, 5
	v_clz_i32_u32_e32 v7, v3
	s_delay_alu instid0(VALU_DEP_2) | instskip(NEXT) | instid1(VALU_DEP_2)
	v_cmp_eq_u32_e32 vcc_lo, 0, v9
	v_min_u32_e32 v7, 32, v7
	s_delay_alu instid0(VALU_DEP_1) | instskip(NEXT) | instid1(VALU_DEP_1)
	v_subrev_nc_u32_e32 v8, 29, v7
	v_dual_lshlrev_b32 v2, v8, v2 :: v_dual_sub_nc_u32 v7, 30, v7
	s_delay_alu instid0(VALU_DEP_1) | instskip(NEXT) | instid1(VALU_DEP_2)
	v_and_b32_e32 v2, 3, v2
	v_dual_cndmask_b32 v7, v9, v7 :: v_dual_lshlrev_b32 v6, 24, v6
	s_delay_alu instid0(VALU_DEP_2) | instskip(NEXT) | instid1(VALU_DEP_2)
	v_cndmask_b32_e32 v2, v3, v2, vcc_lo
	v_and_b32_e32 v3, 0x80000000, v6
	s_delay_alu instid0(VALU_DEP_3) | instskip(NEXT) | instid1(VALU_DEP_3)
	v_lshl_add_u32 v6, v7, 23, 0x37800000
	v_lshlrev_b32_e32 v2, 21, v2
	s_delay_alu instid0(VALU_DEP_1) | instskip(NEXT) | instid1(VALU_DEP_1)
	v_or3_b32 v2, v3, v6, v2
	v_trunc_f32_e32 v2, v2
	s_delay_alu instid0(VALU_DEP_1) | instskip(NEXT) | instid1(VALU_DEP_1)
	v_mul_f32_e64 v3, 0x2f800000, |v2|
	v_floor_f32_e32 v3, v3
	s_delay_alu instid0(VALU_DEP_1) | instskip(SKIP_2) | instid1(VALU_DEP_3)
	v_fma_f32 v6, 0xcf800000, v3, |v2|
	v_ashrrev_i32_e32 v2, 31, v2
	v_cvt_u32_f32_e32 v7, v3
	v_cvt_u32_f32_e32 v6, v6
	s_delay_alu instid0(VALU_DEP_2) | instskip(NEXT) | instid1(VALU_DEP_2)
	v_dual_mov_b32 v3, v2 :: v_dual_bitop2_b32 v7, v7, v2 bitop3:0x14
	v_xor_b32_e32 v6, v6, v2
	s_delay_alu instid0(VALU_DEP_1)
	v_sub_nc_u64_e32 v[2:3], v[6:7], v[2:3]
.LBB62_829:
	s_or_b32 exec_lo, exec_lo, s31
	s_mov_b32 s31, 0
	s_branch .LBB62_835
.LBB62_830:
	s_mov_b32 s34, -1
                                        ; implicit-def: $vgpr2_vgpr3
	s_branch .LBB62_841
.LBB62_831:
	s_and_not1_saveexec_b32 s31, s31
	s_cbranch_execz .LBB62_816
.LBB62_832:
	v_cmp_ne_u16_e32 vcc_lo, 0, v6
	s_and_not1_b32 s34, s34, exec_lo
	s_and_b32 s35, vcc_lo, exec_lo
	s_delay_alu instid0(SALU_CYCLE_1)
	s_or_b32 s34, s34, s35
	s_or_b32 exec_lo, exec_lo, s31
	v_mov_b64_e32 v[2:3], 0
	s_and_saveexec_b32 s31, s34
	s_cbranch_execnz .LBB62_817
	s_branch .LBB62_818
.LBB62_833:
	s_mov_b32 s31, -1
                                        ; implicit-def: $vgpr2_vgpr3
	s_branch .LBB62_838
.LBB62_834:
	s_mov_b32 s31, -1
                                        ; implicit-def: $vgpr2_vgpr3
.LBB62_835:
	s_delay_alu instid0(SALU_CYCLE_1)
	s_and_b32 vcc_lo, exec_lo, s31
	s_cbranch_vccz .LBB62_837
; %bb.836:
	s_wait_loadcnt 0x0
	global_load_u8 v2, v[4:5], off
	s_wait_loadcnt 0x0
	v_lshlrev_b32_e32 v2, 24, v2
	s_delay_alu instid0(VALU_DEP_1) | instskip(NEXT) | instid1(VALU_DEP_1)
	v_and_b32_e32 v3, 0x7f000000, v2
	v_clz_i32_u32_e32 v6, v3
	v_cmp_ne_u32_e32 vcc_lo, 0, v3
	v_add_nc_u32_e32 v8, 0x1000000, v3
	s_delay_alu instid0(VALU_DEP_3) | instskip(NEXT) | instid1(VALU_DEP_1)
	v_min_u32_e32 v6, 32, v6
	v_sub_nc_u32_e64 v6, v6, 4 clamp
	s_delay_alu instid0(VALU_DEP_1) | instskip(NEXT) | instid1(VALU_DEP_1)
	v_dual_lshlrev_b32 v7, v6, v3 :: v_dual_lshlrev_b32 v6, 23, v6
	v_lshrrev_b32_e32 v7, 4, v7
	s_delay_alu instid0(VALU_DEP_1) | instskip(NEXT) | instid1(VALU_DEP_1)
	v_dual_sub_nc_u32 v6, v7, v6 :: v_dual_ashrrev_i32 v7, 8, v8
	v_add_nc_u32_e32 v6, 0x3c000000, v6
	s_delay_alu instid0(VALU_DEP_1) | instskip(NEXT) | instid1(VALU_DEP_1)
	v_and_or_b32 v6, 0x7f800000, v7, v6
	v_cndmask_b32_e32 v3, 0, v6, vcc_lo
	s_delay_alu instid0(VALU_DEP_1) | instskip(NEXT) | instid1(VALU_DEP_1)
	v_and_or_b32 v2, 0x80000000, v2, v3
	v_trunc_f32_e32 v2, v2
	s_delay_alu instid0(VALU_DEP_1) | instskip(NEXT) | instid1(VALU_DEP_1)
	v_mul_f32_e64 v3, 0x2f800000, |v2|
	v_floor_f32_e32 v3, v3
	s_delay_alu instid0(VALU_DEP_1) | instskip(SKIP_2) | instid1(VALU_DEP_3)
	v_fma_f32 v6, 0xcf800000, v3, |v2|
	v_ashrrev_i32_e32 v2, 31, v2
	v_cvt_u32_f32_e32 v7, v3
	v_cvt_u32_f32_e32 v6, v6
	s_delay_alu instid0(VALU_DEP_2) | instskip(NEXT) | instid1(VALU_DEP_2)
	v_dual_mov_b32 v3, v2 :: v_dual_bitop2_b32 v7, v7, v2 bitop3:0x14
	v_xor_b32_e32 v6, v6, v2
	s_delay_alu instid0(VALU_DEP_1)
	v_sub_nc_u64_e32 v[2:3], v[6:7], v[2:3]
.LBB62_837:
	s_mov_b32 s31, 0
.LBB62_838:
	s_delay_alu instid0(SALU_CYCLE_1)
	s_and_not1_b32 vcc_lo, exec_lo, s31
	s_cbranch_vccnz .LBB62_840
; %bb.839:
	s_wait_loadcnt 0x0
	global_load_u8 v2, v[4:5], off
	s_wait_loadcnt 0x0
	v_lshlrev_b32_e32 v3, 25, v2
	v_lshlrev_b16 v2, 8, v2
	s_delay_alu instid0(VALU_DEP_1) | instskip(SKIP_1) | instid1(VALU_DEP_2)
	v_and_or_b32 v7, 0x7f00, v2, 0.5
	v_bfe_i32 v2, v2, 0, 16
	v_add_f32_e32 v7, -0.5, v7
	v_lshrrev_b32_e32 v6, 4, v3
	v_cmp_gt_u32_e32 vcc_lo, 0x8000000, v3
	s_delay_alu instid0(VALU_DEP_2) | instskip(NEXT) | instid1(VALU_DEP_1)
	v_or_b32_e32 v6, 0x70000000, v6
	v_mul_f32_e32 v6, 0x7800000, v6
	s_delay_alu instid0(VALU_DEP_1) | instskip(NEXT) | instid1(VALU_DEP_1)
	v_cndmask_b32_e32 v3, v6, v7, vcc_lo
	v_and_or_b32 v2, 0x80000000, v2, v3
	s_delay_alu instid0(VALU_DEP_1) | instskip(NEXT) | instid1(VALU_DEP_1)
	v_trunc_f32_e32 v2, v2
	v_mul_f32_e64 v3, 0x2f800000, |v2|
	s_delay_alu instid0(VALU_DEP_1) | instskip(NEXT) | instid1(VALU_DEP_1)
	v_floor_f32_e32 v3, v3
	v_fma_f32 v6, 0xcf800000, v3, |v2|
	v_ashrrev_i32_e32 v2, 31, v2
	v_cvt_u32_f32_e32 v7, v3
	s_delay_alu instid0(VALU_DEP_3) | instskip(NEXT) | instid1(VALU_DEP_2)
	v_cvt_u32_f32_e32 v6, v6
	v_dual_mov_b32 v3, v2 :: v_dual_bitop2_b32 v7, v7, v2 bitop3:0x14
	s_delay_alu instid0(VALU_DEP_2) | instskip(NEXT) | instid1(VALU_DEP_1)
	v_xor_b32_e32 v6, v6, v2
	v_sub_nc_u64_e32 v[2:3], v[6:7], v[2:3]
.LBB62_840:
	s_mov_b32 s34, 0
	s_mov_b32 s31, -1
.LBB62_841:
	s_and_not1_b32 vcc_lo, exec_lo, s34
	s_cbranch_vccnz .LBB62_854
; %bb.842:
	s_cmp_gt_i32 s1, 14
	s_cbranch_scc0 .LBB62_845
; %bb.843:
	s_cmp_eq_u32 s1, 15
	s_cbranch_scc0 .LBB62_848
; %bb.844:
	s_wait_loadcnt 0x0
	global_load_u16 v2, v[4:5], off
	s_mov_b32 s31, -1
	s_mov_b32 s75, 0
	s_wait_loadcnt 0x0
	v_lshlrev_b32_e32 v2, 16, v2
	s_delay_alu instid0(VALU_DEP_1) | instskip(NEXT) | instid1(VALU_DEP_1)
	v_trunc_f32_e32 v2, v2
	v_mul_f32_e64 v3, 0x2f800000, |v2|
	s_delay_alu instid0(VALU_DEP_1) | instskip(NEXT) | instid1(VALU_DEP_1)
	v_floor_f32_e32 v3, v3
	v_fma_f32 v6, 0xcf800000, v3, |v2|
	v_ashrrev_i32_e32 v2, 31, v2
	v_cvt_u32_f32_e32 v7, v3
	s_delay_alu instid0(VALU_DEP_3) | instskip(NEXT) | instid1(VALU_DEP_2)
	v_cvt_u32_f32_e32 v6, v6
	v_dual_mov_b32 v3, v2 :: v_dual_bitop2_b32 v7, v7, v2 bitop3:0x14
	s_delay_alu instid0(VALU_DEP_2) | instskip(NEXT) | instid1(VALU_DEP_1)
	v_xor_b32_e32 v6, v6, v2
	v_sub_nc_u64_e32 v[2:3], v[6:7], v[2:3]
	s_branch .LBB62_849
.LBB62_845:
	s_mov_b32 s34, -1
                                        ; implicit-def: $vgpr2_vgpr3
	s_branch .LBB62_850
.LBB62_846:
	s_and_not1_saveexec_b32 s31, s31
	s_cbranch_execz .LBB62_827
.LBB62_847:
	v_cmp_ne_u16_e32 vcc_lo, 0, v6
	s_and_not1_b32 s34, s34, exec_lo
	s_and_b32 s35, vcc_lo, exec_lo
	s_delay_alu instid0(SALU_CYCLE_1)
	s_or_b32 s34, s34, s35
	s_or_b32 exec_lo, exec_lo, s31
	v_mov_b64_e32 v[2:3], 0
	s_and_saveexec_b32 s31, s34
	s_cbranch_execnz .LBB62_828
	s_branch .LBB62_829
.LBB62_848:
	s_mov_b32 s75, -1
                                        ; implicit-def: $vgpr2_vgpr3
.LBB62_849:
	s_mov_b32 s34, 0
.LBB62_850:
	s_delay_alu instid0(SALU_CYCLE_1)
	s_and_b32 vcc_lo, exec_lo, s34
	s_cbranch_vccz .LBB62_854
; %bb.851:
	s_cmp_eq_u32 s1, 11
	s_cbranch_scc0 .LBB62_853
; %bb.852:
	s_wait_loadcnt 0x0
	global_load_u8 v2, v[4:5], off
	s_mov_b32 s75, 0
	s_mov_b32 s31, -1
	v_mov_b32_e32 v3, s75
	s_wait_loadcnt 0x0
	v_cmp_ne_u16_e32 vcc_lo, 0, v2
	v_cndmask_b32_e64 v2, 0, 1, vcc_lo
	s_branch .LBB62_854
.LBB62_853:
	s_mov_b32 s75, -1
                                        ; implicit-def: $vgpr2_vgpr3
.LBB62_854:
	s_mov_b32 s1, 0
.LBB62_855:
	s_delay_alu instid0(SALU_CYCLE_1)
	s_and_b32 vcc_lo, exec_lo, s1
	s_cbranch_vccz .LBB62_904
; %bb.856:
	s_and_b32 s0, 0xffff, s0
	s_delay_alu instid0(SALU_CYCLE_1)
	s_cmp_lt_i32 s0, 5
	s_cbranch_scc1 .LBB62_861
; %bb.857:
	s_cmp_lt_i32 s0, 8
	s_cbranch_scc1 .LBB62_862
; %bb.858:
	;; [unrolled: 3-line block ×3, first 2 shown]
	s_cmp_gt_i32 s0, 9
	s_cbranch_scc0 .LBB62_864
; %bb.860:
	s_wait_loadcnt 0x0
	global_load_b64 v[2:3], v[4:5], off
	s_mov_b32 s1, 0
	s_wait_loadcnt 0x0
	v_trunc_f64_e32 v[2:3], v[2:3]
	s_delay_alu instid0(VALU_DEP_1) | instskip(NEXT) | instid1(VALU_DEP_1)
	v_ldexp_f64 v[6:7], v[2:3], 0xffffffe0
	v_floor_f64_e32 v[6:7], v[6:7]
	s_delay_alu instid0(VALU_DEP_1) | instskip(SKIP_1) | instid1(VALU_DEP_2)
	v_fmamk_f64 v[8:9], v[6:7], 0xc1f00000, v[2:3]
	v_cvt_i32_f64_e32 v3, v[6:7]
	v_cvt_u32_f64_e32 v2, v[8:9]
	s_branch .LBB62_865
.LBB62_861:
	s_mov_b32 s1, -1
                                        ; implicit-def: $vgpr2_vgpr3
	s_branch .LBB62_883
.LBB62_862:
	s_mov_b32 s1, -1
                                        ; implicit-def: $vgpr2_vgpr3
	s_branch .LBB62_871
.LBB62_863:
	s_mov_b32 s1, -1
                                        ; implicit-def: $vgpr2_vgpr3
	s_branch .LBB62_868
.LBB62_864:
	s_mov_b32 s1, -1
                                        ; implicit-def: $vgpr2_vgpr3
.LBB62_865:
	s_delay_alu instid0(SALU_CYCLE_1)
	s_and_not1_b32 vcc_lo, exec_lo, s1
	s_cbranch_vccnz .LBB62_867
; %bb.866:
	s_wait_loadcnt 0x0
	global_load_b32 v2, v[4:5], off
	s_wait_loadcnt 0x0
	v_trunc_f32_e32 v2, v2
	s_delay_alu instid0(VALU_DEP_1) | instskip(NEXT) | instid1(VALU_DEP_1)
	v_mul_f32_e64 v3, 0x2f800000, |v2|
	v_floor_f32_e32 v3, v3
	s_delay_alu instid0(VALU_DEP_1) | instskip(SKIP_2) | instid1(VALU_DEP_3)
	v_fma_f32 v6, 0xcf800000, v3, |v2|
	v_ashrrev_i32_e32 v2, 31, v2
	v_cvt_u32_f32_e32 v7, v3
	v_cvt_u32_f32_e32 v6, v6
	s_delay_alu instid0(VALU_DEP_2) | instskip(NEXT) | instid1(VALU_DEP_2)
	v_dual_mov_b32 v3, v2 :: v_dual_bitop2_b32 v7, v7, v2 bitop3:0x14
	v_xor_b32_e32 v6, v6, v2
	s_delay_alu instid0(VALU_DEP_1)
	v_sub_nc_u64_e32 v[2:3], v[6:7], v[2:3]
.LBB62_867:
	s_mov_b32 s1, 0
.LBB62_868:
	s_delay_alu instid0(SALU_CYCLE_1)
	s_and_not1_b32 vcc_lo, exec_lo, s1
	s_cbranch_vccnz .LBB62_870
; %bb.869:
	s_wait_loadcnt 0x0
	global_load_b32 v2, v[4:5], off
	s_wait_loadcnt 0x0
	v_cvt_f32_f16_e32 v2, v2
	s_delay_alu instid0(VALU_DEP_1) | instskip(NEXT) | instid1(VALU_DEP_1)
	v_cvt_i32_f32_e32 v2, v2
	v_ashrrev_i32_e32 v3, 31, v2
.LBB62_870:
	s_mov_b32 s1, 0
.LBB62_871:
	s_delay_alu instid0(SALU_CYCLE_1)
	s_and_not1_b32 vcc_lo, exec_lo, s1
	s_cbranch_vccnz .LBB62_882
; %bb.872:
	s_cmp_lt_i32 s0, 6
	s_cbranch_scc1 .LBB62_875
; %bb.873:
	s_cmp_gt_i32 s0, 6
	s_cbranch_scc0 .LBB62_876
; %bb.874:
	s_wait_loadcnt 0x0
	global_load_b64 v[2:3], v[4:5], off
	s_mov_b32 s1, 0
	s_wait_loadcnt 0x0
	v_trunc_f64_e32 v[2:3], v[2:3]
	s_delay_alu instid0(VALU_DEP_1) | instskip(NEXT) | instid1(VALU_DEP_1)
	v_ldexp_f64 v[6:7], v[2:3], 0xffffffe0
	v_floor_f64_e32 v[6:7], v[6:7]
	s_delay_alu instid0(VALU_DEP_1) | instskip(SKIP_1) | instid1(VALU_DEP_2)
	v_fmamk_f64 v[8:9], v[6:7], 0xc1f00000, v[2:3]
	v_cvt_i32_f64_e32 v3, v[6:7]
	v_cvt_u32_f64_e32 v2, v[8:9]
	s_branch .LBB62_877
.LBB62_875:
	s_mov_b32 s1, -1
                                        ; implicit-def: $vgpr2_vgpr3
	s_branch .LBB62_880
.LBB62_876:
	s_mov_b32 s1, -1
                                        ; implicit-def: $vgpr2_vgpr3
.LBB62_877:
	s_delay_alu instid0(SALU_CYCLE_1)
	s_and_not1_b32 vcc_lo, exec_lo, s1
	s_cbranch_vccnz .LBB62_879
; %bb.878:
	s_wait_loadcnt 0x0
	global_load_b32 v2, v[4:5], off
	s_wait_loadcnt 0x0
	v_trunc_f32_e32 v2, v2
	s_delay_alu instid0(VALU_DEP_1) | instskip(NEXT) | instid1(VALU_DEP_1)
	v_mul_f32_e64 v3, 0x2f800000, |v2|
	v_floor_f32_e32 v3, v3
	s_delay_alu instid0(VALU_DEP_1) | instskip(SKIP_2) | instid1(VALU_DEP_3)
	v_fma_f32 v6, 0xcf800000, v3, |v2|
	v_ashrrev_i32_e32 v2, 31, v2
	v_cvt_u32_f32_e32 v7, v3
	v_cvt_u32_f32_e32 v6, v6
	s_delay_alu instid0(VALU_DEP_2) | instskip(NEXT) | instid1(VALU_DEP_2)
	v_dual_mov_b32 v3, v2 :: v_dual_bitop2_b32 v7, v7, v2 bitop3:0x14
	v_xor_b32_e32 v6, v6, v2
	s_delay_alu instid0(VALU_DEP_1)
	v_sub_nc_u64_e32 v[2:3], v[6:7], v[2:3]
.LBB62_879:
	s_mov_b32 s1, 0
.LBB62_880:
	s_delay_alu instid0(SALU_CYCLE_1)
	s_and_not1_b32 vcc_lo, exec_lo, s1
	s_cbranch_vccnz .LBB62_882
; %bb.881:
	s_wait_loadcnt 0x0
	global_load_u16 v2, v[4:5], off
	s_wait_loadcnt 0x0
	v_cvt_f32_f16_e32 v2, v2
	s_delay_alu instid0(VALU_DEP_1) | instskip(NEXT) | instid1(VALU_DEP_1)
	v_cvt_i32_f32_e32 v2, v2
	v_ashrrev_i32_e32 v3, 31, v2
.LBB62_882:
	s_mov_b32 s1, 0
.LBB62_883:
	s_delay_alu instid0(SALU_CYCLE_1)
	s_and_not1_b32 vcc_lo, exec_lo, s1
	s_cbranch_vccnz .LBB62_903
; %bb.884:
	s_cmp_lt_i32 s0, 2
	s_cbranch_scc1 .LBB62_888
; %bb.885:
	s_cmp_lt_i32 s0, 3
	s_cbranch_scc1 .LBB62_889
; %bb.886:
	s_cmp_gt_i32 s0, 3
	s_cbranch_scc0 .LBB62_890
; %bb.887:
	s_wait_loadcnt 0x0
	global_load_b64 v[2:3], v[4:5], off
	s_mov_b32 s1, 0
	s_branch .LBB62_891
.LBB62_888:
	s_mov_b32 s1, -1
                                        ; implicit-def: $vgpr2_vgpr3
	s_branch .LBB62_897
.LBB62_889:
	s_mov_b32 s1, -1
                                        ; implicit-def: $vgpr2_vgpr3
	s_branch .LBB62_894
.LBB62_890:
	s_mov_b32 s1, -1
                                        ; implicit-def: $vgpr2_vgpr3
.LBB62_891:
	s_delay_alu instid0(SALU_CYCLE_1)
	s_and_not1_b32 vcc_lo, exec_lo, s1
	s_cbranch_vccnz .LBB62_893
; %bb.892:
	s_wait_loadcnt 0x0
	global_load_b32 v2, v[4:5], off
	s_wait_loadcnt 0x0
	v_ashrrev_i32_e32 v3, 31, v2
.LBB62_893:
	s_mov_b32 s1, 0
.LBB62_894:
	s_delay_alu instid0(SALU_CYCLE_1)
	s_and_not1_b32 vcc_lo, exec_lo, s1
	s_cbranch_vccnz .LBB62_896
; %bb.895:
	s_wait_loadcnt 0x0
	global_load_u16 v2, v[4:5], off
	s_wait_loadcnt 0x0
	v_bfe_i32 v2, v2, 0, 16
	s_delay_alu instid0(VALU_DEP_1)
	v_ashrrev_i32_e32 v3, 31, v2
.LBB62_896:
	s_mov_b32 s1, 0
.LBB62_897:
	s_delay_alu instid0(SALU_CYCLE_1)
	s_and_not1_b32 vcc_lo, exec_lo, s1
	s_cbranch_vccnz .LBB62_903
; %bb.898:
	s_cmp_gt_i32 s0, 0
	s_mov_b32 s0, 0
	s_cbranch_scc0 .LBB62_900
; %bb.899:
	s_wait_loadcnt 0x0
	global_load_i8 v2, v[4:5], off
	s_wait_loadcnt 0x0
	v_bfe_i32 v2, v2, 0, 16
	s_delay_alu instid0(VALU_DEP_1)
	v_ashrrev_i32_e32 v3, 31, v2
	s_branch .LBB62_901
.LBB62_900:
	s_mov_b32 s0, -1
                                        ; implicit-def: $vgpr2_vgpr3
.LBB62_901:
	s_delay_alu instid0(SALU_CYCLE_1)
	s_and_not1_b32 vcc_lo, exec_lo, s0
	s_cbranch_vccnz .LBB62_903
; %bb.902:
	s_wait_loadcnt 0x0
	global_load_u8 v2, v[4:5], off
	s_mov_b32 s0, 0
	s_delay_alu instid0(SALU_CYCLE_1)
	v_mov_b32_e32 v3, s0
	s_wait_loadcnt 0x0
	v_and_b32_e32 v2, 0xffff, v2
.LBB62_903:
	s_mov_b32 s31, -1
.LBB62_904:
	s_delay_alu instid0(SALU_CYCLE_1)
	s_and_not1_b32 vcc_lo, exec_lo, s31
	s_cbranch_vccnz .LBB62_912
; %bb.905:
	s_wait_xcnt 0x0
	v_mul_lo_u32 v4, v22, s19
	s_and_b32 s0, s28, 0xff
	s_delay_alu instid0(SALU_CYCLE_1) | instskip(NEXT) | instid1(VALU_DEP_1)
	s_cmp_lt_i32 s0, 11
	v_ashrrev_i32_e32 v5, 31, v4
	s_delay_alu instid0(VALU_DEP_1)
	v_add_nc_u64_e32 v[6:7], s[10:11], v[4:5]
	s_cbranch_scc1 .LBB62_913
; %bb.906:
	s_and_b32 s1, 0xffff, s0
	s_delay_alu instid0(SALU_CYCLE_1)
	s_cmp_gt_i32 s1, 25
	s_cbranch_scc0 .LBB62_914
; %bb.907:
	s_cmp_gt_i32 s1, 28
	s_cbranch_scc0 .LBB62_915
; %bb.908:
	;; [unrolled: 3-line block ×4, first 2 shown]
	s_cmp_eq_u32 s1, 46
	s_mov_b32 s34, 0
	s_cbranch_scc0 .LBB62_919
; %bb.911:
	global_load_b32 v4, v[6:7], off
	s_mov_b32 s31, -1
	s_mov_b32 s74, 0
	s_wait_loadcnt 0x0
	v_lshlrev_b32_e32 v4, 16, v4
	s_delay_alu instid0(VALU_DEP_1) | instskip(NEXT) | instid1(VALU_DEP_1)
	v_trunc_f32_e32 v4, v4
	v_mul_f32_e64 v5, 0x2f800000, |v4|
	s_delay_alu instid0(VALU_DEP_1) | instskip(NEXT) | instid1(VALU_DEP_1)
	v_floor_f32_e32 v5, v5
	v_fma_f32 v8, 0xcf800000, v5, |v4|
	v_ashrrev_i32_e32 v4, 31, v4
	v_cvt_u32_f32_e32 v9, v5
	s_delay_alu instid0(VALU_DEP_3) | instskip(NEXT) | instid1(VALU_DEP_2)
	v_cvt_u32_f32_e32 v8, v8
	v_dual_mov_b32 v5, v4 :: v_dual_bitop2_b32 v9, v9, v4 bitop3:0x14
	s_delay_alu instid0(VALU_DEP_2) | instskip(NEXT) | instid1(VALU_DEP_1)
	v_xor_b32_e32 v8, v8, v4
	v_sub_nc_u64_e32 v[4:5], v[8:9], v[4:5]
	s_branch .LBB62_921
.LBB62_912:
	s_mov_b32 s0, 0
	s_mov_b32 s1, s61
	;; [unrolled: 1-line block ×9, first 2 shown]
	s_branch .LBB62_1297
.LBB62_913:
	s_mov_b32 s1, -1
	s_mov_b32 s31, 0
	s_mov_b32 s74, s69
                                        ; implicit-def: $vgpr4_vgpr5
	s_branch .LBB62_982
.LBB62_914:
	s_mov_b32 s34, -1
	s_mov_b32 s31, 0
	s_mov_b32 s74, s69
                                        ; implicit-def: $vgpr4_vgpr5
	s_branch .LBB62_948
.LBB62_915:
	s_mov_b32 s34, -1
	s_mov_b32 s31, 0
	s_mov_b32 s74, s69
                                        ; implicit-def: $vgpr4_vgpr5
	s_branch .LBB62_931
.LBB62_916:
	s_mov_b32 s34, -1
	s_mov_b32 s31, 0
	s_mov_b32 s74, s69
                                        ; implicit-def: $vgpr4_vgpr5
	s_branch .LBB62_926
.LBB62_917:
	s_mov_b32 s34, -1
	s_mov_b32 s31, 0
	s_mov_b32 s74, s69
	s_branch .LBB62_920
.LBB62_918:
	s_mov_b32 s45, -1
	s_mov_b32 s31, 0
	s_mov_b32 s44, 0
	s_branch .LBB62_1854
.LBB62_919:
	s_mov_b32 s74, -1
	s_mov_b32 s31, 0
.LBB62_920:
                                        ; implicit-def: $vgpr4_vgpr5
.LBB62_921:
	s_and_b32 vcc_lo, exec_lo, s34
	s_cbranch_vccz .LBB62_925
; %bb.922:
	s_cmp_eq_u32 s1, 44
	s_cbranch_scc0 .LBB62_924
; %bb.923:
	global_load_u8 v10, v[6:7], off
	s_mov_b32 s74, 0
	s_mov_b32 s31, -1
	s_wait_loadcnt 0x0
	v_cmp_ne_u32_e32 vcc_lo, 0, v10
	v_lshlrev_b32_e32 v4, 23, v10
	s_delay_alu instid0(VALU_DEP_1) | instskip(NEXT) | instid1(VALU_DEP_1)
	v_trunc_f32_e32 v4, v4
	v_mul_f32_e64 v5, 0x2f800000, |v4|
	s_delay_alu instid0(VALU_DEP_1) | instskip(NEXT) | instid1(VALU_DEP_1)
	v_floor_f32_e32 v5, v5
	v_fma_f32 v8, 0xcf800000, v5, |v4|
	v_ashrrev_i32_e32 v4, 31, v4
	v_cvt_u32_f32_e32 v9, v5
	s_delay_alu instid0(VALU_DEP_3) | instskip(NEXT) | instid1(VALU_DEP_2)
	v_cvt_u32_f32_e32 v8, v8
	v_dual_mov_b32 v5, v4 :: v_dual_bitop2_b32 v9, v9, v4 bitop3:0x14
	s_delay_alu instid0(VALU_DEP_2) | instskip(NEXT) | instid1(VALU_DEP_1)
	v_xor_b32_e32 v8, v8, v4
	v_sub_nc_u64_e32 v[4:5], v[8:9], v[4:5]
	s_delay_alu instid0(VALU_DEP_1)
	v_dual_cndmask_b32 v5, 0, v5 :: v_dual_cndmask_b32 v4, 0, v4
	s_branch .LBB62_925
.LBB62_924:
	s_mov_b32 s74, -1
                                        ; implicit-def: $vgpr4_vgpr5
.LBB62_925:
	s_mov_b32 s34, 0
.LBB62_926:
	s_delay_alu instid0(SALU_CYCLE_1)
	s_and_b32 vcc_lo, exec_lo, s34
	s_cbranch_vccz .LBB62_930
; %bb.927:
	s_cmp_eq_u32 s1, 29
	s_cbranch_scc0 .LBB62_929
; %bb.928:
	global_load_b64 v[4:5], v[6:7], off
	s_mov_b32 s31, -1
	s_mov_b32 s74, 0
	s_branch .LBB62_930
.LBB62_929:
	s_mov_b32 s74, -1
                                        ; implicit-def: $vgpr4_vgpr5
.LBB62_930:
	s_mov_b32 s34, 0
.LBB62_931:
	s_delay_alu instid0(SALU_CYCLE_1)
	s_and_b32 vcc_lo, exec_lo, s34
	s_cbranch_vccz .LBB62_947
; %bb.932:
	s_cmp_lt_i32 s1, 27
	s_cbranch_scc1 .LBB62_935
; %bb.933:
	s_cmp_gt_i32 s1, 27
	s_cbranch_scc0 .LBB62_936
; %bb.934:
	s_wait_loadcnt 0x0
	global_load_b32 v4, v[6:7], off
	v_mov_b32_e32 v5, 0
	s_mov_b32 s31, 0
	s_branch .LBB62_937
.LBB62_935:
	s_mov_b32 s31, -1
                                        ; implicit-def: $vgpr4_vgpr5
	s_branch .LBB62_940
.LBB62_936:
	s_mov_b32 s31, -1
                                        ; implicit-def: $vgpr4_vgpr5
.LBB62_937:
	s_delay_alu instid0(SALU_CYCLE_1)
	s_and_not1_b32 vcc_lo, exec_lo, s31
	s_cbranch_vccnz .LBB62_939
; %bb.938:
	s_wait_loadcnt 0x0
	global_load_u16 v4, v[6:7], off
	s_mov_b32 s31, 0
	s_delay_alu instid0(SALU_CYCLE_1)
	v_mov_b32_e32 v5, s31
	s_wait_loadcnt 0x0
	v_and_b32_e32 v4, 0xffff, v4
.LBB62_939:
	s_mov_b32 s31, 0
.LBB62_940:
	s_delay_alu instid0(SALU_CYCLE_1)
	s_and_not1_b32 vcc_lo, exec_lo, s31
	s_cbranch_vccnz .LBB62_946
; %bb.941:
	global_load_u8 v8, v[6:7], off
	s_mov_b32 s34, 0
	s_mov_b32 s31, exec_lo
	s_wait_loadcnt 0x0
	v_cmpx_lt_i16_e32 0x7f, v8
	s_xor_b32 s31, exec_lo, s31
	s_cbranch_execz .LBB62_958
; %bb.942:
	v_cmp_ne_u16_e32 vcc_lo, 0x80, v8
	s_and_b32 s34, vcc_lo, exec_lo
	s_and_not1_saveexec_b32 s31, s31
	s_cbranch_execnz .LBB62_959
.LBB62_943:
	s_or_b32 exec_lo, exec_lo, s31
	v_mov_b64_e32 v[4:5], 0
	s_and_saveexec_b32 s31, s34
	s_cbranch_execz .LBB62_945
.LBB62_944:
	v_and_b32_e32 v4, 0xffff, v8
	s_delay_alu instid0(VALU_DEP_1) | instskip(SKIP_1) | instid1(VALU_DEP_2)
	v_and_b32_e32 v5, 7, v4
	v_bfe_u32 v11, v4, 3, 4
	v_clz_i32_u32_e32 v9, v5
	s_delay_alu instid0(VALU_DEP_2) | instskip(NEXT) | instid1(VALU_DEP_2)
	v_cmp_eq_u32_e32 vcc_lo, 0, v11
	v_min_u32_e32 v9, 32, v9
	s_delay_alu instid0(VALU_DEP_1) | instskip(NEXT) | instid1(VALU_DEP_1)
	v_subrev_nc_u32_e32 v10, 28, v9
	v_dual_lshlrev_b32 v4, v10, v4 :: v_dual_sub_nc_u32 v9, 29, v9
	s_delay_alu instid0(VALU_DEP_1) | instskip(NEXT) | instid1(VALU_DEP_2)
	v_and_b32_e32 v4, 7, v4
	v_dual_cndmask_b32 v9, v11, v9 :: v_dual_lshlrev_b32 v8, 24, v8
	s_delay_alu instid0(VALU_DEP_2) | instskip(NEXT) | instid1(VALU_DEP_2)
	v_cndmask_b32_e32 v4, v5, v4, vcc_lo
	v_and_b32_e32 v5, 0x80000000, v8
	s_delay_alu instid0(VALU_DEP_3) | instskip(NEXT) | instid1(VALU_DEP_3)
	v_lshl_add_u32 v8, v9, 23, 0x3b800000
	v_lshlrev_b32_e32 v4, 20, v4
	s_delay_alu instid0(VALU_DEP_1) | instskip(NEXT) | instid1(VALU_DEP_1)
	v_or3_b32 v4, v5, v8, v4
	v_trunc_f32_e32 v4, v4
	s_delay_alu instid0(VALU_DEP_1) | instskip(NEXT) | instid1(VALU_DEP_1)
	v_mul_f32_e64 v5, 0x2f800000, |v4|
	v_floor_f32_e32 v5, v5
	s_delay_alu instid0(VALU_DEP_1) | instskip(SKIP_2) | instid1(VALU_DEP_3)
	v_fma_f32 v8, 0xcf800000, v5, |v4|
	v_ashrrev_i32_e32 v4, 31, v4
	v_cvt_u32_f32_e32 v9, v5
	v_cvt_u32_f32_e32 v8, v8
	s_delay_alu instid0(VALU_DEP_2) | instskip(NEXT) | instid1(VALU_DEP_2)
	v_dual_mov_b32 v5, v4 :: v_dual_bitop2_b32 v9, v9, v4 bitop3:0x14
	v_xor_b32_e32 v8, v8, v4
	s_delay_alu instid0(VALU_DEP_1)
	v_sub_nc_u64_e32 v[4:5], v[8:9], v[4:5]
.LBB62_945:
	s_or_b32 exec_lo, exec_lo, s31
.LBB62_946:
	s_mov_b32 s31, -1
.LBB62_947:
	s_mov_b32 s34, 0
.LBB62_948:
	s_delay_alu instid0(SALU_CYCLE_1)
	s_and_b32 vcc_lo, exec_lo, s34
	s_cbranch_vccz .LBB62_981
; %bb.949:
	s_cmp_gt_i32 s1, 22
	s_cbranch_scc0 .LBB62_957
; %bb.950:
	s_cmp_lt_i32 s1, 24
	s_cbranch_scc1 .LBB62_960
; %bb.951:
	s_cmp_gt_i32 s1, 24
	s_cbranch_scc0 .LBB62_961
; %bb.952:
	global_load_u8 v8, v[6:7], off
	s_mov_b32 s34, 0
	s_mov_b32 s31, exec_lo
	s_wait_loadcnt 0x0
	v_cmpx_lt_i16_e32 0x7f, v8
	s_xor_b32 s31, exec_lo, s31
	s_cbranch_execz .LBB62_973
; %bb.953:
	v_cmp_ne_u16_e32 vcc_lo, 0x80, v8
	s_and_b32 s34, vcc_lo, exec_lo
	s_and_not1_saveexec_b32 s31, s31
	s_cbranch_execnz .LBB62_974
.LBB62_954:
	s_or_b32 exec_lo, exec_lo, s31
	v_mov_b64_e32 v[4:5], 0
	s_and_saveexec_b32 s31, s34
	s_cbranch_execz .LBB62_956
.LBB62_955:
	v_and_b32_e32 v4, 0xffff, v8
	s_delay_alu instid0(VALU_DEP_1) | instskip(SKIP_1) | instid1(VALU_DEP_2)
	v_and_b32_e32 v5, 3, v4
	v_bfe_u32 v11, v4, 2, 5
	v_clz_i32_u32_e32 v9, v5
	s_delay_alu instid0(VALU_DEP_2) | instskip(NEXT) | instid1(VALU_DEP_2)
	v_cmp_eq_u32_e32 vcc_lo, 0, v11
	v_min_u32_e32 v9, 32, v9
	s_delay_alu instid0(VALU_DEP_1) | instskip(NEXT) | instid1(VALU_DEP_1)
	v_subrev_nc_u32_e32 v10, 29, v9
	v_dual_lshlrev_b32 v4, v10, v4 :: v_dual_sub_nc_u32 v9, 30, v9
	s_delay_alu instid0(VALU_DEP_1) | instskip(NEXT) | instid1(VALU_DEP_2)
	v_and_b32_e32 v4, 3, v4
	v_dual_cndmask_b32 v9, v11, v9 :: v_dual_lshlrev_b32 v8, 24, v8
	s_delay_alu instid0(VALU_DEP_2) | instskip(NEXT) | instid1(VALU_DEP_2)
	v_cndmask_b32_e32 v4, v5, v4, vcc_lo
	v_and_b32_e32 v5, 0x80000000, v8
	s_delay_alu instid0(VALU_DEP_3) | instskip(NEXT) | instid1(VALU_DEP_3)
	v_lshl_add_u32 v8, v9, 23, 0x37800000
	v_lshlrev_b32_e32 v4, 21, v4
	s_delay_alu instid0(VALU_DEP_1) | instskip(NEXT) | instid1(VALU_DEP_1)
	v_or3_b32 v4, v5, v8, v4
	v_trunc_f32_e32 v4, v4
	s_delay_alu instid0(VALU_DEP_1) | instskip(NEXT) | instid1(VALU_DEP_1)
	v_mul_f32_e64 v5, 0x2f800000, |v4|
	v_floor_f32_e32 v5, v5
	s_delay_alu instid0(VALU_DEP_1) | instskip(SKIP_2) | instid1(VALU_DEP_3)
	v_fma_f32 v8, 0xcf800000, v5, |v4|
	v_ashrrev_i32_e32 v4, 31, v4
	v_cvt_u32_f32_e32 v9, v5
	v_cvt_u32_f32_e32 v8, v8
	s_delay_alu instid0(VALU_DEP_2) | instskip(NEXT) | instid1(VALU_DEP_2)
	v_dual_mov_b32 v5, v4 :: v_dual_bitop2_b32 v9, v9, v4 bitop3:0x14
	v_xor_b32_e32 v8, v8, v4
	s_delay_alu instid0(VALU_DEP_1)
	v_sub_nc_u64_e32 v[4:5], v[8:9], v[4:5]
.LBB62_956:
	s_or_b32 exec_lo, exec_lo, s31
	s_mov_b32 s31, 0
	s_branch .LBB62_962
.LBB62_957:
	s_mov_b32 s34, -1
                                        ; implicit-def: $vgpr4_vgpr5
	s_branch .LBB62_968
.LBB62_958:
	s_and_not1_saveexec_b32 s31, s31
	s_cbranch_execz .LBB62_943
.LBB62_959:
	v_cmp_ne_u16_e32 vcc_lo, 0, v8
	s_and_not1_b32 s34, s34, exec_lo
	s_and_b32 s35, vcc_lo, exec_lo
	s_delay_alu instid0(SALU_CYCLE_1)
	s_or_b32 s34, s34, s35
	s_or_b32 exec_lo, exec_lo, s31
	v_mov_b64_e32 v[4:5], 0
	s_and_saveexec_b32 s31, s34
	s_cbranch_execnz .LBB62_944
	s_branch .LBB62_945
.LBB62_960:
	s_mov_b32 s31, -1
                                        ; implicit-def: $vgpr4_vgpr5
	s_branch .LBB62_965
.LBB62_961:
	s_mov_b32 s31, -1
                                        ; implicit-def: $vgpr4_vgpr5
.LBB62_962:
	s_delay_alu instid0(SALU_CYCLE_1)
	s_and_b32 vcc_lo, exec_lo, s31
	s_cbranch_vccz .LBB62_964
; %bb.963:
	s_wait_loadcnt 0x0
	global_load_u8 v4, v[6:7], off
	s_wait_loadcnt 0x0
	v_lshlrev_b32_e32 v4, 24, v4
	s_delay_alu instid0(VALU_DEP_1) | instskip(NEXT) | instid1(VALU_DEP_1)
	v_and_b32_e32 v5, 0x7f000000, v4
	v_clz_i32_u32_e32 v8, v5
	v_cmp_ne_u32_e32 vcc_lo, 0, v5
	v_add_nc_u32_e32 v10, 0x1000000, v5
	s_delay_alu instid0(VALU_DEP_3) | instskip(NEXT) | instid1(VALU_DEP_1)
	v_min_u32_e32 v8, 32, v8
	v_sub_nc_u32_e64 v8, v8, 4 clamp
	s_delay_alu instid0(VALU_DEP_1) | instskip(NEXT) | instid1(VALU_DEP_1)
	v_dual_lshlrev_b32 v9, v8, v5 :: v_dual_lshlrev_b32 v8, 23, v8
	v_lshrrev_b32_e32 v9, 4, v9
	s_delay_alu instid0(VALU_DEP_1) | instskip(NEXT) | instid1(VALU_DEP_1)
	v_dual_sub_nc_u32 v8, v9, v8 :: v_dual_ashrrev_i32 v9, 8, v10
	v_add_nc_u32_e32 v8, 0x3c000000, v8
	s_delay_alu instid0(VALU_DEP_1) | instskip(NEXT) | instid1(VALU_DEP_1)
	v_and_or_b32 v8, 0x7f800000, v9, v8
	v_cndmask_b32_e32 v5, 0, v8, vcc_lo
	s_delay_alu instid0(VALU_DEP_1) | instskip(NEXT) | instid1(VALU_DEP_1)
	v_and_or_b32 v4, 0x80000000, v4, v5
	v_trunc_f32_e32 v4, v4
	s_delay_alu instid0(VALU_DEP_1) | instskip(NEXT) | instid1(VALU_DEP_1)
	v_mul_f32_e64 v5, 0x2f800000, |v4|
	v_floor_f32_e32 v5, v5
	s_delay_alu instid0(VALU_DEP_1) | instskip(SKIP_2) | instid1(VALU_DEP_3)
	v_fma_f32 v8, 0xcf800000, v5, |v4|
	v_ashrrev_i32_e32 v4, 31, v4
	v_cvt_u32_f32_e32 v9, v5
	v_cvt_u32_f32_e32 v8, v8
	s_delay_alu instid0(VALU_DEP_2) | instskip(NEXT) | instid1(VALU_DEP_2)
	v_dual_mov_b32 v5, v4 :: v_dual_bitop2_b32 v9, v9, v4 bitop3:0x14
	v_xor_b32_e32 v8, v8, v4
	s_delay_alu instid0(VALU_DEP_1)
	v_sub_nc_u64_e32 v[4:5], v[8:9], v[4:5]
.LBB62_964:
	s_mov_b32 s31, 0
.LBB62_965:
	s_delay_alu instid0(SALU_CYCLE_1)
	s_and_not1_b32 vcc_lo, exec_lo, s31
	s_cbranch_vccnz .LBB62_967
; %bb.966:
	s_wait_loadcnt 0x0
	global_load_u8 v4, v[6:7], off
	s_wait_loadcnt 0x0
	v_lshlrev_b32_e32 v5, 25, v4
	v_lshlrev_b16 v4, 8, v4
	s_delay_alu instid0(VALU_DEP_1) | instskip(SKIP_1) | instid1(VALU_DEP_2)
	v_and_or_b32 v9, 0x7f00, v4, 0.5
	v_bfe_i32 v4, v4, 0, 16
	v_add_f32_e32 v9, -0.5, v9
	v_lshrrev_b32_e32 v8, 4, v5
	v_cmp_gt_u32_e32 vcc_lo, 0x8000000, v5
	s_delay_alu instid0(VALU_DEP_2) | instskip(NEXT) | instid1(VALU_DEP_1)
	v_or_b32_e32 v8, 0x70000000, v8
	v_mul_f32_e32 v8, 0x7800000, v8
	s_delay_alu instid0(VALU_DEP_1) | instskip(NEXT) | instid1(VALU_DEP_1)
	v_cndmask_b32_e32 v5, v8, v9, vcc_lo
	v_and_or_b32 v4, 0x80000000, v4, v5
	s_delay_alu instid0(VALU_DEP_1) | instskip(NEXT) | instid1(VALU_DEP_1)
	v_trunc_f32_e32 v4, v4
	v_mul_f32_e64 v5, 0x2f800000, |v4|
	s_delay_alu instid0(VALU_DEP_1) | instskip(NEXT) | instid1(VALU_DEP_1)
	v_floor_f32_e32 v5, v5
	v_fma_f32 v8, 0xcf800000, v5, |v4|
	v_ashrrev_i32_e32 v4, 31, v4
	v_cvt_u32_f32_e32 v9, v5
	s_delay_alu instid0(VALU_DEP_3) | instskip(NEXT) | instid1(VALU_DEP_2)
	v_cvt_u32_f32_e32 v8, v8
	v_dual_mov_b32 v5, v4 :: v_dual_bitop2_b32 v9, v9, v4 bitop3:0x14
	s_delay_alu instid0(VALU_DEP_2) | instskip(NEXT) | instid1(VALU_DEP_1)
	v_xor_b32_e32 v8, v8, v4
	v_sub_nc_u64_e32 v[4:5], v[8:9], v[4:5]
.LBB62_967:
	s_mov_b32 s34, 0
	s_mov_b32 s31, -1
.LBB62_968:
	s_and_not1_b32 vcc_lo, exec_lo, s34
	s_cbranch_vccnz .LBB62_981
; %bb.969:
	s_cmp_gt_i32 s1, 14
	s_cbranch_scc0 .LBB62_972
; %bb.970:
	s_cmp_eq_u32 s1, 15
	s_cbranch_scc0 .LBB62_975
; %bb.971:
	s_wait_loadcnt 0x0
	global_load_u16 v4, v[6:7], off
	s_mov_b32 s31, -1
	s_mov_b32 s74, 0
	s_wait_loadcnt 0x0
	v_lshlrev_b32_e32 v4, 16, v4
	s_delay_alu instid0(VALU_DEP_1) | instskip(NEXT) | instid1(VALU_DEP_1)
	v_trunc_f32_e32 v4, v4
	v_mul_f32_e64 v5, 0x2f800000, |v4|
	s_delay_alu instid0(VALU_DEP_1) | instskip(NEXT) | instid1(VALU_DEP_1)
	v_floor_f32_e32 v5, v5
	v_fma_f32 v8, 0xcf800000, v5, |v4|
	v_ashrrev_i32_e32 v4, 31, v4
	v_cvt_u32_f32_e32 v9, v5
	s_delay_alu instid0(VALU_DEP_3) | instskip(NEXT) | instid1(VALU_DEP_2)
	v_cvt_u32_f32_e32 v8, v8
	v_dual_mov_b32 v5, v4 :: v_dual_bitop2_b32 v9, v9, v4 bitop3:0x14
	s_delay_alu instid0(VALU_DEP_2) | instskip(NEXT) | instid1(VALU_DEP_1)
	v_xor_b32_e32 v8, v8, v4
	v_sub_nc_u64_e32 v[4:5], v[8:9], v[4:5]
	s_branch .LBB62_976
.LBB62_972:
	s_mov_b32 s34, -1
                                        ; implicit-def: $vgpr4_vgpr5
	s_branch .LBB62_977
.LBB62_973:
	s_and_not1_saveexec_b32 s31, s31
	s_cbranch_execz .LBB62_954
.LBB62_974:
	v_cmp_ne_u16_e32 vcc_lo, 0, v8
	s_and_not1_b32 s34, s34, exec_lo
	s_and_b32 s35, vcc_lo, exec_lo
	s_delay_alu instid0(SALU_CYCLE_1)
	s_or_b32 s34, s34, s35
	s_or_b32 exec_lo, exec_lo, s31
	v_mov_b64_e32 v[4:5], 0
	s_and_saveexec_b32 s31, s34
	s_cbranch_execnz .LBB62_955
	s_branch .LBB62_956
.LBB62_975:
	s_mov_b32 s74, -1
                                        ; implicit-def: $vgpr4_vgpr5
.LBB62_976:
	s_mov_b32 s34, 0
.LBB62_977:
	s_delay_alu instid0(SALU_CYCLE_1)
	s_and_b32 vcc_lo, exec_lo, s34
	s_cbranch_vccz .LBB62_981
; %bb.978:
	s_cmp_eq_u32 s1, 11
	s_cbranch_scc0 .LBB62_980
; %bb.979:
	s_wait_loadcnt 0x0
	global_load_u8 v4, v[6:7], off
	s_mov_b32 s74, 0
	s_mov_b32 s31, -1
	v_mov_b32_e32 v5, s74
	s_wait_loadcnt 0x0
	v_cmp_ne_u16_e32 vcc_lo, 0, v4
	v_cndmask_b32_e64 v4, 0, 1, vcc_lo
	s_branch .LBB62_981
.LBB62_980:
	s_mov_b32 s74, -1
                                        ; implicit-def: $vgpr4_vgpr5
.LBB62_981:
	s_mov_b32 s1, 0
.LBB62_982:
	s_delay_alu instid0(SALU_CYCLE_1)
	s_and_b32 vcc_lo, exec_lo, s1
	s_cbranch_vccz .LBB62_1031
; %bb.983:
	s_and_b32 s0, 0xffff, s0
	s_delay_alu instid0(SALU_CYCLE_1)
	s_cmp_lt_i32 s0, 5
	s_cbranch_scc1 .LBB62_988
; %bb.984:
	s_cmp_lt_i32 s0, 8
	s_cbranch_scc1 .LBB62_989
; %bb.985:
	;; [unrolled: 3-line block ×3, first 2 shown]
	s_cmp_gt_i32 s0, 9
	s_cbranch_scc0 .LBB62_991
; %bb.987:
	s_wait_loadcnt 0x0
	global_load_b64 v[4:5], v[6:7], off
	s_mov_b32 s1, 0
	s_wait_loadcnt 0x0
	v_trunc_f64_e32 v[4:5], v[4:5]
	s_delay_alu instid0(VALU_DEP_1) | instskip(NEXT) | instid1(VALU_DEP_1)
	v_ldexp_f64 v[8:9], v[4:5], 0xffffffe0
	v_floor_f64_e32 v[8:9], v[8:9]
	s_delay_alu instid0(VALU_DEP_1) | instskip(SKIP_1) | instid1(VALU_DEP_2)
	v_fmamk_f64 v[10:11], v[8:9], 0xc1f00000, v[4:5]
	v_cvt_i32_f64_e32 v5, v[8:9]
	v_cvt_u32_f64_e32 v4, v[10:11]
	s_branch .LBB62_992
.LBB62_988:
	s_mov_b32 s1, -1
                                        ; implicit-def: $vgpr4_vgpr5
	s_branch .LBB62_1010
.LBB62_989:
	s_mov_b32 s1, -1
                                        ; implicit-def: $vgpr4_vgpr5
	s_branch .LBB62_998
.LBB62_990:
	s_mov_b32 s1, -1
                                        ; implicit-def: $vgpr4_vgpr5
	s_branch .LBB62_995
.LBB62_991:
	s_mov_b32 s1, -1
                                        ; implicit-def: $vgpr4_vgpr5
.LBB62_992:
	s_delay_alu instid0(SALU_CYCLE_1)
	s_and_not1_b32 vcc_lo, exec_lo, s1
	s_cbranch_vccnz .LBB62_994
; %bb.993:
	s_wait_loadcnt 0x0
	global_load_b32 v4, v[6:7], off
	s_wait_loadcnt 0x0
	v_trunc_f32_e32 v4, v4
	s_delay_alu instid0(VALU_DEP_1) | instskip(NEXT) | instid1(VALU_DEP_1)
	v_mul_f32_e64 v5, 0x2f800000, |v4|
	v_floor_f32_e32 v5, v5
	s_delay_alu instid0(VALU_DEP_1) | instskip(SKIP_2) | instid1(VALU_DEP_3)
	v_fma_f32 v8, 0xcf800000, v5, |v4|
	v_ashrrev_i32_e32 v4, 31, v4
	v_cvt_u32_f32_e32 v9, v5
	v_cvt_u32_f32_e32 v8, v8
	s_delay_alu instid0(VALU_DEP_2) | instskip(NEXT) | instid1(VALU_DEP_2)
	v_dual_mov_b32 v5, v4 :: v_dual_bitop2_b32 v9, v9, v4 bitop3:0x14
	v_xor_b32_e32 v8, v8, v4
	s_delay_alu instid0(VALU_DEP_1)
	v_sub_nc_u64_e32 v[4:5], v[8:9], v[4:5]
.LBB62_994:
	s_mov_b32 s1, 0
.LBB62_995:
	s_delay_alu instid0(SALU_CYCLE_1)
	s_and_not1_b32 vcc_lo, exec_lo, s1
	s_cbranch_vccnz .LBB62_997
; %bb.996:
	s_wait_loadcnt 0x0
	global_load_b32 v4, v[6:7], off
	s_wait_loadcnt 0x0
	v_cvt_f32_f16_e32 v4, v4
	s_delay_alu instid0(VALU_DEP_1) | instskip(NEXT) | instid1(VALU_DEP_1)
	v_cvt_i32_f32_e32 v4, v4
	v_ashrrev_i32_e32 v5, 31, v4
.LBB62_997:
	s_mov_b32 s1, 0
.LBB62_998:
	s_delay_alu instid0(SALU_CYCLE_1)
	s_and_not1_b32 vcc_lo, exec_lo, s1
	s_cbranch_vccnz .LBB62_1009
; %bb.999:
	s_cmp_lt_i32 s0, 6
	s_cbranch_scc1 .LBB62_1002
; %bb.1000:
	s_cmp_gt_i32 s0, 6
	s_cbranch_scc0 .LBB62_1003
; %bb.1001:
	s_wait_loadcnt 0x0
	global_load_b64 v[4:5], v[6:7], off
	s_mov_b32 s1, 0
	s_wait_loadcnt 0x0
	v_trunc_f64_e32 v[4:5], v[4:5]
	s_delay_alu instid0(VALU_DEP_1) | instskip(NEXT) | instid1(VALU_DEP_1)
	v_ldexp_f64 v[8:9], v[4:5], 0xffffffe0
	v_floor_f64_e32 v[8:9], v[8:9]
	s_delay_alu instid0(VALU_DEP_1) | instskip(SKIP_1) | instid1(VALU_DEP_2)
	v_fmamk_f64 v[10:11], v[8:9], 0xc1f00000, v[4:5]
	v_cvt_i32_f64_e32 v5, v[8:9]
	v_cvt_u32_f64_e32 v4, v[10:11]
	s_branch .LBB62_1004
.LBB62_1002:
	s_mov_b32 s1, -1
                                        ; implicit-def: $vgpr4_vgpr5
	s_branch .LBB62_1007
.LBB62_1003:
	s_mov_b32 s1, -1
                                        ; implicit-def: $vgpr4_vgpr5
.LBB62_1004:
	s_delay_alu instid0(SALU_CYCLE_1)
	s_and_not1_b32 vcc_lo, exec_lo, s1
	s_cbranch_vccnz .LBB62_1006
; %bb.1005:
	s_wait_loadcnt 0x0
	global_load_b32 v4, v[6:7], off
	s_wait_loadcnt 0x0
	v_trunc_f32_e32 v4, v4
	s_delay_alu instid0(VALU_DEP_1) | instskip(NEXT) | instid1(VALU_DEP_1)
	v_mul_f32_e64 v5, 0x2f800000, |v4|
	v_floor_f32_e32 v5, v5
	s_delay_alu instid0(VALU_DEP_1) | instskip(SKIP_2) | instid1(VALU_DEP_3)
	v_fma_f32 v8, 0xcf800000, v5, |v4|
	v_ashrrev_i32_e32 v4, 31, v4
	v_cvt_u32_f32_e32 v9, v5
	v_cvt_u32_f32_e32 v8, v8
	s_delay_alu instid0(VALU_DEP_2) | instskip(NEXT) | instid1(VALU_DEP_2)
	v_dual_mov_b32 v5, v4 :: v_dual_bitop2_b32 v9, v9, v4 bitop3:0x14
	v_xor_b32_e32 v8, v8, v4
	s_delay_alu instid0(VALU_DEP_1)
	v_sub_nc_u64_e32 v[4:5], v[8:9], v[4:5]
.LBB62_1006:
	s_mov_b32 s1, 0
.LBB62_1007:
	s_delay_alu instid0(SALU_CYCLE_1)
	s_and_not1_b32 vcc_lo, exec_lo, s1
	s_cbranch_vccnz .LBB62_1009
; %bb.1008:
	s_wait_loadcnt 0x0
	global_load_u16 v4, v[6:7], off
	s_wait_loadcnt 0x0
	v_cvt_f32_f16_e32 v4, v4
	s_delay_alu instid0(VALU_DEP_1) | instskip(NEXT) | instid1(VALU_DEP_1)
	v_cvt_i32_f32_e32 v4, v4
	v_ashrrev_i32_e32 v5, 31, v4
.LBB62_1009:
	s_mov_b32 s1, 0
.LBB62_1010:
	s_delay_alu instid0(SALU_CYCLE_1)
	s_and_not1_b32 vcc_lo, exec_lo, s1
	s_cbranch_vccnz .LBB62_1030
; %bb.1011:
	s_cmp_lt_i32 s0, 2
	s_cbranch_scc1 .LBB62_1015
; %bb.1012:
	s_cmp_lt_i32 s0, 3
	s_cbranch_scc1 .LBB62_1016
; %bb.1013:
	s_cmp_gt_i32 s0, 3
	s_cbranch_scc0 .LBB62_1017
; %bb.1014:
	s_wait_loadcnt 0x0
	global_load_b64 v[4:5], v[6:7], off
	s_mov_b32 s1, 0
	s_branch .LBB62_1018
.LBB62_1015:
	s_mov_b32 s1, -1
                                        ; implicit-def: $vgpr4_vgpr5
	s_branch .LBB62_1024
.LBB62_1016:
	s_mov_b32 s1, -1
                                        ; implicit-def: $vgpr4_vgpr5
	s_branch .LBB62_1021
.LBB62_1017:
	s_mov_b32 s1, -1
                                        ; implicit-def: $vgpr4_vgpr5
.LBB62_1018:
	s_delay_alu instid0(SALU_CYCLE_1)
	s_and_not1_b32 vcc_lo, exec_lo, s1
	s_cbranch_vccnz .LBB62_1020
; %bb.1019:
	s_wait_loadcnt 0x0
	global_load_b32 v4, v[6:7], off
	s_wait_loadcnt 0x0
	v_ashrrev_i32_e32 v5, 31, v4
.LBB62_1020:
	s_mov_b32 s1, 0
.LBB62_1021:
	s_delay_alu instid0(SALU_CYCLE_1)
	s_and_not1_b32 vcc_lo, exec_lo, s1
	s_cbranch_vccnz .LBB62_1023
; %bb.1022:
	s_wait_loadcnt 0x0
	global_load_u16 v4, v[6:7], off
	s_wait_loadcnt 0x0
	v_bfe_i32 v4, v4, 0, 16
	s_delay_alu instid0(VALU_DEP_1)
	v_ashrrev_i32_e32 v5, 31, v4
.LBB62_1023:
	s_mov_b32 s1, 0
.LBB62_1024:
	s_delay_alu instid0(SALU_CYCLE_1)
	s_and_not1_b32 vcc_lo, exec_lo, s1
	s_cbranch_vccnz .LBB62_1030
; %bb.1025:
	s_cmp_gt_i32 s0, 0
	s_mov_b32 s0, 0
	s_cbranch_scc0 .LBB62_1027
; %bb.1026:
	s_wait_loadcnt 0x0
	global_load_i8 v4, v[6:7], off
	s_wait_loadcnt 0x0
	v_bfe_i32 v4, v4, 0, 16
	s_delay_alu instid0(VALU_DEP_1)
	v_ashrrev_i32_e32 v5, 31, v4
	s_branch .LBB62_1028
.LBB62_1027:
	s_mov_b32 s0, -1
                                        ; implicit-def: $vgpr4_vgpr5
.LBB62_1028:
	s_delay_alu instid0(SALU_CYCLE_1)
	s_and_not1_b32 vcc_lo, exec_lo, s0
	s_cbranch_vccnz .LBB62_1030
; %bb.1029:
	s_wait_loadcnt 0x0
	global_load_u8 v4, v[6:7], off
	s_mov_b32 s0, 0
	s_delay_alu instid0(SALU_CYCLE_1)
	v_mov_b32_e32 v5, s0
	s_wait_loadcnt 0x0
	v_and_b32_e32 v4, 0xffff, v4
.LBB62_1030:
	s_mov_b32 s31, -1
.LBB62_1031:
	s_delay_alu instid0(SALU_CYCLE_1)
	s_and_not1_b32 vcc_lo, exec_lo, s31
	s_cbranch_vccnz .LBB62_1039
; %bb.1032:
	s_wait_xcnt 0x0
	v_mul_lo_u32 v6, v22, s2
	s_and_b32 s0, s27, 0xff
	s_delay_alu instid0(SALU_CYCLE_1) | instskip(NEXT) | instid1(VALU_DEP_1)
	s_cmp_lt_i32 s0, 11
	v_ashrrev_i32_e32 v7, 31, v6
	s_delay_alu instid0(VALU_DEP_1)
	v_add_nc_u64_e32 v[8:9], s[12:13], v[6:7]
	s_cbranch_scc1 .LBB62_1040
; %bb.1033:
	s_and_b32 s1, 0xffff, s0
	s_delay_alu instid0(SALU_CYCLE_1)
	s_cmp_gt_i32 s1, 25
	s_cbranch_scc0 .LBB62_1041
; %bb.1034:
	s_cmp_gt_i32 s1, 28
	s_cbranch_scc0 .LBB62_1042
; %bb.1035:
	;; [unrolled: 3-line block ×4, first 2 shown]
	s_cmp_eq_u32 s1, 46
	s_mov_b32 s34, 0
	s_cbranch_scc0 .LBB62_1046
; %bb.1038:
	global_load_b32 v6, v[8:9], off
	s_mov_b32 s31, -1
	s_mov_b32 s77, 0
	s_wait_loadcnt 0x0
	v_lshlrev_b32_e32 v6, 16, v6
	s_delay_alu instid0(VALU_DEP_1) | instskip(NEXT) | instid1(VALU_DEP_1)
	v_trunc_f32_e32 v6, v6
	v_mul_f32_e64 v7, 0x2f800000, |v6|
	s_delay_alu instid0(VALU_DEP_1) | instskip(NEXT) | instid1(VALU_DEP_1)
	v_floor_f32_e32 v7, v7
	v_fma_f32 v10, 0xcf800000, v7, |v6|
	v_ashrrev_i32_e32 v6, 31, v6
	v_cvt_u32_f32_e32 v11, v7
	s_delay_alu instid0(VALU_DEP_3) | instskip(NEXT) | instid1(VALU_DEP_2)
	v_cvt_u32_f32_e32 v10, v10
	v_dual_mov_b32 v7, v6 :: v_dual_bitop2_b32 v11, v11, v6 bitop3:0x14
	s_delay_alu instid0(VALU_DEP_2) | instskip(NEXT) | instid1(VALU_DEP_1)
	v_xor_b32_e32 v10, v10, v6
	v_sub_nc_u64_e32 v[6:7], v[10:11], v[6:7]
	s_branch .LBB62_1048
.LBB62_1039:
	s_mov_b32 s0, 0
	s_mov_b32 s1, s61
	;; [unrolled: 1-line block ×8, first 2 shown]
	s_branch .LBB62_1297
.LBB62_1040:
	s_mov_b32 s1, -1
	s_mov_b32 s31, 0
	s_mov_b32 s77, s68
                                        ; implicit-def: $vgpr6_vgpr7
	s_branch .LBB62_1109
.LBB62_1041:
	s_mov_b32 s34, -1
	s_mov_b32 s31, 0
	s_mov_b32 s77, s68
                                        ; implicit-def: $vgpr6_vgpr7
	s_branch .LBB62_1075
.LBB62_1042:
	s_mov_b32 s34, -1
	s_mov_b32 s31, 0
	s_mov_b32 s77, s68
                                        ; implicit-def: $vgpr6_vgpr7
	s_branch .LBB62_1058
.LBB62_1043:
	s_mov_b32 s34, -1
	s_mov_b32 s31, 0
	s_mov_b32 s77, s68
                                        ; implicit-def: $vgpr6_vgpr7
	s_branch .LBB62_1053
.LBB62_1044:
	s_mov_b32 s34, -1
	s_mov_b32 s31, 0
	s_mov_b32 s77, s68
	s_branch .LBB62_1047
.LBB62_1045:
	s_mov_b32 s45, -1
	s_mov_b32 s31, 0
	s_mov_b32 s44, 0
	s_branch .LBB62_1843
.LBB62_1046:
	s_mov_b32 s77, -1
	s_mov_b32 s31, 0
.LBB62_1047:
                                        ; implicit-def: $vgpr6_vgpr7
.LBB62_1048:
	s_and_b32 vcc_lo, exec_lo, s34
	s_cbranch_vccz .LBB62_1052
; %bb.1049:
	s_cmp_eq_u32 s1, 44
	s_cbranch_scc0 .LBB62_1051
; %bb.1050:
	global_load_u8 v12, v[8:9], off
	s_mov_b32 s77, 0
	s_mov_b32 s31, -1
	s_wait_loadcnt 0x0
	v_cmp_ne_u32_e32 vcc_lo, 0, v12
	v_lshlrev_b32_e32 v6, 23, v12
	s_delay_alu instid0(VALU_DEP_1) | instskip(NEXT) | instid1(VALU_DEP_1)
	v_trunc_f32_e32 v6, v6
	v_mul_f32_e64 v7, 0x2f800000, |v6|
	s_delay_alu instid0(VALU_DEP_1) | instskip(NEXT) | instid1(VALU_DEP_1)
	v_floor_f32_e32 v7, v7
	v_fma_f32 v10, 0xcf800000, v7, |v6|
	v_ashrrev_i32_e32 v6, 31, v6
	v_cvt_u32_f32_e32 v11, v7
	s_delay_alu instid0(VALU_DEP_3) | instskip(NEXT) | instid1(VALU_DEP_2)
	v_cvt_u32_f32_e32 v10, v10
	v_dual_mov_b32 v7, v6 :: v_dual_bitop2_b32 v11, v11, v6 bitop3:0x14
	s_delay_alu instid0(VALU_DEP_2) | instskip(NEXT) | instid1(VALU_DEP_1)
	v_xor_b32_e32 v10, v10, v6
	v_sub_nc_u64_e32 v[6:7], v[10:11], v[6:7]
	s_delay_alu instid0(VALU_DEP_1)
	v_dual_cndmask_b32 v7, 0, v7 :: v_dual_cndmask_b32 v6, 0, v6
	s_branch .LBB62_1052
.LBB62_1051:
	s_mov_b32 s77, -1
                                        ; implicit-def: $vgpr6_vgpr7
.LBB62_1052:
	s_mov_b32 s34, 0
.LBB62_1053:
	s_delay_alu instid0(SALU_CYCLE_1)
	s_and_b32 vcc_lo, exec_lo, s34
	s_cbranch_vccz .LBB62_1057
; %bb.1054:
	s_cmp_eq_u32 s1, 29
	s_cbranch_scc0 .LBB62_1056
; %bb.1055:
	global_load_b64 v[6:7], v[8:9], off
	s_mov_b32 s31, -1
	s_mov_b32 s77, 0
	s_branch .LBB62_1057
.LBB62_1056:
	s_mov_b32 s77, -1
                                        ; implicit-def: $vgpr6_vgpr7
.LBB62_1057:
	s_mov_b32 s34, 0
.LBB62_1058:
	s_delay_alu instid0(SALU_CYCLE_1)
	s_and_b32 vcc_lo, exec_lo, s34
	s_cbranch_vccz .LBB62_1074
; %bb.1059:
	s_cmp_lt_i32 s1, 27
	s_cbranch_scc1 .LBB62_1062
; %bb.1060:
	s_cmp_gt_i32 s1, 27
	s_cbranch_scc0 .LBB62_1063
; %bb.1061:
	s_wait_loadcnt 0x0
	global_load_b32 v6, v[8:9], off
	v_mov_b32_e32 v7, 0
	s_mov_b32 s31, 0
	s_branch .LBB62_1064
.LBB62_1062:
	s_mov_b32 s31, -1
                                        ; implicit-def: $vgpr6_vgpr7
	s_branch .LBB62_1067
.LBB62_1063:
	s_mov_b32 s31, -1
                                        ; implicit-def: $vgpr6_vgpr7
.LBB62_1064:
	s_delay_alu instid0(SALU_CYCLE_1)
	s_and_not1_b32 vcc_lo, exec_lo, s31
	s_cbranch_vccnz .LBB62_1066
; %bb.1065:
	s_wait_loadcnt 0x0
	global_load_u16 v6, v[8:9], off
	s_mov_b32 s31, 0
	s_delay_alu instid0(SALU_CYCLE_1)
	v_mov_b32_e32 v7, s31
	s_wait_loadcnt 0x0
	v_and_b32_e32 v6, 0xffff, v6
.LBB62_1066:
	s_mov_b32 s31, 0
.LBB62_1067:
	s_delay_alu instid0(SALU_CYCLE_1)
	s_and_not1_b32 vcc_lo, exec_lo, s31
	s_cbranch_vccnz .LBB62_1073
; %bb.1068:
	global_load_u8 v10, v[8:9], off
	s_mov_b32 s34, 0
	s_mov_b32 s31, exec_lo
	s_wait_loadcnt 0x0
	v_cmpx_lt_i16_e32 0x7f, v10
	s_xor_b32 s31, exec_lo, s31
	s_cbranch_execz .LBB62_1085
; %bb.1069:
	v_cmp_ne_u16_e32 vcc_lo, 0x80, v10
	s_and_b32 s34, vcc_lo, exec_lo
	s_and_not1_saveexec_b32 s31, s31
	s_cbranch_execnz .LBB62_1086
.LBB62_1070:
	s_or_b32 exec_lo, exec_lo, s31
	v_mov_b64_e32 v[6:7], 0
	s_and_saveexec_b32 s31, s34
	s_cbranch_execz .LBB62_1072
.LBB62_1071:
	v_and_b32_e32 v6, 0xffff, v10
	s_delay_alu instid0(VALU_DEP_1) | instskip(SKIP_1) | instid1(VALU_DEP_2)
	v_and_b32_e32 v7, 7, v6
	v_bfe_u32 v13, v6, 3, 4
	v_clz_i32_u32_e32 v11, v7
	s_delay_alu instid0(VALU_DEP_2) | instskip(NEXT) | instid1(VALU_DEP_2)
	v_cmp_eq_u32_e32 vcc_lo, 0, v13
	v_min_u32_e32 v11, 32, v11
	s_delay_alu instid0(VALU_DEP_1) | instskip(NEXT) | instid1(VALU_DEP_1)
	v_subrev_nc_u32_e32 v12, 28, v11
	v_dual_lshlrev_b32 v6, v12, v6 :: v_dual_sub_nc_u32 v11, 29, v11
	s_delay_alu instid0(VALU_DEP_1) | instskip(NEXT) | instid1(VALU_DEP_2)
	v_and_b32_e32 v6, 7, v6
	v_dual_cndmask_b32 v11, v13, v11 :: v_dual_lshlrev_b32 v10, 24, v10
	s_delay_alu instid0(VALU_DEP_2) | instskip(NEXT) | instid1(VALU_DEP_2)
	v_cndmask_b32_e32 v6, v7, v6, vcc_lo
	v_and_b32_e32 v7, 0x80000000, v10
	s_delay_alu instid0(VALU_DEP_3) | instskip(NEXT) | instid1(VALU_DEP_3)
	v_lshl_add_u32 v10, v11, 23, 0x3b800000
	v_lshlrev_b32_e32 v6, 20, v6
	s_delay_alu instid0(VALU_DEP_1) | instskip(NEXT) | instid1(VALU_DEP_1)
	v_or3_b32 v6, v7, v10, v6
	v_trunc_f32_e32 v6, v6
	s_delay_alu instid0(VALU_DEP_1) | instskip(NEXT) | instid1(VALU_DEP_1)
	v_mul_f32_e64 v7, 0x2f800000, |v6|
	v_floor_f32_e32 v7, v7
	s_delay_alu instid0(VALU_DEP_1) | instskip(SKIP_2) | instid1(VALU_DEP_3)
	v_fma_f32 v10, 0xcf800000, v7, |v6|
	v_ashrrev_i32_e32 v6, 31, v6
	v_cvt_u32_f32_e32 v11, v7
	v_cvt_u32_f32_e32 v10, v10
	s_delay_alu instid0(VALU_DEP_2) | instskip(NEXT) | instid1(VALU_DEP_2)
	v_dual_mov_b32 v7, v6 :: v_dual_bitop2_b32 v11, v11, v6 bitop3:0x14
	v_xor_b32_e32 v10, v10, v6
	s_delay_alu instid0(VALU_DEP_1)
	v_sub_nc_u64_e32 v[6:7], v[10:11], v[6:7]
.LBB62_1072:
	s_or_b32 exec_lo, exec_lo, s31
.LBB62_1073:
	s_mov_b32 s31, -1
.LBB62_1074:
	s_mov_b32 s34, 0
.LBB62_1075:
	s_delay_alu instid0(SALU_CYCLE_1)
	s_and_b32 vcc_lo, exec_lo, s34
	s_cbranch_vccz .LBB62_1108
; %bb.1076:
	s_cmp_gt_i32 s1, 22
	s_cbranch_scc0 .LBB62_1084
; %bb.1077:
	s_cmp_lt_i32 s1, 24
	s_cbranch_scc1 .LBB62_1087
; %bb.1078:
	s_cmp_gt_i32 s1, 24
	s_cbranch_scc0 .LBB62_1088
; %bb.1079:
	global_load_u8 v10, v[8:9], off
	s_mov_b32 s34, 0
	s_mov_b32 s31, exec_lo
	s_wait_loadcnt 0x0
	v_cmpx_lt_i16_e32 0x7f, v10
	s_xor_b32 s31, exec_lo, s31
	s_cbranch_execz .LBB62_1100
; %bb.1080:
	v_cmp_ne_u16_e32 vcc_lo, 0x80, v10
	s_and_b32 s34, vcc_lo, exec_lo
	s_and_not1_saveexec_b32 s31, s31
	s_cbranch_execnz .LBB62_1101
.LBB62_1081:
	s_or_b32 exec_lo, exec_lo, s31
	v_mov_b64_e32 v[6:7], 0
	s_and_saveexec_b32 s31, s34
	s_cbranch_execz .LBB62_1083
.LBB62_1082:
	v_and_b32_e32 v6, 0xffff, v10
	s_delay_alu instid0(VALU_DEP_1) | instskip(SKIP_1) | instid1(VALU_DEP_2)
	v_and_b32_e32 v7, 3, v6
	v_bfe_u32 v13, v6, 2, 5
	v_clz_i32_u32_e32 v11, v7
	s_delay_alu instid0(VALU_DEP_2) | instskip(NEXT) | instid1(VALU_DEP_2)
	v_cmp_eq_u32_e32 vcc_lo, 0, v13
	v_min_u32_e32 v11, 32, v11
	s_delay_alu instid0(VALU_DEP_1) | instskip(NEXT) | instid1(VALU_DEP_1)
	v_subrev_nc_u32_e32 v12, 29, v11
	v_dual_lshlrev_b32 v6, v12, v6 :: v_dual_sub_nc_u32 v11, 30, v11
	s_delay_alu instid0(VALU_DEP_1) | instskip(NEXT) | instid1(VALU_DEP_2)
	v_and_b32_e32 v6, 3, v6
	v_dual_cndmask_b32 v11, v13, v11 :: v_dual_lshlrev_b32 v10, 24, v10
	s_delay_alu instid0(VALU_DEP_2) | instskip(NEXT) | instid1(VALU_DEP_2)
	v_cndmask_b32_e32 v6, v7, v6, vcc_lo
	v_and_b32_e32 v7, 0x80000000, v10
	s_delay_alu instid0(VALU_DEP_3) | instskip(NEXT) | instid1(VALU_DEP_3)
	v_lshl_add_u32 v10, v11, 23, 0x37800000
	v_lshlrev_b32_e32 v6, 21, v6
	s_delay_alu instid0(VALU_DEP_1) | instskip(NEXT) | instid1(VALU_DEP_1)
	v_or3_b32 v6, v7, v10, v6
	v_trunc_f32_e32 v6, v6
	s_delay_alu instid0(VALU_DEP_1) | instskip(NEXT) | instid1(VALU_DEP_1)
	v_mul_f32_e64 v7, 0x2f800000, |v6|
	v_floor_f32_e32 v7, v7
	s_delay_alu instid0(VALU_DEP_1) | instskip(SKIP_2) | instid1(VALU_DEP_3)
	v_fma_f32 v10, 0xcf800000, v7, |v6|
	v_ashrrev_i32_e32 v6, 31, v6
	v_cvt_u32_f32_e32 v11, v7
	v_cvt_u32_f32_e32 v10, v10
	s_delay_alu instid0(VALU_DEP_2) | instskip(NEXT) | instid1(VALU_DEP_2)
	v_dual_mov_b32 v7, v6 :: v_dual_bitop2_b32 v11, v11, v6 bitop3:0x14
	v_xor_b32_e32 v10, v10, v6
	s_delay_alu instid0(VALU_DEP_1)
	v_sub_nc_u64_e32 v[6:7], v[10:11], v[6:7]
.LBB62_1083:
	s_or_b32 exec_lo, exec_lo, s31
	s_mov_b32 s31, 0
	s_branch .LBB62_1089
.LBB62_1084:
	s_mov_b32 s34, -1
                                        ; implicit-def: $vgpr6_vgpr7
	s_branch .LBB62_1095
.LBB62_1085:
	s_and_not1_saveexec_b32 s31, s31
	s_cbranch_execz .LBB62_1070
.LBB62_1086:
	v_cmp_ne_u16_e32 vcc_lo, 0, v10
	s_and_not1_b32 s34, s34, exec_lo
	s_and_b32 s35, vcc_lo, exec_lo
	s_delay_alu instid0(SALU_CYCLE_1)
	s_or_b32 s34, s34, s35
	s_or_b32 exec_lo, exec_lo, s31
	v_mov_b64_e32 v[6:7], 0
	s_and_saveexec_b32 s31, s34
	s_cbranch_execnz .LBB62_1071
	s_branch .LBB62_1072
.LBB62_1087:
	s_mov_b32 s31, -1
                                        ; implicit-def: $vgpr6_vgpr7
	s_branch .LBB62_1092
.LBB62_1088:
	s_mov_b32 s31, -1
                                        ; implicit-def: $vgpr6_vgpr7
.LBB62_1089:
	s_delay_alu instid0(SALU_CYCLE_1)
	s_and_b32 vcc_lo, exec_lo, s31
	s_cbranch_vccz .LBB62_1091
; %bb.1090:
	s_wait_loadcnt 0x0
	global_load_u8 v6, v[8:9], off
	s_wait_loadcnt 0x0
	v_lshlrev_b32_e32 v6, 24, v6
	s_delay_alu instid0(VALU_DEP_1) | instskip(NEXT) | instid1(VALU_DEP_1)
	v_and_b32_e32 v7, 0x7f000000, v6
	v_clz_i32_u32_e32 v10, v7
	v_cmp_ne_u32_e32 vcc_lo, 0, v7
	v_add_nc_u32_e32 v12, 0x1000000, v7
	s_delay_alu instid0(VALU_DEP_3) | instskip(NEXT) | instid1(VALU_DEP_1)
	v_min_u32_e32 v10, 32, v10
	v_sub_nc_u32_e64 v10, v10, 4 clamp
	s_delay_alu instid0(VALU_DEP_1) | instskip(NEXT) | instid1(VALU_DEP_1)
	v_dual_lshlrev_b32 v11, v10, v7 :: v_dual_lshlrev_b32 v10, 23, v10
	v_lshrrev_b32_e32 v11, 4, v11
	s_delay_alu instid0(VALU_DEP_1) | instskip(NEXT) | instid1(VALU_DEP_1)
	v_dual_sub_nc_u32 v10, v11, v10 :: v_dual_ashrrev_i32 v11, 8, v12
	v_add_nc_u32_e32 v10, 0x3c000000, v10
	s_delay_alu instid0(VALU_DEP_1) | instskip(NEXT) | instid1(VALU_DEP_1)
	v_and_or_b32 v10, 0x7f800000, v11, v10
	v_cndmask_b32_e32 v7, 0, v10, vcc_lo
	s_delay_alu instid0(VALU_DEP_1) | instskip(NEXT) | instid1(VALU_DEP_1)
	v_and_or_b32 v6, 0x80000000, v6, v7
	v_trunc_f32_e32 v6, v6
	s_delay_alu instid0(VALU_DEP_1) | instskip(NEXT) | instid1(VALU_DEP_1)
	v_mul_f32_e64 v7, 0x2f800000, |v6|
	v_floor_f32_e32 v7, v7
	s_delay_alu instid0(VALU_DEP_1) | instskip(SKIP_2) | instid1(VALU_DEP_3)
	v_fma_f32 v10, 0xcf800000, v7, |v6|
	v_ashrrev_i32_e32 v6, 31, v6
	v_cvt_u32_f32_e32 v11, v7
	v_cvt_u32_f32_e32 v10, v10
	s_delay_alu instid0(VALU_DEP_2) | instskip(NEXT) | instid1(VALU_DEP_2)
	v_dual_mov_b32 v7, v6 :: v_dual_bitop2_b32 v11, v11, v6 bitop3:0x14
	v_xor_b32_e32 v10, v10, v6
	s_delay_alu instid0(VALU_DEP_1)
	v_sub_nc_u64_e32 v[6:7], v[10:11], v[6:7]
.LBB62_1091:
	s_mov_b32 s31, 0
.LBB62_1092:
	s_delay_alu instid0(SALU_CYCLE_1)
	s_and_not1_b32 vcc_lo, exec_lo, s31
	s_cbranch_vccnz .LBB62_1094
; %bb.1093:
	s_wait_loadcnt 0x0
	global_load_u8 v6, v[8:9], off
	s_wait_loadcnt 0x0
	v_lshlrev_b32_e32 v7, 25, v6
	v_lshlrev_b16 v6, 8, v6
	s_delay_alu instid0(VALU_DEP_1) | instskip(SKIP_1) | instid1(VALU_DEP_2)
	v_and_or_b32 v11, 0x7f00, v6, 0.5
	v_bfe_i32 v6, v6, 0, 16
	v_add_f32_e32 v11, -0.5, v11
	v_lshrrev_b32_e32 v10, 4, v7
	v_cmp_gt_u32_e32 vcc_lo, 0x8000000, v7
	s_delay_alu instid0(VALU_DEP_2) | instskip(NEXT) | instid1(VALU_DEP_1)
	v_or_b32_e32 v10, 0x70000000, v10
	v_mul_f32_e32 v10, 0x7800000, v10
	s_delay_alu instid0(VALU_DEP_1) | instskip(NEXT) | instid1(VALU_DEP_1)
	v_cndmask_b32_e32 v7, v10, v11, vcc_lo
	v_and_or_b32 v6, 0x80000000, v6, v7
	s_delay_alu instid0(VALU_DEP_1) | instskip(NEXT) | instid1(VALU_DEP_1)
	v_trunc_f32_e32 v6, v6
	v_mul_f32_e64 v7, 0x2f800000, |v6|
	s_delay_alu instid0(VALU_DEP_1) | instskip(NEXT) | instid1(VALU_DEP_1)
	v_floor_f32_e32 v7, v7
	v_fma_f32 v10, 0xcf800000, v7, |v6|
	v_ashrrev_i32_e32 v6, 31, v6
	v_cvt_u32_f32_e32 v11, v7
	s_delay_alu instid0(VALU_DEP_3) | instskip(NEXT) | instid1(VALU_DEP_2)
	v_cvt_u32_f32_e32 v10, v10
	v_dual_mov_b32 v7, v6 :: v_dual_bitop2_b32 v11, v11, v6 bitop3:0x14
	s_delay_alu instid0(VALU_DEP_2) | instskip(NEXT) | instid1(VALU_DEP_1)
	v_xor_b32_e32 v10, v10, v6
	v_sub_nc_u64_e32 v[6:7], v[10:11], v[6:7]
.LBB62_1094:
	s_mov_b32 s34, 0
	s_mov_b32 s31, -1
.LBB62_1095:
	s_and_not1_b32 vcc_lo, exec_lo, s34
	s_cbranch_vccnz .LBB62_1108
; %bb.1096:
	s_cmp_gt_i32 s1, 14
	s_cbranch_scc0 .LBB62_1099
; %bb.1097:
	s_cmp_eq_u32 s1, 15
	s_cbranch_scc0 .LBB62_1102
; %bb.1098:
	s_wait_loadcnt 0x0
	global_load_u16 v6, v[8:9], off
	s_mov_b32 s31, -1
	s_mov_b32 s77, 0
	s_wait_loadcnt 0x0
	v_lshlrev_b32_e32 v6, 16, v6
	s_delay_alu instid0(VALU_DEP_1) | instskip(NEXT) | instid1(VALU_DEP_1)
	v_trunc_f32_e32 v6, v6
	v_mul_f32_e64 v7, 0x2f800000, |v6|
	s_delay_alu instid0(VALU_DEP_1) | instskip(NEXT) | instid1(VALU_DEP_1)
	v_floor_f32_e32 v7, v7
	v_fma_f32 v10, 0xcf800000, v7, |v6|
	v_ashrrev_i32_e32 v6, 31, v6
	v_cvt_u32_f32_e32 v11, v7
	s_delay_alu instid0(VALU_DEP_3) | instskip(NEXT) | instid1(VALU_DEP_2)
	v_cvt_u32_f32_e32 v10, v10
	v_dual_mov_b32 v7, v6 :: v_dual_bitop2_b32 v11, v11, v6 bitop3:0x14
	s_delay_alu instid0(VALU_DEP_2) | instskip(NEXT) | instid1(VALU_DEP_1)
	v_xor_b32_e32 v10, v10, v6
	v_sub_nc_u64_e32 v[6:7], v[10:11], v[6:7]
	s_branch .LBB62_1103
.LBB62_1099:
	s_mov_b32 s34, -1
                                        ; implicit-def: $vgpr6_vgpr7
	s_branch .LBB62_1104
.LBB62_1100:
	s_and_not1_saveexec_b32 s31, s31
	s_cbranch_execz .LBB62_1081
.LBB62_1101:
	v_cmp_ne_u16_e32 vcc_lo, 0, v10
	s_and_not1_b32 s34, s34, exec_lo
	s_and_b32 s35, vcc_lo, exec_lo
	s_delay_alu instid0(SALU_CYCLE_1)
	s_or_b32 s34, s34, s35
	s_or_b32 exec_lo, exec_lo, s31
	v_mov_b64_e32 v[6:7], 0
	s_and_saveexec_b32 s31, s34
	s_cbranch_execnz .LBB62_1082
	s_branch .LBB62_1083
.LBB62_1102:
	s_mov_b32 s77, -1
                                        ; implicit-def: $vgpr6_vgpr7
.LBB62_1103:
	s_mov_b32 s34, 0
.LBB62_1104:
	s_delay_alu instid0(SALU_CYCLE_1)
	s_and_b32 vcc_lo, exec_lo, s34
	s_cbranch_vccz .LBB62_1108
; %bb.1105:
	s_cmp_eq_u32 s1, 11
	s_cbranch_scc0 .LBB62_1107
; %bb.1106:
	s_wait_loadcnt 0x0
	global_load_u8 v6, v[8:9], off
	s_mov_b32 s77, 0
	s_mov_b32 s31, -1
	v_mov_b32_e32 v7, s77
	s_wait_loadcnt 0x0
	v_cmp_ne_u16_e32 vcc_lo, 0, v6
	v_cndmask_b32_e64 v6, 0, 1, vcc_lo
	s_branch .LBB62_1108
.LBB62_1107:
	s_mov_b32 s77, -1
                                        ; implicit-def: $vgpr6_vgpr7
.LBB62_1108:
	s_mov_b32 s1, 0
.LBB62_1109:
	s_delay_alu instid0(SALU_CYCLE_1)
	s_and_b32 vcc_lo, exec_lo, s1
	s_cbranch_vccz .LBB62_1158
; %bb.1110:
	s_and_b32 s0, 0xffff, s0
	s_delay_alu instid0(SALU_CYCLE_1)
	s_cmp_lt_i32 s0, 5
	s_cbranch_scc1 .LBB62_1115
; %bb.1111:
	s_cmp_lt_i32 s0, 8
	s_cbranch_scc1 .LBB62_1116
; %bb.1112:
	;; [unrolled: 3-line block ×3, first 2 shown]
	s_cmp_gt_i32 s0, 9
	s_cbranch_scc0 .LBB62_1118
; %bb.1114:
	s_wait_loadcnt 0x0
	global_load_b64 v[6:7], v[8:9], off
	s_mov_b32 s1, 0
	s_wait_loadcnt 0x0
	v_trunc_f64_e32 v[6:7], v[6:7]
	s_delay_alu instid0(VALU_DEP_1) | instskip(NEXT) | instid1(VALU_DEP_1)
	v_ldexp_f64 v[10:11], v[6:7], 0xffffffe0
	v_floor_f64_e32 v[10:11], v[10:11]
	s_delay_alu instid0(VALU_DEP_1) | instskip(SKIP_1) | instid1(VALU_DEP_2)
	v_fmamk_f64 v[12:13], v[10:11], 0xc1f00000, v[6:7]
	v_cvt_i32_f64_e32 v7, v[10:11]
	v_cvt_u32_f64_e32 v6, v[12:13]
	s_branch .LBB62_1119
.LBB62_1115:
	s_mov_b32 s1, -1
                                        ; implicit-def: $vgpr6_vgpr7
	s_branch .LBB62_1137
.LBB62_1116:
	s_mov_b32 s1, -1
                                        ; implicit-def: $vgpr6_vgpr7
	s_branch .LBB62_1125
.LBB62_1117:
	s_mov_b32 s1, -1
                                        ; implicit-def: $vgpr6_vgpr7
	s_branch .LBB62_1122
.LBB62_1118:
	s_mov_b32 s1, -1
                                        ; implicit-def: $vgpr6_vgpr7
.LBB62_1119:
	s_delay_alu instid0(SALU_CYCLE_1)
	s_and_not1_b32 vcc_lo, exec_lo, s1
	s_cbranch_vccnz .LBB62_1121
; %bb.1120:
	s_wait_loadcnt 0x0
	global_load_b32 v6, v[8:9], off
	s_wait_loadcnt 0x0
	v_trunc_f32_e32 v6, v6
	s_delay_alu instid0(VALU_DEP_1) | instskip(NEXT) | instid1(VALU_DEP_1)
	v_mul_f32_e64 v7, 0x2f800000, |v6|
	v_floor_f32_e32 v7, v7
	s_delay_alu instid0(VALU_DEP_1) | instskip(SKIP_2) | instid1(VALU_DEP_3)
	v_fma_f32 v10, 0xcf800000, v7, |v6|
	v_ashrrev_i32_e32 v6, 31, v6
	v_cvt_u32_f32_e32 v11, v7
	v_cvt_u32_f32_e32 v10, v10
	s_delay_alu instid0(VALU_DEP_2) | instskip(NEXT) | instid1(VALU_DEP_2)
	v_dual_mov_b32 v7, v6 :: v_dual_bitop2_b32 v11, v11, v6 bitop3:0x14
	v_xor_b32_e32 v10, v10, v6
	s_delay_alu instid0(VALU_DEP_1)
	v_sub_nc_u64_e32 v[6:7], v[10:11], v[6:7]
.LBB62_1121:
	s_mov_b32 s1, 0
.LBB62_1122:
	s_delay_alu instid0(SALU_CYCLE_1)
	s_and_not1_b32 vcc_lo, exec_lo, s1
	s_cbranch_vccnz .LBB62_1124
; %bb.1123:
	s_wait_loadcnt 0x0
	global_load_b32 v6, v[8:9], off
	s_wait_loadcnt 0x0
	v_cvt_f32_f16_e32 v6, v6
	s_delay_alu instid0(VALU_DEP_1) | instskip(NEXT) | instid1(VALU_DEP_1)
	v_cvt_i32_f32_e32 v6, v6
	v_ashrrev_i32_e32 v7, 31, v6
.LBB62_1124:
	s_mov_b32 s1, 0
.LBB62_1125:
	s_delay_alu instid0(SALU_CYCLE_1)
	s_and_not1_b32 vcc_lo, exec_lo, s1
	s_cbranch_vccnz .LBB62_1136
; %bb.1126:
	s_cmp_lt_i32 s0, 6
	s_cbranch_scc1 .LBB62_1129
; %bb.1127:
	s_cmp_gt_i32 s0, 6
	s_cbranch_scc0 .LBB62_1130
; %bb.1128:
	s_wait_loadcnt 0x0
	global_load_b64 v[6:7], v[8:9], off
	s_mov_b32 s1, 0
	s_wait_loadcnt 0x0
	v_trunc_f64_e32 v[6:7], v[6:7]
	s_delay_alu instid0(VALU_DEP_1) | instskip(NEXT) | instid1(VALU_DEP_1)
	v_ldexp_f64 v[10:11], v[6:7], 0xffffffe0
	v_floor_f64_e32 v[10:11], v[10:11]
	s_delay_alu instid0(VALU_DEP_1) | instskip(SKIP_1) | instid1(VALU_DEP_2)
	v_fmamk_f64 v[12:13], v[10:11], 0xc1f00000, v[6:7]
	v_cvt_i32_f64_e32 v7, v[10:11]
	v_cvt_u32_f64_e32 v6, v[12:13]
	s_branch .LBB62_1131
.LBB62_1129:
	s_mov_b32 s1, -1
                                        ; implicit-def: $vgpr6_vgpr7
	s_branch .LBB62_1134
.LBB62_1130:
	s_mov_b32 s1, -1
                                        ; implicit-def: $vgpr6_vgpr7
.LBB62_1131:
	s_delay_alu instid0(SALU_CYCLE_1)
	s_and_not1_b32 vcc_lo, exec_lo, s1
	s_cbranch_vccnz .LBB62_1133
; %bb.1132:
	s_wait_loadcnt 0x0
	global_load_b32 v6, v[8:9], off
	s_wait_loadcnt 0x0
	v_trunc_f32_e32 v6, v6
	s_delay_alu instid0(VALU_DEP_1) | instskip(NEXT) | instid1(VALU_DEP_1)
	v_mul_f32_e64 v7, 0x2f800000, |v6|
	v_floor_f32_e32 v7, v7
	s_delay_alu instid0(VALU_DEP_1) | instskip(SKIP_2) | instid1(VALU_DEP_3)
	v_fma_f32 v10, 0xcf800000, v7, |v6|
	v_ashrrev_i32_e32 v6, 31, v6
	v_cvt_u32_f32_e32 v11, v7
	v_cvt_u32_f32_e32 v10, v10
	s_delay_alu instid0(VALU_DEP_2) | instskip(NEXT) | instid1(VALU_DEP_2)
	v_dual_mov_b32 v7, v6 :: v_dual_bitop2_b32 v11, v11, v6 bitop3:0x14
	v_xor_b32_e32 v10, v10, v6
	s_delay_alu instid0(VALU_DEP_1)
	v_sub_nc_u64_e32 v[6:7], v[10:11], v[6:7]
.LBB62_1133:
	s_mov_b32 s1, 0
.LBB62_1134:
	s_delay_alu instid0(SALU_CYCLE_1)
	s_and_not1_b32 vcc_lo, exec_lo, s1
	s_cbranch_vccnz .LBB62_1136
; %bb.1135:
	s_wait_loadcnt 0x0
	global_load_u16 v6, v[8:9], off
	s_wait_loadcnt 0x0
	v_cvt_f32_f16_e32 v6, v6
	s_delay_alu instid0(VALU_DEP_1) | instskip(NEXT) | instid1(VALU_DEP_1)
	v_cvt_i32_f32_e32 v6, v6
	v_ashrrev_i32_e32 v7, 31, v6
.LBB62_1136:
	s_mov_b32 s1, 0
.LBB62_1137:
	s_delay_alu instid0(SALU_CYCLE_1)
	s_and_not1_b32 vcc_lo, exec_lo, s1
	s_cbranch_vccnz .LBB62_1157
; %bb.1138:
	s_cmp_lt_i32 s0, 2
	s_cbranch_scc1 .LBB62_1142
; %bb.1139:
	s_cmp_lt_i32 s0, 3
	s_cbranch_scc1 .LBB62_1143
; %bb.1140:
	s_cmp_gt_i32 s0, 3
	s_cbranch_scc0 .LBB62_1144
; %bb.1141:
	s_wait_loadcnt 0x0
	global_load_b64 v[6:7], v[8:9], off
	s_mov_b32 s1, 0
	s_branch .LBB62_1145
.LBB62_1142:
	s_mov_b32 s1, -1
                                        ; implicit-def: $vgpr6_vgpr7
	s_branch .LBB62_1151
.LBB62_1143:
	s_mov_b32 s1, -1
                                        ; implicit-def: $vgpr6_vgpr7
	s_branch .LBB62_1148
.LBB62_1144:
	s_mov_b32 s1, -1
                                        ; implicit-def: $vgpr6_vgpr7
.LBB62_1145:
	s_delay_alu instid0(SALU_CYCLE_1)
	s_and_not1_b32 vcc_lo, exec_lo, s1
	s_cbranch_vccnz .LBB62_1147
; %bb.1146:
	s_wait_loadcnt 0x0
	global_load_b32 v6, v[8:9], off
	s_wait_loadcnt 0x0
	v_ashrrev_i32_e32 v7, 31, v6
.LBB62_1147:
	s_mov_b32 s1, 0
.LBB62_1148:
	s_delay_alu instid0(SALU_CYCLE_1)
	s_and_not1_b32 vcc_lo, exec_lo, s1
	s_cbranch_vccnz .LBB62_1150
; %bb.1149:
	s_wait_loadcnt 0x0
	global_load_u16 v6, v[8:9], off
	s_wait_loadcnt 0x0
	v_bfe_i32 v6, v6, 0, 16
	s_delay_alu instid0(VALU_DEP_1)
	v_ashrrev_i32_e32 v7, 31, v6
.LBB62_1150:
	s_mov_b32 s1, 0
.LBB62_1151:
	s_delay_alu instid0(SALU_CYCLE_1)
	s_and_not1_b32 vcc_lo, exec_lo, s1
	s_cbranch_vccnz .LBB62_1157
; %bb.1152:
	s_cmp_gt_i32 s0, 0
	s_mov_b32 s0, 0
	s_cbranch_scc0 .LBB62_1154
; %bb.1153:
	s_wait_loadcnt 0x0
	global_load_i8 v6, v[8:9], off
	s_wait_loadcnt 0x0
	v_bfe_i32 v6, v6, 0, 16
	s_delay_alu instid0(VALU_DEP_1)
	v_ashrrev_i32_e32 v7, 31, v6
	s_branch .LBB62_1155
.LBB62_1154:
	s_mov_b32 s0, -1
                                        ; implicit-def: $vgpr6_vgpr7
.LBB62_1155:
	s_delay_alu instid0(SALU_CYCLE_1)
	s_and_not1_b32 vcc_lo, exec_lo, s0
	s_cbranch_vccnz .LBB62_1157
; %bb.1156:
	s_wait_loadcnt 0x0
	global_load_u8 v6, v[8:9], off
	s_mov_b32 s0, 0
	s_delay_alu instid0(SALU_CYCLE_1)
	v_mov_b32_e32 v7, s0
	s_wait_loadcnt 0x0
	v_and_b32_e32 v6, 0xffff, v6
.LBB62_1157:
	s_mov_b32 s31, -1
.LBB62_1158:
	s_delay_alu instid0(SALU_CYCLE_1)
	s_and_not1_b32 vcc_lo, exec_lo, s31
	s_cbranch_vccnz .LBB62_1166
; %bb.1159:
	s_wait_xcnt 0x0
	v_mul_lo_u32 v8, v22, s3
	s_and_b32 s0, s29, 0xff
	s_delay_alu instid0(SALU_CYCLE_1) | instskip(NEXT) | instid1(VALU_DEP_1)
	s_cmp_lt_i32 s0, 11
	v_ashrrev_i32_e32 v9, 31, v8
	s_delay_alu instid0(VALU_DEP_1)
	v_add_nc_u64_e32 v[8:9], s[14:15], v[8:9]
	s_cbranch_scc1 .LBB62_1167
; %bb.1160:
	s_and_b32 s1, 0xffff, s0
	s_delay_alu instid0(SALU_CYCLE_1)
	s_cmp_gt_i32 s1, 25
	s_cbranch_scc0 .LBB62_1168
; %bb.1161:
	s_cmp_gt_i32 s1, 28
	s_cbranch_scc0 .LBB62_1169
; %bb.1162:
	;; [unrolled: 3-line block ×4, first 2 shown]
	s_cmp_eq_u32 s1, 46
	s_mov_b32 s34, 0
	s_cbranch_scc0 .LBB62_1173
; %bb.1165:
	global_load_b32 v10, v[8:9], off
	s_mov_b32 s31, -1
	s_mov_b32 s76, 0
	s_wait_loadcnt 0x0
	v_lshlrev_b32_e32 v10, 16, v10
	s_delay_alu instid0(VALU_DEP_1) | instskip(NEXT) | instid1(VALU_DEP_1)
	v_trunc_f32_e32 v10, v10
	v_mul_f32_e64 v11, 0x2f800000, |v10|
	s_delay_alu instid0(VALU_DEP_1) | instskip(NEXT) | instid1(VALU_DEP_1)
	v_floor_f32_e32 v11, v11
	v_fma_f32 v12, 0xcf800000, v11, |v10|
	v_ashrrev_i32_e32 v10, 31, v10
	v_cvt_u32_f32_e32 v13, v11
	s_delay_alu instid0(VALU_DEP_3) | instskip(NEXT) | instid1(VALU_DEP_2)
	v_cvt_u32_f32_e32 v12, v12
	v_dual_mov_b32 v11, v10 :: v_dual_bitop2_b32 v13, v13, v10 bitop3:0x14
	s_delay_alu instid0(VALU_DEP_2) | instskip(NEXT) | instid1(VALU_DEP_1)
	v_xor_b32_e32 v12, v12, v10
	v_sub_nc_u64_e32 v[10:11], v[12:13], v[10:11]
	s_branch .LBB62_1175
.LBB62_1166:
	s_mov_b32 s0, 0
	s_mov_b32 s1, s61
	;; [unrolled: 1-line block ×7, first 2 shown]
	s_branch .LBB62_1297
.LBB62_1167:
	s_mov_b32 s1, -1
	s_mov_b32 s31, 0
	s_mov_b32 s76, s67
                                        ; implicit-def: $vgpr10_vgpr11
	s_branch .LBB62_1236
.LBB62_1168:
	s_mov_b32 s34, -1
	s_mov_b32 s31, 0
	s_mov_b32 s76, s67
                                        ; implicit-def: $vgpr10_vgpr11
	s_branch .LBB62_1202
.LBB62_1169:
	s_mov_b32 s34, -1
	s_mov_b32 s31, 0
	s_mov_b32 s76, s67
                                        ; implicit-def: $vgpr10_vgpr11
	s_branch .LBB62_1185
.LBB62_1170:
	s_mov_b32 s34, -1
	s_mov_b32 s31, 0
	s_mov_b32 s76, s67
                                        ; implicit-def: $vgpr10_vgpr11
	s_branch .LBB62_1180
.LBB62_1171:
	s_mov_b32 s34, -1
	s_mov_b32 s31, 0
	s_mov_b32 s76, s67
	s_branch .LBB62_1174
.LBB62_1172:
	s_mov_b32 s45, -1
	s_mov_b32 s31, 0
	s_mov_b32 s44, 0
	s_branch .LBB62_1839
.LBB62_1173:
	s_mov_b32 s76, -1
	s_mov_b32 s31, 0
.LBB62_1174:
                                        ; implicit-def: $vgpr10_vgpr11
.LBB62_1175:
	s_and_b32 vcc_lo, exec_lo, s34
	s_cbranch_vccz .LBB62_1179
; %bb.1176:
	s_cmp_eq_u32 s1, 44
	s_cbranch_scc0 .LBB62_1178
; %bb.1177:
	global_load_u8 v14, v[8:9], off
	s_mov_b32 s76, 0
	s_mov_b32 s31, -1
	s_wait_loadcnt 0x0
	v_cmp_ne_u32_e32 vcc_lo, 0, v14
	v_lshlrev_b32_e32 v10, 23, v14
	s_delay_alu instid0(VALU_DEP_1) | instskip(NEXT) | instid1(VALU_DEP_1)
	v_trunc_f32_e32 v10, v10
	v_mul_f32_e64 v11, 0x2f800000, |v10|
	s_delay_alu instid0(VALU_DEP_1) | instskip(NEXT) | instid1(VALU_DEP_1)
	v_floor_f32_e32 v11, v11
	v_fma_f32 v12, 0xcf800000, v11, |v10|
	v_ashrrev_i32_e32 v10, 31, v10
	v_cvt_u32_f32_e32 v13, v11
	s_delay_alu instid0(VALU_DEP_3) | instskip(NEXT) | instid1(VALU_DEP_2)
	v_cvt_u32_f32_e32 v12, v12
	v_dual_mov_b32 v11, v10 :: v_dual_bitop2_b32 v13, v13, v10 bitop3:0x14
	s_delay_alu instid0(VALU_DEP_2) | instskip(NEXT) | instid1(VALU_DEP_1)
	v_xor_b32_e32 v12, v12, v10
	v_sub_nc_u64_e32 v[10:11], v[12:13], v[10:11]
	s_delay_alu instid0(VALU_DEP_1)
	v_dual_cndmask_b32 v11, 0, v11 :: v_dual_cndmask_b32 v10, 0, v10
	s_branch .LBB62_1179
.LBB62_1178:
	s_mov_b32 s76, -1
                                        ; implicit-def: $vgpr10_vgpr11
.LBB62_1179:
	s_mov_b32 s34, 0
.LBB62_1180:
	s_delay_alu instid0(SALU_CYCLE_1)
	s_and_b32 vcc_lo, exec_lo, s34
	s_cbranch_vccz .LBB62_1184
; %bb.1181:
	s_cmp_eq_u32 s1, 29
	s_cbranch_scc0 .LBB62_1183
; %bb.1182:
	global_load_b64 v[10:11], v[8:9], off
	s_mov_b32 s31, -1
	s_mov_b32 s76, 0
	s_branch .LBB62_1184
.LBB62_1183:
	s_mov_b32 s76, -1
                                        ; implicit-def: $vgpr10_vgpr11
.LBB62_1184:
	s_mov_b32 s34, 0
.LBB62_1185:
	s_delay_alu instid0(SALU_CYCLE_1)
	s_and_b32 vcc_lo, exec_lo, s34
	s_cbranch_vccz .LBB62_1201
; %bb.1186:
	s_cmp_lt_i32 s1, 27
	s_cbranch_scc1 .LBB62_1189
; %bb.1187:
	s_cmp_gt_i32 s1, 27
	s_cbranch_scc0 .LBB62_1190
; %bb.1188:
	s_wait_loadcnt 0x0
	global_load_b32 v10, v[8:9], off
	v_mov_b32_e32 v11, 0
	s_mov_b32 s31, 0
	s_branch .LBB62_1191
.LBB62_1189:
	s_mov_b32 s31, -1
                                        ; implicit-def: $vgpr10_vgpr11
	s_branch .LBB62_1194
.LBB62_1190:
	s_mov_b32 s31, -1
                                        ; implicit-def: $vgpr10_vgpr11
.LBB62_1191:
	s_delay_alu instid0(SALU_CYCLE_1)
	s_and_not1_b32 vcc_lo, exec_lo, s31
	s_cbranch_vccnz .LBB62_1193
; %bb.1192:
	s_wait_loadcnt 0x0
	global_load_u16 v10, v[8:9], off
	s_mov_b32 s31, 0
	s_delay_alu instid0(SALU_CYCLE_1)
	v_mov_b32_e32 v11, s31
	s_wait_loadcnt 0x0
	v_and_b32_e32 v10, 0xffff, v10
.LBB62_1193:
	s_mov_b32 s31, 0
.LBB62_1194:
	s_delay_alu instid0(SALU_CYCLE_1)
	s_and_not1_b32 vcc_lo, exec_lo, s31
	s_cbranch_vccnz .LBB62_1200
; %bb.1195:
	global_load_u8 v12, v[8:9], off
	s_mov_b32 s34, 0
	s_mov_b32 s31, exec_lo
	s_wait_loadcnt 0x0
	v_cmpx_lt_i16_e32 0x7f, v12
	s_xor_b32 s31, exec_lo, s31
	s_cbranch_execz .LBB62_1212
; %bb.1196:
	v_cmp_ne_u16_e32 vcc_lo, 0x80, v12
	s_and_b32 s34, vcc_lo, exec_lo
	s_and_not1_saveexec_b32 s31, s31
	s_cbranch_execnz .LBB62_1213
.LBB62_1197:
	s_or_b32 exec_lo, exec_lo, s31
	v_mov_b64_e32 v[10:11], 0
	s_and_saveexec_b32 s31, s34
	s_cbranch_execz .LBB62_1199
.LBB62_1198:
	v_and_b32_e32 v10, 0xffff, v12
	s_delay_alu instid0(VALU_DEP_1) | instskip(SKIP_1) | instid1(VALU_DEP_2)
	v_and_b32_e32 v11, 7, v10
	v_bfe_u32 v15, v10, 3, 4
	v_clz_i32_u32_e32 v13, v11
	s_delay_alu instid0(VALU_DEP_2) | instskip(NEXT) | instid1(VALU_DEP_2)
	v_cmp_eq_u32_e32 vcc_lo, 0, v15
	v_min_u32_e32 v13, 32, v13
	s_delay_alu instid0(VALU_DEP_1) | instskip(NEXT) | instid1(VALU_DEP_1)
	v_subrev_nc_u32_e32 v14, 28, v13
	v_dual_lshlrev_b32 v10, v14, v10 :: v_dual_sub_nc_u32 v13, 29, v13
	s_delay_alu instid0(VALU_DEP_1) | instskip(NEXT) | instid1(VALU_DEP_2)
	v_dual_lshlrev_b32 v12, 24, v12 :: v_dual_bitop2_b32 v10, 7, v10 bitop3:0x40
	v_cndmask_b32_e32 v13, v15, v13, vcc_lo
	s_delay_alu instid0(VALU_DEP_2) | instskip(NEXT) | instid1(VALU_DEP_3)
	v_cndmask_b32_e32 v10, v11, v10, vcc_lo
	v_and_b32_e32 v11, 0x80000000, v12
	s_delay_alu instid0(VALU_DEP_3) | instskip(NEXT) | instid1(VALU_DEP_3)
	v_lshl_add_u32 v12, v13, 23, 0x3b800000
	v_lshlrev_b32_e32 v10, 20, v10
	s_delay_alu instid0(VALU_DEP_1) | instskip(NEXT) | instid1(VALU_DEP_1)
	v_or3_b32 v10, v11, v12, v10
	v_trunc_f32_e32 v10, v10
	s_delay_alu instid0(VALU_DEP_1) | instskip(NEXT) | instid1(VALU_DEP_1)
	v_mul_f32_e64 v11, 0x2f800000, |v10|
	v_floor_f32_e32 v11, v11
	s_delay_alu instid0(VALU_DEP_1) | instskip(SKIP_2) | instid1(VALU_DEP_3)
	v_fma_f32 v12, 0xcf800000, v11, |v10|
	v_ashrrev_i32_e32 v10, 31, v10
	v_cvt_u32_f32_e32 v13, v11
	v_cvt_u32_f32_e32 v12, v12
	s_delay_alu instid0(VALU_DEP_2) | instskip(NEXT) | instid1(VALU_DEP_2)
	v_dual_mov_b32 v11, v10 :: v_dual_bitop2_b32 v13, v13, v10 bitop3:0x14
	v_xor_b32_e32 v12, v12, v10
	s_delay_alu instid0(VALU_DEP_1)
	v_sub_nc_u64_e32 v[10:11], v[12:13], v[10:11]
.LBB62_1199:
	s_or_b32 exec_lo, exec_lo, s31
.LBB62_1200:
	s_mov_b32 s31, -1
.LBB62_1201:
	s_mov_b32 s34, 0
.LBB62_1202:
	s_delay_alu instid0(SALU_CYCLE_1)
	s_and_b32 vcc_lo, exec_lo, s34
	s_cbranch_vccz .LBB62_1235
; %bb.1203:
	s_cmp_gt_i32 s1, 22
	s_cbranch_scc0 .LBB62_1211
; %bb.1204:
	s_cmp_lt_i32 s1, 24
	s_cbranch_scc1 .LBB62_1214
; %bb.1205:
	s_cmp_gt_i32 s1, 24
	s_cbranch_scc0 .LBB62_1215
; %bb.1206:
	global_load_u8 v12, v[8:9], off
	s_mov_b32 s34, 0
	s_mov_b32 s31, exec_lo
	s_wait_loadcnt 0x0
	v_cmpx_lt_i16_e32 0x7f, v12
	s_xor_b32 s31, exec_lo, s31
	s_cbranch_execz .LBB62_1227
; %bb.1207:
	v_cmp_ne_u16_e32 vcc_lo, 0x80, v12
	s_and_b32 s34, vcc_lo, exec_lo
	s_and_not1_saveexec_b32 s31, s31
	s_cbranch_execnz .LBB62_1228
.LBB62_1208:
	s_or_b32 exec_lo, exec_lo, s31
	v_mov_b64_e32 v[10:11], 0
	s_and_saveexec_b32 s31, s34
	s_cbranch_execz .LBB62_1210
.LBB62_1209:
	v_and_b32_e32 v10, 0xffff, v12
	s_delay_alu instid0(VALU_DEP_1) | instskip(SKIP_1) | instid1(VALU_DEP_2)
	v_and_b32_e32 v11, 3, v10
	v_bfe_u32 v15, v10, 2, 5
	v_clz_i32_u32_e32 v13, v11
	s_delay_alu instid0(VALU_DEP_2) | instskip(NEXT) | instid1(VALU_DEP_2)
	v_cmp_eq_u32_e32 vcc_lo, 0, v15
	v_min_u32_e32 v13, 32, v13
	s_delay_alu instid0(VALU_DEP_1) | instskip(NEXT) | instid1(VALU_DEP_1)
	v_subrev_nc_u32_e32 v14, 29, v13
	v_dual_lshlrev_b32 v10, v14, v10 :: v_dual_sub_nc_u32 v13, 30, v13
	s_delay_alu instid0(VALU_DEP_1) | instskip(NEXT) | instid1(VALU_DEP_2)
	v_dual_lshlrev_b32 v12, 24, v12 :: v_dual_bitop2_b32 v10, 3, v10 bitop3:0x40
	v_cndmask_b32_e32 v13, v15, v13, vcc_lo
	s_delay_alu instid0(VALU_DEP_2) | instskip(NEXT) | instid1(VALU_DEP_3)
	v_cndmask_b32_e32 v10, v11, v10, vcc_lo
	v_and_b32_e32 v11, 0x80000000, v12
	s_delay_alu instid0(VALU_DEP_3) | instskip(NEXT) | instid1(VALU_DEP_3)
	v_lshl_add_u32 v12, v13, 23, 0x37800000
	v_lshlrev_b32_e32 v10, 21, v10
	s_delay_alu instid0(VALU_DEP_1) | instskip(NEXT) | instid1(VALU_DEP_1)
	v_or3_b32 v10, v11, v12, v10
	v_trunc_f32_e32 v10, v10
	s_delay_alu instid0(VALU_DEP_1) | instskip(NEXT) | instid1(VALU_DEP_1)
	v_mul_f32_e64 v11, 0x2f800000, |v10|
	v_floor_f32_e32 v11, v11
	s_delay_alu instid0(VALU_DEP_1) | instskip(SKIP_2) | instid1(VALU_DEP_3)
	v_fma_f32 v12, 0xcf800000, v11, |v10|
	v_ashrrev_i32_e32 v10, 31, v10
	v_cvt_u32_f32_e32 v13, v11
	v_cvt_u32_f32_e32 v12, v12
	s_delay_alu instid0(VALU_DEP_2) | instskip(NEXT) | instid1(VALU_DEP_2)
	v_dual_mov_b32 v11, v10 :: v_dual_bitop2_b32 v13, v13, v10 bitop3:0x14
	v_xor_b32_e32 v12, v12, v10
	s_delay_alu instid0(VALU_DEP_1)
	v_sub_nc_u64_e32 v[10:11], v[12:13], v[10:11]
.LBB62_1210:
	s_or_b32 exec_lo, exec_lo, s31
	s_mov_b32 s31, 0
	s_branch .LBB62_1216
.LBB62_1211:
	s_mov_b32 s34, -1
                                        ; implicit-def: $vgpr10_vgpr11
	s_branch .LBB62_1222
.LBB62_1212:
	s_and_not1_saveexec_b32 s31, s31
	s_cbranch_execz .LBB62_1197
.LBB62_1213:
	v_cmp_ne_u16_e32 vcc_lo, 0, v12
	s_and_not1_b32 s34, s34, exec_lo
	s_and_b32 s35, vcc_lo, exec_lo
	s_delay_alu instid0(SALU_CYCLE_1)
	s_or_b32 s34, s34, s35
	s_or_b32 exec_lo, exec_lo, s31
	v_mov_b64_e32 v[10:11], 0
	s_and_saveexec_b32 s31, s34
	s_cbranch_execnz .LBB62_1198
	s_branch .LBB62_1199
.LBB62_1214:
	s_mov_b32 s31, -1
                                        ; implicit-def: $vgpr10_vgpr11
	s_branch .LBB62_1219
.LBB62_1215:
	s_mov_b32 s31, -1
                                        ; implicit-def: $vgpr10_vgpr11
.LBB62_1216:
	s_delay_alu instid0(SALU_CYCLE_1)
	s_and_b32 vcc_lo, exec_lo, s31
	s_cbranch_vccz .LBB62_1218
; %bb.1217:
	s_wait_loadcnt 0x0
	global_load_u8 v10, v[8:9], off
	s_wait_loadcnt 0x0
	v_lshlrev_b32_e32 v10, 24, v10
	s_delay_alu instid0(VALU_DEP_1) | instskip(NEXT) | instid1(VALU_DEP_1)
	v_and_b32_e32 v11, 0x7f000000, v10
	v_clz_i32_u32_e32 v12, v11
	v_cmp_ne_u32_e32 vcc_lo, 0, v11
	v_add_nc_u32_e32 v14, 0x1000000, v11
	s_delay_alu instid0(VALU_DEP_3) | instskip(NEXT) | instid1(VALU_DEP_1)
	v_min_u32_e32 v12, 32, v12
	v_sub_nc_u32_e64 v12, v12, 4 clamp
	s_delay_alu instid0(VALU_DEP_1) | instskip(NEXT) | instid1(VALU_DEP_1)
	v_dual_lshlrev_b32 v13, v12, v11 :: v_dual_lshlrev_b32 v12, 23, v12
	v_lshrrev_b32_e32 v13, 4, v13
	s_delay_alu instid0(VALU_DEP_1) | instskip(NEXT) | instid1(VALU_DEP_1)
	v_dual_sub_nc_u32 v12, v13, v12 :: v_dual_ashrrev_i32 v13, 8, v14
	v_add_nc_u32_e32 v12, 0x3c000000, v12
	s_delay_alu instid0(VALU_DEP_1) | instskip(NEXT) | instid1(VALU_DEP_1)
	v_and_or_b32 v12, 0x7f800000, v13, v12
	v_cndmask_b32_e32 v11, 0, v12, vcc_lo
	s_delay_alu instid0(VALU_DEP_1) | instskip(NEXT) | instid1(VALU_DEP_1)
	v_and_or_b32 v10, 0x80000000, v10, v11
	v_trunc_f32_e32 v10, v10
	s_delay_alu instid0(VALU_DEP_1) | instskip(NEXT) | instid1(VALU_DEP_1)
	v_mul_f32_e64 v11, 0x2f800000, |v10|
	v_floor_f32_e32 v11, v11
	s_delay_alu instid0(VALU_DEP_1) | instskip(SKIP_2) | instid1(VALU_DEP_3)
	v_fma_f32 v12, 0xcf800000, v11, |v10|
	v_ashrrev_i32_e32 v10, 31, v10
	v_cvt_u32_f32_e32 v13, v11
	v_cvt_u32_f32_e32 v12, v12
	s_delay_alu instid0(VALU_DEP_2) | instskip(NEXT) | instid1(VALU_DEP_2)
	v_dual_mov_b32 v11, v10 :: v_dual_bitop2_b32 v13, v13, v10 bitop3:0x14
	v_xor_b32_e32 v12, v12, v10
	s_delay_alu instid0(VALU_DEP_1)
	v_sub_nc_u64_e32 v[10:11], v[12:13], v[10:11]
.LBB62_1218:
	s_mov_b32 s31, 0
.LBB62_1219:
	s_delay_alu instid0(SALU_CYCLE_1)
	s_and_not1_b32 vcc_lo, exec_lo, s31
	s_cbranch_vccnz .LBB62_1221
; %bb.1220:
	s_wait_loadcnt 0x0
	global_load_u8 v10, v[8:9], off
	s_wait_loadcnt 0x0
	v_lshlrev_b32_e32 v11, 25, v10
	v_lshlrev_b16 v10, 8, v10
	s_delay_alu instid0(VALU_DEP_1) | instskip(SKIP_1) | instid1(VALU_DEP_2)
	v_and_or_b32 v13, 0x7f00, v10, 0.5
	v_bfe_i32 v10, v10, 0, 16
	v_dual_add_f32 v13, -0.5, v13 :: v_dual_lshrrev_b32 v12, 4, v11
	v_cmp_gt_u32_e32 vcc_lo, 0x8000000, v11
	s_delay_alu instid0(VALU_DEP_2) | instskip(NEXT) | instid1(VALU_DEP_1)
	v_or_b32_e32 v12, 0x70000000, v12
	v_mul_f32_e32 v12, 0x7800000, v12
	s_delay_alu instid0(VALU_DEP_1) | instskip(NEXT) | instid1(VALU_DEP_1)
	v_cndmask_b32_e32 v11, v12, v13, vcc_lo
	v_and_or_b32 v10, 0x80000000, v10, v11
	s_delay_alu instid0(VALU_DEP_1) | instskip(NEXT) | instid1(VALU_DEP_1)
	v_trunc_f32_e32 v10, v10
	v_mul_f32_e64 v11, 0x2f800000, |v10|
	s_delay_alu instid0(VALU_DEP_1) | instskip(NEXT) | instid1(VALU_DEP_1)
	v_floor_f32_e32 v11, v11
	v_fma_f32 v12, 0xcf800000, v11, |v10|
	v_ashrrev_i32_e32 v10, 31, v10
	v_cvt_u32_f32_e32 v13, v11
	s_delay_alu instid0(VALU_DEP_3) | instskip(NEXT) | instid1(VALU_DEP_2)
	v_cvt_u32_f32_e32 v12, v12
	v_dual_mov_b32 v11, v10 :: v_dual_bitop2_b32 v13, v13, v10 bitop3:0x14
	s_delay_alu instid0(VALU_DEP_2) | instskip(NEXT) | instid1(VALU_DEP_1)
	v_xor_b32_e32 v12, v12, v10
	v_sub_nc_u64_e32 v[10:11], v[12:13], v[10:11]
.LBB62_1221:
	s_mov_b32 s34, 0
	s_mov_b32 s31, -1
.LBB62_1222:
	s_and_not1_b32 vcc_lo, exec_lo, s34
	s_cbranch_vccnz .LBB62_1235
; %bb.1223:
	s_cmp_gt_i32 s1, 14
	s_cbranch_scc0 .LBB62_1226
; %bb.1224:
	s_cmp_eq_u32 s1, 15
	s_cbranch_scc0 .LBB62_1229
; %bb.1225:
	s_wait_loadcnt 0x0
	global_load_u16 v10, v[8:9], off
	s_mov_b32 s31, -1
	s_mov_b32 s76, 0
	s_wait_loadcnt 0x0
	v_lshlrev_b32_e32 v10, 16, v10
	s_delay_alu instid0(VALU_DEP_1) | instskip(NEXT) | instid1(VALU_DEP_1)
	v_trunc_f32_e32 v10, v10
	v_mul_f32_e64 v11, 0x2f800000, |v10|
	s_delay_alu instid0(VALU_DEP_1) | instskip(NEXT) | instid1(VALU_DEP_1)
	v_floor_f32_e32 v11, v11
	v_fma_f32 v12, 0xcf800000, v11, |v10|
	v_ashrrev_i32_e32 v10, 31, v10
	v_cvt_u32_f32_e32 v13, v11
	s_delay_alu instid0(VALU_DEP_3) | instskip(NEXT) | instid1(VALU_DEP_2)
	v_cvt_u32_f32_e32 v12, v12
	v_dual_mov_b32 v11, v10 :: v_dual_bitop2_b32 v13, v13, v10 bitop3:0x14
	s_delay_alu instid0(VALU_DEP_2) | instskip(NEXT) | instid1(VALU_DEP_1)
	v_xor_b32_e32 v12, v12, v10
	v_sub_nc_u64_e32 v[10:11], v[12:13], v[10:11]
	s_branch .LBB62_1230
.LBB62_1226:
	s_mov_b32 s34, -1
                                        ; implicit-def: $vgpr10_vgpr11
	s_branch .LBB62_1231
.LBB62_1227:
	s_and_not1_saveexec_b32 s31, s31
	s_cbranch_execz .LBB62_1208
.LBB62_1228:
	v_cmp_ne_u16_e32 vcc_lo, 0, v12
	s_and_not1_b32 s34, s34, exec_lo
	s_and_b32 s35, vcc_lo, exec_lo
	s_delay_alu instid0(SALU_CYCLE_1)
	s_or_b32 s34, s34, s35
	s_or_b32 exec_lo, exec_lo, s31
	v_mov_b64_e32 v[10:11], 0
	s_and_saveexec_b32 s31, s34
	s_cbranch_execnz .LBB62_1209
	s_branch .LBB62_1210
.LBB62_1229:
	s_mov_b32 s76, -1
                                        ; implicit-def: $vgpr10_vgpr11
.LBB62_1230:
	s_mov_b32 s34, 0
.LBB62_1231:
	s_delay_alu instid0(SALU_CYCLE_1)
	s_and_b32 vcc_lo, exec_lo, s34
	s_cbranch_vccz .LBB62_1235
; %bb.1232:
	s_cmp_eq_u32 s1, 11
	s_cbranch_scc0 .LBB62_1234
; %bb.1233:
	s_wait_loadcnt 0x0
	global_load_u8 v10, v[8:9], off
	s_mov_b32 s76, 0
	s_mov_b32 s31, -1
	v_mov_b32_e32 v11, s76
	s_wait_loadcnt 0x0
	v_cmp_ne_u16_e32 vcc_lo, 0, v10
	v_cndmask_b32_e64 v10, 0, 1, vcc_lo
	s_branch .LBB62_1235
.LBB62_1234:
	s_mov_b32 s76, -1
                                        ; implicit-def: $vgpr10_vgpr11
.LBB62_1235:
	s_mov_b32 s1, 0
.LBB62_1236:
	s_delay_alu instid0(SALU_CYCLE_1)
	s_and_b32 vcc_lo, exec_lo, s1
	s_cbranch_vccz .LBB62_1285
; %bb.1237:
	s_and_b32 s0, 0xffff, s0
	s_delay_alu instid0(SALU_CYCLE_1)
	s_cmp_lt_i32 s0, 5
	s_cbranch_scc1 .LBB62_1242
; %bb.1238:
	s_cmp_lt_i32 s0, 8
	s_cbranch_scc1 .LBB62_1243
; %bb.1239:
	;; [unrolled: 3-line block ×3, first 2 shown]
	s_cmp_gt_i32 s0, 9
	s_cbranch_scc0 .LBB62_1245
; %bb.1241:
	s_wait_loadcnt 0x0
	global_load_b64 v[10:11], v[8:9], off
	s_mov_b32 s1, 0
	s_wait_loadcnt 0x0
	v_trunc_f64_e32 v[10:11], v[10:11]
	s_delay_alu instid0(VALU_DEP_1) | instskip(NEXT) | instid1(VALU_DEP_1)
	v_ldexp_f64 v[12:13], v[10:11], 0xffffffe0
	v_floor_f64_e32 v[12:13], v[12:13]
	s_delay_alu instid0(VALU_DEP_1) | instskip(SKIP_1) | instid1(VALU_DEP_2)
	v_fmamk_f64 v[14:15], v[12:13], 0xc1f00000, v[10:11]
	v_cvt_i32_f64_e32 v11, v[12:13]
	v_cvt_u32_f64_e32 v10, v[14:15]
	s_branch .LBB62_1246
.LBB62_1242:
	s_mov_b32 s1, -1
                                        ; implicit-def: $vgpr10_vgpr11
	s_branch .LBB62_1264
.LBB62_1243:
	s_mov_b32 s1, -1
                                        ; implicit-def: $vgpr10_vgpr11
	s_branch .LBB62_1252
.LBB62_1244:
	s_mov_b32 s1, -1
                                        ; implicit-def: $vgpr10_vgpr11
	s_branch .LBB62_1249
.LBB62_1245:
	s_mov_b32 s1, -1
                                        ; implicit-def: $vgpr10_vgpr11
.LBB62_1246:
	s_delay_alu instid0(SALU_CYCLE_1)
	s_and_not1_b32 vcc_lo, exec_lo, s1
	s_cbranch_vccnz .LBB62_1248
; %bb.1247:
	s_wait_loadcnt 0x0
	global_load_b32 v10, v[8:9], off
	s_wait_loadcnt 0x0
	v_trunc_f32_e32 v10, v10
	s_delay_alu instid0(VALU_DEP_1) | instskip(NEXT) | instid1(VALU_DEP_1)
	v_mul_f32_e64 v11, 0x2f800000, |v10|
	v_floor_f32_e32 v11, v11
	s_delay_alu instid0(VALU_DEP_1) | instskip(SKIP_2) | instid1(VALU_DEP_3)
	v_fma_f32 v12, 0xcf800000, v11, |v10|
	v_ashrrev_i32_e32 v10, 31, v10
	v_cvt_u32_f32_e32 v13, v11
	v_cvt_u32_f32_e32 v12, v12
	s_delay_alu instid0(VALU_DEP_2) | instskip(NEXT) | instid1(VALU_DEP_2)
	v_dual_mov_b32 v11, v10 :: v_dual_bitop2_b32 v13, v13, v10 bitop3:0x14
	v_xor_b32_e32 v12, v12, v10
	s_delay_alu instid0(VALU_DEP_1)
	v_sub_nc_u64_e32 v[10:11], v[12:13], v[10:11]
.LBB62_1248:
	s_mov_b32 s1, 0
.LBB62_1249:
	s_delay_alu instid0(SALU_CYCLE_1)
	s_and_not1_b32 vcc_lo, exec_lo, s1
	s_cbranch_vccnz .LBB62_1251
; %bb.1250:
	s_wait_loadcnt 0x0
	global_load_b32 v10, v[8:9], off
	s_wait_loadcnt 0x0
	v_cvt_f32_f16_e32 v10, v10
	s_delay_alu instid0(VALU_DEP_1) | instskip(NEXT) | instid1(VALU_DEP_1)
	v_cvt_i32_f32_e32 v10, v10
	v_ashrrev_i32_e32 v11, 31, v10
.LBB62_1251:
	s_mov_b32 s1, 0
.LBB62_1252:
	s_delay_alu instid0(SALU_CYCLE_1)
	s_and_not1_b32 vcc_lo, exec_lo, s1
	s_cbranch_vccnz .LBB62_1263
; %bb.1253:
	s_cmp_lt_i32 s0, 6
	s_cbranch_scc1 .LBB62_1256
; %bb.1254:
	s_cmp_gt_i32 s0, 6
	s_cbranch_scc0 .LBB62_1257
; %bb.1255:
	s_wait_loadcnt 0x0
	global_load_b64 v[10:11], v[8:9], off
	s_mov_b32 s1, 0
	s_wait_loadcnt 0x0
	v_trunc_f64_e32 v[10:11], v[10:11]
	s_delay_alu instid0(VALU_DEP_1) | instskip(NEXT) | instid1(VALU_DEP_1)
	v_ldexp_f64 v[12:13], v[10:11], 0xffffffe0
	v_floor_f64_e32 v[12:13], v[12:13]
	s_delay_alu instid0(VALU_DEP_1) | instskip(SKIP_1) | instid1(VALU_DEP_2)
	v_fmamk_f64 v[14:15], v[12:13], 0xc1f00000, v[10:11]
	v_cvt_i32_f64_e32 v11, v[12:13]
	v_cvt_u32_f64_e32 v10, v[14:15]
	s_branch .LBB62_1258
.LBB62_1256:
	s_mov_b32 s1, -1
                                        ; implicit-def: $vgpr10_vgpr11
	s_branch .LBB62_1261
.LBB62_1257:
	s_mov_b32 s1, -1
                                        ; implicit-def: $vgpr10_vgpr11
.LBB62_1258:
	s_delay_alu instid0(SALU_CYCLE_1)
	s_and_not1_b32 vcc_lo, exec_lo, s1
	s_cbranch_vccnz .LBB62_1260
; %bb.1259:
	s_wait_loadcnt 0x0
	global_load_b32 v10, v[8:9], off
	s_wait_loadcnt 0x0
	v_trunc_f32_e32 v10, v10
	s_delay_alu instid0(VALU_DEP_1) | instskip(NEXT) | instid1(VALU_DEP_1)
	v_mul_f32_e64 v11, 0x2f800000, |v10|
	v_floor_f32_e32 v11, v11
	s_delay_alu instid0(VALU_DEP_1) | instskip(SKIP_2) | instid1(VALU_DEP_3)
	v_fma_f32 v12, 0xcf800000, v11, |v10|
	v_ashrrev_i32_e32 v10, 31, v10
	v_cvt_u32_f32_e32 v13, v11
	v_cvt_u32_f32_e32 v12, v12
	s_delay_alu instid0(VALU_DEP_2) | instskip(NEXT) | instid1(VALU_DEP_2)
	v_dual_mov_b32 v11, v10 :: v_dual_bitop2_b32 v13, v13, v10 bitop3:0x14
	v_xor_b32_e32 v12, v12, v10
	s_delay_alu instid0(VALU_DEP_1)
	v_sub_nc_u64_e32 v[10:11], v[12:13], v[10:11]
.LBB62_1260:
	s_mov_b32 s1, 0
.LBB62_1261:
	s_delay_alu instid0(SALU_CYCLE_1)
	s_and_not1_b32 vcc_lo, exec_lo, s1
	s_cbranch_vccnz .LBB62_1263
; %bb.1262:
	s_wait_loadcnt 0x0
	global_load_u16 v10, v[8:9], off
	s_wait_loadcnt 0x0
	v_cvt_f32_f16_e32 v10, v10
	s_delay_alu instid0(VALU_DEP_1) | instskip(NEXT) | instid1(VALU_DEP_1)
	v_cvt_i32_f32_e32 v10, v10
	v_ashrrev_i32_e32 v11, 31, v10
.LBB62_1263:
	s_mov_b32 s1, 0
.LBB62_1264:
	s_delay_alu instid0(SALU_CYCLE_1)
	s_and_not1_b32 vcc_lo, exec_lo, s1
	s_cbranch_vccnz .LBB62_1284
; %bb.1265:
	s_cmp_lt_i32 s0, 2
	s_cbranch_scc1 .LBB62_1269
; %bb.1266:
	s_cmp_lt_i32 s0, 3
	s_cbranch_scc1 .LBB62_1270
; %bb.1267:
	s_cmp_gt_i32 s0, 3
	s_cbranch_scc0 .LBB62_1271
; %bb.1268:
	s_wait_loadcnt 0x0
	global_load_b64 v[10:11], v[8:9], off
	s_mov_b32 s1, 0
	s_branch .LBB62_1272
.LBB62_1269:
	s_mov_b32 s1, -1
                                        ; implicit-def: $vgpr10_vgpr11
	s_branch .LBB62_1278
.LBB62_1270:
	s_mov_b32 s1, -1
                                        ; implicit-def: $vgpr10_vgpr11
	s_branch .LBB62_1275
.LBB62_1271:
	s_mov_b32 s1, -1
                                        ; implicit-def: $vgpr10_vgpr11
.LBB62_1272:
	s_delay_alu instid0(SALU_CYCLE_1)
	s_and_not1_b32 vcc_lo, exec_lo, s1
	s_cbranch_vccnz .LBB62_1274
; %bb.1273:
	s_wait_loadcnt 0x0
	global_load_b32 v10, v[8:9], off
	s_wait_loadcnt 0x0
	v_ashrrev_i32_e32 v11, 31, v10
.LBB62_1274:
	s_mov_b32 s1, 0
.LBB62_1275:
	s_delay_alu instid0(SALU_CYCLE_1)
	s_and_not1_b32 vcc_lo, exec_lo, s1
	s_cbranch_vccnz .LBB62_1277
; %bb.1276:
	s_wait_loadcnt 0x0
	global_load_u16 v10, v[8:9], off
	s_wait_loadcnt 0x0
	v_bfe_i32 v10, v10, 0, 16
	s_delay_alu instid0(VALU_DEP_1)
	v_ashrrev_i32_e32 v11, 31, v10
.LBB62_1277:
	s_mov_b32 s1, 0
.LBB62_1278:
	s_delay_alu instid0(SALU_CYCLE_1)
	s_and_not1_b32 vcc_lo, exec_lo, s1
	s_cbranch_vccnz .LBB62_1284
; %bb.1279:
	s_cmp_gt_i32 s0, 0
	s_mov_b32 s0, 0
	s_cbranch_scc0 .LBB62_1281
; %bb.1280:
	s_wait_loadcnt 0x0
	global_load_i8 v10, v[8:9], off
	s_wait_loadcnt 0x0
	v_bfe_i32 v10, v10, 0, 16
	s_delay_alu instid0(VALU_DEP_1)
	v_ashrrev_i32_e32 v11, 31, v10
	s_branch .LBB62_1282
.LBB62_1281:
	s_mov_b32 s0, -1
                                        ; implicit-def: $vgpr10_vgpr11
.LBB62_1282:
	s_delay_alu instid0(SALU_CYCLE_1)
	s_and_not1_b32 vcc_lo, exec_lo, s0
	s_cbranch_vccnz .LBB62_1284
; %bb.1283:
	global_load_u8 v8, v[8:9], off
	s_mov_b32 s0, 0
	s_wait_loadcnt 0x1
	v_mov_b32_e32 v11, s0
	s_wait_loadcnt 0x0
	v_and_b32_e32 v10, 0xffff, v8
.LBB62_1284:
	s_mov_b32 s31, -1
.LBB62_1285:
	s_delay_alu instid0(SALU_CYCLE_1)
	s_and_not1_b32 vcc_lo, exec_lo, s31
	s_cbranch_vccnz .LBB62_1296
; %bb.1286:
	s_wait_loadcnt 0x0
	v_cmp_eq_u64_e32 vcc_lo, s[36:37], v[0:1]
	s_mov_b32 s0, 0
	s_mov_b32 s35, -1
	s_mov_b32 s44, s65
	s_mov_b32 s34, s64
	;; [unrolled: 1-line block ×4, first 2 shown]
	s_and_b32 s45, s60, vcc_lo
	s_wait_xcnt 0x0
	s_and_saveexec_b32 s78, s45
	s_cbranch_execz .LBB62_4066
; %bb.1287:
	v_cmp_eq_u64_e32 vcc_lo, s[40:41], v[2:3]
	s_mov_b32 s34, -1
	s_mov_b32 s35, s64
	s_mov_b32 s31, s63
	;; [unrolled: 1-line block ×3, first 2 shown]
	s_and_b32 s1, s59, vcc_lo
	s_delay_alu instid0(SALU_CYCLE_1)
	s_and_saveexec_b32 s79, s1
	s_cbranch_execz .LBB62_3592
; %bb.1288:
	v_sub_nc_u64_e32 v[0:1], v[6:7], v[4:5]
	s_mov_b32 s1, 0
	s_mov_b32 s31, -1
	s_mov_b32 s35, s61
	s_delay_alu instid0(VALU_DEP_1) | instskip(SKIP_4) | instid1(SALU_CYCLE_1)
	v_cmp_le_i64_e32 vcc_lo, s[36:37], v[0:1]
	v_cmp_ge_i64_e64 s0, s[38:39], v[0:1]
	s_and_b32 s34, vcc_lo, s0
	s_mov_b32 s0, s63
	s_and_b32 s34, s58, s34
	s_and_saveexec_b32 s80, s34
	s_cbranch_execz .LBB62_3591
; %bb.1289:
	v_cmp_lt_i64_e64 s0, s[40:41], 1
	v_mov_b64_e32 v[0:1], 0
	s_xor_b32 s1, s57, -1
	s_delay_alu instid0(SALU_CYCLE_1) | instskip(NEXT) | instid1(SALU_CYCLE_1)
	s_or_b32 s0, s1, s0
	s_and_b32 vcc_lo, exec_lo, s0
	s_cbranch_vccnz .LBB62_1312
; %bb.1290:
	v_mul_u64_e32 v[8:9], s[40:41], v[10:11]
	s_mov_b32 s1, 0
	v_mov_b64_e32 v[0:1], 0
	s_mov_b32 s31, s1
	v_mov_b32_e32 v2, 0
	s_lshl_b64 s[46:47], s[30:31], 3
	s_mov_b64 s[34:35], 0xffffffff
	s_add_nc_u64 s[44:45], s[20:21], s[46:47]
	s_add_nc_u64 s[46:47], s[22:23], s[46:47]
	s_mov_b32 s31, s42
	s_branch .LBB62_1292
.LBB62_1291:                            ;   in Loop: Header=BB62_1292 Depth=1
	s_or_b32 exec_lo, exec_lo, s0
	global_load_b64 v[12:13], v2, s[46:47]
	v_mul_u64_e32 v[14:15], s[48:49], v[10:11]
	s_add_co_i32 s31, s31, -1
	s_add_nc_u64 s[44:45], s[44:45], -8
	s_cmp_lg_u32 s31, 0
	s_wait_xcnt 0x0
	s_add_nc_u64 s[46:47], s[46:47], -8
	s_delay_alu instid0(VALU_DEP_1) | instskip(SKIP_1) | instid1(VALU_DEP_1)
	v_sub_nc_u64_e32 v[8:9], v[8:9], v[14:15]
	s_wait_loadcnt 0x0
	v_mad_nc_u64_u32 v[0:1], v8, v12, v[0:1]
	s_delay_alu instid0(VALU_DEP_1) | instskip(NEXT) | instid1(VALU_DEP_1)
	v_mad_u32 v1, v9, v12, v1
	v_mad_u32 v1, v8, v13, v1
	v_mov_b64_e32 v[8:9], v[10:11]
	s_cbranch_scc0 .LBB62_1312
.LBB62_1292:                            ; =>This Inner Loop Header: Depth=1
	global_load_b64 v[10:11], v2, s[44:45]
	s_mov_b32 s0, exec_lo
	s_wait_loadcnt 0x0
	v_or_b32_e32 v3, v9, v11
	v_readfirstlane_b32 s48, v10
	v_readfirstlane_b32 s49, v11
                                        ; implicit-def: $vgpr10_vgpr11
	s_wait_xcnt 0x0
	s_delay_alu instid0(VALU_DEP_3)
	v_cmpx_ne_u64_e32 0, v[2:3]
	s_xor_b32 s81, exec_lo, s0
	s_cbranch_execz .LBB62_1294
; %bb.1293:                             ;   in Loop: Header=BB62_1292 Depth=1
	s_ashr_i32 s50, s49, 31
	v_dual_mov_b32 v15, v2 :: v_dual_ashrrev_i32 v10, 31, v9
	s_mov_b32 s51, s50
	v_mov_b32_e32 v25, v2
	s_add_nc_u64 s[52:53], s[48:49], s[50:51]
	s_delay_alu instid0(VALU_DEP_2) | instskip(SKIP_1) | instid1(SALU_CYCLE_1)
	v_mov_b32_e32 v11, v10
	s_xor_b64 s[52:53], s[52:53], s[50:51]
	s_cvt_f32_u32 s0, s52
	s_cvt_f32_u32 s51, s53
	s_sub_nc_u64 s[86:87], 0, s[52:53]
	v_add_nc_u64_e32 v[12:13], v[8:9], v[10:11]
	v_mov_b32_e32 v19, v2
	s_fmamk_f32 s0, s51, 0x4f800000, s0
	s_delay_alu instid0(SALU_CYCLE_3) | instskip(NEXT) | instid1(VALU_DEP_2)
	v_s_rcp_f32 s0, s0
	v_xor_b32_e32 v14, v12, v10
	s_delay_alu instid0(VALU_DEP_3) | instskip(NEXT) | instid1(TRANS32_DEP_1)
	v_xor_b32_e32 v18, v13, v10
	s_mul_f32 s0, s0, 0x5f7ffffc
	s_delay_alu instid0(SALU_CYCLE_3) | instskip(NEXT) | instid1(SALU_CYCLE_3)
	s_mul_f32 s51, s0, 0x2f800000
	s_trunc_f32 s51, s51
	s_delay_alu instid0(SALU_CYCLE_3) | instskip(SKIP_1) | instid1(SALU_CYCLE_2)
	s_fmamk_f32 s0, s51, 0xcf800000, s0
	s_cvt_u32_f32 s85, s51
	s_cvt_u32_f32 s84, s0
	s_delay_alu instid0(SALU_CYCLE_3) | instskip(NEXT) | instid1(SALU_CYCLE_1)
	s_mul_u64 s[88:89], s[86:87], s[84:85]
	s_mul_hi_u32 s91, s84, s89
	s_mul_i32 s90, s84, s89
	s_mul_hi_u32 s0, s84, s88
	s_mul_i32 s82, s85, s88
	s_add_nc_u64 s[90:91], s[0:1], s[90:91]
	s_mul_hi_u32 s51, s85, s88
	s_mul_hi_u32 s92, s85, s89
	s_add_co_u32 s0, s90, s82
	s_add_co_ci_u32 s0, s91, s51
	s_mul_i32 s88, s85, s89
	s_add_co_ci_u32 s89, s92, 0
	s_delay_alu instid0(SALU_CYCLE_1) | instskip(NEXT) | instid1(SALU_CYCLE_1)
	s_add_nc_u64 s[88:89], s[0:1], s[88:89]
	s_add_co_u32 s84, s84, s88
	s_cselect_b32 s0, -1, 0
	s_delay_alu instid0(SALU_CYCLE_1) | instskip(SKIP_1) | instid1(SALU_CYCLE_1)
	s_cmp_lg_u32 s0, 0
	s_add_co_ci_u32 s85, s85, s89
	s_mul_u64 s[86:87], s[86:87], s[84:85]
	s_delay_alu instid0(SALU_CYCLE_1)
	s_mul_hi_u32 s89, s84, s87
	s_mul_i32 s88, s84, s87
	s_mul_hi_u32 s0, s84, s86
	s_mul_i32 s82, s85, s86
	s_add_nc_u64 s[88:89], s[0:1], s[88:89]
	s_mul_hi_u32 s51, s85, s86
	s_mul_hi_u32 s90, s85, s87
	s_add_co_u32 s0, s88, s82
	s_add_co_ci_u32 s0, s89, s51
	s_mul_i32 s86, s85, s87
	s_add_co_ci_u32 s87, s90, 0
	s_delay_alu instid0(SALU_CYCLE_1) | instskip(NEXT) | instid1(SALU_CYCLE_1)
	s_add_nc_u64 s[86:87], s[0:1], s[86:87]
	s_add_co_u32 s82, s84, s86
	s_cselect_b32 s0, -1, 0
	v_mul_hi_u32 v24, v14, s82
	s_cmp_lg_u32 s0, 0
	s_add_co_ci_u32 s0, s85, s87
	s_and_b64 s[84:85], s[82:83], s[34:35]
	v_mul_u64_e32 v[16:17], s[0:1], v[14:15]
	v_mul_u64_e32 v[12:13], s[84:85], v[18:19]
	;; [unrolled: 1-line block ×3, first 2 shown]
	s_delay_alu instid0(VALU_DEP_3) | instskip(NEXT) | instid1(VALU_DEP_1)
	v_add_nc_u64_e32 v[16:17], v[24:25], v[16:17]
	v_add_co_u32 v3, vcc_lo, v16, v12
	s_delay_alu instid0(VALU_DEP_2) | instskip(NEXT) | instid1(VALU_DEP_4)
	v_add_co_ci_u32_e32 v24, vcc_lo, v17, v13, vcc_lo
	v_add_co_ci_u32_e32 v21, vcc_lo, 0, v21, vcc_lo
	s_delay_alu instid0(VALU_DEP_1) | instskip(NEXT) | instid1(VALU_DEP_1)
	v_add_nc_u64_e32 v[12:13], v[24:25], v[20:21]
	v_mul_u64_e32 v[16:17], s[52:53], v[12:13]
	s_delay_alu instid0(VALU_DEP_1) | instskip(NEXT) | instid1(VALU_DEP_2)
	v_sub_nc_u32_e32 v3, v18, v17
	v_sub_co_u32 v11, vcc_lo, v14, v16
	s_delay_alu instid0(VALU_DEP_1) | instskip(NEXT) | instid1(VALU_DEP_3)
	v_sub_co_ci_u32_e64 v18, null, v18, v17, vcc_lo
	v_subrev_co_ci_u32_e64 v3, null, s53, v3, vcc_lo
	s_delay_alu instid0(VALU_DEP_3) | instskip(SKIP_1) | instid1(VALU_DEP_3)
	v_sub_co_u32 v14, s0, v11, s52
	v_add_nc_u64_e32 v[16:17], 1, v[12:13]
	v_subrev_co_ci_u32_e64 v3, null, 0, v3, s0
	s_delay_alu instid0(VALU_DEP_3) | instskip(SKIP_1) | instid1(VALU_DEP_3)
	v_cmp_le_u32_e32 vcc_lo, s52, v14
	v_cndmask_b32_e64 v14, 0, -1, vcc_lo
	v_cmp_le_u32_e32 vcc_lo, s53, v3
	v_cndmask_b32_e64 v15, 0, -1, vcc_lo
	;; [unrolled: 2-line block ×4, first 2 shown]
	v_cmp_eq_u32_e32 vcc_lo, s53, v3
	v_cndmask_b32_e32 v3, v15, v14, vcc_lo
	v_cmp_eq_u32_e32 vcc_lo, s53, v18
	v_add_nc_u64_e32 v[14:15], 2, v[12:13]
	v_cndmask_b32_e32 v11, v19, v11, vcc_lo
	s_delay_alu instid0(VALU_DEP_4) | instskip(NEXT) | instid1(VALU_DEP_2)
	v_cmp_ne_u32_e32 vcc_lo, 0, v3
	v_cmp_ne_u32_e64 s0, 0, v11
	s_delay_alu instid0(VALU_DEP_4) | instskip(NEXT) | instid1(VALU_DEP_1)
	v_dual_cndmask_b32 v3, v17, v15, vcc_lo :: v_dual_cndmask_b32 v11, v16, v14, vcc_lo
	v_dual_cndmask_b32 v3, v13, v3, s0 :: v_dual_bitop2_b32 v10, s50, v10 bitop3:0x14
	s_delay_alu instid0(VALU_DEP_1) | instskip(NEXT) | instid1(VALU_DEP_2)
	v_dual_cndmask_b32 v12, v12, v11, s0 :: v_dual_mov_b32 v11, v10
	v_xor_b32_e32 v13, v3, v10
	s_delay_alu instid0(VALU_DEP_2) | instskip(NEXT) | instid1(VALU_DEP_1)
	v_xor_b32_e32 v12, v12, v10
	v_sub_nc_u64_e32 v[10:11], v[12:13], v[10:11]
.LBB62_1294:                            ;   in Loop: Header=BB62_1292 Depth=1
	s_and_not1_saveexec_b32 s0, s81
	s_cbranch_execz .LBB62_1291
; %bb.1295:                             ;   in Loop: Header=BB62_1292 Depth=1
	v_cvt_f32_u32_e32 v3, s48
	s_sub_co_i32 s50, 0, s48
	s_delay_alu instid0(VALU_DEP_1) | instskip(SKIP_1) | instid1(TRANS32_DEP_1)
	v_rcp_iflag_f32_e32 v3, v3
	v_nop
	v_mul_f32_e32 v3, 0x4f7ffffe, v3
	s_delay_alu instid0(VALU_DEP_1) | instskip(NEXT) | instid1(VALU_DEP_1)
	v_cvt_u32_f32_e32 v3, v3
	v_mul_lo_u32 v10, s50, v3
	s_delay_alu instid0(VALU_DEP_1) | instskip(NEXT) | instid1(VALU_DEP_1)
	v_mul_hi_u32 v10, v3, v10
	v_add_nc_u32_e32 v3, v3, v10
	s_delay_alu instid0(VALU_DEP_1) | instskip(NEXT) | instid1(VALU_DEP_1)
	v_mul_hi_u32 v3, v8, v3
	v_mul_lo_u32 v10, v3, s48
	s_delay_alu instid0(VALU_DEP_1) | instskip(NEXT) | instid1(VALU_DEP_1)
	v_dual_add_nc_u32 v11, 1, v3 :: v_dual_sub_nc_u32 v10, v8, v10
	v_subrev_nc_u32_e32 v12, s48, v10
	v_cmp_le_u32_e32 vcc_lo, s48, v10
	s_delay_alu instid0(VALU_DEP_2) | instskip(NEXT) | instid1(VALU_DEP_1)
	v_dual_cndmask_b32 v10, v10, v12 :: v_dual_cndmask_b32 v3, v3, v11
	v_cmp_le_u32_e32 vcc_lo, s48, v10
	s_delay_alu instid0(VALU_DEP_2) | instskip(NEXT) | instid1(VALU_DEP_1)
	v_add_nc_u32_e32 v11, 1, v3
	v_dual_cndmask_b32 v10, v3, v11 :: v_dual_mov_b32 v11, v2
	s_branch .LBB62_1291
.LBB62_1296:
	s_mov_b32 s0, 0
	s_mov_b32 s1, s61
	;; [unrolled: 1-line block ×6, first 2 shown]
.LBB62_1297:
                                        ; implicit-def: $vgpr22
.LBB62_1298:
	s_and_not1_b32 s45, s61, exec_lo
	s_and_b32 s1, s1, exec_lo
	s_and_not1_b32 s46, s63, exec_lo
	s_and_b32 s31, s31, exec_lo
	s_or_b32 s80, s45, s1
	s_or_b32 s81, s46, s31
	s_and_not1_b32 s1, s64, exec_lo
	s_and_b32 s31, s34, exec_lo
	s_and_not1_b32 s34, s65, exec_lo
	s_and_b32 s44, s44, exec_lo
	s_or_b32 s82, s1, s31
	s_or_b32 s78, s34, s44
	;; [unrolled: 6-line block ×5, first 2 shown]
	s_or_not1_b32 s35, s0, exec_lo
.LBB62_1299:
	s_wait_xcnt 0x0
	s_or_b32 exec_lo, exec_lo, s83
	s_mov_b32 s1, 0
	s_mov_b32 s31, 0
	;; [unrolled: 1-line block ×3, first 2 shown]
                                        ; implicit-def: $sgpr0
                                        ; implicit-def: $vgpr2_vgpr3
                                        ; implicit-def: $vgpr0_vgpr1
	s_and_saveexec_b32 s83, s35
	s_cbranch_execz .LBB62_2139
; %bb.1300:
	s_mov_b32 s85, -1
	s_mov_b32 s1, s73
	s_mov_b32 s35, s75
	s_mov_b32 s31, s74
	s_mov_b32 s45, s77
	s_mov_b32 s34, s76
	s_mov_b32 s47, s79
	s_mov_b32 s44, s78
	s_mov_b32 s48, s82
	s_mov_b32 s46, s81
	s_mov_b32 s49, s80
	s_mov_b32 s84, exec_lo
	v_cmpx_gt_i32_e64 s62, v22
	s_cbranch_execz .LBB62_2047
; %bb.1301:
	s_wait_loadcnt 0x0
	v_mul_lo_u32 v0, v22, s17
	s_and_b32 s0, s54, 0xff
	s_delay_alu instid0(SALU_CYCLE_1) | instskip(NEXT) | instid1(VALU_DEP_1)
	s_cmp_lt_i32 s0, 11
	v_ashrrev_i32_e32 v1, 31, v0
	s_delay_alu instid0(VALU_DEP_1)
	v_add_nc_u64_e32 v[2:3], s[6:7], v[0:1]
	s_cbranch_scc1 .LBB62_1308
; %bb.1302:
	s_and_b32 s1, 0xffff, s0
	s_delay_alu instid0(SALU_CYCLE_1)
	s_cmp_gt_i32 s1, 25
	s_cbranch_scc0 .LBB62_1309
; %bb.1303:
	s_cmp_gt_i32 s1, 28
	s_cbranch_scc0 .LBB62_1310
; %bb.1304:
	;; [unrolled: 3-line block ×4, first 2 shown]
	s_cmp_eq_u32 s1, 46
	s_mov_b32 s34, 0
	s_cbranch_scc0 .LBB62_1327
; %bb.1307:
	global_load_b32 v0, v[2:3], off
	s_mov_b32 s31, -1
	s_mov_b32 s85, 0
	s_wait_loadcnt 0x0
	v_lshlrev_b32_e32 v0, 16, v0
	s_delay_alu instid0(VALU_DEP_1) | instskip(NEXT) | instid1(VALU_DEP_1)
	v_trunc_f32_e32 v0, v0
	v_mul_f32_e64 v1, 0x2f800000, |v0|
	s_delay_alu instid0(VALU_DEP_1) | instskip(NEXT) | instid1(VALU_DEP_1)
	v_floor_f32_e32 v1, v1
	v_fma_f32 v4, 0xcf800000, v1, |v0|
	v_ashrrev_i32_e32 v0, 31, v0
	v_cvt_u32_f32_e32 v5, v1
	s_delay_alu instid0(VALU_DEP_3) | instskip(NEXT) | instid1(VALU_DEP_2)
	v_cvt_u32_f32_e32 v4, v4
	v_dual_mov_b32 v1, v0 :: v_dual_bitop2_b32 v5, v5, v0 bitop3:0x14
	s_delay_alu instid0(VALU_DEP_2) | instskip(NEXT) | instid1(VALU_DEP_1)
	v_xor_b32_e32 v4, v4, v0
	v_sub_nc_u64_e32 v[0:1], v[4:5], v[0:1]
	s_branch .LBB62_1329
.LBB62_1308:
	s_mov_b32 s1, -1
	s_mov_b32 s31, 0
	s_mov_b32 s85, s73
                                        ; implicit-def: $vgpr0_vgpr1
	s_branch .LBB62_1390
.LBB62_1309:
	s_mov_b32 s34, -1
	s_mov_b32 s31, 0
	s_mov_b32 s85, s73
                                        ; implicit-def: $vgpr0_vgpr1
	s_branch .LBB62_1356
.LBB62_1310:
	s_mov_b32 s34, -1
	s_mov_b32 s31, 0
	s_mov_b32 s85, s73
                                        ; implicit-def: $vgpr0_vgpr1
	s_branch .LBB62_1339
.LBB62_1311:
	s_mov_b32 s34, -1
	s_mov_b32 s31, 0
	s_mov_b32 s85, s73
                                        ; implicit-def: $vgpr0_vgpr1
	s_branch .LBB62_1334
.LBB62_1312:
	s_mov_b32 s35, -1
	s_mov_b32 s0, s63
	s_mov_b32 s1, exec_lo
	v_cmpx_gt_i64_e64 v[6:7], v[4:5]
	s_cbranch_execz .LBB62_1319
; %bb.1313:
	s_delay_alu instid0(VALU_DEP_2) | instskip(SKIP_2) | instid1(VALU_DEP_1)
	v_lshlrev_b64_e32 v[0:1], 3, v[0:1]
	s_mov_b32 s0, 0
	s_xor_b32 s34, s56, -1
                                        ; implicit-def: $sgpr31
                                        ; implicit-def: $sgpr44
                                        ; implicit-def: $sgpr35
	v_lshl_add_u64 v[2:3], v[4:5], 3, v[0:1]
	v_add_nc_u64_e32 v[4:5], s[24:25], v[0:1]
	s_delay_alu instid0(VALU_DEP_2) | instskip(NEXT) | instid1(VALU_DEP_1)
	v_add_nc_u64_e32 v[2:3], s[24:25], v[2:3]
	v_add_nc_u64_e32 v[0:1], 8, v[2:3]
	s_delay_alu instid0(VALU_DEP_3)
	v_lshl_add_u64 v[2:3], v[6:7], 3, v[4:5]
	s_branch .LBB62_1315
.LBB62_1314:                            ;   in Loop: Header=BB62_1315 Depth=1
	s_or_b32 exec_lo, exec_lo, s45
	s_delay_alu instid0(SALU_CYCLE_1) | instskip(NEXT) | instid1(SALU_CYCLE_1)
	s_and_b32 s45, exec_lo, s44
	s_or_b32 s0, s45, s0
	s_and_not1_b32 s31, s31, exec_lo
	s_and_b32 s45, s35, exec_lo
	s_delay_alu instid0(SALU_CYCLE_1)
	s_or_b32 s31, s31, s45
	s_and_not1_b32 exec_lo, exec_lo, s0
	s_cbranch_execz .LBB62_1318
.LBB62_1315:                            ; =>This Inner Loop Header: Depth=1
	s_or_b32 s35, s35, exec_lo
	s_or_b32 s44, s44, exec_lo
	s_mov_b32 s45, exec_lo
	s_delay_alu instid0(VALU_DEP_2)
	v_cmpx_lt_u64_e64 v[0:1], v[2:3]
	s_cbranch_execz .LBB62_1314
; %bb.1316:                             ;   in Loop: Header=BB62_1315 Depth=1
	global_load_b128 v[4:7], v[0:1], off offset:-8
	s_wait_xcnt 0x0
	v_add_nc_u64_e32 v[0:1], 8, v[0:1]
	s_and_not1_b32 s44, s44, exec_lo
	s_and_not1_b32 s35, s35, exec_lo
	s_wait_loadcnt 0x0
	v_cmp_ge_i64_e32 vcc_lo, v[4:5], v[6:7]
	s_or_b32 s46, s34, vcc_lo
	s_delay_alu instid0(SALU_CYCLE_1) | instskip(NEXT) | instid1(SALU_CYCLE_1)
	s_and_b32 s46, s46, exec_lo
	s_or_b32 s44, s44, s46
	s_branch .LBB62_1314
.LBB62_1317:
	s_mov_b32 s34, -1
	s_mov_b32 s31, 0
	s_mov_b32 s85, s73
	s_branch .LBB62_1328
.LBB62_1318:
	s_or_b32 exec_lo, exec_lo, s0
	s_delay_alu instid0(SALU_CYCLE_1)
	s_or_b32 s0, s63, exec_lo
	s_or_not1_b32 s35, s31, exec_lo
.LBB62_1319:
	s_or_b32 exec_lo, exec_lo, s1
	s_mov_b32 s34, 0
	s_mov_b32 s31, s61
	s_and_saveexec_b32 s1, s35
	s_cbranch_execz .LBB62_3590
; %bb.1320:
	v_mul_lo_u32 v0, v22, s16
	s_and_b32 s34, s26, 0xff
	s_delay_alu instid0(SALU_CYCLE_1) | instskip(NEXT) | instid1(VALU_DEP_1)
	s_cmp_lt_i32 s34, 11
	v_ashrrev_i32_e32 v1, 31, v0
	s_delay_alu instid0(VALU_DEP_1)
	v_add_nc_u64_e32 v[0:1], s[4:5], v[0:1]
	s_cbranch_scc1 .LBB62_1453
; %bb.1321:
	s_and_b32 s35, 0xffff, s34
	s_delay_alu instid0(SALU_CYCLE_1)
	s_cmp_gt_i32 s35, 25
	s_cbranch_scc0 .LBB62_1580
; %bb.1322:
	s_cmp_gt_i32 s35, 28
	s_cbranch_scc0 .LBB62_1707
; %bb.1323:
	;; [unrolled: 3-line block ×4, first 2 shown]
	s_mov_b32 s45, 0
	s_mov_b32 s31, -1
	s_cmp_eq_u32 s35, 46
	s_mov_b32 s44, 0
	s_cbranch_scc0 .LBB62_3508
; %bb.1326:
	v_mov_b32_e32 v2, 0
	s_mov_b32 s44, -1
	s_mov_b32 s31, 0
	global_store_b32 v[0:1], v2, off
	s_branch .LBB62_3508
.LBB62_1327:
	s_mov_b32 s31, 0
.LBB62_1328:
                                        ; implicit-def: $vgpr0_vgpr1
.LBB62_1329:
	s_and_b32 vcc_lo, exec_lo, s34
	s_cbranch_vccz .LBB62_1333
; %bb.1330:
	s_cmp_eq_u32 s1, 44
	s_cbranch_scc0 .LBB62_1332
; %bb.1331:
	global_load_u8 v6, v[2:3], off
	s_mov_b32 s85, 0
	s_mov_b32 s31, -1
	s_wait_loadcnt 0x0
	v_cmp_ne_u32_e32 vcc_lo, 0, v6
	v_lshlrev_b32_e32 v0, 23, v6
	s_delay_alu instid0(VALU_DEP_1) | instskip(NEXT) | instid1(VALU_DEP_1)
	v_trunc_f32_e32 v0, v0
	v_mul_f32_e64 v1, 0x2f800000, |v0|
	s_delay_alu instid0(VALU_DEP_1) | instskip(NEXT) | instid1(VALU_DEP_1)
	v_floor_f32_e32 v1, v1
	v_fma_f32 v4, 0xcf800000, v1, |v0|
	v_ashrrev_i32_e32 v0, 31, v0
	v_cvt_u32_f32_e32 v5, v1
	s_delay_alu instid0(VALU_DEP_3) | instskip(NEXT) | instid1(VALU_DEP_2)
	v_cvt_u32_f32_e32 v4, v4
	v_dual_mov_b32 v1, v0 :: v_dual_bitop2_b32 v5, v5, v0 bitop3:0x14
	s_delay_alu instid0(VALU_DEP_2) | instskip(NEXT) | instid1(VALU_DEP_1)
	v_xor_b32_e32 v4, v4, v0
	v_sub_nc_u64_e32 v[0:1], v[4:5], v[0:1]
	s_delay_alu instid0(VALU_DEP_1)
	v_dual_cndmask_b32 v1, 0, v1 :: v_dual_cndmask_b32 v0, 0, v0
	s_branch .LBB62_1333
.LBB62_1332:
	s_mov_b32 s85, -1
                                        ; implicit-def: $vgpr0_vgpr1
.LBB62_1333:
	s_mov_b32 s34, 0
.LBB62_1334:
	s_delay_alu instid0(SALU_CYCLE_1)
	s_and_b32 vcc_lo, exec_lo, s34
	s_cbranch_vccz .LBB62_1338
; %bb.1335:
	s_cmp_eq_u32 s1, 29
	s_cbranch_scc0 .LBB62_1337
; %bb.1336:
	global_load_b64 v[0:1], v[2:3], off
	s_mov_b32 s31, -1
	s_mov_b32 s85, 0
	s_branch .LBB62_1338
.LBB62_1337:
	s_mov_b32 s85, -1
                                        ; implicit-def: $vgpr0_vgpr1
.LBB62_1338:
	s_mov_b32 s34, 0
.LBB62_1339:
	s_delay_alu instid0(SALU_CYCLE_1)
	s_and_b32 vcc_lo, exec_lo, s34
	s_cbranch_vccz .LBB62_1355
; %bb.1340:
	s_cmp_lt_i32 s1, 27
	s_cbranch_scc1 .LBB62_1343
; %bb.1341:
	s_cmp_gt_i32 s1, 27
	s_cbranch_scc0 .LBB62_1344
; %bb.1342:
	s_wait_loadcnt 0x0
	global_load_b32 v0, v[2:3], off
	v_mov_b32_e32 v1, 0
	s_mov_b32 s31, 0
	s_branch .LBB62_1345
.LBB62_1343:
	s_mov_b32 s31, -1
                                        ; implicit-def: $vgpr0_vgpr1
	s_branch .LBB62_1348
.LBB62_1344:
	s_mov_b32 s31, -1
                                        ; implicit-def: $vgpr0_vgpr1
.LBB62_1345:
	s_delay_alu instid0(SALU_CYCLE_1)
	s_and_not1_b32 vcc_lo, exec_lo, s31
	s_cbranch_vccnz .LBB62_1347
; %bb.1346:
	s_wait_loadcnt 0x0
	global_load_u16 v0, v[2:3], off
	s_mov_b32 s31, 0
	s_delay_alu instid0(SALU_CYCLE_1)
	v_mov_b32_e32 v1, s31
	s_wait_loadcnt 0x0
	v_and_b32_e32 v0, 0xffff, v0
.LBB62_1347:
	s_mov_b32 s31, 0
.LBB62_1348:
	s_delay_alu instid0(SALU_CYCLE_1)
	s_and_not1_b32 vcc_lo, exec_lo, s31
	s_cbranch_vccnz .LBB62_1354
; %bb.1349:
	global_load_u8 v4, v[2:3], off
	s_mov_b32 s34, 0
	s_mov_b32 s31, exec_lo
	s_wait_loadcnt 0x0
	v_cmpx_lt_i16_e32 0x7f, v4
	s_xor_b32 s31, exec_lo, s31
	s_cbranch_execz .LBB62_1366
; %bb.1350:
	v_cmp_ne_u16_e32 vcc_lo, 0x80, v4
	s_and_b32 s34, vcc_lo, exec_lo
	s_and_not1_saveexec_b32 s31, s31
	s_cbranch_execnz .LBB62_1367
.LBB62_1351:
	s_or_b32 exec_lo, exec_lo, s31
	v_mov_b64_e32 v[0:1], 0
	s_and_saveexec_b32 s31, s34
	s_cbranch_execz .LBB62_1353
.LBB62_1352:
	v_and_b32_e32 v0, 0xffff, v4
	s_delay_alu instid0(VALU_DEP_1) | instskip(SKIP_1) | instid1(VALU_DEP_2)
	v_and_b32_e32 v1, 7, v0
	v_bfe_u32 v7, v0, 3, 4
	v_clz_i32_u32_e32 v5, v1
	s_delay_alu instid0(VALU_DEP_2) | instskip(NEXT) | instid1(VALU_DEP_2)
	v_cmp_eq_u32_e32 vcc_lo, 0, v7
	v_min_u32_e32 v5, 32, v5
	s_delay_alu instid0(VALU_DEP_1) | instskip(NEXT) | instid1(VALU_DEP_1)
	v_subrev_nc_u32_e32 v6, 28, v5
	v_dual_lshlrev_b32 v0, v6, v0 :: v_dual_sub_nc_u32 v5, 29, v5
	s_delay_alu instid0(VALU_DEP_1) | instskip(NEXT) | instid1(VALU_DEP_2)
	v_and_b32_e32 v0, 7, v0
	v_dual_cndmask_b32 v5, v7, v5 :: v_dual_lshlrev_b32 v4, 24, v4
	s_delay_alu instid0(VALU_DEP_2) | instskip(NEXT) | instid1(VALU_DEP_2)
	v_cndmask_b32_e32 v0, v1, v0, vcc_lo
	v_and_b32_e32 v1, 0x80000000, v4
	s_delay_alu instid0(VALU_DEP_3) | instskip(NEXT) | instid1(VALU_DEP_3)
	v_lshl_add_u32 v4, v5, 23, 0x3b800000
	v_lshlrev_b32_e32 v0, 20, v0
	s_delay_alu instid0(VALU_DEP_1) | instskip(NEXT) | instid1(VALU_DEP_1)
	v_or3_b32 v0, v1, v4, v0
	v_trunc_f32_e32 v0, v0
	s_delay_alu instid0(VALU_DEP_1) | instskip(NEXT) | instid1(VALU_DEP_1)
	v_mul_f32_e64 v1, 0x2f800000, |v0|
	v_floor_f32_e32 v1, v1
	s_delay_alu instid0(VALU_DEP_1) | instskip(SKIP_2) | instid1(VALU_DEP_3)
	v_fma_f32 v4, 0xcf800000, v1, |v0|
	v_ashrrev_i32_e32 v0, 31, v0
	v_cvt_u32_f32_e32 v5, v1
	v_cvt_u32_f32_e32 v4, v4
	s_delay_alu instid0(VALU_DEP_2) | instskip(NEXT) | instid1(VALU_DEP_2)
	v_dual_mov_b32 v1, v0 :: v_dual_bitop2_b32 v5, v5, v0 bitop3:0x14
	v_xor_b32_e32 v4, v4, v0
	s_delay_alu instid0(VALU_DEP_1)
	v_sub_nc_u64_e32 v[0:1], v[4:5], v[0:1]
.LBB62_1353:
	s_or_b32 exec_lo, exec_lo, s31
.LBB62_1354:
	s_mov_b32 s31, -1
.LBB62_1355:
	s_mov_b32 s34, 0
.LBB62_1356:
	s_delay_alu instid0(SALU_CYCLE_1)
	s_and_b32 vcc_lo, exec_lo, s34
	s_cbranch_vccz .LBB62_1389
; %bb.1357:
	s_cmp_gt_i32 s1, 22
	s_cbranch_scc0 .LBB62_1365
; %bb.1358:
	s_cmp_lt_i32 s1, 24
	s_cbranch_scc1 .LBB62_1368
; %bb.1359:
	s_cmp_gt_i32 s1, 24
	s_cbranch_scc0 .LBB62_1369
; %bb.1360:
	global_load_u8 v4, v[2:3], off
	s_mov_b32 s34, 0
	s_mov_b32 s31, exec_lo
	s_wait_loadcnt 0x0
	v_cmpx_lt_i16_e32 0x7f, v4
	s_xor_b32 s31, exec_lo, s31
	s_cbranch_execz .LBB62_1381
; %bb.1361:
	v_cmp_ne_u16_e32 vcc_lo, 0x80, v4
	s_and_b32 s34, vcc_lo, exec_lo
	s_and_not1_saveexec_b32 s31, s31
	s_cbranch_execnz .LBB62_1382
.LBB62_1362:
	s_or_b32 exec_lo, exec_lo, s31
	v_mov_b64_e32 v[0:1], 0
	s_and_saveexec_b32 s31, s34
	s_cbranch_execz .LBB62_1364
.LBB62_1363:
	v_and_b32_e32 v0, 0xffff, v4
	s_delay_alu instid0(VALU_DEP_1) | instskip(SKIP_1) | instid1(VALU_DEP_2)
	v_and_b32_e32 v1, 3, v0
	v_bfe_u32 v7, v0, 2, 5
	v_clz_i32_u32_e32 v5, v1
	s_delay_alu instid0(VALU_DEP_2) | instskip(NEXT) | instid1(VALU_DEP_2)
	v_cmp_eq_u32_e32 vcc_lo, 0, v7
	v_min_u32_e32 v5, 32, v5
	s_delay_alu instid0(VALU_DEP_1) | instskip(NEXT) | instid1(VALU_DEP_1)
	v_subrev_nc_u32_e32 v6, 29, v5
	v_dual_lshlrev_b32 v0, v6, v0 :: v_dual_sub_nc_u32 v5, 30, v5
	s_delay_alu instid0(VALU_DEP_1) | instskip(NEXT) | instid1(VALU_DEP_2)
	v_and_b32_e32 v0, 3, v0
	v_dual_cndmask_b32 v5, v7, v5 :: v_dual_lshlrev_b32 v4, 24, v4
	s_delay_alu instid0(VALU_DEP_2) | instskip(NEXT) | instid1(VALU_DEP_2)
	v_cndmask_b32_e32 v0, v1, v0, vcc_lo
	v_and_b32_e32 v1, 0x80000000, v4
	s_delay_alu instid0(VALU_DEP_3) | instskip(NEXT) | instid1(VALU_DEP_3)
	v_lshl_add_u32 v4, v5, 23, 0x37800000
	v_lshlrev_b32_e32 v0, 21, v0
	s_delay_alu instid0(VALU_DEP_1) | instskip(NEXT) | instid1(VALU_DEP_1)
	v_or3_b32 v0, v1, v4, v0
	v_trunc_f32_e32 v0, v0
	s_delay_alu instid0(VALU_DEP_1) | instskip(NEXT) | instid1(VALU_DEP_1)
	v_mul_f32_e64 v1, 0x2f800000, |v0|
	v_floor_f32_e32 v1, v1
	s_delay_alu instid0(VALU_DEP_1) | instskip(SKIP_2) | instid1(VALU_DEP_3)
	v_fma_f32 v4, 0xcf800000, v1, |v0|
	v_ashrrev_i32_e32 v0, 31, v0
	v_cvt_u32_f32_e32 v5, v1
	v_cvt_u32_f32_e32 v4, v4
	s_delay_alu instid0(VALU_DEP_2) | instskip(NEXT) | instid1(VALU_DEP_2)
	v_dual_mov_b32 v1, v0 :: v_dual_bitop2_b32 v5, v5, v0 bitop3:0x14
	v_xor_b32_e32 v4, v4, v0
	s_delay_alu instid0(VALU_DEP_1)
	v_sub_nc_u64_e32 v[0:1], v[4:5], v[0:1]
.LBB62_1364:
	s_or_b32 exec_lo, exec_lo, s31
	s_mov_b32 s31, 0
	s_branch .LBB62_1370
.LBB62_1365:
	s_mov_b32 s34, -1
                                        ; implicit-def: $vgpr0_vgpr1
	s_branch .LBB62_1376
.LBB62_1366:
	s_and_not1_saveexec_b32 s31, s31
	s_cbranch_execz .LBB62_1351
.LBB62_1367:
	v_cmp_ne_u16_e32 vcc_lo, 0, v4
	s_and_not1_b32 s34, s34, exec_lo
	s_and_b32 s35, vcc_lo, exec_lo
	s_delay_alu instid0(SALU_CYCLE_1)
	s_or_b32 s34, s34, s35
	s_or_b32 exec_lo, exec_lo, s31
	v_mov_b64_e32 v[0:1], 0
	s_and_saveexec_b32 s31, s34
	s_cbranch_execnz .LBB62_1352
	s_branch .LBB62_1353
.LBB62_1368:
	s_mov_b32 s31, -1
                                        ; implicit-def: $vgpr0_vgpr1
	s_branch .LBB62_1373
.LBB62_1369:
	s_mov_b32 s31, -1
                                        ; implicit-def: $vgpr0_vgpr1
.LBB62_1370:
	s_delay_alu instid0(SALU_CYCLE_1)
	s_and_b32 vcc_lo, exec_lo, s31
	s_cbranch_vccz .LBB62_1372
; %bb.1371:
	s_wait_loadcnt 0x0
	global_load_u8 v0, v[2:3], off
	s_wait_loadcnt 0x0
	v_lshlrev_b32_e32 v0, 24, v0
	s_delay_alu instid0(VALU_DEP_1) | instskip(NEXT) | instid1(VALU_DEP_1)
	v_and_b32_e32 v1, 0x7f000000, v0
	v_clz_i32_u32_e32 v4, v1
	v_cmp_ne_u32_e32 vcc_lo, 0, v1
	v_add_nc_u32_e32 v6, 0x1000000, v1
	s_delay_alu instid0(VALU_DEP_3) | instskip(NEXT) | instid1(VALU_DEP_1)
	v_min_u32_e32 v4, 32, v4
	v_sub_nc_u32_e64 v4, v4, 4 clamp
	s_delay_alu instid0(VALU_DEP_1) | instskip(NEXT) | instid1(VALU_DEP_1)
	v_dual_lshlrev_b32 v5, v4, v1 :: v_dual_lshlrev_b32 v4, 23, v4
	v_lshrrev_b32_e32 v5, 4, v5
	s_delay_alu instid0(VALU_DEP_1) | instskip(NEXT) | instid1(VALU_DEP_1)
	v_dual_sub_nc_u32 v4, v5, v4 :: v_dual_ashrrev_i32 v5, 8, v6
	v_add_nc_u32_e32 v4, 0x3c000000, v4
	s_delay_alu instid0(VALU_DEP_1) | instskip(NEXT) | instid1(VALU_DEP_1)
	v_and_or_b32 v4, 0x7f800000, v5, v4
	v_cndmask_b32_e32 v1, 0, v4, vcc_lo
	s_delay_alu instid0(VALU_DEP_1) | instskip(NEXT) | instid1(VALU_DEP_1)
	v_and_or_b32 v0, 0x80000000, v0, v1
	v_trunc_f32_e32 v0, v0
	s_delay_alu instid0(VALU_DEP_1) | instskip(NEXT) | instid1(VALU_DEP_1)
	v_mul_f32_e64 v1, 0x2f800000, |v0|
	v_floor_f32_e32 v1, v1
	s_delay_alu instid0(VALU_DEP_1) | instskip(SKIP_2) | instid1(VALU_DEP_3)
	v_fma_f32 v4, 0xcf800000, v1, |v0|
	v_ashrrev_i32_e32 v0, 31, v0
	v_cvt_u32_f32_e32 v5, v1
	v_cvt_u32_f32_e32 v4, v4
	s_delay_alu instid0(VALU_DEP_2) | instskip(NEXT) | instid1(VALU_DEP_2)
	v_dual_mov_b32 v1, v0 :: v_dual_bitop2_b32 v5, v5, v0 bitop3:0x14
	v_xor_b32_e32 v4, v4, v0
	s_delay_alu instid0(VALU_DEP_1)
	v_sub_nc_u64_e32 v[0:1], v[4:5], v[0:1]
.LBB62_1372:
	s_mov_b32 s31, 0
.LBB62_1373:
	s_delay_alu instid0(SALU_CYCLE_1)
	s_and_not1_b32 vcc_lo, exec_lo, s31
	s_cbranch_vccnz .LBB62_1375
; %bb.1374:
	s_wait_loadcnt 0x0
	global_load_u8 v0, v[2:3], off
	s_wait_loadcnt 0x0
	v_lshlrev_b32_e32 v1, 25, v0
	v_lshlrev_b16 v0, 8, v0
	s_delay_alu instid0(VALU_DEP_1) | instskip(SKIP_1) | instid1(VALU_DEP_2)
	v_and_or_b32 v5, 0x7f00, v0, 0.5
	v_bfe_i32 v0, v0, 0, 16
	v_add_f32_e32 v5, -0.5, v5
	v_lshrrev_b32_e32 v4, 4, v1
	v_cmp_gt_u32_e32 vcc_lo, 0x8000000, v1
	s_delay_alu instid0(VALU_DEP_2) | instskip(NEXT) | instid1(VALU_DEP_1)
	v_or_b32_e32 v4, 0x70000000, v4
	v_mul_f32_e32 v4, 0x7800000, v4
	s_delay_alu instid0(VALU_DEP_1) | instskip(NEXT) | instid1(VALU_DEP_1)
	v_cndmask_b32_e32 v1, v4, v5, vcc_lo
	v_and_or_b32 v0, 0x80000000, v0, v1
	s_delay_alu instid0(VALU_DEP_1) | instskip(NEXT) | instid1(VALU_DEP_1)
	v_trunc_f32_e32 v0, v0
	v_mul_f32_e64 v1, 0x2f800000, |v0|
	s_delay_alu instid0(VALU_DEP_1) | instskip(NEXT) | instid1(VALU_DEP_1)
	v_floor_f32_e32 v1, v1
	v_fma_f32 v4, 0xcf800000, v1, |v0|
	v_ashrrev_i32_e32 v0, 31, v0
	v_cvt_u32_f32_e32 v5, v1
	s_delay_alu instid0(VALU_DEP_3) | instskip(NEXT) | instid1(VALU_DEP_2)
	v_cvt_u32_f32_e32 v4, v4
	v_dual_mov_b32 v1, v0 :: v_dual_bitop2_b32 v5, v5, v0 bitop3:0x14
	s_delay_alu instid0(VALU_DEP_2) | instskip(NEXT) | instid1(VALU_DEP_1)
	v_xor_b32_e32 v4, v4, v0
	v_sub_nc_u64_e32 v[0:1], v[4:5], v[0:1]
.LBB62_1375:
	s_mov_b32 s34, 0
	s_mov_b32 s31, -1
.LBB62_1376:
	s_and_not1_b32 vcc_lo, exec_lo, s34
	s_cbranch_vccnz .LBB62_1389
; %bb.1377:
	s_cmp_gt_i32 s1, 14
	s_cbranch_scc0 .LBB62_1380
; %bb.1378:
	s_cmp_eq_u32 s1, 15
	s_cbranch_scc0 .LBB62_1383
; %bb.1379:
	s_wait_loadcnt 0x0
	global_load_u16 v0, v[2:3], off
	s_mov_b32 s31, -1
	s_mov_b32 s85, 0
	s_wait_loadcnt 0x0
	v_lshlrev_b32_e32 v0, 16, v0
	s_delay_alu instid0(VALU_DEP_1) | instskip(NEXT) | instid1(VALU_DEP_1)
	v_trunc_f32_e32 v0, v0
	v_mul_f32_e64 v1, 0x2f800000, |v0|
	s_delay_alu instid0(VALU_DEP_1) | instskip(NEXT) | instid1(VALU_DEP_1)
	v_floor_f32_e32 v1, v1
	v_fma_f32 v4, 0xcf800000, v1, |v0|
	v_ashrrev_i32_e32 v0, 31, v0
	v_cvt_u32_f32_e32 v5, v1
	s_delay_alu instid0(VALU_DEP_3) | instskip(NEXT) | instid1(VALU_DEP_2)
	v_cvt_u32_f32_e32 v4, v4
	v_dual_mov_b32 v1, v0 :: v_dual_bitop2_b32 v5, v5, v0 bitop3:0x14
	s_delay_alu instid0(VALU_DEP_2) | instskip(NEXT) | instid1(VALU_DEP_1)
	v_xor_b32_e32 v4, v4, v0
	v_sub_nc_u64_e32 v[0:1], v[4:5], v[0:1]
	s_branch .LBB62_1384
.LBB62_1380:
	s_mov_b32 s34, -1
                                        ; implicit-def: $vgpr0_vgpr1
	s_branch .LBB62_1385
.LBB62_1381:
	s_and_not1_saveexec_b32 s31, s31
	s_cbranch_execz .LBB62_1362
.LBB62_1382:
	v_cmp_ne_u16_e32 vcc_lo, 0, v4
	s_and_not1_b32 s34, s34, exec_lo
	s_and_b32 s35, vcc_lo, exec_lo
	s_delay_alu instid0(SALU_CYCLE_1)
	s_or_b32 s34, s34, s35
	s_or_b32 exec_lo, exec_lo, s31
	v_mov_b64_e32 v[0:1], 0
	s_and_saveexec_b32 s31, s34
	s_cbranch_execnz .LBB62_1363
	s_branch .LBB62_1364
.LBB62_1383:
	s_mov_b32 s85, -1
                                        ; implicit-def: $vgpr0_vgpr1
.LBB62_1384:
	s_mov_b32 s34, 0
.LBB62_1385:
	s_delay_alu instid0(SALU_CYCLE_1)
	s_and_b32 vcc_lo, exec_lo, s34
	s_cbranch_vccz .LBB62_1389
; %bb.1386:
	s_cmp_eq_u32 s1, 11
	s_cbranch_scc0 .LBB62_1388
; %bb.1387:
	s_wait_loadcnt 0x0
	global_load_u8 v0, v[2:3], off
	s_mov_b32 s85, 0
	s_mov_b32 s31, -1
	v_mov_b32_e32 v1, s85
	s_wait_loadcnt 0x0
	v_cmp_ne_u16_e32 vcc_lo, 0, v0
	v_cndmask_b32_e64 v0, 0, 1, vcc_lo
	s_branch .LBB62_1389
.LBB62_1388:
	s_mov_b32 s85, -1
                                        ; implicit-def: $vgpr0_vgpr1
.LBB62_1389:
	s_mov_b32 s1, 0
.LBB62_1390:
	s_delay_alu instid0(SALU_CYCLE_1)
	s_and_b32 vcc_lo, exec_lo, s1
	s_cbranch_vccz .LBB62_1439
; %bb.1391:
	s_and_b32 s0, 0xffff, s0
	s_delay_alu instid0(SALU_CYCLE_1)
	s_cmp_lt_i32 s0, 5
	s_cbranch_scc1 .LBB62_1396
; %bb.1392:
	s_cmp_lt_i32 s0, 8
	s_cbranch_scc1 .LBB62_1397
; %bb.1393:
	;; [unrolled: 3-line block ×3, first 2 shown]
	s_cmp_gt_i32 s0, 9
	s_cbranch_scc0 .LBB62_1399
; %bb.1395:
	s_wait_loadcnt 0x0
	global_load_b64 v[0:1], v[2:3], off
	s_mov_b32 s1, 0
	s_wait_loadcnt 0x0
	v_trunc_f64_e32 v[0:1], v[0:1]
	s_delay_alu instid0(VALU_DEP_1) | instskip(NEXT) | instid1(VALU_DEP_1)
	v_ldexp_f64 v[4:5], v[0:1], 0xffffffe0
	v_floor_f64_e32 v[4:5], v[4:5]
	s_delay_alu instid0(VALU_DEP_1) | instskip(SKIP_1) | instid1(VALU_DEP_2)
	v_fmamk_f64 v[6:7], v[4:5], 0xc1f00000, v[0:1]
	v_cvt_i32_f64_e32 v1, v[4:5]
	v_cvt_u32_f64_e32 v0, v[6:7]
	s_branch .LBB62_1400
.LBB62_1396:
	s_mov_b32 s1, -1
                                        ; implicit-def: $vgpr0_vgpr1
	s_branch .LBB62_1418
.LBB62_1397:
	s_mov_b32 s1, -1
                                        ; implicit-def: $vgpr0_vgpr1
	s_branch .LBB62_1406
.LBB62_1398:
	s_mov_b32 s1, -1
                                        ; implicit-def: $vgpr0_vgpr1
	s_branch .LBB62_1403
.LBB62_1399:
	s_mov_b32 s1, -1
                                        ; implicit-def: $vgpr0_vgpr1
.LBB62_1400:
	s_delay_alu instid0(SALU_CYCLE_1)
	s_and_not1_b32 vcc_lo, exec_lo, s1
	s_cbranch_vccnz .LBB62_1402
; %bb.1401:
	s_wait_loadcnt 0x0
	global_load_b32 v0, v[2:3], off
	s_wait_loadcnt 0x0
	v_trunc_f32_e32 v0, v0
	s_delay_alu instid0(VALU_DEP_1) | instskip(NEXT) | instid1(VALU_DEP_1)
	v_mul_f32_e64 v1, 0x2f800000, |v0|
	v_floor_f32_e32 v1, v1
	s_delay_alu instid0(VALU_DEP_1) | instskip(SKIP_2) | instid1(VALU_DEP_3)
	v_fma_f32 v4, 0xcf800000, v1, |v0|
	v_ashrrev_i32_e32 v0, 31, v0
	v_cvt_u32_f32_e32 v5, v1
	v_cvt_u32_f32_e32 v4, v4
	s_delay_alu instid0(VALU_DEP_2) | instskip(NEXT) | instid1(VALU_DEP_2)
	v_dual_mov_b32 v1, v0 :: v_dual_bitop2_b32 v5, v5, v0 bitop3:0x14
	v_xor_b32_e32 v4, v4, v0
	s_delay_alu instid0(VALU_DEP_1)
	v_sub_nc_u64_e32 v[0:1], v[4:5], v[0:1]
.LBB62_1402:
	s_mov_b32 s1, 0
.LBB62_1403:
	s_delay_alu instid0(SALU_CYCLE_1)
	s_and_not1_b32 vcc_lo, exec_lo, s1
	s_cbranch_vccnz .LBB62_1405
; %bb.1404:
	s_wait_loadcnt 0x0
	global_load_b32 v0, v[2:3], off
	s_wait_loadcnt 0x0
	v_cvt_f32_f16_e32 v0, v0
	s_delay_alu instid0(VALU_DEP_1) | instskip(NEXT) | instid1(VALU_DEP_1)
	v_cvt_i32_f32_e32 v0, v0
	v_ashrrev_i32_e32 v1, 31, v0
.LBB62_1405:
	s_mov_b32 s1, 0
.LBB62_1406:
	s_delay_alu instid0(SALU_CYCLE_1)
	s_and_not1_b32 vcc_lo, exec_lo, s1
	s_cbranch_vccnz .LBB62_1417
; %bb.1407:
	s_cmp_lt_i32 s0, 6
	s_cbranch_scc1 .LBB62_1410
; %bb.1408:
	s_cmp_gt_i32 s0, 6
	s_cbranch_scc0 .LBB62_1411
; %bb.1409:
	s_wait_loadcnt 0x0
	global_load_b64 v[0:1], v[2:3], off
	s_mov_b32 s1, 0
	s_wait_loadcnt 0x0
	v_trunc_f64_e32 v[0:1], v[0:1]
	s_delay_alu instid0(VALU_DEP_1) | instskip(NEXT) | instid1(VALU_DEP_1)
	v_ldexp_f64 v[4:5], v[0:1], 0xffffffe0
	v_floor_f64_e32 v[4:5], v[4:5]
	s_delay_alu instid0(VALU_DEP_1) | instskip(SKIP_1) | instid1(VALU_DEP_2)
	v_fmamk_f64 v[6:7], v[4:5], 0xc1f00000, v[0:1]
	v_cvt_i32_f64_e32 v1, v[4:5]
	v_cvt_u32_f64_e32 v0, v[6:7]
	s_branch .LBB62_1412
.LBB62_1410:
	s_mov_b32 s1, -1
                                        ; implicit-def: $vgpr0_vgpr1
	s_branch .LBB62_1415
.LBB62_1411:
	s_mov_b32 s1, -1
                                        ; implicit-def: $vgpr0_vgpr1
.LBB62_1412:
	s_delay_alu instid0(SALU_CYCLE_1)
	s_and_not1_b32 vcc_lo, exec_lo, s1
	s_cbranch_vccnz .LBB62_1414
; %bb.1413:
	s_wait_loadcnt 0x0
	global_load_b32 v0, v[2:3], off
	s_wait_loadcnt 0x0
	v_trunc_f32_e32 v0, v0
	s_delay_alu instid0(VALU_DEP_1) | instskip(NEXT) | instid1(VALU_DEP_1)
	v_mul_f32_e64 v1, 0x2f800000, |v0|
	v_floor_f32_e32 v1, v1
	s_delay_alu instid0(VALU_DEP_1) | instskip(SKIP_2) | instid1(VALU_DEP_3)
	v_fma_f32 v4, 0xcf800000, v1, |v0|
	v_ashrrev_i32_e32 v0, 31, v0
	v_cvt_u32_f32_e32 v5, v1
	v_cvt_u32_f32_e32 v4, v4
	s_delay_alu instid0(VALU_DEP_2) | instskip(NEXT) | instid1(VALU_DEP_2)
	v_dual_mov_b32 v1, v0 :: v_dual_bitop2_b32 v5, v5, v0 bitop3:0x14
	v_xor_b32_e32 v4, v4, v0
	s_delay_alu instid0(VALU_DEP_1)
	v_sub_nc_u64_e32 v[0:1], v[4:5], v[0:1]
.LBB62_1414:
	s_mov_b32 s1, 0
.LBB62_1415:
	s_delay_alu instid0(SALU_CYCLE_1)
	s_and_not1_b32 vcc_lo, exec_lo, s1
	s_cbranch_vccnz .LBB62_1417
; %bb.1416:
	s_wait_loadcnt 0x0
	global_load_u16 v0, v[2:3], off
	s_wait_loadcnt 0x0
	v_cvt_f32_f16_e32 v0, v0
	s_delay_alu instid0(VALU_DEP_1) | instskip(NEXT) | instid1(VALU_DEP_1)
	v_cvt_i32_f32_e32 v0, v0
	v_ashrrev_i32_e32 v1, 31, v0
.LBB62_1417:
	s_mov_b32 s1, 0
.LBB62_1418:
	s_delay_alu instid0(SALU_CYCLE_1)
	s_and_not1_b32 vcc_lo, exec_lo, s1
	s_cbranch_vccnz .LBB62_1438
; %bb.1419:
	s_cmp_lt_i32 s0, 2
	s_cbranch_scc1 .LBB62_1423
; %bb.1420:
	s_cmp_lt_i32 s0, 3
	s_cbranch_scc1 .LBB62_1424
; %bb.1421:
	s_cmp_gt_i32 s0, 3
	s_cbranch_scc0 .LBB62_1425
; %bb.1422:
	s_wait_loadcnt 0x0
	global_load_b64 v[0:1], v[2:3], off
	s_mov_b32 s1, 0
	s_branch .LBB62_1426
.LBB62_1423:
	s_mov_b32 s1, -1
                                        ; implicit-def: $vgpr0_vgpr1
	s_branch .LBB62_1432
.LBB62_1424:
	s_mov_b32 s1, -1
                                        ; implicit-def: $vgpr0_vgpr1
	s_branch .LBB62_1429
.LBB62_1425:
	s_mov_b32 s1, -1
                                        ; implicit-def: $vgpr0_vgpr1
.LBB62_1426:
	s_delay_alu instid0(SALU_CYCLE_1)
	s_and_not1_b32 vcc_lo, exec_lo, s1
	s_cbranch_vccnz .LBB62_1428
; %bb.1427:
	s_wait_loadcnt 0x0
	global_load_b32 v0, v[2:3], off
	s_wait_loadcnt 0x0
	v_ashrrev_i32_e32 v1, 31, v0
.LBB62_1428:
	s_mov_b32 s1, 0
.LBB62_1429:
	s_delay_alu instid0(SALU_CYCLE_1)
	s_and_not1_b32 vcc_lo, exec_lo, s1
	s_cbranch_vccnz .LBB62_1431
; %bb.1430:
	s_wait_loadcnt 0x0
	global_load_u16 v0, v[2:3], off
	s_wait_loadcnt 0x0
	v_bfe_i32 v0, v0, 0, 16
	s_delay_alu instid0(VALU_DEP_1)
	v_ashrrev_i32_e32 v1, 31, v0
.LBB62_1431:
	s_mov_b32 s1, 0
.LBB62_1432:
	s_delay_alu instid0(SALU_CYCLE_1)
	s_and_not1_b32 vcc_lo, exec_lo, s1
	s_cbranch_vccnz .LBB62_1438
; %bb.1433:
	s_cmp_gt_i32 s0, 0
	s_mov_b32 s0, 0
	s_cbranch_scc0 .LBB62_1435
; %bb.1434:
	s_wait_loadcnt 0x0
	global_load_i8 v0, v[2:3], off
	s_wait_loadcnt 0x0
	v_bfe_i32 v0, v0, 0, 16
	s_delay_alu instid0(VALU_DEP_1)
	v_ashrrev_i32_e32 v1, 31, v0
	s_branch .LBB62_1436
.LBB62_1435:
	s_mov_b32 s0, -1
                                        ; implicit-def: $vgpr0_vgpr1
.LBB62_1436:
	s_delay_alu instid0(SALU_CYCLE_1)
	s_and_not1_b32 vcc_lo, exec_lo, s0
	s_cbranch_vccnz .LBB62_1438
; %bb.1437:
	s_wait_loadcnt 0x0
	global_load_u8 v0, v[2:3], off
	s_mov_b32 s0, 0
	s_delay_alu instid0(SALU_CYCLE_1)
	v_mov_b32_e32 v1, s0
	s_wait_loadcnt 0x0
	v_and_b32_e32 v0, 0xffff, v0
.LBB62_1438:
	s_mov_b32 s31, -1
.LBB62_1439:
	s_delay_alu instid0(SALU_CYCLE_1)
	s_and_not1_b32 vcc_lo, exec_lo, s31
	s_cbranch_vccnz .LBB62_1447
; %bb.1440:
	s_wait_xcnt 0x0
	v_mul_lo_u32 v2, v22, s18
	s_and_b32 s0, s33, 0xff
	s_delay_alu instid0(SALU_CYCLE_1) | instskip(NEXT) | instid1(VALU_DEP_1)
	s_cmp_lt_i32 s0, 11
	v_ashrrev_i32_e32 v3, 31, v2
	s_delay_alu instid0(VALU_DEP_1)
	v_add_nc_u64_e32 v[4:5], s[8:9], v[2:3]
	s_cbranch_scc1 .LBB62_1448
; %bb.1441:
	s_and_b32 s1, 0xffff, s0
	s_delay_alu instid0(SALU_CYCLE_1)
	s_cmp_gt_i32 s1, 25
	s_cbranch_scc0 .LBB62_1449
; %bb.1442:
	s_cmp_gt_i32 s1, 28
	s_cbranch_scc0 .LBB62_1450
; %bb.1443:
	;; [unrolled: 3-line block ×4, first 2 shown]
	s_cmp_eq_u32 s1, 46
	s_mov_b32 s34, 0
	s_cbranch_scc0 .LBB62_1454
; %bb.1446:
	global_load_b32 v2, v[4:5], off
	s_mov_b32 s31, -1
	s_mov_b32 s86, 0
	s_wait_loadcnt 0x0
	v_lshlrev_b32_e32 v2, 16, v2
	s_delay_alu instid0(VALU_DEP_1) | instskip(NEXT) | instid1(VALU_DEP_1)
	v_trunc_f32_e32 v2, v2
	v_mul_f32_e64 v3, 0x2f800000, |v2|
	s_delay_alu instid0(VALU_DEP_1) | instskip(NEXT) | instid1(VALU_DEP_1)
	v_floor_f32_e32 v3, v3
	v_fma_f32 v6, 0xcf800000, v3, |v2|
	v_ashrrev_i32_e32 v2, 31, v2
	v_cvt_u32_f32_e32 v7, v3
	s_delay_alu instid0(VALU_DEP_3) | instskip(NEXT) | instid1(VALU_DEP_2)
	v_cvt_u32_f32_e32 v6, v6
	v_dual_mov_b32 v3, v2 :: v_dual_bitop2_b32 v7, v7, v2 bitop3:0x14
	s_delay_alu instid0(VALU_DEP_2) | instskip(NEXT) | instid1(VALU_DEP_1)
	v_xor_b32_e32 v6, v6, v2
	v_sub_nc_u64_e32 v[2:3], v[6:7], v[2:3]
	s_branch .LBB62_1456
.LBB62_1447:
	s_mov_b32 s0, 0
	s_mov_b32 s1, s80
	;; [unrolled: 1-line block ×10, first 2 shown]
	s_branch .LBB62_2045
.LBB62_1448:
	s_mov_b32 s1, -1
	s_mov_b32 s31, 0
	s_mov_b32 s86, s75
                                        ; implicit-def: $vgpr2_vgpr3
	s_branch .LBB62_1517
.LBB62_1449:
	s_mov_b32 s34, -1
	s_mov_b32 s31, 0
	s_mov_b32 s86, s75
                                        ; implicit-def: $vgpr2_vgpr3
	s_branch .LBB62_1483
.LBB62_1450:
	s_mov_b32 s34, -1
	s_mov_b32 s31, 0
	s_mov_b32 s86, s75
                                        ; implicit-def: $vgpr2_vgpr3
	s_branch .LBB62_1466
.LBB62_1451:
	s_mov_b32 s34, -1
	s_mov_b32 s31, 0
	s_mov_b32 s86, s75
                                        ; implicit-def: $vgpr2_vgpr3
	s_branch .LBB62_1461
.LBB62_1452:
	s_mov_b32 s34, -1
	s_mov_b32 s31, 0
	s_mov_b32 s86, s75
	s_branch .LBB62_1455
.LBB62_1453:
	s_mov_b32 s35, -1
	s_mov_b32 s44, 0
	s_mov_b32 s31, s61
	s_branch .LBB62_3547
.LBB62_1454:
	s_mov_b32 s86, -1
	s_mov_b32 s31, 0
.LBB62_1455:
                                        ; implicit-def: $vgpr2_vgpr3
.LBB62_1456:
	s_and_b32 vcc_lo, exec_lo, s34
	s_cbranch_vccz .LBB62_1460
; %bb.1457:
	s_cmp_eq_u32 s1, 44
	s_cbranch_scc0 .LBB62_1459
; %bb.1458:
	global_load_u8 v8, v[4:5], off
	s_mov_b32 s86, 0
	s_mov_b32 s31, -1
	s_wait_loadcnt 0x0
	v_cmp_ne_u32_e32 vcc_lo, 0, v8
	v_lshlrev_b32_e32 v2, 23, v8
	s_delay_alu instid0(VALU_DEP_1) | instskip(NEXT) | instid1(VALU_DEP_1)
	v_trunc_f32_e32 v2, v2
	v_mul_f32_e64 v3, 0x2f800000, |v2|
	s_delay_alu instid0(VALU_DEP_1) | instskip(NEXT) | instid1(VALU_DEP_1)
	v_floor_f32_e32 v3, v3
	v_fma_f32 v6, 0xcf800000, v3, |v2|
	v_ashrrev_i32_e32 v2, 31, v2
	v_cvt_u32_f32_e32 v7, v3
	s_delay_alu instid0(VALU_DEP_3) | instskip(NEXT) | instid1(VALU_DEP_2)
	v_cvt_u32_f32_e32 v6, v6
	v_dual_mov_b32 v3, v2 :: v_dual_bitop2_b32 v7, v7, v2 bitop3:0x14
	s_delay_alu instid0(VALU_DEP_2) | instskip(NEXT) | instid1(VALU_DEP_1)
	v_xor_b32_e32 v6, v6, v2
	v_sub_nc_u64_e32 v[2:3], v[6:7], v[2:3]
	s_delay_alu instid0(VALU_DEP_1)
	v_dual_cndmask_b32 v3, 0, v3 :: v_dual_cndmask_b32 v2, 0, v2
	s_branch .LBB62_1460
.LBB62_1459:
	s_mov_b32 s86, -1
                                        ; implicit-def: $vgpr2_vgpr3
.LBB62_1460:
	s_mov_b32 s34, 0
.LBB62_1461:
	s_delay_alu instid0(SALU_CYCLE_1)
	s_and_b32 vcc_lo, exec_lo, s34
	s_cbranch_vccz .LBB62_1465
; %bb.1462:
	s_cmp_eq_u32 s1, 29
	s_cbranch_scc0 .LBB62_1464
; %bb.1463:
	global_load_b64 v[2:3], v[4:5], off
	s_mov_b32 s31, -1
	s_mov_b32 s86, 0
	s_branch .LBB62_1465
.LBB62_1464:
	s_mov_b32 s86, -1
                                        ; implicit-def: $vgpr2_vgpr3
.LBB62_1465:
	s_mov_b32 s34, 0
.LBB62_1466:
	s_delay_alu instid0(SALU_CYCLE_1)
	s_and_b32 vcc_lo, exec_lo, s34
	s_cbranch_vccz .LBB62_1482
; %bb.1467:
	s_cmp_lt_i32 s1, 27
	s_cbranch_scc1 .LBB62_1470
; %bb.1468:
	s_cmp_gt_i32 s1, 27
	s_cbranch_scc0 .LBB62_1471
; %bb.1469:
	s_wait_loadcnt 0x0
	global_load_b32 v2, v[4:5], off
	v_mov_b32_e32 v3, 0
	s_mov_b32 s31, 0
	s_branch .LBB62_1472
.LBB62_1470:
	s_mov_b32 s31, -1
                                        ; implicit-def: $vgpr2_vgpr3
	s_branch .LBB62_1475
.LBB62_1471:
	s_mov_b32 s31, -1
                                        ; implicit-def: $vgpr2_vgpr3
.LBB62_1472:
	s_delay_alu instid0(SALU_CYCLE_1)
	s_and_not1_b32 vcc_lo, exec_lo, s31
	s_cbranch_vccnz .LBB62_1474
; %bb.1473:
	s_wait_loadcnt 0x0
	global_load_u16 v2, v[4:5], off
	s_mov_b32 s31, 0
	s_delay_alu instid0(SALU_CYCLE_1)
	v_mov_b32_e32 v3, s31
	s_wait_loadcnt 0x0
	v_and_b32_e32 v2, 0xffff, v2
.LBB62_1474:
	s_mov_b32 s31, 0
.LBB62_1475:
	s_delay_alu instid0(SALU_CYCLE_1)
	s_and_not1_b32 vcc_lo, exec_lo, s31
	s_cbranch_vccnz .LBB62_1481
; %bb.1476:
	global_load_u8 v6, v[4:5], off
	s_mov_b32 s34, 0
	s_mov_b32 s31, exec_lo
	s_wait_loadcnt 0x0
	v_cmpx_lt_i16_e32 0x7f, v6
	s_xor_b32 s31, exec_lo, s31
	s_cbranch_execz .LBB62_1493
; %bb.1477:
	v_cmp_ne_u16_e32 vcc_lo, 0x80, v6
	s_and_b32 s34, vcc_lo, exec_lo
	s_and_not1_saveexec_b32 s31, s31
	s_cbranch_execnz .LBB62_1494
.LBB62_1478:
	s_or_b32 exec_lo, exec_lo, s31
	v_mov_b64_e32 v[2:3], 0
	s_and_saveexec_b32 s31, s34
	s_cbranch_execz .LBB62_1480
.LBB62_1479:
	v_and_b32_e32 v2, 0xffff, v6
	s_delay_alu instid0(VALU_DEP_1) | instskip(SKIP_1) | instid1(VALU_DEP_2)
	v_and_b32_e32 v3, 7, v2
	v_bfe_u32 v9, v2, 3, 4
	v_clz_i32_u32_e32 v7, v3
	s_delay_alu instid0(VALU_DEP_2) | instskip(NEXT) | instid1(VALU_DEP_2)
	v_cmp_eq_u32_e32 vcc_lo, 0, v9
	v_min_u32_e32 v7, 32, v7
	s_delay_alu instid0(VALU_DEP_1) | instskip(NEXT) | instid1(VALU_DEP_1)
	v_subrev_nc_u32_e32 v8, 28, v7
	v_dual_lshlrev_b32 v2, v8, v2 :: v_dual_sub_nc_u32 v7, 29, v7
	s_delay_alu instid0(VALU_DEP_1) | instskip(NEXT) | instid1(VALU_DEP_2)
	v_and_b32_e32 v2, 7, v2
	v_dual_cndmask_b32 v7, v9, v7 :: v_dual_lshlrev_b32 v6, 24, v6
	s_delay_alu instid0(VALU_DEP_2) | instskip(NEXT) | instid1(VALU_DEP_2)
	v_cndmask_b32_e32 v2, v3, v2, vcc_lo
	v_and_b32_e32 v3, 0x80000000, v6
	s_delay_alu instid0(VALU_DEP_3) | instskip(NEXT) | instid1(VALU_DEP_3)
	v_lshl_add_u32 v6, v7, 23, 0x3b800000
	v_lshlrev_b32_e32 v2, 20, v2
	s_delay_alu instid0(VALU_DEP_1) | instskip(NEXT) | instid1(VALU_DEP_1)
	v_or3_b32 v2, v3, v6, v2
	v_trunc_f32_e32 v2, v2
	s_delay_alu instid0(VALU_DEP_1) | instskip(NEXT) | instid1(VALU_DEP_1)
	v_mul_f32_e64 v3, 0x2f800000, |v2|
	v_floor_f32_e32 v3, v3
	s_delay_alu instid0(VALU_DEP_1) | instskip(SKIP_2) | instid1(VALU_DEP_3)
	v_fma_f32 v6, 0xcf800000, v3, |v2|
	v_ashrrev_i32_e32 v2, 31, v2
	v_cvt_u32_f32_e32 v7, v3
	v_cvt_u32_f32_e32 v6, v6
	s_delay_alu instid0(VALU_DEP_2) | instskip(NEXT) | instid1(VALU_DEP_2)
	v_dual_mov_b32 v3, v2 :: v_dual_bitop2_b32 v7, v7, v2 bitop3:0x14
	v_xor_b32_e32 v6, v6, v2
	s_delay_alu instid0(VALU_DEP_1)
	v_sub_nc_u64_e32 v[2:3], v[6:7], v[2:3]
.LBB62_1480:
	s_or_b32 exec_lo, exec_lo, s31
.LBB62_1481:
	s_mov_b32 s31, -1
.LBB62_1482:
	s_mov_b32 s34, 0
.LBB62_1483:
	s_delay_alu instid0(SALU_CYCLE_1)
	s_and_b32 vcc_lo, exec_lo, s34
	s_cbranch_vccz .LBB62_1516
; %bb.1484:
	s_cmp_gt_i32 s1, 22
	s_cbranch_scc0 .LBB62_1492
; %bb.1485:
	s_cmp_lt_i32 s1, 24
	s_cbranch_scc1 .LBB62_1495
; %bb.1486:
	s_cmp_gt_i32 s1, 24
	s_cbranch_scc0 .LBB62_1496
; %bb.1487:
	global_load_u8 v6, v[4:5], off
	s_mov_b32 s34, 0
	s_mov_b32 s31, exec_lo
	s_wait_loadcnt 0x0
	v_cmpx_lt_i16_e32 0x7f, v6
	s_xor_b32 s31, exec_lo, s31
	s_cbranch_execz .LBB62_1508
; %bb.1488:
	v_cmp_ne_u16_e32 vcc_lo, 0x80, v6
	s_and_b32 s34, vcc_lo, exec_lo
	s_and_not1_saveexec_b32 s31, s31
	s_cbranch_execnz .LBB62_1509
.LBB62_1489:
	s_or_b32 exec_lo, exec_lo, s31
	v_mov_b64_e32 v[2:3], 0
	s_and_saveexec_b32 s31, s34
	s_cbranch_execz .LBB62_1491
.LBB62_1490:
	v_and_b32_e32 v2, 0xffff, v6
	s_delay_alu instid0(VALU_DEP_1) | instskip(SKIP_1) | instid1(VALU_DEP_2)
	v_and_b32_e32 v3, 3, v2
	v_bfe_u32 v9, v2, 2, 5
	v_clz_i32_u32_e32 v7, v3
	s_delay_alu instid0(VALU_DEP_2) | instskip(NEXT) | instid1(VALU_DEP_2)
	v_cmp_eq_u32_e32 vcc_lo, 0, v9
	v_min_u32_e32 v7, 32, v7
	s_delay_alu instid0(VALU_DEP_1) | instskip(NEXT) | instid1(VALU_DEP_1)
	v_subrev_nc_u32_e32 v8, 29, v7
	v_dual_lshlrev_b32 v2, v8, v2 :: v_dual_sub_nc_u32 v7, 30, v7
	s_delay_alu instid0(VALU_DEP_1) | instskip(NEXT) | instid1(VALU_DEP_2)
	v_and_b32_e32 v2, 3, v2
	v_dual_cndmask_b32 v7, v9, v7 :: v_dual_lshlrev_b32 v6, 24, v6
	s_delay_alu instid0(VALU_DEP_2) | instskip(NEXT) | instid1(VALU_DEP_2)
	v_cndmask_b32_e32 v2, v3, v2, vcc_lo
	v_and_b32_e32 v3, 0x80000000, v6
	s_delay_alu instid0(VALU_DEP_3) | instskip(NEXT) | instid1(VALU_DEP_3)
	v_lshl_add_u32 v6, v7, 23, 0x37800000
	v_lshlrev_b32_e32 v2, 21, v2
	s_delay_alu instid0(VALU_DEP_1) | instskip(NEXT) | instid1(VALU_DEP_1)
	v_or3_b32 v2, v3, v6, v2
	v_trunc_f32_e32 v2, v2
	s_delay_alu instid0(VALU_DEP_1) | instskip(NEXT) | instid1(VALU_DEP_1)
	v_mul_f32_e64 v3, 0x2f800000, |v2|
	v_floor_f32_e32 v3, v3
	s_delay_alu instid0(VALU_DEP_1) | instskip(SKIP_2) | instid1(VALU_DEP_3)
	v_fma_f32 v6, 0xcf800000, v3, |v2|
	v_ashrrev_i32_e32 v2, 31, v2
	v_cvt_u32_f32_e32 v7, v3
	v_cvt_u32_f32_e32 v6, v6
	s_delay_alu instid0(VALU_DEP_2) | instskip(NEXT) | instid1(VALU_DEP_2)
	v_dual_mov_b32 v3, v2 :: v_dual_bitop2_b32 v7, v7, v2 bitop3:0x14
	v_xor_b32_e32 v6, v6, v2
	s_delay_alu instid0(VALU_DEP_1)
	v_sub_nc_u64_e32 v[2:3], v[6:7], v[2:3]
.LBB62_1491:
	s_or_b32 exec_lo, exec_lo, s31
	s_mov_b32 s31, 0
	s_branch .LBB62_1497
.LBB62_1492:
	s_mov_b32 s34, -1
                                        ; implicit-def: $vgpr2_vgpr3
	s_branch .LBB62_1503
.LBB62_1493:
	s_and_not1_saveexec_b32 s31, s31
	s_cbranch_execz .LBB62_1478
.LBB62_1494:
	v_cmp_ne_u16_e32 vcc_lo, 0, v6
	s_and_not1_b32 s34, s34, exec_lo
	s_and_b32 s35, vcc_lo, exec_lo
	s_delay_alu instid0(SALU_CYCLE_1)
	s_or_b32 s34, s34, s35
	s_or_b32 exec_lo, exec_lo, s31
	v_mov_b64_e32 v[2:3], 0
	s_and_saveexec_b32 s31, s34
	s_cbranch_execnz .LBB62_1479
	s_branch .LBB62_1480
.LBB62_1495:
	s_mov_b32 s31, -1
                                        ; implicit-def: $vgpr2_vgpr3
	s_branch .LBB62_1500
.LBB62_1496:
	s_mov_b32 s31, -1
                                        ; implicit-def: $vgpr2_vgpr3
.LBB62_1497:
	s_delay_alu instid0(SALU_CYCLE_1)
	s_and_b32 vcc_lo, exec_lo, s31
	s_cbranch_vccz .LBB62_1499
; %bb.1498:
	s_wait_loadcnt 0x0
	global_load_u8 v2, v[4:5], off
	s_wait_loadcnt 0x0
	v_lshlrev_b32_e32 v2, 24, v2
	s_delay_alu instid0(VALU_DEP_1) | instskip(NEXT) | instid1(VALU_DEP_1)
	v_and_b32_e32 v3, 0x7f000000, v2
	v_clz_i32_u32_e32 v6, v3
	v_cmp_ne_u32_e32 vcc_lo, 0, v3
	v_add_nc_u32_e32 v8, 0x1000000, v3
	s_delay_alu instid0(VALU_DEP_3) | instskip(NEXT) | instid1(VALU_DEP_1)
	v_min_u32_e32 v6, 32, v6
	v_sub_nc_u32_e64 v6, v6, 4 clamp
	s_delay_alu instid0(VALU_DEP_1) | instskip(NEXT) | instid1(VALU_DEP_1)
	v_dual_lshlrev_b32 v7, v6, v3 :: v_dual_lshlrev_b32 v6, 23, v6
	v_lshrrev_b32_e32 v7, 4, v7
	s_delay_alu instid0(VALU_DEP_1) | instskip(NEXT) | instid1(VALU_DEP_1)
	v_dual_sub_nc_u32 v6, v7, v6 :: v_dual_ashrrev_i32 v7, 8, v8
	v_add_nc_u32_e32 v6, 0x3c000000, v6
	s_delay_alu instid0(VALU_DEP_1) | instskip(NEXT) | instid1(VALU_DEP_1)
	v_and_or_b32 v6, 0x7f800000, v7, v6
	v_cndmask_b32_e32 v3, 0, v6, vcc_lo
	s_delay_alu instid0(VALU_DEP_1) | instskip(NEXT) | instid1(VALU_DEP_1)
	v_and_or_b32 v2, 0x80000000, v2, v3
	v_trunc_f32_e32 v2, v2
	s_delay_alu instid0(VALU_DEP_1) | instskip(NEXT) | instid1(VALU_DEP_1)
	v_mul_f32_e64 v3, 0x2f800000, |v2|
	v_floor_f32_e32 v3, v3
	s_delay_alu instid0(VALU_DEP_1) | instskip(SKIP_2) | instid1(VALU_DEP_3)
	v_fma_f32 v6, 0xcf800000, v3, |v2|
	v_ashrrev_i32_e32 v2, 31, v2
	v_cvt_u32_f32_e32 v7, v3
	v_cvt_u32_f32_e32 v6, v6
	s_delay_alu instid0(VALU_DEP_2) | instskip(NEXT) | instid1(VALU_DEP_2)
	v_dual_mov_b32 v3, v2 :: v_dual_bitop2_b32 v7, v7, v2 bitop3:0x14
	v_xor_b32_e32 v6, v6, v2
	s_delay_alu instid0(VALU_DEP_1)
	v_sub_nc_u64_e32 v[2:3], v[6:7], v[2:3]
.LBB62_1499:
	s_mov_b32 s31, 0
.LBB62_1500:
	s_delay_alu instid0(SALU_CYCLE_1)
	s_and_not1_b32 vcc_lo, exec_lo, s31
	s_cbranch_vccnz .LBB62_1502
; %bb.1501:
	s_wait_loadcnt 0x0
	global_load_u8 v2, v[4:5], off
	s_wait_loadcnt 0x0
	v_lshlrev_b32_e32 v3, 25, v2
	v_lshlrev_b16 v2, 8, v2
	s_delay_alu instid0(VALU_DEP_1) | instskip(SKIP_1) | instid1(VALU_DEP_2)
	v_and_or_b32 v7, 0x7f00, v2, 0.5
	v_bfe_i32 v2, v2, 0, 16
	v_add_f32_e32 v7, -0.5, v7
	v_lshrrev_b32_e32 v6, 4, v3
	v_cmp_gt_u32_e32 vcc_lo, 0x8000000, v3
	s_delay_alu instid0(VALU_DEP_2) | instskip(NEXT) | instid1(VALU_DEP_1)
	v_or_b32_e32 v6, 0x70000000, v6
	v_mul_f32_e32 v6, 0x7800000, v6
	s_delay_alu instid0(VALU_DEP_1) | instskip(NEXT) | instid1(VALU_DEP_1)
	v_cndmask_b32_e32 v3, v6, v7, vcc_lo
	v_and_or_b32 v2, 0x80000000, v2, v3
	s_delay_alu instid0(VALU_DEP_1) | instskip(NEXT) | instid1(VALU_DEP_1)
	v_trunc_f32_e32 v2, v2
	v_mul_f32_e64 v3, 0x2f800000, |v2|
	s_delay_alu instid0(VALU_DEP_1) | instskip(NEXT) | instid1(VALU_DEP_1)
	v_floor_f32_e32 v3, v3
	v_fma_f32 v6, 0xcf800000, v3, |v2|
	v_ashrrev_i32_e32 v2, 31, v2
	v_cvt_u32_f32_e32 v7, v3
	s_delay_alu instid0(VALU_DEP_3) | instskip(NEXT) | instid1(VALU_DEP_2)
	v_cvt_u32_f32_e32 v6, v6
	v_dual_mov_b32 v3, v2 :: v_dual_bitop2_b32 v7, v7, v2 bitop3:0x14
	s_delay_alu instid0(VALU_DEP_2) | instskip(NEXT) | instid1(VALU_DEP_1)
	v_xor_b32_e32 v6, v6, v2
	v_sub_nc_u64_e32 v[2:3], v[6:7], v[2:3]
.LBB62_1502:
	s_mov_b32 s34, 0
	s_mov_b32 s31, -1
.LBB62_1503:
	s_and_not1_b32 vcc_lo, exec_lo, s34
	s_cbranch_vccnz .LBB62_1516
; %bb.1504:
	s_cmp_gt_i32 s1, 14
	s_cbranch_scc0 .LBB62_1507
; %bb.1505:
	s_cmp_eq_u32 s1, 15
	s_cbranch_scc0 .LBB62_1510
; %bb.1506:
	s_wait_loadcnt 0x0
	global_load_u16 v2, v[4:5], off
	s_mov_b32 s31, -1
	s_mov_b32 s86, 0
	s_wait_loadcnt 0x0
	v_lshlrev_b32_e32 v2, 16, v2
	s_delay_alu instid0(VALU_DEP_1) | instskip(NEXT) | instid1(VALU_DEP_1)
	v_trunc_f32_e32 v2, v2
	v_mul_f32_e64 v3, 0x2f800000, |v2|
	s_delay_alu instid0(VALU_DEP_1) | instskip(NEXT) | instid1(VALU_DEP_1)
	v_floor_f32_e32 v3, v3
	v_fma_f32 v6, 0xcf800000, v3, |v2|
	v_ashrrev_i32_e32 v2, 31, v2
	v_cvt_u32_f32_e32 v7, v3
	s_delay_alu instid0(VALU_DEP_3) | instskip(NEXT) | instid1(VALU_DEP_2)
	v_cvt_u32_f32_e32 v6, v6
	v_dual_mov_b32 v3, v2 :: v_dual_bitop2_b32 v7, v7, v2 bitop3:0x14
	s_delay_alu instid0(VALU_DEP_2) | instskip(NEXT) | instid1(VALU_DEP_1)
	v_xor_b32_e32 v6, v6, v2
	v_sub_nc_u64_e32 v[2:3], v[6:7], v[2:3]
	s_branch .LBB62_1511
.LBB62_1507:
	s_mov_b32 s34, -1
                                        ; implicit-def: $vgpr2_vgpr3
	s_branch .LBB62_1512
.LBB62_1508:
	s_and_not1_saveexec_b32 s31, s31
	s_cbranch_execz .LBB62_1489
.LBB62_1509:
	v_cmp_ne_u16_e32 vcc_lo, 0, v6
	s_and_not1_b32 s34, s34, exec_lo
	s_and_b32 s35, vcc_lo, exec_lo
	s_delay_alu instid0(SALU_CYCLE_1)
	s_or_b32 s34, s34, s35
	s_or_b32 exec_lo, exec_lo, s31
	v_mov_b64_e32 v[2:3], 0
	s_and_saveexec_b32 s31, s34
	s_cbranch_execnz .LBB62_1490
	s_branch .LBB62_1491
.LBB62_1510:
	s_mov_b32 s86, -1
                                        ; implicit-def: $vgpr2_vgpr3
.LBB62_1511:
	s_mov_b32 s34, 0
.LBB62_1512:
	s_delay_alu instid0(SALU_CYCLE_1)
	s_and_b32 vcc_lo, exec_lo, s34
	s_cbranch_vccz .LBB62_1516
; %bb.1513:
	s_cmp_eq_u32 s1, 11
	s_cbranch_scc0 .LBB62_1515
; %bb.1514:
	s_wait_loadcnt 0x0
	global_load_u8 v2, v[4:5], off
	s_mov_b32 s86, 0
	s_mov_b32 s31, -1
	v_mov_b32_e32 v3, s86
	s_wait_loadcnt 0x0
	v_cmp_ne_u16_e32 vcc_lo, 0, v2
	v_cndmask_b32_e64 v2, 0, 1, vcc_lo
	s_branch .LBB62_1516
.LBB62_1515:
	s_mov_b32 s86, -1
                                        ; implicit-def: $vgpr2_vgpr3
.LBB62_1516:
	s_mov_b32 s1, 0
.LBB62_1517:
	s_delay_alu instid0(SALU_CYCLE_1)
	s_and_b32 vcc_lo, exec_lo, s1
	s_cbranch_vccz .LBB62_1566
; %bb.1518:
	s_and_b32 s0, 0xffff, s0
	s_delay_alu instid0(SALU_CYCLE_1)
	s_cmp_lt_i32 s0, 5
	s_cbranch_scc1 .LBB62_1523
; %bb.1519:
	s_cmp_lt_i32 s0, 8
	s_cbranch_scc1 .LBB62_1524
; %bb.1520:
	;; [unrolled: 3-line block ×3, first 2 shown]
	s_cmp_gt_i32 s0, 9
	s_cbranch_scc0 .LBB62_1526
; %bb.1522:
	s_wait_loadcnt 0x0
	global_load_b64 v[2:3], v[4:5], off
	s_mov_b32 s1, 0
	s_wait_loadcnt 0x0
	v_trunc_f64_e32 v[2:3], v[2:3]
	s_delay_alu instid0(VALU_DEP_1) | instskip(NEXT) | instid1(VALU_DEP_1)
	v_ldexp_f64 v[6:7], v[2:3], 0xffffffe0
	v_floor_f64_e32 v[6:7], v[6:7]
	s_delay_alu instid0(VALU_DEP_1) | instskip(SKIP_1) | instid1(VALU_DEP_2)
	v_fmamk_f64 v[8:9], v[6:7], 0xc1f00000, v[2:3]
	v_cvt_i32_f64_e32 v3, v[6:7]
	v_cvt_u32_f64_e32 v2, v[8:9]
	s_branch .LBB62_1527
.LBB62_1523:
	s_mov_b32 s1, -1
                                        ; implicit-def: $vgpr2_vgpr3
	s_branch .LBB62_1545
.LBB62_1524:
	s_mov_b32 s1, -1
                                        ; implicit-def: $vgpr2_vgpr3
	s_branch .LBB62_1533
.LBB62_1525:
	s_mov_b32 s1, -1
                                        ; implicit-def: $vgpr2_vgpr3
	s_branch .LBB62_1530
.LBB62_1526:
	s_mov_b32 s1, -1
                                        ; implicit-def: $vgpr2_vgpr3
.LBB62_1527:
	s_delay_alu instid0(SALU_CYCLE_1)
	s_and_not1_b32 vcc_lo, exec_lo, s1
	s_cbranch_vccnz .LBB62_1529
; %bb.1528:
	s_wait_loadcnt 0x0
	global_load_b32 v2, v[4:5], off
	s_wait_loadcnt 0x0
	v_trunc_f32_e32 v2, v2
	s_delay_alu instid0(VALU_DEP_1) | instskip(NEXT) | instid1(VALU_DEP_1)
	v_mul_f32_e64 v3, 0x2f800000, |v2|
	v_floor_f32_e32 v3, v3
	s_delay_alu instid0(VALU_DEP_1) | instskip(SKIP_2) | instid1(VALU_DEP_3)
	v_fma_f32 v6, 0xcf800000, v3, |v2|
	v_ashrrev_i32_e32 v2, 31, v2
	v_cvt_u32_f32_e32 v7, v3
	v_cvt_u32_f32_e32 v6, v6
	s_delay_alu instid0(VALU_DEP_2) | instskip(NEXT) | instid1(VALU_DEP_2)
	v_dual_mov_b32 v3, v2 :: v_dual_bitop2_b32 v7, v7, v2 bitop3:0x14
	v_xor_b32_e32 v6, v6, v2
	s_delay_alu instid0(VALU_DEP_1)
	v_sub_nc_u64_e32 v[2:3], v[6:7], v[2:3]
.LBB62_1529:
	s_mov_b32 s1, 0
.LBB62_1530:
	s_delay_alu instid0(SALU_CYCLE_1)
	s_and_not1_b32 vcc_lo, exec_lo, s1
	s_cbranch_vccnz .LBB62_1532
; %bb.1531:
	s_wait_loadcnt 0x0
	global_load_b32 v2, v[4:5], off
	s_wait_loadcnt 0x0
	v_cvt_f32_f16_e32 v2, v2
	s_delay_alu instid0(VALU_DEP_1) | instskip(NEXT) | instid1(VALU_DEP_1)
	v_cvt_i32_f32_e32 v2, v2
	v_ashrrev_i32_e32 v3, 31, v2
.LBB62_1532:
	s_mov_b32 s1, 0
.LBB62_1533:
	s_delay_alu instid0(SALU_CYCLE_1)
	s_and_not1_b32 vcc_lo, exec_lo, s1
	s_cbranch_vccnz .LBB62_1544
; %bb.1534:
	s_cmp_lt_i32 s0, 6
	s_cbranch_scc1 .LBB62_1537
; %bb.1535:
	s_cmp_gt_i32 s0, 6
	s_cbranch_scc0 .LBB62_1538
; %bb.1536:
	s_wait_loadcnt 0x0
	global_load_b64 v[2:3], v[4:5], off
	s_mov_b32 s1, 0
	s_wait_loadcnt 0x0
	v_trunc_f64_e32 v[2:3], v[2:3]
	s_delay_alu instid0(VALU_DEP_1) | instskip(NEXT) | instid1(VALU_DEP_1)
	v_ldexp_f64 v[6:7], v[2:3], 0xffffffe0
	v_floor_f64_e32 v[6:7], v[6:7]
	s_delay_alu instid0(VALU_DEP_1) | instskip(SKIP_1) | instid1(VALU_DEP_2)
	v_fmamk_f64 v[8:9], v[6:7], 0xc1f00000, v[2:3]
	v_cvt_i32_f64_e32 v3, v[6:7]
	v_cvt_u32_f64_e32 v2, v[8:9]
	s_branch .LBB62_1539
.LBB62_1537:
	s_mov_b32 s1, -1
                                        ; implicit-def: $vgpr2_vgpr3
	s_branch .LBB62_1542
.LBB62_1538:
	s_mov_b32 s1, -1
                                        ; implicit-def: $vgpr2_vgpr3
.LBB62_1539:
	s_delay_alu instid0(SALU_CYCLE_1)
	s_and_not1_b32 vcc_lo, exec_lo, s1
	s_cbranch_vccnz .LBB62_1541
; %bb.1540:
	s_wait_loadcnt 0x0
	global_load_b32 v2, v[4:5], off
	s_wait_loadcnt 0x0
	v_trunc_f32_e32 v2, v2
	s_delay_alu instid0(VALU_DEP_1) | instskip(NEXT) | instid1(VALU_DEP_1)
	v_mul_f32_e64 v3, 0x2f800000, |v2|
	v_floor_f32_e32 v3, v3
	s_delay_alu instid0(VALU_DEP_1) | instskip(SKIP_2) | instid1(VALU_DEP_3)
	v_fma_f32 v6, 0xcf800000, v3, |v2|
	v_ashrrev_i32_e32 v2, 31, v2
	v_cvt_u32_f32_e32 v7, v3
	v_cvt_u32_f32_e32 v6, v6
	s_delay_alu instid0(VALU_DEP_2) | instskip(NEXT) | instid1(VALU_DEP_2)
	v_dual_mov_b32 v3, v2 :: v_dual_bitop2_b32 v7, v7, v2 bitop3:0x14
	v_xor_b32_e32 v6, v6, v2
	s_delay_alu instid0(VALU_DEP_1)
	v_sub_nc_u64_e32 v[2:3], v[6:7], v[2:3]
.LBB62_1541:
	s_mov_b32 s1, 0
.LBB62_1542:
	s_delay_alu instid0(SALU_CYCLE_1)
	s_and_not1_b32 vcc_lo, exec_lo, s1
	s_cbranch_vccnz .LBB62_1544
; %bb.1543:
	s_wait_loadcnt 0x0
	global_load_u16 v2, v[4:5], off
	s_wait_loadcnt 0x0
	v_cvt_f32_f16_e32 v2, v2
	s_delay_alu instid0(VALU_DEP_1) | instskip(NEXT) | instid1(VALU_DEP_1)
	v_cvt_i32_f32_e32 v2, v2
	v_ashrrev_i32_e32 v3, 31, v2
.LBB62_1544:
	s_mov_b32 s1, 0
.LBB62_1545:
	s_delay_alu instid0(SALU_CYCLE_1)
	s_and_not1_b32 vcc_lo, exec_lo, s1
	s_cbranch_vccnz .LBB62_1565
; %bb.1546:
	s_cmp_lt_i32 s0, 2
	s_cbranch_scc1 .LBB62_1550
; %bb.1547:
	s_cmp_lt_i32 s0, 3
	s_cbranch_scc1 .LBB62_1551
; %bb.1548:
	s_cmp_gt_i32 s0, 3
	s_cbranch_scc0 .LBB62_1552
; %bb.1549:
	s_wait_loadcnt 0x0
	global_load_b64 v[2:3], v[4:5], off
	s_mov_b32 s1, 0
	s_branch .LBB62_1553
.LBB62_1550:
	s_mov_b32 s1, -1
                                        ; implicit-def: $vgpr2_vgpr3
	s_branch .LBB62_1559
.LBB62_1551:
	s_mov_b32 s1, -1
                                        ; implicit-def: $vgpr2_vgpr3
	s_branch .LBB62_1556
.LBB62_1552:
	s_mov_b32 s1, -1
                                        ; implicit-def: $vgpr2_vgpr3
.LBB62_1553:
	s_delay_alu instid0(SALU_CYCLE_1)
	s_and_not1_b32 vcc_lo, exec_lo, s1
	s_cbranch_vccnz .LBB62_1555
; %bb.1554:
	s_wait_loadcnt 0x0
	global_load_b32 v2, v[4:5], off
	s_wait_loadcnt 0x0
	v_ashrrev_i32_e32 v3, 31, v2
.LBB62_1555:
	s_mov_b32 s1, 0
.LBB62_1556:
	s_delay_alu instid0(SALU_CYCLE_1)
	s_and_not1_b32 vcc_lo, exec_lo, s1
	s_cbranch_vccnz .LBB62_1558
; %bb.1557:
	s_wait_loadcnt 0x0
	global_load_u16 v2, v[4:5], off
	s_wait_loadcnt 0x0
	v_bfe_i32 v2, v2, 0, 16
	s_delay_alu instid0(VALU_DEP_1)
	v_ashrrev_i32_e32 v3, 31, v2
.LBB62_1558:
	s_mov_b32 s1, 0
.LBB62_1559:
	s_delay_alu instid0(SALU_CYCLE_1)
	s_and_not1_b32 vcc_lo, exec_lo, s1
	s_cbranch_vccnz .LBB62_1565
; %bb.1560:
	s_cmp_gt_i32 s0, 0
	s_mov_b32 s0, 0
	s_cbranch_scc0 .LBB62_1562
; %bb.1561:
	s_wait_loadcnt 0x0
	global_load_i8 v2, v[4:5], off
	s_wait_loadcnt 0x0
	v_bfe_i32 v2, v2, 0, 16
	s_delay_alu instid0(VALU_DEP_1)
	v_ashrrev_i32_e32 v3, 31, v2
	s_branch .LBB62_1563
.LBB62_1562:
	s_mov_b32 s0, -1
                                        ; implicit-def: $vgpr2_vgpr3
.LBB62_1563:
	s_delay_alu instid0(SALU_CYCLE_1)
	s_and_not1_b32 vcc_lo, exec_lo, s0
	s_cbranch_vccnz .LBB62_1565
; %bb.1564:
	s_wait_loadcnt 0x0
	global_load_u8 v2, v[4:5], off
	s_mov_b32 s0, 0
	s_delay_alu instid0(SALU_CYCLE_1)
	v_mov_b32_e32 v3, s0
	s_wait_loadcnt 0x0
	v_and_b32_e32 v2, 0xffff, v2
.LBB62_1565:
	s_mov_b32 s31, -1
.LBB62_1566:
	s_delay_alu instid0(SALU_CYCLE_1)
	s_and_not1_b32 vcc_lo, exec_lo, s31
	s_cbranch_vccnz .LBB62_1574
; %bb.1567:
	s_wait_xcnt 0x0
	v_mul_lo_u32 v4, v22, s19
	s_and_b32 s0, s28, 0xff
	s_delay_alu instid0(SALU_CYCLE_1) | instskip(NEXT) | instid1(VALU_DEP_1)
	s_cmp_lt_i32 s0, 11
	v_ashrrev_i32_e32 v5, 31, v4
	s_delay_alu instid0(VALU_DEP_1)
	v_add_nc_u64_e32 v[6:7], s[10:11], v[4:5]
	s_cbranch_scc1 .LBB62_1575
; %bb.1568:
	s_and_b32 s1, 0xffff, s0
	s_delay_alu instid0(SALU_CYCLE_1)
	s_cmp_gt_i32 s1, 25
	s_cbranch_scc0 .LBB62_1576
; %bb.1569:
	s_cmp_gt_i32 s1, 28
	s_cbranch_scc0 .LBB62_1577
; %bb.1570:
	;; [unrolled: 3-line block ×4, first 2 shown]
	s_cmp_eq_u32 s1, 46
	s_mov_b32 s34, 0
	s_cbranch_scc0 .LBB62_1581
; %bb.1573:
	global_load_b32 v4, v[6:7], off
	s_mov_b32 s31, -1
	s_mov_b32 s87, 0
	s_wait_loadcnt 0x0
	v_lshlrev_b32_e32 v4, 16, v4
	s_delay_alu instid0(VALU_DEP_1) | instskip(NEXT) | instid1(VALU_DEP_1)
	v_trunc_f32_e32 v4, v4
	v_mul_f32_e64 v5, 0x2f800000, |v4|
	s_delay_alu instid0(VALU_DEP_1) | instskip(NEXT) | instid1(VALU_DEP_1)
	v_floor_f32_e32 v5, v5
	v_fma_f32 v8, 0xcf800000, v5, |v4|
	v_ashrrev_i32_e32 v4, 31, v4
	v_cvt_u32_f32_e32 v9, v5
	s_delay_alu instid0(VALU_DEP_3) | instskip(NEXT) | instid1(VALU_DEP_2)
	v_cvt_u32_f32_e32 v8, v8
	v_dual_mov_b32 v5, v4 :: v_dual_bitop2_b32 v9, v9, v4 bitop3:0x14
	s_delay_alu instid0(VALU_DEP_2) | instskip(NEXT) | instid1(VALU_DEP_1)
	v_xor_b32_e32 v8, v8, v4
	v_sub_nc_u64_e32 v[4:5], v[8:9], v[4:5]
	s_branch .LBB62_1583
.LBB62_1574:
	s_mov_b32 s0, 0
	s_mov_b32 s1, s80
	;; [unrolled: 1-line block ×9, first 2 shown]
	s_branch .LBB62_2045
.LBB62_1575:
	s_mov_b32 s1, -1
	s_mov_b32 s31, 0
	s_mov_b32 s87, s74
                                        ; implicit-def: $vgpr4_vgpr5
	s_branch .LBB62_1644
.LBB62_1576:
	s_mov_b32 s34, -1
	s_mov_b32 s31, 0
	s_mov_b32 s87, s74
                                        ; implicit-def: $vgpr4_vgpr5
	s_branch .LBB62_1610
.LBB62_1577:
	s_mov_b32 s34, -1
	s_mov_b32 s31, 0
	s_mov_b32 s87, s74
                                        ; implicit-def: $vgpr4_vgpr5
	s_branch .LBB62_1593
.LBB62_1578:
	s_mov_b32 s34, -1
	s_mov_b32 s31, 0
	s_mov_b32 s87, s74
                                        ; implicit-def: $vgpr4_vgpr5
	s_branch .LBB62_1588
.LBB62_1579:
	s_mov_b32 s34, -1
	s_mov_b32 s31, 0
	s_mov_b32 s87, s74
	s_branch .LBB62_1582
.LBB62_1580:
	s_mov_b32 s45, -1
	s_mov_b32 s44, 0
	s_mov_b32 s31, s61
	s_branch .LBB62_3527
.LBB62_1581:
	s_mov_b32 s87, -1
	s_mov_b32 s31, 0
.LBB62_1582:
                                        ; implicit-def: $vgpr4_vgpr5
.LBB62_1583:
	s_and_b32 vcc_lo, exec_lo, s34
	s_cbranch_vccz .LBB62_1587
; %bb.1584:
	s_cmp_eq_u32 s1, 44
	s_cbranch_scc0 .LBB62_1586
; %bb.1585:
	global_load_u8 v10, v[6:7], off
	s_mov_b32 s87, 0
	s_mov_b32 s31, -1
	s_wait_loadcnt 0x0
	v_cmp_ne_u32_e32 vcc_lo, 0, v10
	v_lshlrev_b32_e32 v4, 23, v10
	s_delay_alu instid0(VALU_DEP_1) | instskip(NEXT) | instid1(VALU_DEP_1)
	v_trunc_f32_e32 v4, v4
	v_mul_f32_e64 v5, 0x2f800000, |v4|
	s_delay_alu instid0(VALU_DEP_1) | instskip(NEXT) | instid1(VALU_DEP_1)
	v_floor_f32_e32 v5, v5
	v_fma_f32 v8, 0xcf800000, v5, |v4|
	v_ashrrev_i32_e32 v4, 31, v4
	v_cvt_u32_f32_e32 v9, v5
	s_delay_alu instid0(VALU_DEP_3) | instskip(NEXT) | instid1(VALU_DEP_2)
	v_cvt_u32_f32_e32 v8, v8
	v_dual_mov_b32 v5, v4 :: v_dual_bitop2_b32 v9, v9, v4 bitop3:0x14
	s_delay_alu instid0(VALU_DEP_2) | instskip(NEXT) | instid1(VALU_DEP_1)
	v_xor_b32_e32 v8, v8, v4
	v_sub_nc_u64_e32 v[4:5], v[8:9], v[4:5]
	s_delay_alu instid0(VALU_DEP_1)
	v_dual_cndmask_b32 v5, 0, v5 :: v_dual_cndmask_b32 v4, 0, v4
	s_branch .LBB62_1587
.LBB62_1586:
	s_mov_b32 s87, -1
                                        ; implicit-def: $vgpr4_vgpr5
.LBB62_1587:
	s_mov_b32 s34, 0
.LBB62_1588:
	s_delay_alu instid0(SALU_CYCLE_1)
	s_and_b32 vcc_lo, exec_lo, s34
	s_cbranch_vccz .LBB62_1592
; %bb.1589:
	s_cmp_eq_u32 s1, 29
	s_cbranch_scc0 .LBB62_1591
; %bb.1590:
	global_load_b64 v[4:5], v[6:7], off
	s_mov_b32 s31, -1
	s_mov_b32 s87, 0
	s_branch .LBB62_1592
.LBB62_1591:
	s_mov_b32 s87, -1
                                        ; implicit-def: $vgpr4_vgpr5
.LBB62_1592:
	s_mov_b32 s34, 0
.LBB62_1593:
	s_delay_alu instid0(SALU_CYCLE_1)
	s_and_b32 vcc_lo, exec_lo, s34
	s_cbranch_vccz .LBB62_1609
; %bb.1594:
	s_cmp_lt_i32 s1, 27
	s_cbranch_scc1 .LBB62_1597
; %bb.1595:
	s_cmp_gt_i32 s1, 27
	s_cbranch_scc0 .LBB62_1598
; %bb.1596:
	s_wait_loadcnt 0x0
	global_load_b32 v4, v[6:7], off
	v_mov_b32_e32 v5, 0
	s_mov_b32 s31, 0
	s_branch .LBB62_1599
.LBB62_1597:
	s_mov_b32 s31, -1
                                        ; implicit-def: $vgpr4_vgpr5
	s_branch .LBB62_1602
.LBB62_1598:
	s_mov_b32 s31, -1
                                        ; implicit-def: $vgpr4_vgpr5
.LBB62_1599:
	s_delay_alu instid0(SALU_CYCLE_1)
	s_and_not1_b32 vcc_lo, exec_lo, s31
	s_cbranch_vccnz .LBB62_1601
; %bb.1600:
	s_wait_loadcnt 0x0
	global_load_u16 v4, v[6:7], off
	s_mov_b32 s31, 0
	s_delay_alu instid0(SALU_CYCLE_1)
	v_mov_b32_e32 v5, s31
	s_wait_loadcnt 0x0
	v_and_b32_e32 v4, 0xffff, v4
.LBB62_1601:
	s_mov_b32 s31, 0
.LBB62_1602:
	s_delay_alu instid0(SALU_CYCLE_1)
	s_and_not1_b32 vcc_lo, exec_lo, s31
	s_cbranch_vccnz .LBB62_1608
; %bb.1603:
	global_load_u8 v8, v[6:7], off
	s_mov_b32 s34, 0
	s_mov_b32 s31, exec_lo
	s_wait_loadcnt 0x0
	v_cmpx_lt_i16_e32 0x7f, v8
	s_xor_b32 s31, exec_lo, s31
	s_cbranch_execz .LBB62_1620
; %bb.1604:
	v_cmp_ne_u16_e32 vcc_lo, 0x80, v8
	s_and_b32 s34, vcc_lo, exec_lo
	s_and_not1_saveexec_b32 s31, s31
	s_cbranch_execnz .LBB62_1621
.LBB62_1605:
	s_or_b32 exec_lo, exec_lo, s31
	v_mov_b64_e32 v[4:5], 0
	s_and_saveexec_b32 s31, s34
	s_cbranch_execz .LBB62_1607
.LBB62_1606:
	v_and_b32_e32 v4, 0xffff, v8
	s_delay_alu instid0(VALU_DEP_1) | instskip(SKIP_1) | instid1(VALU_DEP_2)
	v_and_b32_e32 v5, 7, v4
	v_bfe_u32 v11, v4, 3, 4
	v_clz_i32_u32_e32 v9, v5
	s_delay_alu instid0(VALU_DEP_2) | instskip(NEXT) | instid1(VALU_DEP_2)
	v_cmp_eq_u32_e32 vcc_lo, 0, v11
	v_min_u32_e32 v9, 32, v9
	s_delay_alu instid0(VALU_DEP_1) | instskip(NEXT) | instid1(VALU_DEP_1)
	v_subrev_nc_u32_e32 v10, 28, v9
	v_dual_lshlrev_b32 v4, v10, v4 :: v_dual_sub_nc_u32 v9, 29, v9
	s_delay_alu instid0(VALU_DEP_1) | instskip(NEXT) | instid1(VALU_DEP_2)
	v_and_b32_e32 v4, 7, v4
	v_dual_cndmask_b32 v9, v11, v9 :: v_dual_lshlrev_b32 v8, 24, v8
	s_delay_alu instid0(VALU_DEP_2) | instskip(NEXT) | instid1(VALU_DEP_2)
	v_cndmask_b32_e32 v4, v5, v4, vcc_lo
	v_and_b32_e32 v5, 0x80000000, v8
	s_delay_alu instid0(VALU_DEP_3) | instskip(NEXT) | instid1(VALU_DEP_3)
	v_lshl_add_u32 v8, v9, 23, 0x3b800000
	v_lshlrev_b32_e32 v4, 20, v4
	s_delay_alu instid0(VALU_DEP_1) | instskip(NEXT) | instid1(VALU_DEP_1)
	v_or3_b32 v4, v5, v8, v4
	v_trunc_f32_e32 v4, v4
	s_delay_alu instid0(VALU_DEP_1) | instskip(NEXT) | instid1(VALU_DEP_1)
	v_mul_f32_e64 v5, 0x2f800000, |v4|
	v_floor_f32_e32 v5, v5
	s_delay_alu instid0(VALU_DEP_1) | instskip(SKIP_2) | instid1(VALU_DEP_3)
	v_fma_f32 v8, 0xcf800000, v5, |v4|
	v_ashrrev_i32_e32 v4, 31, v4
	v_cvt_u32_f32_e32 v9, v5
	v_cvt_u32_f32_e32 v8, v8
	s_delay_alu instid0(VALU_DEP_2) | instskip(NEXT) | instid1(VALU_DEP_2)
	v_dual_mov_b32 v5, v4 :: v_dual_bitop2_b32 v9, v9, v4 bitop3:0x14
	v_xor_b32_e32 v8, v8, v4
	s_delay_alu instid0(VALU_DEP_1)
	v_sub_nc_u64_e32 v[4:5], v[8:9], v[4:5]
.LBB62_1607:
	s_or_b32 exec_lo, exec_lo, s31
.LBB62_1608:
	s_mov_b32 s31, -1
.LBB62_1609:
	s_mov_b32 s34, 0
.LBB62_1610:
	s_delay_alu instid0(SALU_CYCLE_1)
	s_and_b32 vcc_lo, exec_lo, s34
	s_cbranch_vccz .LBB62_1643
; %bb.1611:
	s_cmp_gt_i32 s1, 22
	s_cbranch_scc0 .LBB62_1619
; %bb.1612:
	s_cmp_lt_i32 s1, 24
	s_cbranch_scc1 .LBB62_1622
; %bb.1613:
	s_cmp_gt_i32 s1, 24
	s_cbranch_scc0 .LBB62_1623
; %bb.1614:
	global_load_u8 v8, v[6:7], off
	s_mov_b32 s34, 0
	s_mov_b32 s31, exec_lo
	s_wait_loadcnt 0x0
	v_cmpx_lt_i16_e32 0x7f, v8
	s_xor_b32 s31, exec_lo, s31
	s_cbranch_execz .LBB62_1635
; %bb.1615:
	v_cmp_ne_u16_e32 vcc_lo, 0x80, v8
	s_and_b32 s34, vcc_lo, exec_lo
	s_and_not1_saveexec_b32 s31, s31
	s_cbranch_execnz .LBB62_1636
.LBB62_1616:
	s_or_b32 exec_lo, exec_lo, s31
	v_mov_b64_e32 v[4:5], 0
	s_and_saveexec_b32 s31, s34
	s_cbranch_execz .LBB62_1618
.LBB62_1617:
	v_and_b32_e32 v4, 0xffff, v8
	s_delay_alu instid0(VALU_DEP_1) | instskip(SKIP_1) | instid1(VALU_DEP_2)
	v_and_b32_e32 v5, 3, v4
	v_bfe_u32 v11, v4, 2, 5
	v_clz_i32_u32_e32 v9, v5
	s_delay_alu instid0(VALU_DEP_2) | instskip(NEXT) | instid1(VALU_DEP_2)
	v_cmp_eq_u32_e32 vcc_lo, 0, v11
	v_min_u32_e32 v9, 32, v9
	s_delay_alu instid0(VALU_DEP_1) | instskip(NEXT) | instid1(VALU_DEP_1)
	v_subrev_nc_u32_e32 v10, 29, v9
	v_dual_lshlrev_b32 v4, v10, v4 :: v_dual_sub_nc_u32 v9, 30, v9
	s_delay_alu instid0(VALU_DEP_1) | instskip(NEXT) | instid1(VALU_DEP_2)
	v_and_b32_e32 v4, 3, v4
	v_dual_cndmask_b32 v9, v11, v9 :: v_dual_lshlrev_b32 v8, 24, v8
	s_delay_alu instid0(VALU_DEP_2) | instskip(NEXT) | instid1(VALU_DEP_2)
	v_cndmask_b32_e32 v4, v5, v4, vcc_lo
	v_and_b32_e32 v5, 0x80000000, v8
	s_delay_alu instid0(VALU_DEP_3) | instskip(NEXT) | instid1(VALU_DEP_3)
	v_lshl_add_u32 v8, v9, 23, 0x37800000
	v_lshlrev_b32_e32 v4, 21, v4
	s_delay_alu instid0(VALU_DEP_1) | instskip(NEXT) | instid1(VALU_DEP_1)
	v_or3_b32 v4, v5, v8, v4
	v_trunc_f32_e32 v4, v4
	s_delay_alu instid0(VALU_DEP_1) | instskip(NEXT) | instid1(VALU_DEP_1)
	v_mul_f32_e64 v5, 0x2f800000, |v4|
	v_floor_f32_e32 v5, v5
	s_delay_alu instid0(VALU_DEP_1) | instskip(SKIP_2) | instid1(VALU_DEP_3)
	v_fma_f32 v8, 0xcf800000, v5, |v4|
	v_ashrrev_i32_e32 v4, 31, v4
	v_cvt_u32_f32_e32 v9, v5
	v_cvt_u32_f32_e32 v8, v8
	s_delay_alu instid0(VALU_DEP_2) | instskip(NEXT) | instid1(VALU_DEP_2)
	v_dual_mov_b32 v5, v4 :: v_dual_bitop2_b32 v9, v9, v4 bitop3:0x14
	v_xor_b32_e32 v8, v8, v4
	s_delay_alu instid0(VALU_DEP_1)
	v_sub_nc_u64_e32 v[4:5], v[8:9], v[4:5]
.LBB62_1618:
	s_or_b32 exec_lo, exec_lo, s31
	s_mov_b32 s31, 0
	s_branch .LBB62_1624
.LBB62_1619:
	s_mov_b32 s34, -1
                                        ; implicit-def: $vgpr4_vgpr5
	s_branch .LBB62_1630
.LBB62_1620:
	s_and_not1_saveexec_b32 s31, s31
	s_cbranch_execz .LBB62_1605
.LBB62_1621:
	v_cmp_ne_u16_e32 vcc_lo, 0, v8
	s_and_not1_b32 s34, s34, exec_lo
	s_and_b32 s35, vcc_lo, exec_lo
	s_delay_alu instid0(SALU_CYCLE_1)
	s_or_b32 s34, s34, s35
	s_or_b32 exec_lo, exec_lo, s31
	v_mov_b64_e32 v[4:5], 0
	s_and_saveexec_b32 s31, s34
	s_cbranch_execnz .LBB62_1606
	s_branch .LBB62_1607
.LBB62_1622:
	s_mov_b32 s31, -1
                                        ; implicit-def: $vgpr4_vgpr5
	s_branch .LBB62_1627
.LBB62_1623:
	s_mov_b32 s31, -1
                                        ; implicit-def: $vgpr4_vgpr5
.LBB62_1624:
	s_delay_alu instid0(SALU_CYCLE_1)
	s_and_b32 vcc_lo, exec_lo, s31
	s_cbranch_vccz .LBB62_1626
; %bb.1625:
	s_wait_loadcnt 0x0
	global_load_u8 v4, v[6:7], off
	s_wait_loadcnt 0x0
	v_lshlrev_b32_e32 v4, 24, v4
	s_delay_alu instid0(VALU_DEP_1) | instskip(NEXT) | instid1(VALU_DEP_1)
	v_and_b32_e32 v5, 0x7f000000, v4
	v_clz_i32_u32_e32 v8, v5
	v_cmp_ne_u32_e32 vcc_lo, 0, v5
	v_add_nc_u32_e32 v10, 0x1000000, v5
	s_delay_alu instid0(VALU_DEP_3) | instskip(NEXT) | instid1(VALU_DEP_1)
	v_min_u32_e32 v8, 32, v8
	v_sub_nc_u32_e64 v8, v8, 4 clamp
	s_delay_alu instid0(VALU_DEP_1) | instskip(NEXT) | instid1(VALU_DEP_1)
	v_dual_lshlrev_b32 v9, v8, v5 :: v_dual_lshlrev_b32 v8, 23, v8
	v_lshrrev_b32_e32 v9, 4, v9
	s_delay_alu instid0(VALU_DEP_1) | instskip(NEXT) | instid1(VALU_DEP_1)
	v_dual_sub_nc_u32 v8, v9, v8 :: v_dual_ashrrev_i32 v9, 8, v10
	v_add_nc_u32_e32 v8, 0x3c000000, v8
	s_delay_alu instid0(VALU_DEP_1) | instskip(NEXT) | instid1(VALU_DEP_1)
	v_and_or_b32 v8, 0x7f800000, v9, v8
	v_cndmask_b32_e32 v5, 0, v8, vcc_lo
	s_delay_alu instid0(VALU_DEP_1) | instskip(NEXT) | instid1(VALU_DEP_1)
	v_and_or_b32 v4, 0x80000000, v4, v5
	v_trunc_f32_e32 v4, v4
	s_delay_alu instid0(VALU_DEP_1) | instskip(NEXT) | instid1(VALU_DEP_1)
	v_mul_f32_e64 v5, 0x2f800000, |v4|
	v_floor_f32_e32 v5, v5
	s_delay_alu instid0(VALU_DEP_1) | instskip(SKIP_2) | instid1(VALU_DEP_3)
	v_fma_f32 v8, 0xcf800000, v5, |v4|
	v_ashrrev_i32_e32 v4, 31, v4
	v_cvt_u32_f32_e32 v9, v5
	v_cvt_u32_f32_e32 v8, v8
	s_delay_alu instid0(VALU_DEP_2) | instskip(NEXT) | instid1(VALU_DEP_2)
	v_dual_mov_b32 v5, v4 :: v_dual_bitop2_b32 v9, v9, v4 bitop3:0x14
	v_xor_b32_e32 v8, v8, v4
	s_delay_alu instid0(VALU_DEP_1)
	v_sub_nc_u64_e32 v[4:5], v[8:9], v[4:5]
.LBB62_1626:
	s_mov_b32 s31, 0
.LBB62_1627:
	s_delay_alu instid0(SALU_CYCLE_1)
	s_and_not1_b32 vcc_lo, exec_lo, s31
	s_cbranch_vccnz .LBB62_1629
; %bb.1628:
	s_wait_loadcnt 0x0
	global_load_u8 v4, v[6:7], off
	s_wait_loadcnt 0x0
	v_lshlrev_b32_e32 v5, 25, v4
	v_lshlrev_b16 v4, 8, v4
	s_delay_alu instid0(VALU_DEP_1) | instskip(SKIP_1) | instid1(VALU_DEP_2)
	v_and_or_b32 v9, 0x7f00, v4, 0.5
	v_bfe_i32 v4, v4, 0, 16
	v_add_f32_e32 v9, -0.5, v9
	v_lshrrev_b32_e32 v8, 4, v5
	v_cmp_gt_u32_e32 vcc_lo, 0x8000000, v5
	s_delay_alu instid0(VALU_DEP_2) | instskip(NEXT) | instid1(VALU_DEP_1)
	v_or_b32_e32 v8, 0x70000000, v8
	v_mul_f32_e32 v8, 0x7800000, v8
	s_delay_alu instid0(VALU_DEP_1) | instskip(NEXT) | instid1(VALU_DEP_1)
	v_cndmask_b32_e32 v5, v8, v9, vcc_lo
	v_and_or_b32 v4, 0x80000000, v4, v5
	s_delay_alu instid0(VALU_DEP_1) | instskip(NEXT) | instid1(VALU_DEP_1)
	v_trunc_f32_e32 v4, v4
	v_mul_f32_e64 v5, 0x2f800000, |v4|
	s_delay_alu instid0(VALU_DEP_1) | instskip(NEXT) | instid1(VALU_DEP_1)
	v_floor_f32_e32 v5, v5
	v_fma_f32 v8, 0xcf800000, v5, |v4|
	v_ashrrev_i32_e32 v4, 31, v4
	v_cvt_u32_f32_e32 v9, v5
	s_delay_alu instid0(VALU_DEP_3) | instskip(NEXT) | instid1(VALU_DEP_2)
	v_cvt_u32_f32_e32 v8, v8
	v_dual_mov_b32 v5, v4 :: v_dual_bitop2_b32 v9, v9, v4 bitop3:0x14
	s_delay_alu instid0(VALU_DEP_2) | instskip(NEXT) | instid1(VALU_DEP_1)
	v_xor_b32_e32 v8, v8, v4
	v_sub_nc_u64_e32 v[4:5], v[8:9], v[4:5]
.LBB62_1629:
	s_mov_b32 s34, 0
	s_mov_b32 s31, -1
.LBB62_1630:
	s_and_not1_b32 vcc_lo, exec_lo, s34
	s_cbranch_vccnz .LBB62_1643
; %bb.1631:
	s_cmp_gt_i32 s1, 14
	s_cbranch_scc0 .LBB62_1634
; %bb.1632:
	s_cmp_eq_u32 s1, 15
	s_cbranch_scc0 .LBB62_1637
; %bb.1633:
	s_wait_loadcnt 0x0
	global_load_u16 v4, v[6:7], off
	s_mov_b32 s31, -1
	s_mov_b32 s87, 0
	s_wait_loadcnt 0x0
	v_lshlrev_b32_e32 v4, 16, v4
	s_delay_alu instid0(VALU_DEP_1) | instskip(NEXT) | instid1(VALU_DEP_1)
	v_trunc_f32_e32 v4, v4
	v_mul_f32_e64 v5, 0x2f800000, |v4|
	s_delay_alu instid0(VALU_DEP_1) | instskip(NEXT) | instid1(VALU_DEP_1)
	v_floor_f32_e32 v5, v5
	v_fma_f32 v8, 0xcf800000, v5, |v4|
	v_ashrrev_i32_e32 v4, 31, v4
	v_cvt_u32_f32_e32 v9, v5
	s_delay_alu instid0(VALU_DEP_3) | instskip(NEXT) | instid1(VALU_DEP_2)
	v_cvt_u32_f32_e32 v8, v8
	v_dual_mov_b32 v5, v4 :: v_dual_bitop2_b32 v9, v9, v4 bitop3:0x14
	s_delay_alu instid0(VALU_DEP_2) | instskip(NEXT) | instid1(VALU_DEP_1)
	v_xor_b32_e32 v8, v8, v4
	v_sub_nc_u64_e32 v[4:5], v[8:9], v[4:5]
	s_branch .LBB62_1638
.LBB62_1634:
	s_mov_b32 s34, -1
                                        ; implicit-def: $vgpr4_vgpr5
	s_branch .LBB62_1639
.LBB62_1635:
	s_and_not1_saveexec_b32 s31, s31
	s_cbranch_execz .LBB62_1616
.LBB62_1636:
	v_cmp_ne_u16_e32 vcc_lo, 0, v8
	s_and_not1_b32 s34, s34, exec_lo
	s_and_b32 s35, vcc_lo, exec_lo
	s_delay_alu instid0(SALU_CYCLE_1)
	s_or_b32 s34, s34, s35
	s_or_b32 exec_lo, exec_lo, s31
	v_mov_b64_e32 v[4:5], 0
	s_and_saveexec_b32 s31, s34
	s_cbranch_execnz .LBB62_1617
	s_branch .LBB62_1618
.LBB62_1637:
	s_mov_b32 s87, -1
                                        ; implicit-def: $vgpr4_vgpr5
.LBB62_1638:
	s_mov_b32 s34, 0
.LBB62_1639:
	s_delay_alu instid0(SALU_CYCLE_1)
	s_and_b32 vcc_lo, exec_lo, s34
	s_cbranch_vccz .LBB62_1643
; %bb.1640:
	s_cmp_eq_u32 s1, 11
	s_cbranch_scc0 .LBB62_1642
; %bb.1641:
	s_wait_loadcnt 0x0
	global_load_u8 v4, v[6:7], off
	s_mov_b32 s87, 0
	s_mov_b32 s31, -1
	v_mov_b32_e32 v5, s87
	s_wait_loadcnt 0x0
	v_cmp_ne_u16_e32 vcc_lo, 0, v4
	v_cndmask_b32_e64 v4, 0, 1, vcc_lo
	s_branch .LBB62_1643
.LBB62_1642:
	s_mov_b32 s87, -1
                                        ; implicit-def: $vgpr4_vgpr5
.LBB62_1643:
	s_mov_b32 s1, 0
.LBB62_1644:
	s_delay_alu instid0(SALU_CYCLE_1)
	s_and_b32 vcc_lo, exec_lo, s1
	s_cbranch_vccz .LBB62_1693
; %bb.1645:
	s_and_b32 s0, 0xffff, s0
	s_delay_alu instid0(SALU_CYCLE_1)
	s_cmp_lt_i32 s0, 5
	s_cbranch_scc1 .LBB62_1650
; %bb.1646:
	s_cmp_lt_i32 s0, 8
	s_cbranch_scc1 .LBB62_1651
; %bb.1647:
	;; [unrolled: 3-line block ×3, first 2 shown]
	s_cmp_gt_i32 s0, 9
	s_cbranch_scc0 .LBB62_1653
; %bb.1649:
	s_wait_loadcnt 0x0
	global_load_b64 v[4:5], v[6:7], off
	s_mov_b32 s1, 0
	s_wait_loadcnt 0x0
	v_trunc_f64_e32 v[4:5], v[4:5]
	s_delay_alu instid0(VALU_DEP_1) | instskip(NEXT) | instid1(VALU_DEP_1)
	v_ldexp_f64 v[8:9], v[4:5], 0xffffffe0
	v_floor_f64_e32 v[8:9], v[8:9]
	s_delay_alu instid0(VALU_DEP_1) | instskip(SKIP_1) | instid1(VALU_DEP_2)
	v_fmamk_f64 v[10:11], v[8:9], 0xc1f00000, v[4:5]
	v_cvt_i32_f64_e32 v5, v[8:9]
	v_cvt_u32_f64_e32 v4, v[10:11]
	s_branch .LBB62_1654
.LBB62_1650:
	s_mov_b32 s1, -1
                                        ; implicit-def: $vgpr4_vgpr5
	s_branch .LBB62_1672
.LBB62_1651:
	s_mov_b32 s1, -1
                                        ; implicit-def: $vgpr4_vgpr5
	s_branch .LBB62_1660
.LBB62_1652:
	s_mov_b32 s1, -1
                                        ; implicit-def: $vgpr4_vgpr5
	s_branch .LBB62_1657
.LBB62_1653:
	s_mov_b32 s1, -1
                                        ; implicit-def: $vgpr4_vgpr5
.LBB62_1654:
	s_delay_alu instid0(SALU_CYCLE_1)
	s_and_not1_b32 vcc_lo, exec_lo, s1
	s_cbranch_vccnz .LBB62_1656
; %bb.1655:
	s_wait_loadcnt 0x0
	global_load_b32 v4, v[6:7], off
	s_wait_loadcnt 0x0
	v_trunc_f32_e32 v4, v4
	s_delay_alu instid0(VALU_DEP_1) | instskip(NEXT) | instid1(VALU_DEP_1)
	v_mul_f32_e64 v5, 0x2f800000, |v4|
	v_floor_f32_e32 v5, v5
	s_delay_alu instid0(VALU_DEP_1) | instskip(SKIP_2) | instid1(VALU_DEP_3)
	v_fma_f32 v8, 0xcf800000, v5, |v4|
	v_ashrrev_i32_e32 v4, 31, v4
	v_cvt_u32_f32_e32 v9, v5
	v_cvt_u32_f32_e32 v8, v8
	s_delay_alu instid0(VALU_DEP_2) | instskip(NEXT) | instid1(VALU_DEP_2)
	v_dual_mov_b32 v5, v4 :: v_dual_bitop2_b32 v9, v9, v4 bitop3:0x14
	v_xor_b32_e32 v8, v8, v4
	s_delay_alu instid0(VALU_DEP_1)
	v_sub_nc_u64_e32 v[4:5], v[8:9], v[4:5]
.LBB62_1656:
	s_mov_b32 s1, 0
.LBB62_1657:
	s_delay_alu instid0(SALU_CYCLE_1)
	s_and_not1_b32 vcc_lo, exec_lo, s1
	s_cbranch_vccnz .LBB62_1659
; %bb.1658:
	s_wait_loadcnt 0x0
	global_load_b32 v4, v[6:7], off
	s_wait_loadcnt 0x0
	v_cvt_f32_f16_e32 v4, v4
	s_delay_alu instid0(VALU_DEP_1) | instskip(NEXT) | instid1(VALU_DEP_1)
	v_cvt_i32_f32_e32 v4, v4
	v_ashrrev_i32_e32 v5, 31, v4
.LBB62_1659:
	s_mov_b32 s1, 0
.LBB62_1660:
	s_delay_alu instid0(SALU_CYCLE_1)
	s_and_not1_b32 vcc_lo, exec_lo, s1
	s_cbranch_vccnz .LBB62_1671
; %bb.1661:
	s_cmp_lt_i32 s0, 6
	s_cbranch_scc1 .LBB62_1664
; %bb.1662:
	s_cmp_gt_i32 s0, 6
	s_cbranch_scc0 .LBB62_1665
; %bb.1663:
	s_wait_loadcnt 0x0
	global_load_b64 v[4:5], v[6:7], off
	s_mov_b32 s1, 0
	s_wait_loadcnt 0x0
	v_trunc_f64_e32 v[4:5], v[4:5]
	s_delay_alu instid0(VALU_DEP_1) | instskip(NEXT) | instid1(VALU_DEP_1)
	v_ldexp_f64 v[8:9], v[4:5], 0xffffffe0
	v_floor_f64_e32 v[8:9], v[8:9]
	s_delay_alu instid0(VALU_DEP_1) | instskip(SKIP_1) | instid1(VALU_DEP_2)
	v_fmamk_f64 v[10:11], v[8:9], 0xc1f00000, v[4:5]
	v_cvt_i32_f64_e32 v5, v[8:9]
	v_cvt_u32_f64_e32 v4, v[10:11]
	s_branch .LBB62_1666
.LBB62_1664:
	s_mov_b32 s1, -1
                                        ; implicit-def: $vgpr4_vgpr5
	s_branch .LBB62_1669
.LBB62_1665:
	s_mov_b32 s1, -1
                                        ; implicit-def: $vgpr4_vgpr5
.LBB62_1666:
	s_delay_alu instid0(SALU_CYCLE_1)
	s_and_not1_b32 vcc_lo, exec_lo, s1
	s_cbranch_vccnz .LBB62_1668
; %bb.1667:
	s_wait_loadcnt 0x0
	global_load_b32 v4, v[6:7], off
	s_wait_loadcnt 0x0
	v_trunc_f32_e32 v4, v4
	s_delay_alu instid0(VALU_DEP_1) | instskip(NEXT) | instid1(VALU_DEP_1)
	v_mul_f32_e64 v5, 0x2f800000, |v4|
	v_floor_f32_e32 v5, v5
	s_delay_alu instid0(VALU_DEP_1) | instskip(SKIP_2) | instid1(VALU_DEP_3)
	v_fma_f32 v8, 0xcf800000, v5, |v4|
	v_ashrrev_i32_e32 v4, 31, v4
	v_cvt_u32_f32_e32 v9, v5
	v_cvt_u32_f32_e32 v8, v8
	s_delay_alu instid0(VALU_DEP_2) | instskip(NEXT) | instid1(VALU_DEP_2)
	v_dual_mov_b32 v5, v4 :: v_dual_bitop2_b32 v9, v9, v4 bitop3:0x14
	v_xor_b32_e32 v8, v8, v4
	s_delay_alu instid0(VALU_DEP_1)
	v_sub_nc_u64_e32 v[4:5], v[8:9], v[4:5]
.LBB62_1668:
	s_mov_b32 s1, 0
.LBB62_1669:
	s_delay_alu instid0(SALU_CYCLE_1)
	s_and_not1_b32 vcc_lo, exec_lo, s1
	s_cbranch_vccnz .LBB62_1671
; %bb.1670:
	s_wait_loadcnt 0x0
	global_load_u16 v4, v[6:7], off
	s_wait_loadcnt 0x0
	v_cvt_f32_f16_e32 v4, v4
	s_delay_alu instid0(VALU_DEP_1) | instskip(NEXT) | instid1(VALU_DEP_1)
	v_cvt_i32_f32_e32 v4, v4
	v_ashrrev_i32_e32 v5, 31, v4
.LBB62_1671:
	s_mov_b32 s1, 0
.LBB62_1672:
	s_delay_alu instid0(SALU_CYCLE_1)
	s_and_not1_b32 vcc_lo, exec_lo, s1
	s_cbranch_vccnz .LBB62_1692
; %bb.1673:
	s_cmp_lt_i32 s0, 2
	s_cbranch_scc1 .LBB62_1677
; %bb.1674:
	s_cmp_lt_i32 s0, 3
	s_cbranch_scc1 .LBB62_1678
; %bb.1675:
	s_cmp_gt_i32 s0, 3
	s_cbranch_scc0 .LBB62_1679
; %bb.1676:
	s_wait_loadcnt 0x0
	global_load_b64 v[4:5], v[6:7], off
	s_mov_b32 s1, 0
	s_branch .LBB62_1680
.LBB62_1677:
	s_mov_b32 s1, -1
                                        ; implicit-def: $vgpr4_vgpr5
	s_branch .LBB62_1686
.LBB62_1678:
	s_mov_b32 s1, -1
                                        ; implicit-def: $vgpr4_vgpr5
	s_branch .LBB62_1683
.LBB62_1679:
	s_mov_b32 s1, -1
                                        ; implicit-def: $vgpr4_vgpr5
.LBB62_1680:
	s_delay_alu instid0(SALU_CYCLE_1)
	s_and_not1_b32 vcc_lo, exec_lo, s1
	s_cbranch_vccnz .LBB62_1682
; %bb.1681:
	s_wait_loadcnt 0x0
	global_load_b32 v4, v[6:7], off
	s_wait_loadcnt 0x0
	v_ashrrev_i32_e32 v5, 31, v4
.LBB62_1682:
	s_mov_b32 s1, 0
.LBB62_1683:
	s_delay_alu instid0(SALU_CYCLE_1)
	s_and_not1_b32 vcc_lo, exec_lo, s1
	s_cbranch_vccnz .LBB62_1685
; %bb.1684:
	s_wait_loadcnt 0x0
	global_load_u16 v4, v[6:7], off
	s_wait_loadcnt 0x0
	v_bfe_i32 v4, v4, 0, 16
	s_delay_alu instid0(VALU_DEP_1)
	v_ashrrev_i32_e32 v5, 31, v4
.LBB62_1685:
	s_mov_b32 s1, 0
.LBB62_1686:
	s_delay_alu instid0(SALU_CYCLE_1)
	s_and_not1_b32 vcc_lo, exec_lo, s1
	s_cbranch_vccnz .LBB62_1692
; %bb.1687:
	s_cmp_gt_i32 s0, 0
	s_mov_b32 s0, 0
	s_cbranch_scc0 .LBB62_1689
; %bb.1688:
	s_wait_loadcnt 0x0
	global_load_i8 v4, v[6:7], off
	s_wait_loadcnt 0x0
	v_bfe_i32 v4, v4, 0, 16
	s_delay_alu instid0(VALU_DEP_1)
	v_ashrrev_i32_e32 v5, 31, v4
	s_branch .LBB62_1690
.LBB62_1689:
	s_mov_b32 s0, -1
                                        ; implicit-def: $vgpr4_vgpr5
.LBB62_1690:
	s_delay_alu instid0(SALU_CYCLE_1)
	s_and_not1_b32 vcc_lo, exec_lo, s0
	s_cbranch_vccnz .LBB62_1692
; %bb.1691:
	s_wait_loadcnt 0x0
	global_load_u8 v4, v[6:7], off
	s_mov_b32 s0, 0
	s_delay_alu instid0(SALU_CYCLE_1)
	v_mov_b32_e32 v5, s0
	s_wait_loadcnt 0x0
	v_and_b32_e32 v4, 0xffff, v4
.LBB62_1692:
	s_mov_b32 s31, -1
.LBB62_1693:
	s_delay_alu instid0(SALU_CYCLE_1)
	s_and_not1_b32 vcc_lo, exec_lo, s31
	s_cbranch_vccnz .LBB62_1701
; %bb.1694:
	s_wait_xcnt 0x0
	v_mul_lo_u32 v6, v22, s2
	s_and_b32 s0, s27, 0xff
	s_delay_alu instid0(SALU_CYCLE_1) | instskip(NEXT) | instid1(VALU_DEP_1)
	s_cmp_lt_i32 s0, 11
	v_ashrrev_i32_e32 v7, 31, v6
	s_delay_alu instid0(VALU_DEP_1)
	v_add_nc_u64_e32 v[8:9], s[12:13], v[6:7]
	s_cbranch_scc1 .LBB62_1702
; %bb.1695:
	s_and_b32 s1, 0xffff, s0
	s_delay_alu instid0(SALU_CYCLE_1)
	s_cmp_gt_i32 s1, 25
	s_cbranch_scc0 .LBB62_1703
; %bb.1696:
	s_cmp_gt_i32 s1, 28
	s_cbranch_scc0 .LBB62_1704
; %bb.1697:
	;; [unrolled: 3-line block ×4, first 2 shown]
	s_cmp_eq_u32 s1, 46
	s_mov_b32 s34, 0
	s_cbranch_scc0 .LBB62_1708
; %bb.1700:
	global_load_b32 v6, v[8:9], off
	s_mov_b32 s31, -1
	s_mov_b32 s88, 0
	s_wait_loadcnt 0x0
	v_lshlrev_b32_e32 v6, 16, v6
	s_delay_alu instid0(VALU_DEP_1) | instskip(NEXT) | instid1(VALU_DEP_1)
	v_trunc_f32_e32 v6, v6
	v_mul_f32_e64 v7, 0x2f800000, |v6|
	s_delay_alu instid0(VALU_DEP_1) | instskip(NEXT) | instid1(VALU_DEP_1)
	v_floor_f32_e32 v7, v7
	v_fma_f32 v10, 0xcf800000, v7, |v6|
	v_ashrrev_i32_e32 v6, 31, v6
	v_cvt_u32_f32_e32 v11, v7
	s_delay_alu instid0(VALU_DEP_3) | instskip(NEXT) | instid1(VALU_DEP_2)
	v_cvt_u32_f32_e32 v10, v10
	v_dual_mov_b32 v7, v6 :: v_dual_bitop2_b32 v11, v11, v6 bitop3:0x14
	s_delay_alu instid0(VALU_DEP_2) | instskip(NEXT) | instid1(VALU_DEP_1)
	v_xor_b32_e32 v10, v10, v6
	v_sub_nc_u64_e32 v[6:7], v[10:11], v[6:7]
	s_branch .LBB62_1710
.LBB62_1701:
	s_mov_b32 s0, 0
	s_mov_b32 s1, s80
	;; [unrolled: 1-line block ×8, first 2 shown]
	s_branch .LBB62_2045
.LBB62_1702:
	s_mov_b32 s1, -1
	s_mov_b32 s31, 0
	s_mov_b32 s88, s77
                                        ; implicit-def: $vgpr6_vgpr7
	s_branch .LBB62_1771
.LBB62_1703:
	s_mov_b32 s34, -1
	s_mov_b32 s31, 0
	s_mov_b32 s88, s77
                                        ; implicit-def: $vgpr6_vgpr7
	s_branch .LBB62_1737
.LBB62_1704:
	s_mov_b32 s34, -1
	s_mov_b32 s31, 0
	s_mov_b32 s88, s77
                                        ; implicit-def: $vgpr6_vgpr7
	s_branch .LBB62_1720
.LBB62_1705:
	s_mov_b32 s34, -1
	s_mov_b32 s31, 0
	s_mov_b32 s88, s77
                                        ; implicit-def: $vgpr6_vgpr7
	s_branch .LBB62_1715
.LBB62_1706:
	s_mov_b32 s34, -1
	s_mov_b32 s31, 0
	s_mov_b32 s88, s77
	s_branch .LBB62_1709
.LBB62_1707:
	s_mov_b32 s45, -1
	s_mov_b32 s44, 0
	s_mov_b32 s31, s61
	s_branch .LBB62_3516
.LBB62_1708:
	s_mov_b32 s88, -1
	s_mov_b32 s31, 0
.LBB62_1709:
                                        ; implicit-def: $vgpr6_vgpr7
.LBB62_1710:
	s_and_b32 vcc_lo, exec_lo, s34
	s_cbranch_vccz .LBB62_1714
; %bb.1711:
	s_cmp_eq_u32 s1, 44
	s_cbranch_scc0 .LBB62_1713
; %bb.1712:
	global_load_u8 v12, v[8:9], off
	s_mov_b32 s88, 0
	s_mov_b32 s31, -1
	s_wait_loadcnt 0x0
	v_cmp_ne_u32_e32 vcc_lo, 0, v12
	v_lshlrev_b32_e32 v6, 23, v12
	s_delay_alu instid0(VALU_DEP_1) | instskip(NEXT) | instid1(VALU_DEP_1)
	v_trunc_f32_e32 v6, v6
	v_mul_f32_e64 v7, 0x2f800000, |v6|
	s_delay_alu instid0(VALU_DEP_1) | instskip(NEXT) | instid1(VALU_DEP_1)
	v_floor_f32_e32 v7, v7
	v_fma_f32 v10, 0xcf800000, v7, |v6|
	v_ashrrev_i32_e32 v6, 31, v6
	v_cvt_u32_f32_e32 v11, v7
	s_delay_alu instid0(VALU_DEP_3) | instskip(NEXT) | instid1(VALU_DEP_2)
	v_cvt_u32_f32_e32 v10, v10
	v_dual_mov_b32 v7, v6 :: v_dual_bitop2_b32 v11, v11, v6 bitop3:0x14
	s_delay_alu instid0(VALU_DEP_2) | instskip(NEXT) | instid1(VALU_DEP_1)
	v_xor_b32_e32 v10, v10, v6
	v_sub_nc_u64_e32 v[6:7], v[10:11], v[6:7]
	s_delay_alu instid0(VALU_DEP_1)
	v_dual_cndmask_b32 v7, 0, v7 :: v_dual_cndmask_b32 v6, 0, v6
	s_branch .LBB62_1714
.LBB62_1713:
	s_mov_b32 s88, -1
                                        ; implicit-def: $vgpr6_vgpr7
.LBB62_1714:
	s_mov_b32 s34, 0
.LBB62_1715:
	s_delay_alu instid0(SALU_CYCLE_1)
	s_and_b32 vcc_lo, exec_lo, s34
	s_cbranch_vccz .LBB62_1719
; %bb.1716:
	s_cmp_eq_u32 s1, 29
	s_cbranch_scc0 .LBB62_1718
; %bb.1717:
	global_load_b64 v[6:7], v[8:9], off
	s_mov_b32 s31, -1
	s_mov_b32 s88, 0
	s_branch .LBB62_1719
.LBB62_1718:
	s_mov_b32 s88, -1
                                        ; implicit-def: $vgpr6_vgpr7
.LBB62_1719:
	s_mov_b32 s34, 0
.LBB62_1720:
	s_delay_alu instid0(SALU_CYCLE_1)
	s_and_b32 vcc_lo, exec_lo, s34
	s_cbranch_vccz .LBB62_1736
; %bb.1721:
	s_cmp_lt_i32 s1, 27
	s_cbranch_scc1 .LBB62_1724
; %bb.1722:
	s_cmp_gt_i32 s1, 27
	s_cbranch_scc0 .LBB62_1725
; %bb.1723:
	s_wait_loadcnt 0x0
	global_load_b32 v6, v[8:9], off
	v_mov_b32_e32 v7, 0
	s_mov_b32 s31, 0
	s_branch .LBB62_1726
.LBB62_1724:
	s_mov_b32 s31, -1
                                        ; implicit-def: $vgpr6_vgpr7
	s_branch .LBB62_1729
.LBB62_1725:
	s_mov_b32 s31, -1
                                        ; implicit-def: $vgpr6_vgpr7
.LBB62_1726:
	s_delay_alu instid0(SALU_CYCLE_1)
	s_and_not1_b32 vcc_lo, exec_lo, s31
	s_cbranch_vccnz .LBB62_1728
; %bb.1727:
	s_wait_loadcnt 0x0
	global_load_u16 v6, v[8:9], off
	s_mov_b32 s31, 0
	s_delay_alu instid0(SALU_CYCLE_1)
	v_mov_b32_e32 v7, s31
	s_wait_loadcnt 0x0
	v_and_b32_e32 v6, 0xffff, v6
.LBB62_1728:
	s_mov_b32 s31, 0
.LBB62_1729:
	s_delay_alu instid0(SALU_CYCLE_1)
	s_and_not1_b32 vcc_lo, exec_lo, s31
	s_cbranch_vccnz .LBB62_1735
; %bb.1730:
	global_load_u8 v10, v[8:9], off
	s_mov_b32 s34, 0
	s_mov_b32 s31, exec_lo
	s_wait_loadcnt 0x0
	v_cmpx_lt_i16_e32 0x7f, v10
	s_xor_b32 s31, exec_lo, s31
	s_cbranch_execz .LBB62_1747
; %bb.1731:
	v_cmp_ne_u16_e32 vcc_lo, 0x80, v10
	s_and_b32 s34, vcc_lo, exec_lo
	s_and_not1_saveexec_b32 s31, s31
	s_cbranch_execnz .LBB62_1748
.LBB62_1732:
	s_or_b32 exec_lo, exec_lo, s31
	v_mov_b64_e32 v[6:7], 0
	s_and_saveexec_b32 s31, s34
	s_cbranch_execz .LBB62_1734
.LBB62_1733:
	v_and_b32_e32 v6, 0xffff, v10
	s_delay_alu instid0(VALU_DEP_1) | instskip(SKIP_1) | instid1(VALU_DEP_2)
	v_and_b32_e32 v7, 7, v6
	v_bfe_u32 v13, v6, 3, 4
	v_clz_i32_u32_e32 v11, v7
	s_delay_alu instid0(VALU_DEP_2) | instskip(NEXT) | instid1(VALU_DEP_2)
	v_cmp_eq_u32_e32 vcc_lo, 0, v13
	v_min_u32_e32 v11, 32, v11
	s_delay_alu instid0(VALU_DEP_1) | instskip(NEXT) | instid1(VALU_DEP_1)
	v_subrev_nc_u32_e32 v12, 28, v11
	v_dual_lshlrev_b32 v6, v12, v6 :: v_dual_sub_nc_u32 v11, 29, v11
	s_delay_alu instid0(VALU_DEP_1) | instskip(NEXT) | instid1(VALU_DEP_2)
	v_and_b32_e32 v6, 7, v6
	v_dual_cndmask_b32 v11, v13, v11 :: v_dual_lshlrev_b32 v10, 24, v10
	s_delay_alu instid0(VALU_DEP_2) | instskip(NEXT) | instid1(VALU_DEP_2)
	v_cndmask_b32_e32 v6, v7, v6, vcc_lo
	v_and_b32_e32 v7, 0x80000000, v10
	s_delay_alu instid0(VALU_DEP_3) | instskip(NEXT) | instid1(VALU_DEP_3)
	v_lshl_add_u32 v10, v11, 23, 0x3b800000
	v_lshlrev_b32_e32 v6, 20, v6
	s_delay_alu instid0(VALU_DEP_1) | instskip(NEXT) | instid1(VALU_DEP_1)
	v_or3_b32 v6, v7, v10, v6
	v_trunc_f32_e32 v6, v6
	s_delay_alu instid0(VALU_DEP_1) | instskip(NEXT) | instid1(VALU_DEP_1)
	v_mul_f32_e64 v7, 0x2f800000, |v6|
	v_floor_f32_e32 v7, v7
	s_delay_alu instid0(VALU_DEP_1) | instskip(SKIP_2) | instid1(VALU_DEP_3)
	v_fma_f32 v10, 0xcf800000, v7, |v6|
	v_ashrrev_i32_e32 v6, 31, v6
	v_cvt_u32_f32_e32 v11, v7
	v_cvt_u32_f32_e32 v10, v10
	s_delay_alu instid0(VALU_DEP_2) | instskip(NEXT) | instid1(VALU_DEP_2)
	v_dual_mov_b32 v7, v6 :: v_dual_bitop2_b32 v11, v11, v6 bitop3:0x14
	v_xor_b32_e32 v10, v10, v6
	s_delay_alu instid0(VALU_DEP_1)
	v_sub_nc_u64_e32 v[6:7], v[10:11], v[6:7]
.LBB62_1734:
	s_or_b32 exec_lo, exec_lo, s31
.LBB62_1735:
	s_mov_b32 s31, -1
.LBB62_1736:
	s_mov_b32 s34, 0
.LBB62_1737:
	s_delay_alu instid0(SALU_CYCLE_1)
	s_and_b32 vcc_lo, exec_lo, s34
	s_cbranch_vccz .LBB62_1770
; %bb.1738:
	s_cmp_gt_i32 s1, 22
	s_cbranch_scc0 .LBB62_1746
; %bb.1739:
	s_cmp_lt_i32 s1, 24
	s_cbranch_scc1 .LBB62_1749
; %bb.1740:
	s_cmp_gt_i32 s1, 24
	s_cbranch_scc0 .LBB62_1750
; %bb.1741:
	global_load_u8 v10, v[8:9], off
	s_mov_b32 s34, 0
	s_mov_b32 s31, exec_lo
	s_wait_loadcnt 0x0
	v_cmpx_lt_i16_e32 0x7f, v10
	s_xor_b32 s31, exec_lo, s31
	s_cbranch_execz .LBB62_1762
; %bb.1742:
	v_cmp_ne_u16_e32 vcc_lo, 0x80, v10
	s_and_b32 s34, vcc_lo, exec_lo
	s_and_not1_saveexec_b32 s31, s31
	s_cbranch_execnz .LBB62_1763
.LBB62_1743:
	s_or_b32 exec_lo, exec_lo, s31
	v_mov_b64_e32 v[6:7], 0
	s_and_saveexec_b32 s31, s34
	s_cbranch_execz .LBB62_1745
.LBB62_1744:
	v_and_b32_e32 v6, 0xffff, v10
	s_delay_alu instid0(VALU_DEP_1) | instskip(SKIP_1) | instid1(VALU_DEP_2)
	v_and_b32_e32 v7, 3, v6
	v_bfe_u32 v13, v6, 2, 5
	v_clz_i32_u32_e32 v11, v7
	s_delay_alu instid0(VALU_DEP_2) | instskip(NEXT) | instid1(VALU_DEP_2)
	v_cmp_eq_u32_e32 vcc_lo, 0, v13
	v_min_u32_e32 v11, 32, v11
	s_delay_alu instid0(VALU_DEP_1) | instskip(NEXT) | instid1(VALU_DEP_1)
	v_subrev_nc_u32_e32 v12, 29, v11
	v_dual_lshlrev_b32 v6, v12, v6 :: v_dual_sub_nc_u32 v11, 30, v11
	s_delay_alu instid0(VALU_DEP_1) | instskip(NEXT) | instid1(VALU_DEP_2)
	v_and_b32_e32 v6, 3, v6
	v_dual_cndmask_b32 v11, v13, v11 :: v_dual_lshlrev_b32 v10, 24, v10
	s_delay_alu instid0(VALU_DEP_2) | instskip(NEXT) | instid1(VALU_DEP_2)
	v_cndmask_b32_e32 v6, v7, v6, vcc_lo
	v_and_b32_e32 v7, 0x80000000, v10
	s_delay_alu instid0(VALU_DEP_3) | instskip(NEXT) | instid1(VALU_DEP_3)
	v_lshl_add_u32 v10, v11, 23, 0x37800000
	v_lshlrev_b32_e32 v6, 21, v6
	s_delay_alu instid0(VALU_DEP_1) | instskip(NEXT) | instid1(VALU_DEP_1)
	v_or3_b32 v6, v7, v10, v6
	v_trunc_f32_e32 v6, v6
	s_delay_alu instid0(VALU_DEP_1) | instskip(NEXT) | instid1(VALU_DEP_1)
	v_mul_f32_e64 v7, 0x2f800000, |v6|
	v_floor_f32_e32 v7, v7
	s_delay_alu instid0(VALU_DEP_1) | instskip(SKIP_2) | instid1(VALU_DEP_3)
	v_fma_f32 v10, 0xcf800000, v7, |v6|
	v_ashrrev_i32_e32 v6, 31, v6
	v_cvt_u32_f32_e32 v11, v7
	v_cvt_u32_f32_e32 v10, v10
	s_delay_alu instid0(VALU_DEP_2) | instskip(NEXT) | instid1(VALU_DEP_2)
	v_dual_mov_b32 v7, v6 :: v_dual_bitop2_b32 v11, v11, v6 bitop3:0x14
	v_xor_b32_e32 v10, v10, v6
	s_delay_alu instid0(VALU_DEP_1)
	v_sub_nc_u64_e32 v[6:7], v[10:11], v[6:7]
.LBB62_1745:
	s_or_b32 exec_lo, exec_lo, s31
	s_mov_b32 s31, 0
	s_branch .LBB62_1751
.LBB62_1746:
	s_mov_b32 s34, -1
                                        ; implicit-def: $vgpr6_vgpr7
	s_branch .LBB62_1757
.LBB62_1747:
	s_and_not1_saveexec_b32 s31, s31
	s_cbranch_execz .LBB62_1732
.LBB62_1748:
	v_cmp_ne_u16_e32 vcc_lo, 0, v10
	s_and_not1_b32 s34, s34, exec_lo
	s_and_b32 s35, vcc_lo, exec_lo
	s_delay_alu instid0(SALU_CYCLE_1)
	s_or_b32 s34, s34, s35
	s_or_b32 exec_lo, exec_lo, s31
	v_mov_b64_e32 v[6:7], 0
	s_and_saveexec_b32 s31, s34
	s_cbranch_execnz .LBB62_1733
	s_branch .LBB62_1734
.LBB62_1749:
	s_mov_b32 s31, -1
                                        ; implicit-def: $vgpr6_vgpr7
	s_branch .LBB62_1754
.LBB62_1750:
	s_mov_b32 s31, -1
                                        ; implicit-def: $vgpr6_vgpr7
.LBB62_1751:
	s_delay_alu instid0(SALU_CYCLE_1)
	s_and_b32 vcc_lo, exec_lo, s31
	s_cbranch_vccz .LBB62_1753
; %bb.1752:
	s_wait_loadcnt 0x0
	global_load_u8 v6, v[8:9], off
	s_wait_loadcnt 0x0
	v_lshlrev_b32_e32 v6, 24, v6
	s_delay_alu instid0(VALU_DEP_1) | instskip(NEXT) | instid1(VALU_DEP_1)
	v_and_b32_e32 v7, 0x7f000000, v6
	v_clz_i32_u32_e32 v10, v7
	v_cmp_ne_u32_e32 vcc_lo, 0, v7
	v_add_nc_u32_e32 v12, 0x1000000, v7
	s_delay_alu instid0(VALU_DEP_3) | instskip(NEXT) | instid1(VALU_DEP_1)
	v_min_u32_e32 v10, 32, v10
	v_sub_nc_u32_e64 v10, v10, 4 clamp
	s_delay_alu instid0(VALU_DEP_1) | instskip(NEXT) | instid1(VALU_DEP_1)
	v_dual_lshlrev_b32 v11, v10, v7 :: v_dual_lshlrev_b32 v10, 23, v10
	v_lshrrev_b32_e32 v11, 4, v11
	s_delay_alu instid0(VALU_DEP_1) | instskip(NEXT) | instid1(VALU_DEP_1)
	v_dual_sub_nc_u32 v10, v11, v10 :: v_dual_ashrrev_i32 v11, 8, v12
	v_add_nc_u32_e32 v10, 0x3c000000, v10
	s_delay_alu instid0(VALU_DEP_1) | instskip(NEXT) | instid1(VALU_DEP_1)
	v_and_or_b32 v10, 0x7f800000, v11, v10
	v_cndmask_b32_e32 v7, 0, v10, vcc_lo
	s_delay_alu instid0(VALU_DEP_1) | instskip(NEXT) | instid1(VALU_DEP_1)
	v_and_or_b32 v6, 0x80000000, v6, v7
	v_trunc_f32_e32 v6, v6
	s_delay_alu instid0(VALU_DEP_1) | instskip(NEXT) | instid1(VALU_DEP_1)
	v_mul_f32_e64 v7, 0x2f800000, |v6|
	v_floor_f32_e32 v7, v7
	s_delay_alu instid0(VALU_DEP_1) | instskip(SKIP_2) | instid1(VALU_DEP_3)
	v_fma_f32 v10, 0xcf800000, v7, |v6|
	v_ashrrev_i32_e32 v6, 31, v6
	v_cvt_u32_f32_e32 v11, v7
	v_cvt_u32_f32_e32 v10, v10
	s_delay_alu instid0(VALU_DEP_2) | instskip(NEXT) | instid1(VALU_DEP_2)
	v_dual_mov_b32 v7, v6 :: v_dual_bitop2_b32 v11, v11, v6 bitop3:0x14
	v_xor_b32_e32 v10, v10, v6
	s_delay_alu instid0(VALU_DEP_1)
	v_sub_nc_u64_e32 v[6:7], v[10:11], v[6:7]
.LBB62_1753:
	s_mov_b32 s31, 0
.LBB62_1754:
	s_delay_alu instid0(SALU_CYCLE_1)
	s_and_not1_b32 vcc_lo, exec_lo, s31
	s_cbranch_vccnz .LBB62_1756
; %bb.1755:
	s_wait_loadcnt 0x0
	global_load_u8 v6, v[8:9], off
	s_wait_loadcnt 0x0
	v_lshlrev_b32_e32 v7, 25, v6
	v_lshlrev_b16 v6, 8, v6
	s_delay_alu instid0(VALU_DEP_1) | instskip(SKIP_1) | instid1(VALU_DEP_2)
	v_and_or_b32 v11, 0x7f00, v6, 0.5
	v_bfe_i32 v6, v6, 0, 16
	v_add_f32_e32 v11, -0.5, v11
	v_lshrrev_b32_e32 v10, 4, v7
	v_cmp_gt_u32_e32 vcc_lo, 0x8000000, v7
	s_delay_alu instid0(VALU_DEP_2) | instskip(NEXT) | instid1(VALU_DEP_1)
	v_or_b32_e32 v10, 0x70000000, v10
	v_mul_f32_e32 v10, 0x7800000, v10
	s_delay_alu instid0(VALU_DEP_1) | instskip(NEXT) | instid1(VALU_DEP_1)
	v_cndmask_b32_e32 v7, v10, v11, vcc_lo
	v_and_or_b32 v6, 0x80000000, v6, v7
	s_delay_alu instid0(VALU_DEP_1) | instskip(NEXT) | instid1(VALU_DEP_1)
	v_trunc_f32_e32 v6, v6
	v_mul_f32_e64 v7, 0x2f800000, |v6|
	s_delay_alu instid0(VALU_DEP_1) | instskip(NEXT) | instid1(VALU_DEP_1)
	v_floor_f32_e32 v7, v7
	v_fma_f32 v10, 0xcf800000, v7, |v6|
	v_ashrrev_i32_e32 v6, 31, v6
	v_cvt_u32_f32_e32 v11, v7
	s_delay_alu instid0(VALU_DEP_3) | instskip(NEXT) | instid1(VALU_DEP_2)
	v_cvt_u32_f32_e32 v10, v10
	v_dual_mov_b32 v7, v6 :: v_dual_bitop2_b32 v11, v11, v6 bitop3:0x14
	s_delay_alu instid0(VALU_DEP_2) | instskip(NEXT) | instid1(VALU_DEP_1)
	v_xor_b32_e32 v10, v10, v6
	v_sub_nc_u64_e32 v[6:7], v[10:11], v[6:7]
.LBB62_1756:
	s_mov_b32 s34, 0
	s_mov_b32 s31, -1
.LBB62_1757:
	s_and_not1_b32 vcc_lo, exec_lo, s34
	s_cbranch_vccnz .LBB62_1770
; %bb.1758:
	s_cmp_gt_i32 s1, 14
	s_cbranch_scc0 .LBB62_1761
; %bb.1759:
	s_cmp_eq_u32 s1, 15
	s_cbranch_scc0 .LBB62_1764
; %bb.1760:
	s_wait_loadcnt 0x0
	global_load_u16 v6, v[8:9], off
	s_mov_b32 s31, -1
	s_mov_b32 s88, 0
	s_wait_loadcnt 0x0
	v_lshlrev_b32_e32 v6, 16, v6
	s_delay_alu instid0(VALU_DEP_1) | instskip(NEXT) | instid1(VALU_DEP_1)
	v_trunc_f32_e32 v6, v6
	v_mul_f32_e64 v7, 0x2f800000, |v6|
	s_delay_alu instid0(VALU_DEP_1) | instskip(NEXT) | instid1(VALU_DEP_1)
	v_floor_f32_e32 v7, v7
	v_fma_f32 v10, 0xcf800000, v7, |v6|
	v_ashrrev_i32_e32 v6, 31, v6
	v_cvt_u32_f32_e32 v11, v7
	s_delay_alu instid0(VALU_DEP_3) | instskip(NEXT) | instid1(VALU_DEP_2)
	v_cvt_u32_f32_e32 v10, v10
	v_dual_mov_b32 v7, v6 :: v_dual_bitop2_b32 v11, v11, v6 bitop3:0x14
	s_delay_alu instid0(VALU_DEP_2) | instskip(NEXT) | instid1(VALU_DEP_1)
	v_xor_b32_e32 v10, v10, v6
	v_sub_nc_u64_e32 v[6:7], v[10:11], v[6:7]
	s_branch .LBB62_1765
.LBB62_1761:
	s_mov_b32 s34, -1
                                        ; implicit-def: $vgpr6_vgpr7
	s_branch .LBB62_1766
.LBB62_1762:
	s_and_not1_saveexec_b32 s31, s31
	s_cbranch_execz .LBB62_1743
.LBB62_1763:
	v_cmp_ne_u16_e32 vcc_lo, 0, v10
	s_and_not1_b32 s34, s34, exec_lo
	s_and_b32 s35, vcc_lo, exec_lo
	s_delay_alu instid0(SALU_CYCLE_1)
	s_or_b32 s34, s34, s35
	s_or_b32 exec_lo, exec_lo, s31
	v_mov_b64_e32 v[6:7], 0
	s_and_saveexec_b32 s31, s34
	s_cbranch_execnz .LBB62_1744
	s_branch .LBB62_1745
.LBB62_1764:
	s_mov_b32 s88, -1
                                        ; implicit-def: $vgpr6_vgpr7
.LBB62_1765:
	s_mov_b32 s34, 0
.LBB62_1766:
	s_delay_alu instid0(SALU_CYCLE_1)
	s_and_b32 vcc_lo, exec_lo, s34
	s_cbranch_vccz .LBB62_1770
; %bb.1767:
	s_cmp_eq_u32 s1, 11
	s_cbranch_scc0 .LBB62_1769
; %bb.1768:
	s_wait_loadcnt 0x0
	global_load_u8 v6, v[8:9], off
	s_mov_b32 s88, 0
	s_mov_b32 s31, -1
	v_mov_b32_e32 v7, s88
	s_wait_loadcnt 0x0
	v_cmp_ne_u16_e32 vcc_lo, 0, v6
	v_cndmask_b32_e64 v6, 0, 1, vcc_lo
	s_branch .LBB62_1770
.LBB62_1769:
	s_mov_b32 s88, -1
                                        ; implicit-def: $vgpr6_vgpr7
.LBB62_1770:
	s_mov_b32 s1, 0
.LBB62_1771:
	s_delay_alu instid0(SALU_CYCLE_1)
	s_and_b32 vcc_lo, exec_lo, s1
	s_cbranch_vccz .LBB62_1820
; %bb.1772:
	s_and_b32 s0, 0xffff, s0
	s_delay_alu instid0(SALU_CYCLE_1)
	s_cmp_lt_i32 s0, 5
	s_cbranch_scc1 .LBB62_1777
; %bb.1773:
	s_cmp_lt_i32 s0, 8
	s_cbranch_scc1 .LBB62_1778
; %bb.1774:
	;; [unrolled: 3-line block ×3, first 2 shown]
	s_cmp_gt_i32 s0, 9
	s_cbranch_scc0 .LBB62_1780
; %bb.1776:
	s_wait_loadcnt 0x0
	global_load_b64 v[6:7], v[8:9], off
	s_mov_b32 s1, 0
	s_wait_loadcnt 0x0
	v_trunc_f64_e32 v[6:7], v[6:7]
	s_delay_alu instid0(VALU_DEP_1) | instskip(NEXT) | instid1(VALU_DEP_1)
	v_ldexp_f64 v[10:11], v[6:7], 0xffffffe0
	v_floor_f64_e32 v[10:11], v[10:11]
	s_delay_alu instid0(VALU_DEP_1) | instskip(SKIP_1) | instid1(VALU_DEP_2)
	v_fmamk_f64 v[12:13], v[10:11], 0xc1f00000, v[6:7]
	v_cvt_i32_f64_e32 v7, v[10:11]
	v_cvt_u32_f64_e32 v6, v[12:13]
	s_branch .LBB62_1781
.LBB62_1777:
	s_mov_b32 s1, -1
                                        ; implicit-def: $vgpr6_vgpr7
	s_branch .LBB62_1799
.LBB62_1778:
	s_mov_b32 s1, -1
                                        ; implicit-def: $vgpr6_vgpr7
	s_branch .LBB62_1787
.LBB62_1779:
	s_mov_b32 s1, -1
                                        ; implicit-def: $vgpr6_vgpr7
	s_branch .LBB62_1784
.LBB62_1780:
	s_mov_b32 s1, -1
                                        ; implicit-def: $vgpr6_vgpr7
.LBB62_1781:
	s_delay_alu instid0(SALU_CYCLE_1)
	s_and_not1_b32 vcc_lo, exec_lo, s1
	s_cbranch_vccnz .LBB62_1783
; %bb.1782:
	s_wait_loadcnt 0x0
	global_load_b32 v6, v[8:9], off
	s_wait_loadcnt 0x0
	v_trunc_f32_e32 v6, v6
	s_delay_alu instid0(VALU_DEP_1) | instskip(NEXT) | instid1(VALU_DEP_1)
	v_mul_f32_e64 v7, 0x2f800000, |v6|
	v_floor_f32_e32 v7, v7
	s_delay_alu instid0(VALU_DEP_1) | instskip(SKIP_2) | instid1(VALU_DEP_3)
	v_fma_f32 v10, 0xcf800000, v7, |v6|
	v_ashrrev_i32_e32 v6, 31, v6
	v_cvt_u32_f32_e32 v11, v7
	v_cvt_u32_f32_e32 v10, v10
	s_delay_alu instid0(VALU_DEP_2) | instskip(NEXT) | instid1(VALU_DEP_2)
	v_dual_mov_b32 v7, v6 :: v_dual_bitop2_b32 v11, v11, v6 bitop3:0x14
	v_xor_b32_e32 v10, v10, v6
	s_delay_alu instid0(VALU_DEP_1)
	v_sub_nc_u64_e32 v[6:7], v[10:11], v[6:7]
.LBB62_1783:
	s_mov_b32 s1, 0
.LBB62_1784:
	s_delay_alu instid0(SALU_CYCLE_1)
	s_and_not1_b32 vcc_lo, exec_lo, s1
	s_cbranch_vccnz .LBB62_1786
; %bb.1785:
	s_wait_loadcnt 0x0
	global_load_b32 v6, v[8:9], off
	s_wait_loadcnt 0x0
	v_cvt_f32_f16_e32 v6, v6
	s_delay_alu instid0(VALU_DEP_1) | instskip(NEXT) | instid1(VALU_DEP_1)
	v_cvt_i32_f32_e32 v6, v6
	v_ashrrev_i32_e32 v7, 31, v6
.LBB62_1786:
	s_mov_b32 s1, 0
.LBB62_1787:
	s_delay_alu instid0(SALU_CYCLE_1)
	s_and_not1_b32 vcc_lo, exec_lo, s1
	s_cbranch_vccnz .LBB62_1798
; %bb.1788:
	s_cmp_lt_i32 s0, 6
	s_cbranch_scc1 .LBB62_1791
; %bb.1789:
	s_cmp_gt_i32 s0, 6
	s_cbranch_scc0 .LBB62_1792
; %bb.1790:
	s_wait_loadcnt 0x0
	global_load_b64 v[6:7], v[8:9], off
	s_mov_b32 s1, 0
	s_wait_loadcnt 0x0
	v_trunc_f64_e32 v[6:7], v[6:7]
	s_delay_alu instid0(VALU_DEP_1) | instskip(NEXT) | instid1(VALU_DEP_1)
	v_ldexp_f64 v[10:11], v[6:7], 0xffffffe0
	v_floor_f64_e32 v[10:11], v[10:11]
	s_delay_alu instid0(VALU_DEP_1) | instskip(SKIP_1) | instid1(VALU_DEP_2)
	v_fmamk_f64 v[12:13], v[10:11], 0xc1f00000, v[6:7]
	v_cvt_i32_f64_e32 v7, v[10:11]
	v_cvt_u32_f64_e32 v6, v[12:13]
	s_branch .LBB62_1793
.LBB62_1791:
	s_mov_b32 s1, -1
                                        ; implicit-def: $vgpr6_vgpr7
	s_branch .LBB62_1796
.LBB62_1792:
	s_mov_b32 s1, -1
                                        ; implicit-def: $vgpr6_vgpr7
.LBB62_1793:
	s_delay_alu instid0(SALU_CYCLE_1)
	s_and_not1_b32 vcc_lo, exec_lo, s1
	s_cbranch_vccnz .LBB62_1795
; %bb.1794:
	s_wait_loadcnt 0x0
	global_load_b32 v6, v[8:9], off
	s_wait_loadcnt 0x0
	v_trunc_f32_e32 v6, v6
	s_delay_alu instid0(VALU_DEP_1) | instskip(NEXT) | instid1(VALU_DEP_1)
	v_mul_f32_e64 v7, 0x2f800000, |v6|
	v_floor_f32_e32 v7, v7
	s_delay_alu instid0(VALU_DEP_1) | instskip(SKIP_2) | instid1(VALU_DEP_3)
	v_fma_f32 v10, 0xcf800000, v7, |v6|
	v_ashrrev_i32_e32 v6, 31, v6
	v_cvt_u32_f32_e32 v11, v7
	v_cvt_u32_f32_e32 v10, v10
	s_delay_alu instid0(VALU_DEP_2) | instskip(NEXT) | instid1(VALU_DEP_2)
	v_dual_mov_b32 v7, v6 :: v_dual_bitop2_b32 v11, v11, v6 bitop3:0x14
	v_xor_b32_e32 v10, v10, v6
	s_delay_alu instid0(VALU_DEP_1)
	v_sub_nc_u64_e32 v[6:7], v[10:11], v[6:7]
.LBB62_1795:
	s_mov_b32 s1, 0
.LBB62_1796:
	s_delay_alu instid0(SALU_CYCLE_1)
	s_and_not1_b32 vcc_lo, exec_lo, s1
	s_cbranch_vccnz .LBB62_1798
; %bb.1797:
	s_wait_loadcnt 0x0
	global_load_u16 v6, v[8:9], off
	s_wait_loadcnt 0x0
	v_cvt_f32_f16_e32 v6, v6
	s_delay_alu instid0(VALU_DEP_1) | instskip(NEXT) | instid1(VALU_DEP_1)
	v_cvt_i32_f32_e32 v6, v6
	v_ashrrev_i32_e32 v7, 31, v6
.LBB62_1798:
	s_mov_b32 s1, 0
.LBB62_1799:
	s_delay_alu instid0(SALU_CYCLE_1)
	s_and_not1_b32 vcc_lo, exec_lo, s1
	s_cbranch_vccnz .LBB62_1819
; %bb.1800:
	s_cmp_lt_i32 s0, 2
	s_cbranch_scc1 .LBB62_1804
; %bb.1801:
	s_cmp_lt_i32 s0, 3
	s_cbranch_scc1 .LBB62_1805
; %bb.1802:
	s_cmp_gt_i32 s0, 3
	s_cbranch_scc0 .LBB62_1806
; %bb.1803:
	s_wait_loadcnt 0x0
	global_load_b64 v[6:7], v[8:9], off
	s_mov_b32 s1, 0
	s_branch .LBB62_1807
.LBB62_1804:
	s_mov_b32 s1, -1
                                        ; implicit-def: $vgpr6_vgpr7
	s_branch .LBB62_1813
.LBB62_1805:
	s_mov_b32 s1, -1
                                        ; implicit-def: $vgpr6_vgpr7
	s_branch .LBB62_1810
.LBB62_1806:
	s_mov_b32 s1, -1
                                        ; implicit-def: $vgpr6_vgpr7
.LBB62_1807:
	s_delay_alu instid0(SALU_CYCLE_1)
	s_and_not1_b32 vcc_lo, exec_lo, s1
	s_cbranch_vccnz .LBB62_1809
; %bb.1808:
	s_wait_loadcnt 0x0
	global_load_b32 v6, v[8:9], off
	s_wait_loadcnt 0x0
	v_ashrrev_i32_e32 v7, 31, v6
.LBB62_1809:
	s_mov_b32 s1, 0
.LBB62_1810:
	s_delay_alu instid0(SALU_CYCLE_1)
	s_and_not1_b32 vcc_lo, exec_lo, s1
	s_cbranch_vccnz .LBB62_1812
; %bb.1811:
	s_wait_loadcnt 0x0
	global_load_u16 v6, v[8:9], off
	s_wait_loadcnt 0x0
	v_bfe_i32 v6, v6, 0, 16
	s_delay_alu instid0(VALU_DEP_1)
	v_ashrrev_i32_e32 v7, 31, v6
.LBB62_1812:
	s_mov_b32 s1, 0
.LBB62_1813:
	s_delay_alu instid0(SALU_CYCLE_1)
	s_and_not1_b32 vcc_lo, exec_lo, s1
	s_cbranch_vccnz .LBB62_1819
; %bb.1814:
	s_cmp_gt_i32 s0, 0
	s_mov_b32 s0, 0
	s_cbranch_scc0 .LBB62_1816
; %bb.1815:
	s_wait_loadcnt 0x0
	global_load_i8 v6, v[8:9], off
	s_wait_loadcnt 0x0
	v_bfe_i32 v6, v6, 0, 16
	s_delay_alu instid0(VALU_DEP_1)
	v_ashrrev_i32_e32 v7, 31, v6
	s_branch .LBB62_1817
.LBB62_1816:
	s_mov_b32 s0, -1
                                        ; implicit-def: $vgpr6_vgpr7
.LBB62_1817:
	s_delay_alu instid0(SALU_CYCLE_1)
	s_and_not1_b32 vcc_lo, exec_lo, s0
	s_cbranch_vccnz .LBB62_1819
; %bb.1818:
	s_wait_loadcnt 0x0
	global_load_u8 v6, v[8:9], off
	s_mov_b32 s0, 0
	s_delay_alu instid0(SALU_CYCLE_1)
	v_mov_b32_e32 v7, s0
	s_wait_loadcnt 0x0
	v_and_b32_e32 v6, 0xffff, v6
.LBB62_1819:
	s_mov_b32 s31, -1
.LBB62_1820:
	s_delay_alu instid0(SALU_CYCLE_1)
	s_and_not1_b32 vcc_lo, exec_lo, s31
	s_cbranch_vccnz .LBB62_1828
; %bb.1821:
	s_wait_xcnt 0x0
	v_mul_lo_u32 v8, v22, s3
	s_and_b32 s0, s29, 0xff
	s_delay_alu instid0(SALU_CYCLE_1) | instskip(NEXT) | instid1(VALU_DEP_1)
	s_cmp_lt_i32 s0, 11
	v_ashrrev_i32_e32 v9, 31, v8
	s_delay_alu instid0(VALU_DEP_1)
	v_add_nc_u64_e32 v[8:9], s[14:15], v[8:9]
	s_cbranch_scc1 .LBB62_1829
; %bb.1822:
	s_and_b32 s1, 0xffff, s0
	s_delay_alu instid0(SALU_CYCLE_1)
	s_cmp_gt_i32 s1, 25
	s_cbranch_scc0 .LBB62_1830
; %bb.1823:
	s_cmp_gt_i32 s1, 28
	s_cbranch_scc0 .LBB62_1831
; %bb.1824:
	;; [unrolled: 3-line block ×4, first 2 shown]
	s_cmp_eq_u32 s1, 46
	s_mov_b32 s34, 0
	s_cbranch_scc0 .LBB62_1921
; %bb.1827:
	global_load_b32 v10, v[8:9], off
	s_mov_b32 s31, -1
	s_mov_b32 s89, 0
	s_wait_loadcnt 0x0
	v_lshlrev_b32_e32 v10, 16, v10
	s_delay_alu instid0(VALU_DEP_1) | instskip(NEXT) | instid1(VALU_DEP_1)
	v_trunc_f32_e32 v10, v10
	v_mul_f32_e64 v11, 0x2f800000, |v10|
	s_delay_alu instid0(VALU_DEP_1) | instskip(NEXT) | instid1(VALU_DEP_1)
	v_floor_f32_e32 v11, v11
	v_fma_f32 v12, 0xcf800000, v11, |v10|
	v_ashrrev_i32_e32 v10, 31, v10
	v_cvt_u32_f32_e32 v13, v11
	s_delay_alu instid0(VALU_DEP_3) | instskip(NEXT) | instid1(VALU_DEP_2)
	v_cvt_u32_f32_e32 v12, v12
	v_dual_mov_b32 v11, v10 :: v_dual_bitop2_b32 v13, v13, v10 bitop3:0x14
	s_delay_alu instid0(VALU_DEP_2) | instskip(NEXT) | instid1(VALU_DEP_1)
	v_xor_b32_e32 v12, v12, v10
	v_sub_nc_u64_e32 v[10:11], v[12:13], v[10:11]
	s_branch .LBB62_1923
.LBB62_1828:
	s_mov_b32 s0, 0
	s_mov_b32 s1, s80
	;; [unrolled: 1-line block ×7, first 2 shown]
	s_branch .LBB62_2045
.LBB62_1829:
	s_mov_b32 s1, -1
	s_mov_b32 s31, 0
	s_mov_b32 s89, s76
                                        ; implicit-def: $vgpr10_vgpr11
	s_branch .LBB62_1984
.LBB62_1830:
	s_mov_b32 s34, -1
	s_mov_b32 s31, 0
	s_mov_b32 s89, s76
                                        ; implicit-def: $vgpr10_vgpr11
	s_branch .LBB62_1950
.LBB62_1831:
	s_mov_b32 s34, -1
	s_mov_b32 s31, 0
	s_mov_b32 s89, s76
                                        ; implicit-def: $vgpr10_vgpr11
	s_branch .LBB62_1933
.LBB62_1832:
	s_mov_b32 s34, -1
	s_mov_b32 s31, 0
	s_mov_b32 s89, s76
                                        ; implicit-def: $vgpr10_vgpr11
	s_branch .LBB62_1928
.LBB62_1833:
	s_mov_b32 s34, -1
	s_mov_b32 s31, 0
	s_mov_b32 s89, s76
	s_branch .LBB62_1922
.LBB62_1834:
	s_mov_b32 s45, -1
	s_mov_b32 s31, 0
	s_mov_b32 s44, 0
.LBB62_1835:
	s_and_b32 vcc_lo, exec_lo, s45
	s_cbranch_vccz .LBB62_1838
; %bb.1836:
	s_cmp_eq_u32 s35, 44
	s_mov_b32 s31, -1
	s_cbranch_scc0 .LBB62_1838
; %bb.1837:
	s_wait_xcnt 0x0
	v_mov_b32_e32 v2, 0
	s_mov_b32 s44, -1
	s_mov_b32 s31, 0
	s_mov_b32 s45, 0
	global_store_b8 v[0:1], v2, off
	s_branch .LBB62_1839
.LBB62_1838:
	s_mov_b32 s45, 0
.LBB62_1839:
	s_delay_alu instid0(SALU_CYCLE_1)
	s_and_b32 vcc_lo, exec_lo, s45
	s_cbranch_vccz .LBB62_1842
; %bb.1840:
	s_cmp_eq_u32 s35, 29
	s_mov_b32 s31, -1
	s_cbranch_scc0 .LBB62_1842
; %bb.1841:
	s_wait_xcnt 0x0
	v_mov_b64_e32 v[2:3], 0
	s_mov_b32 s44, -1
	s_mov_b32 s31, 0
	s_mov_b32 s45, 0
	global_store_b64 v[0:1], v[2:3], off
	s_branch .LBB62_1843
.LBB62_1842:
	s_mov_b32 s45, 0
.LBB62_1843:
	s_delay_alu instid0(SALU_CYCLE_1)
	s_and_b32 vcc_lo, exec_lo, s45
	s_cbranch_vccz .LBB62_1853
; %bb.1844:
	s_cmp_lt_i32 s35, 27
	s_mov_b32 s44, -1
	s_cbranch_scc1 .LBB62_1850
; %bb.1845:
	s_cmp_gt_i32 s35, 27
	s_cbranch_scc0 .LBB62_1847
; %bb.1846:
	s_wait_xcnt 0x0
	v_mov_b32_e32 v2, 0
	s_mov_b32 s44, 0
	global_store_b32 v[0:1], v2, off
.LBB62_1847:
	s_and_not1_b32 vcc_lo, exec_lo, s44
	s_cbranch_vccnz .LBB62_1849
; %bb.1848:
	s_wait_xcnt 0x0
	v_mov_b32_e32 v2, 0
	global_store_b16 v[0:1], v2, off
.LBB62_1849:
	s_mov_b32 s44, 0
.LBB62_1850:
	s_delay_alu instid0(SALU_CYCLE_1)
	s_and_not1_b32 vcc_lo, exec_lo, s44
	s_cbranch_vccnz .LBB62_1852
; %bb.1851:
	s_wait_xcnt 0x0
	v_mov_b32_e32 v2, 0
	global_store_b8 v[0:1], v2, off
.LBB62_1852:
	s_mov_b32 s44, -1
.LBB62_1853:
	s_mov_b32 s45, 0
.LBB62_1854:
	s_delay_alu instid0(SALU_CYCLE_1)
	s_and_b32 vcc_lo, exec_lo, s45
	s_cbranch_vccz .LBB62_1873
; %bb.1855:
	s_cmp_gt_i32 s35, 22
	s_mov_b32 s45, -1
	s_cbranch_scc0 .LBB62_1865
; %bb.1856:
	s_cmp_lt_i32 s35, 24
	s_mov_b32 s44, -1
	s_cbranch_scc1 .LBB62_1862
; %bb.1857:
	s_cmp_gt_i32 s35, 24
	s_cbranch_scc0 .LBB62_1859
; %bb.1858:
	s_wait_xcnt 0x0
	v_mov_b32_e32 v2, 0
	s_mov_b32 s44, 0
	global_store_b8 v[0:1], v2, off
.LBB62_1859:
	s_and_not1_b32 vcc_lo, exec_lo, s44
	s_cbranch_vccnz .LBB62_1861
; %bb.1860:
	s_wait_xcnt 0x0
	v_mov_b32_e32 v2, 0
	global_store_b8 v[0:1], v2, off
.LBB62_1861:
	s_mov_b32 s44, 0
.LBB62_1862:
	s_delay_alu instid0(SALU_CYCLE_1)
	s_and_not1_b32 vcc_lo, exec_lo, s44
	s_cbranch_vccnz .LBB62_1864
; %bb.1863:
	s_wait_xcnt 0x0
	v_mov_b32_e32 v2, 0
	global_store_b8 v[0:1], v2, off
.LBB62_1864:
	s_mov_b32 s45, 0
	s_mov_b32 s44, -1
.LBB62_1865:
	s_and_not1_b32 vcc_lo, exec_lo, s45
	s_cbranch_vccnz .LBB62_1873
; %bb.1866:
	s_cmp_gt_i32 s35, 14
	s_mov_b32 s45, -1
	s_cbranch_scc0 .LBB62_1870
; %bb.1867:
	s_cmp_eq_u32 s35, 15
	s_mov_b32 s31, -1
	s_cbranch_scc0 .LBB62_1869
; %bb.1868:
	s_wait_xcnt 0x0
	v_mov_b32_e32 v2, 0
	s_mov_b32 s44, -1
	s_mov_b32 s31, 0
	global_store_b16 v[0:1], v2, off
.LBB62_1869:
	s_mov_b32 s45, 0
.LBB62_1870:
	s_delay_alu instid0(SALU_CYCLE_1)
	s_and_b32 vcc_lo, exec_lo, s45
	s_cbranch_vccz .LBB62_1873
; %bb.1871:
	s_cmp_eq_u32 s35, 11
	s_mov_b32 s31, -1
	s_cbranch_scc0 .LBB62_1873
; %bb.1872:
	s_wait_xcnt 0x0
	v_mov_b32_e32 v2, 0
	s_mov_b32 s44, -1
	s_mov_b32 s31, 0
	global_store_b8 v[0:1], v2, off
.LBB62_1873:
	s_mov_b32 s35, 0
.LBB62_1874:
	s_delay_alu instid0(SALU_CYCLE_1)
	s_and_b32 vcc_lo, exec_lo, s35
	s_cbranch_vccz .LBB62_1913
; %bb.1875:
	s_and_b32 s34, 0xffff, s34
	s_mov_b32 s35, -1
	s_cmp_lt_i32 s34, 5
	s_cbranch_scc1 .LBB62_1896
; %bb.1876:
	s_cmp_lt_i32 s34, 8
	s_cbranch_scc1 .LBB62_1886
; %bb.1877:
	;; [unrolled: 3-line block ×3, first 2 shown]
	s_cmp_gt_i32 s34, 9
	s_cbranch_scc0 .LBB62_1880
; %bb.1879:
	s_wait_xcnt 0x0
	v_mov_b32_e32 v2, 0
	s_mov_b32 s35, 0
	s_delay_alu instid0(VALU_DEP_1)
	v_dual_mov_b32 v3, v2 :: v_dual_mov_b32 v4, v2
	v_mov_b32_e32 v5, v2
	global_store_b128 v[0:1], v[2:5], off
.LBB62_1880:
	s_and_not1_b32 vcc_lo, exec_lo, s35
	s_cbranch_vccnz .LBB62_1882
; %bb.1881:
	s_wait_xcnt 0x0
	v_mov_b64_e32 v[2:3], 0
	global_store_b64 v[0:1], v[2:3], off
.LBB62_1882:
	s_mov_b32 s35, 0
.LBB62_1883:
	s_delay_alu instid0(SALU_CYCLE_1)
	s_and_not1_b32 vcc_lo, exec_lo, s35
	s_cbranch_vccnz .LBB62_1885
; %bb.1884:
	s_wait_xcnt 0x0
	v_mov_b32_e32 v2, 0
	global_store_b32 v[0:1], v2, off
.LBB62_1885:
	s_mov_b32 s35, 0
.LBB62_1886:
	s_delay_alu instid0(SALU_CYCLE_1)
	s_and_not1_b32 vcc_lo, exec_lo, s35
	s_cbranch_vccnz .LBB62_1895
; %bb.1887:
	s_cmp_lt_i32 s34, 6
	s_mov_b32 s35, -1
	s_cbranch_scc1 .LBB62_1893
; %bb.1888:
	s_cmp_gt_i32 s34, 6
	s_cbranch_scc0 .LBB62_1890
; %bb.1889:
	s_wait_xcnt 0x0
	v_mov_b64_e32 v[2:3], 0
	s_mov_b32 s35, 0
	global_store_b64 v[0:1], v[2:3], off
.LBB62_1890:
	s_and_not1_b32 vcc_lo, exec_lo, s35
	s_cbranch_vccnz .LBB62_1892
; %bb.1891:
	s_wait_xcnt 0x0
	v_mov_b32_e32 v2, 0
	global_store_b32 v[0:1], v2, off
.LBB62_1892:
	s_mov_b32 s35, 0
.LBB62_1893:
	s_delay_alu instid0(SALU_CYCLE_1)
	s_and_not1_b32 vcc_lo, exec_lo, s35
	s_cbranch_vccnz .LBB62_1895
; %bb.1894:
	s_wait_xcnt 0x0
	v_mov_b32_e32 v2, 0
	global_store_b16 v[0:1], v2, off
.LBB62_1895:
	s_mov_b32 s35, 0
.LBB62_1896:
	s_delay_alu instid0(SALU_CYCLE_1)
	s_and_not1_b32 vcc_lo, exec_lo, s35
	s_cbranch_vccnz .LBB62_1912
; %bb.1897:
	s_cmp_lt_i32 s34, 2
	s_mov_b32 s35, -1
	s_cbranch_scc1 .LBB62_1907
; %bb.1898:
	s_cmp_lt_i32 s34, 3
	s_cbranch_scc1 .LBB62_1904
; %bb.1899:
	s_cmp_gt_i32 s34, 3
	s_cbranch_scc0 .LBB62_1901
; %bb.1900:
	s_wait_xcnt 0x0
	v_mov_b64_e32 v[2:3], 0
	s_mov_b32 s35, 0
	global_store_b64 v[0:1], v[2:3], off
.LBB62_1901:
	s_and_not1_b32 vcc_lo, exec_lo, s35
	s_cbranch_vccnz .LBB62_1903
; %bb.1902:
	s_wait_xcnt 0x0
	v_mov_b32_e32 v2, 0
	global_store_b32 v[0:1], v2, off
.LBB62_1903:
	s_mov_b32 s35, 0
.LBB62_1904:
	s_delay_alu instid0(SALU_CYCLE_1)
	s_and_not1_b32 vcc_lo, exec_lo, s35
	s_cbranch_vccnz .LBB62_1906
; %bb.1905:
	s_wait_xcnt 0x0
	v_mov_b32_e32 v2, 0
	global_store_b16 v[0:1], v2, off
.LBB62_1906:
	s_mov_b32 s35, 0
.LBB62_1907:
	s_delay_alu instid0(SALU_CYCLE_1)
	s_and_not1_b32 vcc_lo, exec_lo, s35
	s_cbranch_vccnz .LBB62_1912
; %bb.1908:
	s_cmp_gt_i32 s34, 0
	s_mov_b32 s34, -1
	s_cbranch_scc0 .LBB62_1910
; %bb.1909:
	s_wait_xcnt 0x0
	v_mov_b32_e32 v2, 0
	s_mov_b32 s34, 0
	global_store_b8 v[0:1], v2, off
.LBB62_1910:
	s_and_not1_b32 vcc_lo, exec_lo, s34
	s_cbranch_vccnz .LBB62_1912
; %bb.1911:
	s_wait_xcnt 0x0
	v_mov_b32_e32 v2, 0
	global_store_b8 v[0:1], v2, off
.LBB62_1912:
	s_mov_b32 s44, -1
.LBB62_1913:
	s_delay_alu instid0(SALU_CYCLE_1)
	s_and_not1_b32 vcc_lo, exec_lo, s44
	s_cbranch_vccnz .LBB62_1915
; %bb.1914:
	v_add_nc_u32_e32 v22, 0x80, v22
	s_mov_b32 s35, -1
	s_branch .LBB62_1916
.LBB62_1915:
	s_mov_b32 s35, 0
                                        ; implicit-def: $vgpr22
.LBB62_1916:
	s_and_b32 s34, s31, exec_lo
	s_and_not1_b32 s0, s0, exec_lo
	s_and_b32 s31, s35, exec_lo
.LBB62_1917:
	s_wait_xcnt 0x0
	s_or_b32 exec_lo, exec_lo, s1
	s_delay_alu instid0(SALU_CYCLE_1)
	s_and_b32 s34, s34, exec_lo
	s_and_b32 s0, s0, exec_lo
	s_xor_b32 s1, exec_lo, -1
	s_and_b32 s31, s31, exec_lo
.LBB62_1918:
	s_or_b32 exec_lo, exec_lo, s64
	s_delay_alu instid0(SALU_CYCLE_1)
	s_and_b32 s44, s34, exec_lo
	s_and_b32 s35, s0, exec_lo
	;; [unrolled: 1-line block ×3, first 2 shown]
	s_xor_b32 s1, exec_lo, -1
	s_and_b32 s0, s31, exec_lo
.LBB62_1919:
	s_or_b32 exec_lo, exec_lo, s63
	s_delay_alu instid0(SALU_CYCLE_1)
	s_and_b32 s44, s44, exec_lo
	s_and_b32 s35, s35, exec_lo
	;; [unrolled: 1-line block ×4, first 2 shown]
	s_xor_b32 s1, exec_lo, -1
	s_and_b32 s0, s0, exec_lo
	s_or_b32 exec_lo, exec_lo, s61
	s_branch .LBB62_629
.LBB62_1920:
	s_mov_b32 s45, -1
	s_mov_b32 s44, 0
	s_mov_b32 s31, s61
	s_branch .LBB62_3512
.LBB62_1921:
	s_mov_b32 s89, -1
	s_mov_b32 s31, 0
.LBB62_1922:
                                        ; implicit-def: $vgpr10_vgpr11
.LBB62_1923:
	s_and_b32 vcc_lo, exec_lo, s34
	s_cbranch_vccz .LBB62_1927
; %bb.1924:
	s_cmp_eq_u32 s1, 44
	s_cbranch_scc0 .LBB62_1926
; %bb.1925:
	global_load_u8 v14, v[8:9], off
	s_mov_b32 s89, 0
	s_mov_b32 s31, -1
	s_wait_loadcnt 0x0
	v_cmp_ne_u32_e32 vcc_lo, 0, v14
	v_lshlrev_b32_e32 v10, 23, v14
	s_delay_alu instid0(VALU_DEP_1) | instskip(NEXT) | instid1(VALU_DEP_1)
	v_trunc_f32_e32 v10, v10
	v_mul_f32_e64 v11, 0x2f800000, |v10|
	s_delay_alu instid0(VALU_DEP_1) | instskip(NEXT) | instid1(VALU_DEP_1)
	v_floor_f32_e32 v11, v11
	v_fma_f32 v12, 0xcf800000, v11, |v10|
	v_ashrrev_i32_e32 v10, 31, v10
	v_cvt_u32_f32_e32 v13, v11
	s_delay_alu instid0(VALU_DEP_3) | instskip(NEXT) | instid1(VALU_DEP_2)
	v_cvt_u32_f32_e32 v12, v12
	v_dual_mov_b32 v11, v10 :: v_dual_bitop2_b32 v13, v13, v10 bitop3:0x14
	s_delay_alu instid0(VALU_DEP_2) | instskip(NEXT) | instid1(VALU_DEP_1)
	v_xor_b32_e32 v12, v12, v10
	v_sub_nc_u64_e32 v[10:11], v[12:13], v[10:11]
	s_delay_alu instid0(VALU_DEP_1)
	v_dual_cndmask_b32 v11, 0, v11 :: v_dual_cndmask_b32 v10, 0, v10
	s_branch .LBB62_1927
.LBB62_1926:
	s_mov_b32 s89, -1
                                        ; implicit-def: $vgpr10_vgpr11
.LBB62_1927:
	s_mov_b32 s34, 0
.LBB62_1928:
	s_delay_alu instid0(SALU_CYCLE_1)
	s_and_b32 vcc_lo, exec_lo, s34
	s_cbranch_vccz .LBB62_1932
; %bb.1929:
	s_cmp_eq_u32 s1, 29
	s_cbranch_scc0 .LBB62_1931
; %bb.1930:
	global_load_b64 v[10:11], v[8:9], off
	s_mov_b32 s31, -1
	s_mov_b32 s89, 0
	s_branch .LBB62_1932
.LBB62_1931:
	s_mov_b32 s89, -1
                                        ; implicit-def: $vgpr10_vgpr11
.LBB62_1932:
	s_mov_b32 s34, 0
.LBB62_1933:
	s_delay_alu instid0(SALU_CYCLE_1)
	s_and_b32 vcc_lo, exec_lo, s34
	s_cbranch_vccz .LBB62_1949
; %bb.1934:
	s_cmp_lt_i32 s1, 27
	s_cbranch_scc1 .LBB62_1937
; %bb.1935:
	s_cmp_gt_i32 s1, 27
	s_cbranch_scc0 .LBB62_1938
; %bb.1936:
	s_wait_loadcnt 0x0
	global_load_b32 v10, v[8:9], off
	v_mov_b32_e32 v11, 0
	s_mov_b32 s31, 0
	s_branch .LBB62_1939
.LBB62_1937:
	s_mov_b32 s31, -1
                                        ; implicit-def: $vgpr10_vgpr11
	s_branch .LBB62_1942
.LBB62_1938:
	s_mov_b32 s31, -1
                                        ; implicit-def: $vgpr10_vgpr11
.LBB62_1939:
	s_delay_alu instid0(SALU_CYCLE_1)
	s_and_not1_b32 vcc_lo, exec_lo, s31
	s_cbranch_vccnz .LBB62_1941
; %bb.1940:
	s_wait_loadcnt 0x0
	global_load_u16 v10, v[8:9], off
	s_mov_b32 s31, 0
	s_delay_alu instid0(SALU_CYCLE_1)
	v_mov_b32_e32 v11, s31
	s_wait_loadcnt 0x0
	v_and_b32_e32 v10, 0xffff, v10
.LBB62_1941:
	s_mov_b32 s31, 0
.LBB62_1942:
	s_delay_alu instid0(SALU_CYCLE_1)
	s_and_not1_b32 vcc_lo, exec_lo, s31
	s_cbranch_vccnz .LBB62_1948
; %bb.1943:
	global_load_u8 v12, v[8:9], off
	s_mov_b32 s34, 0
	s_mov_b32 s31, exec_lo
	s_wait_loadcnt 0x0
	v_cmpx_lt_i16_e32 0x7f, v12
	s_xor_b32 s31, exec_lo, s31
	s_cbranch_execz .LBB62_1960
; %bb.1944:
	v_cmp_ne_u16_e32 vcc_lo, 0x80, v12
	s_and_b32 s34, vcc_lo, exec_lo
	s_and_not1_saveexec_b32 s31, s31
	s_cbranch_execnz .LBB62_1961
.LBB62_1945:
	s_or_b32 exec_lo, exec_lo, s31
	v_mov_b64_e32 v[10:11], 0
	s_and_saveexec_b32 s31, s34
	s_cbranch_execz .LBB62_1947
.LBB62_1946:
	v_and_b32_e32 v10, 0xffff, v12
	s_delay_alu instid0(VALU_DEP_1) | instskip(SKIP_1) | instid1(VALU_DEP_2)
	v_and_b32_e32 v11, 7, v10
	v_bfe_u32 v15, v10, 3, 4
	v_clz_i32_u32_e32 v13, v11
	s_delay_alu instid0(VALU_DEP_2) | instskip(NEXT) | instid1(VALU_DEP_2)
	v_cmp_eq_u32_e32 vcc_lo, 0, v15
	v_min_u32_e32 v13, 32, v13
	s_delay_alu instid0(VALU_DEP_1) | instskip(NEXT) | instid1(VALU_DEP_1)
	v_subrev_nc_u32_e32 v14, 28, v13
	v_dual_lshlrev_b32 v10, v14, v10 :: v_dual_sub_nc_u32 v13, 29, v13
	s_delay_alu instid0(VALU_DEP_1) | instskip(NEXT) | instid1(VALU_DEP_2)
	v_dual_lshlrev_b32 v12, 24, v12 :: v_dual_bitop2_b32 v10, 7, v10 bitop3:0x40
	v_cndmask_b32_e32 v13, v15, v13, vcc_lo
	s_delay_alu instid0(VALU_DEP_2) | instskip(NEXT) | instid1(VALU_DEP_3)
	v_cndmask_b32_e32 v10, v11, v10, vcc_lo
	v_and_b32_e32 v11, 0x80000000, v12
	s_delay_alu instid0(VALU_DEP_3) | instskip(NEXT) | instid1(VALU_DEP_3)
	v_lshl_add_u32 v12, v13, 23, 0x3b800000
	v_lshlrev_b32_e32 v10, 20, v10
	s_delay_alu instid0(VALU_DEP_1) | instskip(NEXT) | instid1(VALU_DEP_1)
	v_or3_b32 v10, v11, v12, v10
	v_trunc_f32_e32 v10, v10
	s_delay_alu instid0(VALU_DEP_1) | instskip(NEXT) | instid1(VALU_DEP_1)
	v_mul_f32_e64 v11, 0x2f800000, |v10|
	v_floor_f32_e32 v11, v11
	s_delay_alu instid0(VALU_DEP_1) | instskip(SKIP_2) | instid1(VALU_DEP_3)
	v_fma_f32 v12, 0xcf800000, v11, |v10|
	v_ashrrev_i32_e32 v10, 31, v10
	v_cvt_u32_f32_e32 v13, v11
	v_cvt_u32_f32_e32 v12, v12
	s_delay_alu instid0(VALU_DEP_2) | instskip(NEXT) | instid1(VALU_DEP_2)
	v_dual_mov_b32 v11, v10 :: v_dual_bitop2_b32 v13, v13, v10 bitop3:0x14
	v_xor_b32_e32 v12, v12, v10
	s_delay_alu instid0(VALU_DEP_1)
	v_sub_nc_u64_e32 v[10:11], v[12:13], v[10:11]
.LBB62_1947:
	s_or_b32 exec_lo, exec_lo, s31
.LBB62_1948:
	s_mov_b32 s31, -1
.LBB62_1949:
	s_mov_b32 s34, 0
.LBB62_1950:
	s_delay_alu instid0(SALU_CYCLE_1)
	s_and_b32 vcc_lo, exec_lo, s34
	s_cbranch_vccz .LBB62_1983
; %bb.1951:
	s_cmp_gt_i32 s1, 22
	s_cbranch_scc0 .LBB62_1959
; %bb.1952:
	s_cmp_lt_i32 s1, 24
	s_cbranch_scc1 .LBB62_1962
; %bb.1953:
	s_cmp_gt_i32 s1, 24
	s_cbranch_scc0 .LBB62_1963
; %bb.1954:
	global_load_u8 v12, v[8:9], off
	s_mov_b32 s34, 0
	s_mov_b32 s31, exec_lo
	s_wait_loadcnt 0x0
	v_cmpx_lt_i16_e32 0x7f, v12
	s_xor_b32 s31, exec_lo, s31
	s_cbranch_execz .LBB62_1975
; %bb.1955:
	v_cmp_ne_u16_e32 vcc_lo, 0x80, v12
	s_and_b32 s34, vcc_lo, exec_lo
	s_and_not1_saveexec_b32 s31, s31
	s_cbranch_execnz .LBB62_1976
.LBB62_1956:
	s_or_b32 exec_lo, exec_lo, s31
	v_mov_b64_e32 v[10:11], 0
	s_and_saveexec_b32 s31, s34
	s_cbranch_execz .LBB62_1958
.LBB62_1957:
	v_and_b32_e32 v10, 0xffff, v12
	s_delay_alu instid0(VALU_DEP_1) | instskip(SKIP_1) | instid1(VALU_DEP_2)
	v_and_b32_e32 v11, 3, v10
	v_bfe_u32 v15, v10, 2, 5
	v_clz_i32_u32_e32 v13, v11
	s_delay_alu instid0(VALU_DEP_2) | instskip(NEXT) | instid1(VALU_DEP_2)
	v_cmp_eq_u32_e32 vcc_lo, 0, v15
	v_min_u32_e32 v13, 32, v13
	s_delay_alu instid0(VALU_DEP_1) | instskip(NEXT) | instid1(VALU_DEP_1)
	v_subrev_nc_u32_e32 v14, 29, v13
	v_dual_lshlrev_b32 v10, v14, v10 :: v_dual_sub_nc_u32 v13, 30, v13
	s_delay_alu instid0(VALU_DEP_1) | instskip(NEXT) | instid1(VALU_DEP_2)
	v_dual_lshlrev_b32 v12, 24, v12 :: v_dual_bitop2_b32 v10, 3, v10 bitop3:0x40
	v_cndmask_b32_e32 v13, v15, v13, vcc_lo
	s_delay_alu instid0(VALU_DEP_2) | instskip(NEXT) | instid1(VALU_DEP_3)
	v_cndmask_b32_e32 v10, v11, v10, vcc_lo
	v_and_b32_e32 v11, 0x80000000, v12
	s_delay_alu instid0(VALU_DEP_3) | instskip(NEXT) | instid1(VALU_DEP_3)
	v_lshl_add_u32 v12, v13, 23, 0x37800000
	v_lshlrev_b32_e32 v10, 21, v10
	s_delay_alu instid0(VALU_DEP_1) | instskip(NEXT) | instid1(VALU_DEP_1)
	v_or3_b32 v10, v11, v12, v10
	v_trunc_f32_e32 v10, v10
	s_delay_alu instid0(VALU_DEP_1) | instskip(NEXT) | instid1(VALU_DEP_1)
	v_mul_f32_e64 v11, 0x2f800000, |v10|
	v_floor_f32_e32 v11, v11
	s_delay_alu instid0(VALU_DEP_1) | instskip(SKIP_2) | instid1(VALU_DEP_3)
	v_fma_f32 v12, 0xcf800000, v11, |v10|
	v_ashrrev_i32_e32 v10, 31, v10
	v_cvt_u32_f32_e32 v13, v11
	v_cvt_u32_f32_e32 v12, v12
	s_delay_alu instid0(VALU_DEP_2) | instskip(NEXT) | instid1(VALU_DEP_2)
	v_dual_mov_b32 v11, v10 :: v_dual_bitop2_b32 v13, v13, v10 bitop3:0x14
	v_xor_b32_e32 v12, v12, v10
	s_delay_alu instid0(VALU_DEP_1)
	v_sub_nc_u64_e32 v[10:11], v[12:13], v[10:11]
.LBB62_1958:
	s_or_b32 exec_lo, exec_lo, s31
	s_mov_b32 s31, 0
	s_branch .LBB62_1964
.LBB62_1959:
	s_mov_b32 s34, -1
                                        ; implicit-def: $vgpr10_vgpr11
	s_branch .LBB62_1970
.LBB62_1960:
	s_and_not1_saveexec_b32 s31, s31
	s_cbranch_execz .LBB62_1945
.LBB62_1961:
	v_cmp_ne_u16_e32 vcc_lo, 0, v12
	s_and_not1_b32 s34, s34, exec_lo
	s_and_b32 s35, vcc_lo, exec_lo
	s_delay_alu instid0(SALU_CYCLE_1)
	s_or_b32 s34, s34, s35
	s_or_b32 exec_lo, exec_lo, s31
	v_mov_b64_e32 v[10:11], 0
	s_and_saveexec_b32 s31, s34
	s_cbranch_execnz .LBB62_1946
	s_branch .LBB62_1947
.LBB62_1962:
	s_mov_b32 s31, -1
                                        ; implicit-def: $vgpr10_vgpr11
	s_branch .LBB62_1967
.LBB62_1963:
	s_mov_b32 s31, -1
                                        ; implicit-def: $vgpr10_vgpr11
.LBB62_1964:
	s_delay_alu instid0(SALU_CYCLE_1)
	s_and_b32 vcc_lo, exec_lo, s31
	s_cbranch_vccz .LBB62_1966
; %bb.1965:
	s_wait_loadcnt 0x0
	global_load_u8 v10, v[8:9], off
	s_wait_loadcnt 0x0
	v_lshlrev_b32_e32 v10, 24, v10
	s_delay_alu instid0(VALU_DEP_1) | instskip(NEXT) | instid1(VALU_DEP_1)
	v_and_b32_e32 v11, 0x7f000000, v10
	v_clz_i32_u32_e32 v12, v11
	v_cmp_ne_u32_e32 vcc_lo, 0, v11
	v_add_nc_u32_e32 v14, 0x1000000, v11
	s_delay_alu instid0(VALU_DEP_3) | instskip(NEXT) | instid1(VALU_DEP_1)
	v_min_u32_e32 v12, 32, v12
	v_sub_nc_u32_e64 v12, v12, 4 clamp
	s_delay_alu instid0(VALU_DEP_1) | instskip(NEXT) | instid1(VALU_DEP_1)
	v_dual_lshlrev_b32 v13, v12, v11 :: v_dual_lshlrev_b32 v12, 23, v12
	v_lshrrev_b32_e32 v13, 4, v13
	s_delay_alu instid0(VALU_DEP_1) | instskip(NEXT) | instid1(VALU_DEP_1)
	v_dual_sub_nc_u32 v12, v13, v12 :: v_dual_ashrrev_i32 v13, 8, v14
	v_add_nc_u32_e32 v12, 0x3c000000, v12
	s_delay_alu instid0(VALU_DEP_1) | instskip(NEXT) | instid1(VALU_DEP_1)
	v_and_or_b32 v12, 0x7f800000, v13, v12
	v_cndmask_b32_e32 v11, 0, v12, vcc_lo
	s_delay_alu instid0(VALU_DEP_1) | instskip(NEXT) | instid1(VALU_DEP_1)
	v_and_or_b32 v10, 0x80000000, v10, v11
	v_trunc_f32_e32 v10, v10
	s_delay_alu instid0(VALU_DEP_1) | instskip(NEXT) | instid1(VALU_DEP_1)
	v_mul_f32_e64 v11, 0x2f800000, |v10|
	v_floor_f32_e32 v11, v11
	s_delay_alu instid0(VALU_DEP_1) | instskip(SKIP_2) | instid1(VALU_DEP_3)
	v_fma_f32 v12, 0xcf800000, v11, |v10|
	v_ashrrev_i32_e32 v10, 31, v10
	v_cvt_u32_f32_e32 v13, v11
	v_cvt_u32_f32_e32 v12, v12
	s_delay_alu instid0(VALU_DEP_2) | instskip(NEXT) | instid1(VALU_DEP_2)
	v_dual_mov_b32 v11, v10 :: v_dual_bitop2_b32 v13, v13, v10 bitop3:0x14
	v_xor_b32_e32 v12, v12, v10
	s_delay_alu instid0(VALU_DEP_1)
	v_sub_nc_u64_e32 v[10:11], v[12:13], v[10:11]
.LBB62_1966:
	s_mov_b32 s31, 0
.LBB62_1967:
	s_delay_alu instid0(SALU_CYCLE_1)
	s_and_not1_b32 vcc_lo, exec_lo, s31
	s_cbranch_vccnz .LBB62_1969
; %bb.1968:
	s_wait_loadcnt 0x0
	global_load_u8 v10, v[8:9], off
	s_wait_loadcnt 0x0
	v_lshlrev_b32_e32 v11, 25, v10
	v_lshlrev_b16 v10, 8, v10
	s_delay_alu instid0(VALU_DEP_1) | instskip(SKIP_1) | instid1(VALU_DEP_2)
	v_and_or_b32 v13, 0x7f00, v10, 0.5
	v_bfe_i32 v10, v10, 0, 16
	v_dual_add_f32 v13, -0.5, v13 :: v_dual_lshrrev_b32 v12, 4, v11
	v_cmp_gt_u32_e32 vcc_lo, 0x8000000, v11
	s_delay_alu instid0(VALU_DEP_2) | instskip(NEXT) | instid1(VALU_DEP_1)
	v_or_b32_e32 v12, 0x70000000, v12
	v_mul_f32_e32 v12, 0x7800000, v12
	s_delay_alu instid0(VALU_DEP_1) | instskip(NEXT) | instid1(VALU_DEP_1)
	v_cndmask_b32_e32 v11, v12, v13, vcc_lo
	v_and_or_b32 v10, 0x80000000, v10, v11
	s_delay_alu instid0(VALU_DEP_1) | instskip(NEXT) | instid1(VALU_DEP_1)
	v_trunc_f32_e32 v10, v10
	v_mul_f32_e64 v11, 0x2f800000, |v10|
	s_delay_alu instid0(VALU_DEP_1) | instskip(NEXT) | instid1(VALU_DEP_1)
	v_floor_f32_e32 v11, v11
	v_fma_f32 v12, 0xcf800000, v11, |v10|
	v_ashrrev_i32_e32 v10, 31, v10
	v_cvt_u32_f32_e32 v13, v11
	s_delay_alu instid0(VALU_DEP_3) | instskip(NEXT) | instid1(VALU_DEP_2)
	v_cvt_u32_f32_e32 v12, v12
	v_dual_mov_b32 v11, v10 :: v_dual_bitop2_b32 v13, v13, v10 bitop3:0x14
	s_delay_alu instid0(VALU_DEP_2) | instskip(NEXT) | instid1(VALU_DEP_1)
	v_xor_b32_e32 v12, v12, v10
	v_sub_nc_u64_e32 v[10:11], v[12:13], v[10:11]
.LBB62_1969:
	s_mov_b32 s34, 0
	s_mov_b32 s31, -1
.LBB62_1970:
	s_and_not1_b32 vcc_lo, exec_lo, s34
	s_cbranch_vccnz .LBB62_1983
; %bb.1971:
	s_cmp_gt_i32 s1, 14
	s_cbranch_scc0 .LBB62_1974
; %bb.1972:
	s_cmp_eq_u32 s1, 15
	s_cbranch_scc0 .LBB62_1977
; %bb.1973:
	s_wait_loadcnt 0x0
	global_load_u16 v10, v[8:9], off
	s_mov_b32 s31, -1
	s_mov_b32 s89, 0
	s_wait_loadcnt 0x0
	v_lshlrev_b32_e32 v10, 16, v10
	s_delay_alu instid0(VALU_DEP_1) | instskip(NEXT) | instid1(VALU_DEP_1)
	v_trunc_f32_e32 v10, v10
	v_mul_f32_e64 v11, 0x2f800000, |v10|
	s_delay_alu instid0(VALU_DEP_1) | instskip(NEXT) | instid1(VALU_DEP_1)
	v_floor_f32_e32 v11, v11
	v_fma_f32 v12, 0xcf800000, v11, |v10|
	v_ashrrev_i32_e32 v10, 31, v10
	v_cvt_u32_f32_e32 v13, v11
	s_delay_alu instid0(VALU_DEP_3) | instskip(NEXT) | instid1(VALU_DEP_2)
	v_cvt_u32_f32_e32 v12, v12
	v_dual_mov_b32 v11, v10 :: v_dual_bitop2_b32 v13, v13, v10 bitop3:0x14
	s_delay_alu instid0(VALU_DEP_2) | instskip(NEXT) | instid1(VALU_DEP_1)
	v_xor_b32_e32 v12, v12, v10
	v_sub_nc_u64_e32 v[10:11], v[12:13], v[10:11]
	s_branch .LBB62_1978
.LBB62_1974:
	s_mov_b32 s34, -1
                                        ; implicit-def: $vgpr10_vgpr11
	s_branch .LBB62_1979
.LBB62_1975:
	s_and_not1_saveexec_b32 s31, s31
	s_cbranch_execz .LBB62_1956
.LBB62_1976:
	v_cmp_ne_u16_e32 vcc_lo, 0, v12
	s_and_not1_b32 s34, s34, exec_lo
	s_and_b32 s35, vcc_lo, exec_lo
	s_delay_alu instid0(SALU_CYCLE_1)
	s_or_b32 s34, s34, s35
	s_or_b32 exec_lo, exec_lo, s31
	v_mov_b64_e32 v[10:11], 0
	s_and_saveexec_b32 s31, s34
	s_cbranch_execnz .LBB62_1957
	s_branch .LBB62_1958
.LBB62_1977:
	s_mov_b32 s89, -1
                                        ; implicit-def: $vgpr10_vgpr11
.LBB62_1978:
	s_mov_b32 s34, 0
.LBB62_1979:
	s_delay_alu instid0(SALU_CYCLE_1)
	s_and_b32 vcc_lo, exec_lo, s34
	s_cbranch_vccz .LBB62_1983
; %bb.1980:
	s_cmp_eq_u32 s1, 11
	s_cbranch_scc0 .LBB62_1982
; %bb.1981:
	s_wait_loadcnt 0x0
	global_load_u8 v10, v[8:9], off
	s_mov_b32 s89, 0
	s_mov_b32 s31, -1
	v_mov_b32_e32 v11, s89
	s_wait_loadcnt 0x0
	v_cmp_ne_u16_e32 vcc_lo, 0, v10
	v_cndmask_b32_e64 v10, 0, 1, vcc_lo
	s_branch .LBB62_1983
.LBB62_1982:
	s_mov_b32 s89, -1
                                        ; implicit-def: $vgpr10_vgpr11
.LBB62_1983:
	s_mov_b32 s1, 0
.LBB62_1984:
	s_delay_alu instid0(SALU_CYCLE_1)
	s_and_b32 vcc_lo, exec_lo, s1
	s_cbranch_vccz .LBB62_2033
; %bb.1985:
	s_and_b32 s0, 0xffff, s0
	s_delay_alu instid0(SALU_CYCLE_1)
	s_cmp_lt_i32 s0, 5
	s_cbranch_scc1 .LBB62_1990
; %bb.1986:
	s_cmp_lt_i32 s0, 8
	s_cbranch_scc1 .LBB62_1991
; %bb.1987:
	;; [unrolled: 3-line block ×3, first 2 shown]
	s_cmp_gt_i32 s0, 9
	s_cbranch_scc0 .LBB62_1993
; %bb.1989:
	s_wait_loadcnt 0x0
	global_load_b64 v[10:11], v[8:9], off
	s_mov_b32 s1, 0
	s_wait_loadcnt 0x0
	v_trunc_f64_e32 v[10:11], v[10:11]
	s_delay_alu instid0(VALU_DEP_1) | instskip(NEXT) | instid1(VALU_DEP_1)
	v_ldexp_f64 v[12:13], v[10:11], 0xffffffe0
	v_floor_f64_e32 v[12:13], v[12:13]
	s_delay_alu instid0(VALU_DEP_1) | instskip(SKIP_1) | instid1(VALU_DEP_2)
	v_fmamk_f64 v[14:15], v[12:13], 0xc1f00000, v[10:11]
	v_cvt_i32_f64_e32 v11, v[12:13]
	v_cvt_u32_f64_e32 v10, v[14:15]
	s_branch .LBB62_1994
.LBB62_1990:
	s_mov_b32 s1, -1
                                        ; implicit-def: $vgpr10_vgpr11
	s_branch .LBB62_2012
.LBB62_1991:
	s_mov_b32 s1, -1
                                        ; implicit-def: $vgpr10_vgpr11
	s_branch .LBB62_2000
.LBB62_1992:
	s_mov_b32 s1, -1
                                        ; implicit-def: $vgpr10_vgpr11
	s_branch .LBB62_1997
.LBB62_1993:
	s_mov_b32 s1, -1
                                        ; implicit-def: $vgpr10_vgpr11
.LBB62_1994:
	s_delay_alu instid0(SALU_CYCLE_1)
	s_and_not1_b32 vcc_lo, exec_lo, s1
	s_cbranch_vccnz .LBB62_1996
; %bb.1995:
	s_wait_loadcnt 0x0
	global_load_b32 v10, v[8:9], off
	s_wait_loadcnt 0x0
	v_trunc_f32_e32 v10, v10
	s_delay_alu instid0(VALU_DEP_1) | instskip(NEXT) | instid1(VALU_DEP_1)
	v_mul_f32_e64 v11, 0x2f800000, |v10|
	v_floor_f32_e32 v11, v11
	s_delay_alu instid0(VALU_DEP_1) | instskip(SKIP_2) | instid1(VALU_DEP_3)
	v_fma_f32 v12, 0xcf800000, v11, |v10|
	v_ashrrev_i32_e32 v10, 31, v10
	v_cvt_u32_f32_e32 v13, v11
	v_cvt_u32_f32_e32 v12, v12
	s_delay_alu instid0(VALU_DEP_2) | instskip(NEXT) | instid1(VALU_DEP_2)
	v_dual_mov_b32 v11, v10 :: v_dual_bitop2_b32 v13, v13, v10 bitop3:0x14
	v_xor_b32_e32 v12, v12, v10
	s_delay_alu instid0(VALU_DEP_1)
	v_sub_nc_u64_e32 v[10:11], v[12:13], v[10:11]
.LBB62_1996:
	s_mov_b32 s1, 0
.LBB62_1997:
	s_delay_alu instid0(SALU_CYCLE_1)
	s_and_not1_b32 vcc_lo, exec_lo, s1
	s_cbranch_vccnz .LBB62_1999
; %bb.1998:
	s_wait_loadcnt 0x0
	global_load_b32 v10, v[8:9], off
	s_wait_loadcnt 0x0
	v_cvt_f32_f16_e32 v10, v10
	s_delay_alu instid0(VALU_DEP_1) | instskip(NEXT) | instid1(VALU_DEP_1)
	v_cvt_i32_f32_e32 v10, v10
	v_ashrrev_i32_e32 v11, 31, v10
.LBB62_1999:
	s_mov_b32 s1, 0
.LBB62_2000:
	s_delay_alu instid0(SALU_CYCLE_1)
	s_and_not1_b32 vcc_lo, exec_lo, s1
	s_cbranch_vccnz .LBB62_2011
; %bb.2001:
	s_cmp_lt_i32 s0, 6
	s_cbranch_scc1 .LBB62_2004
; %bb.2002:
	s_cmp_gt_i32 s0, 6
	s_cbranch_scc0 .LBB62_2005
; %bb.2003:
	s_wait_loadcnt 0x0
	global_load_b64 v[10:11], v[8:9], off
	s_mov_b32 s1, 0
	s_wait_loadcnt 0x0
	v_trunc_f64_e32 v[10:11], v[10:11]
	s_delay_alu instid0(VALU_DEP_1) | instskip(NEXT) | instid1(VALU_DEP_1)
	v_ldexp_f64 v[12:13], v[10:11], 0xffffffe0
	v_floor_f64_e32 v[12:13], v[12:13]
	s_delay_alu instid0(VALU_DEP_1) | instskip(SKIP_1) | instid1(VALU_DEP_2)
	v_fmamk_f64 v[14:15], v[12:13], 0xc1f00000, v[10:11]
	v_cvt_i32_f64_e32 v11, v[12:13]
	v_cvt_u32_f64_e32 v10, v[14:15]
	s_branch .LBB62_2006
.LBB62_2004:
	s_mov_b32 s1, -1
                                        ; implicit-def: $vgpr10_vgpr11
	s_branch .LBB62_2009
.LBB62_2005:
	s_mov_b32 s1, -1
                                        ; implicit-def: $vgpr10_vgpr11
.LBB62_2006:
	s_delay_alu instid0(SALU_CYCLE_1)
	s_and_not1_b32 vcc_lo, exec_lo, s1
	s_cbranch_vccnz .LBB62_2008
; %bb.2007:
	s_wait_loadcnt 0x0
	global_load_b32 v10, v[8:9], off
	s_wait_loadcnt 0x0
	v_trunc_f32_e32 v10, v10
	s_delay_alu instid0(VALU_DEP_1) | instskip(NEXT) | instid1(VALU_DEP_1)
	v_mul_f32_e64 v11, 0x2f800000, |v10|
	v_floor_f32_e32 v11, v11
	s_delay_alu instid0(VALU_DEP_1) | instskip(SKIP_2) | instid1(VALU_DEP_3)
	v_fma_f32 v12, 0xcf800000, v11, |v10|
	v_ashrrev_i32_e32 v10, 31, v10
	v_cvt_u32_f32_e32 v13, v11
	v_cvt_u32_f32_e32 v12, v12
	s_delay_alu instid0(VALU_DEP_2) | instskip(NEXT) | instid1(VALU_DEP_2)
	v_dual_mov_b32 v11, v10 :: v_dual_bitop2_b32 v13, v13, v10 bitop3:0x14
	v_xor_b32_e32 v12, v12, v10
	s_delay_alu instid0(VALU_DEP_1)
	v_sub_nc_u64_e32 v[10:11], v[12:13], v[10:11]
.LBB62_2008:
	s_mov_b32 s1, 0
.LBB62_2009:
	s_delay_alu instid0(SALU_CYCLE_1)
	s_and_not1_b32 vcc_lo, exec_lo, s1
	s_cbranch_vccnz .LBB62_2011
; %bb.2010:
	s_wait_loadcnt 0x0
	global_load_u16 v10, v[8:9], off
	s_wait_loadcnt 0x0
	v_cvt_f32_f16_e32 v10, v10
	s_delay_alu instid0(VALU_DEP_1) | instskip(NEXT) | instid1(VALU_DEP_1)
	v_cvt_i32_f32_e32 v10, v10
	v_ashrrev_i32_e32 v11, 31, v10
.LBB62_2011:
	s_mov_b32 s1, 0
.LBB62_2012:
	s_delay_alu instid0(SALU_CYCLE_1)
	s_and_not1_b32 vcc_lo, exec_lo, s1
	s_cbranch_vccnz .LBB62_2032
; %bb.2013:
	s_cmp_lt_i32 s0, 2
	s_cbranch_scc1 .LBB62_2017
; %bb.2014:
	s_cmp_lt_i32 s0, 3
	s_cbranch_scc1 .LBB62_2018
; %bb.2015:
	s_cmp_gt_i32 s0, 3
	s_cbranch_scc0 .LBB62_2019
; %bb.2016:
	s_wait_loadcnt 0x0
	global_load_b64 v[10:11], v[8:9], off
	s_mov_b32 s1, 0
	s_branch .LBB62_2020
.LBB62_2017:
	s_mov_b32 s1, -1
                                        ; implicit-def: $vgpr10_vgpr11
	s_branch .LBB62_2026
.LBB62_2018:
	s_mov_b32 s1, -1
                                        ; implicit-def: $vgpr10_vgpr11
	s_branch .LBB62_2023
.LBB62_2019:
	s_mov_b32 s1, -1
                                        ; implicit-def: $vgpr10_vgpr11
.LBB62_2020:
	s_delay_alu instid0(SALU_CYCLE_1)
	s_and_not1_b32 vcc_lo, exec_lo, s1
	s_cbranch_vccnz .LBB62_2022
; %bb.2021:
	s_wait_loadcnt 0x0
	global_load_b32 v10, v[8:9], off
	s_wait_loadcnt 0x0
	v_ashrrev_i32_e32 v11, 31, v10
.LBB62_2022:
	s_mov_b32 s1, 0
.LBB62_2023:
	s_delay_alu instid0(SALU_CYCLE_1)
	s_and_not1_b32 vcc_lo, exec_lo, s1
	s_cbranch_vccnz .LBB62_2025
; %bb.2024:
	s_wait_loadcnt 0x0
	global_load_u16 v10, v[8:9], off
	s_wait_loadcnt 0x0
	v_bfe_i32 v10, v10, 0, 16
	s_delay_alu instid0(VALU_DEP_1)
	v_ashrrev_i32_e32 v11, 31, v10
.LBB62_2025:
	s_mov_b32 s1, 0
.LBB62_2026:
	s_delay_alu instid0(SALU_CYCLE_1)
	s_and_not1_b32 vcc_lo, exec_lo, s1
	s_cbranch_vccnz .LBB62_2032
; %bb.2027:
	s_cmp_gt_i32 s0, 0
	s_mov_b32 s0, 0
	s_cbranch_scc0 .LBB62_2029
; %bb.2028:
	s_wait_loadcnt 0x0
	global_load_i8 v10, v[8:9], off
	s_wait_loadcnt 0x0
	v_bfe_i32 v10, v10, 0, 16
	s_delay_alu instid0(VALU_DEP_1)
	v_ashrrev_i32_e32 v11, 31, v10
	s_branch .LBB62_2030
.LBB62_2029:
	s_mov_b32 s0, -1
                                        ; implicit-def: $vgpr10_vgpr11
.LBB62_2030:
	s_delay_alu instid0(SALU_CYCLE_1)
	s_and_not1_b32 vcc_lo, exec_lo, s0
	s_cbranch_vccnz .LBB62_2032
; %bb.2031:
	global_load_u8 v8, v[8:9], off
	s_mov_b32 s0, 0
	s_wait_loadcnt 0x1
	v_mov_b32_e32 v11, s0
	s_wait_loadcnt 0x0
	v_and_b32_e32 v10, 0xffff, v8
.LBB62_2032:
	s_mov_b32 s31, -1
.LBB62_2033:
	s_delay_alu instid0(SALU_CYCLE_1)
	s_and_not1_b32 vcc_lo, exec_lo, s31
	s_cbranch_vccnz .LBB62_2044
; %bb.2034:
	s_wait_loadcnt 0x0
	v_cmp_eq_u64_e32 vcc_lo, s[36:37], v[0:1]
	s_mov_b32 s0, 0
	s_mov_b32 s35, -1
	s_mov_b32 s44, s78
	s_mov_b32 s34, s82
	;; [unrolled: 1-line block ×4, first 2 shown]
	s_and_b32 s45, s60, vcc_lo
	s_wait_xcnt 0x0
	s_and_saveexec_b32 s90, s45
	s_cbranch_execz .LBB62_4195
; %bb.2035:
	v_cmp_eq_u64_e32 vcc_lo, s[40:41], v[2:3]
	s_mov_b32 s34, -1
	s_mov_b32 s35, s82
	s_mov_b32 s31, s81
	;; [unrolled: 1-line block ×3, first 2 shown]
	s_and_b32 s1, s59, vcc_lo
	s_delay_alu instid0(SALU_CYCLE_1)
	s_and_saveexec_b32 s91, s1
	s_cbranch_execz .LBB62_3681
; %bb.2036:
	v_sub_nc_u64_e32 v[0:1], v[6:7], v[4:5]
	s_mov_b32 s1, 0
	s_mov_b32 s31, -1
	s_mov_b32 s35, s80
	s_delay_alu instid0(VALU_DEP_1) | instskip(SKIP_4) | instid1(SALU_CYCLE_1)
	v_cmp_le_i64_e32 vcc_lo, s[36:37], v[0:1]
	v_cmp_ge_i64_e64 s0, s[38:39], v[0:1]
	s_and_b32 s34, vcc_lo, s0
	s_mov_b32 s0, s81
	s_and_b32 s34, s58, s34
	s_and_saveexec_b32 s92, s34
	s_cbranch_execz .LBB62_3680
; %bb.2037:
	v_cmp_lt_i64_e64 s0, s[40:41], 1
	v_mov_b64_e32 v[0:1], 0
	s_xor_b32 s1, s57, -1
	s_delay_alu instid0(SALU_CYCLE_1) | instskip(NEXT) | instid1(SALU_CYCLE_1)
	s_or_b32 s0, s1, s0
	s_and_b32 vcc_lo, exec_lo, s0
	s_cbranch_vccnz .LBB62_2060
; %bb.2038:
	v_mul_u64_e32 v[8:9], s[40:41], v[10:11]
	s_mov_b32 s1, 0
	v_mov_b64_e32 v[0:1], 0
	s_mov_b32 s31, s1
	v_mov_b32_e32 v2, 0
	s_lshl_b64 s[46:47], s[30:31], 3
	s_mov_b64 s[34:35], 0xffffffff
	s_add_nc_u64 s[44:45], s[20:21], s[46:47]
	s_add_nc_u64 s[46:47], s[22:23], s[46:47]
	s_mov_b32 s31, s42
	s_branch .LBB62_2040
.LBB62_2039:                            ;   in Loop: Header=BB62_2040 Depth=1
	s_or_b32 exec_lo, exec_lo, s0
	global_load_b64 v[12:13], v2, s[46:47]
	v_mul_u64_e32 v[14:15], s[48:49], v[10:11]
	s_add_co_i32 s31, s31, -1
	s_add_nc_u64 s[44:45], s[44:45], -8
	s_cmp_lg_u32 s31, 0
	s_wait_xcnt 0x0
	s_add_nc_u64 s[46:47], s[46:47], -8
	s_delay_alu instid0(VALU_DEP_1) | instskip(SKIP_1) | instid1(VALU_DEP_1)
	v_sub_nc_u64_e32 v[8:9], v[8:9], v[14:15]
	s_wait_loadcnt 0x0
	v_mad_nc_u64_u32 v[0:1], v8, v12, v[0:1]
	s_delay_alu instid0(VALU_DEP_1) | instskip(NEXT) | instid1(VALU_DEP_1)
	v_mad_u32 v1, v9, v12, v1
	v_mad_u32 v1, v8, v13, v1
	v_mov_b64_e32 v[8:9], v[10:11]
	s_cbranch_scc0 .LBB62_2060
.LBB62_2040:                            ; =>This Inner Loop Header: Depth=1
	global_load_b64 v[10:11], v2, s[44:45]
	s_mov_b32 s0, exec_lo
	s_wait_loadcnt 0x0
	v_or_b32_e32 v3, v9, v11
	v_readfirstlane_b32 s48, v10
	v_readfirstlane_b32 s49, v11
                                        ; implicit-def: $vgpr10_vgpr11
	s_wait_xcnt 0x0
	s_delay_alu instid0(VALU_DEP_3)
	v_cmpx_ne_u64_e32 0, v[2:3]
	s_xor_b32 s93, exec_lo, s0
	s_cbranch_execz .LBB62_2042
; %bb.2041:                             ;   in Loop: Header=BB62_2040 Depth=1
	s_ashr_i32 s50, s49, 31
	v_dual_mov_b32 v15, v2 :: v_dual_ashrrev_i32 v10, 31, v9
	s_mov_b32 s51, s50
	v_mov_b32_e32 v25, v2
	s_add_nc_u64 s[52:53], s[48:49], s[50:51]
	s_delay_alu instid0(VALU_DEP_2) | instskip(SKIP_1) | instid1(SALU_CYCLE_1)
	v_mov_b32_e32 v11, v10
	s_xor_b64 s[52:53], s[52:53], s[50:51]
	s_cvt_f32_u32 s0, s52
	s_cvt_f32_u32 s51, s53
	s_sub_nc_u64 s[96:97], 0, s[52:53]
	v_add_nc_u64_e32 v[12:13], v[8:9], v[10:11]
	v_mov_b32_e32 v19, v2
	s_fmamk_f32 s0, s51, 0x4f800000, s0
	s_delay_alu instid0(SALU_CYCLE_3) | instskip(NEXT) | instid1(VALU_DEP_2)
	v_s_rcp_f32 s0, s0
	v_xor_b32_e32 v14, v12, v10
	s_delay_alu instid0(VALU_DEP_3) | instskip(NEXT) | instid1(TRANS32_DEP_1)
	v_xor_b32_e32 v18, v13, v10
	s_mul_f32 s0, s0, 0x5f7ffffc
	s_delay_alu instid0(SALU_CYCLE_3) | instskip(NEXT) | instid1(SALU_CYCLE_3)
	s_mul_f32 s51, s0, 0x2f800000
	s_trunc_f32 s51, s51
	s_delay_alu instid0(SALU_CYCLE_3) | instskip(SKIP_1) | instid1(SALU_CYCLE_2)
	s_fmamk_f32 s0, s51, 0xcf800000, s0
	s_cvt_u32_f32 s95, s51
	s_cvt_u32_f32 s94, s0
	s_delay_alu instid0(SALU_CYCLE_3) | instskip(NEXT) | instid1(SALU_CYCLE_1)
	s_mul_u64 s[98:99], s[96:97], s[94:95]
	s_mul_hi_u32 s101, s94, s99
	s_mul_i32 s100, s94, s99
	s_mul_hi_u32 s0, s94, s98
	s_mul_i32 s104, s95, s98
	s_add_nc_u64 s[100:101], s[0:1], s[100:101]
	s_mul_hi_u32 s51, s95, s98
	s_mul_hi_u32 vcc_lo, s95, s99
	s_add_co_u32 s0, s100, s104
	s_add_co_ci_u32 s0, s101, s51
	s_mul_i32 s98, s95, s99
	s_add_co_ci_u32 s99, vcc_lo, 0
	s_delay_alu instid0(SALU_CYCLE_1) | instskip(NEXT) | instid1(SALU_CYCLE_1)
	s_add_nc_u64 s[98:99], s[0:1], s[98:99]
	s_add_co_u32 s94, s94, s98
	s_cselect_b32 s0, -1, 0
	s_delay_alu instid0(SALU_CYCLE_1) | instskip(SKIP_1) | instid1(SALU_CYCLE_1)
	s_cmp_lg_u32 s0, 0
	s_add_co_ci_u32 s95, s95, s99
	s_mul_u64 s[96:97], s[96:97], s[94:95]
	s_delay_alu instid0(SALU_CYCLE_1)
	s_mul_hi_u32 s99, s94, s97
	s_mul_i32 s98, s94, s97
	s_mul_hi_u32 s0, s94, s96
	s_mul_i32 s100, s95, s96
	s_add_nc_u64 s[98:99], s[0:1], s[98:99]
	s_mul_hi_u32 s51, s95, s96
	s_mul_hi_u32 s101, s95, s97
	s_add_co_u32 s0, s98, s100
	s_add_co_ci_u32 s0, s99, s51
	s_mul_i32 s96, s95, s97
	s_add_co_ci_u32 s97, s101, 0
	s_delay_alu instid0(SALU_CYCLE_1) | instskip(NEXT) | instid1(SALU_CYCLE_1)
	s_add_nc_u64 s[96:97], s[0:1], s[96:97]
	s_add_co_u32 s94, s94, s96
	s_cselect_b32 s0, -1, 0
	v_mul_hi_u32 v24, v14, s94
	s_cmp_lg_u32 s0, 0
	s_add_co_ci_u32 s0, s95, s97
	s_and_b64 s[96:97], s[94:95], s[34:35]
	v_mul_u64_e32 v[16:17], s[0:1], v[14:15]
	v_mul_u64_e32 v[12:13], s[96:97], v[18:19]
	;; [unrolled: 1-line block ×3, first 2 shown]
	s_delay_alu instid0(VALU_DEP_3) | instskip(NEXT) | instid1(VALU_DEP_1)
	v_add_nc_u64_e32 v[16:17], v[24:25], v[16:17]
	v_add_co_u32 v3, vcc_lo, v16, v12
	s_delay_alu instid0(VALU_DEP_2) | instskip(NEXT) | instid1(VALU_DEP_4)
	v_add_co_ci_u32_e32 v24, vcc_lo, v17, v13, vcc_lo
	v_add_co_ci_u32_e32 v21, vcc_lo, 0, v21, vcc_lo
	s_delay_alu instid0(VALU_DEP_1) | instskip(NEXT) | instid1(VALU_DEP_1)
	v_add_nc_u64_e32 v[12:13], v[24:25], v[20:21]
	v_mul_u64_e32 v[16:17], s[52:53], v[12:13]
	s_delay_alu instid0(VALU_DEP_1) | instskip(NEXT) | instid1(VALU_DEP_2)
	v_sub_nc_u32_e32 v3, v18, v17
	v_sub_co_u32 v11, vcc_lo, v14, v16
	s_delay_alu instid0(VALU_DEP_1) | instskip(NEXT) | instid1(VALU_DEP_3)
	v_sub_co_ci_u32_e64 v18, null, v18, v17, vcc_lo
	v_subrev_co_ci_u32_e64 v3, null, s53, v3, vcc_lo
	s_delay_alu instid0(VALU_DEP_3) | instskip(SKIP_1) | instid1(VALU_DEP_3)
	v_sub_co_u32 v14, s0, v11, s52
	v_add_nc_u64_e32 v[16:17], 1, v[12:13]
	v_subrev_co_ci_u32_e64 v3, null, 0, v3, s0
	s_delay_alu instid0(VALU_DEP_3) | instskip(SKIP_1) | instid1(VALU_DEP_3)
	v_cmp_le_u32_e32 vcc_lo, s52, v14
	v_cndmask_b32_e64 v14, 0, -1, vcc_lo
	v_cmp_le_u32_e32 vcc_lo, s53, v3
	v_cndmask_b32_e64 v15, 0, -1, vcc_lo
	;; [unrolled: 2-line block ×4, first 2 shown]
	v_cmp_eq_u32_e32 vcc_lo, s53, v3
	v_cndmask_b32_e32 v3, v15, v14, vcc_lo
	v_cmp_eq_u32_e32 vcc_lo, s53, v18
	v_add_nc_u64_e32 v[14:15], 2, v[12:13]
	v_cndmask_b32_e32 v11, v19, v11, vcc_lo
	s_delay_alu instid0(VALU_DEP_4) | instskip(NEXT) | instid1(VALU_DEP_2)
	v_cmp_ne_u32_e32 vcc_lo, 0, v3
	v_cmp_ne_u32_e64 s0, 0, v11
	s_delay_alu instid0(VALU_DEP_4) | instskip(NEXT) | instid1(VALU_DEP_1)
	v_dual_cndmask_b32 v3, v17, v15, vcc_lo :: v_dual_cndmask_b32 v11, v16, v14, vcc_lo
	v_dual_cndmask_b32 v3, v13, v3, s0 :: v_dual_bitop2_b32 v10, s50, v10 bitop3:0x14
	s_delay_alu instid0(VALU_DEP_1) | instskip(NEXT) | instid1(VALU_DEP_2)
	v_dual_cndmask_b32 v12, v12, v11, s0 :: v_dual_mov_b32 v11, v10
	v_xor_b32_e32 v13, v3, v10
	s_delay_alu instid0(VALU_DEP_2) | instskip(NEXT) | instid1(VALU_DEP_1)
	v_xor_b32_e32 v12, v12, v10
	v_sub_nc_u64_e32 v[10:11], v[12:13], v[10:11]
.LBB62_2042:                            ;   in Loop: Header=BB62_2040 Depth=1
	s_and_not1_saveexec_b32 s0, s93
	s_cbranch_execz .LBB62_2039
; %bb.2043:                             ;   in Loop: Header=BB62_2040 Depth=1
	v_cvt_f32_u32_e32 v3, s48
	s_sub_co_i32 s50, 0, s48
	s_delay_alu instid0(VALU_DEP_1) | instskip(SKIP_1) | instid1(TRANS32_DEP_1)
	v_rcp_iflag_f32_e32 v3, v3
	v_nop
	v_mul_f32_e32 v3, 0x4f7ffffe, v3
	s_delay_alu instid0(VALU_DEP_1) | instskip(NEXT) | instid1(VALU_DEP_1)
	v_cvt_u32_f32_e32 v3, v3
	v_mul_lo_u32 v10, s50, v3
	s_delay_alu instid0(VALU_DEP_1) | instskip(NEXT) | instid1(VALU_DEP_1)
	v_mul_hi_u32 v10, v3, v10
	v_add_nc_u32_e32 v3, v3, v10
	s_delay_alu instid0(VALU_DEP_1) | instskip(NEXT) | instid1(VALU_DEP_1)
	v_mul_hi_u32 v3, v8, v3
	v_mul_lo_u32 v10, v3, s48
	s_delay_alu instid0(VALU_DEP_1) | instskip(NEXT) | instid1(VALU_DEP_1)
	v_dual_add_nc_u32 v11, 1, v3 :: v_dual_sub_nc_u32 v10, v8, v10
	v_subrev_nc_u32_e32 v12, s48, v10
	v_cmp_le_u32_e32 vcc_lo, s48, v10
	s_delay_alu instid0(VALU_DEP_2) | instskip(NEXT) | instid1(VALU_DEP_1)
	v_dual_cndmask_b32 v10, v10, v12 :: v_dual_cndmask_b32 v3, v3, v11
	v_cmp_le_u32_e32 vcc_lo, s48, v10
	s_delay_alu instid0(VALU_DEP_2) | instskip(NEXT) | instid1(VALU_DEP_1)
	v_add_nc_u32_e32 v11, 1, v3
	v_dual_cndmask_b32 v10, v3, v11 :: v_dual_mov_b32 v11, v2
	s_branch .LBB62_2039
.LBB62_2044:
	s_mov_b32 s0, 0
	s_mov_b32 s1, s80
	;; [unrolled: 1-line block ×6, first 2 shown]
.LBB62_2045:
                                        ; implicit-def: $vgpr22
.LBB62_2046:
	s_and_not1_b32 s45, s80, exec_lo
	s_and_b32 s1, s1, exec_lo
	s_and_not1_b32 s46, s81, exec_lo
	s_and_b32 s31, s31, exec_lo
	s_or_b32 s49, s45, s1
	s_or_b32 s46, s46, s31
	s_and_not1_b32 s1, s82, exec_lo
	s_and_b32 s31, s34, exec_lo
	s_and_not1_b32 s34, s78, exec_lo
	s_and_b32 s44, s44, exec_lo
	s_or_b32 s48, s1, s31
	s_or_b32 s44, s34, s44
	s_and_not1_b32 s1, s79, exec_lo
	s_and_b32 s31, s35, exec_lo
	s_and_not1_b32 s34, s76, exec_lo
	s_and_b32 s35, s89, exec_lo
	s_or_b32 s47, s1, s31
	s_or_b32 s34, s34, s35
	s_and_not1_b32 s1, s77, exec_lo
	s_and_b32 s31, s88, exec_lo
	s_and_not1_b32 s35, s74, exec_lo
	s_and_b32 s50, s87, exec_lo
	s_or_b32 s45, s1, s31
	s_or_b32 s31, s35, s50
	s_and_not1_b32 s1, s75, exec_lo
	s_and_b32 s35, s86, exec_lo
	s_and_not1_b32 s50, s73, exec_lo
	s_and_b32 s51, s85, exec_lo
	s_or_b32 s35, s1, s35
	s_or_b32 s1, s50, s51
	s_or_not1_b32 s85, s0, exec_lo
.LBB62_2047:
	s_wait_xcnt 0x0
	s_or_b32 exec_lo, exec_lo, s84
	s_mov_b32 s51, 0
	s_mov_b32 s52, 0
	s_mov_b32 s53, 0
                                        ; implicit-def: $sgpr0
                                        ; implicit-def: $vgpr2_vgpr3
                                        ; implicit-def: $vgpr0_vgpr1
	s_and_saveexec_b32 s50, s85
	s_cbranch_execz .LBB62_2138
; %bb.2048:
	v_cmp_gt_i32_e32 vcc_lo, s62, v22
	s_mov_b32 s62, 0
	s_mov_b32 s84, s1
	;; [unrolled: 1-line block ×3, first 2 shown]
                                        ; implicit-def: $sgpr0
                                        ; implicit-def: $vgpr2_vgpr3
                                        ; implicit-def: $vgpr0_vgpr1
	s_and_saveexec_b32 s51, vcc_lo
	s_cbranch_execz .LBB62_2137
; %bb.2049:
	s_wait_loadcnt 0x0
	v_mul_lo_u32 v0, v22, s17
	s_and_b32 s0, s54, 0xff
	s_delay_alu instid0(SALU_CYCLE_1) | instskip(NEXT) | instid1(VALU_DEP_1)
	s_cmp_lt_i32 s0, 11
	v_ashrrev_i32_e32 v1, 31, v0
	s_delay_alu instid0(VALU_DEP_1)
	v_add_nc_u64_e32 v[2:3], s[6:7], v[0:1]
	s_cbranch_scc1 .LBB62_2056
; %bb.2050:
	s_and_b32 s52, 0xffff, s0
	s_delay_alu instid0(SALU_CYCLE_1)
	s_cmp_gt_i32 s52, 25
	s_cbranch_scc0 .LBB62_2057
; %bb.2051:
	s_cmp_gt_i32 s52, 28
	s_cbranch_scc0 .LBB62_2058
; %bb.2052:
	;; [unrolled: 3-line block ×4, first 2 shown]
	s_cmp_eq_u32 s52, 46
	s_cbranch_scc0 .LBB62_2075
; %bb.2055:
	global_load_b32 v0, v[2:3], off
	s_mov_b32 s84, -1
	s_wait_loadcnt 0x0
	v_lshlrev_b32_e32 v0, 16, v0
	s_delay_alu instid0(VALU_DEP_1) | instskip(NEXT) | instid1(VALU_DEP_1)
	v_trunc_f32_e32 v0, v0
	v_mul_f32_e64 v1, 0x2f800000, |v0|
	s_delay_alu instid0(VALU_DEP_1) | instskip(NEXT) | instid1(VALU_DEP_1)
	v_floor_f32_e32 v1, v1
	v_fma_f32 v4, 0xcf800000, v1, |v0|
	v_ashrrev_i32_e32 v0, 31, v0
	v_cvt_u32_f32_e32 v5, v1
	s_delay_alu instid0(VALU_DEP_3) | instskip(NEXT) | instid1(VALU_DEP_2)
	v_cvt_u32_f32_e32 v4, v4
	v_dual_mov_b32 v1, v0 :: v_dual_bitop2_b32 v5, v5, v0 bitop3:0x14
	s_delay_alu instid0(VALU_DEP_2) | instskip(NEXT) | instid1(VALU_DEP_1)
	v_xor_b32_e32 v4, v4, v0
	v_sub_nc_u64_e32 v[0:1], v[4:5], v[0:1]
	s_branch .LBB62_2077
.LBB62_2056:
	s_mov_b32 s52, -1
	s_mov_b32 s84, 0
	s_mov_b32 s53, s1
                                        ; implicit-def: $vgpr0_vgpr1
	s_branch .LBB62_2136
.LBB62_2057:
	s_mov_b32 s85, -1
	s_mov_b32 s84, 0
	s_mov_b32 s53, s1
                                        ; implicit-def: $vgpr0_vgpr1
	s_branch .LBB62_2104
.LBB62_2058:
	s_mov_b32 s85, -1
	s_mov_b32 s84, 0
	s_mov_b32 s53, s1
                                        ; implicit-def: $vgpr0_vgpr1
	s_branch .LBB62_2087
.LBB62_2059:
	s_mov_b32 s85, -1
	s_mov_b32 s84, 0
	s_mov_b32 s53, s1
                                        ; implicit-def: $vgpr0_vgpr1
	s_branch .LBB62_2082
.LBB62_2060:
	s_mov_b32 s35, -1
	s_mov_b32 s0, s81
	s_mov_b32 s1, exec_lo
	v_cmpx_gt_i64_e64 v[6:7], v[4:5]
	s_cbranch_execz .LBB62_2067
; %bb.2061:
	s_delay_alu instid0(VALU_DEP_2) | instskip(SKIP_2) | instid1(VALU_DEP_1)
	v_lshlrev_b64_e32 v[0:1], 3, v[0:1]
	s_mov_b32 s0, 0
	s_xor_b32 s34, s56, -1
                                        ; implicit-def: $sgpr31
                                        ; implicit-def: $sgpr44
                                        ; implicit-def: $sgpr35
	v_lshl_add_u64 v[2:3], v[4:5], 3, v[0:1]
	v_add_nc_u64_e32 v[4:5], s[24:25], v[0:1]
	s_delay_alu instid0(VALU_DEP_2) | instskip(NEXT) | instid1(VALU_DEP_1)
	v_add_nc_u64_e32 v[2:3], s[24:25], v[2:3]
	v_add_nc_u64_e32 v[0:1], 8, v[2:3]
	s_delay_alu instid0(VALU_DEP_3)
	v_lshl_add_u64 v[2:3], v[6:7], 3, v[4:5]
	s_branch .LBB62_2063
.LBB62_2062:                            ;   in Loop: Header=BB62_2063 Depth=1
	s_or_b32 exec_lo, exec_lo, s45
	s_delay_alu instid0(SALU_CYCLE_1) | instskip(NEXT) | instid1(SALU_CYCLE_1)
	s_and_b32 s45, exec_lo, s44
	s_or_b32 s0, s45, s0
	s_and_not1_b32 s31, s31, exec_lo
	s_and_b32 s45, s35, exec_lo
	s_delay_alu instid0(SALU_CYCLE_1)
	s_or_b32 s31, s31, s45
	s_and_not1_b32 exec_lo, exec_lo, s0
	s_cbranch_execz .LBB62_2066
.LBB62_2063:                            ; =>This Inner Loop Header: Depth=1
	s_or_b32 s35, s35, exec_lo
	s_or_b32 s44, s44, exec_lo
	s_mov_b32 s45, exec_lo
	s_delay_alu instid0(VALU_DEP_2)
	v_cmpx_lt_u64_e64 v[0:1], v[2:3]
	s_cbranch_execz .LBB62_2062
; %bb.2064:                             ;   in Loop: Header=BB62_2063 Depth=1
	global_load_b128 v[4:7], v[0:1], off offset:-8
	s_wait_xcnt 0x0
	v_add_nc_u64_e32 v[0:1], 8, v[0:1]
	s_and_not1_b32 s44, s44, exec_lo
	s_and_not1_b32 s35, s35, exec_lo
	s_wait_loadcnt 0x0
	v_cmp_ge_i64_e32 vcc_lo, v[4:5], v[6:7]
	s_or_b32 s46, s34, vcc_lo
	s_delay_alu instid0(SALU_CYCLE_1) | instskip(NEXT) | instid1(SALU_CYCLE_1)
	s_and_b32 s46, s46, exec_lo
	s_or_b32 s44, s44, s46
	s_branch .LBB62_2062
.LBB62_2065:
	s_mov_b32 s85, -1
	s_mov_b32 s84, 0
	s_mov_b32 s53, s1
	s_branch .LBB62_2076
.LBB62_2066:
	s_or_b32 exec_lo, exec_lo, s0
	s_delay_alu instid0(SALU_CYCLE_1)
	s_or_b32 s0, s81, exec_lo
	s_or_not1_b32 s35, s31, exec_lo
.LBB62_2067:
	s_or_b32 exec_lo, exec_lo, s1
	s_mov_b32 s34, 0
	s_mov_b32 s31, s80
	s_and_saveexec_b32 s1, s35
	s_cbranch_execz .LBB62_3679
; %bb.2068:
	v_mul_lo_u32 v0, v22, s16
	s_and_b32 s34, s26, 0xff
	s_delay_alu instid0(SALU_CYCLE_1) | instskip(NEXT) | instid1(VALU_DEP_1)
	s_cmp_lt_i32 s34, 11
	v_ashrrev_i32_e32 v1, 31, v0
	s_delay_alu instid0(VALU_DEP_1)
	v_add_nc_u64_e32 v[0:1], s[4:5], v[0:1]
	s_cbranch_scc1 .LBB62_3501
; %bb.2069:
	s_and_b32 s35, 0xffff, s34
	s_delay_alu instid0(SALU_CYCLE_1)
	s_cmp_gt_i32 s35, 25
	s_cbranch_scc0 .LBB62_3503
; %bb.2070:
	s_cmp_gt_i32 s35, 28
	s_cbranch_scc0 .LBB62_3505
; %bb.2071:
	;; [unrolled: 3-line block ×4, first 2 shown]
	s_mov_b32 s45, 0
	s_mov_b32 s31, -1
	s_cmp_eq_u32 s35, 46
	s_mov_b32 s44, 0
	s_cbranch_scc0 .LBB62_3597
; %bb.2074:
	v_mov_b32_e32 v2, 0
	s_mov_b32 s44, -1
	s_mov_b32 s31, 0
	global_store_b32 v[0:1], v2, off
	s_branch .LBB62_3597
.LBB62_2075:
	s_mov_b32 s53, -1
	s_mov_b32 s84, 0
.LBB62_2076:
                                        ; implicit-def: $vgpr0_vgpr1
.LBB62_2077:
	s_and_b32 vcc_lo, exec_lo, s85
	s_cbranch_vccz .LBB62_2081
; %bb.2078:
	s_cmp_eq_u32 s52, 44
	s_cbranch_scc0 .LBB62_2080
; %bb.2079:
	global_load_u8 v6, v[2:3], off
	s_mov_b32 s53, 0
	s_mov_b32 s84, -1
	s_wait_loadcnt 0x0
	v_cmp_ne_u32_e32 vcc_lo, 0, v6
	v_lshlrev_b32_e32 v0, 23, v6
	s_delay_alu instid0(VALU_DEP_1) | instskip(NEXT) | instid1(VALU_DEP_1)
	v_trunc_f32_e32 v0, v0
	v_mul_f32_e64 v1, 0x2f800000, |v0|
	s_delay_alu instid0(VALU_DEP_1) | instskip(NEXT) | instid1(VALU_DEP_1)
	v_floor_f32_e32 v1, v1
	v_fma_f32 v4, 0xcf800000, v1, |v0|
	v_ashrrev_i32_e32 v0, 31, v0
	v_cvt_u32_f32_e32 v5, v1
	s_delay_alu instid0(VALU_DEP_3) | instskip(NEXT) | instid1(VALU_DEP_2)
	v_cvt_u32_f32_e32 v4, v4
	v_dual_mov_b32 v1, v0 :: v_dual_bitop2_b32 v5, v5, v0 bitop3:0x14
	s_delay_alu instid0(VALU_DEP_2) | instskip(NEXT) | instid1(VALU_DEP_1)
	v_xor_b32_e32 v4, v4, v0
	v_sub_nc_u64_e32 v[0:1], v[4:5], v[0:1]
	s_delay_alu instid0(VALU_DEP_1)
	v_dual_cndmask_b32 v1, 0, v1 :: v_dual_cndmask_b32 v0, 0, v0
	s_branch .LBB62_2081
.LBB62_2080:
	s_mov_b32 s53, -1
                                        ; implicit-def: $vgpr0_vgpr1
.LBB62_2081:
	s_mov_b32 s85, 0
.LBB62_2082:
	s_delay_alu instid0(SALU_CYCLE_1)
	s_and_b32 vcc_lo, exec_lo, s85
	s_cbranch_vccz .LBB62_2086
; %bb.2083:
	s_cmp_eq_u32 s52, 29
	s_cbranch_scc0 .LBB62_2085
; %bb.2084:
	global_load_b64 v[0:1], v[2:3], off
	s_mov_b32 s53, 0
	s_mov_b32 s84, -1
	s_branch .LBB62_2086
.LBB62_2085:
	s_mov_b32 s53, -1
                                        ; implicit-def: $vgpr0_vgpr1
.LBB62_2086:
	s_mov_b32 s85, 0
.LBB62_2087:
	s_delay_alu instid0(SALU_CYCLE_1)
	s_and_b32 vcc_lo, exec_lo, s85
	s_cbranch_vccz .LBB62_2103
; %bb.2088:
	s_cmp_lt_i32 s52, 27
	s_cbranch_scc1 .LBB62_2091
; %bb.2089:
	s_cmp_gt_i32 s52, 27
	s_cbranch_scc0 .LBB62_2092
; %bb.2090:
	s_wait_loadcnt 0x0
	global_load_b32 v0, v[2:3], off
	v_mov_b32_e32 v1, 0
	s_mov_b32 s84, 0
	s_branch .LBB62_2093
.LBB62_2091:
	s_mov_b32 s84, -1
                                        ; implicit-def: $vgpr0_vgpr1
	s_branch .LBB62_2096
.LBB62_2092:
	s_mov_b32 s84, -1
                                        ; implicit-def: $vgpr0_vgpr1
.LBB62_2093:
	s_delay_alu instid0(SALU_CYCLE_1)
	s_and_not1_b32 vcc_lo, exec_lo, s84
	s_cbranch_vccnz .LBB62_2095
; %bb.2094:
	s_wait_loadcnt 0x0
	global_load_u16 v0, v[2:3], off
	s_mov_b32 s84, 0
	s_delay_alu instid0(SALU_CYCLE_1)
	v_mov_b32_e32 v1, s84
	s_wait_loadcnt 0x0
	v_and_b32_e32 v0, 0xffff, v0
.LBB62_2095:
	s_mov_b32 s84, 0
.LBB62_2096:
	s_delay_alu instid0(SALU_CYCLE_1)
	s_and_not1_b32 vcc_lo, exec_lo, s84
	s_cbranch_vccnz .LBB62_2102
; %bb.2097:
	global_load_u8 v4, v[2:3], off
	s_mov_b32 s85, 0
	s_mov_b32 s84, exec_lo
	s_wait_loadcnt 0x0
	v_cmpx_lt_i16_e32 0x7f, v4
	s_xor_b32 s84, exec_lo, s84
	s_cbranch_execz .LBB62_2114
; %bb.2098:
	v_cmp_ne_u16_e32 vcc_lo, 0x80, v4
	s_and_b32 s85, vcc_lo, exec_lo
	s_and_not1_saveexec_b32 s84, s84
	s_cbranch_execnz .LBB62_2115
.LBB62_2099:
	s_or_b32 exec_lo, exec_lo, s84
	v_mov_b64_e32 v[0:1], 0
	s_and_saveexec_b32 s84, s85
	s_cbranch_execz .LBB62_2101
.LBB62_2100:
	v_and_b32_e32 v0, 0xffff, v4
	s_delay_alu instid0(VALU_DEP_1) | instskip(SKIP_1) | instid1(VALU_DEP_2)
	v_and_b32_e32 v1, 7, v0
	v_bfe_u32 v7, v0, 3, 4
	v_clz_i32_u32_e32 v5, v1
	s_delay_alu instid0(VALU_DEP_2) | instskip(NEXT) | instid1(VALU_DEP_2)
	v_cmp_eq_u32_e32 vcc_lo, 0, v7
	v_min_u32_e32 v5, 32, v5
	s_delay_alu instid0(VALU_DEP_1) | instskip(NEXT) | instid1(VALU_DEP_1)
	v_subrev_nc_u32_e32 v6, 28, v5
	v_dual_lshlrev_b32 v0, v6, v0 :: v_dual_sub_nc_u32 v5, 29, v5
	s_delay_alu instid0(VALU_DEP_1) | instskip(NEXT) | instid1(VALU_DEP_2)
	v_and_b32_e32 v0, 7, v0
	v_dual_cndmask_b32 v5, v7, v5 :: v_dual_lshlrev_b32 v4, 24, v4
	s_delay_alu instid0(VALU_DEP_2) | instskip(NEXT) | instid1(VALU_DEP_2)
	v_cndmask_b32_e32 v0, v1, v0, vcc_lo
	v_and_b32_e32 v1, 0x80000000, v4
	s_delay_alu instid0(VALU_DEP_3) | instskip(NEXT) | instid1(VALU_DEP_3)
	v_lshl_add_u32 v4, v5, 23, 0x3b800000
	v_lshlrev_b32_e32 v0, 20, v0
	s_delay_alu instid0(VALU_DEP_1) | instskip(NEXT) | instid1(VALU_DEP_1)
	v_or3_b32 v0, v1, v4, v0
	v_trunc_f32_e32 v0, v0
	s_delay_alu instid0(VALU_DEP_1) | instskip(NEXT) | instid1(VALU_DEP_1)
	v_mul_f32_e64 v1, 0x2f800000, |v0|
	v_floor_f32_e32 v1, v1
	s_delay_alu instid0(VALU_DEP_1) | instskip(SKIP_2) | instid1(VALU_DEP_3)
	v_fma_f32 v4, 0xcf800000, v1, |v0|
	v_ashrrev_i32_e32 v0, 31, v0
	v_cvt_u32_f32_e32 v5, v1
	v_cvt_u32_f32_e32 v4, v4
	s_delay_alu instid0(VALU_DEP_2) | instskip(NEXT) | instid1(VALU_DEP_2)
	v_dual_mov_b32 v1, v0 :: v_dual_bitop2_b32 v5, v5, v0 bitop3:0x14
	v_xor_b32_e32 v4, v4, v0
	s_delay_alu instid0(VALU_DEP_1)
	v_sub_nc_u64_e32 v[0:1], v[4:5], v[0:1]
.LBB62_2101:
	s_or_b32 exec_lo, exec_lo, s84
.LBB62_2102:
	s_mov_b32 s84, -1
.LBB62_2103:
	s_mov_b32 s85, 0
.LBB62_2104:
	s_delay_alu instid0(SALU_CYCLE_1)
	s_and_b32 vcc_lo, exec_lo, s85
	s_cbranch_vccz .LBB62_2135
; %bb.2105:
	s_cmp_gt_i32 s52, 22
	s_cbranch_scc0 .LBB62_2113
; %bb.2106:
	s_cmp_lt_i32 s52, 24
	s_cbranch_scc1 .LBB62_2116
; %bb.2107:
	s_cmp_gt_i32 s52, 24
	s_cbranch_scc0 .LBB62_2117
; %bb.2108:
	global_load_u8 v4, v[2:3], off
	s_mov_b32 s84, 0
	s_mov_b32 s62, exec_lo
	s_wait_loadcnt 0x0
	v_cmpx_lt_i16_e32 0x7f, v4
	s_xor_b32 s62, exec_lo, s62
	s_cbranch_execz .LBB62_2129
; %bb.2109:
	v_cmp_ne_u16_e32 vcc_lo, 0x80, v4
	s_and_b32 s84, vcc_lo, exec_lo
	s_and_not1_saveexec_b32 s62, s62
	s_cbranch_execnz .LBB62_2130
.LBB62_2110:
	s_or_b32 exec_lo, exec_lo, s62
	v_mov_b64_e32 v[0:1], 0
	s_and_saveexec_b32 s62, s84
	s_cbranch_execz .LBB62_2112
.LBB62_2111:
	v_and_b32_e32 v0, 0xffff, v4
	s_delay_alu instid0(VALU_DEP_1) | instskip(SKIP_1) | instid1(VALU_DEP_2)
	v_and_b32_e32 v1, 3, v0
	v_bfe_u32 v7, v0, 2, 5
	v_clz_i32_u32_e32 v5, v1
	s_delay_alu instid0(VALU_DEP_2) | instskip(NEXT) | instid1(VALU_DEP_2)
	v_cmp_eq_u32_e32 vcc_lo, 0, v7
	v_min_u32_e32 v5, 32, v5
	s_delay_alu instid0(VALU_DEP_1) | instskip(NEXT) | instid1(VALU_DEP_1)
	v_subrev_nc_u32_e32 v6, 29, v5
	v_dual_lshlrev_b32 v0, v6, v0 :: v_dual_sub_nc_u32 v5, 30, v5
	s_delay_alu instid0(VALU_DEP_1) | instskip(NEXT) | instid1(VALU_DEP_2)
	v_and_b32_e32 v0, 3, v0
	v_dual_cndmask_b32 v5, v7, v5 :: v_dual_lshlrev_b32 v4, 24, v4
	s_delay_alu instid0(VALU_DEP_2) | instskip(NEXT) | instid1(VALU_DEP_2)
	v_cndmask_b32_e32 v0, v1, v0, vcc_lo
	v_and_b32_e32 v1, 0x80000000, v4
	s_delay_alu instid0(VALU_DEP_3) | instskip(NEXT) | instid1(VALU_DEP_3)
	v_lshl_add_u32 v4, v5, 23, 0x37800000
	v_lshlrev_b32_e32 v0, 21, v0
	s_delay_alu instid0(VALU_DEP_1) | instskip(NEXT) | instid1(VALU_DEP_1)
	v_or3_b32 v0, v1, v4, v0
	v_trunc_f32_e32 v0, v0
	s_delay_alu instid0(VALU_DEP_1) | instskip(NEXT) | instid1(VALU_DEP_1)
	v_mul_f32_e64 v1, 0x2f800000, |v0|
	v_floor_f32_e32 v1, v1
	s_delay_alu instid0(VALU_DEP_1) | instskip(SKIP_2) | instid1(VALU_DEP_3)
	v_fma_f32 v4, 0xcf800000, v1, |v0|
	v_ashrrev_i32_e32 v0, 31, v0
	v_cvt_u32_f32_e32 v5, v1
	v_cvt_u32_f32_e32 v4, v4
	s_delay_alu instid0(VALU_DEP_2) | instskip(NEXT) | instid1(VALU_DEP_2)
	v_dual_mov_b32 v1, v0 :: v_dual_bitop2_b32 v5, v5, v0 bitop3:0x14
	v_xor_b32_e32 v4, v4, v0
	s_delay_alu instid0(VALU_DEP_1)
	v_sub_nc_u64_e32 v[0:1], v[4:5], v[0:1]
.LBB62_2112:
	s_or_b32 exec_lo, exec_lo, s62
	s_mov_b32 s62, 0
	s_branch .LBB62_2118
.LBB62_2113:
	s_mov_b32 s62, -1
                                        ; implicit-def: $vgpr0_vgpr1
	s_branch .LBB62_2124
.LBB62_2114:
	s_and_not1_saveexec_b32 s84, s84
	s_cbranch_execz .LBB62_2099
.LBB62_2115:
	v_cmp_ne_u16_e32 vcc_lo, 0, v4
	s_and_not1_b32 s85, s85, exec_lo
	s_and_b32 s86, vcc_lo, exec_lo
	s_delay_alu instid0(SALU_CYCLE_1)
	s_or_b32 s85, s85, s86
	s_or_b32 exec_lo, exec_lo, s84
	v_mov_b64_e32 v[0:1], 0
	s_and_saveexec_b32 s84, s85
	s_cbranch_execnz .LBB62_2100
	s_branch .LBB62_2101
.LBB62_2116:
	s_mov_b32 s62, -1
                                        ; implicit-def: $vgpr0_vgpr1
	s_branch .LBB62_2121
.LBB62_2117:
	s_mov_b32 s62, -1
                                        ; implicit-def: $vgpr0_vgpr1
.LBB62_2118:
	s_delay_alu instid0(SALU_CYCLE_1)
	s_and_b32 vcc_lo, exec_lo, s62
	s_cbranch_vccz .LBB62_2120
; %bb.2119:
	s_wait_loadcnt 0x0
	global_load_u8 v0, v[2:3], off
	s_wait_loadcnt 0x0
	v_lshlrev_b32_e32 v0, 24, v0
	s_delay_alu instid0(VALU_DEP_1) | instskip(NEXT) | instid1(VALU_DEP_1)
	v_and_b32_e32 v1, 0x7f000000, v0
	v_clz_i32_u32_e32 v4, v1
	v_cmp_ne_u32_e32 vcc_lo, 0, v1
	v_add_nc_u32_e32 v6, 0x1000000, v1
	s_delay_alu instid0(VALU_DEP_3) | instskip(NEXT) | instid1(VALU_DEP_1)
	v_min_u32_e32 v4, 32, v4
	v_sub_nc_u32_e64 v4, v4, 4 clamp
	s_delay_alu instid0(VALU_DEP_1) | instskip(NEXT) | instid1(VALU_DEP_1)
	v_dual_lshlrev_b32 v5, v4, v1 :: v_dual_lshlrev_b32 v4, 23, v4
	v_lshrrev_b32_e32 v5, 4, v5
	s_delay_alu instid0(VALU_DEP_1) | instskip(NEXT) | instid1(VALU_DEP_1)
	v_dual_sub_nc_u32 v4, v5, v4 :: v_dual_ashrrev_i32 v5, 8, v6
	v_add_nc_u32_e32 v4, 0x3c000000, v4
	s_delay_alu instid0(VALU_DEP_1) | instskip(NEXT) | instid1(VALU_DEP_1)
	v_and_or_b32 v4, 0x7f800000, v5, v4
	v_cndmask_b32_e32 v1, 0, v4, vcc_lo
	s_delay_alu instid0(VALU_DEP_1) | instskip(NEXT) | instid1(VALU_DEP_1)
	v_and_or_b32 v0, 0x80000000, v0, v1
	v_trunc_f32_e32 v0, v0
	s_delay_alu instid0(VALU_DEP_1) | instskip(NEXT) | instid1(VALU_DEP_1)
	v_mul_f32_e64 v1, 0x2f800000, |v0|
	v_floor_f32_e32 v1, v1
	s_delay_alu instid0(VALU_DEP_1) | instskip(SKIP_2) | instid1(VALU_DEP_3)
	v_fma_f32 v4, 0xcf800000, v1, |v0|
	v_ashrrev_i32_e32 v0, 31, v0
	v_cvt_u32_f32_e32 v5, v1
	v_cvt_u32_f32_e32 v4, v4
	s_delay_alu instid0(VALU_DEP_2) | instskip(NEXT) | instid1(VALU_DEP_2)
	v_dual_mov_b32 v1, v0 :: v_dual_bitop2_b32 v5, v5, v0 bitop3:0x14
	v_xor_b32_e32 v4, v4, v0
	s_delay_alu instid0(VALU_DEP_1)
	v_sub_nc_u64_e32 v[0:1], v[4:5], v[0:1]
.LBB62_2120:
	s_mov_b32 s62, 0
.LBB62_2121:
	s_delay_alu instid0(SALU_CYCLE_1)
	s_and_not1_b32 vcc_lo, exec_lo, s62
	s_cbranch_vccnz .LBB62_2123
; %bb.2122:
	s_wait_loadcnt 0x0
	global_load_u8 v0, v[2:3], off
	s_wait_loadcnt 0x0
	v_lshlrev_b32_e32 v1, 25, v0
	v_lshlrev_b16 v0, 8, v0
	s_delay_alu instid0(VALU_DEP_1) | instskip(SKIP_1) | instid1(VALU_DEP_2)
	v_and_or_b32 v5, 0x7f00, v0, 0.5
	v_bfe_i32 v0, v0, 0, 16
	v_add_f32_e32 v5, -0.5, v5
	v_lshrrev_b32_e32 v4, 4, v1
	v_cmp_gt_u32_e32 vcc_lo, 0x8000000, v1
	s_delay_alu instid0(VALU_DEP_2) | instskip(NEXT) | instid1(VALU_DEP_1)
	v_or_b32_e32 v4, 0x70000000, v4
	v_mul_f32_e32 v4, 0x7800000, v4
	s_delay_alu instid0(VALU_DEP_1) | instskip(NEXT) | instid1(VALU_DEP_1)
	v_cndmask_b32_e32 v1, v4, v5, vcc_lo
	v_and_or_b32 v0, 0x80000000, v0, v1
	s_delay_alu instid0(VALU_DEP_1) | instskip(NEXT) | instid1(VALU_DEP_1)
	v_trunc_f32_e32 v0, v0
	v_mul_f32_e64 v1, 0x2f800000, |v0|
	s_delay_alu instid0(VALU_DEP_1) | instskip(NEXT) | instid1(VALU_DEP_1)
	v_floor_f32_e32 v1, v1
	v_fma_f32 v4, 0xcf800000, v1, |v0|
	v_ashrrev_i32_e32 v0, 31, v0
	v_cvt_u32_f32_e32 v5, v1
	s_delay_alu instid0(VALU_DEP_3) | instskip(NEXT) | instid1(VALU_DEP_2)
	v_cvt_u32_f32_e32 v4, v4
	v_dual_mov_b32 v1, v0 :: v_dual_bitop2_b32 v5, v5, v0 bitop3:0x14
	s_delay_alu instid0(VALU_DEP_2) | instskip(NEXT) | instid1(VALU_DEP_1)
	v_xor_b32_e32 v4, v4, v0
	v_sub_nc_u64_e32 v[0:1], v[4:5], v[0:1]
.LBB62_2123:
	s_mov_b32 s62, 0
	s_mov_b32 s84, -1
.LBB62_2124:
	s_and_not1_b32 vcc_lo, exec_lo, s62
	s_mov_b32 s62, 0
	s_cbranch_vccnz .LBB62_2135
; %bb.2125:
	s_cmp_gt_i32 s52, 14
	s_cbranch_scc0 .LBB62_2128
; %bb.2126:
	s_cmp_eq_u32 s52, 15
	s_cbranch_scc0 .LBB62_2131
; %bb.2127:
	s_wait_loadcnt 0x0
	global_load_u16 v0, v[2:3], off
	s_mov_b32 s53, 0
	s_mov_b32 s84, -1
	s_wait_loadcnt 0x0
	v_lshlrev_b32_e32 v0, 16, v0
	s_delay_alu instid0(VALU_DEP_1) | instskip(NEXT) | instid1(VALU_DEP_1)
	v_trunc_f32_e32 v0, v0
	v_mul_f32_e64 v1, 0x2f800000, |v0|
	s_delay_alu instid0(VALU_DEP_1) | instskip(NEXT) | instid1(VALU_DEP_1)
	v_floor_f32_e32 v1, v1
	v_fma_f32 v4, 0xcf800000, v1, |v0|
	v_ashrrev_i32_e32 v0, 31, v0
	v_cvt_u32_f32_e32 v5, v1
	s_delay_alu instid0(VALU_DEP_3) | instskip(NEXT) | instid1(VALU_DEP_2)
	v_cvt_u32_f32_e32 v4, v4
	v_dual_mov_b32 v1, v0 :: v_dual_bitop2_b32 v5, v5, v0 bitop3:0x14
	s_delay_alu instid0(VALU_DEP_2) | instskip(NEXT) | instid1(VALU_DEP_1)
	v_xor_b32_e32 v4, v4, v0
	v_sub_nc_u64_e32 v[0:1], v[4:5], v[0:1]
	s_branch .LBB62_2133
.LBB62_2128:
	s_mov_b32 s62, -1
	s_branch .LBB62_2132
.LBB62_2129:
	s_and_not1_saveexec_b32 s62, s62
	s_cbranch_execz .LBB62_2110
.LBB62_2130:
	v_cmp_ne_u16_e32 vcc_lo, 0, v4
	s_and_not1_b32 s84, s84, exec_lo
	s_and_b32 s85, vcc_lo, exec_lo
	s_delay_alu instid0(SALU_CYCLE_1)
	s_or_b32 s84, s84, s85
	s_or_b32 exec_lo, exec_lo, s62
	v_mov_b64_e32 v[0:1], 0
	s_and_saveexec_b32 s62, s84
	s_cbranch_execnz .LBB62_2111
	s_branch .LBB62_2112
.LBB62_2131:
	s_mov_b32 s53, -1
.LBB62_2132:
                                        ; implicit-def: $vgpr0_vgpr1
.LBB62_2133:
	s_and_b32 vcc_lo, exec_lo, s62
	s_mov_b32 s62, 0
	s_cbranch_vccz .LBB62_2135
; %bb.2134:
	s_cmp_lg_u32 s52, 11
	s_mov_b32 s62, -1
	s_cselect_b32 s52, -1, 0
	s_and_not1_b32 s53, s53, exec_lo
	s_and_b32 s52, s52, exec_lo
	s_delay_alu instid0(SALU_CYCLE_1)
	s_or_b32 s53, s53, s52
.LBB62_2135:
	s_mov_b32 s52, 0
.LBB62_2136:
	s_and_b32 s85, s84, exec_lo
	s_and_not1_b32 s84, s1, exec_lo
	s_and_b32 s53, s53, exec_lo
	s_and_b32 s52, s52, exec_lo
	;; [unrolled: 1-line block ×3, first 2 shown]
	s_or_b32 s84, s84, s53
.LBB62_2137:
	s_wait_xcnt 0x0
	s_or_b32 exec_lo, exec_lo, s51
	s_delay_alu instid0(SALU_CYCLE_1)
	s_and_not1_b32 s1, s1, exec_lo
	s_and_b32 s84, s84, exec_lo
	s_and_b32 s53, s85, exec_lo
	;; [unrolled: 1-line block ×4, first 2 shown]
	s_or_b32 s1, s1, s84
.LBB62_2138:
	s_or_b32 exec_lo, exec_lo, s50
	s_delay_alu instid0(SALU_CYCLE_1)
	s_and_not1_b32 s50, s80, exec_lo
	s_and_b32 s49, s49, exec_lo
	s_and_b32 s46, s46, exec_lo
	s_or_b32 s80, s50, s49
	s_and_not1_b32 s49, s81, exec_lo
	s_and_b32 s44, s44, exec_lo
	s_or_b32 s81, s49, s46
	s_and_not1_b32 s46, s78, exec_lo
	;; [unrolled: 3-line block ×3, first 2 shown]
	s_and_not1_b32 s50, s82, exec_lo
	s_and_b32 s48, s48, exec_lo
	s_or_b32 s76, s44, s34
	s_and_not1_b32 s44, s75, exec_lo
	s_and_b32 s35, s35, exec_lo
	s_or_b32 s82, s50, s48
	s_and_not1_b32 s48, s79, exec_lo
	s_and_b32 s47, s47, exec_lo
	s_and_not1_b32 s46, s77, exec_lo
	s_and_b32 s45, s45, exec_lo
	;; [unrolled: 2-line block ×3, first 2 shown]
	s_or_b32 s75, s44, s35
	s_and_not1_b32 s35, s73, exec_lo
	s_and_b32 s44, s1, exec_lo
	s_or_b32 s79, s48, s47
	s_or_b32 s77, s46, s45
	;; [unrolled: 1-line block ×3, first 2 shown]
	s_and_b32 s34, s53, exec_lo
	s_and_b32 s31, s52, exec_lo
	;; [unrolled: 1-line block ×3, first 2 shown]
	s_or_b32 s73, s35, s44
.LBB62_2139:
	s_or_b32 exec_lo, exec_lo, s83
	s_delay_alu instid0(SALU_CYCLE_1)
	s_and_not1_b32 s35, s61, exec_lo
	s_and_b32 s44, s80, exec_lo
	s_and_not1_b32 s45, s64, exec_lo
	s_or_b32 s61, s35, s44
	s_and_not1_b32 s35, s63, exec_lo
	s_and_b32 s44, s81, exec_lo
	s_and_b32 s46, s82, exec_lo
	s_or_b32 s63, s35, s44
	s_and_not1_b32 s35, s65, exec_lo
	s_and_b32 s44, s78, exec_lo
	s_or_b32 s64, s45, s46
	s_and_not1_b32 s45, s66, exec_lo
	;; [unrolled: 3-line block ×6, first 2 shown]
	s_and_b32 s46, s75, exec_lo
	s_or_b32 s69, s35, s44
	s_and_b32 s35, s31, exec_lo
	s_and_not1_b32 s31, s71, exec_lo
	s_and_b32 s44, s73, exec_lo
	s_or_b32 s70, s45, s46
	s_and_b32 s34, s34, exec_lo
	s_and_b32 s73, s1, exec_lo
	s_or_b32 s71, s31, s44
	s_or_b32 exec_lo, exec_lo, s72
	s_mov_b32 s1, 0
	s_and_saveexec_b32 s31, s71
	s_cbranch_execz .LBB62_640
.LBB62_2140:
	s_mov_b32 s1, exec_lo
	s_and_not1_b32 s73, s73, exec_lo
	s_trap 2
	s_or_b32 exec_lo, exec_lo, s31
	s_and_saveexec_b32 s31, s73
	s_delay_alu instid0(SALU_CYCLE_1)
	s_xor_b32 s31, exec_lo, s31
	s_cbranch_execnz .LBB62_641
.LBB62_2141:
	s_or_b32 exec_lo, exec_lo, s31
	s_and_saveexec_b32 s31, s35
	s_cbranch_execz .LBB62_2187
.LBB62_2142:
	s_sext_i32_i16 s35, s0
	s_delay_alu instid0(SALU_CYCLE_1)
	s_cmp_lt_i32 s35, 5
	s_cbranch_scc1 .LBB62_2147
; %bb.2143:
	s_cmp_lt_i32 s35, 8
	s_cbranch_scc1 .LBB62_2148
; %bb.2144:
	;; [unrolled: 3-line block ×3, first 2 shown]
	s_cmp_gt_i32 s35, 9
	s_cbranch_scc0 .LBB62_2150
; %bb.2146:
	s_wait_loadcnt 0x0
	global_load_b64 v[0:1], v[2:3], off
	s_mov_b32 s35, 0
	s_wait_loadcnt 0x0
	v_trunc_f64_e32 v[0:1], v[0:1]
	s_delay_alu instid0(VALU_DEP_1) | instskip(NEXT) | instid1(VALU_DEP_1)
	v_ldexp_f64 v[4:5], v[0:1], 0xffffffe0
	v_floor_f64_e32 v[4:5], v[4:5]
	s_delay_alu instid0(VALU_DEP_1) | instskip(SKIP_1) | instid1(VALU_DEP_2)
	v_fmamk_f64 v[6:7], v[4:5], 0xc1f00000, v[0:1]
	v_cvt_i32_f64_e32 v1, v[4:5]
	v_cvt_u32_f64_e32 v0, v[6:7]
	s_branch .LBB62_2151
.LBB62_2147:
                                        ; implicit-def: $vgpr0_vgpr1
	s_branch .LBB62_2168
.LBB62_2148:
                                        ; implicit-def: $vgpr0_vgpr1
	s_branch .LBB62_2157
.LBB62_2149:
	s_mov_b32 s35, -1
                                        ; implicit-def: $vgpr0_vgpr1
	s_branch .LBB62_2154
.LBB62_2150:
	s_mov_b32 s35, -1
                                        ; implicit-def: $vgpr0_vgpr1
.LBB62_2151:
	s_delay_alu instid0(SALU_CYCLE_1)
	s_and_not1_b32 vcc_lo, exec_lo, s35
	s_cbranch_vccnz .LBB62_2153
; %bb.2152:
	s_wait_loadcnt 0x0
	global_load_b32 v0, v[2:3], off
	s_wait_loadcnt 0x0
	v_trunc_f32_e32 v0, v0
	s_delay_alu instid0(VALU_DEP_1) | instskip(NEXT) | instid1(VALU_DEP_1)
	v_mul_f32_e64 v1, 0x2f800000, |v0|
	v_floor_f32_e32 v1, v1
	s_delay_alu instid0(VALU_DEP_1) | instskip(SKIP_2) | instid1(VALU_DEP_3)
	v_fma_f32 v4, 0xcf800000, v1, |v0|
	v_ashrrev_i32_e32 v0, 31, v0
	v_cvt_u32_f32_e32 v5, v1
	v_cvt_u32_f32_e32 v4, v4
	s_delay_alu instid0(VALU_DEP_2) | instskip(NEXT) | instid1(VALU_DEP_2)
	v_dual_mov_b32 v1, v0 :: v_dual_bitop2_b32 v5, v5, v0 bitop3:0x14
	v_xor_b32_e32 v4, v4, v0
	s_delay_alu instid0(VALU_DEP_1)
	v_sub_nc_u64_e32 v[0:1], v[4:5], v[0:1]
.LBB62_2153:
	s_mov_b32 s35, 0
.LBB62_2154:
	s_delay_alu instid0(SALU_CYCLE_1)
	s_and_not1_b32 vcc_lo, exec_lo, s35
	s_cbranch_vccnz .LBB62_2156
; %bb.2155:
	s_wait_loadcnt 0x0
	global_load_b32 v0, v[2:3], off
	s_wait_loadcnt 0x0
	v_cvt_f32_f16_e32 v0, v0
	s_delay_alu instid0(VALU_DEP_1) | instskip(NEXT) | instid1(VALU_DEP_1)
	v_cvt_i32_f32_e32 v0, v0
	v_ashrrev_i32_e32 v1, 31, v0
.LBB62_2156:
	s_cbranch_execnz .LBB62_2167
.LBB62_2157:
	s_sext_i32_i16 s35, s0
	s_delay_alu instid0(SALU_CYCLE_1)
	s_cmp_lt_i32 s35, 6
	s_cbranch_scc1 .LBB62_2160
; %bb.2158:
	s_cmp_gt_i32 s35, 6
	s_cbranch_scc0 .LBB62_2161
; %bb.2159:
	s_wait_loadcnt 0x0
	global_load_b64 v[0:1], v[2:3], off
	s_mov_b32 s35, 0
	s_wait_loadcnt 0x0
	v_trunc_f64_e32 v[0:1], v[0:1]
	s_delay_alu instid0(VALU_DEP_1) | instskip(NEXT) | instid1(VALU_DEP_1)
	v_ldexp_f64 v[4:5], v[0:1], 0xffffffe0
	v_floor_f64_e32 v[4:5], v[4:5]
	s_delay_alu instid0(VALU_DEP_1) | instskip(SKIP_1) | instid1(VALU_DEP_2)
	v_fmamk_f64 v[6:7], v[4:5], 0xc1f00000, v[0:1]
	v_cvt_i32_f64_e32 v1, v[4:5]
	v_cvt_u32_f64_e32 v0, v[6:7]
	s_branch .LBB62_2162
.LBB62_2160:
	s_mov_b32 s35, -1
                                        ; implicit-def: $vgpr0_vgpr1
	s_branch .LBB62_2165
.LBB62_2161:
	s_mov_b32 s35, -1
                                        ; implicit-def: $vgpr0_vgpr1
.LBB62_2162:
	s_delay_alu instid0(SALU_CYCLE_1)
	s_and_not1_b32 vcc_lo, exec_lo, s35
	s_cbranch_vccnz .LBB62_2164
; %bb.2163:
	s_wait_loadcnt 0x0
	global_load_b32 v0, v[2:3], off
	s_wait_loadcnt 0x0
	v_trunc_f32_e32 v0, v0
	s_delay_alu instid0(VALU_DEP_1) | instskip(NEXT) | instid1(VALU_DEP_1)
	v_mul_f32_e64 v1, 0x2f800000, |v0|
	v_floor_f32_e32 v1, v1
	s_delay_alu instid0(VALU_DEP_1) | instskip(SKIP_2) | instid1(VALU_DEP_3)
	v_fma_f32 v4, 0xcf800000, v1, |v0|
	v_ashrrev_i32_e32 v0, 31, v0
	v_cvt_u32_f32_e32 v5, v1
	v_cvt_u32_f32_e32 v4, v4
	s_delay_alu instid0(VALU_DEP_2) | instskip(NEXT) | instid1(VALU_DEP_2)
	v_dual_mov_b32 v1, v0 :: v_dual_bitop2_b32 v5, v5, v0 bitop3:0x14
	v_xor_b32_e32 v4, v4, v0
	s_delay_alu instid0(VALU_DEP_1)
	v_sub_nc_u64_e32 v[0:1], v[4:5], v[0:1]
.LBB62_2164:
	s_mov_b32 s35, 0
.LBB62_2165:
	s_delay_alu instid0(SALU_CYCLE_1)
	s_and_not1_b32 vcc_lo, exec_lo, s35
	s_cbranch_vccnz .LBB62_2167
; %bb.2166:
	s_wait_loadcnt 0x0
	global_load_u16 v0, v[2:3], off
	s_wait_loadcnt 0x0
	v_cvt_f32_f16_e32 v0, v0
	s_delay_alu instid0(VALU_DEP_1) | instskip(NEXT) | instid1(VALU_DEP_1)
	v_cvt_i32_f32_e32 v0, v0
	v_ashrrev_i32_e32 v1, 31, v0
.LBB62_2167:
	s_cbranch_execnz .LBB62_2186
.LBB62_2168:
	s_sext_i32_i16 s35, s0
	s_delay_alu instid0(SALU_CYCLE_1)
	s_cmp_lt_i32 s35, 2
	s_cbranch_scc1 .LBB62_2172
; %bb.2169:
	s_cmp_lt_i32 s35, 3
	s_cbranch_scc1 .LBB62_2173
; %bb.2170:
	s_cmp_gt_i32 s35, 3
	s_cbranch_scc0 .LBB62_2174
; %bb.2171:
	s_wait_loadcnt 0x0
	global_load_b64 v[0:1], v[2:3], off
	s_mov_b32 s35, 0
	s_branch .LBB62_2175
.LBB62_2172:
                                        ; implicit-def: $vgpr0_vgpr1
	s_branch .LBB62_2181
.LBB62_2173:
	s_mov_b32 s35, -1
                                        ; implicit-def: $vgpr0_vgpr1
	s_branch .LBB62_2178
.LBB62_2174:
	s_mov_b32 s35, -1
                                        ; implicit-def: $vgpr0_vgpr1
.LBB62_2175:
	s_delay_alu instid0(SALU_CYCLE_1)
	s_and_not1_b32 vcc_lo, exec_lo, s35
	s_cbranch_vccnz .LBB62_2177
; %bb.2176:
	s_wait_loadcnt 0x0
	global_load_b32 v0, v[2:3], off
	s_wait_loadcnt 0x0
	v_ashrrev_i32_e32 v1, 31, v0
.LBB62_2177:
	s_mov_b32 s35, 0
.LBB62_2178:
	s_delay_alu instid0(SALU_CYCLE_1)
	s_and_not1_b32 vcc_lo, exec_lo, s35
	s_cbranch_vccnz .LBB62_2180
; %bb.2179:
	s_wait_loadcnt 0x0
	global_load_u16 v0, v[2:3], off
	s_wait_loadcnt 0x0
	v_bfe_i32 v0, v0, 0, 16
	s_delay_alu instid0(VALU_DEP_1)
	v_ashrrev_i32_e32 v1, 31, v0
.LBB62_2180:
	s_cbranch_execnz .LBB62_2186
.LBB62_2181:
	s_sext_i32_i16 s0, s0
	s_delay_alu instid0(SALU_CYCLE_1)
	s_cmp_gt_i32 s0, 0
	s_mov_b32 s0, 0
	s_cbranch_scc0 .LBB62_2183
; %bb.2182:
	s_wait_loadcnt 0x0
	global_load_i8 v0, v[2:3], off
	s_wait_loadcnt 0x0
	v_bfe_i32 v0, v0, 0, 16
	s_delay_alu instid0(VALU_DEP_1)
	v_ashrrev_i32_e32 v1, 31, v0
	s_branch .LBB62_2184
.LBB62_2183:
	s_mov_b32 s0, -1
                                        ; implicit-def: $vgpr0_vgpr1
.LBB62_2184:
	s_delay_alu instid0(SALU_CYCLE_1)
	s_and_not1_b32 vcc_lo, exec_lo, s0
	s_cbranch_vccnz .LBB62_2186
; %bb.2185:
	s_wait_loadcnt 0x0
	global_load_u8 v0, v[2:3], off
	s_mov_b32 s0, 0
	s_delay_alu instid0(SALU_CYCLE_1)
	v_mov_b32_e32 v1, s0
	s_wait_loadcnt 0x0
	v_and_b32_e32 v0, 0xffff, v0
.LBB62_2186:
	s_or_b32 s34, s34, exec_lo
.LBB62_2187:
	s_wait_xcnt 0x0
	s_or_b32 exec_lo, exec_lo, s31
	s_mov_b32 s35, 0
	s_mov_b32 s46, 0
	s_mov_b32 s44, 0
                                        ; implicit-def: $sgpr0
                                        ; implicit-def: $vgpr4_vgpr5
                                        ; implicit-def: $vgpr2_vgpr3
	s_and_saveexec_b32 s31, s34
	s_cbranch_execz .LBB62_2195
; %bb.2188:
	s_wait_loadcnt 0x0
	v_mul_lo_u32 v2, v22, s18
	s_and_b32 s0, s33, 0xff
	s_delay_alu instid0(SALU_CYCLE_1) | instskip(NEXT) | instid1(VALU_DEP_1)
	s_cmp_lt_i32 s0, 11
	v_ashrrev_i32_e32 v3, 31, v2
	s_delay_alu instid0(VALU_DEP_1)
	v_add_nc_u64_e32 v[4:5], s[8:9], v[2:3]
	s_cbranch_scc1 .LBB62_2198
; %bb.2189:
	s_and_b32 s34, 0xffff, s0
	s_mov_b32 s45, 0
	s_cmp_gt_i32 s34, 25
	s_cbranch_scc0 .LBB62_2199
; %bb.2190:
	s_cmp_gt_i32 s34, 28
	s_cbranch_scc0 .LBB62_2200
; %bb.2191:
	s_cmp_gt_i32 s34, 43
	s_cbranch_scc0 .LBB62_2201
; %bb.2192:
	s_cmp_gt_i32 s34, 45
	s_cbranch_scc0 .LBB62_2202
; %bb.2193:
	s_cmp_eq_u32 s34, 46
	s_cbranch_scc0 .LBB62_2203
; %bb.2194:
	global_load_b32 v2, v[4:5], off
	s_mov_b32 s44, -1
	s_wait_loadcnt 0x0
	v_lshlrev_b32_e32 v2, 16, v2
	s_delay_alu instid0(VALU_DEP_1) | instskip(NEXT) | instid1(VALU_DEP_1)
	v_trunc_f32_e32 v2, v2
	v_mul_f32_e64 v3, 0x2f800000, |v2|
	s_delay_alu instid0(VALU_DEP_1) | instskip(NEXT) | instid1(VALU_DEP_1)
	v_floor_f32_e32 v3, v3
	v_fma_f32 v6, 0xcf800000, v3, |v2|
	v_ashrrev_i32_e32 v2, 31, v2
	v_cvt_u32_f32_e32 v7, v3
	s_delay_alu instid0(VALU_DEP_3) | instskip(NEXT) | instid1(VALU_DEP_2)
	v_cvt_u32_f32_e32 v6, v6
	v_dual_mov_b32 v3, v2 :: v_dual_bitop2_b32 v7, v7, v2 bitop3:0x14
	s_delay_alu instid0(VALU_DEP_2) | instskip(NEXT) | instid1(VALU_DEP_1)
	v_xor_b32_e32 v6, v6, v2
	v_sub_nc_u64_e32 v[2:3], v[6:7], v[2:3]
	s_branch .LBB62_2205
.LBB62_2195:
	s_or_b32 exec_lo, exec_lo, s31
	s_and_saveexec_b32 s31, s70
	s_cbranch_execnz .LBB62_2264
.LBB62_2196:
	s_or_b32 exec_lo, exec_lo, s31
	s_and_saveexec_b32 s31, s35
	s_delay_alu instid0(SALU_CYCLE_1)
	s_xor_b32 s31, exec_lo, s31
	s_cbranch_execz .LBB62_2265
.LBB62_2197:
	s_wait_loadcnt 0x0
	global_load_u8 v2, v[4:5], off
	s_mov_b32 s34, 0
	s_or_b32 s44, s44, exec_lo
	v_mov_b32_e32 v3, s34
	s_wait_loadcnt 0x0
	v_cmp_ne_u16_e32 vcc_lo, 0, v2
	v_cndmask_b32_e64 v2, 0, 1, vcc_lo
	s_wait_xcnt 0x0
	s_or_b32 exec_lo, exec_lo, s31
	s_and_saveexec_b32 s31, s46
	s_cbranch_execz .LBB62_2311
	s_branch .LBB62_2266
.LBB62_2198:
	s_mov_b32 s34, -1
	s_mov_b32 s45, 0
	s_mov_b32 s35, s70
                                        ; implicit-def: $vgpr2_vgpr3
	s_branch .LBB62_2263
.LBB62_2199:
	s_mov_b32 s35, s70
                                        ; implicit-def: $vgpr2_vgpr3
	s_cbranch_execnz .LBB62_2232
	s_branch .LBB62_2262
.LBB62_2200:
	s_mov_b32 s46, -1
	s_mov_b32 s35, s70
                                        ; implicit-def: $vgpr2_vgpr3
	s_branch .LBB62_2215
.LBB62_2201:
	s_mov_b32 s46, -1
	s_mov_b32 s35, s70
                                        ; implicit-def: $vgpr2_vgpr3
	s_branch .LBB62_2210
.LBB62_2202:
	s_mov_b32 s46, -1
	s_mov_b32 s35, s70
	s_branch .LBB62_2204
.LBB62_2203:
	s_mov_b32 s35, -1
.LBB62_2204:
                                        ; implicit-def: $vgpr2_vgpr3
.LBB62_2205:
	s_and_b32 vcc_lo, exec_lo, s46
	s_cbranch_vccz .LBB62_2209
; %bb.2206:
	s_cmp_eq_u32 s34, 44
	s_cbranch_scc0 .LBB62_2208
; %bb.2207:
	global_load_u8 v8, v[4:5], off
	s_mov_b32 s35, 0
	s_mov_b32 s44, -1
	s_wait_loadcnt 0x0
	v_cmp_ne_u32_e32 vcc_lo, 0, v8
	v_lshlrev_b32_e32 v2, 23, v8
	s_delay_alu instid0(VALU_DEP_1) | instskip(NEXT) | instid1(VALU_DEP_1)
	v_trunc_f32_e32 v2, v2
	v_mul_f32_e64 v3, 0x2f800000, |v2|
	s_delay_alu instid0(VALU_DEP_1) | instskip(NEXT) | instid1(VALU_DEP_1)
	v_floor_f32_e32 v3, v3
	v_fma_f32 v6, 0xcf800000, v3, |v2|
	v_ashrrev_i32_e32 v2, 31, v2
	v_cvt_u32_f32_e32 v7, v3
	s_delay_alu instid0(VALU_DEP_3) | instskip(NEXT) | instid1(VALU_DEP_2)
	v_cvt_u32_f32_e32 v6, v6
	v_dual_mov_b32 v3, v2 :: v_dual_bitop2_b32 v7, v7, v2 bitop3:0x14
	s_delay_alu instid0(VALU_DEP_2) | instskip(NEXT) | instid1(VALU_DEP_1)
	v_xor_b32_e32 v6, v6, v2
	v_sub_nc_u64_e32 v[2:3], v[6:7], v[2:3]
	s_delay_alu instid0(VALU_DEP_1)
	v_dual_cndmask_b32 v3, 0, v3 :: v_dual_cndmask_b32 v2, 0, v2
	s_branch .LBB62_2209
.LBB62_2208:
	s_mov_b32 s35, -1
                                        ; implicit-def: $vgpr2_vgpr3
.LBB62_2209:
	s_mov_b32 s46, 0
.LBB62_2210:
	s_delay_alu instid0(SALU_CYCLE_1)
	s_and_b32 vcc_lo, exec_lo, s46
	s_cbranch_vccz .LBB62_2214
; %bb.2211:
	s_cmp_eq_u32 s34, 29
	s_cbranch_scc0 .LBB62_2213
; %bb.2212:
	global_load_b64 v[2:3], v[4:5], off
	s_mov_b32 s35, 0
	s_mov_b32 s44, -1
	s_branch .LBB62_2214
.LBB62_2213:
	s_mov_b32 s35, -1
                                        ; implicit-def: $vgpr2_vgpr3
.LBB62_2214:
	s_mov_b32 s46, 0
.LBB62_2215:
	s_delay_alu instid0(SALU_CYCLE_1)
	s_and_b32 vcc_lo, exec_lo, s46
	s_cbranch_vccz .LBB62_2231
; %bb.2216:
	s_cmp_lt_i32 s34, 27
	s_cbranch_scc1 .LBB62_2219
; %bb.2217:
	s_cmp_gt_i32 s34, 27
	s_cbranch_scc0 .LBB62_2220
; %bb.2218:
	s_wait_loadcnt 0x0
	global_load_b32 v2, v[4:5], off
	v_mov_b32_e32 v3, 0
	s_mov_b32 s44, 0
	s_branch .LBB62_2221
.LBB62_2219:
	s_mov_b32 s44, -1
                                        ; implicit-def: $vgpr2_vgpr3
	s_branch .LBB62_2224
.LBB62_2220:
	s_mov_b32 s44, -1
                                        ; implicit-def: $vgpr2_vgpr3
.LBB62_2221:
	s_delay_alu instid0(SALU_CYCLE_1)
	s_and_not1_b32 vcc_lo, exec_lo, s44
	s_cbranch_vccnz .LBB62_2223
; %bb.2222:
	s_wait_loadcnt 0x0
	global_load_u16 v2, v[4:5], off
	s_mov_b32 s44, 0
	s_delay_alu instid0(SALU_CYCLE_1)
	v_mov_b32_e32 v3, s44
	s_wait_loadcnt 0x0
	v_and_b32_e32 v2, 0xffff, v2
.LBB62_2223:
	s_mov_b32 s44, 0
.LBB62_2224:
	s_delay_alu instid0(SALU_CYCLE_1)
	s_and_not1_b32 vcc_lo, exec_lo, s44
	s_cbranch_vccnz .LBB62_2230
; %bb.2225:
	global_load_u8 v6, v[4:5], off
	s_mov_b32 s46, 0
	s_mov_b32 s44, exec_lo
	s_wait_loadcnt 0x0
	v_cmpx_lt_i16_e32 0x7f, v6
	s_xor_b32 s44, exec_lo, s44
	s_cbranch_execz .LBB62_2241
; %bb.2226:
	v_cmp_ne_u16_e32 vcc_lo, 0x80, v6
	s_and_b32 s46, vcc_lo, exec_lo
	s_and_not1_saveexec_b32 s44, s44
	s_cbranch_execnz .LBB62_2242
.LBB62_2227:
	s_or_b32 exec_lo, exec_lo, s44
	v_mov_b64_e32 v[2:3], 0
	s_and_saveexec_b32 s44, s46
	s_cbranch_execz .LBB62_2229
.LBB62_2228:
	v_and_b32_e32 v2, 0xffff, v6
	s_delay_alu instid0(VALU_DEP_1) | instskip(SKIP_1) | instid1(VALU_DEP_2)
	v_and_b32_e32 v3, 7, v2
	v_bfe_u32 v9, v2, 3, 4
	v_clz_i32_u32_e32 v7, v3
	s_delay_alu instid0(VALU_DEP_2) | instskip(NEXT) | instid1(VALU_DEP_2)
	v_cmp_eq_u32_e32 vcc_lo, 0, v9
	v_min_u32_e32 v7, 32, v7
	s_delay_alu instid0(VALU_DEP_1) | instskip(NEXT) | instid1(VALU_DEP_1)
	v_subrev_nc_u32_e32 v8, 28, v7
	v_dual_lshlrev_b32 v2, v8, v2 :: v_dual_sub_nc_u32 v7, 29, v7
	s_delay_alu instid0(VALU_DEP_1) | instskip(NEXT) | instid1(VALU_DEP_2)
	v_and_b32_e32 v2, 7, v2
	v_dual_cndmask_b32 v7, v9, v7 :: v_dual_lshlrev_b32 v6, 24, v6
	s_delay_alu instid0(VALU_DEP_2) | instskip(NEXT) | instid1(VALU_DEP_2)
	v_cndmask_b32_e32 v2, v3, v2, vcc_lo
	v_and_b32_e32 v3, 0x80000000, v6
	s_delay_alu instid0(VALU_DEP_3) | instskip(NEXT) | instid1(VALU_DEP_3)
	v_lshl_add_u32 v6, v7, 23, 0x3b800000
	v_lshlrev_b32_e32 v2, 20, v2
	s_delay_alu instid0(VALU_DEP_1) | instskip(NEXT) | instid1(VALU_DEP_1)
	v_or3_b32 v2, v3, v6, v2
	v_trunc_f32_e32 v2, v2
	s_delay_alu instid0(VALU_DEP_1) | instskip(NEXT) | instid1(VALU_DEP_1)
	v_mul_f32_e64 v3, 0x2f800000, |v2|
	v_floor_f32_e32 v3, v3
	s_delay_alu instid0(VALU_DEP_1) | instskip(SKIP_2) | instid1(VALU_DEP_3)
	v_fma_f32 v6, 0xcf800000, v3, |v2|
	v_ashrrev_i32_e32 v2, 31, v2
	v_cvt_u32_f32_e32 v7, v3
	v_cvt_u32_f32_e32 v6, v6
	s_delay_alu instid0(VALU_DEP_2) | instskip(NEXT) | instid1(VALU_DEP_2)
	v_dual_mov_b32 v3, v2 :: v_dual_bitop2_b32 v7, v7, v2 bitop3:0x14
	v_xor_b32_e32 v6, v6, v2
	s_delay_alu instid0(VALU_DEP_1)
	v_sub_nc_u64_e32 v[2:3], v[6:7], v[2:3]
.LBB62_2229:
	s_or_b32 exec_lo, exec_lo, s44
.LBB62_2230:
	s_mov_b32 s44, -1
.LBB62_2231:
	s_branch .LBB62_2262
.LBB62_2232:
	s_cmp_gt_i32 s34, 22
	s_cbranch_scc0 .LBB62_2240
; %bb.2233:
	s_cmp_lt_i32 s34, 24
	s_cbranch_scc1 .LBB62_2243
; %bb.2234:
	s_cmp_gt_i32 s34, 24
	s_cbranch_scc0 .LBB62_2244
; %bb.2235:
	global_load_u8 v6, v[4:5], off
	s_mov_b32 s44, exec_lo
	s_wait_loadcnt 0x0
	v_cmpx_lt_i16_e32 0x7f, v6
	s_xor_b32 s44, exec_lo, s44
	s_cbranch_execz .LBB62_2256
; %bb.2236:
	v_cmp_ne_u16_e32 vcc_lo, 0x80, v6
	s_and_b32 s45, vcc_lo, exec_lo
	s_and_not1_saveexec_b32 s44, s44
	s_cbranch_execnz .LBB62_2257
.LBB62_2237:
	s_or_b32 exec_lo, exec_lo, s44
	v_mov_b64_e32 v[2:3], 0
	s_and_saveexec_b32 s44, s45
	s_cbranch_execz .LBB62_2239
.LBB62_2238:
	v_and_b32_e32 v2, 0xffff, v6
	s_delay_alu instid0(VALU_DEP_1) | instskip(SKIP_1) | instid1(VALU_DEP_2)
	v_and_b32_e32 v3, 3, v2
	v_bfe_u32 v9, v2, 2, 5
	v_clz_i32_u32_e32 v7, v3
	s_delay_alu instid0(VALU_DEP_2) | instskip(NEXT) | instid1(VALU_DEP_2)
	v_cmp_eq_u32_e32 vcc_lo, 0, v9
	v_min_u32_e32 v7, 32, v7
	s_delay_alu instid0(VALU_DEP_1) | instskip(NEXT) | instid1(VALU_DEP_1)
	v_subrev_nc_u32_e32 v8, 29, v7
	v_dual_lshlrev_b32 v2, v8, v2 :: v_dual_sub_nc_u32 v7, 30, v7
	s_delay_alu instid0(VALU_DEP_1) | instskip(NEXT) | instid1(VALU_DEP_2)
	v_and_b32_e32 v2, 3, v2
	v_dual_cndmask_b32 v7, v9, v7 :: v_dual_lshlrev_b32 v6, 24, v6
	s_delay_alu instid0(VALU_DEP_2) | instskip(NEXT) | instid1(VALU_DEP_2)
	v_cndmask_b32_e32 v2, v3, v2, vcc_lo
	v_and_b32_e32 v3, 0x80000000, v6
	s_delay_alu instid0(VALU_DEP_3) | instskip(NEXT) | instid1(VALU_DEP_3)
	v_lshl_add_u32 v6, v7, 23, 0x37800000
	v_lshlrev_b32_e32 v2, 21, v2
	s_delay_alu instid0(VALU_DEP_1) | instskip(NEXT) | instid1(VALU_DEP_1)
	v_or3_b32 v2, v3, v6, v2
	v_trunc_f32_e32 v2, v2
	s_delay_alu instid0(VALU_DEP_1) | instskip(NEXT) | instid1(VALU_DEP_1)
	v_mul_f32_e64 v3, 0x2f800000, |v2|
	v_floor_f32_e32 v3, v3
	s_delay_alu instid0(VALU_DEP_1) | instskip(SKIP_2) | instid1(VALU_DEP_3)
	v_fma_f32 v6, 0xcf800000, v3, |v2|
	v_ashrrev_i32_e32 v2, 31, v2
	v_cvt_u32_f32_e32 v7, v3
	v_cvt_u32_f32_e32 v6, v6
	s_delay_alu instid0(VALU_DEP_2) | instskip(NEXT) | instid1(VALU_DEP_2)
	v_dual_mov_b32 v3, v2 :: v_dual_bitop2_b32 v7, v7, v2 bitop3:0x14
	v_xor_b32_e32 v6, v6, v2
	s_delay_alu instid0(VALU_DEP_1)
	v_sub_nc_u64_e32 v[2:3], v[6:7], v[2:3]
.LBB62_2239:
	s_or_b32 exec_lo, exec_lo, s44
	s_mov_b32 s44, 0
	s_branch .LBB62_2245
.LBB62_2240:
	s_mov_b32 s45, -1
                                        ; implicit-def: $vgpr2_vgpr3
	s_branch .LBB62_2251
.LBB62_2241:
	s_and_not1_saveexec_b32 s44, s44
	s_cbranch_execz .LBB62_2227
.LBB62_2242:
	v_cmp_ne_u16_e32 vcc_lo, 0, v6
	s_and_not1_b32 s46, s46, exec_lo
	s_and_b32 s47, vcc_lo, exec_lo
	s_delay_alu instid0(SALU_CYCLE_1)
	s_or_b32 s46, s46, s47
	s_or_b32 exec_lo, exec_lo, s44
	v_mov_b64_e32 v[2:3], 0
	s_and_saveexec_b32 s44, s46
	s_cbranch_execnz .LBB62_2228
	s_branch .LBB62_2229
.LBB62_2243:
	s_mov_b32 s44, -1
                                        ; implicit-def: $vgpr2_vgpr3
	s_branch .LBB62_2248
.LBB62_2244:
	s_mov_b32 s44, -1
                                        ; implicit-def: $vgpr2_vgpr3
.LBB62_2245:
	s_delay_alu instid0(SALU_CYCLE_1)
	s_and_b32 vcc_lo, exec_lo, s44
	s_cbranch_vccz .LBB62_2247
; %bb.2246:
	s_wait_loadcnt 0x0
	global_load_u8 v2, v[4:5], off
	s_wait_loadcnt 0x0
	v_lshlrev_b32_e32 v2, 24, v2
	s_delay_alu instid0(VALU_DEP_1) | instskip(NEXT) | instid1(VALU_DEP_1)
	v_and_b32_e32 v3, 0x7f000000, v2
	v_clz_i32_u32_e32 v6, v3
	v_cmp_ne_u32_e32 vcc_lo, 0, v3
	v_add_nc_u32_e32 v8, 0x1000000, v3
	s_delay_alu instid0(VALU_DEP_3) | instskip(NEXT) | instid1(VALU_DEP_1)
	v_min_u32_e32 v6, 32, v6
	v_sub_nc_u32_e64 v6, v6, 4 clamp
	s_delay_alu instid0(VALU_DEP_1) | instskip(NEXT) | instid1(VALU_DEP_1)
	v_dual_lshlrev_b32 v7, v6, v3 :: v_dual_lshlrev_b32 v6, 23, v6
	v_lshrrev_b32_e32 v7, 4, v7
	s_delay_alu instid0(VALU_DEP_1) | instskip(NEXT) | instid1(VALU_DEP_1)
	v_dual_sub_nc_u32 v6, v7, v6 :: v_dual_ashrrev_i32 v7, 8, v8
	v_add_nc_u32_e32 v6, 0x3c000000, v6
	s_delay_alu instid0(VALU_DEP_1) | instskip(NEXT) | instid1(VALU_DEP_1)
	v_and_or_b32 v6, 0x7f800000, v7, v6
	v_cndmask_b32_e32 v3, 0, v6, vcc_lo
	s_delay_alu instid0(VALU_DEP_1) | instskip(NEXT) | instid1(VALU_DEP_1)
	v_and_or_b32 v2, 0x80000000, v2, v3
	v_trunc_f32_e32 v2, v2
	s_delay_alu instid0(VALU_DEP_1) | instskip(NEXT) | instid1(VALU_DEP_1)
	v_mul_f32_e64 v3, 0x2f800000, |v2|
	v_floor_f32_e32 v3, v3
	s_delay_alu instid0(VALU_DEP_1) | instskip(SKIP_2) | instid1(VALU_DEP_3)
	v_fma_f32 v6, 0xcf800000, v3, |v2|
	v_ashrrev_i32_e32 v2, 31, v2
	v_cvt_u32_f32_e32 v7, v3
	v_cvt_u32_f32_e32 v6, v6
	s_delay_alu instid0(VALU_DEP_2) | instskip(NEXT) | instid1(VALU_DEP_2)
	v_dual_mov_b32 v3, v2 :: v_dual_bitop2_b32 v7, v7, v2 bitop3:0x14
	v_xor_b32_e32 v6, v6, v2
	s_delay_alu instid0(VALU_DEP_1)
	v_sub_nc_u64_e32 v[2:3], v[6:7], v[2:3]
.LBB62_2247:
	s_mov_b32 s44, 0
.LBB62_2248:
	s_delay_alu instid0(SALU_CYCLE_1)
	s_and_not1_b32 vcc_lo, exec_lo, s44
	s_cbranch_vccnz .LBB62_2250
; %bb.2249:
	s_wait_loadcnt 0x0
	global_load_u8 v2, v[4:5], off
	s_wait_loadcnt 0x0
	v_lshlrev_b32_e32 v3, 25, v2
	v_lshlrev_b16 v2, 8, v2
	s_delay_alu instid0(VALU_DEP_1) | instskip(SKIP_1) | instid1(VALU_DEP_2)
	v_and_or_b32 v7, 0x7f00, v2, 0.5
	v_bfe_i32 v2, v2, 0, 16
	v_add_f32_e32 v7, -0.5, v7
	v_lshrrev_b32_e32 v6, 4, v3
	v_cmp_gt_u32_e32 vcc_lo, 0x8000000, v3
	s_delay_alu instid0(VALU_DEP_2) | instskip(NEXT) | instid1(VALU_DEP_1)
	v_or_b32_e32 v6, 0x70000000, v6
	v_mul_f32_e32 v6, 0x7800000, v6
	s_delay_alu instid0(VALU_DEP_1) | instskip(NEXT) | instid1(VALU_DEP_1)
	v_cndmask_b32_e32 v3, v6, v7, vcc_lo
	v_and_or_b32 v2, 0x80000000, v2, v3
	s_delay_alu instid0(VALU_DEP_1) | instskip(NEXT) | instid1(VALU_DEP_1)
	v_trunc_f32_e32 v2, v2
	v_mul_f32_e64 v3, 0x2f800000, |v2|
	s_delay_alu instid0(VALU_DEP_1) | instskip(NEXT) | instid1(VALU_DEP_1)
	v_floor_f32_e32 v3, v3
	v_fma_f32 v6, 0xcf800000, v3, |v2|
	v_ashrrev_i32_e32 v2, 31, v2
	v_cvt_u32_f32_e32 v7, v3
	s_delay_alu instid0(VALU_DEP_3) | instskip(NEXT) | instid1(VALU_DEP_2)
	v_cvt_u32_f32_e32 v6, v6
	v_dual_mov_b32 v3, v2 :: v_dual_bitop2_b32 v7, v7, v2 bitop3:0x14
	s_delay_alu instid0(VALU_DEP_2) | instskip(NEXT) | instid1(VALU_DEP_1)
	v_xor_b32_e32 v6, v6, v2
	v_sub_nc_u64_e32 v[2:3], v[6:7], v[2:3]
.LBB62_2250:
	s_mov_b32 s45, 0
	s_mov_b32 s44, -1
.LBB62_2251:
	s_and_not1_b32 vcc_lo, exec_lo, s45
	s_mov_b32 s45, 0
	s_cbranch_vccnz .LBB62_2262
; %bb.2252:
	s_cmp_gt_i32 s34, 14
	s_cbranch_scc0 .LBB62_2255
; %bb.2253:
	s_cmp_eq_u32 s34, 15
	s_cbranch_scc0 .LBB62_2258
; %bb.2254:
	s_wait_loadcnt 0x0
	global_load_u16 v2, v[4:5], off
	s_mov_b32 s35, 0
	s_mov_b32 s44, -1
	s_wait_loadcnt 0x0
	v_lshlrev_b32_e32 v2, 16, v2
	s_delay_alu instid0(VALU_DEP_1) | instskip(NEXT) | instid1(VALU_DEP_1)
	v_trunc_f32_e32 v2, v2
	v_mul_f32_e64 v3, 0x2f800000, |v2|
	s_delay_alu instid0(VALU_DEP_1) | instskip(NEXT) | instid1(VALU_DEP_1)
	v_floor_f32_e32 v3, v3
	v_fma_f32 v6, 0xcf800000, v3, |v2|
	v_ashrrev_i32_e32 v2, 31, v2
	v_cvt_u32_f32_e32 v7, v3
	s_delay_alu instid0(VALU_DEP_3) | instskip(NEXT) | instid1(VALU_DEP_2)
	v_cvt_u32_f32_e32 v6, v6
	v_dual_mov_b32 v3, v2 :: v_dual_bitop2_b32 v7, v7, v2 bitop3:0x14
	s_delay_alu instid0(VALU_DEP_2) | instskip(NEXT) | instid1(VALU_DEP_1)
	v_xor_b32_e32 v6, v6, v2
	v_sub_nc_u64_e32 v[2:3], v[6:7], v[2:3]
	s_branch .LBB62_2260
.LBB62_2255:
	s_mov_b32 s45, -1
	s_branch .LBB62_2259
.LBB62_2256:
	s_and_not1_saveexec_b32 s44, s44
	s_cbranch_execz .LBB62_2237
.LBB62_2257:
	v_cmp_ne_u16_e32 vcc_lo, 0, v6
	s_and_not1_b32 s45, s45, exec_lo
	s_and_b32 s46, vcc_lo, exec_lo
	s_delay_alu instid0(SALU_CYCLE_1)
	s_or_b32 s45, s45, s46
	s_or_b32 exec_lo, exec_lo, s44
	v_mov_b64_e32 v[2:3], 0
	s_and_saveexec_b32 s44, s45
	s_cbranch_execnz .LBB62_2238
	s_branch .LBB62_2239
.LBB62_2258:
	s_mov_b32 s35, -1
.LBB62_2259:
                                        ; implicit-def: $vgpr2_vgpr3
.LBB62_2260:
	s_and_b32 vcc_lo, exec_lo, s45
	s_mov_b32 s45, 0
	s_cbranch_vccz .LBB62_2262
; %bb.2261:
	s_cmp_lg_u32 s34, 11
	s_mov_b32 s45, -1
	s_cselect_b32 s34, -1, 0
	s_and_not1_b32 s35, s35, exec_lo
	s_and_b32 s34, s34, exec_lo
	s_delay_alu instid0(SALU_CYCLE_1)
	s_or_b32 s35, s35, s34
.LBB62_2262:
	s_mov_b32 s34, 0
.LBB62_2263:
	s_delay_alu instid0(SALU_CYCLE_1)
	s_and_b32 s46, s34, exec_lo
	s_and_not1_b32 s34, s70, exec_lo
	s_and_b32 s47, s35, exec_lo
	s_and_b32 s44, s44, exec_lo
	;; [unrolled: 1-line block ×3, first 2 shown]
	s_or_b32 s70, s34, s47
	s_wait_xcnt 0x0
	s_or_b32 exec_lo, exec_lo, s31
	s_and_saveexec_b32 s31, s70
	s_cbranch_execz .LBB62_2196
.LBB62_2264:
	s_or_b32 s1, s1, exec_lo
	s_and_not1_b32 s35, s35, exec_lo
	s_trap 2
	s_or_b32 exec_lo, exec_lo, s31
	s_and_saveexec_b32 s31, s35
	s_delay_alu instid0(SALU_CYCLE_1)
	s_xor_b32 s31, exec_lo, s31
	s_cbranch_execnz .LBB62_2197
.LBB62_2265:
	s_or_b32 exec_lo, exec_lo, s31
	s_and_saveexec_b32 s31, s46
	s_cbranch_execz .LBB62_2311
.LBB62_2266:
	s_sext_i32_i16 s34, s0
	s_delay_alu instid0(SALU_CYCLE_1)
	s_cmp_lt_i32 s34, 5
	s_cbranch_scc1 .LBB62_2271
; %bb.2267:
	s_cmp_lt_i32 s34, 8
	s_cbranch_scc1 .LBB62_2272
; %bb.2268:
	;; [unrolled: 3-line block ×3, first 2 shown]
	s_cmp_gt_i32 s34, 9
	s_cbranch_scc0 .LBB62_2274
; %bb.2270:
	s_wait_loadcnt 0x0
	global_load_b64 v[2:3], v[4:5], off
	s_mov_b32 s34, 0
	s_wait_loadcnt 0x0
	v_trunc_f64_e32 v[2:3], v[2:3]
	s_delay_alu instid0(VALU_DEP_1) | instskip(NEXT) | instid1(VALU_DEP_1)
	v_ldexp_f64 v[6:7], v[2:3], 0xffffffe0
	v_floor_f64_e32 v[6:7], v[6:7]
	s_delay_alu instid0(VALU_DEP_1) | instskip(SKIP_1) | instid1(VALU_DEP_2)
	v_fmamk_f64 v[8:9], v[6:7], 0xc1f00000, v[2:3]
	v_cvt_i32_f64_e32 v3, v[6:7]
	v_cvt_u32_f64_e32 v2, v[8:9]
	s_branch .LBB62_2275
.LBB62_2271:
                                        ; implicit-def: $vgpr2_vgpr3
	s_branch .LBB62_2292
.LBB62_2272:
                                        ; implicit-def: $vgpr2_vgpr3
	s_branch .LBB62_2281
.LBB62_2273:
	s_mov_b32 s34, -1
                                        ; implicit-def: $vgpr2_vgpr3
	s_branch .LBB62_2278
.LBB62_2274:
	s_mov_b32 s34, -1
                                        ; implicit-def: $vgpr2_vgpr3
.LBB62_2275:
	s_delay_alu instid0(SALU_CYCLE_1)
	s_and_not1_b32 vcc_lo, exec_lo, s34
	s_cbranch_vccnz .LBB62_2277
; %bb.2276:
	s_wait_loadcnt 0x0
	global_load_b32 v2, v[4:5], off
	s_wait_loadcnt 0x0
	v_trunc_f32_e32 v2, v2
	s_delay_alu instid0(VALU_DEP_1) | instskip(NEXT) | instid1(VALU_DEP_1)
	v_mul_f32_e64 v3, 0x2f800000, |v2|
	v_floor_f32_e32 v3, v3
	s_delay_alu instid0(VALU_DEP_1) | instskip(SKIP_2) | instid1(VALU_DEP_3)
	v_fma_f32 v6, 0xcf800000, v3, |v2|
	v_ashrrev_i32_e32 v2, 31, v2
	v_cvt_u32_f32_e32 v7, v3
	v_cvt_u32_f32_e32 v6, v6
	s_delay_alu instid0(VALU_DEP_2) | instskip(NEXT) | instid1(VALU_DEP_2)
	v_dual_mov_b32 v3, v2 :: v_dual_bitop2_b32 v7, v7, v2 bitop3:0x14
	v_xor_b32_e32 v6, v6, v2
	s_delay_alu instid0(VALU_DEP_1)
	v_sub_nc_u64_e32 v[2:3], v[6:7], v[2:3]
.LBB62_2277:
	s_mov_b32 s34, 0
.LBB62_2278:
	s_delay_alu instid0(SALU_CYCLE_1)
	s_and_not1_b32 vcc_lo, exec_lo, s34
	s_cbranch_vccnz .LBB62_2280
; %bb.2279:
	s_wait_loadcnt 0x0
	global_load_b32 v2, v[4:5], off
	s_wait_loadcnt 0x0
	v_cvt_f32_f16_e32 v2, v2
	s_delay_alu instid0(VALU_DEP_1) | instskip(NEXT) | instid1(VALU_DEP_1)
	v_cvt_i32_f32_e32 v2, v2
	v_ashrrev_i32_e32 v3, 31, v2
.LBB62_2280:
	s_cbranch_execnz .LBB62_2291
.LBB62_2281:
	s_sext_i32_i16 s34, s0
	s_delay_alu instid0(SALU_CYCLE_1)
	s_cmp_lt_i32 s34, 6
	s_cbranch_scc1 .LBB62_2284
; %bb.2282:
	s_cmp_gt_i32 s34, 6
	s_cbranch_scc0 .LBB62_2285
; %bb.2283:
	s_wait_loadcnt 0x0
	global_load_b64 v[2:3], v[4:5], off
	s_mov_b32 s34, 0
	s_wait_loadcnt 0x0
	v_trunc_f64_e32 v[2:3], v[2:3]
	s_delay_alu instid0(VALU_DEP_1) | instskip(NEXT) | instid1(VALU_DEP_1)
	v_ldexp_f64 v[6:7], v[2:3], 0xffffffe0
	v_floor_f64_e32 v[6:7], v[6:7]
	s_delay_alu instid0(VALU_DEP_1) | instskip(SKIP_1) | instid1(VALU_DEP_2)
	v_fmamk_f64 v[8:9], v[6:7], 0xc1f00000, v[2:3]
	v_cvt_i32_f64_e32 v3, v[6:7]
	v_cvt_u32_f64_e32 v2, v[8:9]
	s_branch .LBB62_2286
.LBB62_2284:
	s_mov_b32 s34, -1
                                        ; implicit-def: $vgpr2_vgpr3
	s_branch .LBB62_2289
.LBB62_2285:
	s_mov_b32 s34, -1
                                        ; implicit-def: $vgpr2_vgpr3
.LBB62_2286:
	s_delay_alu instid0(SALU_CYCLE_1)
	s_and_not1_b32 vcc_lo, exec_lo, s34
	s_cbranch_vccnz .LBB62_2288
; %bb.2287:
	s_wait_loadcnt 0x0
	global_load_b32 v2, v[4:5], off
	s_wait_loadcnt 0x0
	v_trunc_f32_e32 v2, v2
	s_delay_alu instid0(VALU_DEP_1) | instskip(NEXT) | instid1(VALU_DEP_1)
	v_mul_f32_e64 v3, 0x2f800000, |v2|
	v_floor_f32_e32 v3, v3
	s_delay_alu instid0(VALU_DEP_1) | instskip(SKIP_2) | instid1(VALU_DEP_3)
	v_fma_f32 v6, 0xcf800000, v3, |v2|
	v_ashrrev_i32_e32 v2, 31, v2
	v_cvt_u32_f32_e32 v7, v3
	v_cvt_u32_f32_e32 v6, v6
	s_delay_alu instid0(VALU_DEP_2) | instskip(NEXT) | instid1(VALU_DEP_2)
	v_dual_mov_b32 v3, v2 :: v_dual_bitop2_b32 v7, v7, v2 bitop3:0x14
	v_xor_b32_e32 v6, v6, v2
	s_delay_alu instid0(VALU_DEP_1)
	v_sub_nc_u64_e32 v[2:3], v[6:7], v[2:3]
.LBB62_2288:
	s_mov_b32 s34, 0
.LBB62_2289:
	s_delay_alu instid0(SALU_CYCLE_1)
	s_and_not1_b32 vcc_lo, exec_lo, s34
	s_cbranch_vccnz .LBB62_2291
; %bb.2290:
	s_wait_loadcnt 0x0
	global_load_u16 v2, v[4:5], off
	s_wait_loadcnt 0x0
	v_cvt_f32_f16_e32 v2, v2
	s_delay_alu instid0(VALU_DEP_1) | instskip(NEXT) | instid1(VALU_DEP_1)
	v_cvt_i32_f32_e32 v2, v2
	v_ashrrev_i32_e32 v3, 31, v2
.LBB62_2291:
	s_cbranch_execnz .LBB62_2310
.LBB62_2292:
	s_sext_i32_i16 s34, s0
	s_delay_alu instid0(SALU_CYCLE_1)
	s_cmp_lt_i32 s34, 2
	s_cbranch_scc1 .LBB62_2296
; %bb.2293:
	s_cmp_lt_i32 s34, 3
	s_cbranch_scc1 .LBB62_2297
; %bb.2294:
	s_cmp_gt_i32 s34, 3
	s_cbranch_scc0 .LBB62_2298
; %bb.2295:
	s_wait_loadcnt 0x0
	global_load_b64 v[2:3], v[4:5], off
	s_mov_b32 s34, 0
	s_branch .LBB62_2299
.LBB62_2296:
                                        ; implicit-def: $vgpr2_vgpr3
	s_branch .LBB62_2305
.LBB62_2297:
	s_mov_b32 s34, -1
                                        ; implicit-def: $vgpr2_vgpr3
	s_branch .LBB62_2302
.LBB62_2298:
	s_mov_b32 s34, -1
                                        ; implicit-def: $vgpr2_vgpr3
.LBB62_2299:
	s_delay_alu instid0(SALU_CYCLE_1)
	s_and_not1_b32 vcc_lo, exec_lo, s34
	s_cbranch_vccnz .LBB62_2301
; %bb.2300:
	s_wait_loadcnt 0x0
	global_load_b32 v2, v[4:5], off
	s_wait_loadcnt 0x0
	v_ashrrev_i32_e32 v3, 31, v2
.LBB62_2301:
	s_mov_b32 s34, 0
.LBB62_2302:
	s_delay_alu instid0(SALU_CYCLE_1)
	s_and_not1_b32 vcc_lo, exec_lo, s34
	s_cbranch_vccnz .LBB62_2304
; %bb.2303:
	s_wait_loadcnt 0x0
	global_load_u16 v2, v[4:5], off
	s_wait_loadcnt 0x0
	v_bfe_i32 v2, v2, 0, 16
	s_delay_alu instid0(VALU_DEP_1)
	v_ashrrev_i32_e32 v3, 31, v2
.LBB62_2304:
	s_cbranch_execnz .LBB62_2310
.LBB62_2305:
	s_sext_i32_i16 s0, s0
	s_delay_alu instid0(SALU_CYCLE_1)
	s_cmp_gt_i32 s0, 0
	s_mov_b32 s0, 0
	s_cbranch_scc0 .LBB62_2307
; %bb.2306:
	s_wait_loadcnt 0x0
	global_load_i8 v2, v[4:5], off
	s_wait_loadcnt 0x0
	v_bfe_i32 v2, v2, 0, 16
	s_delay_alu instid0(VALU_DEP_1)
	v_ashrrev_i32_e32 v3, 31, v2
	s_branch .LBB62_2308
.LBB62_2307:
	s_mov_b32 s0, -1
                                        ; implicit-def: $vgpr2_vgpr3
.LBB62_2308:
	s_delay_alu instid0(SALU_CYCLE_1)
	s_and_not1_b32 vcc_lo, exec_lo, s0
	s_cbranch_vccnz .LBB62_2310
; %bb.2309:
	s_wait_loadcnt 0x0
	global_load_u8 v2, v[4:5], off
	s_mov_b32 s0, 0
	s_delay_alu instid0(SALU_CYCLE_1)
	v_mov_b32_e32 v3, s0
	s_wait_loadcnt 0x0
	v_and_b32_e32 v2, 0xffff, v2
.LBB62_2310:
	s_or_b32 s44, s44, exec_lo
.LBB62_2311:
	s_wait_xcnt 0x0
	s_or_b32 exec_lo, exec_lo, s31
	s_mov_b32 s35, 0
	s_mov_b32 s45, 0
	;; [unrolled: 1-line block ×3, first 2 shown]
                                        ; implicit-def: $sgpr0
                                        ; implicit-def: $vgpr6_vgpr7
                                        ; implicit-def: $vgpr4_vgpr5
	s_and_saveexec_b32 s31, s44
	s_cbranch_execz .LBB62_2319
; %bb.2312:
	s_wait_loadcnt 0x0
	v_mul_lo_u32 v4, v22, s19
	s_and_b32 s0, s28, 0xff
	s_delay_alu instid0(SALU_CYCLE_1) | instskip(NEXT) | instid1(VALU_DEP_1)
	s_cmp_lt_i32 s0, 11
	v_ashrrev_i32_e32 v5, 31, v4
	s_delay_alu instid0(VALU_DEP_1)
	v_add_nc_u64_e32 v[6:7], s[10:11], v[4:5]
	s_cbranch_scc1 .LBB62_2322
; %bb.2313:
	s_and_b32 s34, 0xffff, s0
	s_mov_b32 s44, 0
	s_cmp_gt_i32 s34, 25
	s_cbranch_scc0 .LBB62_2323
; %bb.2314:
	s_cmp_gt_i32 s34, 28
	s_cbranch_scc0 .LBB62_2324
; %bb.2315:
	;; [unrolled: 3-line block ×4, first 2 shown]
	s_cmp_eq_u32 s34, 46
	s_mov_b32 s46, 0
	s_cbranch_scc0 .LBB62_2327
; %bb.2318:
	global_load_b32 v4, v[6:7], off
	s_mov_b32 s45, -1
	s_wait_loadcnt 0x0
	v_lshlrev_b32_e32 v4, 16, v4
	s_delay_alu instid0(VALU_DEP_1) | instskip(NEXT) | instid1(VALU_DEP_1)
	v_trunc_f32_e32 v4, v4
	v_mul_f32_e64 v5, 0x2f800000, |v4|
	s_delay_alu instid0(VALU_DEP_1) | instskip(NEXT) | instid1(VALU_DEP_1)
	v_floor_f32_e32 v5, v5
	v_fma_f32 v8, 0xcf800000, v5, |v4|
	v_ashrrev_i32_e32 v4, 31, v4
	v_cvt_u32_f32_e32 v9, v5
	s_delay_alu instid0(VALU_DEP_3) | instskip(NEXT) | instid1(VALU_DEP_2)
	v_cvt_u32_f32_e32 v8, v8
	v_dual_mov_b32 v5, v4 :: v_dual_bitop2_b32 v9, v9, v4 bitop3:0x14
	s_delay_alu instid0(VALU_DEP_2) | instskip(NEXT) | instid1(VALU_DEP_1)
	v_xor_b32_e32 v8, v8, v4
	v_sub_nc_u64_e32 v[4:5], v[8:9], v[4:5]
	s_branch .LBB62_2329
.LBB62_2319:
	s_or_b32 exec_lo, exec_lo, s31
	s_and_saveexec_b32 s31, s69
	s_cbranch_execnz .LBB62_2388
.LBB62_2320:
	s_or_b32 exec_lo, exec_lo, s31
	s_and_saveexec_b32 s31, s35
	s_delay_alu instid0(SALU_CYCLE_1)
	s_xor_b32 s31, exec_lo, s31
	s_cbranch_execz .LBB62_2389
.LBB62_2321:
	s_wait_loadcnt 0x0
	global_load_u8 v4, v[6:7], off
	s_mov_b32 s35, 0
	s_or_b32 s34, s34, exec_lo
	v_mov_b32_e32 v5, s35
	s_wait_loadcnt 0x0
	v_cmp_ne_u16_e32 vcc_lo, 0, v4
	v_cndmask_b32_e64 v4, 0, 1, vcc_lo
	s_wait_xcnt 0x0
	s_or_b32 exec_lo, exec_lo, s31
	s_and_saveexec_b32 s31, s45
	s_cbranch_execz .LBB62_2435
	s_branch .LBB62_2390
.LBB62_2322:
	s_mov_b32 s46, -1
	s_mov_b32 s44, 0
	s_mov_b32 s35, s69
                                        ; implicit-def: $vgpr4_vgpr5
	s_branch .LBB62_2387
.LBB62_2323:
	s_mov_b32 s35, s69
                                        ; implicit-def: $vgpr4_vgpr5
	s_cbranch_execnz .LBB62_2356
	s_branch .LBB62_2386
.LBB62_2324:
	s_mov_b32 s46, -1
	s_mov_b32 s35, s69
                                        ; implicit-def: $vgpr4_vgpr5
	s_branch .LBB62_2339
.LBB62_2325:
	s_mov_b32 s46, -1
	s_mov_b32 s35, s69
                                        ; implicit-def: $vgpr4_vgpr5
	s_branch .LBB62_2334
.LBB62_2326:
	s_mov_b32 s46, -1
	s_mov_b32 s35, s69
	s_branch .LBB62_2328
.LBB62_2327:
	s_mov_b32 s35, -1
.LBB62_2328:
                                        ; implicit-def: $vgpr4_vgpr5
.LBB62_2329:
	s_and_b32 vcc_lo, exec_lo, s46
	s_cbranch_vccz .LBB62_2333
; %bb.2330:
	s_cmp_eq_u32 s34, 44
	s_cbranch_scc0 .LBB62_2332
; %bb.2331:
	global_load_u8 v10, v[6:7], off
	s_mov_b32 s35, 0
	s_mov_b32 s45, -1
	s_wait_loadcnt 0x0
	v_cmp_ne_u32_e32 vcc_lo, 0, v10
	v_lshlrev_b32_e32 v4, 23, v10
	s_delay_alu instid0(VALU_DEP_1) | instskip(NEXT) | instid1(VALU_DEP_1)
	v_trunc_f32_e32 v4, v4
	v_mul_f32_e64 v5, 0x2f800000, |v4|
	s_delay_alu instid0(VALU_DEP_1) | instskip(NEXT) | instid1(VALU_DEP_1)
	v_floor_f32_e32 v5, v5
	v_fma_f32 v8, 0xcf800000, v5, |v4|
	v_ashrrev_i32_e32 v4, 31, v4
	v_cvt_u32_f32_e32 v9, v5
	s_delay_alu instid0(VALU_DEP_3) | instskip(NEXT) | instid1(VALU_DEP_2)
	v_cvt_u32_f32_e32 v8, v8
	v_dual_mov_b32 v5, v4 :: v_dual_bitop2_b32 v9, v9, v4 bitop3:0x14
	s_delay_alu instid0(VALU_DEP_2) | instskip(NEXT) | instid1(VALU_DEP_1)
	v_xor_b32_e32 v8, v8, v4
	v_sub_nc_u64_e32 v[4:5], v[8:9], v[4:5]
	s_delay_alu instid0(VALU_DEP_1)
	v_dual_cndmask_b32 v5, 0, v5 :: v_dual_cndmask_b32 v4, 0, v4
	s_branch .LBB62_2333
.LBB62_2332:
	s_mov_b32 s35, -1
                                        ; implicit-def: $vgpr4_vgpr5
.LBB62_2333:
	s_mov_b32 s46, 0
.LBB62_2334:
	s_delay_alu instid0(SALU_CYCLE_1)
	s_and_b32 vcc_lo, exec_lo, s46
	s_cbranch_vccz .LBB62_2338
; %bb.2335:
	s_cmp_eq_u32 s34, 29
	s_cbranch_scc0 .LBB62_2337
; %bb.2336:
	global_load_b64 v[4:5], v[6:7], off
	s_mov_b32 s35, 0
	s_mov_b32 s45, -1
	s_branch .LBB62_2338
.LBB62_2337:
	s_mov_b32 s35, -1
                                        ; implicit-def: $vgpr4_vgpr5
.LBB62_2338:
	s_mov_b32 s46, 0
.LBB62_2339:
	s_delay_alu instid0(SALU_CYCLE_1)
	s_and_b32 vcc_lo, exec_lo, s46
	s_cbranch_vccz .LBB62_2355
; %bb.2340:
	s_cmp_lt_i32 s34, 27
	s_cbranch_scc1 .LBB62_2343
; %bb.2341:
	s_cmp_gt_i32 s34, 27
	s_cbranch_scc0 .LBB62_2344
; %bb.2342:
	s_wait_loadcnt 0x0
	global_load_b32 v4, v[6:7], off
	v_mov_b32_e32 v5, 0
	s_mov_b32 s45, 0
	s_branch .LBB62_2345
.LBB62_2343:
	s_mov_b32 s45, -1
                                        ; implicit-def: $vgpr4_vgpr5
	s_branch .LBB62_2348
.LBB62_2344:
	s_mov_b32 s45, -1
                                        ; implicit-def: $vgpr4_vgpr5
.LBB62_2345:
	s_delay_alu instid0(SALU_CYCLE_1)
	s_and_not1_b32 vcc_lo, exec_lo, s45
	s_cbranch_vccnz .LBB62_2347
; %bb.2346:
	s_wait_loadcnt 0x0
	global_load_u16 v4, v[6:7], off
	s_mov_b32 s45, 0
	s_delay_alu instid0(SALU_CYCLE_1)
	v_mov_b32_e32 v5, s45
	s_wait_loadcnt 0x0
	v_and_b32_e32 v4, 0xffff, v4
.LBB62_2347:
	s_mov_b32 s45, 0
.LBB62_2348:
	s_delay_alu instid0(SALU_CYCLE_1)
	s_and_not1_b32 vcc_lo, exec_lo, s45
	s_cbranch_vccnz .LBB62_2354
; %bb.2349:
	global_load_u8 v8, v[6:7], off
	s_mov_b32 s46, 0
	s_mov_b32 s45, exec_lo
	s_wait_loadcnt 0x0
	v_cmpx_lt_i16_e32 0x7f, v8
	s_xor_b32 s45, exec_lo, s45
	s_cbranch_execz .LBB62_2365
; %bb.2350:
	v_cmp_ne_u16_e32 vcc_lo, 0x80, v8
	s_and_b32 s46, vcc_lo, exec_lo
	s_and_not1_saveexec_b32 s45, s45
	s_cbranch_execnz .LBB62_2366
.LBB62_2351:
	s_or_b32 exec_lo, exec_lo, s45
	v_mov_b64_e32 v[4:5], 0
	s_and_saveexec_b32 s45, s46
	s_cbranch_execz .LBB62_2353
.LBB62_2352:
	v_and_b32_e32 v4, 0xffff, v8
	s_delay_alu instid0(VALU_DEP_1) | instskip(SKIP_1) | instid1(VALU_DEP_2)
	v_and_b32_e32 v5, 7, v4
	v_bfe_u32 v11, v4, 3, 4
	v_clz_i32_u32_e32 v9, v5
	s_delay_alu instid0(VALU_DEP_2) | instskip(NEXT) | instid1(VALU_DEP_2)
	v_cmp_eq_u32_e32 vcc_lo, 0, v11
	v_min_u32_e32 v9, 32, v9
	s_delay_alu instid0(VALU_DEP_1) | instskip(NEXT) | instid1(VALU_DEP_1)
	v_subrev_nc_u32_e32 v10, 28, v9
	v_dual_lshlrev_b32 v4, v10, v4 :: v_dual_sub_nc_u32 v9, 29, v9
	s_delay_alu instid0(VALU_DEP_1) | instskip(NEXT) | instid1(VALU_DEP_2)
	v_and_b32_e32 v4, 7, v4
	v_dual_cndmask_b32 v9, v11, v9 :: v_dual_lshlrev_b32 v8, 24, v8
	s_delay_alu instid0(VALU_DEP_2) | instskip(NEXT) | instid1(VALU_DEP_2)
	v_cndmask_b32_e32 v4, v5, v4, vcc_lo
	v_and_b32_e32 v5, 0x80000000, v8
	s_delay_alu instid0(VALU_DEP_3) | instskip(NEXT) | instid1(VALU_DEP_3)
	v_lshl_add_u32 v8, v9, 23, 0x3b800000
	v_lshlrev_b32_e32 v4, 20, v4
	s_delay_alu instid0(VALU_DEP_1) | instskip(NEXT) | instid1(VALU_DEP_1)
	v_or3_b32 v4, v5, v8, v4
	v_trunc_f32_e32 v4, v4
	s_delay_alu instid0(VALU_DEP_1) | instskip(NEXT) | instid1(VALU_DEP_1)
	v_mul_f32_e64 v5, 0x2f800000, |v4|
	v_floor_f32_e32 v5, v5
	s_delay_alu instid0(VALU_DEP_1) | instskip(SKIP_2) | instid1(VALU_DEP_3)
	v_fma_f32 v8, 0xcf800000, v5, |v4|
	v_ashrrev_i32_e32 v4, 31, v4
	v_cvt_u32_f32_e32 v9, v5
	v_cvt_u32_f32_e32 v8, v8
	s_delay_alu instid0(VALU_DEP_2) | instskip(NEXT) | instid1(VALU_DEP_2)
	v_dual_mov_b32 v5, v4 :: v_dual_bitop2_b32 v9, v9, v4 bitop3:0x14
	v_xor_b32_e32 v8, v8, v4
	s_delay_alu instid0(VALU_DEP_1)
	v_sub_nc_u64_e32 v[4:5], v[8:9], v[4:5]
.LBB62_2353:
	s_or_b32 exec_lo, exec_lo, s45
.LBB62_2354:
	s_mov_b32 s45, -1
.LBB62_2355:
	s_branch .LBB62_2386
.LBB62_2356:
	s_cmp_gt_i32 s34, 22
	s_cbranch_scc0 .LBB62_2364
; %bb.2357:
	s_cmp_lt_i32 s34, 24
	s_cbranch_scc1 .LBB62_2367
; %bb.2358:
	s_cmp_gt_i32 s34, 24
	s_cbranch_scc0 .LBB62_2368
; %bb.2359:
	global_load_u8 v8, v[6:7], off
	s_mov_b32 s45, 0
	s_mov_b32 s44, exec_lo
	s_wait_loadcnt 0x0
	v_cmpx_lt_i16_e32 0x7f, v8
	s_xor_b32 s44, exec_lo, s44
	s_cbranch_execz .LBB62_2380
; %bb.2360:
	v_cmp_ne_u16_e32 vcc_lo, 0x80, v8
	s_and_b32 s45, vcc_lo, exec_lo
	s_and_not1_saveexec_b32 s44, s44
	s_cbranch_execnz .LBB62_2381
.LBB62_2361:
	s_or_b32 exec_lo, exec_lo, s44
	v_mov_b64_e32 v[4:5], 0
	s_and_saveexec_b32 s44, s45
	s_cbranch_execz .LBB62_2363
.LBB62_2362:
	v_and_b32_e32 v4, 0xffff, v8
	s_delay_alu instid0(VALU_DEP_1) | instskip(SKIP_1) | instid1(VALU_DEP_2)
	v_and_b32_e32 v5, 3, v4
	v_bfe_u32 v11, v4, 2, 5
	v_clz_i32_u32_e32 v9, v5
	s_delay_alu instid0(VALU_DEP_2) | instskip(NEXT) | instid1(VALU_DEP_2)
	v_cmp_eq_u32_e32 vcc_lo, 0, v11
	v_min_u32_e32 v9, 32, v9
	s_delay_alu instid0(VALU_DEP_1) | instskip(NEXT) | instid1(VALU_DEP_1)
	v_subrev_nc_u32_e32 v10, 29, v9
	v_dual_lshlrev_b32 v4, v10, v4 :: v_dual_sub_nc_u32 v9, 30, v9
	s_delay_alu instid0(VALU_DEP_1) | instskip(NEXT) | instid1(VALU_DEP_2)
	v_and_b32_e32 v4, 3, v4
	v_dual_cndmask_b32 v9, v11, v9 :: v_dual_lshlrev_b32 v8, 24, v8
	s_delay_alu instid0(VALU_DEP_2) | instskip(NEXT) | instid1(VALU_DEP_2)
	v_cndmask_b32_e32 v4, v5, v4, vcc_lo
	v_and_b32_e32 v5, 0x80000000, v8
	s_delay_alu instid0(VALU_DEP_3) | instskip(NEXT) | instid1(VALU_DEP_3)
	v_lshl_add_u32 v8, v9, 23, 0x37800000
	v_lshlrev_b32_e32 v4, 21, v4
	s_delay_alu instid0(VALU_DEP_1) | instskip(NEXT) | instid1(VALU_DEP_1)
	v_or3_b32 v4, v5, v8, v4
	v_trunc_f32_e32 v4, v4
	s_delay_alu instid0(VALU_DEP_1) | instskip(NEXT) | instid1(VALU_DEP_1)
	v_mul_f32_e64 v5, 0x2f800000, |v4|
	v_floor_f32_e32 v5, v5
	s_delay_alu instid0(VALU_DEP_1) | instskip(SKIP_2) | instid1(VALU_DEP_3)
	v_fma_f32 v8, 0xcf800000, v5, |v4|
	v_ashrrev_i32_e32 v4, 31, v4
	v_cvt_u32_f32_e32 v9, v5
	v_cvt_u32_f32_e32 v8, v8
	s_delay_alu instid0(VALU_DEP_2) | instskip(NEXT) | instid1(VALU_DEP_2)
	v_dual_mov_b32 v5, v4 :: v_dual_bitop2_b32 v9, v9, v4 bitop3:0x14
	v_xor_b32_e32 v8, v8, v4
	s_delay_alu instid0(VALU_DEP_1)
	v_sub_nc_u64_e32 v[4:5], v[8:9], v[4:5]
.LBB62_2363:
	s_or_b32 exec_lo, exec_lo, s44
	s_mov_b32 s44, 0
	s_branch .LBB62_2369
.LBB62_2364:
	s_mov_b32 s44, -1
                                        ; implicit-def: $vgpr4_vgpr5
	s_branch .LBB62_2375
.LBB62_2365:
	s_and_not1_saveexec_b32 s45, s45
	s_cbranch_execz .LBB62_2351
.LBB62_2366:
	v_cmp_ne_u16_e32 vcc_lo, 0, v8
	s_and_not1_b32 s46, s46, exec_lo
	s_and_b32 s47, vcc_lo, exec_lo
	s_delay_alu instid0(SALU_CYCLE_1)
	s_or_b32 s46, s46, s47
	s_or_b32 exec_lo, exec_lo, s45
	v_mov_b64_e32 v[4:5], 0
	s_and_saveexec_b32 s45, s46
	s_cbranch_execnz .LBB62_2352
	s_branch .LBB62_2353
.LBB62_2367:
	s_mov_b32 s44, -1
                                        ; implicit-def: $vgpr4_vgpr5
	s_branch .LBB62_2372
.LBB62_2368:
	s_mov_b32 s44, -1
                                        ; implicit-def: $vgpr4_vgpr5
.LBB62_2369:
	s_delay_alu instid0(SALU_CYCLE_1)
	s_and_b32 vcc_lo, exec_lo, s44
	s_cbranch_vccz .LBB62_2371
; %bb.2370:
	s_wait_loadcnt 0x0
	global_load_u8 v4, v[6:7], off
	s_wait_loadcnt 0x0
	v_lshlrev_b32_e32 v4, 24, v4
	s_delay_alu instid0(VALU_DEP_1) | instskip(NEXT) | instid1(VALU_DEP_1)
	v_and_b32_e32 v5, 0x7f000000, v4
	v_clz_i32_u32_e32 v8, v5
	v_cmp_ne_u32_e32 vcc_lo, 0, v5
	v_add_nc_u32_e32 v10, 0x1000000, v5
	s_delay_alu instid0(VALU_DEP_3) | instskip(NEXT) | instid1(VALU_DEP_1)
	v_min_u32_e32 v8, 32, v8
	v_sub_nc_u32_e64 v8, v8, 4 clamp
	s_delay_alu instid0(VALU_DEP_1) | instskip(NEXT) | instid1(VALU_DEP_1)
	v_dual_lshlrev_b32 v9, v8, v5 :: v_dual_lshlrev_b32 v8, 23, v8
	v_lshrrev_b32_e32 v9, 4, v9
	s_delay_alu instid0(VALU_DEP_1) | instskip(NEXT) | instid1(VALU_DEP_1)
	v_dual_sub_nc_u32 v8, v9, v8 :: v_dual_ashrrev_i32 v9, 8, v10
	v_add_nc_u32_e32 v8, 0x3c000000, v8
	s_delay_alu instid0(VALU_DEP_1) | instskip(NEXT) | instid1(VALU_DEP_1)
	v_and_or_b32 v8, 0x7f800000, v9, v8
	v_cndmask_b32_e32 v5, 0, v8, vcc_lo
	s_delay_alu instid0(VALU_DEP_1) | instskip(NEXT) | instid1(VALU_DEP_1)
	v_and_or_b32 v4, 0x80000000, v4, v5
	v_trunc_f32_e32 v4, v4
	s_delay_alu instid0(VALU_DEP_1) | instskip(NEXT) | instid1(VALU_DEP_1)
	v_mul_f32_e64 v5, 0x2f800000, |v4|
	v_floor_f32_e32 v5, v5
	s_delay_alu instid0(VALU_DEP_1) | instskip(SKIP_2) | instid1(VALU_DEP_3)
	v_fma_f32 v8, 0xcf800000, v5, |v4|
	v_ashrrev_i32_e32 v4, 31, v4
	v_cvt_u32_f32_e32 v9, v5
	v_cvt_u32_f32_e32 v8, v8
	s_delay_alu instid0(VALU_DEP_2) | instskip(NEXT) | instid1(VALU_DEP_2)
	v_dual_mov_b32 v5, v4 :: v_dual_bitop2_b32 v9, v9, v4 bitop3:0x14
	v_xor_b32_e32 v8, v8, v4
	s_delay_alu instid0(VALU_DEP_1)
	v_sub_nc_u64_e32 v[4:5], v[8:9], v[4:5]
.LBB62_2371:
	s_mov_b32 s44, 0
.LBB62_2372:
	s_delay_alu instid0(SALU_CYCLE_1)
	s_and_not1_b32 vcc_lo, exec_lo, s44
	s_cbranch_vccnz .LBB62_2374
; %bb.2373:
	s_wait_loadcnt 0x0
	global_load_u8 v4, v[6:7], off
	s_wait_loadcnt 0x0
	v_lshlrev_b32_e32 v5, 25, v4
	v_lshlrev_b16 v4, 8, v4
	s_delay_alu instid0(VALU_DEP_1) | instskip(SKIP_1) | instid1(VALU_DEP_2)
	v_and_or_b32 v9, 0x7f00, v4, 0.5
	v_bfe_i32 v4, v4, 0, 16
	v_add_f32_e32 v9, -0.5, v9
	v_lshrrev_b32_e32 v8, 4, v5
	v_cmp_gt_u32_e32 vcc_lo, 0x8000000, v5
	s_delay_alu instid0(VALU_DEP_2) | instskip(NEXT) | instid1(VALU_DEP_1)
	v_or_b32_e32 v8, 0x70000000, v8
	v_mul_f32_e32 v8, 0x7800000, v8
	s_delay_alu instid0(VALU_DEP_1) | instskip(NEXT) | instid1(VALU_DEP_1)
	v_cndmask_b32_e32 v5, v8, v9, vcc_lo
	v_and_or_b32 v4, 0x80000000, v4, v5
	s_delay_alu instid0(VALU_DEP_1) | instskip(NEXT) | instid1(VALU_DEP_1)
	v_trunc_f32_e32 v4, v4
	v_mul_f32_e64 v5, 0x2f800000, |v4|
	s_delay_alu instid0(VALU_DEP_1) | instskip(NEXT) | instid1(VALU_DEP_1)
	v_floor_f32_e32 v5, v5
	v_fma_f32 v8, 0xcf800000, v5, |v4|
	v_ashrrev_i32_e32 v4, 31, v4
	v_cvt_u32_f32_e32 v9, v5
	s_delay_alu instid0(VALU_DEP_3) | instskip(NEXT) | instid1(VALU_DEP_2)
	v_cvt_u32_f32_e32 v8, v8
	v_dual_mov_b32 v5, v4 :: v_dual_bitop2_b32 v9, v9, v4 bitop3:0x14
	s_delay_alu instid0(VALU_DEP_2) | instskip(NEXT) | instid1(VALU_DEP_1)
	v_xor_b32_e32 v8, v8, v4
	v_sub_nc_u64_e32 v[4:5], v[8:9], v[4:5]
.LBB62_2374:
	s_mov_b32 s44, 0
	s_mov_b32 s45, -1
.LBB62_2375:
	s_and_not1_b32 vcc_lo, exec_lo, s44
	s_mov_b32 s44, 0
	s_cbranch_vccnz .LBB62_2386
; %bb.2376:
	s_cmp_gt_i32 s34, 14
	s_cbranch_scc0 .LBB62_2379
; %bb.2377:
	s_cmp_eq_u32 s34, 15
	s_cbranch_scc0 .LBB62_2382
; %bb.2378:
	s_wait_loadcnt 0x0
	global_load_u16 v4, v[6:7], off
	s_mov_b32 s35, 0
	s_mov_b32 s45, -1
	s_wait_loadcnt 0x0
	v_lshlrev_b32_e32 v4, 16, v4
	s_delay_alu instid0(VALU_DEP_1) | instskip(NEXT) | instid1(VALU_DEP_1)
	v_trunc_f32_e32 v4, v4
	v_mul_f32_e64 v5, 0x2f800000, |v4|
	s_delay_alu instid0(VALU_DEP_1) | instskip(NEXT) | instid1(VALU_DEP_1)
	v_floor_f32_e32 v5, v5
	v_fma_f32 v8, 0xcf800000, v5, |v4|
	v_ashrrev_i32_e32 v4, 31, v4
	v_cvt_u32_f32_e32 v9, v5
	s_delay_alu instid0(VALU_DEP_3) | instskip(NEXT) | instid1(VALU_DEP_2)
	v_cvt_u32_f32_e32 v8, v8
	v_dual_mov_b32 v5, v4 :: v_dual_bitop2_b32 v9, v9, v4 bitop3:0x14
	s_delay_alu instid0(VALU_DEP_2) | instskip(NEXT) | instid1(VALU_DEP_1)
	v_xor_b32_e32 v8, v8, v4
	v_sub_nc_u64_e32 v[4:5], v[8:9], v[4:5]
	s_branch .LBB62_2384
.LBB62_2379:
	s_mov_b32 s44, -1
	s_branch .LBB62_2383
.LBB62_2380:
	s_and_not1_saveexec_b32 s44, s44
	s_cbranch_execz .LBB62_2361
.LBB62_2381:
	v_cmp_ne_u16_e32 vcc_lo, 0, v8
	s_and_not1_b32 s45, s45, exec_lo
	s_and_b32 s46, vcc_lo, exec_lo
	s_delay_alu instid0(SALU_CYCLE_1)
	s_or_b32 s45, s45, s46
	s_or_b32 exec_lo, exec_lo, s44
	v_mov_b64_e32 v[4:5], 0
	s_and_saveexec_b32 s44, s45
	s_cbranch_execnz .LBB62_2362
	s_branch .LBB62_2363
.LBB62_2382:
	s_mov_b32 s35, -1
.LBB62_2383:
                                        ; implicit-def: $vgpr4_vgpr5
.LBB62_2384:
	s_and_b32 vcc_lo, exec_lo, s44
	s_mov_b32 s44, 0
	s_cbranch_vccz .LBB62_2386
; %bb.2385:
	s_cmp_lg_u32 s34, 11
	s_mov_b32 s44, -1
	s_cselect_b32 s34, -1, 0
	s_and_not1_b32 s35, s35, exec_lo
	s_and_b32 s34, s34, exec_lo
	s_delay_alu instid0(SALU_CYCLE_1)
	s_or_b32 s35, s35, s34
.LBB62_2386:
	s_mov_b32 s46, 0
.LBB62_2387:
	s_and_b32 s34, s45, exec_lo
	s_and_b32 s45, s46, exec_lo
	s_and_not1_b32 s46, s69, exec_lo
	s_and_b32 s47, s35, exec_lo
	s_and_b32 s35, s44, exec_lo
	s_or_b32 s69, s46, s47
	s_wait_xcnt 0x0
	s_or_b32 exec_lo, exec_lo, s31
	s_and_saveexec_b32 s31, s69
	s_cbranch_execz .LBB62_2320
.LBB62_2388:
	s_or_b32 s1, s1, exec_lo
	s_and_not1_b32 s35, s35, exec_lo
	s_trap 2
	s_or_b32 exec_lo, exec_lo, s31
	s_and_saveexec_b32 s31, s35
	s_delay_alu instid0(SALU_CYCLE_1)
	s_xor_b32 s31, exec_lo, s31
	s_cbranch_execnz .LBB62_2321
.LBB62_2389:
	s_or_b32 exec_lo, exec_lo, s31
	s_and_saveexec_b32 s31, s45
	s_cbranch_execz .LBB62_2435
.LBB62_2390:
	s_sext_i32_i16 s35, s0
	s_delay_alu instid0(SALU_CYCLE_1)
	s_cmp_lt_i32 s35, 5
	s_cbranch_scc1 .LBB62_2395
; %bb.2391:
	s_cmp_lt_i32 s35, 8
	s_cbranch_scc1 .LBB62_2396
; %bb.2392:
	;; [unrolled: 3-line block ×3, first 2 shown]
	s_cmp_gt_i32 s35, 9
	s_cbranch_scc0 .LBB62_2398
; %bb.2394:
	s_wait_loadcnt 0x0
	global_load_b64 v[4:5], v[6:7], off
	s_mov_b32 s35, 0
	s_wait_loadcnt 0x0
	v_trunc_f64_e32 v[4:5], v[4:5]
	s_delay_alu instid0(VALU_DEP_1) | instskip(NEXT) | instid1(VALU_DEP_1)
	v_ldexp_f64 v[8:9], v[4:5], 0xffffffe0
	v_floor_f64_e32 v[8:9], v[8:9]
	s_delay_alu instid0(VALU_DEP_1) | instskip(SKIP_1) | instid1(VALU_DEP_2)
	v_fmamk_f64 v[10:11], v[8:9], 0xc1f00000, v[4:5]
	v_cvt_i32_f64_e32 v5, v[8:9]
	v_cvt_u32_f64_e32 v4, v[10:11]
	s_branch .LBB62_2399
.LBB62_2395:
                                        ; implicit-def: $vgpr4_vgpr5
	s_branch .LBB62_2416
.LBB62_2396:
                                        ; implicit-def: $vgpr4_vgpr5
	s_branch .LBB62_2405
.LBB62_2397:
	s_mov_b32 s35, -1
                                        ; implicit-def: $vgpr4_vgpr5
	s_branch .LBB62_2402
.LBB62_2398:
	s_mov_b32 s35, -1
                                        ; implicit-def: $vgpr4_vgpr5
.LBB62_2399:
	s_delay_alu instid0(SALU_CYCLE_1)
	s_and_not1_b32 vcc_lo, exec_lo, s35
	s_cbranch_vccnz .LBB62_2401
; %bb.2400:
	s_wait_loadcnt 0x0
	global_load_b32 v4, v[6:7], off
	s_wait_loadcnt 0x0
	v_trunc_f32_e32 v4, v4
	s_delay_alu instid0(VALU_DEP_1) | instskip(NEXT) | instid1(VALU_DEP_1)
	v_mul_f32_e64 v5, 0x2f800000, |v4|
	v_floor_f32_e32 v5, v5
	s_delay_alu instid0(VALU_DEP_1) | instskip(SKIP_2) | instid1(VALU_DEP_3)
	v_fma_f32 v8, 0xcf800000, v5, |v4|
	v_ashrrev_i32_e32 v4, 31, v4
	v_cvt_u32_f32_e32 v9, v5
	v_cvt_u32_f32_e32 v8, v8
	s_delay_alu instid0(VALU_DEP_2) | instskip(NEXT) | instid1(VALU_DEP_2)
	v_dual_mov_b32 v5, v4 :: v_dual_bitop2_b32 v9, v9, v4 bitop3:0x14
	v_xor_b32_e32 v8, v8, v4
	s_delay_alu instid0(VALU_DEP_1)
	v_sub_nc_u64_e32 v[4:5], v[8:9], v[4:5]
.LBB62_2401:
	s_mov_b32 s35, 0
.LBB62_2402:
	s_delay_alu instid0(SALU_CYCLE_1)
	s_and_not1_b32 vcc_lo, exec_lo, s35
	s_cbranch_vccnz .LBB62_2404
; %bb.2403:
	s_wait_loadcnt 0x0
	global_load_b32 v4, v[6:7], off
	s_wait_loadcnt 0x0
	v_cvt_f32_f16_e32 v4, v4
	s_delay_alu instid0(VALU_DEP_1) | instskip(NEXT) | instid1(VALU_DEP_1)
	v_cvt_i32_f32_e32 v4, v4
	v_ashrrev_i32_e32 v5, 31, v4
.LBB62_2404:
	s_cbranch_execnz .LBB62_2415
.LBB62_2405:
	s_sext_i32_i16 s35, s0
	s_delay_alu instid0(SALU_CYCLE_1)
	s_cmp_lt_i32 s35, 6
	s_cbranch_scc1 .LBB62_2408
; %bb.2406:
	s_cmp_gt_i32 s35, 6
	s_cbranch_scc0 .LBB62_2409
; %bb.2407:
	s_wait_loadcnt 0x0
	global_load_b64 v[4:5], v[6:7], off
	s_mov_b32 s35, 0
	s_wait_loadcnt 0x0
	v_trunc_f64_e32 v[4:5], v[4:5]
	s_delay_alu instid0(VALU_DEP_1) | instskip(NEXT) | instid1(VALU_DEP_1)
	v_ldexp_f64 v[8:9], v[4:5], 0xffffffe0
	v_floor_f64_e32 v[8:9], v[8:9]
	s_delay_alu instid0(VALU_DEP_1) | instskip(SKIP_1) | instid1(VALU_DEP_2)
	v_fmamk_f64 v[10:11], v[8:9], 0xc1f00000, v[4:5]
	v_cvt_i32_f64_e32 v5, v[8:9]
	v_cvt_u32_f64_e32 v4, v[10:11]
	s_branch .LBB62_2410
.LBB62_2408:
	s_mov_b32 s35, -1
                                        ; implicit-def: $vgpr4_vgpr5
	s_branch .LBB62_2413
.LBB62_2409:
	s_mov_b32 s35, -1
                                        ; implicit-def: $vgpr4_vgpr5
.LBB62_2410:
	s_delay_alu instid0(SALU_CYCLE_1)
	s_and_not1_b32 vcc_lo, exec_lo, s35
	s_cbranch_vccnz .LBB62_2412
; %bb.2411:
	s_wait_loadcnt 0x0
	global_load_b32 v4, v[6:7], off
	s_wait_loadcnt 0x0
	v_trunc_f32_e32 v4, v4
	s_delay_alu instid0(VALU_DEP_1) | instskip(NEXT) | instid1(VALU_DEP_1)
	v_mul_f32_e64 v5, 0x2f800000, |v4|
	v_floor_f32_e32 v5, v5
	s_delay_alu instid0(VALU_DEP_1) | instskip(SKIP_2) | instid1(VALU_DEP_3)
	v_fma_f32 v8, 0xcf800000, v5, |v4|
	v_ashrrev_i32_e32 v4, 31, v4
	v_cvt_u32_f32_e32 v9, v5
	v_cvt_u32_f32_e32 v8, v8
	s_delay_alu instid0(VALU_DEP_2) | instskip(NEXT) | instid1(VALU_DEP_2)
	v_dual_mov_b32 v5, v4 :: v_dual_bitop2_b32 v9, v9, v4 bitop3:0x14
	v_xor_b32_e32 v8, v8, v4
	s_delay_alu instid0(VALU_DEP_1)
	v_sub_nc_u64_e32 v[4:5], v[8:9], v[4:5]
.LBB62_2412:
	s_mov_b32 s35, 0
.LBB62_2413:
	s_delay_alu instid0(SALU_CYCLE_1)
	s_and_not1_b32 vcc_lo, exec_lo, s35
	s_cbranch_vccnz .LBB62_2415
; %bb.2414:
	s_wait_loadcnt 0x0
	global_load_u16 v4, v[6:7], off
	s_wait_loadcnt 0x0
	v_cvt_f32_f16_e32 v4, v4
	s_delay_alu instid0(VALU_DEP_1) | instskip(NEXT) | instid1(VALU_DEP_1)
	v_cvt_i32_f32_e32 v4, v4
	v_ashrrev_i32_e32 v5, 31, v4
.LBB62_2415:
	s_cbranch_execnz .LBB62_2434
.LBB62_2416:
	s_sext_i32_i16 s35, s0
	s_delay_alu instid0(SALU_CYCLE_1)
	s_cmp_lt_i32 s35, 2
	s_cbranch_scc1 .LBB62_2420
; %bb.2417:
	s_cmp_lt_i32 s35, 3
	s_cbranch_scc1 .LBB62_2421
; %bb.2418:
	s_cmp_gt_i32 s35, 3
	s_cbranch_scc0 .LBB62_2422
; %bb.2419:
	s_wait_loadcnt 0x0
	global_load_b64 v[4:5], v[6:7], off
	s_mov_b32 s35, 0
	s_branch .LBB62_2423
.LBB62_2420:
                                        ; implicit-def: $vgpr4_vgpr5
	s_branch .LBB62_2429
.LBB62_2421:
	s_mov_b32 s35, -1
                                        ; implicit-def: $vgpr4_vgpr5
	s_branch .LBB62_2426
.LBB62_2422:
	s_mov_b32 s35, -1
                                        ; implicit-def: $vgpr4_vgpr5
.LBB62_2423:
	s_delay_alu instid0(SALU_CYCLE_1)
	s_and_not1_b32 vcc_lo, exec_lo, s35
	s_cbranch_vccnz .LBB62_2425
; %bb.2424:
	s_wait_loadcnt 0x0
	global_load_b32 v4, v[6:7], off
	s_wait_loadcnt 0x0
	v_ashrrev_i32_e32 v5, 31, v4
.LBB62_2425:
	s_mov_b32 s35, 0
.LBB62_2426:
	s_delay_alu instid0(SALU_CYCLE_1)
	s_and_not1_b32 vcc_lo, exec_lo, s35
	s_cbranch_vccnz .LBB62_2428
; %bb.2427:
	s_wait_loadcnt 0x0
	global_load_u16 v4, v[6:7], off
	s_wait_loadcnt 0x0
	v_bfe_i32 v4, v4, 0, 16
	s_delay_alu instid0(VALU_DEP_1)
	v_ashrrev_i32_e32 v5, 31, v4
.LBB62_2428:
	s_cbranch_execnz .LBB62_2434
.LBB62_2429:
	s_sext_i32_i16 s0, s0
	s_delay_alu instid0(SALU_CYCLE_1)
	s_cmp_gt_i32 s0, 0
	s_mov_b32 s0, 0
	s_cbranch_scc0 .LBB62_2431
; %bb.2430:
	s_wait_loadcnt 0x0
	global_load_i8 v4, v[6:7], off
	s_wait_loadcnt 0x0
	v_bfe_i32 v4, v4, 0, 16
	s_delay_alu instid0(VALU_DEP_1)
	v_ashrrev_i32_e32 v5, 31, v4
	s_branch .LBB62_2432
.LBB62_2431:
	s_mov_b32 s0, -1
                                        ; implicit-def: $vgpr4_vgpr5
.LBB62_2432:
	s_delay_alu instid0(SALU_CYCLE_1)
	s_and_not1_b32 vcc_lo, exec_lo, s0
	s_cbranch_vccnz .LBB62_2434
; %bb.2433:
	s_wait_loadcnt 0x0
	global_load_u8 v4, v[6:7], off
	s_mov_b32 s0, 0
	s_delay_alu instid0(SALU_CYCLE_1)
	v_mov_b32_e32 v5, s0
	s_wait_loadcnt 0x0
	v_and_b32_e32 v4, 0xffff, v4
.LBB62_2434:
	s_or_b32 s34, s34, exec_lo
.LBB62_2435:
	s_wait_xcnt 0x0
	s_or_b32 exec_lo, exec_lo, s31
	s_mov_b32 s35, 0
	s_mov_b32 s46, 0
	s_mov_b32 s44, 0
                                        ; implicit-def: $sgpr0
                                        ; implicit-def: $vgpr8_vgpr9
                                        ; implicit-def: $vgpr6_vgpr7
	s_and_saveexec_b32 s31, s34
	s_cbranch_execz .LBB62_2443
; %bb.2436:
	s_wait_loadcnt 0x0
	v_mul_lo_u32 v6, v22, s2
	s_and_b32 s0, s27, 0xff
	s_delay_alu instid0(SALU_CYCLE_1) | instskip(NEXT) | instid1(VALU_DEP_1)
	s_cmp_lt_i32 s0, 11
	v_ashrrev_i32_e32 v7, 31, v6
	s_delay_alu instid0(VALU_DEP_1)
	v_add_nc_u64_e32 v[8:9], s[12:13], v[6:7]
	s_cbranch_scc1 .LBB62_2446
; %bb.2437:
	s_and_b32 s34, 0xffff, s0
	s_mov_b32 s45, 0
	s_cmp_gt_i32 s34, 25
	s_cbranch_scc0 .LBB62_2447
; %bb.2438:
	s_cmp_gt_i32 s34, 28
	s_cbranch_scc0 .LBB62_2448
; %bb.2439:
	;; [unrolled: 3-line block ×4, first 2 shown]
	s_cmp_eq_u32 s34, 46
	s_cbranch_scc0 .LBB62_2451
; %bb.2442:
	global_load_b32 v6, v[8:9], off
	s_mov_b32 s44, -1
	s_wait_loadcnt 0x0
	v_lshlrev_b32_e32 v6, 16, v6
	s_delay_alu instid0(VALU_DEP_1) | instskip(NEXT) | instid1(VALU_DEP_1)
	v_trunc_f32_e32 v6, v6
	v_mul_f32_e64 v7, 0x2f800000, |v6|
	s_delay_alu instid0(VALU_DEP_1) | instskip(NEXT) | instid1(VALU_DEP_1)
	v_floor_f32_e32 v7, v7
	v_fma_f32 v10, 0xcf800000, v7, |v6|
	v_ashrrev_i32_e32 v6, 31, v6
	v_cvt_u32_f32_e32 v11, v7
	s_delay_alu instid0(VALU_DEP_3) | instskip(NEXT) | instid1(VALU_DEP_2)
	v_cvt_u32_f32_e32 v10, v10
	v_dual_mov_b32 v7, v6 :: v_dual_bitop2_b32 v11, v11, v6 bitop3:0x14
	s_delay_alu instid0(VALU_DEP_2) | instskip(NEXT) | instid1(VALU_DEP_1)
	v_xor_b32_e32 v10, v10, v6
	v_sub_nc_u64_e32 v[6:7], v[10:11], v[6:7]
	s_branch .LBB62_2453
.LBB62_2443:
	s_or_b32 exec_lo, exec_lo, s31
	s_and_saveexec_b32 s31, s68
	s_cbranch_execnz .LBB62_2512
.LBB62_2444:
	s_or_b32 exec_lo, exec_lo, s31
	s_and_saveexec_b32 s31, s35
	s_delay_alu instid0(SALU_CYCLE_1)
	s_xor_b32 s31, exec_lo, s31
	s_cbranch_execz .LBB62_2513
.LBB62_2445:
	s_wait_loadcnt 0x0
	global_load_u8 v6, v[8:9], off
	s_mov_b32 s34, 0
	s_or_b32 s44, s44, exec_lo
	v_mov_b32_e32 v7, s34
	s_wait_loadcnt 0x0
	v_cmp_ne_u16_e32 vcc_lo, 0, v6
	v_cndmask_b32_e64 v6, 0, 1, vcc_lo
	s_wait_xcnt 0x0
	s_or_b32 exec_lo, exec_lo, s31
	s_and_saveexec_b32 s31, s46
	s_cbranch_execz .LBB62_2559
	s_branch .LBB62_2514
.LBB62_2446:
	s_mov_b32 s34, -1
	s_mov_b32 s45, 0
	s_mov_b32 s35, s68
                                        ; implicit-def: $vgpr6_vgpr7
	s_branch .LBB62_2511
.LBB62_2447:
	s_mov_b32 s35, s68
                                        ; implicit-def: $vgpr6_vgpr7
	s_cbranch_execnz .LBB62_2480
	s_branch .LBB62_2510
.LBB62_2448:
	s_mov_b32 s46, -1
	s_mov_b32 s35, s68
                                        ; implicit-def: $vgpr6_vgpr7
	s_branch .LBB62_2463
.LBB62_2449:
	s_mov_b32 s46, -1
	s_mov_b32 s35, s68
                                        ; implicit-def: $vgpr6_vgpr7
	s_branch .LBB62_2458
.LBB62_2450:
	s_mov_b32 s46, -1
	s_mov_b32 s35, s68
	s_branch .LBB62_2452
.LBB62_2451:
	s_mov_b32 s35, -1
.LBB62_2452:
                                        ; implicit-def: $vgpr6_vgpr7
.LBB62_2453:
	s_and_b32 vcc_lo, exec_lo, s46
	s_cbranch_vccz .LBB62_2457
; %bb.2454:
	s_cmp_eq_u32 s34, 44
	s_cbranch_scc0 .LBB62_2456
; %bb.2455:
	global_load_u8 v12, v[8:9], off
	s_mov_b32 s35, 0
	s_mov_b32 s44, -1
	s_wait_loadcnt 0x0
	v_cmp_ne_u32_e32 vcc_lo, 0, v12
	v_lshlrev_b32_e32 v6, 23, v12
	s_delay_alu instid0(VALU_DEP_1) | instskip(NEXT) | instid1(VALU_DEP_1)
	v_trunc_f32_e32 v6, v6
	v_mul_f32_e64 v7, 0x2f800000, |v6|
	s_delay_alu instid0(VALU_DEP_1) | instskip(NEXT) | instid1(VALU_DEP_1)
	v_floor_f32_e32 v7, v7
	v_fma_f32 v10, 0xcf800000, v7, |v6|
	v_ashrrev_i32_e32 v6, 31, v6
	v_cvt_u32_f32_e32 v11, v7
	s_delay_alu instid0(VALU_DEP_3) | instskip(NEXT) | instid1(VALU_DEP_2)
	v_cvt_u32_f32_e32 v10, v10
	v_dual_mov_b32 v7, v6 :: v_dual_bitop2_b32 v11, v11, v6 bitop3:0x14
	s_delay_alu instid0(VALU_DEP_2) | instskip(NEXT) | instid1(VALU_DEP_1)
	v_xor_b32_e32 v10, v10, v6
	v_sub_nc_u64_e32 v[6:7], v[10:11], v[6:7]
	s_delay_alu instid0(VALU_DEP_1)
	v_dual_cndmask_b32 v7, 0, v7 :: v_dual_cndmask_b32 v6, 0, v6
	s_branch .LBB62_2457
.LBB62_2456:
	s_mov_b32 s35, -1
                                        ; implicit-def: $vgpr6_vgpr7
.LBB62_2457:
	s_mov_b32 s46, 0
.LBB62_2458:
	s_delay_alu instid0(SALU_CYCLE_1)
	s_and_b32 vcc_lo, exec_lo, s46
	s_cbranch_vccz .LBB62_2462
; %bb.2459:
	s_cmp_eq_u32 s34, 29
	s_cbranch_scc0 .LBB62_2461
; %bb.2460:
	global_load_b64 v[6:7], v[8:9], off
	s_mov_b32 s35, 0
	s_mov_b32 s44, -1
	s_branch .LBB62_2462
.LBB62_2461:
	s_mov_b32 s35, -1
                                        ; implicit-def: $vgpr6_vgpr7
.LBB62_2462:
	s_mov_b32 s46, 0
.LBB62_2463:
	s_delay_alu instid0(SALU_CYCLE_1)
	s_and_b32 vcc_lo, exec_lo, s46
	s_cbranch_vccz .LBB62_2479
; %bb.2464:
	s_cmp_lt_i32 s34, 27
	s_cbranch_scc1 .LBB62_2467
; %bb.2465:
	s_cmp_gt_i32 s34, 27
	s_cbranch_scc0 .LBB62_2468
; %bb.2466:
	s_wait_loadcnt 0x0
	global_load_b32 v6, v[8:9], off
	v_mov_b32_e32 v7, 0
	s_mov_b32 s44, 0
	s_branch .LBB62_2469
.LBB62_2467:
	s_mov_b32 s44, -1
                                        ; implicit-def: $vgpr6_vgpr7
	s_branch .LBB62_2472
.LBB62_2468:
	s_mov_b32 s44, -1
                                        ; implicit-def: $vgpr6_vgpr7
.LBB62_2469:
	s_delay_alu instid0(SALU_CYCLE_1)
	s_and_not1_b32 vcc_lo, exec_lo, s44
	s_cbranch_vccnz .LBB62_2471
; %bb.2470:
	s_wait_loadcnt 0x0
	global_load_u16 v6, v[8:9], off
	s_mov_b32 s44, 0
	s_delay_alu instid0(SALU_CYCLE_1)
	v_mov_b32_e32 v7, s44
	s_wait_loadcnt 0x0
	v_and_b32_e32 v6, 0xffff, v6
.LBB62_2471:
	s_mov_b32 s44, 0
.LBB62_2472:
	s_delay_alu instid0(SALU_CYCLE_1)
	s_and_not1_b32 vcc_lo, exec_lo, s44
	s_cbranch_vccnz .LBB62_2478
; %bb.2473:
	global_load_u8 v10, v[8:9], off
	s_mov_b32 s46, 0
	s_mov_b32 s44, exec_lo
	s_wait_loadcnt 0x0
	v_cmpx_lt_i16_e32 0x7f, v10
	s_xor_b32 s44, exec_lo, s44
	s_cbranch_execz .LBB62_2489
; %bb.2474:
	v_cmp_ne_u16_e32 vcc_lo, 0x80, v10
	s_and_b32 s46, vcc_lo, exec_lo
	s_and_not1_saveexec_b32 s44, s44
	s_cbranch_execnz .LBB62_2490
.LBB62_2475:
	s_or_b32 exec_lo, exec_lo, s44
	v_mov_b64_e32 v[6:7], 0
	s_and_saveexec_b32 s44, s46
	s_cbranch_execz .LBB62_2477
.LBB62_2476:
	v_and_b32_e32 v6, 0xffff, v10
	s_delay_alu instid0(VALU_DEP_1) | instskip(SKIP_1) | instid1(VALU_DEP_2)
	v_and_b32_e32 v7, 7, v6
	v_bfe_u32 v13, v6, 3, 4
	v_clz_i32_u32_e32 v11, v7
	s_delay_alu instid0(VALU_DEP_2) | instskip(NEXT) | instid1(VALU_DEP_2)
	v_cmp_eq_u32_e32 vcc_lo, 0, v13
	v_min_u32_e32 v11, 32, v11
	s_delay_alu instid0(VALU_DEP_1) | instskip(NEXT) | instid1(VALU_DEP_1)
	v_subrev_nc_u32_e32 v12, 28, v11
	v_dual_lshlrev_b32 v6, v12, v6 :: v_dual_sub_nc_u32 v11, 29, v11
	s_delay_alu instid0(VALU_DEP_1) | instskip(NEXT) | instid1(VALU_DEP_2)
	v_and_b32_e32 v6, 7, v6
	v_dual_cndmask_b32 v11, v13, v11 :: v_dual_lshlrev_b32 v10, 24, v10
	s_delay_alu instid0(VALU_DEP_2) | instskip(NEXT) | instid1(VALU_DEP_2)
	v_cndmask_b32_e32 v6, v7, v6, vcc_lo
	v_and_b32_e32 v7, 0x80000000, v10
	s_delay_alu instid0(VALU_DEP_3) | instskip(NEXT) | instid1(VALU_DEP_3)
	v_lshl_add_u32 v10, v11, 23, 0x3b800000
	v_lshlrev_b32_e32 v6, 20, v6
	s_delay_alu instid0(VALU_DEP_1) | instskip(NEXT) | instid1(VALU_DEP_1)
	v_or3_b32 v6, v7, v10, v6
	v_trunc_f32_e32 v6, v6
	s_delay_alu instid0(VALU_DEP_1) | instskip(NEXT) | instid1(VALU_DEP_1)
	v_mul_f32_e64 v7, 0x2f800000, |v6|
	v_floor_f32_e32 v7, v7
	s_delay_alu instid0(VALU_DEP_1) | instskip(SKIP_2) | instid1(VALU_DEP_3)
	v_fma_f32 v10, 0xcf800000, v7, |v6|
	v_ashrrev_i32_e32 v6, 31, v6
	v_cvt_u32_f32_e32 v11, v7
	v_cvt_u32_f32_e32 v10, v10
	s_delay_alu instid0(VALU_DEP_2) | instskip(NEXT) | instid1(VALU_DEP_2)
	v_dual_mov_b32 v7, v6 :: v_dual_bitop2_b32 v11, v11, v6 bitop3:0x14
	v_xor_b32_e32 v10, v10, v6
	s_delay_alu instid0(VALU_DEP_1)
	v_sub_nc_u64_e32 v[6:7], v[10:11], v[6:7]
.LBB62_2477:
	s_or_b32 exec_lo, exec_lo, s44
.LBB62_2478:
	s_mov_b32 s44, -1
.LBB62_2479:
	s_branch .LBB62_2510
.LBB62_2480:
	s_cmp_gt_i32 s34, 22
	s_cbranch_scc0 .LBB62_2488
; %bb.2481:
	s_cmp_lt_i32 s34, 24
	s_cbranch_scc1 .LBB62_2491
; %bb.2482:
	s_cmp_gt_i32 s34, 24
	s_cbranch_scc0 .LBB62_2492
; %bb.2483:
	global_load_u8 v10, v[8:9], off
	s_mov_b32 s44, exec_lo
	s_wait_loadcnt 0x0
	v_cmpx_lt_i16_e32 0x7f, v10
	s_xor_b32 s44, exec_lo, s44
	s_cbranch_execz .LBB62_2504
; %bb.2484:
	v_cmp_ne_u16_e32 vcc_lo, 0x80, v10
	s_and_b32 s45, vcc_lo, exec_lo
	s_and_not1_saveexec_b32 s44, s44
	s_cbranch_execnz .LBB62_2505
.LBB62_2485:
	s_or_b32 exec_lo, exec_lo, s44
	v_mov_b64_e32 v[6:7], 0
	s_and_saveexec_b32 s44, s45
	s_cbranch_execz .LBB62_2487
.LBB62_2486:
	v_and_b32_e32 v6, 0xffff, v10
	s_delay_alu instid0(VALU_DEP_1) | instskip(SKIP_1) | instid1(VALU_DEP_2)
	v_and_b32_e32 v7, 3, v6
	v_bfe_u32 v13, v6, 2, 5
	v_clz_i32_u32_e32 v11, v7
	s_delay_alu instid0(VALU_DEP_2) | instskip(NEXT) | instid1(VALU_DEP_2)
	v_cmp_eq_u32_e32 vcc_lo, 0, v13
	v_min_u32_e32 v11, 32, v11
	s_delay_alu instid0(VALU_DEP_1) | instskip(NEXT) | instid1(VALU_DEP_1)
	v_subrev_nc_u32_e32 v12, 29, v11
	v_dual_lshlrev_b32 v6, v12, v6 :: v_dual_sub_nc_u32 v11, 30, v11
	s_delay_alu instid0(VALU_DEP_1) | instskip(NEXT) | instid1(VALU_DEP_2)
	v_and_b32_e32 v6, 3, v6
	v_dual_cndmask_b32 v11, v13, v11 :: v_dual_lshlrev_b32 v10, 24, v10
	s_delay_alu instid0(VALU_DEP_2) | instskip(NEXT) | instid1(VALU_DEP_2)
	v_cndmask_b32_e32 v6, v7, v6, vcc_lo
	v_and_b32_e32 v7, 0x80000000, v10
	s_delay_alu instid0(VALU_DEP_3) | instskip(NEXT) | instid1(VALU_DEP_3)
	v_lshl_add_u32 v10, v11, 23, 0x37800000
	v_lshlrev_b32_e32 v6, 21, v6
	s_delay_alu instid0(VALU_DEP_1) | instskip(NEXT) | instid1(VALU_DEP_1)
	v_or3_b32 v6, v7, v10, v6
	v_trunc_f32_e32 v6, v6
	s_delay_alu instid0(VALU_DEP_1) | instskip(NEXT) | instid1(VALU_DEP_1)
	v_mul_f32_e64 v7, 0x2f800000, |v6|
	v_floor_f32_e32 v7, v7
	s_delay_alu instid0(VALU_DEP_1) | instskip(SKIP_2) | instid1(VALU_DEP_3)
	v_fma_f32 v10, 0xcf800000, v7, |v6|
	v_ashrrev_i32_e32 v6, 31, v6
	v_cvt_u32_f32_e32 v11, v7
	v_cvt_u32_f32_e32 v10, v10
	s_delay_alu instid0(VALU_DEP_2) | instskip(NEXT) | instid1(VALU_DEP_2)
	v_dual_mov_b32 v7, v6 :: v_dual_bitop2_b32 v11, v11, v6 bitop3:0x14
	v_xor_b32_e32 v10, v10, v6
	s_delay_alu instid0(VALU_DEP_1)
	v_sub_nc_u64_e32 v[6:7], v[10:11], v[6:7]
.LBB62_2487:
	s_or_b32 exec_lo, exec_lo, s44
	s_mov_b32 s44, 0
	s_branch .LBB62_2493
.LBB62_2488:
	s_mov_b32 s45, -1
                                        ; implicit-def: $vgpr6_vgpr7
	s_branch .LBB62_2499
.LBB62_2489:
	s_and_not1_saveexec_b32 s44, s44
	s_cbranch_execz .LBB62_2475
.LBB62_2490:
	v_cmp_ne_u16_e32 vcc_lo, 0, v10
	s_and_not1_b32 s46, s46, exec_lo
	s_and_b32 s47, vcc_lo, exec_lo
	s_delay_alu instid0(SALU_CYCLE_1)
	s_or_b32 s46, s46, s47
	s_or_b32 exec_lo, exec_lo, s44
	v_mov_b64_e32 v[6:7], 0
	s_and_saveexec_b32 s44, s46
	s_cbranch_execnz .LBB62_2476
	s_branch .LBB62_2477
.LBB62_2491:
	s_mov_b32 s44, -1
                                        ; implicit-def: $vgpr6_vgpr7
	s_branch .LBB62_2496
.LBB62_2492:
	s_mov_b32 s44, -1
                                        ; implicit-def: $vgpr6_vgpr7
.LBB62_2493:
	s_delay_alu instid0(SALU_CYCLE_1)
	s_and_b32 vcc_lo, exec_lo, s44
	s_cbranch_vccz .LBB62_2495
; %bb.2494:
	s_wait_loadcnt 0x0
	global_load_u8 v6, v[8:9], off
	s_wait_loadcnt 0x0
	v_lshlrev_b32_e32 v6, 24, v6
	s_delay_alu instid0(VALU_DEP_1) | instskip(NEXT) | instid1(VALU_DEP_1)
	v_and_b32_e32 v7, 0x7f000000, v6
	v_clz_i32_u32_e32 v10, v7
	v_cmp_ne_u32_e32 vcc_lo, 0, v7
	v_add_nc_u32_e32 v12, 0x1000000, v7
	s_delay_alu instid0(VALU_DEP_3) | instskip(NEXT) | instid1(VALU_DEP_1)
	v_min_u32_e32 v10, 32, v10
	v_sub_nc_u32_e64 v10, v10, 4 clamp
	s_delay_alu instid0(VALU_DEP_1) | instskip(NEXT) | instid1(VALU_DEP_1)
	v_dual_lshlrev_b32 v11, v10, v7 :: v_dual_lshlrev_b32 v10, 23, v10
	v_lshrrev_b32_e32 v11, 4, v11
	s_delay_alu instid0(VALU_DEP_1) | instskip(NEXT) | instid1(VALU_DEP_1)
	v_dual_sub_nc_u32 v10, v11, v10 :: v_dual_ashrrev_i32 v11, 8, v12
	v_add_nc_u32_e32 v10, 0x3c000000, v10
	s_delay_alu instid0(VALU_DEP_1) | instskip(NEXT) | instid1(VALU_DEP_1)
	v_and_or_b32 v10, 0x7f800000, v11, v10
	v_cndmask_b32_e32 v7, 0, v10, vcc_lo
	s_delay_alu instid0(VALU_DEP_1) | instskip(NEXT) | instid1(VALU_DEP_1)
	v_and_or_b32 v6, 0x80000000, v6, v7
	v_trunc_f32_e32 v6, v6
	s_delay_alu instid0(VALU_DEP_1) | instskip(NEXT) | instid1(VALU_DEP_1)
	v_mul_f32_e64 v7, 0x2f800000, |v6|
	v_floor_f32_e32 v7, v7
	s_delay_alu instid0(VALU_DEP_1) | instskip(SKIP_2) | instid1(VALU_DEP_3)
	v_fma_f32 v10, 0xcf800000, v7, |v6|
	v_ashrrev_i32_e32 v6, 31, v6
	v_cvt_u32_f32_e32 v11, v7
	v_cvt_u32_f32_e32 v10, v10
	s_delay_alu instid0(VALU_DEP_2) | instskip(NEXT) | instid1(VALU_DEP_2)
	v_dual_mov_b32 v7, v6 :: v_dual_bitop2_b32 v11, v11, v6 bitop3:0x14
	v_xor_b32_e32 v10, v10, v6
	s_delay_alu instid0(VALU_DEP_1)
	v_sub_nc_u64_e32 v[6:7], v[10:11], v[6:7]
.LBB62_2495:
	s_mov_b32 s44, 0
.LBB62_2496:
	s_delay_alu instid0(SALU_CYCLE_1)
	s_and_not1_b32 vcc_lo, exec_lo, s44
	s_cbranch_vccnz .LBB62_2498
; %bb.2497:
	s_wait_loadcnt 0x0
	global_load_u8 v6, v[8:9], off
	s_wait_loadcnt 0x0
	v_lshlrev_b32_e32 v7, 25, v6
	v_lshlrev_b16 v6, 8, v6
	s_delay_alu instid0(VALU_DEP_1) | instskip(SKIP_1) | instid1(VALU_DEP_2)
	v_and_or_b32 v11, 0x7f00, v6, 0.5
	v_bfe_i32 v6, v6, 0, 16
	v_add_f32_e32 v11, -0.5, v11
	v_lshrrev_b32_e32 v10, 4, v7
	v_cmp_gt_u32_e32 vcc_lo, 0x8000000, v7
	s_delay_alu instid0(VALU_DEP_2) | instskip(NEXT) | instid1(VALU_DEP_1)
	v_or_b32_e32 v10, 0x70000000, v10
	v_mul_f32_e32 v10, 0x7800000, v10
	s_delay_alu instid0(VALU_DEP_1) | instskip(NEXT) | instid1(VALU_DEP_1)
	v_cndmask_b32_e32 v7, v10, v11, vcc_lo
	v_and_or_b32 v6, 0x80000000, v6, v7
	s_delay_alu instid0(VALU_DEP_1) | instskip(NEXT) | instid1(VALU_DEP_1)
	v_trunc_f32_e32 v6, v6
	v_mul_f32_e64 v7, 0x2f800000, |v6|
	s_delay_alu instid0(VALU_DEP_1) | instskip(NEXT) | instid1(VALU_DEP_1)
	v_floor_f32_e32 v7, v7
	v_fma_f32 v10, 0xcf800000, v7, |v6|
	v_ashrrev_i32_e32 v6, 31, v6
	v_cvt_u32_f32_e32 v11, v7
	s_delay_alu instid0(VALU_DEP_3) | instskip(NEXT) | instid1(VALU_DEP_2)
	v_cvt_u32_f32_e32 v10, v10
	v_dual_mov_b32 v7, v6 :: v_dual_bitop2_b32 v11, v11, v6 bitop3:0x14
	s_delay_alu instid0(VALU_DEP_2) | instskip(NEXT) | instid1(VALU_DEP_1)
	v_xor_b32_e32 v10, v10, v6
	v_sub_nc_u64_e32 v[6:7], v[10:11], v[6:7]
.LBB62_2498:
	s_mov_b32 s45, 0
	s_mov_b32 s44, -1
.LBB62_2499:
	s_and_not1_b32 vcc_lo, exec_lo, s45
	s_mov_b32 s45, 0
	s_cbranch_vccnz .LBB62_2510
; %bb.2500:
	s_cmp_gt_i32 s34, 14
	s_cbranch_scc0 .LBB62_2503
; %bb.2501:
	s_cmp_eq_u32 s34, 15
	s_cbranch_scc0 .LBB62_2506
; %bb.2502:
	s_wait_loadcnt 0x0
	global_load_u16 v6, v[8:9], off
	s_mov_b32 s35, 0
	s_mov_b32 s44, -1
	s_wait_loadcnt 0x0
	v_lshlrev_b32_e32 v6, 16, v6
	s_delay_alu instid0(VALU_DEP_1) | instskip(NEXT) | instid1(VALU_DEP_1)
	v_trunc_f32_e32 v6, v6
	v_mul_f32_e64 v7, 0x2f800000, |v6|
	s_delay_alu instid0(VALU_DEP_1) | instskip(NEXT) | instid1(VALU_DEP_1)
	v_floor_f32_e32 v7, v7
	v_fma_f32 v10, 0xcf800000, v7, |v6|
	v_ashrrev_i32_e32 v6, 31, v6
	v_cvt_u32_f32_e32 v11, v7
	s_delay_alu instid0(VALU_DEP_3) | instskip(NEXT) | instid1(VALU_DEP_2)
	v_cvt_u32_f32_e32 v10, v10
	v_dual_mov_b32 v7, v6 :: v_dual_bitop2_b32 v11, v11, v6 bitop3:0x14
	s_delay_alu instid0(VALU_DEP_2) | instskip(NEXT) | instid1(VALU_DEP_1)
	v_xor_b32_e32 v10, v10, v6
	v_sub_nc_u64_e32 v[6:7], v[10:11], v[6:7]
	s_branch .LBB62_2508
.LBB62_2503:
	s_mov_b32 s45, -1
	s_branch .LBB62_2507
.LBB62_2504:
	s_and_not1_saveexec_b32 s44, s44
	s_cbranch_execz .LBB62_2485
.LBB62_2505:
	v_cmp_ne_u16_e32 vcc_lo, 0, v10
	s_and_not1_b32 s45, s45, exec_lo
	s_and_b32 s46, vcc_lo, exec_lo
	s_delay_alu instid0(SALU_CYCLE_1)
	s_or_b32 s45, s45, s46
	s_or_b32 exec_lo, exec_lo, s44
	v_mov_b64_e32 v[6:7], 0
	s_and_saveexec_b32 s44, s45
	s_cbranch_execnz .LBB62_2486
	s_branch .LBB62_2487
.LBB62_2506:
	s_mov_b32 s35, -1
.LBB62_2507:
                                        ; implicit-def: $vgpr6_vgpr7
.LBB62_2508:
	s_and_b32 vcc_lo, exec_lo, s45
	s_mov_b32 s45, 0
	s_cbranch_vccz .LBB62_2510
; %bb.2509:
	s_cmp_lg_u32 s34, 11
	s_mov_b32 s45, -1
	s_cselect_b32 s34, -1, 0
	s_and_not1_b32 s35, s35, exec_lo
	s_and_b32 s34, s34, exec_lo
	s_delay_alu instid0(SALU_CYCLE_1)
	s_or_b32 s35, s35, s34
.LBB62_2510:
	s_mov_b32 s34, 0
.LBB62_2511:
	s_delay_alu instid0(SALU_CYCLE_1)
	s_and_b32 s46, s34, exec_lo
	s_and_not1_b32 s34, s68, exec_lo
	s_and_b32 s47, s35, exec_lo
	s_and_b32 s44, s44, exec_lo
	;; [unrolled: 1-line block ×3, first 2 shown]
	s_or_b32 s68, s34, s47
	s_wait_xcnt 0x0
	s_or_b32 exec_lo, exec_lo, s31
	s_and_saveexec_b32 s31, s68
	s_cbranch_execz .LBB62_2444
.LBB62_2512:
	s_or_b32 s1, s1, exec_lo
	s_and_not1_b32 s35, s35, exec_lo
	s_trap 2
	s_or_b32 exec_lo, exec_lo, s31
	s_and_saveexec_b32 s31, s35
	s_delay_alu instid0(SALU_CYCLE_1)
	s_xor_b32 s31, exec_lo, s31
	s_cbranch_execnz .LBB62_2445
.LBB62_2513:
	s_or_b32 exec_lo, exec_lo, s31
	s_and_saveexec_b32 s31, s46
	s_cbranch_execz .LBB62_2559
.LBB62_2514:
	s_sext_i32_i16 s34, s0
	s_delay_alu instid0(SALU_CYCLE_1)
	s_cmp_lt_i32 s34, 5
	s_cbranch_scc1 .LBB62_2519
; %bb.2515:
	s_cmp_lt_i32 s34, 8
	s_cbranch_scc1 .LBB62_2520
; %bb.2516:
	;; [unrolled: 3-line block ×3, first 2 shown]
	s_cmp_gt_i32 s34, 9
	s_cbranch_scc0 .LBB62_2522
; %bb.2518:
	s_wait_loadcnt 0x0
	global_load_b64 v[6:7], v[8:9], off
	s_mov_b32 s34, 0
	s_wait_loadcnt 0x0
	v_trunc_f64_e32 v[6:7], v[6:7]
	s_delay_alu instid0(VALU_DEP_1) | instskip(NEXT) | instid1(VALU_DEP_1)
	v_ldexp_f64 v[10:11], v[6:7], 0xffffffe0
	v_floor_f64_e32 v[10:11], v[10:11]
	s_delay_alu instid0(VALU_DEP_1) | instskip(SKIP_1) | instid1(VALU_DEP_2)
	v_fmamk_f64 v[12:13], v[10:11], 0xc1f00000, v[6:7]
	v_cvt_i32_f64_e32 v7, v[10:11]
	v_cvt_u32_f64_e32 v6, v[12:13]
	s_branch .LBB62_2523
.LBB62_2519:
                                        ; implicit-def: $vgpr6_vgpr7
	s_branch .LBB62_2540
.LBB62_2520:
                                        ; implicit-def: $vgpr6_vgpr7
	s_branch .LBB62_2529
.LBB62_2521:
	s_mov_b32 s34, -1
                                        ; implicit-def: $vgpr6_vgpr7
	s_branch .LBB62_2526
.LBB62_2522:
	s_mov_b32 s34, -1
                                        ; implicit-def: $vgpr6_vgpr7
.LBB62_2523:
	s_delay_alu instid0(SALU_CYCLE_1)
	s_and_not1_b32 vcc_lo, exec_lo, s34
	s_cbranch_vccnz .LBB62_2525
; %bb.2524:
	s_wait_loadcnt 0x0
	global_load_b32 v6, v[8:9], off
	s_wait_loadcnt 0x0
	v_trunc_f32_e32 v6, v6
	s_delay_alu instid0(VALU_DEP_1) | instskip(NEXT) | instid1(VALU_DEP_1)
	v_mul_f32_e64 v7, 0x2f800000, |v6|
	v_floor_f32_e32 v7, v7
	s_delay_alu instid0(VALU_DEP_1) | instskip(SKIP_2) | instid1(VALU_DEP_3)
	v_fma_f32 v10, 0xcf800000, v7, |v6|
	v_ashrrev_i32_e32 v6, 31, v6
	v_cvt_u32_f32_e32 v11, v7
	v_cvt_u32_f32_e32 v10, v10
	s_delay_alu instid0(VALU_DEP_2) | instskip(NEXT) | instid1(VALU_DEP_2)
	v_dual_mov_b32 v7, v6 :: v_dual_bitop2_b32 v11, v11, v6 bitop3:0x14
	v_xor_b32_e32 v10, v10, v6
	s_delay_alu instid0(VALU_DEP_1)
	v_sub_nc_u64_e32 v[6:7], v[10:11], v[6:7]
.LBB62_2525:
	s_mov_b32 s34, 0
.LBB62_2526:
	s_delay_alu instid0(SALU_CYCLE_1)
	s_and_not1_b32 vcc_lo, exec_lo, s34
	s_cbranch_vccnz .LBB62_2528
; %bb.2527:
	s_wait_loadcnt 0x0
	global_load_b32 v6, v[8:9], off
	s_wait_loadcnt 0x0
	v_cvt_f32_f16_e32 v6, v6
	s_delay_alu instid0(VALU_DEP_1) | instskip(NEXT) | instid1(VALU_DEP_1)
	v_cvt_i32_f32_e32 v6, v6
	v_ashrrev_i32_e32 v7, 31, v6
.LBB62_2528:
	s_cbranch_execnz .LBB62_2539
.LBB62_2529:
	s_sext_i32_i16 s34, s0
	s_delay_alu instid0(SALU_CYCLE_1)
	s_cmp_lt_i32 s34, 6
	s_cbranch_scc1 .LBB62_2532
; %bb.2530:
	s_cmp_gt_i32 s34, 6
	s_cbranch_scc0 .LBB62_2533
; %bb.2531:
	s_wait_loadcnt 0x0
	global_load_b64 v[6:7], v[8:9], off
	s_mov_b32 s34, 0
	s_wait_loadcnt 0x0
	v_trunc_f64_e32 v[6:7], v[6:7]
	s_delay_alu instid0(VALU_DEP_1) | instskip(NEXT) | instid1(VALU_DEP_1)
	v_ldexp_f64 v[10:11], v[6:7], 0xffffffe0
	v_floor_f64_e32 v[10:11], v[10:11]
	s_delay_alu instid0(VALU_DEP_1) | instskip(SKIP_1) | instid1(VALU_DEP_2)
	v_fmamk_f64 v[12:13], v[10:11], 0xc1f00000, v[6:7]
	v_cvt_i32_f64_e32 v7, v[10:11]
	v_cvt_u32_f64_e32 v6, v[12:13]
	s_branch .LBB62_2534
.LBB62_2532:
	s_mov_b32 s34, -1
                                        ; implicit-def: $vgpr6_vgpr7
	s_branch .LBB62_2537
.LBB62_2533:
	s_mov_b32 s34, -1
                                        ; implicit-def: $vgpr6_vgpr7
.LBB62_2534:
	s_delay_alu instid0(SALU_CYCLE_1)
	s_and_not1_b32 vcc_lo, exec_lo, s34
	s_cbranch_vccnz .LBB62_2536
; %bb.2535:
	s_wait_loadcnt 0x0
	global_load_b32 v6, v[8:9], off
	s_wait_loadcnt 0x0
	v_trunc_f32_e32 v6, v6
	s_delay_alu instid0(VALU_DEP_1) | instskip(NEXT) | instid1(VALU_DEP_1)
	v_mul_f32_e64 v7, 0x2f800000, |v6|
	v_floor_f32_e32 v7, v7
	s_delay_alu instid0(VALU_DEP_1) | instskip(SKIP_2) | instid1(VALU_DEP_3)
	v_fma_f32 v10, 0xcf800000, v7, |v6|
	v_ashrrev_i32_e32 v6, 31, v6
	v_cvt_u32_f32_e32 v11, v7
	v_cvt_u32_f32_e32 v10, v10
	s_delay_alu instid0(VALU_DEP_2) | instskip(NEXT) | instid1(VALU_DEP_2)
	v_dual_mov_b32 v7, v6 :: v_dual_bitop2_b32 v11, v11, v6 bitop3:0x14
	v_xor_b32_e32 v10, v10, v6
	s_delay_alu instid0(VALU_DEP_1)
	v_sub_nc_u64_e32 v[6:7], v[10:11], v[6:7]
.LBB62_2536:
	s_mov_b32 s34, 0
.LBB62_2537:
	s_delay_alu instid0(SALU_CYCLE_1)
	s_and_not1_b32 vcc_lo, exec_lo, s34
	s_cbranch_vccnz .LBB62_2539
; %bb.2538:
	s_wait_loadcnt 0x0
	global_load_u16 v6, v[8:9], off
	s_wait_loadcnt 0x0
	v_cvt_f32_f16_e32 v6, v6
	s_delay_alu instid0(VALU_DEP_1) | instskip(NEXT) | instid1(VALU_DEP_1)
	v_cvt_i32_f32_e32 v6, v6
	v_ashrrev_i32_e32 v7, 31, v6
.LBB62_2539:
	s_cbranch_execnz .LBB62_2558
.LBB62_2540:
	s_sext_i32_i16 s34, s0
	s_delay_alu instid0(SALU_CYCLE_1)
	s_cmp_lt_i32 s34, 2
	s_cbranch_scc1 .LBB62_2544
; %bb.2541:
	s_cmp_lt_i32 s34, 3
	s_cbranch_scc1 .LBB62_2545
; %bb.2542:
	s_cmp_gt_i32 s34, 3
	s_cbranch_scc0 .LBB62_2546
; %bb.2543:
	s_wait_loadcnt 0x0
	global_load_b64 v[6:7], v[8:9], off
	s_mov_b32 s34, 0
	s_branch .LBB62_2547
.LBB62_2544:
                                        ; implicit-def: $vgpr6_vgpr7
	s_branch .LBB62_2553
.LBB62_2545:
	s_mov_b32 s34, -1
                                        ; implicit-def: $vgpr6_vgpr7
	s_branch .LBB62_2550
.LBB62_2546:
	s_mov_b32 s34, -1
                                        ; implicit-def: $vgpr6_vgpr7
.LBB62_2547:
	s_delay_alu instid0(SALU_CYCLE_1)
	s_and_not1_b32 vcc_lo, exec_lo, s34
	s_cbranch_vccnz .LBB62_2549
; %bb.2548:
	s_wait_loadcnt 0x0
	global_load_b32 v6, v[8:9], off
	s_wait_loadcnt 0x0
	v_ashrrev_i32_e32 v7, 31, v6
.LBB62_2549:
	s_mov_b32 s34, 0
.LBB62_2550:
	s_delay_alu instid0(SALU_CYCLE_1)
	s_and_not1_b32 vcc_lo, exec_lo, s34
	s_cbranch_vccnz .LBB62_2552
; %bb.2551:
	s_wait_loadcnt 0x0
	global_load_u16 v6, v[8:9], off
	s_wait_loadcnt 0x0
	v_bfe_i32 v6, v6, 0, 16
	s_delay_alu instid0(VALU_DEP_1)
	v_ashrrev_i32_e32 v7, 31, v6
.LBB62_2552:
	s_cbranch_execnz .LBB62_2558
.LBB62_2553:
	s_sext_i32_i16 s0, s0
	s_delay_alu instid0(SALU_CYCLE_1)
	s_cmp_gt_i32 s0, 0
	s_mov_b32 s0, 0
	s_cbranch_scc0 .LBB62_2555
; %bb.2554:
	s_wait_loadcnt 0x0
	global_load_i8 v6, v[8:9], off
	s_wait_loadcnt 0x0
	v_bfe_i32 v6, v6, 0, 16
	s_delay_alu instid0(VALU_DEP_1)
	v_ashrrev_i32_e32 v7, 31, v6
	s_branch .LBB62_2556
.LBB62_2555:
	s_mov_b32 s0, -1
                                        ; implicit-def: $vgpr6_vgpr7
.LBB62_2556:
	s_delay_alu instid0(SALU_CYCLE_1)
	s_and_not1_b32 vcc_lo, exec_lo, s0
	s_cbranch_vccnz .LBB62_2558
; %bb.2557:
	s_wait_loadcnt 0x0
	global_load_u8 v6, v[8:9], off
	s_mov_b32 s0, 0
	s_delay_alu instid0(SALU_CYCLE_1)
	v_mov_b32_e32 v7, s0
	s_wait_loadcnt 0x0
	v_and_b32_e32 v6, 0xffff, v6
.LBB62_2558:
	s_or_b32 s44, s44, exec_lo
.LBB62_2559:
	s_wait_xcnt 0x0
	s_or_b32 exec_lo, exec_lo, s31
	s_mov_b32 s35, 0
	s_mov_b32 s45, 0
	;; [unrolled: 1-line block ×3, first 2 shown]
                                        ; implicit-def: $sgpr0
                                        ; implicit-def: $vgpr8_vgpr9
                                        ; implicit-def: $vgpr10_vgpr11
	s_and_saveexec_b32 s31, s44
	s_cbranch_execz .LBB62_2567
; %bb.2560:
	v_mul_lo_u32 v8, v22, s3
	s_and_b32 s0, s29, 0xff
	s_delay_alu instid0(SALU_CYCLE_1) | instskip(NEXT) | instid1(VALU_DEP_1)
	s_cmp_lt_i32 s0, 11
	v_ashrrev_i32_e32 v9, 31, v8
	s_delay_alu instid0(VALU_DEP_1)
	v_add_nc_u64_e32 v[8:9], s[14:15], v[8:9]
	s_cbranch_scc1 .LBB62_2570
; %bb.2561:
	s_and_b32 s34, 0xffff, s0
	s_mov_b32 s44, 0
	s_cmp_gt_i32 s34, 25
	s_cbranch_scc0 .LBB62_2571
; %bb.2562:
	s_cmp_gt_i32 s34, 28
	s_cbranch_scc0 .LBB62_2572
; %bb.2563:
	;; [unrolled: 3-line block ×4, first 2 shown]
	s_cmp_eq_u32 s34, 46
	s_mov_b32 s46, 0
	s_cbranch_scc0 .LBB62_2575
; %bb.2566:
	s_wait_loadcnt 0x0
	global_load_b32 v10, v[8:9], off
	s_mov_b32 s45, -1
	s_wait_loadcnt 0x0
	v_lshlrev_b32_e32 v10, 16, v10
	s_delay_alu instid0(VALU_DEP_1) | instskip(NEXT) | instid1(VALU_DEP_1)
	v_trunc_f32_e32 v10, v10
	v_mul_f32_e64 v11, 0x2f800000, |v10|
	s_delay_alu instid0(VALU_DEP_1) | instskip(NEXT) | instid1(VALU_DEP_1)
	v_floor_f32_e32 v11, v11
	v_fma_f32 v12, 0xcf800000, v11, |v10|
	v_ashrrev_i32_e32 v10, 31, v10
	v_cvt_u32_f32_e32 v13, v11
	s_delay_alu instid0(VALU_DEP_3) | instskip(NEXT) | instid1(VALU_DEP_2)
	v_cvt_u32_f32_e32 v12, v12
	v_dual_mov_b32 v11, v10 :: v_dual_bitop2_b32 v13, v13, v10 bitop3:0x14
	s_delay_alu instid0(VALU_DEP_2) | instskip(NEXT) | instid1(VALU_DEP_1)
	v_xor_b32_e32 v12, v12, v10
	v_sub_nc_u64_e32 v[10:11], v[12:13], v[10:11]
	s_branch .LBB62_2577
.LBB62_2567:
	s_or_b32 exec_lo, exec_lo, s31
	s_and_saveexec_b32 s31, s67
	s_cbranch_execnz .LBB62_2636
.LBB62_2568:
	s_or_b32 exec_lo, exec_lo, s31
	s_and_saveexec_b32 s31, s35
	s_delay_alu instid0(SALU_CYCLE_1)
	s_xor_b32 s31, exec_lo, s31
	s_cbranch_execz .LBB62_2637
.LBB62_2569:
	s_wait_loadcnt 0x0
	global_load_u8 v10, v[8:9], off
	s_mov_b32 s35, 0
	s_or_b32 s34, s34, exec_lo
	v_mov_b32_e32 v11, s35
	s_wait_loadcnt 0x0
	v_cmp_ne_u16_e32 vcc_lo, 0, v10
	v_cndmask_b32_e64 v10, 0, 1, vcc_lo
	s_wait_xcnt 0x0
	s_or_b32 exec_lo, exec_lo, s31
	s_and_saveexec_b32 s31, s45
	s_cbranch_execz .LBB62_2683
	s_branch .LBB62_2638
.LBB62_2570:
	s_mov_b32 s46, -1
	s_mov_b32 s44, 0
	s_mov_b32 s35, s67
                                        ; implicit-def: $vgpr10_vgpr11
	s_branch .LBB62_2635
.LBB62_2571:
	s_mov_b32 s35, s67
                                        ; implicit-def: $vgpr10_vgpr11
	s_cbranch_execnz .LBB62_2604
	s_branch .LBB62_2634
.LBB62_2572:
	s_mov_b32 s46, -1
	s_mov_b32 s35, s67
                                        ; implicit-def: $vgpr10_vgpr11
	s_branch .LBB62_2587
.LBB62_2573:
	s_mov_b32 s46, -1
	s_mov_b32 s35, s67
                                        ; implicit-def: $vgpr10_vgpr11
	s_branch .LBB62_2582
.LBB62_2574:
	s_mov_b32 s46, -1
	s_mov_b32 s35, s67
	s_branch .LBB62_2576
.LBB62_2575:
	s_mov_b32 s35, -1
.LBB62_2576:
                                        ; implicit-def: $vgpr10_vgpr11
.LBB62_2577:
	s_and_b32 vcc_lo, exec_lo, s46
	s_cbranch_vccz .LBB62_2581
; %bb.2578:
	s_cmp_eq_u32 s34, 44
	s_cbranch_scc0 .LBB62_2580
; %bb.2579:
	global_load_u8 v14, v[8:9], off
	s_mov_b32 s35, 0
	s_mov_b32 s45, -1
	s_wait_loadcnt 0x0
	v_cmp_ne_u32_e32 vcc_lo, 0, v14
	v_lshlrev_b32_e32 v10, 23, v14
	s_delay_alu instid0(VALU_DEP_1) | instskip(NEXT) | instid1(VALU_DEP_1)
	v_trunc_f32_e32 v10, v10
	v_mul_f32_e64 v11, 0x2f800000, |v10|
	s_delay_alu instid0(VALU_DEP_1) | instskip(NEXT) | instid1(VALU_DEP_1)
	v_floor_f32_e32 v11, v11
	v_fma_f32 v12, 0xcf800000, v11, |v10|
	v_ashrrev_i32_e32 v10, 31, v10
	v_cvt_u32_f32_e32 v13, v11
	s_delay_alu instid0(VALU_DEP_3) | instskip(NEXT) | instid1(VALU_DEP_2)
	v_cvt_u32_f32_e32 v12, v12
	v_dual_mov_b32 v11, v10 :: v_dual_bitop2_b32 v13, v13, v10 bitop3:0x14
	s_delay_alu instid0(VALU_DEP_2) | instskip(NEXT) | instid1(VALU_DEP_1)
	v_xor_b32_e32 v12, v12, v10
	v_sub_nc_u64_e32 v[10:11], v[12:13], v[10:11]
	s_delay_alu instid0(VALU_DEP_1)
	v_dual_cndmask_b32 v11, 0, v11 :: v_dual_cndmask_b32 v10, 0, v10
	s_branch .LBB62_2581
.LBB62_2580:
	s_mov_b32 s35, -1
                                        ; implicit-def: $vgpr10_vgpr11
.LBB62_2581:
	s_mov_b32 s46, 0
.LBB62_2582:
	s_delay_alu instid0(SALU_CYCLE_1)
	s_and_b32 vcc_lo, exec_lo, s46
	s_cbranch_vccz .LBB62_2586
; %bb.2583:
	s_cmp_eq_u32 s34, 29
	s_cbranch_scc0 .LBB62_2585
; %bb.2584:
	s_wait_loadcnt 0x0
	global_load_b64 v[10:11], v[8:9], off
	s_mov_b32 s35, 0
	s_mov_b32 s45, -1
	s_branch .LBB62_2586
.LBB62_2585:
	s_mov_b32 s35, -1
                                        ; implicit-def: $vgpr10_vgpr11
.LBB62_2586:
	s_mov_b32 s46, 0
.LBB62_2587:
	s_delay_alu instid0(SALU_CYCLE_1)
	s_and_b32 vcc_lo, exec_lo, s46
	s_cbranch_vccz .LBB62_2603
; %bb.2588:
	s_cmp_lt_i32 s34, 27
	s_cbranch_scc1 .LBB62_2591
; %bb.2589:
	s_cmp_gt_i32 s34, 27
	s_cbranch_scc0 .LBB62_2592
; %bb.2590:
	s_wait_loadcnt 0x0
	global_load_b32 v10, v[8:9], off
	v_mov_b32_e32 v11, 0
	s_mov_b32 s45, 0
	s_branch .LBB62_2593
.LBB62_2591:
	s_mov_b32 s45, -1
                                        ; implicit-def: $vgpr10_vgpr11
	s_branch .LBB62_2596
.LBB62_2592:
	s_mov_b32 s45, -1
                                        ; implicit-def: $vgpr10_vgpr11
.LBB62_2593:
	s_delay_alu instid0(SALU_CYCLE_1)
	s_and_not1_b32 vcc_lo, exec_lo, s45
	s_cbranch_vccnz .LBB62_2595
; %bb.2594:
	s_wait_loadcnt 0x0
	global_load_u16 v10, v[8:9], off
	s_mov_b32 s45, 0
	s_delay_alu instid0(SALU_CYCLE_1)
	v_mov_b32_e32 v11, s45
	s_wait_loadcnt 0x0
	v_and_b32_e32 v10, 0xffff, v10
.LBB62_2595:
	s_mov_b32 s45, 0
.LBB62_2596:
	s_delay_alu instid0(SALU_CYCLE_1)
	s_and_not1_b32 vcc_lo, exec_lo, s45
	s_cbranch_vccnz .LBB62_2602
; %bb.2597:
	global_load_u8 v12, v[8:9], off
	s_mov_b32 s46, 0
	s_mov_b32 s45, exec_lo
	s_wait_loadcnt 0x0
	v_cmpx_lt_i16_e32 0x7f, v12
	s_xor_b32 s45, exec_lo, s45
	s_cbranch_execz .LBB62_2613
; %bb.2598:
	v_cmp_ne_u16_e32 vcc_lo, 0x80, v12
	s_and_b32 s46, vcc_lo, exec_lo
	s_and_not1_saveexec_b32 s45, s45
	s_cbranch_execnz .LBB62_2614
.LBB62_2599:
	s_or_b32 exec_lo, exec_lo, s45
	v_mov_b64_e32 v[10:11], 0
	s_and_saveexec_b32 s45, s46
	s_cbranch_execz .LBB62_2601
.LBB62_2600:
	v_and_b32_e32 v10, 0xffff, v12
	s_delay_alu instid0(VALU_DEP_1) | instskip(SKIP_1) | instid1(VALU_DEP_2)
	v_and_b32_e32 v11, 7, v10
	v_bfe_u32 v15, v10, 3, 4
	v_clz_i32_u32_e32 v13, v11
	s_delay_alu instid0(VALU_DEP_2) | instskip(NEXT) | instid1(VALU_DEP_2)
	v_cmp_eq_u32_e32 vcc_lo, 0, v15
	v_min_u32_e32 v13, 32, v13
	s_delay_alu instid0(VALU_DEP_1) | instskip(NEXT) | instid1(VALU_DEP_1)
	v_subrev_nc_u32_e32 v14, 28, v13
	v_dual_lshlrev_b32 v10, v14, v10 :: v_dual_sub_nc_u32 v13, 29, v13
	s_delay_alu instid0(VALU_DEP_1) | instskip(NEXT) | instid1(VALU_DEP_2)
	v_dual_lshlrev_b32 v12, 24, v12 :: v_dual_bitop2_b32 v10, 7, v10 bitop3:0x40
	v_cndmask_b32_e32 v13, v15, v13, vcc_lo
	s_delay_alu instid0(VALU_DEP_2) | instskip(NEXT) | instid1(VALU_DEP_3)
	v_cndmask_b32_e32 v10, v11, v10, vcc_lo
	v_and_b32_e32 v11, 0x80000000, v12
	s_delay_alu instid0(VALU_DEP_3) | instskip(NEXT) | instid1(VALU_DEP_3)
	v_lshl_add_u32 v12, v13, 23, 0x3b800000
	v_lshlrev_b32_e32 v10, 20, v10
	s_delay_alu instid0(VALU_DEP_1) | instskip(NEXT) | instid1(VALU_DEP_1)
	v_or3_b32 v10, v11, v12, v10
	v_trunc_f32_e32 v10, v10
	s_delay_alu instid0(VALU_DEP_1) | instskip(NEXT) | instid1(VALU_DEP_1)
	v_mul_f32_e64 v11, 0x2f800000, |v10|
	v_floor_f32_e32 v11, v11
	s_delay_alu instid0(VALU_DEP_1) | instskip(SKIP_2) | instid1(VALU_DEP_3)
	v_fma_f32 v12, 0xcf800000, v11, |v10|
	v_ashrrev_i32_e32 v10, 31, v10
	v_cvt_u32_f32_e32 v13, v11
	v_cvt_u32_f32_e32 v12, v12
	s_delay_alu instid0(VALU_DEP_2) | instskip(NEXT) | instid1(VALU_DEP_2)
	v_dual_mov_b32 v11, v10 :: v_dual_bitop2_b32 v13, v13, v10 bitop3:0x14
	v_xor_b32_e32 v12, v12, v10
	s_delay_alu instid0(VALU_DEP_1)
	v_sub_nc_u64_e32 v[10:11], v[12:13], v[10:11]
.LBB62_2601:
	s_or_b32 exec_lo, exec_lo, s45
.LBB62_2602:
	s_mov_b32 s45, -1
.LBB62_2603:
	s_branch .LBB62_2634
.LBB62_2604:
	s_cmp_gt_i32 s34, 22
	s_cbranch_scc0 .LBB62_2612
; %bb.2605:
	s_cmp_lt_i32 s34, 24
	s_cbranch_scc1 .LBB62_2615
; %bb.2606:
	s_cmp_gt_i32 s34, 24
	s_cbranch_scc0 .LBB62_2616
; %bb.2607:
	global_load_u8 v12, v[8:9], off
	s_mov_b32 s45, 0
	s_mov_b32 s44, exec_lo
	s_wait_loadcnt 0x0
	v_cmpx_lt_i16_e32 0x7f, v12
	s_xor_b32 s44, exec_lo, s44
	s_cbranch_execz .LBB62_2628
; %bb.2608:
	v_cmp_ne_u16_e32 vcc_lo, 0x80, v12
	s_and_b32 s45, vcc_lo, exec_lo
	s_and_not1_saveexec_b32 s44, s44
	s_cbranch_execnz .LBB62_2629
.LBB62_2609:
	s_or_b32 exec_lo, exec_lo, s44
	v_mov_b64_e32 v[10:11], 0
	s_and_saveexec_b32 s44, s45
	s_cbranch_execz .LBB62_2611
.LBB62_2610:
	v_and_b32_e32 v10, 0xffff, v12
	s_delay_alu instid0(VALU_DEP_1) | instskip(SKIP_1) | instid1(VALU_DEP_2)
	v_and_b32_e32 v11, 3, v10
	v_bfe_u32 v15, v10, 2, 5
	v_clz_i32_u32_e32 v13, v11
	s_delay_alu instid0(VALU_DEP_2) | instskip(NEXT) | instid1(VALU_DEP_2)
	v_cmp_eq_u32_e32 vcc_lo, 0, v15
	v_min_u32_e32 v13, 32, v13
	s_delay_alu instid0(VALU_DEP_1) | instskip(NEXT) | instid1(VALU_DEP_1)
	v_subrev_nc_u32_e32 v14, 29, v13
	v_dual_lshlrev_b32 v10, v14, v10 :: v_dual_sub_nc_u32 v13, 30, v13
	s_delay_alu instid0(VALU_DEP_1) | instskip(NEXT) | instid1(VALU_DEP_2)
	v_dual_lshlrev_b32 v12, 24, v12 :: v_dual_bitop2_b32 v10, 3, v10 bitop3:0x40
	v_cndmask_b32_e32 v13, v15, v13, vcc_lo
	s_delay_alu instid0(VALU_DEP_2) | instskip(NEXT) | instid1(VALU_DEP_3)
	v_cndmask_b32_e32 v10, v11, v10, vcc_lo
	v_and_b32_e32 v11, 0x80000000, v12
	s_delay_alu instid0(VALU_DEP_3) | instskip(NEXT) | instid1(VALU_DEP_3)
	v_lshl_add_u32 v12, v13, 23, 0x37800000
	v_lshlrev_b32_e32 v10, 21, v10
	s_delay_alu instid0(VALU_DEP_1) | instskip(NEXT) | instid1(VALU_DEP_1)
	v_or3_b32 v10, v11, v12, v10
	v_trunc_f32_e32 v10, v10
	s_delay_alu instid0(VALU_DEP_1) | instskip(NEXT) | instid1(VALU_DEP_1)
	v_mul_f32_e64 v11, 0x2f800000, |v10|
	v_floor_f32_e32 v11, v11
	s_delay_alu instid0(VALU_DEP_1) | instskip(SKIP_2) | instid1(VALU_DEP_3)
	v_fma_f32 v12, 0xcf800000, v11, |v10|
	v_ashrrev_i32_e32 v10, 31, v10
	v_cvt_u32_f32_e32 v13, v11
	v_cvt_u32_f32_e32 v12, v12
	s_delay_alu instid0(VALU_DEP_2) | instskip(NEXT) | instid1(VALU_DEP_2)
	v_dual_mov_b32 v11, v10 :: v_dual_bitop2_b32 v13, v13, v10 bitop3:0x14
	v_xor_b32_e32 v12, v12, v10
	s_delay_alu instid0(VALU_DEP_1)
	v_sub_nc_u64_e32 v[10:11], v[12:13], v[10:11]
.LBB62_2611:
	s_or_b32 exec_lo, exec_lo, s44
	s_mov_b32 s44, 0
	s_branch .LBB62_2617
.LBB62_2612:
	s_mov_b32 s44, -1
                                        ; implicit-def: $vgpr10_vgpr11
	s_branch .LBB62_2623
.LBB62_2613:
	s_and_not1_saveexec_b32 s45, s45
	s_cbranch_execz .LBB62_2599
.LBB62_2614:
	v_cmp_ne_u16_e32 vcc_lo, 0, v12
	s_and_not1_b32 s46, s46, exec_lo
	s_and_b32 s47, vcc_lo, exec_lo
	s_delay_alu instid0(SALU_CYCLE_1)
	s_or_b32 s46, s46, s47
	s_or_b32 exec_lo, exec_lo, s45
	v_mov_b64_e32 v[10:11], 0
	s_and_saveexec_b32 s45, s46
	s_cbranch_execnz .LBB62_2600
	s_branch .LBB62_2601
.LBB62_2615:
	s_mov_b32 s44, -1
                                        ; implicit-def: $vgpr10_vgpr11
	s_branch .LBB62_2620
.LBB62_2616:
	s_mov_b32 s44, -1
                                        ; implicit-def: $vgpr10_vgpr11
.LBB62_2617:
	s_delay_alu instid0(SALU_CYCLE_1)
	s_and_b32 vcc_lo, exec_lo, s44
	s_cbranch_vccz .LBB62_2619
; %bb.2618:
	s_wait_loadcnt 0x0
	global_load_u8 v10, v[8:9], off
	s_wait_loadcnt 0x0
	v_lshlrev_b32_e32 v10, 24, v10
	s_delay_alu instid0(VALU_DEP_1) | instskip(NEXT) | instid1(VALU_DEP_1)
	v_and_b32_e32 v11, 0x7f000000, v10
	v_clz_i32_u32_e32 v12, v11
	v_cmp_ne_u32_e32 vcc_lo, 0, v11
	v_add_nc_u32_e32 v14, 0x1000000, v11
	s_delay_alu instid0(VALU_DEP_3) | instskip(NEXT) | instid1(VALU_DEP_1)
	v_min_u32_e32 v12, 32, v12
	v_sub_nc_u32_e64 v12, v12, 4 clamp
	s_delay_alu instid0(VALU_DEP_1) | instskip(NEXT) | instid1(VALU_DEP_1)
	v_dual_lshlrev_b32 v13, v12, v11 :: v_dual_lshlrev_b32 v12, 23, v12
	v_lshrrev_b32_e32 v13, 4, v13
	s_delay_alu instid0(VALU_DEP_1) | instskip(NEXT) | instid1(VALU_DEP_1)
	v_dual_sub_nc_u32 v12, v13, v12 :: v_dual_ashrrev_i32 v13, 8, v14
	v_add_nc_u32_e32 v12, 0x3c000000, v12
	s_delay_alu instid0(VALU_DEP_1) | instskip(NEXT) | instid1(VALU_DEP_1)
	v_and_or_b32 v12, 0x7f800000, v13, v12
	v_cndmask_b32_e32 v11, 0, v12, vcc_lo
	s_delay_alu instid0(VALU_DEP_1) | instskip(NEXT) | instid1(VALU_DEP_1)
	v_and_or_b32 v10, 0x80000000, v10, v11
	v_trunc_f32_e32 v10, v10
	s_delay_alu instid0(VALU_DEP_1) | instskip(NEXT) | instid1(VALU_DEP_1)
	v_mul_f32_e64 v11, 0x2f800000, |v10|
	v_floor_f32_e32 v11, v11
	s_delay_alu instid0(VALU_DEP_1) | instskip(SKIP_2) | instid1(VALU_DEP_3)
	v_fma_f32 v12, 0xcf800000, v11, |v10|
	v_ashrrev_i32_e32 v10, 31, v10
	v_cvt_u32_f32_e32 v13, v11
	v_cvt_u32_f32_e32 v12, v12
	s_delay_alu instid0(VALU_DEP_2) | instskip(NEXT) | instid1(VALU_DEP_2)
	v_dual_mov_b32 v11, v10 :: v_dual_bitop2_b32 v13, v13, v10 bitop3:0x14
	v_xor_b32_e32 v12, v12, v10
	s_delay_alu instid0(VALU_DEP_1)
	v_sub_nc_u64_e32 v[10:11], v[12:13], v[10:11]
.LBB62_2619:
	s_mov_b32 s44, 0
.LBB62_2620:
	s_delay_alu instid0(SALU_CYCLE_1)
	s_and_not1_b32 vcc_lo, exec_lo, s44
	s_cbranch_vccnz .LBB62_2622
; %bb.2621:
	s_wait_loadcnt 0x0
	global_load_u8 v10, v[8:9], off
	s_wait_loadcnt 0x0
	v_lshlrev_b32_e32 v11, 25, v10
	v_lshlrev_b16 v10, 8, v10
	s_delay_alu instid0(VALU_DEP_1) | instskip(SKIP_1) | instid1(VALU_DEP_2)
	v_and_or_b32 v13, 0x7f00, v10, 0.5
	v_bfe_i32 v10, v10, 0, 16
	v_dual_add_f32 v13, -0.5, v13 :: v_dual_lshrrev_b32 v12, 4, v11
	v_cmp_gt_u32_e32 vcc_lo, 0x8000000, v11
	s_delay_alu instid0(VALU_DEP_2) | instskip(NEXT) | instid1(VALU_DEP_1)
	v_or_b32_e32 v12, 0x70000000, v12
	v_mul_f32_e32 v12, 0x7800000, v12
	s_delay_alu instid0(VALU_DEP_1) | instskip(NEXT) | instid1(VALU_DEP_1)
	v_cndmask_b32_e32 v11, v12, v13, vcc_lo
	v_and_or_b32 v10, 0x80000000, v10, v11
	s_delay_alu instid0(VALU_DEP_1) | instskip(NEXT) | instid1(VALU_DEP_1)
	v_trunc_f32_e32 v10, v10
	v_mul_f32_e64 v11, 0x2f800000, |v10|
	s_delay_alu instid0(VALU_DEP_1) | instskip(NEXT) | instid1(VALU_DEP_1)
	v_floor_f32_e32 v11, v11
	v_fma_f32 v12, 0xcf800000, v11, |v10|
	v_ashrrev_i32_e32 v10, 31, v10
	v_cvt_u32_f32_e32 v13, v11
	s_delay_alu instid0(VALU_DEP_3) | instskip(NEXT) | instid1(VALU_DEP_2)
	v_cvt_u32_f32_e32 v12, v12
	v_dual_mov_b32 v11, v10 :: v_dual_bitop2_b32 v13, v13, v10 bitop3:0x14
	s_delay_alu instid0(VALU_DEP_2) | instskip(NEXT) | instid1(VALU_DEP_1)
	v_xor_b32_e32 v12, v12, v10
	v_sub_nc_u64_e32 v[10:11], v[12:13], v[10:11]
.LBB62_2622:
	s_mov_b32 s44, 0
	s_mov_b32 s45, -1
.LBB62_2623:
	s_and_not1_b32 vcc_lo, exec_lo, s44
	s_mov_b32 s44, 0
	s_cbranch_vccnz .LBB62_2634
; %bb.2624:
	s_cmp_gt_i32 s34, 14
	s_cbranch_scc0 .LBB62_2627
; %bb.2625:
	s_cmp_eq_u32 s34, 15
	s_cbranch_scc0 .LBB62_2630
; %bb.2626:
	s_wait_loadcnt 0x0
	global_load_u16 v10, v[8:9], off
	s_mov_b32 s35, 0
	s_mov_b32 s45, -1
	s_wait_loadcnt 0x0
	v_lshlrev_b32_e32 v10, 16, v10
	s_delay_alu instid0(VALU_DEP_1) | instskip(NEXT) | instid1(VALU_DEP_1)
	v_trunc_f32_e32 v10, v10
	v_mul_f32_e64 v11, 0x2f800000, |v10|
	s_delay_alu instid0(VALU_DEP_1) | instskip(NEXT) | instid1(VALU_DEP_1)
	v_floor_f32_e32 v11, v11
	v_fma_f32 v12, 0xcf800000, v11, |v10|
	v_ashrrev_i32_e32 v10, 31, v10
	v_cvt_u32_f32_e32 v13, v11
	s_delay_alu instid0(VALU_DEP_3) | instskip(NEXT) | instid1(VALU_DEP_2)
	v_cvt_u32_f32_e32 v12, v12
	v_dual_mov_b32 v11, v10 :: v_dual_bitop2_b32 v13, v13, v10 bitop3:0x14
	s_delay_alu instid0(VALU_DEP_2) | instskip(NEXT) | instid1(VALU_DEP_1)
	v_xor_b32_e32 v12, v12, v10
	v_sub_nc_u64_e32 v[10:11], v[12:13], v[10:11]
	s_branch .LBB62_2632
.LBB62_2627:
	s_mov_b32 s44, -1
	s_branch .LBB62_2631
.LBB62_2628:
	s_and_not1_saveexec_b32 s44, s44
	s_cbranch_execz .LBB62_2609
.LBB62_2629:
	v_cmp_ne_u16_e32 vcc_lo, 0, v12
	s_and_not1_b32 s45, s45, exec_lo
	s_and_b32 s46, vcc_lo, exec_lo
	s_delay_alu instid0(SALU_CYCLE_1)
	s_or_b32 s45, s45, s46
	s_or_b32 exec_lo, exec_lo, s44
	v_mov_b64_e32 v[10:11], 0
	s_and_saveexec_b32 s44, s45
	s_cbranch_execnz .LBB62_2610
	s_branch .LBB62_2611
.LBB62_2630:
	s_mov_b32 s35, -1
.LBB62_2631:
                                        ; implicit-def: $vgpr10_vgpr11
.LBB62_2632:
	s_and_b32 vcc_lo, exec_lo, s44
	s_mov_b32 s44, 0
	s_cbranch_vccz .LBB62_2634
; %bb.2633:
	s_cmp_lg_u32 s34, 11
	s_mov_b32 s44, -1
	s_cselect_b32 s34, -1, 0
	s_and_not1_b32 s35, s35, exec_lo
	s_and_b32 s34, s34, exec_lo
	s_delay_alu instid0(SALU_CYCLE_1)
	s_or_b32 s35, s35, s34
.LBB62_2634:
	s_mov_b32 s46, 0
.LBB62_2635:
	s_and_b32 s34, s45, exec_lo
	s_and_b32 s45, s46, exec_lo
	s_and_not1_b32 s46, s67, exec_lo
	s_and_b32 s47, s35, exec_lo
	s_and_b32 s35, s44, exec_lo
	s_or_b32 s67, s46, s47
	s_wait_xcnt 0x0
	s_or_b32 exec_lo, exec_lo, s31
	s_and_saveexec_b32 s31, s67
	s_cbranch_execz .LBB62_2568
.LBB62_2636:
	s_or_b32 s1, s1, exec_lo
	s_and_not1_b32 s35, s35, exec_lo
	s_trap 2
	s_or_b32 exec_lo, exec_lo, s31
	s_and_saveexec_b32 s31, s35
	s_delay_alu instid0(SALU_CYCLE_1)
	s_xor_b32 s31, exec_lo, s31
	s_cbranch_execnz .LBB62_2569
.LBB62_2637:
	s_or_b32 exec_lo, exec_lo, s31
	s_and_saveexec_b32 s31, s45
	s_cbranch_execz .LBB62_2683
.LBB62_2638:
	s_sext_i32_i16 s35, s0
	s_delay_alu instid0(SALU_CYCLE_1)
	s_cmp_lt_i32 s35, 5
	s_cbranch_scc1 .LBB62_2643
; %bb.2639:
	s_cmp_lt_i32 s35, 8
	s_cbranch_scc1 .LBB62_2644
; %bb.2640:
	;; [unrolled: 3-line block ×3, first 2 shown]
	s_cmp_gt_i32 s35, 9
	s_cbranch_scc0 .LBB62_2646
; %bb.2642:
	s_wait_loadcnt 0x0
	global_load_b64 v[10:11], v[8:9], off
	s_mov_b32 s35, 0
	s_wait_loadcnt 0x0
	v_trunc_f64_e32 v[10:11], v[10:11]
	s_delay_alu instid0(VALU_DEP_1) | instskip(NEXT) | instid1(VALU_DEP_1)
	v_ldexp_f64 v[12:13], v[10:11], 0xffffffe0
	v_floor_f64_e32 v[12:13], v[12:13]
	s_delay_alu instid0(VALU_DEP_1) | instskip(SKIP_1) | instid1(VALU_DEP_2)
	v_fmamk_f64 v[14:15], v[12:13], 0xc1f00000, v[10:11]
	v_cvt_i32_f64_e32 v11, v[12:13]
	v_cvt_u32_f64_e32 v10, v[14:15]
	s_branch .LBB62_2647
.LBB62_2643:
                                        ; implicit-def: $vgpr10_vgpr11
	s_branch .LBB62_2664
.LBB62_2644:
                                        ; implicit-def: $vgpr10_vgpr11
	s_branch .LBB62_2653
.LBB62_2645:
	s_mov_b32 s35, -1
                                        ; implicit-def: $vgpr10_vgpr11
	s_branch .LBB62_2650
.LBB62_2646:
	s_mov_b32 s35, -1
                                        ; implicit-def: $vgpr10_vgpr11
.LBB62_2647:
	s_delay_alu instid0(SALU_CYCLE_1)
	s_and_not1_b32 vcc_lo, exec_lo, s35
	s_cbranch_vccnz .LBB62_2649
; %bb.2648:
	s_wait_loadcnt 0x0
	global_load_b32 v10, v[8:9], off
	s_wait_loadcnt 0x0
	v_trunc_f32_e32 v10, v10
	s_delay_alu instid0(VALU_DEP_1) | instskip(NEXT) | instid1(VALU_DEP_1)
	v_mul_f32_e64 v11, 0x2f800000, |v10|
	v_floor_f32_e32 v11, v11
	s_delay_alu instid0(VALU_DEP_1) | instskip(SKIP_2) | instid1(VALU_DEP_3)
	v_fma_f32 v12, 0xcf800000, v11, |v10|
	v_ashrrev_i32_e32 v10, 31, v10
	v_cvt_u32_f32_e32 v13, v11
	v_cvt_u32_f32_e32 v12, v12
	s_delay_alu instid0(VALU_DEP_2) | instskip(NEXT) | instid1(VALU_DEP_2)
	v_dual_mov_b32 v11, v10 :: v_dual_bitop2_b32 v13, v13, v10 bitop3:0x14
	v_xor_b32_e32 v12, v12, v10
	s_delay_alu instid0(VALU_DEP_1)
	v_sub_nc_u64_e32 v[10:11], v[12:13], v[10:11]
.LBB62_2649:
	s_mov_b32 s35, 0
.LBB62_2650:
	s_delay_alu instid0(SALU_CYCLE_1)
	s_and_not1_b32 vcc_lo, exec_lo, s35
	s_cbranch_vccnz .LBB62_2652
; %bb.2651:
	s_wait_loadcnt 0x0
	global_load_b32 v10, v[8:9], off
	s_wait_loadcnt 0x0
	v_cvt_f32_f16_e32 v10, v10
	s_delay_alu instid0(VALU_DEP_1) | instskip(NEXT) | instid1(VALU_DEP_1)
	v_cvt_i32_f32_e32 v10, v10
	v_ashrrev_i32_e32 v11, 31, v10
.LBB62_2652:
	s_cbranch_execnz .LBB62_2663
.LBB62_2653:
	s_sext_i32_i16 s35, s0
	s_delay_alu instid0(SALU_CYCLE_1)
	s_cmp_lt_i32 s35, 6
	s_cbranch_scc1 .LBB62_2656
; %bb.2654:
	s_cmp_gt_i32 s35, 6
	s_cbranch_scc0 .LBB62_2657
; %bb.2655:
	s_wait_loadcnt 0x0
	global_load_b64 v[10:11], v[8:9], off
	s_mov_b32 s35, 0
	s_wait_loadcnt 0x0
	v_trunc_f64_e32 v[10:11], v[10:11]
	s_delay_alu instid0(VALU_DEP_1) | instskip(NEXT) | instid1(VALU_DEP_1)
	v_ldexp_f64 v[12:13], v[10:11], 0xffffffe0
	v_floor_f64_e32 v[12:13], v[12:13]
	s_delay_alu instid0(VALU_DEP_1) | instskip(SKIP_1) | instid1(VALU_DEP_2)
	v_fmamk_f64 v[14:15], v[12:13], 0xc1f00000, v[10:11]
	v_cvt_i32_f64_e32 v11, v[12:13]
	v_cvt_u32_f64_e32 v10, v[14:15]
	s_branch .LBB62_2658
.LBB62_2656:
	s_mov_b32 s35, -1
                                        ; implicit-def: $vgpr10_vgpr11
	s_branch .LBB62_2661
.LBB62_2657:
	s_mov_b32 s35, -1
                                        ; implicit-def: $vgpr10_vgpr11
.LBB62_2658:
	s_delay_alu instid0(SALU_CYCLE_1)
	s_and_not1_b32 vcc_lo, exec_lo, s35
	s_cbranch_vccnz .LBB62_2660
; %bb.2659:
	s_wait_loadcnt 0x0
	global_load_b32 v10, v[8:9], off
	s_wait_loadcnt 0x0
	v_trunc_f32_e32 v10, v10
	s_delay_alu instid0(VALU_DEP_1) | instskip(NEXT) | instid1(VALU_DEP_1)
	v_mul_f32_e64 v11, 0x2f800000, |v10|
	v_floor_f32_e32 v11, v11
	s_delay_alu instid0(VALU_DEP_1) | instskip(SKIP_2) | instid1(VALU_DEP_3)
	v_fma_f32 v12, 0xcf800000, v11, |v10|
	v_ashrrev_i32_e32 v10, 31, v10
	v_cvt_u32_f32_e32 v13, v11
	v_cvt_u32_f32_e32 v12, v12
	s_delay_alu instid0(VALU_DEP_2) | instskip(NEXT) | instid1(VALU_DEP_2)
	v_dual_mov_b32 v11, v10 :: v_dual_bitop2_b32 v13, v13, v10 bitop3:0x14
	v_xor_b32_e32 v12, v12, v10
	s_delay_alu instid0(VALU_DEP_1)
	v_sub_nc_u64_e32 v[10:11], v[12:13], v[10:11]
.LBB62_2660:
	s_mov_b32 s35, 0
.LBB62_2661:
	s_delay_alu instid0(SALU_CYCLE_1)
	s_and_not1_b32 vcc_lo, exec_lo, s35
	s_cbranch_vccnz .LBB62_2663
; %bb.2662:
	s_wait_loadcnt 0x0
	global_load_u16 v10, v[8:9], off
	s_wait_loadcnt 0x0
	v_cvt_f32_f16_e32 v10, v10
	s_delay_alu instid0(VALU_DEP_1) | instskip(NEXT) | instid1(VALU_DEP_1)
	v_cvt_i32_f32_e32 v10, v10
	v_ashrrev_i32_e32 v11, 31, v10
.LBB62_2663:
	s_cbranch_execnz .LBB62_2682
.LBB62_2664:
	s_sext_i32_i16 s35, s0
	s_delay_alu instid0(SALU_CYCLE_1)
	s_cmp_lt_i32 s35, 2
	s_cbranch_scc1 .LBB62_2668
; %bb.2665:
	s_cmp_lt_i32 s35, 3
	s_cbranch_scc1 .LBB62_2669
; %bb.2666:
	s_cmp_gt_i32 s35, 3
	s_cbranch_scc0 .LBB62_2670
; %bb.2667:
	s_wait_loadcnt 0x0
	global_load_b64 v[10:11], v[8:9], off
	s_mov_b32 s35, 0
	s_branch .LBB62_2671
.LBB62_2668:
                                        ; implicit-def: $vgpr10_vgpr11
	s_branch .LBB62_2677
.LBB62_2669:
	s_mov_b32 s35, -1
                                        ; implicit-def: $vgpr10_vgpr11
	s_branch .LBB62_2674
.LBB62_2670:
	s_mov_b32 s35, -1
                                        ; implicit-def: $vgpr10_vgpr11
.LBB62_2671:
	s_delay_alu instid0(SALU_CYCLE_1)
	s_and_not1_b32 vcc_lo, exec_lo, s35
	s_cbranch_vccnz .LBB62_2673
; %bb.2672:
	s_wait_loadcnt 0x0
	global_load_b32 v10, v[8:9], off
	s_wait_loadcnt 0x0
	v_ashrrev_i32_e32 v11, 31, v10
.LBB62_2673:
	s_mov_b32 s35, 0
.LBB62_2674:
	s_delay_alu instid0(SALU_CYCLE_1)
	s_and_not1_b32 vcc_lo, exec_lo, s35
	s_cbranch_vccnz .LBB62_2676
; %bb.2675:
	s_wait_loadcnt 0x0
	global_load_u16 v10, v[8:9], off
	s_wait_loadcnt 0x0
	v_bfe_i32 v10, v10, 0, 16
	s_delay_alu instid0(VALU_DEP_1)
	v_ashrrev_i32_e32 v11, 31, v10
.LBB62_2676:
	s_cbranch_execnz .LBB62_2682
.LBB62_2677:
	s_sext_i32_i16 s0, s0
	s_delay_alu instid0(SALU_CYCLE_1)
	s_cmp_gt_i32 s0, 0
	s_mov_b32 s0, 0
	s_cbranch_scc0 .LBB62_2679
; %bb.2678:
	s_wait_loadcnt 0x0
	global_load_i8 v10, v[8:9], off
	s_wait_loadcnt 0x0
	v_bfe_i32 v10, v10, 0, 16
	s_delay_alu instid0(VALU_DEP_1)
	v_ashrrev_i32_e32 v11, 31, v10
	s_branch .LBB62_2680
.LBB62_2679:
	s_mov_b32 s0, -1
                                        ; implicit-def: $vgpr10_vgpr11
.LBB62_2680:
	s_delay_alu instid0(SALU_CYCLE_1)
	s_and_not1_b32 vcc_lo, exec_lo, s0
	s_cbranch_vccnz .LBB62_2682
; %bb.2681:
	global_load_u8 v8, v[8:9], off
	s_mov_b32 s0, 0
	s_wait_loadcnt 0x1
	v_mov_b32_e32 v11, s0
	s_wait_loadcnt 0x0
	v_and_b32_e32 v10, 0xffff, v8
.LBB62_2682:
	s_or_b32 s34, s34, exec_lo
.LBB62_2683:
	s_wait_xcnt 0x0
	s_or_b32 exec_lo, exec_lo, s31
	s_mov_b32 s0, 0
	s_and_saveexec_b32 s31, s34
	s_delay_alu instid0(SALU_CYCLE_1)
	s_xor_b32 s31, exec_lo, s31
	s_cbranch_execz .LBB62_2685
; %bb.2684:
	s_wait_loadcnt 0x0
	v_cmp_ne_u64_e32 vcc_lo, s[36:37], v[0:1]
	s_xor_b32 s34, s60, -1
	s_and_not1_b32 s35, s66, exec_lo
	s_mov_b32 s0, exec_lo
	s_or_b32 s34, s34, vcc_lo
	s_delay_alu instid0(SALU_CYCLE_1) | instskip(NEXT) | instid1(SALU_CYCLE_1)
	s_and_b32 s34, s34, exec_lo
	s_or_b32 s66, s35, s34
.LBB62_2685:
	s_or_b32 exec_lo, exec_lo, s31
	s_and_saveexec_b32 s31, s66
	s_cbranch_execnz .LBB62_2722
.LBB62_2686:
	s_or_b32 exec_lo, exec_lo, s31
	s_mov_b32 s34, 0
	s_and_saveexec_b32 s31, s0
	s_delay_alu instid0(SALU_CYCLE_1)
	s_xor_b32 s0, exec_lo, s31
	s_cbranch_execz .LBB62_2688
; %bb.2687:
	s_wait_loadcnt 0x0
	v_cmp_ne_u64_e32 vcc_lo, s[40:41], v[2:3]
	s_xor_b32 s31, s59, -1
	s_and_not1_b32 s35, s65, exec_lo
	s_mov_b32 s34, exec_lo
	s_or_b32 s31, s31, vcc_lo
	s_delay_alu instid0(SALU_CYCLE_1) | instskip(NEXT) | instid1(SALU_CYCLE_1)
	s_and_b32 s31, s31, exec_lo
	s_or_b32 s65, s35, s31
.LBB62_2688:
	s_or_b32 exec_lo, exec_lo, s0
	s_and_saveexec_b32 s0, s65
	s_cbranch_execnz .LBB62_2723
.LBB62_2689:
	s_or_b32 exec_lo, exec_lo, s0
	s_mov_b32 s31, 0
	s_and_saveexec_b32 s0, s34
	s_delay_alu instid0(SALU_CYCLE_1)
	s_xor_b32 s34, exec_lo, s0
	s_cbranch_execz .LBB62_2701
; %bb.2690:
	s_wait_loadcnt 0x0
	v_sub_nc_u64_e32 v[0:1], v[6:7], v[4:5]
	s_and_not1_b32 s35, s64, exec_lo
	s_mov_b32 s31, exec_lo
	s_delay_alu instid0(VALU_DEP_1) | instskip(SKIP_2) | instid1(SALU_CYCLE_1)
	v_cmp_le_i64_e32 vcc_lo, s[36:37], v[0:1]
	v_cmp_ge_i64_e64 s0, s[38:39], v[0:1]
	s_and_b32 s0, vcc_lo, s0
	s_and_b32 s0, s58, s0
	s_delay_alu instid0(SALU_CYCLE_1) | instskip(NEXT) | instid1(SALU_CYCLE_1)
	s_xor_b32 s0, s0, -1
	s_and_b32 s0, s0, exec_lo
	s_delay_alu instid0(SALU_CYCLE_1)
	s_or_b32 s64, s35, s0
	s_or_b32 exec_lo, exec_lo, s34
	s_and_saveexec_b32 s0, s64
	s_cbranch_execz .LBB62_2702
.LBB62_2691:
	s_or_b32 s1, s1, exec_lo
	s_and_not1_b32 s31, s31, exec_lo
	s_trap 2
	s_or_b32 exec_lo, exec_lo, s0
	s_mov_b32 s35, 0
	s_and_saveexec_b32 s58, s31
	s_cbranch_execnz .LBB62_2703
.LBB62_2692:
	s_or_b32 exec_lo, exec_lo, s58
	s_and_saveexec_b32 s0, s63
	s_cbranch_execnz .LBB62_2721
.LBB62_2693:
	s_or_b32 exec_lo, exec_lo, s0
	s_mov_b32 s31, 0
	s_mov_b32 s34, 0
                                        ; implicit-def: $sgpr0
                                        ; implicit-def: $vgpr0_vgpr1
	s_and_saveexec_b32 s30, s35
	s_cbranch_execz .LBB62_2710
; %bb.2694:
	s_wait_loadcnt 0x0
	v_mul_lo_u32 v0, v22, s16
	s_and_b32 s0, s26, 0xff
	s_delay_alu instid0(SALU_CYCLE_1) | instskip(NEXT) | instid1(VALU_DEP_1)
	s_cmp_lt_i32 s0, 11
	v_ashrrev_i32_e32 v1, 31, v0
	s_delay_alu instid0(VALU_DEP_1)
	v_add_nc_u64_e32 v[0:1], s[4:5], v[0:1]
	s_cbranch_scc1 .LBB62_2718
; %bb.2695:
	s_and_b32 s34, 0xffff, s0
	s_mov_b32 s35, -1
	s_cmp_gt_i32 s34, 25
	s_mov_b32 s31, s61
	s_cbranch_scc0 .LBB62_2743
; %bb.2696:
	s_cmp_gt_i32 s34, 28
	s_mov_b32 s31, s61
	s_cbranch_scc0 .LBB62_2733
; %bb.2697:
	;; [unrolled: 4-line block ×4, first 2 shown]
	s_cmp_eq_u32 s34, 46
	s_mov_b32 s31, -1
	s_cbranch_scc0 .LBB62_2724
; %bb.2700:
	v_mov_b32_e32 v2, 0
	s_mov_b32 s31, 0
	s_mov_b32 s35, 0
	global_store_b32 v[0:1], v2, off
	s_branch .LBB62_2725
.LBB62_2701:
	s_or_b32 exec_lo, exec_lo, s34
	s_and_saveexec_b32 s0, s64
	s_cbranch_execnz .LBB62_2691
.LBB62_2702:
	s_or_b32 exec_lo, exec_lo, s0
	s_mov_b32 s35, 0
	s_and_saveexec_b32 s58, s31
	s_cbranch_execz .LBB62_2692
.LBB62_2703:
	v_cmp_lt_i64_e64 s0, s[40:41], 1
	s_wait_loadcnt 0x0
	v_mov_b64_e32 v[0:1], 0
	s_xor_b32 s31, s57, -1
	s_delay_alu instid0(SALU_CYCLE_1) | instskip(NEXT) | instid1(SALU_CYCLE_1)
	s_or_b32 s0, s31, s0
	s_and_b32 vcc_lo, exec_lo, s0
	s_cbranch_vccnz .LBB62_2713
; %bb.2704:
	v_mul_u64_e32 v[8:9], s[40:41], v[10:11]
	v_mov_b64_e32 v[0:1], 0
	s_mov_b32 s31, 0
	v_mov_b32_e32 v2, 0
	s_lshl_b64 s[46:47], s[30:31], 3
	s_mov_b64 s[34:35], 0xffffffff
	s_add_nc_u64 s[44:45], s[20:21], s[46:47]
	s_add_nc_u64 s[46:47], s[22:23], s[46:47]
	s_mov_b32 s57, s42
	s_branch .LBB62_2706
.LBB62_2705:                            ;   in Loop: Header=BB62_2706 Depth=1
	s_or_b32 exec_lo, exec_lo, s0
	global_load_b64 v[12:13], v2, s[46:47]
	v_mul_u64_e32 v[14:15], s[48:49], v[10:11]
	s_add_co_i32 s57, s57, -1
	s_add_nc_u64 s[44:45], s[44:45], -8
	s_cmp_lg_u32 s57, 0
	s_wait_xcnt 0x0
	s_add_nc_u64 s[46:47], s[46:47], -8
	s_delay_alu instid0(VALU_DEP_1) | instskip(SKIP_1) | instid1(VALU_DEP_1)
	v_sub_nc_u64_e32 v[8:9], v[8:9], v[14:15]
	s_wait_loadcnt 0x0
	v_mad_nc_u64_u32 v[0:1], v8, v12, v[0:1]
	s_delay_alu instid0(VALU_DEP_1) | instskip(NEXT) | instid1(VALU_DEP_1)
	v_mad_u32 v1, v9, v12, v1
	v_mad_u32 v1, v8, v13, v1
	v_mov_b64_e32 v[8:9], v[10:11]
	s_cbranch_scc0 .LBB62_2713
.LBB62_2706:                            ; =>This Inner Loop Header: Depth=1
	global_load_b64 v[10:11], v2, s[44:45]
	s_mov_b32 s0, exec_lo
	s_wait_loadcnt 0x0
	v_or_b32_e32 v3, v9, v11
	v_readfirstlane_b32 s48, v10
	v_readfirstlane_b32 s49, v11
                                        ; implicit-def: $vgpr10_vgpr11
	s_wait_xcnt 0x0
	s_delay_alu instid0(VALU_DEP_3)
	v_cmpx_ne_u64_e32 0, v[2:3]
	s_xor_b32 s59, exec_lo, s0
	s_cbranch_execz .LBB62_2708
; %bb.2707:                             ;   in Loop: Header=BB62_2706 Depth=1
	s_ashr_i32 s50, s49, 31
	v_dual_mov_b32 v15, v2 :: v_dual_ashrrev_i32 v10, 31, v9
	s_mov_b32 s51, s50
	v_mov_b32_e32 v25, v2
	s_add_nc_u64 s[52:53], s[48:49], s[50:51]
	s_delay_alu instid0(VALU_DEP_2) | instskip(SKIP_1) | instid1(SALU_CYCLE_1)
	v_mov_b32_e32 v11, v10
	s_xor_b64 s[52:53], s[52:53], s[50:51]
	s_cvt_f32_u32 s0, s52
	s_cvt_f32_u32 s30, s53
	s_sub_nc_u64 s[66:67], 0, s[52:53]
	v_add_nc_u64_e32 v[12:13], v[8:9], v[10:11]
	v_mov_b32_e32 v19, v2
	s_fmamk_f32 s0, s30, 0x4f800000, s0
	s_delay_alu instid0(SALU_CYCLE_3) | instskip(NEXT) | instid1(VALU_DEP_2)
	v_s_rcp_f32 s0, s0
	v_xor_b32_e32 v14, v12, v10
	s_delay_alu instid0(VALU_DEP_3) | instskip(NEXT) | instid1(TRANS32_DEP_1)
	v_xor_b32_e32 v18, v13, v10
	s_mul_f32 s0, s0, 0x5f7ffffc
	s_delay_alu instid0(SALU_CYCLE_3) | instskip(NEXT) | instid1(SALU_CYCLE_3)
	s_mul_f32 s30, s0, 0x2f800000
	s_trunc_f32 s30, s30
	s_delay_alu instid0(SALU_CYCLE_3) | instskip(SKIP_1) | instid1(SALU_CYCLE_2)
	s_fmamk_f32 s0, s30, 0xcf800000, s0
	s_cvt_u32_f32 s65, s30
	s_cvt_u32_f32 s64, s0
	s_delay_alu instid0(SALU_CYCLE_3) | instskip(NEXT) | instid1(SALU_CYCLE_1)
	s_mul_u64 s[68:69], s[66:67], s[64:65]
	s_mul_hi_u32 s71, s64, s69
	s_mul_i32 s70, s64, s69
	s_mul_hi_u32 s30, s64, s68
	s_mul_i32 s51, s65, s68
	s_add_nc_u64 s[70:71], s[30:31], s[70:71]
	s_mul_hi_u32 s0, s65, s68
	s_mul_hi_u32 s60, s65, s69
	s_add_co_u32 s30, s70, s51
	s_add_co_ci_u32 s30, s71, s0
	s_mul_i32 s68, s65, s69
	s_add_co_ci_u32 s69, s60, 0
	s_delay_alu instid0(SALU_CYCLE_1) | instskip(NEXT) | instid1(SALU_CYCLE_1)
	s_add_nc_u64 s[68:69], s[30:31], s[68:69]
	s_add_co_u32 s64, s64, s68
	s_cselect_b32 s0, -1, 0
	s_delay_alu instid0(SALU_CYCLE_1) | instskip(SKIP_1) | instid1(SALU_CYCLE_1)
	s_cmp_lg_u32 s0, 0
	s_add_co_ci_u32 s65, s65, s69
	s_mul_u64 s[66:67], s[66:67], s[64:65]
	s_delay_alu instid0(SALU_CYCLE_1)
	s_mul_hi_u32 s69, s64, s67
	s_mul_i32 s68, s64, s67
	s_mul_hi_u32 s30, s64, s66
	s_mul_i32 s51, s65, s66
	s_add_nc_u64 s[68:69], s[30:31], s[68:69]
	s_mul_hi_u32 s0, s65, s66
	s_mul_hi_u32 s60, s65, s67
	s_add_co_u32 s30, s68, s51
	s_add_co_ci_u32 s30, s69, s0
	s_mul_i32 s66, s65, s67
	s_add_co_ci_u32 s67, s60, 0
	s_delay_alu instid0(SALU_CYCLE_1) | instskip(NEXT) | instid1(SALU_CYCLE_1)
	s_add_nc_u64 s[66:67], s[30:31], s[66:67]
	s_add_co_u32 s0, s64, s66
	s_cselect_b32 s30, -1, 0
	v_mul_hi_u32 v24, v14, s0
	s_cmp_lg_u32 s30, 0
	s_add_co_ci_u32 s30, s65, s67
	s_and_b64 s[64:65], s[0:1], s[34:35]
	v_mul_u64_e32 v[16:17], s[30:31], v[14:15]
	v_mul_u64_e32 v[12:13], s[64:65], v[18:19]
	;; [unrolled: 1-line block ×3, first 2 shown]
	s_delay_alu instid0(VALU_DEP_3) | instskip(NEXT) | instid1(VALU_DEP_1)
	v_add_nc_u64_e32 v[16:17], v[24:25], v[16:17]
	v_add_co_u32 v3, vcc_lo, v16, v12
	s_delay_alu instid0(VALU_DEP_2) | instskip(NEXT) | instid1(VALU_DEP_4)
	v_add_co_ci_u32_e32 v24, vcc_lo, v17, v13, vcc_lo
	v_add_co_ci_u32_e32 v21, vcc_lo, 0, v21, vcc_lo
	s_delay_alu instid0(VALU_DEP_1) | instskip(NEXT) | instid1(VALU_DEP_1)
	v_add_nc_u64_e32 v[12:13], v[24:25], v[20:21]
	v_mul_u64_e32 v[16:17], s[52:53], v[12:13]
	s_delay_alu instid0(VALU_DEP_1) | instskip(NEXT) | instid1(VALU_DEP_2)
	v_sub_nc_u32_e32 v3, v18, v17
	v_sub_co_u32 v11, vcc_lo, v14, v16
	s_delay_alu instid0(VALU_DEP_1) | instskip(NEXT) | instid1(VALU_DEP_3)
	v_sub_co_ci_u32_e64 v18, null, v18, v17, vcc_lo
	v_subrev_co_ci_u32_e64 v3, null, s53, v3, vcc_lo
	s_delay_alu instid0(VALU_DEP_3) | instskip(SKIP_1) | instid1(VALU_DEP_3)
	v_sub_co_u32 v14, s0, v11, s52
	v_add_nc_u64_e32 v[16:17], 1, v[12:13]
	v_subrev_co_ci_u32_e64 v3, null, 0, v3, s0
	s_delay_alu instid0(VALU_DEP_3) | instskip(SKIP_1) | instid1(VALU_DEP_3)
	v_cmp_le_u32_e32 vcc_lo, s52, v14
	v_cndmask_b32_e64 v14, 0, -1, vcc_lo
	v_cmp_le_u32_e32 vcc_lo, s53, v3
	v_cndmask_b32_e64 v15, 0, -1, vcc_lo
	;; [unrolled: 2-line block ×4, first 2 shown]
	v_cmp_eq_u32_e32 vcc_lo, s53, v3
	v_cndmask_b32_e32 v3, v15, v14, vcc_lo
	v_cmp_eq_u32_e32 vcc_lo, s53, v18
	v_add_nc_u64_e32 v[14:15], 2, v[12:13]
	v_cndmask_b32_e32 v11, v19, v11, vcc_lo
	s_delay_alu instid0(VALU_DEP_4) | instskip(NEXT) | instid1(VALU_DEP_2)
	v_cmp_ne_u32_e32 vcc_lo, 0, v3
	v_cmp_ne_u32_e64 s0, 0, v11
	s_delay_alu instid0(VALU_DEP_4) | instskip(NEXT) | instid1(VALU_DEP_1)
	v_dual_cndmask_b32 v3, v17, v15, vcc_lo :: v_dual_cndmask_b32 v11, v16, v14, vcc_lo
	v_dual_cndmask_b32 v3, v13, v3, s0 :: v_dual_bitop2_b32 v10, s50, v10 bitop3:0x14
	s_delay_alu instid0(VALU_DEP_1) | instskip(NEXT) | instid1(VALU_DEP_2)
	v_dual_cndmask_b32 v12, v12, v11, s0 :: v_dual_mov_b32 v11, v10
	v_xor_b32_e32 v13, v3, v10
	s_delay_alu instid0(VALU_DEP_2) | instskip(NEXT) | instid1(VALU_DEP_1)
	v_xor_b32_e32 v12, v12, v10
	v_sub_nc_u64_e32 v[10:11], v[12:13], v[10:11]
.LBB62_2708:                            ;   in Loop: Header=BB62_2706 Depth=1
	s_and_not1_saveexec_b32 s0, s59
	s_cbranch_execz .LBB62_2705
; %bb.2709:                             ;   in Loop: Header=BB62_2706 Depth=1
	v_cvt_f32_u32_e32 v3, s48
	s_sub_co_i32 s30, 0, s48
	s_delay_alu instid0(VALU_DEP_1) | instskip(SKIP_1) | instid1(TRANS32_DEP_1)
	v_rcp_iflag_f32_e32 v3, v3
	v_nop
	v_mul_f32_e32 v3, 0x4f7ffffe, v3
	s_delay_alu instid0(VALU_DEP_1) | instskip(NEXT) | instid1(VALU_DEP_1)
	v_cvt_u32_f32_e32 v3, v3
	v_mul_lo_u32 v10, s30, v3
	s_delay_alu instid0(VALU_DEP_1) | instskip(NEXT) | instid1(VALU_DEP_1)
	v_mul_hi_u32 v10, v3, v10
	v_add_nc_u32_e32 v3, v3, v10
	s_delay_alu instid0(VALU_DEP_1) | instskip(NEXT) | instid1(VALU_DEP_1)
	v_mul_hi_u32 v3, v8, v3
	v_mul_lo_u32 v10, v3, s48
	s_delay_alu instid0(VALU_DEP_1) | instskip(NEXT) | instid1(VALU_DEP_1)
	v_dual_add_nc_u32 v11, 1, v3 :: v_dual_sub_nc_u32 v10, v8, v10
	v_subrev_nc_u32_e32 v12, s48, v10
	v_cmp_le_u32_e32 vcc_lo, s48, v10
	s_delay_alu instid0(VALU_DEP_2) | instskip(NEXT) | instid1(VALU_DEP_1)
	v_dual_cndmask_b32 v10, v10, v12 :: v_dual_cndmask_b32 v3, v3, v11
	v_cmp_le_u32_e32 vcc_lo, s48, v10
	s_delay_alu instid0(VALU_DEP_2) | instskip(NEXT) | instid1(VALU_DEP_1)
	v_add_nc_u32_e32 v11, 1, v3
	v_dual_cndmask_b32 v10, v3, v11 :: v_dual_mov_b32 v11, v2
	s_branch .LBB62_2705
.LBB62_2710:
	s_or_b32 exec_lo, exec_lo, s30
	s_and_saveexec_b32 s30, s61
	s_cbranch_execnz .LBB62_2763
.LBB62_2711:
	s_or_b32 exec_lo, exec_lo, s30
	s_and_saveexec_b32 s30, s31
	s_delay_alu instid0(SALU_CYCLE_1)
	s_xor_b32 s30, exec_lo, s30
	s_cbranch_execz .LBB62_2764
.LBB62_2712:
	s_wait_loadcnt 0x0
	v_mov_b32_e32 v2, 0
	global_store_b8 v[0:1], v2, off
	s_wait_xcnt 0x0
	s_or_b32 exec_lo, exec_lo, s30
	s_and_saveexec_b32 s30, s34
	s_delay_alu instid0(SALU_CYCLE_1)
	s_xor_b32 s30, exec_lo, s30
	s_cbranch_execz .LBB62_2802
	s_branch .LBB62_2765
.LBB62_2713:
	s_mov_b32 s30, s63
	s_mov_b32 s0, exec_lo
	v_cmpx_gt_i64_e64 v[6:7], v[4:5]
	s_cbranch_execz .LBB62_2720
; %bb.2714:
	s_delay_alu instid0(VALU_DEP_2) | instskip(SKIP_2) | instid1(VALU_DEP_1)
	v_lshlrev_b64_e32 v[0:1], 3, v[0:1]
	s_mov_b32 s30, 0
	s_xor_b32 s34, s56, -1
                                        ; implicit-def: $sgpr31
                                        ; implicit-def: $sgpr44
                                        ; implicit-def: $sgpr35
	v_lshl_add_u64 v[2:3], v[4:5], 3, v[0:1]
	v_add_nc_u64_e32 v[4:5], s[24:25], v[0:1]
	s_delay_alu instid0(VALU_DEP_2) | instskip(NEXT) | instid1(VALU_DEP_1)
	v_add_nc_u64_e32 v[2:3], s[24:25], v[2:3]
	v_add_nc_u64_e32 v[0:1], 8, v[2:3]
	s_delay_alu instid0(VALU_DEP_3)
	v_lshl_add_u64 v[2:3], v[6:7], 3, v[4:5]
	s_branch .LBB62_2716
.LBB62_2715:                            ;   in Loop: Header=BB62_2716 Depth=1
	s_or_b32 exec_lo, exec_lo, s45
	s_xor_b32 s45, s35, -1
	s_and_b32 s46, exec_lo, s44
	s_delay_alu instid0(SALU_CYCLE_1) | instskip(SKIP_2) | instid1(SALU_CYCLE_1)
	s_or_b32 s30, s46, s30
	s_and_not1_b32 s31, s31, exec_lo
	s_and_b32 s45, s45, exec_lo
	s_or_b32 s31, s31, s45
	s_and_not1_b32 exec_lo, exec_lo, s30
	s_cbranch_execz .LBB62_2719
.LBB62_2716:                            ; =>This Inner Loop Header: Depth=1
	s_or_b32 s35, s35, exec_lo
	s_or_b32 s44, s44, exec_lo
	s_mov_b32 s45, exec_lo
	s_delay_alu instid0(VALU_DEP_2)
	v_cmpx_lt_u64_e64 v[0:1], v[2:3]
	s_cbranch_execz .LBB62_2715
; %bb.2717:                             ;   in Loop: Header=BB62_2716 Depth=1
	global_load_b128 v[4:7], v[0:1], off offset:-8
	s_wait_xcnt 0x0
	v_add_nc_u64_e32 v[0:1], 8, v[0:1]
	s_and_not1_b32 s44, s44, exec_lo
	s_and_not1_b32 s35, s35, exec_lo
	s_wait_loadcnt 0x0
	v_cmp_ge_i64_e32 vcc_lo, v[4:5], v[6:7]
	s_or_b32 s46, s34, vcc_lo
	s_delay_alu instid0(SALU_CYCLE_1) | instskip(NEXT) | instid1(SALU_CYCLE_1)
	s_and_b32 s46, s46, exec_lo
	s_or_b32 s44, s44, s46
	s_branch .LBB62_2715
.LBB62_2718:
	s_mov_b32 s44, 0
	s_mov_b32 s35, -1
	s_mov_b32 s31, s61
	s_branch .LBB62_2762
.LBB62_2719:
	s_or_b32 exec_lo, exec_lo, s30
	s_delay_alu instid0(SALU_CYCLE_1) | instskip(SKIP_1) | instid1(SALU_CYCLE_1)
	s_and_not1_b32 s30, s63, exec_lo
	s_and_b32 s31, s31, exec_lo
	s_or_b32 s30, s30, s31
.LBB62_2720:
	s_or_b32 exec_lo, exec_lo, s0
	s_delay_alu instid0(SALU_CYCLE_1)
	s_and_not1_b32 s0, s63, exec_lo
	s_and_b32 s30, s30, exec_lo
	s_mov_b32 s35, exec_lo
	s_or_b32 s63, s0, s30
	s_or_b32 exec_lo, exec_lo, s58
	s_and_saveexec_b32 s0, s63
	s_cbranch_execz .LBB62_2693
.LBB62_2721:
	s_or_b32 s1, s1, exec_lo
	s_and_not1_b32 s35, s35, exec_lo
	s_trap 2
	s_branch .LBB62_2693
.LBB62_2722:
	s_or_b32 s1, s1, exec_lo
	s_and_not1_b32 s0, s0, exec_lo
	s_trap 2
	s_branch .LBB62_2686
.LBB62_2723:
	s_or_b32 s1, s1, exec_lo
	s_and_not1_b32 s34, s34, exec_lo
	s_trap 2
	s_branch .LBB62_2689
.LBB62_2724:
	s_mov_b32 s35, 0
.LBB62_2725:
	s_delay_alu instid0(SALU_CYCLE_1)
	s_and_b32 vcc_lo, exec_lo, s35
	s_cbranch_vccz .LBB62_2728
; %bb.2726:
	s_cmp_eq_u32 s34, 44
	s_mov_b32 s31, -1
	s_cbranch_scc0 .LBB62_2728
; %bb.2727:
	s_wait_xcnt 0x0
	v_mov_b32_e32 v2, 0
	s_mov_b32 s31, 0
	s_mov_b32 s35, 0
	global_store_b8 v[0:1], v2, off
	s_branch .LBB62_2729
.LBB62_2728:
	s_mov_b32 s35, 0
.LBB62_2729:
	s_delay_alu instid0(SALU_CYCLE_1)
	s_and_b32 vcc_lo, exec_lo, s35
	s_cbranch_vccz .LBB62_2732
; %bb.2730:
	s_cmp_eq_u32 s34, 29
	s_mov_b32 s31, -1
	s_cbranch_scc0 .LBB62_2732
; %bb.2731:
	s_wait_xcnt 0x0
	v_mov_b64_e32 v[2:3], 0
	s_mov_b32 s31, 0
	s_mov_b32 s35, 0
	global_store_b64 v[0:1], v[2:3], off
	s_branch .LBB62_2733
.LBB62_2732:
	s_mov_b32 s35, 0
.LBB62_2733:
	s_delay_alu instid0(SALU_CYCLE_1)
	s_and_b32 vcc_lo, exec_lo, s35
	s_cbranch_vccz .LBB62_2742
; %bb.2734:
	s_cmp_lt_i32 s34, 27
	s_mov_b32 s35, -1
	s_cbranch_scc1 .LBB62_2740
; %bb.2735:
	s_cmp_gt_i32 s34, 27
	s_cbranch_scc0 .LBB62_2737
; %bb.2736:
	s_wait_xcnt 0x0
	v_mov_b32_e32 v2, 0
	s_mov_b32 s35, 0
	global_store_b32 v[0:1], v2, off
.LBB62_2737:
	s_and_not1_b32 vcc_lo, exec_lo, s35
	s_cbranch_vccnz .LBB62_2739
; %bb.2738:
	s_wait_xcnt 0x0
	v_mov_b32_e32 v2, 0
	global_store_b16 v[0:1], v2, off
.LBB62_2739:
	s_mov_b32 s35, 0
.LBB62_2740:
	s_delay_alu instid0(SALU_CYCLE_1)
	s_and_not1_b32 vcc_lo, exec_lo, s35
	s_cbranch_vccnz .LBB62_2742
; %bb.2741:
	s_wait_xcnt 0x0
	v_mov_b32_e32 v2, 0
	global_store_b8 v[0:1], v2, off
.LBB62_2742:
	s_mov_b32 s35, 0
.LBB62_2743:
	s_delay_alu instid0(SALU_CYCLE_1)
	s_and_b32 vcc_lo, exec_lo, s35
	s_mov_b32 s35, 0
	s_cbranch_vccz .LBB62_2761
; %bb.2744:
	s_cmp_gt_i32 s34, 22
	s_mov_b32 s44, -1
	s_cbranch_scc0 .LBB62_2754
; %bb.2745:
	s_cmp_lt_i32 s34, 24
	s_cbranch_scc1 .LBB62_2751
; %bb.2746:
	s_cmp_gt_i32 s34, 24
	s_cbranch_scc0 .LBB62_2748
; %bb.2747:
	s_wait_xcnt 0x0
	v_mov_b32_e32 v2, 0
	s_mov_b32 s44, 0
	global_store_b8 v[0:1], v2, off
.LBB62_2748:
	s_and_not1_b32 vcc_lo, exec_lo, s44
	s_cbranch_vccnz .LBB62_2750
; %bb.2749:
	s_wait_xcnt 0x0
	v_mov_b32_e32 v2, 0
	global_store_b8 v[0:1], v2, off
.LBB62_2750:
	s_mov_b32 s44, 0
.LBB62_2751:
	s_delay_alu instid0(SALU_CYCLE_1)
	s_and_not1_b32 vcc_lo, exec_lo, s44
	s_cbranch_vccnz .LBB62_2753
; %bb.2752:
	s_wait_xcnt 0x0
	v_mov_b32_e32 v2, 0
	global_store_b8 v[0:1], v2, off
.LBB62_2753:
	s_mov_b32 s44, 0
.LBB62_2754:
	s_delay_alu instid0(SALU_CYCLE_1)
	s_and_not1_b32 vcc_lo, exec_lo, s44
	s_mov_b32 s44, 0
	s_cbranch_vccnz .LBB62_2762
; %bb.2755:
	s_cmp_gt_i32 s34, 14
	s_mov_b32 s44, -1
	s_cbranch_scc0 .LBB62_2759
; %bb.2756:
	s_cmp_eq_u32 s34, 15
	s_mov_b32 s31, -1
	s_cbranch_scc0 .LBB62_2758
; %bb.2757:
	s_wait_xcnt 0x0
	v_mov_b32_e32 v2, 0
	s_mov_b32 s31, 0
	global_store_b16 v[0:1], v2, off
.LBB62_2758:
	s_mov_b32 s44, 0
.LBB62_2759:
	s_delay_alu instid0(SALU_CYCLE_1)
	s_and_b32 vcc_lo, exec_lo, s44
	s_mov_b32 s44, 0
	s_cbranch_vccz .LBB62_2762
; %bb.2760:
	s_cmp_lg_u32 s34, 11
	s_mov_b32 s44, -1
	s_cselect_b32 s34, -1, 0
	s_and_not1_b32 s31, s31, exec_lo
	s_and_b32 s34, s34, exec_lo
	s_delay_alu instid0(SALU_CYCLE_1)
	s_or_b32 s31, s31, s34
	s_branch .LBB62_2762
.LBB62_2761:
	s_mov_b32 s44, 0
.LBB62_2762:
	s_and_b32 s34, s35, exec_lo
	s_and_not1_b32 s35, s61, exec_lo
	s_and_b32 s45, s31, exec_lo
	s_and_b32 s31, s44, exec_lo
	s_or_b32 s61, s35, s45
	s_wait_xcnt 0x0
	s_or_b32 exec_lo, exec_lo, s30
	s_and_saveexec_b32 s30, s61
	s_cbranch_execz .LBB62_2711
.LBB62_2763:
	s_or_b32 s1, s1, exec_lo
	s_and_not1_b32 s31, s31, exec_lo
	s_trap 2
	s_or_b32 exec_lo, exec_lo, s30
	s_and_saveexec_b32 s30, s31
	s_delay_alu instid0(SALU_CYCLE_1)
	s_xor_b32 s30, exec_lo, s30
	s_cbranch_execnz .LBB62_2712
.LBB62_2764:
	s_or_b32 exec_lo, exec_lo, s30
	s_and_saveexec_b32 s30, s34
	s_delay_alu instid0(SALU_CYCLE_1)
	s_xor_b32 s30, exec_lo, s30
	s_cbranch_execz .LBB62_2802
.LBB62_2765:
	s_sext_i32_i16 s34, s0
	s_mov_b32 s31, -1
	s_cmp_lt_i32 s34, 5
	s_cbranch_scc1 .LBB62_2786
; %bb.2766:
	s_cmp_lt_i32 s34, 8
	s_cbranch_scc1 .LBB62_2776
; %bb.2767:
	;; [unrolled: 3-line block ×3, first 2 shown]
	s_cmp_gt_i32 s34, 9
	s_cbranch_scc0 .LBB62_2770
; %bb.2769:
	s_wait_loadcnt 0x0
	v_mov_b32_e32 v2, 0
	s_mov_b32 s31, 0
	s_delay_alu instid0(VALU_DEP_1)
	v_dual_mov_b32 v3, v2 :: v_dual_mov_b32 v4, v2
	v_mov_b32_e32 v5, v2
	global_store_b128 v[0:1], v[2:5], off
.LBB62_2770:
	s_and_not1_b32 vcc_lo, exec_lo, s31
	s_cbranch_vccnz .LBB62_2772
; %bb.2771:
	s_wait_loadcnt 0x0
	v_mov_b64_e32 v[2:3], 0
	global_store_b64 v[0:1], v[2:3], off
.LBB62_2772:
	s_mov_b32 s31, 0
.LBB62_2773:
	s_delay_alu instid0(SALU_CYCLE_1)
	s_and_not1_b32 vcc_lo, exec_lo, s31
	s_cbranch_vccnz .LBB62_2775
; %bb.2774:
	s_wait_loadcnt 0x0
	v_mov_b32_e32 v2, 0
	global_store_b32 v[0:1], v2, off
.LBB62_2775:
	s_mov_b32 s31, 0
.LBB62_2776:
	s_delay_alu instid0(SALU_CYCLE_1)
	s_and_not1_b32 vcc_lo, exec_lo, s31
	s_cbranch_vccnz .LBB62_2785
; %bb.2777:
	s_sext_i32_i16 s34, s0
	s_mov_b32 s31, -1
	s_cmp_lt_i32 s34, 6
	s_cbranch_scc1 .LBB62_2783
; %bb.2778:
	s_cmp_gt_i32 s34, 6
	s_cbranch_scc0 .LBB62_2780
; %bb.2779:
	s_wait_loadcnt 0x0
	v_mov_b64_e32 v[2:3], 0
	s_mov_b32 s31, 0
	global_store_b64 v[0:1], v[2:3], off
.LBB62_2780:
	s_and_not1_b32 vcc_lo, exec_lo, s31
	s_cbranch_vccnz .LBB62_2782
; %bb.2781:
	s_wait_loadcnt 0x0
	v_mov_b32_e32 v2, 0
	global_store_b32 v[0:1], v2, off
.LBB62_2782:
	s_mov_b32 s31, 0
.LBB62_2783:
	s_delay_alu instid0(SALU_CYCLE_1)
	s_and_not1_b32 vcc_lo, exec_lo, s31
	s_cbranch_vccnz .LBB62_2785
; %bb.2784:
	s_wait_loadcnt 0x0
	v_mov_b32_e32 v2, 0
	global_store_b16 v[0:1], v2, off
.LBB62_2785:
	s_mov_b32 s31, 0
.LBB62_2786:
	s_delay_alu instid0(SALU_CYCLE_1)
	s_and_not1_b32 vcc_lo, exec_lo, s31
	s_cbranch_vccnz .LBB62_2802
; %bb.2787:
	s_sext_i32_i16 s34, s0
	s_mov_b32 s31, -1
	s_cmp_lt_i32 s34, 2
	s_cbranch_scc1 .LBB62_2797
; %bb.2788:
	s_cmp_lt_i32 s34, 3
	s_cbranch_scc1 .LBB62_2794
; %bb.2789:
	s_cmp_gt_i32 s34, 3
	s_cbranch_scc0 .LBB62_2791
; %bb.2790:
	s_wait_loadcnt 0x0
	v_mov_b64_e32 v[2:3], 0
	s_mov_b32 s31, 0
	global_store_b64 v[0:1], v[2:3], off
.LBB62_2791:
	s_and_not1_b32 vcc_lo, exec_lo, s31
	s_cbranch_vccnz .LBB62_2793
; %bb.2792:
	s_wait_loadcnt 0x0
	v_mov_b32_e32 v2, 0
	global_store_b32 v[0:1], v2, off
.LBB62_2793:
	s_mov_b32 s31, 0
.LBB62_2794:
	s_delay_alu instid0(SALU_CYCLE_1)
	s_and_not1_b32 vcc_lo, exec_lo, s31
	s_cbranch_vccnz .LBB62_2796
; %bb.2795:
	s_wait_loadcnt 0x0
	v_mov_b32_e32 v2, 0
	global_store_b16 v[0:1], v2, off
.LBB62_2796:
	s_mov_b32 s31, 0
.LBB62_2797:
	s_delay_alu instid0(SALU_CYCLE_1)
	s_and_not1_b32 vcc_lo, exec_lo, s31
	s_cbranch_vccnz .LBB62_2802
; %bb.2798:
	s_sext_i32_i16 s0, s0
	s_delay_alu instid0(SALU_CYCLE_1)
	s_cmp_gt_i32 s0, 0
	s_mov_b32 s0, -1
	s_cbranch_scc0 .LBB62_2800
; %bb.2799:
	s_wait_loadcnt 0x0
	v_mov_b32_e32 v2, 0
	s_mov_b32 s0, 0
	global_store_b8 v[0:1], v2, off
.LBB62_2800:
	s_and_not1_b32 vcc_lo, exec_lo, s0
	s_cbranch_vccnz .LBB62_2802
; %bb.2801:
	s_wait_loadcnt 0x0
	v_mov_b32_e32 v2, 0
	global_store_b8 v[0:1], v2, off
.LBB62_2802:
	s_wait_xcnt 0x0
	s_or_b32 exec_lo, exec_lo, s30
	s_delay_alu instid0(SALU_CYCLE_1)
	s_and_b32 s52, s1, exec_lo
                                        ; implicit-def: $vgpr22
.LBB62_2803:
	s_or_saveexec_b32 s53, s55
	s_mov_b32 s30, 0
                                        ; implicit-def: $sgpr0
                                        ; implicit-def: $vgpr10_vgpr11
	s_xor_b32 exec_lo, exec_lo, s53
	s_cbranch_execz .LBB62_3436
; %bb.2804:
	s_wait_loadcnt 0x0
	v_mul_lo_u32 v0, s17, v22
	s_and_b32 s57, s54, 0xff
	s_delay_alu instid0(SALU_CYCLE_1) | instskip(NEXT) | instid1(VALU_DEP_1)
	s_cmp_lt_i32 s57, 11
	v_ashrrev_i32_e32 v1, 31, v0
	s_delay_alu instid0(VALU_DEP_1)
	v_add_nc_u64_e32 v[2:3], s[6:7], v[0:1]
	s_cbranch_scc1 .LBB62_2811
; %bb.2805:
	s_and_b32 s0, 0xffff, s57
	s_delay_alu instid0(SALU_CYCLE_1)
	s_cmp_gt_i32 s0, 25
	s_cbranch_scc0 .LBB62_2813
; %bb.2806:
	s_cmp_gt_i32 s0, 28
	s_cbranch_scc0 .LBB62_2814
; %bb.2807:
	;; [unrolled: 3-line block ×4, first 2 shown]
	s_cmp_eq_u32 s0, 46
	s_mov_b32 s34, 0
	s_cbranch_scc0 .LBB62_2817
; %bb.2810:
	global_load_b32 v1, v[2:3], off
	s_mov_b32 s1, 0
	s_mov_b32 s31, -1
	s_wait_loadcnt 0x0
	v_lshlrev_b32_e32 v1, 16, v1
	s_delay_alu instid0(VALU_DEP_1) | instskip(NEXT) | instid1(VALU_DEP_1)
	v_trunc_f32_e32 v1, v1
	v_mul_f32_e64 v4, 0x2f800000, |v1|
	s_delay_alu instid0(VALU_DEP_1) | instskip(SKIP_1) | instid1(VALU_DEP_2)
	v_floor_f32_e32 v5, v4
	v_ashrrev_i32_e32 v4, 31, v1
	v_fma_f32 v6, 0xcf800000, v5, |v1|
	v_cvt_u32_f32_e32 v1, v5
	s_delay_alu instid0(VALU_DEP_3) | instskip(NEXT) | instid1(VALU_DEP_3)
	v_mov_b32_e32 v5, v4
	v_cvt_u32_f32_e32 v6, v6
	s_delay_alu instid0(VALU_DEP_3) | instskip(NEXT) | instid1(VALU_DEP_2)
	v_xor_b32_e32 v7, v1, v4
	v_xor_b32_e32 v6, v6, v4
	s_delay_alu instid0(VALU_DEP_1)
	v_sub_nc_u64_e32 v[10:11], v[6:7], v[4:5]
	s_branch .LBB62_2819
.LBB62_2811:
	s_mov_b32 s31, 0
	s_mov_b32 s43, s52
                                        ; implicit-def: $vgpr10_vgpr11
	s_cbranch_execnz .LBB62_2877
.LBB62_2812:
	s_and_not1_b32 vcc_lo, exec_lo, s31
	s_cbranch_vccz .LBB62_2922
	s_branch .LBB62_3434
.LBB62_2813:
	s_mov_b32 s31, 0
	s_mov_b32 s1, 0
                                        ; implicit-def: $vgpr10_vgpr11
	s_cbranch_execnz .LBB62_2844
	s_branch .LBB62_2873
.LBB62_2814:
	s_mov_b32 s31, 0
	s_mov_b32 s1, 0
                                        ; implicit-def: $vgpr10_vgpr11
	s_cbranch_execz .LBB62_2843
	s_branch .LBB62_2828
.LBB62_2815:
	s_mov_b32 s31, 0
	s_mov_b32 s1, 0
                                        ; implicit-def: $vgpr10_vgpr11
	s_cbranch_execnz .LBB62_2824
	s_branch .LBB62_2827
.LBB62_2816:
	s_mov_b32 s34, -1
	s_mov_b32 s31, 0
	s_mov_b32 s1, 0
	s_branch .LBB62_2818
.LBB62_2817:
	s_mov_b32 s1, -1
	s_mov_b32 s31, 0
.LBB62_2818:
                                        ; implicit-def: $vgpr10_vgpr11
.LBB62_2819:
	s_and_b32 vcc_lo, exec_lo, s34
	s_cbranch_vccz .LBB62_2822
; %bb.2820:
	s_cmp_eq_u32 s0, 44
	s_cbranch_scc0 .LBB62_2823
; %bb.2821:
	global_load_u8 v1, v[2:3], off
	s_mov_b32 s1, 0
	s_mov_b32 s31, -1
	s_wait_loadcnt 0x0
	v_lshlrev_b32_e32 v4, 23, v1
	v_cmp_ne_u32_e32 vcc_lo, 0, v1
	s_delay_alu instid0(VALU_DEP_2) | instskip(NEXT) | instid1(VALU_DEP_1)
	v_trunc_f32_e32 v4, v4
	v_mul_f32_e64 v5, 0x2f800000, |v4|
	s_delay_alu instid0(VALU_DEP_1) | instskip(NEXT) | instid1(VALU_DEP_1)
	v_floor_f32_e32 v5, v5
	v_fma_f32 v6, 0xcf800000, v5, |v4|
	v_ashrrev_i32_e32 v4, 31, v4
	v_cvt_u32_f32_e32 v7, v5
	s_delay_alu instid0(VALU_DEP_3) | instskip(NEXT) | instid1(VALU_DEP_2)
	v_cvt_u32_f32_e32 v6, v6
	v_dual_mov_b32 v5, v4 :: v_dual_bitop2_b32 v7, v7, v4 bitop3:0x14
	s_delay_alu instid0(VALU_DEP_2) | instskip(NEXT) | instid1(VALU_DEP_1)
	v_xor_b32_e32 v6, v6, v4
	v_sub_nc_u64_e32 v[4:5], v[6:7], v[4:5]
	s_delay_alu instid0(VALU_DEP_1)
	v_dual_cndmask_b32 v11, 0, v5 :: v_dual_cndmask_b32 v10, 0, v4
.LBB62_2822:
	s_branch .LBB62_2827
.LBB62_2823:
	s_mov_b32 s1, -1
                                        ; implicit-def: $vgpr10_vgpr11
	s_branch .LBB62_2827
.LBB62_2824:
	s_cmp_eq_u32 s0, 29
	s_cbranch_scc0 .LBB62_2826
; %bb.2825:
	global_load_b64 v[10:11], v[2:3], off
	s_mov_b32 s1, 0
	s_mov_b32 s31, -1
	s_branch .LBB62_2827
.LBB62_2826:
	s_mov_b32 s1, -1
                                        ; implicit-def: $vgpr10_vgpr11
.LBB62_2827:
	s_branch .LBB62_2843
.LBB62_2828:
	s_cmp_lt_i32 s0, 27
	s_cbranch_scc1 .LBB62_2831
; %bb.2829:
	s_cmp_gt_i32 s0, 27
	s_cbranch_scc0 .LBB62_2832
; %bb.2830:
	s_wait_loadcnt 0x0
	global_load_b32 v10, v[2:3], off
	v_mov_b32_e32 v11, 0
	s_mov_b32 s31, 0
	s_branch .LBB62_2833
.LBB62_2831:
	s_mov_b32 s31, -1
                                        ; implicit-def: $vgpr10_vgpr11
	s_branch .LBB62_2836
.LBB62_2832:
	s_mov_b32 s31, -1
                                        ; implicit-def: $vgpr10_vgpr11
.LBB62_2833:
	s_delay_alu instid0(SALU_CYCLE_1)
	s_and_not1_b32 vcc_lo, exec_lo, s31
	s_cbranch_vccnz .LBB62_2835
; %bb.2834:
	global_load_u16 v1, v[2:3], off
	s_mov_b32 s31, 0
	s_wait_loadcnt 0x1
	v_mov_b32_e32 v11, s31
	s_wait_loadcnt 0x0
	v_and_b32_e32 v10, 0xffff, v1
.LBB62_2835:
	s_mov_b32 s31, 0
.LBB62_2836:
	s_delay_alu instid0(SALU_CYCLE_1)
	s_and_not1_b32 vcc_lo, exec_lo, s31
	s_cbranch_vccnz .LBB62_2842
; %bb.2837:
	global_load_u8 v1, v[2:3], off
	s_mov_b32 s34, 0
	s_mov_b32 s31, exec_lo
	s_wait_loadcnt 0x0
	v_cmpx_lt_i16_e32 0x7f, v1
	s_xor_b32 s31, exec_lo, s31
	s_cbranch_execz .LBB62_2853
; %bb.2838:
	v_cmp_ne_u16_e32 vcc_lo, 0x80, v1
	s_and_b32 s34, vcc_lo, exec_lo
	s_and_not1_saveexec_b32 s31, s31
	s_cbranch_execnz .LBB62_2854
.LBB62_2839:
	s_or_b32 exec_lo, exec_lo, s31
	v_mov_b64_e32 v[10:11], 0
	s_and_saveexec_b32 s31, s34
	s_cbranch_execz .LBB62_2841
.LBB62_2840:
	v_and_b32_e32 v4, 0xffff, v1
	s_delay_alu instid0(VALU_DEP_1) | instskip(SKIP_1) | instid1(VALU_DEP_2)
	v_and_b32_e32 v5, 7, v4
	v_bfe_u32 v8, v4, 3, 4
	v_clz_i32_u32_e32 v6, v5
	s_delay_alu instid0(VALU_DEP_2) | instskip(NEXT) | instid1(VALU_DEP_2)
	v_cmp_eq_u32_e32 vcc_lo, 0, v8
	v_min_u32_e32 v6, 32, v6
	s_delay_alu instid0(VALU_DEP_1) | instskip(NEXT) | instid1(VALU_DEP_1)
	v_subrev_nc_u32_e32 v7, 28, v6
	v_dual_lshlrev_b32 v4, v7, v4 :: v_dual_sub_nc_u32 v6, 29, v6
	s_delay_alu instid0(VALU_DEP_1) | instskip(NEXT) | instid1(VALU_DEP_1)
	v_dual_lshlrev_b32 v1, 24, v1 :: v_dual_bitop2_b32 v4, 7, v4 bitop3:0x40
	v_dual_cndmask_b32 v6, v8, v6, vcc_lo :: v_dual_cndmask_b32 v4, v5, v4, vcc_lo
	s_delay_alu instid0(VALU_DEP_2) | instskip(NEXT) | instid1(VALU_DEP_2)
	v_and_b32_e32 v1, 0x80000000, v1
	v_lshl_add_u32 v5, v6, 23, 0x3b800000
	s_delay_alu instid0(VALU_DEP_3) | instskip(NEXT) | instid1(VALU_DEP_1)
	v_lshlrev_b32_e32 v4, 20, v4
	v_or3_b32 v1, v1, v5, v4
	s_delay_alu instid0(VALU_DEP_1) | instskip(NEXT) | instid1(VALU_DEP_1)
	v_trunc_f32_e32 v1, v1
	v_mul_f32_e64 v4, 0x2f800000, |v1|
	s_delay_alu instid0(VALU_DEP_1) | instskip(SKIP_1) | instid1(VALU_DEP_2)
	v_floor_f32_e32 v5, v4
	v_ashrrev_i32_e32 v4, 31, v1
	v_fma_f32 v6, 0xcf800000, v5, |v1|
	v_cvt_u32_f32_e32 v1, v5
	s_delay_alu instid0(VALU_DEP_3) | instskip(NEXT) | instid1(VALU_DEP_3)
	v_mov_b32_e32 v5, v4
	v_cvt_u32_f32_e32 v6, v6
	s_delay_alu instid0(VALU_DEP_3) | instskip(NEXT) | instid1(VALU_DEP_2)
	v_xor_b32_e32 v7, v1, v4
	v_xor_b32_e32 v6, v6, v4
	s_delay_alu instid0(VALU_DEP_1)
	v_sub_nc_u64_e32 v[10:11], v[6:7], v[4:5]
.LBB62_2841:
	s_or_b32 exec_lo, exec_lo, s31
.LBB62_2842:
	s_mov_b32 s31, -1
.LBB62_2843:
	s_branch .LBB62_2873
.LBB62_2844:
	s_cmp_gt_i32 s0, 22
	s_cbranch_scc0 .LBB62_2852
; %bb.2845:
	s_cmp_lt_i32 s0, 24
	s_cbranch_scc1 .LBB62_2855
; %bb.2846:
	s_cmp_gt_i32 s0, 24
	s_cbranch_scc0 .LBB62_2856
; %bb.2847:
	global_load_u8 v1, v[2:3], off
	s_mov_b32 s31, 0
	s_mov_b32 s30, exec_lo
	s_wait_loadcnt 0x0
	v_cmpx_lt_i16_e32 0x7f, v1
	s_xor_b32 s30, exec_lo, s30
	s_cbranch_execz .LBB62_2867
; %bb.2848:
	v_cmp_ne_u16_e32 vcc_lo, 0x80, v1
	s_and_b32 s31, vcc_lo, exec_lo
	s_and_not1_saveexec_b32 s30, s30
	s_cbranch_execnz .LBB62_2868
.LBB62_2849:
	s_or_b32 exec_lo, exec_lo, s30
	v_mov_b64_e32 v[10:11], 0
	s_and_saveexec_b32 s30, s31
	s_cbranch_execz .LBB62_2851
.LBB62_2850:
	v_and_b32_e32 v4, 0xffff, v1
	s_delay_alu instid0(VALU_DEP_1) | instskip(SKIP_1) | instid1(VALU_DEP_2)
	v_and_b32_e32 v5, 3, v4
	v_bfe_u32 v8, v4, 2, 5
	v_clz_i32_u32_e32 v6, v5
	s_delay_alu instid0(VALU_DEP_2) | instskip(NEXT) | instid1(VALU_DEP_2)
	v_cmp_eq_u32_e32 vcc_lo, 0, v8
	v_min_u32_e32 v6, 32, v6
	s_delay_alu instid0(VALU_DEP_1) | instskip(NEXT) | instid1(VALU_DEP_1)
	v_subrev_nc_u32_e32 v7, 29, v6
	v_dual_lshlrev_b32 v4, v7, v4 :: v_dual_sub_nc_u32 v6, 30, v6
	s_delay_alu instid0(VALU_DEP_1) | instskip(NEXT) | instid1(VALU_DEP_1)
	v_dual_lshlrev_b32 v1, 24, v1 :: v_dual_bitop2_b32 v4, 3, v4 bitop3:0x40
	v_dual_cndmask_b32 v6, v8, v6, vcc_lo :: v_dual_cndmask_b32 v4, v5, v4, vcc_lo
	s_delay_alu instid0(VALU_DEP_2) | instskip(NEXT) | instid1(VALU_DEP_2)
	v_and_b32_e32 v1, 0x80000000, v1
	v_lshl_add_u32 v5, v6, 23, 0x37800000
	s_delay_alu instid0(VALU_DEP_3) | instskip(NEXT) | instid1(VALU_DEP_1)
	v_lshlrev_b32_e32 v4, 21, v4
	v_or3_b32 v1, v1, v5, v4
	s_delay_alu instid0(VALU_DEP_1) | instskip(NEXT) | instid1(VALU_DEP_1)
	v_trunc_f32_e32 v1, v1
	v_mul_f32_e64 v4, 0x2f800000, |v1|
	s_delay_alu instid0(VALU_DEP_1) | instskip(SKIP_1) | instid1(VALU_DEP_2)
	v_floor_f32_e32 v5, v4
	v_ashrrev_i32_e32 v4, 31, v1
	v_fma_f32 v6, 0xcf800000, v5, |v1|
	v_cvt_u32_f32_e32 v1, v5
	s_delay_alu instid0(VALU_DEP_3) | instskip(NEXT) | instid1(VALU_DEP_3)
	v_mov_b32_e32 v5, v4
	v_cvt_u32_f32_e32 v6, v6
	s_delay_alu instid0(VALU_DEP_3) | instskip(NEXT) | instid1(VALU_DEP_2)
	v_xor_b32_e32 v7, v1, v4
	v_xor_b32_e32 v6, v6, v4
	s_delay_alu instid0(VALU_DEP_1)
	v_sub_nc_u64_e32 v[10:11], v[6:7], v[4:5]
.LBB62_2851:
	s_or_b32 exec_lo, exec_lo, s30
	s_mov_b32 s30, 0
	s_branch .LBB62_2857
.LBB62_2852:
                                        ; implicit-def: $vgpr10_vgpr11
	s_mov_b32 s30, 0
	s_branch .LBB62_2863
.LBB62_2853:
	s_and_not1_saveexec_b32 s31, s31
	s_cbranch_execz .LBB62_2839
.LBB62_2854:
	v_cmp_ne_u16_e32 vcc_lo, 0, v1
	s_and_not1_b32 s34, s34, exec_lo
	s_and_b32 s35, vcc_lo, exec_lo
	s_delay_alu instid0(SALU_CYCLE_1)
	s_or_b32 s34, s34, s35
	s_or_b32 exec_lo, exec_lo, s31
	v_mov_b64_e32 v[10:11], 0
	s_and_saveexec_b32 s31, s34
	s_cbranch_execnz .LBB62_2840
	s_branch .LBB62_2841
.LBB62_2855:
	s_mov_b32 s30, -1
                                        ; implicit-def: $vgpr10_vgpr11
	s_branch .LBB62_2860
.LBB62_2856:
	s_mov_b32 s30, -1
                                        ; implicit-def: $vgpr10_vgpr11
.LBB62_2857:
	s_delay_alu instid0(SALU_CYCLE_1)
	s_and_b32 vcc_lo, exec_lo, s30
	s_cbranch_vccz .LBB62_2859
; %bb.2858:
	global_load_u8 v1, v[2:3], off
	s_wait_loadcnt 0x0
	v_lshlrev_b32_e32 v1, 24, v1
	s_delay_alu instid0(VALU_DEP_1) | instskip(NEXT) | instid1(VALU_DEP_1)
	v_and_b32_e32 v4, 0x7f000000, v1
	v_clz_i32_u32_e32 v5, v4
	v_cmp_ne_u32_e32 vcc_lo, 0, v4
	v_add_nc_u32_e32 v7, 0x1000000, v4
	s_delay_alu instid0(VALU_DEP_3) | instskip(NEXT) | instid1(VALU_DEP_1)
	v_min_u32_e32 v5, 32, v5
	v_sub_nc_u32_e64 v5, v5, 4 clamp
	s_delay_alu instid0(VALU_DEP_1) | instskip(NEXT) | instid1(VALU_DEP_1)
	v_dual_lshlrev_b32 v6, v5, v4 :: v_dual_lshlrev_b32 v5, 23, v5
	v_lshrrev_b32_e32 v6, 4, v6
	s_delay_alu instid0(VALU_DEP_1) | instskip(NEXT) | instid1(VALU_DEP_1)
	v_dual_sub_nc_u32 v5, v6, v5 :: v_dual_ashrrev_i32 v6, 8, v7
	v_add_nc_u32_e32 v5, 0x3c000000, v5
	s_delay_alu instid0(VALU_DEP_1) | instskip(NEXT) | instid1(VALU_DEP_1)
	v_and_or_b32 v5, 0x7f800000, v6, v5
	v_cndmask_b32_e32 v4, 0, v5, vcc_lo
	s_delay_alu instid0(VALU_DEP_1) | instskip(NEXT) | instid1(VALU_DEP_1)
	v_and_or_b32 v1, 0x80000000, v1, v4
	v_trunc_f32_e32 v1, v1
	s_delay_alu instid0(VALU_DEP_1) | instskip(NEXT) | instid1(VALU_DEP_1)
	v_mul_f32_e64 v4, 0x2f800000, |v1|
	v_floor_f32_e32 v5, v4
	v_ashrrev_i32_e32 v4, 31, v1
	s_delay_alu instid0(VALU_DEP_2) | instskip(SKIP_1) | instid1(VALU_DEP_3)
	v_fma_f32 v6, 0xcf800000, v5, |v1|
	v_cvt_u32_f32_e32 v1, v5
	v_mov_b32_e32 v5, v4
	s_delay_alu instid0(VALU_DEP_3) | instskip(NEXT) | instid1(VALU_DEP_3)
	v_cvt_u32_f32_e32 v6, v6
	v_xor_b32_e32 v7, v1, v4
	s_delay_alu instid0(VALU_DEP_2) | instskip(NEXT) | instid1(VALU_DEP_1)
	v_xor_b32_e32 v6, v6, v4
	v_sub_nc_u64_e32 v[10:11], v[6:7], v[4:5]
.LBB62_2859:
	s_mov_b32 s30, 0
.LBB62_2860:
	s_delay_alu instid0(SALU_CYCLE_1)
	s_and_not1_b32 vcc_lo, exec_lo, s30
	s_cbranch_vccnz .LBB62_2862
; %bb.2861:
	global_load_u8 v1, v[2:3], off
	s_wait_loadcnt 0x0
	v_lshlrev_b32_e32 v4, 25, v1
	v_lshlrev_b16 v1, 8, v1
	s_delay_alu instid0(VALU_DEP_1) | instskip(SKIP_1) | instid1(VALU_DEP_2)
	v_and_or_b32 v6, 0x7f00, v1, 0.5
	v_bfe_i32 v1, v1, 0, 16
	v_dual_add_f32 v6, -0.5, v6 :: v_dual_lshrrev_b32 v5, 4, v4
	v_cmp_gt_u32_e32 vcc_lo, 0x8000000, v4
	s_delay_alu instid0(VALU_DEP_2) | instskip(NEXT) | instid1(VALU_DEP_1)
	v_or_b32_e32 v5, 0x70000000, v5
	v_mul_f32_e32 v5, 0x7800000, v5
	s_delay_alu instid0(VALU_DEP_1) | instskip(NEXT) | instid1(VALU_DEP_1)
	v_cndmask_b32_e32 v4, v5, v6, vcc_lo
	v_and_or_b32 v1, 0x80000000, v1, v4
	s_delay_alu instid0(VALU_DEP_1) | instskip(NEXT) | instid1(VALU_DEP_1)
	v_trunc_f32_e32 v1, v1
	v_mul_f32_e64 v4, 0x2f800000, |v1|
	s_delay_alu instid0(VALU_DEP_1) | instskip(SKIP_1) | instid1(VALU_DEP_2)
	v_floor_f32_e32 v5, v4
	v_ashrrev_i32_e32 v4, 31, v1
	v_fma_f32 v6, 0xcf800000, v5, |v1|
	v_cvt_u32_f32_e32 v1, v5
	s_delay_alu instid0(VALU_DEP_3) | instskip(NEXT) | instid1(VALU_DEP_3)
	v_mov_b32_e32 v5, v4
	v_cvt_u32_f32_e32 v6, v6
	s_delay_alu instid0(VALU_DEP_3) | instskip(NEXT) | instid1(VALU_DEP_2)
	v_xor_b32_e32 v7, v1, v4
	v_xor_b32_e32 v6, v6, v4
	s_delay_alu instid0(VALU_DEP_1)
	v_sub_nc_u64_e32 v[10:11], v[6:7], v[4:5]
.LBB62_2862:
	s_mov_b32 s31, -1
	s_mov_b32 s30, 0
	s_cbranch_execnz .LBB62_2873
.LBB62_2863:
	s_cmp_gt_i32 s0, 14
	s_cbranch_scc0 .LBB62_2866
; %bb.2864:
	s_cmp_eq_u32 s0, 15
	s_cbranch_scc0 .LBB62_2869
; %bb.2865:
	global_load_u16 v1, v[2:3], off
	s_mov_b32 s1, 0
	s_mov_b32 s31, -1
	s_wait_loadcnt 0x0
	v_lshlrev_b32_e32 v1, 16, v1
	s_delay_alu instid0(VALU_DEP_1) | instskip(NEXT) | instid1(VALU_DEP_1)
	v_trunc_f32_e32 v1, v1
	v_mul_f32_e64 v4, 0x2f800000, |v1|
	s_delay_alu instid0(VALU_DEP_1) | instskip(SKIP_1) | instid1(VALU_DEP_2)
	v_floor_f32_e32 v5, v4
	v_ashrrev_i32_e32 v4, 31, v1
	v_fma_f32 v6, 0xcf800000, v5, |v1|
	v_cvt_u32_f32_e32 v1, v5
	s_delay_alu instid0(VALU_DEP_3) | instskip(NEXT) | instid1(VALU_DEP_3)
	v_mov_b32_e32 v5, v4
	v_cvt_u32_f32_e32 v6, v6
	s_delay_alu instid0(VALU_DEP_3) | instskip(NEXT) | instid1(VALU_DEP_2)
	v_xor_b32_e32 v7, v1, v4
	v_xor_b32_e32 v6, v6, v4
	s_delay_alu instid0(VALU_DEP_1)
	v_sub_nc_u64_e32 v[10:11], v[6:7], v[4:5]
	s_branch .LBB62_2871
.LBB62_2866:
	s_mov_b32 s30, -1
	s_branch .LBB62_2870
.LBB62_2867:
	s_and_not1_saveexec_b32 s30, s30
	s_cbranch_execz .LBB62_2849
.LBB62_2868:
	v_cmp_ne_u16_e32 vcc_lo, 0, v1
	s_and_not1_b32 s31, s31, exec_lo
	s_and_b32 s34, vcc_lo, exec_lo
	s_delay_alu instid0(SALU_CYCLE_1)
	s_or_b32 s31, s31, s34
	s_or_b32 exec_lo, exec_lo, s30
	v_mov_b64_e32 v[10:11], 0
	s_and_saveexec_b32 s30, s31
	s_cbranch_execnz .LBB62_2850
	s_branch .LBB62_2851
.LBB62_2869:
	s_mov_b32 s1, -1
.LBB62_2870:
                                        ; implicit-def: $vgpr10_vgpr11
.LBB62_2871:
	s_and_b32 vcc_lo, exec_lo, s30
	s_mov_b32 s30, 0
	s_cbranch_vccz .LBB62_2873
; %bb.2872:
	s_cmp_lg_u32 s0, 11
	s_mov_b32 s30, -1
	s_cselect_b32 s1, -1, 0
.LBB62_2873:
	s_delay_alu instid0(SALU_CYCLE_1)
	s_and_b32 vcc_lo, exec_lo, s1
	s_mov_b32 s43, s52
	s_cbranch_vccnz .LBB62_2934
; %bb.2874:
	s_and_not1_b32 vcc_lo, exec_lo, s30
	s_cbranch_vccnz .LBB62_2876
.LBB62_2875:
	global_load_u8 v1, v[2:3], off
	s_mov_b32 s0, 0
	s_mov_b32 s31, -1
	s_wait_loadcnt 0x1
	v_mov_b32_e32 v11, s0
	s_wait_loadcnt 0x0
	v_cmp_ne_u16_e32 vcc_lo, 0, v1
	v_cndmask_b32_e64 v10, 0, 1, vcc_lo
.LBB62_2876:
	s_branch .LBB62_2812
.LBB62_2877:
	s_and_b32 s0, 0xffff, s57
	s_delay_alu instid0(SALU_CYCLE_1)
	s_cmp_lt_i32 s0, 5
	s_cbranch_scc1 .LBB62_2882
; %bb.2878:
	s_cmp_lt_i32 s0, 8
	s_cbranch_scc1 .LBB62_2883
; %bb.2879:
	;; [unrolled: 3-line block ×3, first 2 shown]
	s_cmp_gt_i32 s0, 9
	s_cbranch_scc0 .LBB62_2885
; %bb.2881:
	global_load_b64 v[4:5], v[2:3], off
	s_mov_b32 s1, 0
	s_wait_loadcnt 0x0
	v_trunc_f64_e32 v[4:5], v[4:5]
	s_delay_alu instid0(VALU_DEP_1) | instskip(NEXT) | instid1(VALU_DEP_1)
	v_ldexp_f64 v[6:7], v[4:5], 0xffffffe0
	v_floor_f64_e32 v[6:7], v[6:7]
	s_delay_alu instid0(VALU_DEP_1) | instskip(SKIP_1) | instid1(VALU_DEP_2)
	v_fmamk_f64 v[4:5], v[6:7], 0xc1f00000, v[4:5]
	v_cvt_i32_f64_e32 v11, v[6:7]
	v_cvt_u32_f64_e32 v10, v[4:5]
	s_branch .LBB62_2886
.LBB62_2882:
                                        ; implicit-def: $vgpr10_vgpr11
	s_branch .LBB62_2903
.LBB62_2883:
                                        ; implicit-def: $vgpr10_vgpr11
	s_branch .LBB62_2892
.LBB62_2884:
	s_mov_b32 s1, -1
                                        ; implicit-def: $vgpr10_vgpr11
	s_branch .LBB62_2889
.LBB62_2885:
	s_mov_b32 s1, -1
                                        ; implicit-def: $vgpr10_vgpr11
.LBB62_2886:
	s_delay_alu instid0(SALU_CYCLE_1)
	s_and_not1_b32 vcc_lo, exec_lo, s1
	s_cbranch_vccnz .LBB62_2888
; %bb.2887:
	global_load_b32 v1, v[2:3], off
	s_wait_loadcnt 0x0
	v_trunc_f32_e32 v1, v1
	s_delay_alu instid0(VALU_DEP_1) | instskip(NEXT) | instid1(VALU_DEP_1)
	v_mul_f32_e64 v4, 0x2f800000, |v1|
	v_floor_f32_e32 v5, v4
	v_ashrrev_i32_e32 v4, 31, v1
	s_delay_alu instid0(VALU_DEP_2) | instskip(SKIP_1) | instid1(VALU_DEP_3)
	v_fma_f32 v6, 0xcf800000, v5, |v1|
	v_cvt_u32_f32_e32 v1, v5
	v_mov_b32_e32 v5, v4
	s_delay_alu instid0(VALU_DEP_3) | instskip(NEXT) | instid1(VALU_DEP_3)
	v_cvt_u32_f32_e32 v6, v6
	v_xor_b32_e32 v7, v1, v4
	s_delay_alu instid0(VALU_DEP_2) | instskip(NEXT) | instid1(VALU_DEP_1)
	v_xor_b32_e32 v6, v6, v4
	v_sub_nc_u64_e32 v[10:11], v[6:7], v[4:5]
.LBB62_2888:
	s_mov_b32 s1, 0
.LBB62_2889:
	s_delay_alu instid0(SALU_CYCLE_1)
	s_and_not1_b32 vcc_lo, exec_lo, s1
	s_cbranch_vccnz .LBB62_2891
; %bb.2890:
	global_load_b32 v1, v[2:3], off
	s_wait_loadcnt 0x0
	v_cvt_f32_f16_e32 v1, v1
	s_delay_alu instid0(VALU_DEP_1) | instskip(NEXT) | instid1(VALU_DEP_1)
	v_cvt_i32_f32_e32 v10, v1
	v_ashrrev_i32_e32 v11, 31, v10
.LBB62_2891:
	s_cbranch_execnz .LBB62_2902
.LBB62_2892:
	s_cmp_lt_i32 s0, 6
	s_cbranch_scc1 .LBB62_2895
; %bb.2893:
	s_cmp_gt_i32 s0, 6
	s_cbranch_scc0 .LBB62_2896
; %bb.2894:
	global_load_b64 v[4:5], v[2:3], off
	s_mov_b32 s1, 0
	s_wait_loadcnt 0x0
	v_trunc_f64_e32 v[4:5], v[4:5]
	s_delay_alu instid0(VALU_DEP_1) | instskip(NEXT) | instid1(VALU_DEP_1)
	v_ldexp_f64 v[6:7], v[4:5], 0xffffffe0
	v_floor_f64_e32 v[6:7], v[6:7]
	s_delay_alu instid0(VALU_DEP_1) | instskip(SKIP_1) | instid1(VALU_DEP_2)
	v_fmamk_f64 v[4:5], v[6:7], 0xc1f00000, v[4:5]
	v_cvt_i32_f64_e32 v11, v[6:7]
	v_cvt_u32_f64_e32 v10, v[4:5]
	s_branch .LBB62_2897
.LBB62_2895:
	s_mov_b32 s1, -1
                                        ; implicit-def: $vgpr10_vgpr11
	s_branch .LBB62_2900
.LBB62_2896:
	s_mov_b32 s1, -1
                                        ; implicit-def: $vgpr10_vgpr11
.LBB62_2897:
	s_delay_alu instid0(SALU_CYCLE_1)
	s_and_not1_b32 vcc_lo, exec_lo, s1
	s_cbranch_vccnz .LBB62_2899
; %bb.2898:
	global_load_b32 v1, v[2:3], off
	s_wait_loadcnt 0x0
	v_trunc_f32_e32 v1, v1
	s_delay_alu instid0(VALU_DEP_1) | instskip(NEXT) | instid1(VALU_DEP_1)
	v_mul_f32_e64 v4, 0x2f800000, |v1|
	v_floor_f32_e32 v5, v4
	v_ashrrev_i32_e32 v4, 31, v1
	s_delay_alu instid0(VALU_DEP_2) | instskip(SKIP_1) | instid1(VALU_DEP_3)
	v_fma_f32 v6, 0xcf800000, v5, |v1|
	v_cvt_u32_f32_e32 v1, v5
	v_mov_b32_e32 v5, v4
	s_delay_alu instid0(VALU_DEP_3) | instskip(NEXT) | instid1(VALU_DEP_3)
	v_cvt_u32_f32_e32 v6, v6
	v_xor_b32_e32 v7, v1, v4
	s_delay_alu instid0(VALU_DEP_2) | instskip(NEXT) | instid1(VALU_DEP_1)
	v_xor_b32_e32 v6, v6, v4
	v_sub_nc_u64_e32 v[10:11], v[6:7], v[4:5]
.LBB62_2899:
	s_mov_b32 s1, 0
.LBB62_2900:
	s_delay_alu instid0(SALU_CYCLE_1)
	s_and_not1_b32 vcc_lo, exec_lo, s1
	s_cbranch_vccnz .LBB62_2902
; %bb.2901:
	global_load_u16 v1, v[2:3], off
	s_wait_loadcnt 0x0
	v_cvt_f32_f16_e32 v1, v1
	s_delay_alu instid0(VALU_DEP_1) | instskip(NEXT) | instid1(VALU_DEP_1)
	v_cvt_i32_f32_e32 v10, v1
	v_ashrrev_i32_e32 v11, 31, v10
.LBB62_2902:
	s_cbranch_execnz .LBB62_2921
.LBB62_2903:
	s_cmp_lt_i32 s0, 2
	s_cbranch_scc1 .LBB62_2907
; %bb.2904:
	s_cmp_lt_i32 s0, 3
	s_cbranch_scc1 .LBB62_2908
; %bb.2905:
	s_cmp_gt_i32 s0, 3
	s_cbranch_scc0 .LBB62_2909
; %bb.2906:
	s_wait_loadcnt 0x0
	global_load_b64 v[10:11], v[2:3], off
	s_mov_b32 s1, 0
	s_branch .LBB62_2910
.LBB62_2907:
                                        ; implicit-def: $vgpr10_vgpr11
	s_branch .LBB62_2916
.LBB62_2908:
	s_mov_b32 s1, -1
                                        ; implicit-def: $vgpr10_vgpr11
	s_branch .LBB62_2913
.LBB62_2909:
	s_mov_b32 s1, -1
                                        ; implicit-def: $vgpr10_vgpr11
.LBB62_2910:
	s_delay_alu instid0(SALU_CYCLE_1)
	s_and_not1_b32 vcc_lo, exec_lo, s1
	s_cbranch_vccnz .LBB62_2912
; %bb.2911:
	s_wait_loadcnt 0x0
	global_load_b32 v10, v[2:3], off
	s_wait_loadcnt 0x0
	v_ashrrev_i32_e32 v11, 31, v10
.LBB62_2912:
	s_mov_b32 s1, 0
.LBB62_2913:
	s_delay_alu instid0(SALU_CYCLE_1)
	s_and_not1_b32 vcc_lo, exec_lo, s1
	s_cbranch_vccnz .LBB62_2915
; %bb.2914:
	global_load_u16 v1, v[2:3], off
	s_wait_loadcnt 0x0
	v_bfe_i32 v10, v1, 0, 16
	s_delay_alu instid0(VALU_DEP_1)
	v_ashrrev_i32_e32 v11, 31, v10
.LBB62_2915:
	s_cbranch_execnz .LBB62_2921
.LBB62_2916:
	s_cmp_gt_i32 s0, 0
	s_mov_b32 s0, 0
	s_cbranch_scc0 .LBB62_2918
; %bb.2917:
	global_load_i8 v1, v[2:3], off
	s_wait_loadcnt 0x0
	v_bfe_i32 v10, v1, 0, 16
	s_delay_alu instid0(VALU_DEP_1)
	v_ashrrev_i32_e32 v11, 31, v10
	s_branch .LBB62_2919
.LBB62_2918:
	s_mov_b32 s0, -1
                                        ; implicit-def: $vgpr10_vgpr11
.LBB62_2919:
	s_delay_alu instid0(SALU_CYCLE_1)
	s_and_not1_b32 vcc_lo, exec_lo, s0
	s_cbranch_vccnz .LBB62_2921
; %bb.2920:
	global_load_u8 v1, v[2:3], off
	s_mov_b32 s0, 0
	s_wait_loadcnt 0x1
	v_mov_b32_e32 v11, s0
	s_wait_loadcnt 0x0
	v_and_b32_e32 v10, 0xffff, v1
.LBB62_2921:
.LBB62_2922:
	s_wait_xcnt 0x0
	v_mul_lo_u32 v2, s18, v22
	s_and_b32 s58, s33, 0xff
	s_delay_alu instid0(SALU_CYCLE_1) | instskip(NEXT) | instid1(VALU_DEP_1)
	s_cmp_lt_i32 s58, 11
	v_ashrrev_i32_e32 v3, 31, v2
	s_delay_alu instid0(VALU_DEP_1)
	v_add_nc_u64_e32 v[4:5], s[8:9], v[2:3]
	s_cbranch_scc1 .LBB62_2929
; %bb.2923:
	s_and_b32 s0, 0xffff, s58
	s_mov_b32 s30, 0
	s_cmp_gt_i32 s0, 25
	s_cbranch_scc0 .LBB62_2931
; %bb.2924:
	s_cmp_gt_i32 s0, 28
	s_cbranch_scc0 .LBB62_2932
; %bb.2925:
	;; [unrolled: 3-line block ×4, first 2 shown]
	s_cmp_eq_u32 s0, 46
	s_mov_b32 s33, 0
	s_cbranch_scc0 .LBB62_2936
; %bb.2928:
	global_load_b32 v1, v[4:5], off
	s_mov_b32 s1, 0
	s_mov_b32 s31, -1
	s_wait_loadcnt 0x0
	v_lshlrev_b32_e32 v1, 16, v1
	s_delay_alu instid0(VALU_DEP_1) | instskip(NEXT) | instid1(VALU_DEP_1)
	v_trunc_f32_e32 v1, v1
	v_mul_f32_e64 v3, 0x2f800000, |v1|
	v_ashrrev_i32_e32 v6, 31, v1
	s_delay_alu instid0(VALU_DEP_2) | instskip(NEXT) | instid1(VALU_DEP_1)
	v_floor_f32_e32 v3, v3
	v_fma_f32 v7, 0xcf800000, v3, |v1|
	v_cvt_u32_f32_e32 v1, v3
	s_delay_alu instid0(VALU_DEP_2) | instskip(NEXT) | instid1(VALU_DEP_2)
	v_cvt_u32_f32_e32 v3, v7
	v_dual_mov_b32 v7, v6 :: v_dual_bitop2_b32 v9, v1, v6 bitop3:0x14
	s_delay_alu instid0(VALU_DEP_2) | instskip(NEXT) | instid1(VALU_DEP_1)
	v_xor_b32_e32 v8, v3, v6
	v_sub_nc_u64_e32 v[12:13], v[8:9], v[6:7]
	s_branch .LBB62_2938
.LBB62_2929:
	s_mov_b32 s31, 0
                                        ; implicit-def: $vgpr12_vgpr13
	s_cbranch_execnz .LBB62_2999
.LBB62_2930:
	s_and_not1_b32 vcc_lo, exec_lo, s31
	s_cbranch_vccnz .LBB62_3434
	s_branch .LBB62_3046
.LBB62_2931:
	s_mov_b32 s31, 0
	s_mov_b32 s1, 0
                                        ; implicit-def: $vgpr12_vgpr13
	s_cbranch_execnz .LBB62_2965
	s_branch .LBB62_2995
.LBB62_2932:
	s_mov_b32 s33, -1
	s_mov_b32 s31, 0
	s_mov_b32 s1, 0
                                        ; implicit-def: $vgpr12_vgpr13
	s_branch .LBB62_2948
.LBB62_2933:
	s_mov_b32 s33, -1
	s_mov_b32 s31, 0
	s_mov_b32 s1, 0
                                        ; implicit-def: $vgpr12_vgpr13
	s_branch .LBB62_2943
.LBB62_2934:
	s_or_b32 s43, s52, exec_lo
	s_trap 2
	s_cbranch_execz .LBB62_2875
	s_branch .LBB62_2876
.LBB62_2935:
	s_mov_b32 s33, -1
	s_mov_b32 s31, 0
	s_mov_b32 s1, 0
	s_branch .LBB62_2937
.LBB62_2936:
	s_mov_b32 s1, -1
	s_mov_b32 s31, 0
.LBB62_2937:
                                        ; implicit-def: $vgpr12_vgpr13
.LBB62_2938:
	s_and_b32 vcc_lo, exec_lo, s33
	s_cbranch_vccz .LBB62_2942
; %bb.2939:
	s_cmp_eq_u32 s0, 44
	s_cbranch_scc0 .LBB62_2941
; %bb.2940:
	global_load_u8 v1, v[4:5], off
	s_mov_b32 s1, 0
	s_mov_b32 s31, -1
	s_wait_loadcnt 0x0
	v_lshlrev_b32_e32 v3, 23, v1
	v_cmp_ne_u32_e32 vcc_lo, 0, v1
	s_delay_alu instid0(VALU_DEP_2) | instskip(NEXT) | instid1(VALU_DEP_1)
	v_trunc_f32_e32 v3, v3
	v_mul_f32_e64 v6, 0x2f800000, |v3|
	s_delay_alu instid0(VALU_DEP_1) | instskip(SKIP_1) | instid1(VALU_DEP_2)
	v_floor_f32_e32 v7, v6
	v_ashrrev_i32_e32 v6, 31, v3
	v_fma_f32 v8, 0xcf800000, v7, |v3|
	v_cvt_u32_f32_e32 v3, v7
	s_delay_alu instid0(VALU_DEP_3) | instskip(NEXT) | instid1(VALU_DEP_3)
	v_mov_b32_e32 v7, v6
	v_cvt_u32_f32_e32 v8, v8
	s_delay_alu instid0(VALU_DEP_3) | instskip(NEXT) | instid1(VALU_DEP_2)
	v_xor_b32_e32 v9, v3, v6
	v_xor_b32_e32 v8, v8, v6
	s_delay_alu instid0(VALU_DEP_1) | instskip(NEXT) | instid1(VALU_DEP_1)
	v_sub_nc_u64_e32 v[6:7], v[8:9], v[6:7]
	v_dual_cndmask_b32 v13, 0, v7 :: v_dual_cndmask_b32 v12, 0, v6
	s_branch .LBB62_2942
.LBB62_2941:
	s_mov_b32 s1, -1
                                        ; implicit-def: $vgpr12_vgpr13
.LBB62_2942:
	s_mov_b32 s33, 0
.LBB62_2943:
	s_delay_alu instid0(SALU_CYCLE_1)
	s_and_b32 vcc_lo, exec_lo, s33
	s_cbranch_vccz .LBB62_2947
; %bb.2944:
	s_cmp_eq_u32 s0, 29
	s_cbranch_scc0 .LBB62_2946
; %bb.2945:
	global_load_b64 v[12:13], v[4:5], off
	s_mov_b32 s1, 0
	s_mov_b32 s31, -1
	s_branch .LBB62_2947
.LBB62_2946:
	s_mov_b32 s1, -1
                                        ; implicit-def: $vgpr12_vgpr13
.LBB62_2947:
	s_mov_b32 s33, 0
.LBB62_2948:
	s_delay_alu instid0(SALU_CYCLE_1)
	s_and_b32 vcc_lo, exec_lo, s33
	s_cbranch_vccz .LBB62_2964
; %bb.2949:
	s_cmp_lt_i32 s0, 27
	s_cbranch_scc1 .LBB62_2952
; %bb.2950:
	s_cmp_gt_i32 s0, 27
	s_cbranch_scc0 .LBB62_2953
; %bb.2951:
	s_wait_loadcnt 0x0
	global_load_b32 v12, v[4:5], off
	v_mov_b32_e32 v13, 0
	s_mov_b32 s31, 0
	s_branch .LBB62_2954
.LBB62_2952:
	s_mov_b32 s31, -1
                                        ; implicit-def: $vgpr12_vgpr13
	s_branch .LBB62_2957
.LBB62_2953:
	s_mov_b32 s31, -1
                                        ; implicit-def: $vgpr12_vgpr13
.LBB62_2954:
	s_delay_alu instid0(SALU_CYCLE_1)
	s_and_not1_b32 vcc_lo, exec_lo, s31
	s_cbranch_vccnz .LBB62_2956
; %bb.2955:
	global_load_u16 v1, v[4:5], off
	s_mov_b32 s31, 0
	s_wait_loadcnt 0x1
	v_mov_b32_e32 v13, s31
	s_wait_loadcnt 0x0
	v_and_b32_e32 v12, 0xffff, v1
.LBB62_2956:
	s_mov_b32 s31, 0
.LBB62_2957:
	s_delay_alu instid0(SALU_CYCLE_1)
	s_and_not1_b32 vcc_lo, exec_lo, s31
	s_cbranch_vccnz .LBB62_2963
; %bb.2958:
	global_load_u8 v1, v[4:5], off
	s_mov_b32 s33, 0
	s_mov_b32 s31, exec_lo
	s_wait_loadcnt 0x0
	v_cmpx_lt_i16_e32 0x7f, v1
	s_xor_b32 s31, exec_lo, s31
	s_cbranch_execz .LBB62_2974
; %bb.2959:
	v_cmp_ne_u16_e32 vcc_lo, 0x80, v1
	s_and_b32 s33, vcc_lo, exec_lo
	s_and_not1_saveexec_b32 s31, s31
	s_cbranch_execnz .LBB62_2975
.LBB62_2960:
	s_or_b32 exec_lo, exec_lo, s31
	v_mov_b64_e32 v[12:13], 0
	s_and_saveexec_b32 s31, s33
	s_cbranch_execz .LBB62_2962
.LBB62_2961:
	v_and_b32_e32 v3, 0xffff, v1
	s_delay_alu instid0(VALU_DEP_1) | instskip(SKIP_1) | instid1(VALU_DEP_2)
	v_dual_lshlrev_b32 v1, 24, v1 :: v_dual_bitop2_b32 v6, 7, v3 bitop3:0x40
	v_bfe_u32 v9, v3, 3, 4
	v_and_b32_e32 v1, 0x80000000, v1
	s_delay_alu instid0(VALU_DEP_3) | instskip(NEXT) | instid1(VALU_DEP_3)
	v_clz_i32_u32_e32 v7, v6
	v_cmp_eq_u32_e32 vcc_lo, 0, v9
	s_delay_alu instid0(VALU_DEP_2) | instskip(NEXT) | instid1(VALU_DEP_1)
	v_min_u32_e32 v7, 32, v7
	v_subrev_nc_u32_e32 v8, 28, v7
	v_sub_nc_u32_e32 v7, 29, v7
	s_delay_alu instid0(VALU_DEP_2) | instskip(NEXT) | instid1(VALU_DEP_2)
	v_lshlrev_b32_e32 v3, v8, v3
	v_cndmask_b32_e32 v7, v9, v7, vcc_lo
	s_delay_alu instid0(VALU_DEP_2) | instskip(NEXT) | instid1(VALU_DEP_1)
	v_and_b32_e32 v3, 7, v3
	v_cndmask_b32_e32 v3, v6, v3, vcc_lo
	s_delay_alu instid0(VALU_DEP_3) | instskip(NEXT) | instid1(VALU_DEP_2)
	v_lshl_add_u32 v6, v7, 23, 0x3b800000
	v_lshlrev_b32_e32 v3, 20, v3
	s_delay_alu instid0(VALU_DEP_1) | instskip(NEXT) | instid1(VALU_DEP_1)
	v_or3_b32 v1, v1, v6, v3
	v_trunc_f32_e32 v1, v1
	s_delay_alu instid0(VALU_DEP_1) | instskip(SKIP_1) | instid1(VALU_DEP_2)
	v_mul_f32_e64 v3, 0x2f800000, |v1|
	v_ashrrev_i32_e32 v6, 31, v1
	v_floor_f32_e32 v3, v3
	s_delay_alu instid0(VALU_DEP_1) | instskip(SKIP_1) | instid1(VALU_DEP_2)
	v_fma_f32 v7, 0xcf800000, v3, |v1|
	v_cvt_u32_f32_e32 v1, v3
	v_cvt_u32_f32_e32 v3, v7
	s_delay_alu instid0(VALU_DEP_2) | instskip(NEXT) | instid1(VALU_DEP_2)
	v_dual_mov_b32 v7, v6 :: v_dual_bitop2_b32 v9, v1, v6 bitop3:0x14
	v_xor_b32_e32 v8, v3, v6
	s_delay_alu instid0(VALU_DEP_1)
	v_sub_nc_u64_e32 v[12:13], v[8:9], v[6:7]
.LBB62_2962:
	s_or_b32 exec_lo, exec_lo, s31
.LBB62_2963:
	s_mov_b32 s31, -1
.LBB62_2964:
	s_branch .LBB62_2995
.LBB62_2965:
	s_cmp_gt_i32 s0, 22
	s_cbranch_scc0 .LBB62_2973
; %bb.2966:
	s_cmp_lt_i32 s0, 24
	s_cbranch_scc1 .LBB62_2976
; %bb.2967:
	s_cmp_gt_i32 s0, 24
	s_cbranch_scc0 .LBB62_2977
; %bb.2968:
	global_load_u8 v1, v[4:5], off
	s_mov_b32 s31, 0
	s_mov_b32 s30, exec_lo
	s_wait_loadcnt 0x0
	v_cmpx_lt_i16_e32 0x7f, v1
	s_xor_b32 s30, exec_lo, s30
	s_cbranch_execz .LBB62_2989
; %bb.2969:
	v_cmp_ne_u16_e32 vcc_lo, 0x80, v1
	s_and_b32 s31, vcc_lo, exec_lo
	s_and_not1_saveexec_b32 s30, s30
	s_cbranch_execnz .LBB62_2990
.LBB62_2970:
	s_or_b32 exec_lo, exec_lo, s30
	v_mov_b64_e32 v[12:13], 0
	s_and_saveexec_b32 s30, s31
	s_cbranch_execz .LBB62_2972
.LBB62_2971:
	v_and_b32_e32 v3, 0xffff, v1
	s_delay_alu instid0(VALU_DEP_1) | instskip(SKIP_1) | instid1(VALU_DEP_2)
	v_dual_lshlrev_b32 v1, 24, v1 :: v_dual_bitop2_b32 v6, 3, v3 bitop3:0x40
	v_bfe_u32 v9, v3, 2, 5
	v_and_b32_e32 v1, 0x80000000, v1
	s_delay_alu instid0(VALU_DEP_3) | instskip(NEXT) | instid1(VALU_DEP_3)
	v_clz_i32_u32_e32 v7, v6
	v_cmp_eq_u32_e32 vcc_lo, 0, v9
	s_delay_alu instid0(VALU_DEP_2) | instskip(NEXT) | instid1(VALU_DEP_1)
	v_min_u32_e32 v7, 32, v7
	v_subrev_nc_u32_e32 v8, 29, v7
	v_sub_nc_u32_e32 v7, 30, v7
	s_delay_alu instid0(VALU_DEP_2) | instskip(NEXT) | instid1(VALU_DEP_2)
	v_lshlrev_b32_e32 v3, v8, v3
	v_cndmask_b32_e32 v7, v9, v7, vcc_lo
	s_delay_alu instid0(VALU_DEP_2) | instskip(NEXT) | instid1(VALU_DEP_1)
	v_and_b32_e32 v3, 3, v3
	v_cndmask_b32_e32 v3, v6, v3, vcc_lo
	s_delay_alu instid0(VALU_DEP_3) | instskip(NEXT) | instid1(VALU_DEP_2)
	v_lshl_add_u32 v6, v7, 23, 0x37800000
	v_lshlrev_b32_e32 v3, 21, v3
	s_delay_alu instid0(VALU_DEP_1) | instskip(NEXT) | instid1(VALU_DEP_1)
	v_or3_b32 v1, v1, v6, v3
	v_trunc_f32_e32 v1, v1
	s_delay_alu instid0(VALU_DEP_1) | instskip(SKIP_1) | instid1(VALU_DEP_2)
	v_mul_f32_e64 v3, 0x2f800000, |v1|
	v_ashrrev_i32_e32 v6, 31, v1
	v_floor_f32_e32 v3, v3
	s_delay_alu instid0(VALU_DEP_1) | instskip(SKIP_1) | instid1(VALU_DEP_2)
	v_fma_f32 v7, 0xcf800000, v3, |v1|
	v_cvt_u32_f32_e32 v1, v3
	v_cvt_u32_f32_e32 v3, v7
	s_delay_alu instid0(VALU_DEP_2) | instskip(NEXT) | instid1(VALU_DEP_2)
	v_dual_mov_b32 v7, v6 :: v_dual_bitop2_b32 v9, v1, v6 bitop3:0x14
	v_xor_b32_e32 v8, v3, v6
	s_delay_alu instid0(VALU_DEP_1)
	v_sub_nc_u64_e32 v[12:13], v[8:9], v[6:7]
.LBB62_2972:
	s_or_b32 exec_lo, exec_lo, s30
	s_mov_b32 s30, 0
	s_branch .LBB62_2978
.LBB62_2973:
	s_mov_b32 s30, -1
                                        ; implicit-def: $vgpr12_vgpr13
	s_branch .LBB62_2984
.LBB62_2974:
	s_and_not1_saveexec_b32 s31, s31
	s_cbranch_execz .LBB62_2960
.LBB62_2975:
	v_cmp_ne_u16_e32 vcc_lo, 0, v1
	s_and_not1_b32 s33, s33, exec_lo
	s_and_b32 s34, vcc_lo, exec_lo
	s_delay_alu instid0(SALU_CYCLE_1)
	s_or_b32 s33, s33, s34
	s_or_b32 exec_lo, exec_lo, s31
	v_mov_b64_e32 v[12:13], 0
	s_and_saveexec_b32 s31, s33
	s_cbranch_execnz .LBB62_2961
	s_branch .LBB62_2962
.LBB62_2976:
	s_mov_b32 s30, -1
                                        ; implicit-def: $vgpr12_vgpr13
	s_branch .LBB62_2981
.LBB62_2977:
	s_mov_b32 s30, -1
                                        ; implicit-def: $vgpr12_vgpr13
.LBB62_2978:
	s_delay_alu instid0(SALU_CYCLE_1)
	s_and_b32 vcc_lo, exec_lo, s30
	s_cbranch_vccz .LBB62_2980
; %bb.2979:
	global_load_u8 v1, v[4:5], off
	s_wait_loadcnt 0x0
	v_lshlrev_b32_e32 v1, 24, v1
	s_delay_alu instid0(VALU_DEP_1) | instskip(NEXT) | instid1(VALU_DEP_1)
	v_and_b32_e32 v3, 0x7f000000, v1
	v_clz_i32_u32_e32 v6, v3
	v_cmp_ne_u32_e32 vcc_lo, 0, v3
	v_add_nc_u32_e32 v8, 0x1000000, v3
	s_delay_alu instid0(VALU_DEP_3) | instskip(NEXT) | instid1(VALU_DEP_1)
	v_min_u32_e32 v6, 32, v6
	v_sub_nc_u32_e64 v6, v6, 4 clamp
	s_delay_alu instid0(VALU_DEP_1) | instskip(NEXT) | instid1(VALU_DEP_1)
	v_dual_lshlrev_b32 v7, v6, v3 :: v_dual_lshlrev_b32 v6, 23, v6
	v_lshrrev_b32_e32 v7, 4, v7
	s_delay_alu instid0(VALU_DEP_1) | instskip(NEXT) | instid1(VALU_DEP_1)
	v_dual_sub_nc_u32 v6, v7, v6 :: v_dual_ashrrev_i32 v7, 8, v8
	v_add_nc_u32_e32 v6, 0x3c000000, v6
	s_delay_alu instid0(VALU_DEP_1) | instskip(NEXT) | instid1(VALU_DEP_1)
	v_and_or_b32 v6, 0x7f800000, v7, v6
	v_cndmask_b32_e32 v3, 0, v6, vcc_lo
	s_delay_alu instid0(VALU_DEP_1) | instskip(NEXT) | instid1(VALU_DEP_1)
	v_and_or_b32 v1, 0x80000000, v1, v3
	v_trunc_f32_e32 v1, v1
	s_delay_alu instid0(VALU_DEP_1) | instskip(SKIP_1) | instid1(VALU_DEP_2)
	v_mul_f32_e64 v3, 0x2f800000, |v1|
	v_ashrrev_i32_e32 v6, 31, v1
	v_floor_f32_e32 v3, v3
	s_delay_alu instid0(VALU_DEP_1) | instskip(SKIP_1) | instid1(VALU_DEP_2)
	v_fma_f32 v7, 0xcf800000, v3, |v1|
	v_cvt_u32_f32_e32 v1, v3
	v_cvt_u32_f32_e32 v3, v7
	s_delay_alu instid0(VALU_DEP_2) | instskip(NEXT) | instid1(VALU_DEP_2)
	v_dual_mov_b32 v7, v6 :: v_dual_bitop2_b32 v9, v1, v6 bitop3:0x14
	v_xor_b32_e32 v8, v3, v6
	s_delay_alu instid0(VALU_DEP_1)
	v_sub_nc_u64_e32 v[12:13], v[8:9], v[6:7]
.LBB62_2980:
	s_mov_b32 s30, 0
.LBB62_2981:
	s_delay_alu instid0(SALU_CYCLE_1)
	s_and_not1_b32 vcc_lo, exec_lo, s30
	s_cbranch_vccnz .LBB62_2983
; %bb.2982:
	global_load_u8 v1, v[4:5], off
	s_wait_loadcnt 0x0
	v_lshlrev_b32_e32 v3, 25, v1
	v_lshlrev_b16 v1, 8, v1
	s_delay_alu instid0(VALU_DEP_1) | instskip(SKIP_1) | instid1(VALU_DEP_2)
	v_and_or_b32 v7, 0x7f00, v1, 0.5
	v_bfe_i32 v1, v1, 0, 16
	v_add_f32_e32 v7, -0.5, v7
	v_lshrrev_b32_e32 v6, 4, v3
	v_cmp_gt_u32_e32 vcc_lo, 0x8000000, v3
	s_delay_alu instid0(VALU_DEP_2) | instskip(NEXT) | instid1(VALU_DEP_1)
	v_or_b32_e32 v6, 0x70000000, v6
	v_mul_f32_e32 v6, 0x7800000, v6
	s_delay_alu instid0(VALU_DEP_1) | instskip(NEXT) | instid1(VALU_DEP_1)
	v_cndmask_b32_e32 v3, v6, v7, vcc_lo
	v_and_or_b32 v1, 0x80000000, v1, v3
	s_delay_alu instid0(VALU_DEP_1) | instskip(NEXT) | instid1(VALU_DEP_1)
	v_trunc_f32_e32 v1, v1
	v_mul_f32_e64 v3, 0x2f800000, |v1|
	v_ashrrev_i32_e32 v6, 31, v1
	s_delay_alu instid0(VALU_DEP_2) | instskip(NEXT) | instid1(VALU_DEP_1)
	v_floor_f32_e32 v3, v3
	v_fma_f32 v7, 0xcf800000, v3, |v1|
	v_cvt_u32_f32_e32 v1, v3
	s_delay_alu instid0(VALU_DEP_2) | instskip(NEXT) | instid1(VALU_DEP_2)
	v_cvt_u32_f32_e32 v3, v7
	v_dual_mov_b32 v7, v6 :: v_dual_bitop2_b32 v9, v1, v6 bitop3:0x14
	s_delay_alu instid0(VALU_DEP_2) | instskip(NEXT) | instid1(VALU_DEP_1)
	v_xor_b32_e32 v8, v3, v6
	v_sub_nc_u64_e32 v[12:13], v[8:9], v[6:7]
.LBB62_2983:
	s_mov_b32 s30, 0
	s_mov_b32 s31, -1
.LBB62_2984:
	s_and_not1_b32 vcc_lo, exec_lo, s30
	s_mov_b32 s30, 0
	s_cbranch_vccnz .LBB62_2995
; %bb.2985:
	s_cmp_gt_i32 s0, 14
	s_cbranch_scc0 .LBB62_2988
; %bb.2986:
	s_cmp_eq_u32 s0, 15
	s_cbranch_scc0 .LBB62_2991
; %bb.2987:
	global_load_u16 v1, v[4:5], off
	s_mov_b32 s1, 0
	s_mov_b32 s31, -1
	s_wait_loadcnt 0x0
	v_lshlrev_b32_e32 v1, 16, v1
	s_delay_alu instid0(VALU_DEP_1) | instskip(NEXT) | instid1(VALU_DEP_1)
	v_trunc_f32_e32 v1, v1
	v_mul_f32_e64 v3, 0x2f800000, |v1|
	v_ashrrev_i32_e32 v6, 31, v1
	s_delay_alu instid0(VALU_DEP_2) | instskip(NEXT) | instid1(VALU_DEP_1)
	v_floor_f32_e32 v3, v3
	v_fma_f32 v7, 0xcf800000, v3, |v1|
	v_cvt_u32_f32_e32 v1, v3
	s_delay_alu instid0(VALU_DEP_2) | instskip(NEXT) | instid1(VALU_DEP_2)
	v_cvt_u32_f32_e32 v3, v7
	v_dual_mov_b32 v7, v6 :: v_dual_bitop2_b32 v9, v1, v6 bitop3:0x14
	s_delay_alu instid0(VALU_DEP_2) | instskip(NEXT) | instid1(VALU_DEP_1)
	v_xor_b32_e32 v8, v3, v6
	v_sub_nc_u64_e32 v[12:13], v[8:9], v[6:7]
	s_branch .LBB62_2993
.LBB62_2988:
	s_mov_b32 s30, -1
	s_branch .LBB62_2992
.LBB62_2989:
	s_and_not1_saveexec_b32 s30, s30
	s_cbranch_execz .LBB62_2970
.LBB62_2990:
	v_cmp_ne_u16_e32 vcc_lo, 0, v1
	s_and_not1_b32 s31, s31, exec_lo
	s_and_b32 s33, vcc_lo, exec_lo
	s_delay_alu instid0(SALU_CYCLE_1)
	s_or_b32 s31, s31, s33
	s_or_b32 exec_lo, exec_lo, s30
	v_mov_b64_e32 v[12:13], 0
	s_and_saveexec_b32 s30, s31
	s_cbranch_execnz .LBB62_2971
	s_branch .LBB62_2972
.LBB62_2991:
	s_mov_b32 s1, -1
.LBB62_2992:
                                        ; implicit-def: $vgpr12_vgpr13
.LBB62_2993:
	s_and_b32 vcc_lo, exec_lo, s30
	s_mov_b32 s30, 0
	s_cbranch_vccz .LBB62_2995
; %bb.2994:
	s_cmp_lg_u32 s0, 11
	s_mov_b32 s30, -1
	s_cselect_b32 s1, -1, 0
.LBB62_2995:
	s_delay_alu instid0(SALU_CYCLE_1)
	s_and_b32 vcc_lo, exec_lo, s1
	s_cbranch_vccnz .LBB62_3058
; %bb.2996:
	s_and_not1_b32 vcc_lo, exec_lo, s30
	s_cbranch_vccnz .LBB62_2998
.LBB62_2997:
	global_load_u8 v1, v[4:5], off
	s_mov_b32 s0, 0
	s_mov_b32 s31, -1
	s_wait_loadcnt 0x1
	v_mov_b32_e32 v13, s0
	s_wait_loadcnt 0x0
	v_cmp_ne_u16_e32 vcc_lo, 0, v1
	v_cndmask_b32_e64 v12, 0, 1, vcc_lo
.LBB62_2998:
	s_branch .LBB62_2930
.LBB62_2999:
	s_and_b32 s0, 0xffff, s58
	s_delay_alu instid0(SALU_CYCLE_1)
	s_cmp_lt_i32 s0, 5
	s_cbranch_scc1 .LBB62_3004
; %bb.3000:
	s_cmp_lt_i32 s0, 8
	s_cbranch_scc1 .LBB62_3005
; %bb.3001:
	;; [unrolled: 3-line block ×3, first 2 shown]
	s_cmp_gt_i32 s0, 9
	s_cbranch_scc0 .LBB62_3007
; %bb.3003:
	global_load_b64 v[6:7], v[4:5], off
	s_mov_b32 s1, 0
	s_wait_loadcnt 0x0
	v_trunc_f64_e32 v[6:7], v[6:7]
	s_delay_alu instid0(VALU_DEP_1) | instskip(NEXT) | instid1(VALU_DEP_1)
	v_ldexp_f64 v[8:9], v[6:7], 0xffffffe0
	v_floor_f64_e32 v[8:9], v[8:9]
	s_delay_alu instid0(VALU_DEP_1) | instskip(SKIP_1) | instid1(VALU_DEP_2)
	v_fmamk_f64 v[6:7], v[8:9], 0xc1f00000, v[6:7]
	v_cvt_i32_f64_e32 v13, v[8:9]
	v_cvt_u32_f64_e32 v12, v[6:7]
	s_branch .LBB62_3008
.LBB62_3004:
                                        ; implicit-def: $vgpr12_vgpr13
	s_branch .LBB62_3026
.LBB62_3005:
	s_mov_b32 s1, -1
                                        ; implicit-def: $vgpr12_vgpr13
	s_branch .LBB62_3014
.LBB62_3006:
	s_mov_b32 s1, -1
                                        ; implicit-def: $vgpr12_vgpr13
	s_branch .LBB62_3011
.LBB62_3007:
	s_mov_b32 s1, -1
                                        ; implicit-def: $vgpr12_vgpr13
.LBB62_3008:
	s_delay_alu instid0(SALU_CYCLE_1)
	s_and_not1_b32 vcc_lo, exec_lo, s1
	s_cbranch_vccnz .LBB62_3010
; %bb.3009:
	global_load_b32 v1, v[4:5], off
	s_wait_loadcnt 0x0
	v_trunc_f32_e32 v1, v1
	s_delay_alu instid0(VALU_DEP_1) | instskip(SKIP_1) | instid1(VALU_DEP_2)
	v_mul_f32_e64 v3, 0x2f800000, |v1|
	v_ashrrev_i32_e32 v6, 31, v1
	v_floor_f32_e32 v3, v3
	s_delay_alu instid0(VALU_DEP_1) | instskip(SKIP_1) | instid1(VALU_DEP_2)
	v_fma_f32 v7, 0xcf800000, v3, |v1|
	v_cvt_u32_f32_e32 v1, v3
	v_cvt_u32_f32_e32 v3, v7
	s_delay_alu instid0(VALU_DEP_2) | instskip(NEXT) | instid1(VALU_DEP_2)
	v_dual_mov_b32 v7, v6 :: v_dual_bitop2_b32 v9, v1, v6 bitop3:0x14
	v_xor_b32_e32 v8, v3, v6
	s_delay_alu instid0(VALU_DEP_1)
	v_sub_nc_u64_e32 v[12:13], v[8:9], v[6:7]
.LBB62_3010:
	s_mov_b32 s1, 0
.LBB62_3011:
	s_delay_alu instid0(SALU_CYCLE_1)
	s_and_not1_b32 vcc_lo, exec_lo, s1
	s_cbranch_vccnz .LBB62_3013
; %bb.3012:
	global_load_b32 v1, v[4:5], off
	s_wait_loadcnt 0x0
	v_cvt_f32_f16_e32 v1, v1
	s_delay_alu instid0(VALU_DEP_1) | instskip(NEXT) | instid1(VALU_DEP_1)
	v_cvt_i32_f32_e32 v12, v1
	v_ashrrev_i32_e32 v13, 31, v12
.LBB62_3013:
	s_mov_b32 s1, 0
.LBB62_3014:
	s_delay_alu instid0(SALU_CYCLE_1)
	s_and_not1_b32 vcc_lo, exec_lo, s1
	s_cbranch_vccnz .LBB62_3025
; %bb.3015:
	s_cmp_lt_i32 s0, 6
	s_cbranch_scc1 .LBB62_3018
; %bb.3016:
	s_cmp_gt_i32 s0, 6
	s_cbranch_scc0 .LBB62_3019
; %bb.3017:
	global_load_b64 v[6:7], v[4:5], off
	s_mov_b32 s1, 0
	s_wait_loadcnt 0x0
	v_trunc_f64_e32 v[6:7], v[6:7]
	s_delay_alu instid0(VALU_DEP_1) | instskip(NEXT) | instid1(VALU_DEP_1)
	v_ldexp_f64 v[8:9], v[6:7], 0xffffffe0
	v_floor_f64_e32 v[8:9], v[8:9]
	s_delay_alu instid0(VALU_DEP_1) | instskip(SKIP_1) | instid1(VALU_DEP_2)
	v_fmamk_f64 v[6:7], v[8:9], 0xc1f00000, v[6:7]
	v_cvt_i32_f64_e32 v13, v[8:9]
	v_cvt_u32_f64_e32 v12, v[6:7]
	s_branch .LBB62_3020
.LBB62_3018:
	s_mov_b32 s1, -1
                                        ; implicit-def: $vgpr12_vgpr13
	s_branch .LBB62_3023
.LBB62_3019:
	s_mov_b32 s1, -1
                                        ; implicit-def: $vgpr12_vgpr13
.LBB62_3020:
	s_delay_alu instid0(SALU_CYCLE_1)
	s_and_not1_b32 vcc_lo, exec_lo, s1
	s_cbranch_vccnz .LBB62_3022
; %bb.3021:
	global_load_b32 v1, v[4:5], off
	s_wait_loadcnt 0x0
	v_trunc_f32_e32 v1, v1
	s_delay_alu instid0(VALU_DEP_1) | instskip(SKIP_1) | instid1(VALU_DEP_2)
	v_mul_f32_e64 v3, 0x2f800000, |v1|
	v_ashrrev_i32_e32 v6, 31, v1
	v_floor_f32_e32 v3, v3
	s_delay_alu instid0(VALU_DEP_1) | instskip(SKIP_1) | instid1(VALU_DEP_2)
	v_fma_f32 v7, 0xcf800000, v3, |v1|
	v_cvt_u32_f32_e32 v1, v3
	v_cvt_u32_f32_e32 v3, v7
	s_delay_alu instid0(VALU_DEP_2) | instskip(NEXT) | instid1(VALU_DEP_2)
	v_dual_mov_b32 v7, v6 :: v_dual_bitop2_b32 v9, v1, v6 bitop3:0x14
	v_xor_b32_e32 v8, v3, v6
	s_delay_alu instid0(VALU_DEP_1)
	v_sub_nc_u64_e32 v[12:13], v[8:9], v[6:7]
.LBB62_3022:
	s_mov_b32 s1, 0
.LBB62_3023:
	s_delay_alu instid0(SALU_CYCLE_1)
	s_and_not1_b32 vcc_lo, exec_lo, s1
	s_cbranch_vccnz .LBB62_3025
; %bb.3024:
	global_load_u16 v1, v[4:5], off
	s_wait_loadcnt 0x0
	v_cvt_f32_f16_e32 v1, v1
	s_delay_alu instid0(VALU_DEP_1) | instskip(NEXT) | instid1(VALU_DEP_1)
	v_cvt_i32_f32_e32 v12, v1
	v_ashrrev_i32_e32 v13, 31, v12
.LBB62_3025:
	s_cbranch_execnz .LBB62_3045
.LBB62_3026:
	s_cmp_lt_i32 s0, 2
	s_cbranch_scc1 .LBB62_3030
; %bb.3027:
	s_cmp_lt_i32 s0, 3
	s_cbranch_scc1 .LBB62_3031
; %bb.3028:
	s_cmp_gt_i32 s0, 3
	s_cbranch_scc0 .LBB62_3032
; %bb.3029:
	s_wait_loadcnt 0x0
	global_load_b64 v[12:13], v[4:5], off
	s_mov_b32 s1, 0
	s_branch .LBB62_3033
.LBB62_3030:
	s_mov_b32 s1, -1
                                        ; implicit-def: $vgpr12_vgpr13
	s_branch .LBB62_3039
.LBB62_3031:
	s_mov_b32 s1, -1
                                        ; implicit-def: $vgpr12_vgpr13
	s_branch .LBB62_3036
.LBB62_3032:
	s_mov_b32 s1, -1
                                        ; implicit-def: $vgpr12_vgpr13
.LBB62_3033:
	s_delay_alu instid0(SALU_CYCLE_1)
	s_and_not1_b32 vcc_lo, exec_lo, s1
	s_cbranch_vccnz .LBB62_3035
; %bb.3034:
	s_wait_loadcnt 0x0
	global_load_b32 v12, v[4:5], off
	s_wait_loadcnt 0x0
	v_ashrrev_i32_e32 v13, 31, v12
.LBB62_3035:
	s_mov_b32 s1, 0
.LBB62_3036:
	s_delay_alu instid0(SALU_CYCLE_1)
	s_and_not1_b32 vcc_lo, exec_lo, s1
	s_cbranch_vccnz .LBB62_3038
; %bb.3037:
	global_load_u16 v1, v[4:5], off
	s_wait_loadcnt 0x0
	v_bfe_i32 v12, v1, 0, 16
	s_delay_alu instid0(VALU_DEP_1)
	v_ashrrev_i32_e32 v13, 31, v12
.LBB62_3038:
	s_mov_b32 s1, 0
.LBB62_3039:
	s_delay_alu instid0(SALU_CYCLE_1)
	s_and_not1_b32 vcc_lo, exec_lo, s1
	s_cbranch_vccnz .LBB62_3045
; %bb.3040:
	s_cmp_gt_i32 s0, 0
	s_mov_b32 s0, 0
	s_cbranch_scc0 .LBB62_3042
; %bb.3041:
	global_load_i8 v1, v[4:5], off
	s_wait_loadcnt 0x0
	v_bfe_i32 v12, v1, 0, 16
	s_delay_alu instid0(VALU_DEP_1)
	v_ashrrev_i32_e32 v13, 31, v12
	s_branch .LBB62_3043
.LBB62_3042:
	s_mov_b32 s0, -1
                                        ; implicit-def: $vgpr12_vgpr13
.LBB62_3043:
	s_delay_alu instid0(SALU_CYCLE_1)
	s_and_not1_b32 vcc_lo, exec_lo, s0
	s_cbranch_vccnz .LBB62_3045
; %bb.3044:
	global_load_u8 v1, v[4:5], off
	s_mov_b32 s0, 0
	s_wait_loadcnt 0x1
	v_mov_b32_e32 v13, s0
	s_wait_loadcnt 0x0
	v_and_b32_e32 v12, 0xffff, v1
.LBB62_3045:
.LBB62_3046:
	s_wait_xcnt 0x0
	v_mul_lo_u32 v4, s19, v22
	s_and_b32 s59, s28, 0xff
	s_delay_alu instid0(SALU_CYCLE_1) | instskip(NEXT) | instid1(VALU_DEP_1)
	s_cmp_lt_i32 s59, 11
	v_ashrrev_i32_e32 v5, 31, v4
	s_delay_alu instid0(VALU_DEP_1)
	v_add_nc_u64_e32 v[6:7], s[10:11], v[4:5]
	s_cbranch_scc1 .LBB62_3053
; %bb.3047:
	s_and_b32 s0, 0xffff, s59
	s_mov_b32 s28, 0
	s_cmp_gt_i32 s0, 25
	s_cbranch_scc0 .LBB62_3055
; %bb.3048:
	s_cmp_gt_i32 s0, 28
	s_cbranch_scc0 .LBB62_3056
; %bb.3049:
	;; [unrolled: 3-line block ×4, first 2 shown]
	s_cmp_eq_u32 s0, 46
	s_mov_b32 s31, 0
	s_cbranch_scc0 .LBB62_3060
; %bb.3052:
	global_load_b32 v1, v[6:7], off
	s_mov_b32 s1, 0
	s_mov_b32 s30, -1
	s_wait_loadcnt 0x0
	v_lshlrev_b32_e32 v1, 16, v1
	s_delay_alu instid0(VALU_DEP_1) | instskip(NEXT) | instid1(VALU_DEP_1)
	v_trunc_f32_e32 v1, v1
	v_mul_f32_e64 v3, 0x2f800000, |v1|
	v_ashrrev_i32_e32 v8, 31, v1
	s_delay_alu instid0(VALU_DEP_2) | instskip(NEXT) | instid1(VALU_DEP_2)
	v_floor_f32_e32 v3, v3
	v_mov_b32_e32 v9, v8
	s_delay_alu instid0(VALU_DEP_2) | instskip(SKIP_1) | instid1(VALU_DEP_2)
	v_fma_f32 v5, 0xcf800000, v3, |v1|
	v_cvt_u32_f32_e32 v1, v3
	v_cvt_u32_f32_e32 v3, v5
	s_delay_alu instid0(VALU_DEP_2) | instskip(NEXT) | instid1(VALU_DEP_2)
	v_xor_b32_e32 v15, v1, v8
	v_xor_b32_e32 v14, v3, v8
	s_delay_alu instid0(VALU_DEP_1)
	v_sub_nc_u64_e32 v[14:15], v[14:15], v[8:9]
	s_branch .LBB62_3062
.LBB62_3053:
	s_mov_b32 s30, 0
                                        ; implicit-def: $vgpr14_vgpr15
	s_cbranch_execnz .LBB62_3124
.LBB62_3054:
	s_and_not1_b32 vcc_lo, exec_lo, s30
	s_cbranch_vccnz .LBB62_3434
	s_branch .LBB62_3172
.LBB62_3055:
	s_mov_b32 s31, -1
	s_mov_b32 s30, 0
	s_mov_b32 s1, 0
                                        ; implicit-def: $vgpr14_vgpr15
	s_branch .LBB62_3089
.LBB62_3056:
	s_mov_b32 s31, -1
	s_mov_b32 s30, 0
	s_mov_b32 s1, 0
                                        ; implicit-def: $vgpr14_vgpr15
	s_branch .LBB62_3072
.LBB62_3057:
	s_mov_b32 s31, -1
	s_mov_b32 s30, 0
	s_mov_b32 s1, 0
                                        ; implicit-def: $vgpr14_vgpr15
	s_branch .LBB62_3067
.LBB62_3058:
	s_or_b32 s43, s43, exec_lo
	s_trap 2
	s_cbranch_execz .LBB62_2997
	s_branch .LBB62_2998
.LBB62_3059:
	s_mov_b32 s31, -1
	s_mov_b32 s30, 0
	s_mov_b32 s1, 0
	s_branch .LBB62_3061
.LBB62_3060:
	s_mov_b32 s1, -1
	s_mov_b32 s30, 0
.LBB62_3061:
                                        ; implicit-def: $vgpr14_vgpr15
.LBB62_3062:
	s_and_b32 vcc_lo, exec_lo, s31
	s_cbranch_vccz .LBB62_3066
; %bb.3063:
	s_cmp_eq_u32 s0, 44
	s_cbranch_scc0 .LBB62_3065
; %bb.3064:
	global_load_u8 v1, v[6:7], off
	s_mov_b32 s1, 0
	s_mov_b32 s30, -1
	s_wait_loadcnt 0x0
	v_lshlrev_b32_e32 v3, 23, v1
	v_cmp_ne_u32_e32 vcc_lo, 0, v1
	s_delay_alu instid0(VALU_DEP_2) | instskip(NEXT) | instid1(VALU_DEP_1)
	v_trunc_f32_e32 v3, v3
	v_mul_f32_e64 v5, 0x2f800000, |v3|
	v_ashrrev_i32_e32 v8, 31, v3
	s_delay_alu instid0(VALU_DEP_2) | instskip(NEXT) | instid1(VALU_DEP_1)
	v_floor_f32_e32 v5, v5
	v_fma_f32 v9, 0xcf800000, v5, |v3|
	v_cvt_u32_f32_e32 v3, v5
	s_delay_alu instid0(VALU_DEP_2) | instskip(NEXT) | instid1(VALU_DEP_2)
	v_cvt_u32_f32_e32 v5, v9
	v_dual_mov_b32 v9, v8 :: v_dual_bitop2_b32 v15, v3, v8 bitop3:0x14
	s_delay_alu instid0(VALU_DEP_2) | instskip(NEXT) | instid1(VALU_DEP_1)
	v_xor_b32_e32 v14, v5, v8
	v_sub_nc_u64_e32 v[8:9], v[14:15], v[8:9]
	s_delay_alu instid0(VALU_DEP_1)
	v_dual_cndmask_b32 v15, 0, v9 :: v_dual_cndmask_b32 v14, 0, v8
	s_branch .LBB62_3066
.LBB62_3065:
	s_mov_b32 s1, -1
                                        ; implicit-def: $vgpr14_vgpr15
.LBB62_3066:
	s_mov_b32 s31, 0
.LBB62_3067:
	s_delay_alu instid0(SALU_CYCLE_1)
	s_and_b32 vcc_lo, exec_lo, s31
	s_cbranch_vccz .LBB62_3071
; %bb.3068:
	s_cmp_eq_u32 s0, 29
	s_cbranch_scc0 .LBB62_3070
; %bb.3069:
	global_load_b64 v[14:15], v[6:7], off
	s_mov_b32 s1, 0
	s_mov_b32 s30, -1
	s_branch .LBB62_3071
.LBB62_3070:
	s_mov_b32 s1, -1
                                        ; implicit-def: $vgpr14_vgpr15
.LBB62_3071:
	s_mov_b32 s31, 0
.LBB62_3072:
	s_delay_alu instid0(SALU_CYCLE_1)
	s_and_b32 vcc_lo, exec_lo, s31
	s_cbranch_vccz .LBB62_3088
; %bb.3073:
	s_cmp_lt_i32 s0, 27
	s_cbranch_scc1 .LBB62_3076
; %bb.3074:
	s_cmp_gt_i32 s0, 27
	s_cbranch_scc0 .LBB62_3077
; %bb.3075:
	s_wait_loadcnt 0x0
	global_load_b32 v14, v[6:7], off
	v_mov_b32_e32 v15, 0
	s_mov_b32 s30, 0
	s_branch .LBB62_3078
.LBB62_3076:
	s_mov_b32 s30, -1
                                        ; implicit-def: $vgpr14_vgpr15
	s_branch .LBB62_3081
.LBB62_3077:
	s_mov_b32 s30, -1
                                        ; implicit-def: $vgpr14_vgpr15
.LBB62_3078:
	s_delay_alu instid0(SALU_CYCLE_1)
	s_and_not1_b32 vcc_lo, exec_lo, s30
	s_cbranch_vccnz .LBB62_3080
; %bb.3079:
	global_load_u16 v1, v[6:7], off
	s_mov_b32 s30, 0
	s_wait_loadcnt 0x1
	v_mov_b32_e32 v15, s30
	s_wait_loadcnt 0x0
	v_and_b32_e32 v14, 0xffff, v1
.LBB62_3080:
	s_mov_b32 s30, 0
.LBB62_3081:
	s_delay_alu instid0(SALU_CYCLE_1)
	s_and_not1_b32 vcc_lo, exec_lo, s30
	s_cbranch_vccnz .LBB62_3087
; %bb.3082:
	global_load_u8 v1, v[6:7], off
	s_mov_b32 s31, 0
	s_mov_b32 s30, exec_lo
	s_wait_loadcnt 0x0
	v_cmpx_lt_i16_e32 0x7f, v1
	s_xor_b32 s30, exec_lo, s30
	s_cbranch_execz .LBB62_3099
; %bb.3083:
	v_cmp_ne_u16_e32 vcc_lo, 0x80, v1
	s_and_b32 s31, vcc_lo, exec_lo
	s_and_not1_saveexec_b32 s30, s30
	s_cbranch_execnz .LBB62_3100
.LBB62_3084:
	s_or_b32 exec_lo, exec_lo, s30
	v_mov_b64_e32 v[14:15], 0
	s_and_saveexec_b32 s30, s31
	s_cbranch_execz .LBB62_3086
.LBB62_3085:
	v_and_b32_e32 v3, 0xffff, v1
	s_delay_alu instid0(VALU_DEP_1) | instskip(SKIP_1) | instid1(VALU_DEP_2)
	v_and_b32_e32 v5, 7, v3
	v_bfe_u32 v14, v3, 3, 4
	v_clz_i32_u32_e32 v8, v5
	s_delay_alu instid0(VALU_DEP_2) | instskip(NEXT) | instid1(VALU_DEP_2)
	v_cmp_eq_u32_e32 vcc_lo, 0, v14
	v_min_u32_e32 v8, 32, v8
	s_delay_alu instid0(VALU_DEP_1) | instskip(NEXT) | instid1(VALU_DEP_1)
	v_subrev_nc_u32_e32 v9, 28, v8
	v_dual_lshlrev_b32 v3, v9, v3 :: v_dual_sub_nc_u32 v8, 29, v8
	s_delay_alu instid0(VALU_DEP_1) | instskip(NEXT) | instid1(VALU_DEP_1)
	v_dual_lshlrev_b32 v1, 24, v1 :: v_dual_bitop2_b32 v3, 7, v3 bitop3:0x40
	v_dual_cndmask_b32 v8, v14, v8 :: v_dual_cndmask_b32 v3, v5, v3
	s_delay_alu instid0(VALU_DEP_2) | instskip(NEXT) | instid1(VALU_DEP_2)
	v_and_b32_e32 v1, 0x80000000, v1
	v_lshl_add_u32 v5, v8, 23, 0x3b800000
	s_delay_alu instid0(VALU_DEP_3) | instskip(NEXT) | instid1(VALU_DEP_1)
	v_lshlrev_b32_e32 v3, 20, v3
	v_or3_b32 v1, v1, v5, v3
	s_delay_alu instid0(VALU_DEP_1) | instskip(NEXT) | instid1(VALU_DEP_1)
	v_trunc_f32_e32 v1, v1
	v_mul_f32_e64 v3, 0x2f800000, |v1|
	v_ashrrev_i32_e32 v8, 31, v1
	s_delay_alu instid0(VALU_DEP_2) | instskip(NEXT) | instid1(VALU_DEP_2)
	v_floor_f32_e32 v3, v3
	v_mov_b32_e32 v9, v8
	s_delay_alu instid0(VALU_DEP_2) | instskip(SKIP_1) | instid1(VALU_DEP_2)
	v_fma_f32 v5, 0xcf800000, v3, |v1|
	v_cvt_u32_f32_e32 v1, v3
	v_cvt_u32_f32_e32 v3, v5
	s_delay_alu instid0(VALU_DEP_2) | instskip(NEXT) | instid1(VALU_DEP_2)
	v_xor_b32_e32 v15, v1, v8
	v_xor_b32_e32 v14, v3, v8
	s_delay_alu instid0(VALU_DEP_1)
	v_sub_nc_u64_e32 v[14:15], v[14:15], v[8:9]
.LBB62_3086:
	s_or_b32 exec_lo, exec_lo, s30
.LBB62_3087:
	s_mov_b32 s30, -1
.LBB62_3088:
	s_mov_b32 s31, 0
.LBB62_3089:
	s_delay_alu instid0(SALU_CYCLE_1)
	s_and_b32 vcc_lo, exec_lo, s31
	s_cbranch_vccz .LBB62_3120
; %bb.3090:
	s_cmp_gt_i32 s0, 22
	s_cbranch_scc0 .LBB62_3098
; %bb.3091:
	s_cmp_lt_i32 s0, 24
	s_cbranch_scc1 .LBB62_3101
; %bb.3092:
	s_cmp_gt_i32 s0, 24
	s_cbranch_scc0 .LBB62_3102
; %bb.3093:
	global_load_u8 v1, v[6:7], off
	s_mov_b32 s30, 0
	s_mov_b32 s28, exec_lo
	s_wait_loadcnt 0x0
	v_cmpx_lt_i16_e32 0x7f, v1
	s_xor_b32 s28, exec_lo, s28
	s_cbranch_execz .LBB62_3114
; %bb.3094:
	v_cmp_ne_u16_e32 vcc_lo, 0x80, v1
	s_and_b32 s30, vcc_lo, exec_lo
	s_and_not1_saveexec_b32 s28, s28
	s_cbranch_execnz .LBB62_3115
.LBB62_3095:
	s_or_b32 exec_lo, exec_lo, s28
	v_mov_b64_e32 v[14:15], 0
	s_and_saveexec_b32 s28, s30
	s_cbranch_execz .LBB62_3097
.LBB62_3096:
	v_and_b32_e32 v3, 0xffff, v1
	s_delay_alu instid0(VALU_DEP_1) | instskip(SKIP_1) | instid1(VALU_DEP_2)
	v_and_b32_e32 v5, 3, v3
	v_bfe_u32 v14, v3, 2, 5
	v_clz_i32_u32_e32 v8, v5
	s_delay_alu instid0(VALU_DEP_2) | instskip(NEXT) | instid1(VALU_DEP_2)
	v_cmp_eq_u32_e32 vcc_lo, 0, v14
	v_min_u32_e32 v8, 32, v8
	s_delay_alu instid0(VALU_DEP_1) | instskip(NEXT) | instid1(VALU_DEP_1)
	v_subrev_nc_u32_e32 v9, 29, v8
	v_dual_lshlrev_b32 v3, v9, v3 :: v_dual_sub_nc_u32 v8, 30, v8
	s_delay_alu instid0(VALU_DEP_1) | instskip(NEXT) | instid1(VALU_DEP_1)
	v_dual_lshlrev_b32 v1, 24, v1 :: v_dual_bitop2_b32 v3, 3, v3 bitop3:0x40
	v_dual_cndmask_b32 v8, v14, v8 :: v_dual_cndmask_b32 v3, v5, v3
	s_delay_alu instid0(VALU_DEP_2) | instskip(NEXT) | instid1(VALU_DEP_2)
	v_and_b32_e32 v1, 0x80000000, v1
	v_lshl_add_u32 v5, v8, 23, 0x37800000
	s_delay_alu instid0(VALU_DEP_3) | instskip(NEXT) | instid1(VALU_DEP_1)
	v_lshlrev_b32_e32 v3, 21, v3
	v_or3_b32 v1, v1, v5, v3
	s_delay_alu instid0(VALU_DEP_1) | instskip(NEXT) | instid1(VALU_DEP_1)
	v_trunc_f32_e32 v1, v1
	v_mul_f32_e64 v3, 0x2f800000, |v1|
	v_ashrrev_i32_e32 v8, 31, v1
	s_delay_alu instid0(VALU_DEP_2) | instskip(NEXT) | instid1(VALU_DEP_2)
	v_floor_f32_e32 v3, v3
	v_mov_b32_e32 v9, v8
	s_delay_alu instid0(VALU_DEP_2) | instskip(SKIP_1) | instid1(VALU_DEP_2)
	v_fma_f32 v5, 0xcf800000, v3, |v1|
	v_cvt_u32_f32_e32 v1, v3
	v_cvt_u32_f32_e32 v3, v5
	s_delay_alu instid0(VALU_DEP_2) | instskip(NEXT) | instid1(VALU_DEP_2)
	v_xor_b32_e32 v15, v1, v8
	v_xor_b32_e32 v14, v3, v8
	s_delay_alu instid0(VALU_DEP_1)
	v_sub_nc_u64_e32 v[14:15], v[14:15], v[8:9]
.LBB62_3097:
	s_or_b32 exec_lo, exec_lo, s28
	s_mov_b32 s28, 0
	s_branch .LBB62_3103
.LBB62_3098:
	s_mov_b32 s28, -1
                                        ; implicit-def: $vgpr14_vgpr15
	s_branch .LBB62_3109
.LBB62_3099:
	s_and_not1_saveexec_b32 s30, s30
	s_cbranch_execz .LBB62_3084
.LBB62_3100:
	v_cmp_ne_u16_e32 vcc_lo, 0, v1
	s_and_not1_b32 s31, s31, exec_lo
	s_and_b32 s33, vcc_lo, exec_lo
	s_delay_alu instid0(SALU_CYCLE_1)
	s_or_b32 s31, s31, s33
	s_or_b32 exec_lo, exec_lo, s30
	v_mov_b64_e32 v[14:15], 0
	s_and_saveexec_b32 s30, s31
	s_cbranch_execnz .LBB62_3085
	s_branch .LBB62_3086
.LBB62_3101:
	s_mov_b32 s28, -1
                                        ; implicit-def: $vgpr14_vgpr15
	s_branch .LBB62_3106
.LBB62_3102:
	s_mov_b32 s28, -1
                                        ; implicit-def: $vgpr14_vgpr15
.LBB62_3103:
	s_delay_alu instid0(SALU_CYCLE_1)
	s_and_b32 vcc_lo, exec_lo, s28
	s_cbranch_vccz .LBB62_3105
; %bb.3104:
	global_load_u8 v1, v[6:7], off
	s_wait_loadcnt 0x0
	v_lshlrev_b32_e32 v1, 24, v1
	s_delay_alu instid0(VALU_DEP_1) | instskip(NEXT) | instid1(VALU_DEP_1)
	v_and_b32_e32 v3, 0x7f000000, v1
	v_clz_i32_u32_e32 v5, v3
	v_add_nc_u32_e32 v9, 0x1000000, v3
	v_cmp_ne_u32_e32 vcc_lo, 0, v3
	s_delay_alu instid0(VALU_DEP_3) | instskip(NEXT) | instid1(VALU_DEP_1)
	v_min_u32_e32 v5, 32, v5
	v_sub_nc_u32_e64 v5, v5, 4 clamp
	s_delay_alu instid0(VALU_DEP_1) | instskip(NEXT) | instid1(VALU_DEP_1)
	v_dual_lshlrev_b32 v8, v5, v3 :: v_dual_lshlrev_b32 v5, 23, v5
	v_lshrrev_b32_e32 v8, 4, v8
	s_delay_alu instid0(VALU_DEP_1) | instskip(SKIP_1) | instid1(VALU_DEP_2)
	v_sub_nc_u32_e32 v5, v8, v5
	v_ashrrev_i32_e32 v8, 8, v9
	v_add_nc_u32_e32 v5, 0x3c000000, v5
	s_delay_alu instid0(VALU_DEP_1) | instskip(NEXT) | instid1(VALU_DEP_1)
	v_and_or_b32 v5, 0x7f800000, v8, v5
	v_cndmask_b32_e32 v3, 0, v5, vcc_lo
	s_delay_alu instid0(VALU_DEP_1) | instskip(NEXT) | instid1(VALU_DEP_1)
	v_and_or_b32 v1, 0x80000000, v1, v3
	v_trunc_f32_e32 v1, v1
	s_delay_alu instid0(VALU_DEP_1) | instskip(SKIP_1) | instid1(VALU_DEP_2)
	v_mul_f32_e64 v3, 0x2f800000, |v1|
	v_ashrrev_i32_e32 v8, 31, v1
	v_floor_f32_e32 v3, v3
	s_delay_alu instid0(VALU_DEP_2) | instskip(NEXT) | instid1(VALU_DEP_2)
	v_mov_b32_e32 v9, v8
	v_fma_f32 v5, 0xcf800000, v3, |v1|
	v_cvt_u32_f32_e32 v1, v3
	s_delay_alu instid0(VALU_DEP_2) | instskip(NEXT) | instid1(VALU_DEP_2)
	v_cvt_u32_f32_e32 v3, v5
	v_xor_b32_e32 v15, v1, v8
	s_delay_alu instid0(VALU_DEP_2) | instskip(NEXT) | instid1(VALU_DEP_1)
	v_xor_b32_e32 v14, v3, v8
	v_sub_nc_u64_e32 v[14:15], v[14:15], v[8:9]
.LBB62_3105:
	s_mov_b32 s28, 0
.LBB62_3106:
	s_delay_alu instid0(SALU_CYCLE_1)
	s_and_not1_b32 vcc_lo, exec_lo, s28
	s_cbranch_vccnz .LBB62_3108
; %bb.3107:
	global_load_u8 v1, v[6:7], off
	s_wait_loadcnt 0x0
	v_lshlrev_b32_e32 v3, 25, v1
	v_lshlrev_b16 v1, 8, v1
	s_delay_alu instid0(VALU_DEP_1) | instskip(SKIP_1) | instid1(VALU_DEP_2)
	v_and_or_b32 v8, 0x7f00, v1, 0.5
	v_bfe_i32 v1, v1, 0, 16
	v_dual_add_f32 v8, -0.5, v8 :: v_dual_lshrrev_b32 v5, 4, v3
	v_cmp_gt_u32_e32 vcc_lo, 0x8000000, v3
	s_delay_alu instid0(VALU_DEP_2) | instskip(NEXT) | instid1(VALU_DEP_1)
	v_or_b32_e32 v5, 0x70000000, v5
	v_mul_f32_e32 v5, 0x7800000, v5
	s_delay_alu instid0(VALU_DEP_1) | instskip(NEXT) | instid1(VALU_DEP_1)
	v_cndmask_b32_e32 v3, v5, v8, vcc_lo
	v_and_or_b32 v1, 0x80000000, v1, v3
	s_delay_alu instid0(VALU_DEP_1) | instskip(NEXT) | instid1(VALU_DEP_1)
	v_trunc_f32_e32 v1, v1
	v_mul_f32_e64 v3, 0x2f800000, |v1|
	v_ashrrev_i32_e32 v8, 31, v1
	s_delay_alu instid0(VALU_DEP_2) | instskip(NEXT) | instid1(VALU_DEP_2)
	v_floor_f32_e32 v3, v3
	v_mov_b32_e32 v9, v8
	s_delay_alu instid0(VALU_DEP_2) | instskip(SKIP_1) | instid1(VALU_DEP_2)
	v_fma_f32 v5, 0xcf800000, v3, |v1|
	v_cvt_u32_f32_e32 v1, v3
	v_cvt_u32_f32_e32 v3, v5
	s_delay_alu instid0(VALU_DEP_2) | instskip(NEXT) | instid1(VALU_DEP_2)
	v_xor_b32_e32 v15, v1, v8
	v_xor_b32_e32 v14, v3, v8
	s_delay_alu instid0(VALU_DEP_1)
	v_sub_nc_u64_e32 v[14:15], v[14:15], v[8:9]
.LBB62_3108:
	s_mov_b32 s28, 0
	s_mov_b32 s30, -1
.LBB62_3109:
	s_and_not1_b32 vcc_lo, exec_lo, s28
	s_mov_b32 s28, 0
	s_cbranch_vccnz .LBB62_3120
; %bb.3110:
	s_cmp_gt_i32 s0, 14
	s_cbranch_scc0 .LBB62_3113
; %bb.3111:
	s_cmp_eq_u32 s0, 15
	s_cbranch_scc0 .LBB62_3116
; %bb.3112:
	global_load_u16 v1, v[6:7], off
	s_mov_b32 s1, 0
	s_mov_b32 s30, -1
	s_wait_loadcnt 0x0
	v_lshlrev_b32_e32 v1, 16, v1
	s_delay_alu instid0(VALU_DEP_1) | instskip(NEXT) | instid1(VALU_DEP_1)
	v_trunc_f32_e32 v1, v1
	v_mul_f32_e64 v3, 0x2f800000, |v1|
	v_ashrrev_i32_e32 v8, 31, v1
	s_delay_alu instid0(VALU_DEP_2) | instskip(NEXT) | instid1(VALU_DEP_2)
	v_floor_f32_e32 v3, v3
	v_mov_b32_e32 v9, v8
	s_delay_alu instid0(VALU_DEP_2) | instskip(SKIP_1) | instid1(VALU_DEP_2)
	v_fma_f32 v5, 0xcf800000, v3, |v1|
	v_cvt_u32_f32_e32 v1, v3
	v_cvt_u32_f32_e32 v3, v5
	s_delay_alu instid0(VALU_DEP_2) | instskip(NEXT) | instid1(VALU_DEP_2)
	v_xor_b32_e32 v15, v1, v8
	v_xor_b32_e32 v14, v3, v8
	s_delay_alu instid0(VALU_DEP_1)
	v_sub_nc_u64_e32 v[14:15], v[14:15], v[8:9]
	s_branch .LBB62_3118
.LBB62_3113:
	s_mov_b32 s28, -1
	s_branch .LBB62_3117
.LBB62_3114:
	s_and_not1_saveexec_b32 s28, s28
	s_cbranch_execz .LBB62_3095
.LBB62_3115:
	v_cmp_ne_u16_e32 vcc_lo, 0, v1
	s_and_not1_b32 s30, s30, exec_lo
	s_and_b32 s31, vcc_lo, exec_lo
	s_delay_alu instid0(SALU_CYCLE_1)
	s_or_b32 s30, s30, s31
	s_or_b32 exec_lo, exec_lo, s28
	v_mov_b64_e32 v[14:15], 0
	s_and_saveexec_b32 s28, s30
	s_cbranch_execnz .LBB62_3096
	s_branch .LBB62_3097
.LBB62_3116:
	s_mov_b32 s1, -1
.LBB62_3117:
                                        ; implicit-def: $vgpr14_vgpr15
.LBB62_3118:
	s_and_b32 vcc_lo, exec_lo, s28
	s_mov_b32 s28, 0
	s_cbranch_vccz .LBB62_3120
; %bb.3119:
	s_cmp_lg_u32 s0, 11
	s_mov_b32 s28, -1
	s_cselect_b32 s1, -1, 0
.LBB62_3120:
	s_delay_alu instid0(SALU_CYCLE_1)
	s_and_b32 vcc_lo, exec_lo, s1
	s_cbranch_vccnz .LBB62_3183
; %bb.3121:
	s_and_not1_b32 vcc_lo, exec_lo, s28
	s_cbranch_vccnz .LBB62_3123
.LBB62_3122:
	global_load_u8 v1, v[6:7], off
	s_mov_b32 s0, 0
	s_mov_b32 s30, -1
	s_wait_loadcnt 0x1
	v_mov_b32_e32 v15, s0
	s_wait_loadcnt 0x0
	v_cmp_ne_u16_e32 vcc_lo, 0, v1
	v_cndmask_b32_e64 v14, 0, 1, vcc_lo
.LBB62_3123:
	s_branch .LBB62_3054
.LBB62_3124:
	s_and_b32 s0, 0xffff, s59
	s_delay_alu instid0(SALU_CYCLE_1)
	s_cmp_lt_i32 s0, 5
	s_cbranch_scc1 .LBB62_3129
; %bb.3125:
	s_cmp_lt_i32 s0, 8
	s_cbranch_scc1 .LBB62_3130
; %bb.3126:
	;; [unrolled: 3-line block ×3, first 2 shown]
	s_cmp_gt_i32 s0, 9
	s_cbranch_scc0 .LBB62_3132
; %bb.3128:
	global_load_b64 v[8:9], v[6:7], off
	s_mov_b32 s1, 0
	s_wait_loadcnt 0x0
	v_trunc_f64_e32 v[8:9], v[8:9]
	s_delay_alu instid0(VALU_DEP_1) | instskip(NEXT) | instid1(VALU_DEP_1)
	v_ldexp_f64 v[14:15], v[8:9], 0xffffffe0
	v_floor_f64_e32 v[14:15], v[14:15]
	s_delay_alu instid0(VALU_DEP_1) | instskip(SKIP_1) | instid1(VALU_DEP_2)
	v_fmamk_f64 v[8:9], v[14:15], 0xc1f00000, v[8:9]
	v_cvt_i32_f64_e32 v15, v[14:15]
	v_cvt_u32_f64_e32 v14, v[8:9]
	s_branch .LBB62_3133
.LBB62_3129:
	s_mov_b32 s1, -1
                                        ; implicit-def: $vgpr14_vgpr15
	s_branch .LBB62_3151
.LBB62_3130:
	s_mov_b32 s1, -1
                                        ; implicit-def: $vgpr14_vgpr15
	s_branch .LBB62_3139
.LBB62_3131:
	s_mov_b32 s1, -1
                                        ; implicit-def: $vgpr14_vgpr15
	s_branch .LBB62_3136
.LBB62_3132:
	s_mov_b32 s1, -1
                                        ; implicit-def: $vgpr14_vgpr15
.LBB62_3133:
	s_delay_alu instid0(SALU_CYCLE_1)
	s_and_not1_b32 vcc_lo, exec_lo, s1
	s_cbranch_vccnz .LBB62_3135
; %bb.3134:
	global_load_b32 v1, v[6:7], off
	s_wait_loadcnt 0x0
	v_trunc_f32_e32 v1, v1
	s_delay_alu instid0(VALU_DEP_1) | instskip(SKIP_1) | instid1(VALU_DEP_2)
	v_mul_f32_e64 v3, 0x2f800000, |v1|
	v_ashrrev_i32_e32 v8, 31, v1
	v_floor_f32_e32 v3, v3
	s_delay_alu instid0(VALU_DEP_1) | instskip(SKIP_1) | instid1(VALU_DEP_4)
	v_fma_f32 v5, 0xcf800000, v3, |v1|
	v_cvt_u32_f32_e32 v1, v3
	v_mov_b32_e32 v9, v8
	s_delay_alu instid0(VALU_DEP_3) | instskip(NEXT) | instid1(VALU_DEP_3)
	v_cvt_u32_f32_e32 v3, v5
	v_xor_b32_e32 v15, v1, v8
	s_delay_alu instid0(VALU_DEP_2) | instskip(NEXT) | instid1(VALU_DEP_1)
	v_xor_b32_e32 v14, v3, v8
	v_sub_nc_u64_e32 v[14:15], v[14:15], v[8:9]
.LBB62_3135:
	s_mov_b32 s1, 0
.LBB62_3136:
	s_delay_alu instid0(SALU_CYCLE_1)
	s_and_not1_b32 vcc_lo, exec_lo, s1
	s_cbranch_vccnz .LBB62_3138
; %bb.3137:
	global_load_b32 v1, v[6:7], off
	s_wait_loadcnt 0x0
	v_cvt_f32_f16_e32 v1, v1
	s_delay_alu instid0(VALU_DEP_1) | instskip(NEXT) | instid1(VALU_DEP_1)
	v_cvt_i32_f32_e32 v14, v1
	v_ashrrev_i32_e32 v15, 31, v14
.LBB62_3138:
	s_mov_b32 s1, 0
.LBB62_3139:
	s_delay_alu instid0(SALU_CYCLE_1)
	s_and_not1_b32 vcc_lo, exec_lo, s1
	s_cbranch_vccnz .LBB62_3150
; %bb.3140:
	s_cmp_lt_i32 s0, 6
	s_cbranch_scc1 .LBB62_3143
; %bb.3141:
	s_cmp_gt_i32 s0, 6
	s_cbranch_scc0 .LBB62_3144
; %bb.3142:
	global_load_b64 v[8:9], v[6:7], off
	s_mov_b32 s1, 0
	s_wait_loadcnt 0x0
	v_trunc_f64_e32 v[8:9], v[8:9]
	s_delay_alu instid0(VALU_DEP_1) | instskip(NEXT) | instid1(VALU_DEP_1)
	v_ldexp_f64 v[14:15], v[8:9], 0xffffffe0
	v_floor_f64_e32 v[14:15], v[14:15]
	s_delay_alu instid0(VALU_DEP_1) | instskip(SKIP_1) | instid1(VALU_DEP_2)
	v_fmamk_f64 v[8:9], v[14:15], 0xc1f00000, v[8:9]
	v_cvt_i32_f64_e32 v15, v[14:15]
	v_cvt_u32_f64_e32 v14, v[8:9]
	s_branch .LBB62_3145
.LBB62_3143:
	s_mov_b32 s1, -1
                                        ; implicit-def: $vgpr14_vgpr15
	s_branch .LBB62_3148
.LBB62_3144:
	s_mov_b32 s1, -1
                                        ; implicit-def: $vgpr14_vgpr15
.LBB62_3145:
	s_delay_alu instid0(SALU_CYCLE_1)
	s_and_not1_b32 vcc_lo, exec_lo, s1
	s_cbranch_vccnz .LBB62_3147
; %bb.3146:
	global_load_b32 v1, v[6:7], off
	s_wait_loadcnt 0x0
	v_trunc_f32_e32 v1, v1
	s_delay_alu instid0(VALU_DEP_1) | instskip(SKIP_1) | instid1(VALU_DEP_2)
	v_mul_f32_e64 v3, 0x2f800000, |v1|
	v_ashrrev_i32_e32 v8, 31, v1
	v_floor_f32_e32 v3, v3
	s_delay_alu instid0(VALU_DEP_1) | instskip(SKIP_1) | instid1(VALU_DEP_4)
	v_fma_f32 v5, 0xcf800000, v3, |v1|
	v_cvt_u32_f32_e32 v1, v3
	v_mov_b32_e32 v9, v8
	s_delay_alu instid0(VALU_DEP_3) | instskip(NEXT) | instid1(VALU_DEP_3)
	v_cvt_u32_f32_e32 v3, v5
	v_xor_b32_e32 v15, v1, v8
	s_delay_alu instid0(VALU_DEP_2) | instskip(NEXT) | instid1(VALU_DEP_1)
	v_xor_b32_e32 v14, v3, v8
	v_sub_nc_u64_e32 v[14:15], v[14:15], v[8:9]
.LBB62_3147:
	s_mov_b32 s1, 0
.LBB62_3148:
	s_delay_alu instid0(SALU_CYCLE_1)
	s_and_not1_b32 vcc_lo, exec_lo, s1
	s_cbranch_vccnz .LBB62_3150
; %bb.3149:
	global_load_u16 v1, v[6:7], off
	s_wait_loadcnt 0x0
	v_cvt_f32_f16_e32 v1, v1
	s_delay_alu instid0(VALU_DEP_1) | instskip(NEXT) | instid1(VALU_DEP_1)
	v_cvt_i32_f32_e32 v14, v1
	v_ashrrev_i32_e32 v15, 31, v14
.LBB62_3150:
	s_mov_b32 s1, 0
.LBB62_3151:
	s_delay_alu instid0(SALU_CYCLE_1)
	s_and_not1_b32 vcc_lo, exec_lo, s1
	s_cbranch_vccnz .LBB62_3171
; %bb.3152:
	s_cmp_lt_i32 s0, 2
	s_cbranch_scc1 .LBB62_3156
; %bb.3153:
	s_cmp_lt_i32 s0, 3
	s_cbranch_scc1 .LBB62_3157
; %bb.3154:
	s_cmp_gt_i32 s0, 3
	s_cbranch_scc0 .LBB62_3158
; %bb.3155:
	s_wait_loadcnt 0x0
	global_load_b64 v[14:15], v[6:7], off
	s_mov_b32 s1, 0
	s_branch .LBB62_3159
.LBB62_3156:
	s_mov_b32 s1, -1
                                        ; implicit-def: $vgpr14_vgpr15
	s_branch .LBB62_3165
.LBB62_3157:
	s_mov_b32 s1, -1
                                        ; implicit-def: $vgpr14_vgpr15
	s_branch .LBB62_3162
.LBB62_3158:
	s_mov_b32 s1, -1
                                        ; implicit-def: $vgpr14_vgpr15
.LBB62_3159:
	s_delay_alu instid0(SALU_CYCLE_1)
	s_and_not1_b32 vcc_lo, exec_lo, s1
	s_cbranch_vccnz .LBB62_3161
; %bb.3160:
	s_wait_loadcnt 0x0
	global_load_b32 v14, v[6:7], off
	s_wait_loadcnt 0x0
	v_ashrrev_i32_e32 v15, 31, v14
.LBB62_3161:
	s_mov_b32 s1, 0
.LBB62_3162:
	s_delay_alu instid0(SALU_CYCLE_1)
	s_and_not1_b32 vcc_lo, exec_lo, s1
	s_cbranch_vccnz .LBB62_3164
; %bb.3163:
	global_load_u16 v1, v[6:7], off
	s_wait_loadcnt 0x0
	v_bfe_i32 v14, v1, 0, 16
	s_delay_alu instid0(VALU_DEP_1)
	v_ashrrev_i32_e32 v15, 31, v14
.LBB62_3164:
	s_mov_b32 s1, 0
.LBB62_3165:
	s_delay_alu instid0(SALU_CYCLE_1)
	s_and_not1_b32 vcc_lo, exec_lo, s1
	s_cbranch_vccnz .LBB62_3171
; %bb.3166:
	s_cmp_gt_i32 s0, 0
	s_mov_b32 s0, 0
	s_cbranch_scc0 .LBB62_3168
; %bb.3167:
	global_load_i8 v1, v[6:7], off
	s_wait_loadcnt 0x0
	v_bfe_i32 v14, v1, 0, 16
	s_delay_alu instid0(VALU_DEP_1)
	v_ashrrev_i32_e32 v15, 31, v14
	s_branch .LBB62_3169
.LBB62_3168:
	s_mov_b32 s0, -1
                                        ; implicit-def: $vgpr14_vgpr15
.LBB62_3169:
	s_delay_alu instid0(SALU_CYCLE_1)
	s_and_not1_b32 vcc_lo, exec_lo, s0
	s_cbranch_vccnz .LBB62_3171
; %bb.3170:
	global_load_u8 v1, v[6:7], off
	s_mov_b32 s0, 0
	s_wait_loadcnt 0x1
	v_mov_b32_e32 v15, s0
	s_wait_loadcnt 0x0
	v_and_b32_e32 v14, 0xffff, v1
.LBB62_3171:
.LBB62_3172:
	s_wait_xcnt 0x0
	v_mul_lo_u32 v6, s2, v22
	s_and_b32 s60, s27, 0xff
	s_delay_alu instid0(SALU_CYCLE_1) | instskip(NEXT) | instid1(VALU_DEP_1)
	s_cmp_lt_i32 s60, 11
	v_ashrrev_i32_e32 v7, 31, v6
	s_delay_alu instid0(VALU_DEP_1)
	v_add_nc_u64_e32 v[8:9], s[12:13], v[6:7]
	s_cbranch_scc1 .LBB62_3179
; %bb.3173:
	s_and_b32 s0, 0xffff, s60
	s_mov_b32 s27, 0
	s_cmp_gt_i32 s0, 25
	s_cbranch_scc0 .LBB62_3180
; %bb.3174:
	s_cmp_gt_i32 s0, 28
	s_cbranch_scc0 .LBB62_3181
; %bb.3175:
	;; [unrolled: 3-line block ×4, first 2 shown]
	s_cmp_eq_u32 s0, 46
	s_mov_b32 s30, 0
	s_cbranch_scc0 .LBB62_3185
; %bb.3178:
	global_load_b32 v1, v[8:9], off
	s_mov_b32 s1, 0
	s_mov_b32 s28, -1
	s_wait_loadcnt 0x0
	v_lshlrev_b32_e32 v1, 16, v1
	s_delay_alu instid0(VALU_DEP_1) | instskip(NEXT) | instid1(VALU_DEP_1)
	v_trunc_f32_e32 v1, v1
	v_mul_f32_e64 v3, 0x2f800000, |v1|
	v_ashrrev_i32_e32 v16, 31, v1
	s_delay_alu instid0(VALU_DEP_2) | instskip(NEXT) | instid1(VALU_DEP_2)
	v_floor_f32_e32 v3, v3
	v_mov_b32_e32 v17, v16
	s_delay_alu instid0(VALU_DEP_2) | instskip(SKIP_1) | instid1(VALU_DEP_2)
	v_fma_f32 v5, 0xcf800000, v3, |v1|
	v_cvt_u32_f32_e32 v1, v3
	v_cvt_u32_f32_e32 v3, v5
	s_delay_alu instid0(VALU_DEP_2) | instskip(NEXT) | instid1(VALU_DEP_2)
	v_xor_b32_e32 v19, v1, v16
	v_xor_b32_e32 v18, v3, v16
	s_delay_alu instid0(VALU_DEP_1)
	v_sub_nc_u64_e32 v[16:17], v[18:19], v[16:17]
	s_branch .LBB62_3187
.LBB62_3179:
	s_mov_b32 s0, -1
	s_mov_b32 s28, 0
                                        ; implicit-def: $vgpr16_vgpr17
	s_branch .LBB62_3249
.LBB62_3180:
	s_mov_b32 s30, -1
	s_mov_b32 s28, 0
	s_mov_b32 s1, 0
                                        ; implicit-def: $vgpr16_vgpr17
	s_branch .LBB62_3214
.LBB62_3181:
	s_mov_b32 s30, -1
	s_mov_b32 s28, 0
	s_mov_b32 s1, 0
                                        ; implicit-def: $vgpr16_vgpr17
	s_branch .LBB62_3197
.LBB62_3182:
	s_mov_b32 s30, -1
	s_mov_b32 s28, 0
	s_mov_b32 s1, 0
                                        ; implicit-def: $vgpr16_vgpr17
	s_branch .LBB62_3192
.LBB62_3183:
	s_or_b32 s43, s43, exec_lo
	s_trap 2
	s_cbranch_execz .LBB62_3122
	s_branch .LBB62_3123
.LBB62_3184:
	s_mov_b32 s30, -1
	s_mov_b32 s28, 0
	s_mov_b32 s1, 0
	s_branch .LBB62_3186
.LBB62_3185:
	s_mov_b32 s1, -1
	s_mov_b32 s28, 0
.LBB62_3186:
                                        ; implicit-def: $vgpr16_vgpr17
.LBB62_3187:
	s_and_b32 vcc_lo, exec_lo, s30
	s_cbranch_vccz .LBB62_3191
; %bb.3188:
	s_cmp_eq_u32 s0, 44
	s_cbranch_scc0 .LBB62_3190
; %bb.3189:
	global_load_u8 v1, v[8:9], off
	s_mov_b32 s1, 0
	s_mov_b32 s28, -1
	s_wait_loadcnt 0x0
	v_lshlrev_b32_e32 v3, 23, v1
	v_cmp_ne_u32_e32 vcc_lo, 0, v1
	s_delay_alu instid0(VALU_DEP_2) | instskip(NEXT) | instid1(VALU_DEP_1)
	v_trunc_f32_e32 v3, v3
	v_mul_f32_e64 v5, 0x2f800000, |v3|
	v_ashrrev_i32_e32 v16, 31, v3
	s_delay_alu instid0(VALU_DEP_2) | instskip(NEXT) | instid1(VALU_DEP_2)
	v_floor_f32_e32 v5, v5
	v_mov_b32_e32 v17, v16
	s_delay_alu instid0(VALU_DEP_2) | instskip(SKIP_1) | instid1(VALU_DEP_2)
	v_fma_f32 v7, 0xcf800000, v5, |v3|
	v_cvt_u32_f32_e32 v3, v5
	v_cvt_u32_f32_e32 v5, v7
	s_delay_alu instid0(VALU_DEP_2) | instskip(NEXT) | instid1(VALU_DEP_2)
	v_xor_b32_e32 v19, v3, v16
	v_xor_b32_e32 v18, v5, v16
	s_delay_alu instid0(VALU_DEP_1) | instskip(NEXT) | instid1(VALU_DEP_1)
	v_sub_nc_u64_e32 v[16:17], v[18:19], v[16:17]
	v_dual_cndmask_b32 v17, 0, v17 :: v_dual_cndmask_b32 v16, 0, v16
	s_branch .LBB62_3191
.LBB62_3190:
	s_mov_b32 s1, -1
                                        ; implicit-def: $vgpr16_vgpr17
.LBB62_3191:
	s_mov_b32 s30, 0
.LBB62_3192:
	s_delay_alu instid0(SALU_CYCLE_1)
	s_and_b32 vcc_lo, exec_lo, s30
	s_cbranch_vccz .LBB62_3196
; %bb.3193:
	s_cmp_eq_u32 s0, 29
	s_cbranch_scc0 .LBB62_3195
; %bb.3194:
	global_load_b64 v[16:17], v[8:9], off
	s_mov_b32 s1, 0
	s_mov_b32 s28, -1
	s_branch .LBB62_3196
.LBB62_3195:
	s_mov_b32 s1, -1
                                        ; implicit-def: $vgpr16_vgpr17
.LBB62_3196:
	s_mov_b32 s30, 0
.LBB62_3197:
	s_delay_alu instid0(SALU_CYCLE_1)
	s_and_b32 vcc_lo, exec_lo, s30
	s_cbranch_vccz .LBB62_3213
; %bb.3198:
	s_cmp_lt_i32 s0, 27
	s_cbranch_scc1 .LBB62_3201
; %bb.3199:
	s_cmp_gt_i32 s0, 27
	s_cbranch_scc0 .LBB62_3202
; %bb.3200:
	s_wait_loadcnt 0x0
	global_load_b32 v16, v[8:9], off
	v_mov_b32_e32 v17, 0
	s_mov_b32 s28, 0
	s_branch .LBB62_3203
.LBB62_3201:
	s_mov_b32 s28, -1
                                        ; implicit-def: $vgpr16_vgpr17
	s_branch .LBB62_3206
.LBB62_3202:
	s_mov_b32 s28, -1
                                        ; implicit-def: $vgpr16_vgpr17
.LBB62_3203:
	s_delay_alu instid0(SALU_CYCLE_1)
	s_and_not1_b32 vcc_lo, exec_lo, s28
	s_cbranch_vccnz .LBB62_3205
; %bb.3204:
	global_load_u16 v1, v[8:9], off
	s_mov_b32 s28, 0
	s_wait_loadcnt 0x1
	v_mov_b32_e32 v17, s28
	s_wait_loadcnt 0x0
	v_and_b32_e32 v16, 0xffff, v1
.LBB62_3205:
	s_mov_b32 s28, 0
.LBB62_3206:
	s_delay_alu instid0(SALU_CYCLE_1)
	s_and_not1_b32 vcc_lo, exec_lo, s28
	s_cbranch_vccnz .LBB62_3212
; %bb.3207:
	global_load_u8 v1, v[8:9], off
	s_mov_b32 s30, 0
	s_mov_b32 s28, exec_lo
	s_wait_loadcnt 0x0
	v_cmpx_lt_i16_e32 0x7f, v1
	s_xor_b32 s28, exec_lo, s28
	s_cbranch_execz .LBB62_3224
; %bb.3208:
	v_cmp_ne_u16_e32 vcc_lo, 0x80, v1
	s_and_b32 s30, vcc_lo, exec_lo
	s_and_not1_saveexec_b32 s28, s28
	s_cbranch_execnz .LBB62_3225
.LBB62_3209:
	s_or_b32 exec_lo, exec_lo, s28
	v_mov_b64_e32 v[16:17], 0
	s_and_saveexec_b32 s28, s30
	s_cbranch_execz .LBB62_3211
.LBB62_3210:
	v_and_b32_e32 v3, 0xffff, v1
	s_delay_alu instid0(VALU_DEP_1) | instskip(SKIP_1) | instid1(VALU_DEP_2)
	v_dual_lshlrev_b32 v1, 24, v1 :: v_dual_bitop2_b32 v5, 7, v3 bitop3:0x40
	v_bfe_u32 v17, v3, 3, 4
	v_and_b32_e32 v1, 0x80000000, v1
	s_delay_alu instid0(VALU_DEP_3) | instskip(NEXT) | instid1(VALU_DEP_3)
	v_clz_i32_u32_e32 v7, v5
	v_cmp_eq_u32_e32 vcc_lo, 0, v17
	s_delay_alu instid0(VALU_DEP_2) | instskip(NEXT) | instid1(VALU_DEP_1)
	v_min_u32_e32 v7, 32, v7
	v_subrev_nc_u32_e32 v16, 28, v7
	v_sub_nc_u32_e32 v7, 29, v7
	s_delay_alu instid0(VALU_DEP_2) | instskip(NEXT) | instid1(VALU_DEP_2)
	v_lshlrev_b32_e32 v3, v16, v3
	v_cndmask_b32_e32 v7, v17, v7, vcc_lo
	s_delay_alu instid0(VALU_DEP_2) | instskip(NEXT) | instid1(VALU_DEP_1)
	v_and_b32_e32 v3, 7, v3
	v_cndmask_b32_e32 v3, v5, v3, vcc_lo
	s_delay_alu instid0(VALU_DEP_3) | instskip(NEXT) | instid1(VALU_DEP_2)
	v_lshl_add_u32 v5, v7, 23, 0x3b800000
	v_lshlrev_b32_e32 v3, 20, v3
	s_delay_alu instid0(VALU_DEP_1) | instskip(NEXT) | instid1(VALU_DEP_1)
	v_or3_b32 v1, v1, v5, v3
	v_trunc_f32_e32 v1, v1
	s_delay_alu instid0(VALU_DEP_1) | instskip(SKIP_1) | instid1(VALU_DEP_2)
	v_mul_f32_e64 v3, 0x2f800000, |v1|
	v_ashrrev_i32_e32 v16, 31, v1
	v_floor_f32_e32 v3, v3
	s_delay_alu instid0(VALU_DEP_2) | instskip(NEXT) | instid1(VALU_DEP_2)
	v_mov_b32_e32 v17, v16
	v_fma_f32 v5, 0xcf800000, v3, |v1|
	v_cvt_u32_f32_e32 v1, v3
	s_delay_alu instid0(VALU_DEP_2) | instskip(NEXT) | instid1(VALU_DEP_2)
	v_cvt_u32_f32_e32 v3, v5
	v_xor_b32_e32 v19, v1, v16
	s_delay_alu instid0(VALU_DEP_2) | instskip(NEXT) | instid1(VALU_DEP_1)
	v_xor_b32_e32 v18, v3, v16
	v_sub_nc_u64_e32 v[16:17], v[18:19], v[16:17]
.LBB62_3211:
	s_or_b32 exec_lo, exec_lo, s28
.LBB62_3212:
	s_mov_b32 s28, -1
.LBB62_3213:
	s_mov_b32 s30, 0
.LBB62_3214:
	s_delay_alu instid0(SALU_CYCLE_1)
	s_and_b32 vcc_lo, exec_lo, s30
	s_cbranch_vccz .LBB62_3245
; %bb.3215:
	s_cmp_gt_i32 s0, 22
	s_cbranch_scc0 .LBB62_3223
; %bb.3216:
	s_cmp_lt_i32 s0, 24
	s_cbranch_scc1 .LBB62_3226
; %bb.3217:
	s_cmp_gt_i32 s0, 24
	s_cbranch_scc0 .LBB62_3227
; %bb.3218:
	global_load_u8 v1, v[8:9], off
	s_mov_b32 s28, 0
	s_mov_b32 s27, exec_lo
	s_wait_loadcnt 0x0
	v_cmpx_lt_i16_e32 0x7f, v1
	s_xor_b32 s27, exec_lo, s27
	s_cbranch_execz .LBB62_3239
; %bb.3219:
	v_cmp_ne_u16_e32 vcc_lo, 0x80, v1
	s_and_b32 s28, vcc_lo, exec_lo
	s_and_not1_saveexec_b32 s27, s27
	s_cbranch_execnz .LBB62_3240
.LBB62_3220:
	s_or_b32 exec_lo, exec_lo, s27
	v_mov_b64_e32 v[16:17], 0
	s_and_saveexec_b32 s27, s28
	s_cbranch_execz .LBB62_3222
.LBB62_3221:
	v_and_b32_e32 v3, 0xffff, v1
	s_delay_alu instid0(VALU_DEP_1) | instskip(SKIP_1) | instid1(VALU_DEP_2)
	v_dual_lshlrev_b32 v1, 24, v1 :: v_dual_bitop2_b32 v5, 3, v3 bitop3:0x40
	v_bfe_u32 v17, v3, 2, 5
	v_and_b32_e32 v1, 0x80000000, v1
	s_delay_alu instid0(VALU_DEP_3) | instskip(NEXT) | instid1(VALU_DEP_3)
	v_clz_i32_u32_e32 v7, v5
	v_cmp_eq_u32_e32 vcc_lo, 0, v17
	s_delay_alu instid0(VALU_DEP_2) | instskip(NEXT) | instid1(VALU_DEP_1)
	v_min_u32_e32 v7, 32, v7
	v_subrev_nc_u32_e32 v16, 29, v7
	v_sub_nc_u32_e32 v7, 30, v7
	s_delay_alu instid0(VALU_DEP_2) | instskip(NEXT) | instid1(VALU_DEP_2)
	v_lshlrev_b32_e32 v3, v16, v3
	v_cndmask_b32_e32 v7, v17, v7, vcc_lo
	s_delay_alu instid0(VALU_DEP_2) | instskip(NEXT) | instid1(VALU_DEP_1)
	v_and_b32_e32 v3, 3, v3
	v_cndmask_b32_e32 v3, v5, v3, vcc_lo
	s_delay_alu instid0(VALU_DEP_3) | instskip(NEXT) | instid1(VALU_DEP_2)
	v_lshl_add_u32 v5, v7, 23, 0x37800000
	v_lshlrev_b32_e32 v3, 21, v3
	s_delay_alu instid0(VALU_DEP_1) | instskip(NEXT) | instid1(VALU_DEP_1)
	v_or3_b32 v1, v1, v5, v3
	v_trunc_f32_e32 v1, v1
	s_delay_alu instid0(VALU_DEP_1) | instskip(SKIP_1) | instid1(VALU_DEP_2)
	v_mul_f32_e64 v3, 0x2f800000, |v1|
	v_ashrrev_i32_e32 v16, 31, v1
	v_floor_f32_e32 v3, v3
	s_delay_alu instid0(VALU_DEP_2) | instskip(NEXT) | instid1(VALU_DEP_2)
	v_mov_b32_e32 v17, v16
	v_fma_f32 v5, 0xcf800000, v3, |v1|
	v_cvt_u32_f32_e32 v1, v3
	s_delay_alu instid0(VALU_DEP_2) | instskip(NEXT) | instid1(VALU_DEP_2)
	v_cvt_u32_f32_e32 v3, v5
	v_xor_b32_e32 v19, v1, v16
	s_delay_alu instid0(VALU_DEP_2) | instskip(NEXT) | instid1(VALU_DEP_1)
	v_xor_b32_e32 v18, v3, v16
	v_sub_nc_u64_e32 v[16:17], v[18:19], v[16:17]
.LBB62_3222:
	s_or_b32 exec_lo, exec_lo, s27
	s_mov_b32 s27, 0
	s_branch .LBB62_3228
.LBB62_3223:
	s_mov_b32 s27, -1
                                        ; implicit-def: $vgpr16_vgpr17
	s_branch .LBB62_3234
.LBB62_3224:
	s_and_not1_saveexec_b32 s28, s28
	s_cbranch_execz .LBB62_3209
.LBB62_3225:
	v_cmp_ne_u16_e32 vcc_lo, 0, v1
	s_and_not1_b32 s30, s30, exec_lo
	s_and_b32 s31, vcc_lo, exec_lo
	s_delay_alu instid0(SALU_CYCLE_1)
	s_or_b32 s30, s30, s31
	s_or_b32 exec_lo, exec_lo, s28
	v_mov_b64_e32 v[16:17], 0
	s_and_saveexec_b32 s28, s30
	s_cbranch_execnz .LBB62_3210
	s_branch .LBB62_3211
.LBB62_3226:
	s_mov_b32 s27, -1
                                        ; implicit-def: $vgpr16_vgpr17
	s_branch .LBB62_3231
.LBB62_3227:
	s_mov_b32 s27, -1
                                        ; implicit-def: $vgpr16_vgpr17
.LBB62_3228:
	s_delay_alu instid0(SALU_CYCLE_1)
	s_and_b32 vcc_lo, exec_lo, s27
	s_cbranch_vccz .LBB62_3230
; %bb.3229:
	global_load_u8 v1, v[8:9], off
	s_wait_loadcnt 0x0
	v_lshlrev_b32_e32 v1, 24, v1
	s_delay_alu instid0(VALU_DEP_1) | instskip(NEXT) | instid1(VALU_DEP_1)
	v_and_b32_e32 v3, 0x7f000000, v1
	v_clz_i32_u32_e32 v5, v3
	v_cmp_ne_u32_e32 vcc_lo, 0, v3
	v_add_nc_u32_e32 v16, 0x1000000, v3
	s_delay_alu instid0(VALU_DEP_3) | instskip(NEXT) | instid1(VALU_DEP_1)
	v_min_u32_e32 v5, 32, v5
	v_sub_nc_u32_e64 v5, v5, 4 clamp
	s_delay_alu instid0(VALU_DEP_1) | instskip(NEXT) | instid1(VALU_DEP_1)
	v_dual_lshlrev_b32 v7, v5, v3 :: v_dual_lshlrev_b32 v5, 23, v5
	v_lshrrev_b32_e32 v7, 4, v7
	s_delay_alu instid0(VALU_DEP_1) | instskip(NEXT) | instid1(VALU_DEP_1)
	v_dual_sub_nc_u32 v5, v7, v5 :: v_dual_ashrrev_i32 v7, 8, v16
	v_add_nc_u32_e32 v5, 0x3c000000, v5
	s_delay_alu instid0(VALU_DEP_1) | instskip(NEXT) | instid1(VALU_DEP_1)
	v_and_or_b32 v5, 0x7f800000, v7, v5
	v_cndmask_b32_e32 v3, 0, v5, vcc_lo
	s_delay_alu instid0(VALU_DEP_1) | instskip(NEXT) | instid1(VALU_DEP_1)
	v_and_or_b32 v1, 0x80000000, v1, v3
	v_trunc_f32_e32 v1, v1
	s_delay_alu instid0(VALU_DEP_1) | instskip(SKIP_1) | instid1(VALU_DEP_2)
	v_mul_f32_e64 v3, 0x2f800000, |v1|
	v_ashrrev_i32_e32 v16, 31, v1
	v_floor_f32_e32 v3, v3
	s_delay_alu instid0(VALU_DEP_1) | instskip(SKIP_1) | instid1(VALU_DEP_4)
	v_fma_f32 v5, 0xcf800000, v3, |v1|
	v_cvt_u32_f32_e32 v1, v3
	v_mov_b32_e32 v17, v16
	s_delay_alu instid0(VALU_DEP_3) | instskip(NEXT) | instid1(VALU_DEP_3)
	v_cvt_u32_f32_e32 v3, v5
	v_xor_b32_e32 v19, v1, v16
	s_delay_alu instid0(VALU_DEP_2) | instskip(NEXT) | instid1(VALU_DEP_1)
	v_xor_b32_e32 v18, v3, v16
	v_sub_nc_u64_e32 v[16:17], v[18:19], v[16:17]
.LBB62_3230:
	s_mov_b32 s27, 0
.LBB62_3231:
	s_delay_alu instid0(SALU_CYCLE_1)
	s_and_not1_b32 vcc_lo, exec_lo, s27
	s_cbranch_vccnz .LBB62_3233
; %bb.3232:
	global_load_u8 v1, v[8:9], off
	s_wait_loadcnt 0x0
	v_lshlrev_b32_e32 v3, 25, v1
	v_lshlrev_b16 v1, 8, v1
	s_delay_alu instid0(VALU_DEP_1) | instskip(SKIP_1) | instid1(VALU_DEP_2)
	v_and_or_b32 v7, 0x7f00, v1, 0.5
	v_bfe_i32 v1, v1, 0, 16
	v_add_f32_e32 v7, -0.5, v7
	v_lshrrev_b32_e32 v5, 4, v3
	v_cmp_gt_u32_e32 vcc_lo, 0x8000000, v3
	s_delay_alu instid0(VALU_DEP_2) | instskip(NEXT) | instid1(VALU_DEP_1)
	v_or_b32_e32 v5, 0x70000000, v5
	v_mul_f32_e32 v5, 0x7800000, v5
	s_delay_alu instid0(VALU_DEP_1) | instskip(NEXT) | instid1(VALU_DEP_1)
	v_cndmask_b32_e32 v3, v5, v7, vcc_lo
	v_and_or_b32 v1, 0x80000000, v1, v3
	s_delay_alu instid0(VALU_DEP_1) | instskip(NEXT) | instid1(VALU_DEP_1)
	v_trunc_f32_e32 v1, v1
	v_mul_f32_e64 v3, 0x2f800000, |v1|
	v_ashrrev_i32_e32 v16, 31, v1
	s_delay_alu instid0(VALU_DEP_2) | instskip(NEXT) | instid1(VALU_DEP_2)
	v_floor_f32_e32 v3, v3
	v_mov_b32_e32 v17, v16
	s_delay_alu instid0(VALU_DEP_2) | instskip(SKIP_1) | instid1(VALU_DEP_2)
	v_fma_f32 v5, 0xcf800000, v3, |v1|
	v_cvt_u32_f32_e32 v1, v3
	v_cvt_u32_f32_e32 v3, v5
	s_delay_alu instid0(VALU_DEP_2) | instskip(NEXT) | instid1(VALU_DEP_2)
	v_xor_b32_e32 v19, v1, v16
	v_xor_b32_e32 v18, v3, v16
	s_delay_alu instid0(VALU_DEP_1)
	v_sub_nc_u64_e32 v[16:17], v[18:19], v[16:17]
.LBB62_3233:
	s_mov_b32 s27, 0
	s_mov_b32 s28, -1
.LBB62_3234:
	s_and_not1_b32 vcc_lo, exec_lo, s27
	s_mov_b32 s27, 0
	s_cbranch_vccnz .LBB62_3245
; %bb.3235:
	s_cmp_gt_i32 s0, 14
	s_cbranch_scc0 .LBB62_3238
; %bb.3236:
	s_cmp_eq_u32 s0, 15
	s_cbranch_scc0 .LBB62_3241
; %bb.3237:
	global_load_u16 v1, v[8:9], off
	s_mov_b32 s1, 0
	s_mov_b32 s28, -1
	s_wait_loadcnt 0x0
	v_lshlrev_b32_e32 v1, 16, v1
	s_delay_alu instid0(VALU_DEP_1) | instskip(NEXT) | instid1(VALU_DEP_1)
	v_trunc_f32_e32 v1, v1
	v_mul_f32_e64 v3, 0x2f800000, |v1|
	v_ashrrev_i32_e32 v16, 31, v1
	s_delay_alu instid0(VALU_DEP_2) | instskip(NEXT) | instid1(VALU_DEP_2)
	v_floor_f32_e32 v3, v3
	v_mov_b32_e32 v17, v16
	s_delay_alu instid0(VALU_DEP_2) | instskip(SKIP_1) | instid1(VALU_DEP_2)
	v_fma_f32 v5, 0xcf800000, v3, |v1|
	v_cvt_u32_f32_e32 v1, v3
	v_cvt_u32_f32_e32 v3, v5
	s_delay_alu instid0(VALU_DEP_2) | instskip(NEXT) | instid1(VALU_DEP_2)
	v_xor_b32_e32 v19, v1, v16
	v_xor_b32_e32 v18, v3, v16
	s_delay_alu instid0(VALU_DEP_1)
	v_sub_nc_u64_e32 v[16:17], v[18:19], v[16:17]
	s_branch .LBB62_3243
.LBB62_3238:
	s_mov_b32 s27, -1
	s_branch .LBB62_3242
.LBB62_3239:
	s_and_not1_saveexec_b32 s27, s27
	s_cbranch_execz .LBB62_3220
.LBB62_3240:
	v_cmp_ne_u16_e32 vcc_lo, 0, v1
	s_and_not1_b32 s28, s28, exec_lo
	s_and_b32 s30, vcc_lo, exec_lo
	s_delay_alu instid0(SALU_CYCLE_1)
	s_or_b32 s28, s28, s30
	s_or_b32 exec_lo, exec_lo, s27
	v_mov_b64_e32 v[16:17], 0
	s_and_saveexec_b32 s27, s28
	s_cbranch_execnz .LBB62_3221
	s_branch .LBB62_3222
.LBB62_3241:
	s_mov_b32 s1, -1
.LBB62_3242:
                                        ; implicit-def: $vgpr16_vgpr17
.LBB62_3243:
	s_and_b32 vcc_lo, exec_lo, s27
	s_mov_b32 s27, 0
	s_cbranch_vccz .LBB62_3245
; %bb.3244:
	s_cmp_lg_u32 s0, 11
	s_mov_b32 s27, -1
	s_cselect_b32 s1, -1, 0
.LBB62_3245:
	s_delay_alu instid0(SALU_CYCLE_1)
	s_and_b32 vcc_lo, exec_lo, s1
	s_cbranch_vccnz .LBB62_3310
; %bb.3246:
	s_and_not1_b32 vcc_lo, exec_lo, s27
	s_cbranch_vccnz .LBB62_3248
.LBB62_3247:
	global_load_u8 v1, v[8:9], off
	s_mov_b32 s0, 0
	s_mov_b32 s28, -1
	s_wait_loadcnt 0x1
	v_mov_b32_e32 v17, s0
	s_wait_loadcnt 0x0
	v_cmp_ne_u16_e32 vcc_lo, 0, v1
	v_cndmask_b32_e64 v16, 0, 1, vcc_lo
.LBB62_3248:
	s_mov_b32 s0, 0
.LBB62_3249:
	s_delay_alu instid0(SALU_CYCLE_1)
	s_and_b32 vcc_lo, exec_lo, s0
	s_cbranch_vccz .LBB62_3298
; %bb.3250:
	s_and_b32 s0, 0xffff, s60
	s_delay_alu instid0(SALU_CYCLE_1)
	s_cmp_lt_i32 s0, 5
	s_cbranch_scc1 .LBB62_3255
; %bb.3251:
	s_cmp_lt_i32 s0, 8
	s_cbranch_scc1 .LBB62_3256
; %bb.3252:
	;; [unrolled: 3-line block ×3, first 2 shown]
	s_cmp_gt_i32 s0, 9
	s_cbranch_scc0 .LBB62_3258
; %bb.3254:
	s_wait_loadcnt 0x0
	global_load_b64 v[16:17], v[8:9], off
	s_mov_b32 s1, 0
	s_wait_loadcnt 0x0
	v_trunc_f64_e32 v[16:17], v[16:17]
	s_delay_alu instid0(VALU_DEP_1) | instskip(NEXT) | instid1(VALU_DEP_1)
	v_ldexp_f64 v[18:19], v[16:17], 0xffffffe0
	v_floor_f64_e32 v[18:19], v[18:19]
	s_delay_alu instid0(VALU_DEP_1) | instskip(SKIP_1) | instid1(VALU_DEP_2)
	v_fmamk_f64 v[20:21], v[18:19], 0xc1f00000, v[16:17]
	v_cvt_i32_f64_e32 v17, v[18:19]
	v_cvt_u32_f64_e32 v16, v[20:21]
	s_branch .LBB62_3259
.LBB62_3255:
	s_mov_b32 s1, -1
                                        ; implicit-def: $vgpr16_vgpr17
	s_branch .LBB62_3277
.LBB62_3256:
	s_mov_b32 s1, -1
                                        ; implicit-def: $vgpr16_vgpr17
	s_branch .LBB62_3265
.LBB62_3257:
	s_mov_b32 s1, -1
                                        ; implicit-def: $vgpr16_vgpr17
	s_branch .LBB62_3262
.LBB62_3258:
	s_mov_b32 s1, -1
                                        ; implicit-def: $vgpr16_vgpr17
.LBB62_3259:
	s_delay_alu instid0(SALU_CYCLE_1)
	s_and_not1_b32 vcc_lo, exec_lo, s1
	s_cbranch_vccnz .LBB62_3261
; %bb.3260:
	global_load_b32 v1, v[8:9], off
	s_wait_loadcnt 0x0
	v_trunc_f32_e32 v1, v1
	s_delay_alu instid0(VALU_DEP_1) | instskip(SKIP_1) | instid1(VALU_DEP_2)
	v_mul_f32_e64 v3, 0x2f800000, |v1|
	v_ashrrev_i32_e32 v16, 31, v1
	v_floor_f32_e32 v3, v3
	s_delay_alu instid0(VALU_DEP_1) | instskip(SKIP_1) | instid1(VALU_DEP_4)
	v_fma_f32 v5, 0xcf800000, v3, |v1|
	v_cvt_u32_f32_e32 v1, v3
	v_mov_b32_e32 v17, v16
	s_delay_alu instid0(VALU_DEP_3) | instskip(NEXT) | instid1(VALU_DEP_3)
	v_cvt_u32_f32_e32 v3, v5
	v_xor_b32_e32 v19, v1, v16
	s_delay_alu instid0(VALU_DEP_2) | instskip(NEXT) | instid1(VALU_DEP_1)
	v_xor_b32_e32 v18, v3, v16
	v_sub_nc_u64_e32 v[16:17], v[18:19], v[16:17]
.LBB62_3261:
	s_mov_b32 s1, 0
.LBB62_3262:
	s_delay_alu instid0(SALU_CYCLE_1)
	s_and_not1_b32 vcc_lo, exec_lo, s1
	s_cbranch_vccnz .LBB62_3264
; %bb.3263:
	global_load_b32 v1, v[8:9], off
	s_wait_loadcnt 0x0
	v_cvt_f32_f16_e32 v1, v1
	s_delay_alu instid0(VALU_DEP_1) | instskip(NEXT) | instid1(VALU_DEP_1)
	v_cvt_i32_f32_e32 v16, v1
	v_ashrrev_i32_e32 v17, 31, v16
.LBB62_3264:
	s_mov_b32 s1, 0
.LBB62_3265:
	s_delay_alu instid0(SALU_CYCLE_1)
	s_and_not1_b32 vcc_lo, exec_lo, s1
	s_cbranch_vccnz .LBB62_3276
; %bb.3266:
	s_cmp_lt_i32 s0, 6
	s_cbranch_scc1 .LBB62_3269
; %bb.3267:
	s_cmp_gt_i32 s0, 6
	s_cbranch_scc0 .LBB62_3270
; %bb.3268:
	s_wait_loadcnt 0x0
	global_load_b64 v[16:17], v[8:9], off
	s_mov_b32 s1, 0
	s_wait_loadcnt 0x0
	v_trunc_f64_e32 v[16:17], v[16:17]
	s_delay_alu instid0(VALU_DEP_1) | instskip(NEXT) | instid1(VALU_DEP_1)
	v_ldexp_f64 v[18:19], v[16:17], 0xffffffe0
	v_floor_f64_e32 v[18:19], v[18:19]
	s_delay_alu instid0(VALU_DEP_1) | instskip(SKIP_1) | instid1(VALU_DEP_2)
	v_fmamk_f64 v[20:21], v[18:19], 0xc1f00000, v[16:17]
	v_cvt_i32_f64_e32 v17, v[18:19]
	v_cvt_u32_f64_e32 v16, v[20:21]
	s_branch .LBB62_3271
.LBB62_3269:
	s_mov_b32 s1, -1
                                        ; implicit-def: $vgpr16_vgpr17
	s_branch .LBB62_3274
.LBB62_3270:
	s_mov_b32 s1, -1
                                        ; implicit-def: $vgpr16_vgpr17
.LBB62_3271:
	s_delay_alu instid0(SALU_CYCLE_1)
	s_and_not1_b32 vcc_lo, exec_lo, s1
	s_cbranch_vccnz .LBB62_3273
; %bb.3272:
	global_load_b32 v1, v[8:9], off
	s_wait_loadcnt 0x0
	v_trunc_f32_e32 v1, v1
	s_delay_alu instid0(VALU_DEP_1) | instskip(SKIP_1) | instid1(VALU_DEP_2)
	v_mul_f32_e64 v3, 0x2f800000, |v1|
	v_ashrrev_i32_e32 v16, 31, v1
	v_floor_f32_e32 v3, v3
	s_delay_alu instid0(VALU_DEP_1) | instskip(SKIP_1) | instid1(VALU_DEP_4)
	v_fma_f32 v5, 0xcf800000, v3, |v1|
	v_cvt_u32_f32_e32 v1, v3
	v_mov_b32_e32 v17, v16
	s_delay_alu instid0(VALU_DEP_3) | instskip(NEXT) | instid1(VALU_DEP_3)
	v_cvt_u32_f32_e32 v3, v5
	v_xor_b32_e32 v19, v1, v16
	s_delay_alu instid0(VALU_DEP_2) | instskip(NEXT) | instid1(VALU_DEP_1)
	v_xor_b32_e32 v18, v3, v16
	v_sub_nc_u64_e32 v[16:17], v[18:19], v[16:17]
.LBB62_3273:
	s_mov_b32 s1, 0
.LBB62_3274:
	s_delay_alu instid0(SALU_CYCLE_1)
	s_and_not1_b32 vcc_lo, exec_lo, s1
	s_cbranch_vccnz .LBB62_3276
; %bb.3275:
	global_load_u16 v1, v[8:9], off
	s_wait_loadcnt 0x0
	v_cvt_f32_f16_e32 v1, v1
	s_delay_alu instid0(VALU_DEP_1) | instskip(NEXT) | instid1(VALU_DEP_1)
	v_cvt_i32_f32_e32 v16, v1
	v_ashrrev_i32_e32 v17, 31, v16
.LBB62_3276:
	s_mov_b32 s1, 0
.LBB62_3277:
	s_delay_alu instid0(SALU_CYCLE_1)
	s_and_not1_b32 vcc_lo, exec_lo, s1
	s_cbranch_vccnz .LBB62_3297
; %bb.3278:
	s_cmp_lt_i32 s0, 2
	s_cbranch_scc1 .LBB62_3282
; %bb.3279:
	s_cmp_lt_i32 s0, 3
	s_cbranch_scc1 .LBB62_3283
; %bb.3280:
	s_cmp_gt_i32 s0, 3
	s_cbranch_scc0 .LBB62_3284
; %bb.3281:
	s_wait_loadcnt 0x0
	global_load_b64 v[16:17], v[8:9], off
	s_mov_b32 s1, 0
	s_branch .LBB62_3285
.LBB62_3282:
	s_mov_b32 s1, -1
                                        ; implicit-def: $vgpr16_vgpr17
	s_branch .LBB62_3291
.LBB62_3283:
	s_mov_b32 s1, -1
                                        ; implicit-def: $vgpr16_vgpr17
	s_branch .LBB62_3288
.LBB62_3284:
	s_mov_b32 s1, -1
                                        ; implicit-def: $vgpr16_vgpr17
.LBB62_3285:
	s_delay_alu instid0(SALU_CYCLE_1)
	s_and_not1_b32 vcc_lo, exec_lo, s1
	s_cbranch_vccnz .LBB62_3287
; %bb.3286:
	s_wait_loadcnt 0x0
	global_load_b32 v16, v[8:9], off
	s_wait_loadcnt 0x0
	v_ashrrev_i32_e32 v17, 31, v16
.LBB62_3287:
	s_mov_b32 s1, 0
.LBB62_3288:
	s_delay_alu instid0(SALU_CYCLE_1)
	s_and_not1_b32 vcc_lo, exec_lo, s1
	s_cbranch_vccnz .LBB62_3290
; %bb.3289:
	global_load_u16 v1, v[8:9], off
	s_wait_loadcnt 0x0
	v_bfe_i32 v16, v1, 0, 16
	s_delay_alu instid0(VALU_DEP_1)
	v_ashrrev_i32_e32 v17, 31, v16
.LBB62_3290:
	s_mov_b32 s1, 0
.LBB62_3291:
	s_delay_alu instid0(SALU_CYCLE_1)
	s_and_not1_b32 vcc_lo, exec_lo, s1
	s_cbranch_vccnz .LBB62_3297
; %bb.3292:
	s_cmp_gt_i32 s0, 0
	s_mov_b32 s0, 0
	s_cbranch_scc0 .LBB62_3294
; %bb.3293:
	global_load_i8 v1, v[8:9], off
	s_wait_loadcnt 0x0
	v_bfe_i32 v16, v1, 0, 16
	s_delay_alu instid0(VALU_DEP_1)
	v_ashrrev_i32_e32 v17, 31, v16
	s_branch .LBB62_3295
.LBB62_3294:
	s_mov_b32 s0, -1
                                        ; implicit-def: $vgpr16_vgpr17
.LBB62_3295:
	s_delay_alu instid0(SALU_CYCLE_1)
	s_and_not1_b32 vcc_lo, exec_lo, s0
	s_cbranch_vccnz .LBB62_3297
; %bb.3296:
	global_load_u8 v1, v[8:9], off
	s_mov_b32 s0, 0
	s_wait_loadcnt 0x1
	v_mov_b32_e32 v17, s0
	s_wait_loadcnt 0x0
	v_and_b32_e32 v16, 0xffff, v1
.LBB62_3297:
	s_mov_b32 s28, -1
.LBB62_3298:
	s_delay_alu instid0(SALU_CYCLE_1)
	s_and_not1_b32 vcc_lo, exec_lo, s28
	s_cbranch_vccnz .LBB62_3434
; %bb.3299:
	s_wait_xcnt 0x0
	v_mul_lo_u32 v8, s3, v22
	s_and_b32 s61, s29, 0xff
	s_delay_alu instid0(SALU_CYCLE_1) | instskip(NEXT) | instid1(VALU_DEP_1)
	s_cmp_lt_i32 s61, 11
	v_ashrrev_i32_e32 v9, 31, v8
	s_delay_alu instid0(VALU_DEP_1)
	v_add_nc_u64_e32 v[18:19], s[14:15], v[8:9]
	s_cbranch_scc1 .LBB62_3306
; %bb.3300:
	s_and_b32 s0, 0xffff, s61
	s_mov_b32 s27, 0
	s_cmp_gt_i32 s0, 25
	s_cbranch_scc0 .LBB62_3307
; %bb.3301:
	s_cmp_gt_i32 s0, 28
	s_cbranch_scc0 .LBB62_3308
; %bb.3302:
	;; [unrolled: 3-line block ×4, first 2 shown]
	s_cmp_eq_u32 s0, 46
	s_mov_b32 s29, 0
	s_cbranch_scc0 .LBB62_3312
; %bb.3305:
	global_load_b32 v1, v[18:19], off
	s_mov_b32 s1, 0
	s_mov_b32 s28, -1
	s_wait_loadcnt 0x0
	v_lshlrev_b32_e32 v1, 16, v1
	s_delay_alu instid0(VALU_DEP_1) | instskip(NEXT) | instid1(VALU_DEP_1)
	v_trunc_f32_e32 v1, v1
	v_mul_f32_e64 v3, 0x2f800000, |v1|
	v_ashrrev_i32_e32 v20, 31, v1
	s_delay_alu instid0(VALU_DEP_2) | instskip(NEXT) | instid1(VALU_DEP_2)
	v_floor_f32_e32 v3, v3
	v_mov_b32_e32 v21, v20
	s_delay_alu instid0(VALU_DEP_2) | instskip(SKIP_1) | instid1(VALU_DEP_2)
	v_fma_f32 v5, 0xcf800000, v3, |v1|
	v_cvt_u32_f32_e32 v1, v3
	v_cvt_u32_f32_e32 v3, v5
	s_delay_alu instid0(VALU_DEP_2) | instskip(NEXT) | instid1(VALU_DEP_2)
	v_xor_b32_e32 v25, v1, v20
	v_xor_b32_e32 v24, v3, v20
	s_delay_alu instid0(VALU_DEP_1)
	v_sub_nc_u64_e32 v[20:21], v[24:25], v[20:21]
	s_branch .LBB62_3314
.LBB62_3306:
	s_mov_b32 s0, -1
	s_mov_b32 s28, 0
                                        ; implicit-def: $vgpr20_vgpr21
	s_branch .LBB62_3376
.LBB62_3307:
	s_mov_b32 s29, -1
	s_mov_b32 s28, 0
	s_mov_b32 s1, 0
                                        ; implicit-def: $vgpr20_vgpr21
	s_branch .LBB62_3341
.LBB62_3308:
	s_mov_b32 s29, -1
	s_mov_b32 s28, 0
	s_mov_b32 s1, 0
                                        ; implicit-def: $vgpr20_vgpr21
	s_branch .LBB62_3324
.LBB62_3309:
	s_mov_b32 s29, -1
	s_mov_b32 s28, 0
	s_mov_b32 s1, 0
                                        ; implicit-def: $vgpr20_vgpr21
	s_branch .LBB62_3319
.LBB62_3310:
	s_or_b32 s43, s43, exec_lo
	s_trap 2
	s_cbranch_execz .LBB62_3247
	s_branch .LBB62_3248
.LBB62_3311:
	s_mov_b32 s29, -1
	s_mov_b32 s28, 0
	s_mov_b32 s1, 0
	s_branch .LBB62_3313
.LBB62_3312:
	s_mov_b32 s1, -1
	s_mov_b32 s28, 0
.LBB62_3313:
                                        ; implicit-def: $vgpr20_vgpr21
.LBB62_3314:
	s_and_b32 vcc_lo, exec_lo, s29
	s_cbranch_vccz .LBB62_3318
; %bb.3315:
	s_cmp_eq_u32 s0, 44
	s_cbranch_scc0 .LBB62_3317
; %bb.3316:
	global_load_u8 v1, v[18:19], off
	s_mov_b32 s1, 0
	s_mov_b32 s28, -1
	s_wait_loadcnt 0x0
	v_lshlrev_b32_e32 v3, 23, v1
	v_cmp_ne_u32_e32 vcc_lo, 0, v1
	s_delay_alu instid0(VALU_DEP_2) | instskip(NEXT) | instid1(VALU_DEP_1)
	v_trunc_f32_e32 v3, v3
	v_mul_f32_e64 v5, 0x2f800000, |v3|
	v_ashrrev_i32_e32 v20, 31, v3
	s_delay_alu instid0(VALU_DEP_2) | instskip(NEXT) | instid1(VALU_DEP_2)
	v_floor_f32_e32 v5, v5
	v_mov_b32_e32 v21, v20
	s_delay_alu instid0(VALU_DEP_2) | instskip(SKIP_1) | instid1(VALU_DEP_2)
	v_fma_f32 v7, 0xcf800000, v5, |v3|
	v_cvt_u32_f32_e32 v3, v5
	v_cvt_u32_f32_e32 v5, v7
	s_delay_alu instid0(VALU_DEP_2) | instskip(NEXT) | instid1(VALU_DEP_2)
	v_xor_b32_e32 v25, v3, v20
	v_xor_b32_e32 v24, v5, v20
	s_delay_alu instid0(VALU_DEP_1) | instskip(NEXT) | instid1(VALU_DEP_1)
	v_sub_nc_u64_e32 v[20:21], v[24:25], v[20:21]
	v_dual_cndmask_b32 v21, 0, v21 :: v_dual_cndmask_b32 v20, 0, v20
	s_branch .LBB62_3318
.LBB62_3317:
	s_mov_b32 s1, -1
                                        ; implicit-def: $vgpr20_vgpr21
.LBB62_3318:
	s_mov_b32 s29, 0
.LBB62_3319:
	s_delay_alu instid0(SALU_CYCLE_1)
	s_and_b32 vcc_lo, exec_lo, s29
	s_cbranch_vccz .LBB62_3323
; %bb.3320:
	s_cmp_eq_u32 s0, 29
	s_cbranch_scc0 .LBB62_3322
; %bb.3321:
	global_load_b64 v[20:21], v[18:19], off
	s_mov_b32 s1, 0
	s_mov_b32 s28, -1
	s_branch .LBB62_3323
.LBB62_3322:
	s_mov_b32 s1, -1
                                        ; implicit-def: $vgpr20_vgpr21
.LBB62_3323:
	s_mov_b32 s29, 0
.LBB62_3324:
	s_delay_alu instid0(SALU_CYCLE_1)
	s_and_b32 vcc_lo, exec_lo, s29
	s_cbranch_vccz .LBB62_3340
; %bb.3325:
	s_cmp_lt_i32 s0, 27
	s_cbranch_scc1 .LBB62_3328
; %bb.3326:
	s_cmp_gt_i32 s0, 27
	s_cbranch_scc0 .LBB62_3329
; %bb.3327:
	s_wait_loadcnt 0x0
	global_load_b32 v20, v[18:19], off
	v_mov_b32_e32 v21, 0
	s_mov_b32 s28, 0
	s_branch .LBB62_3330
.LBB62_3328:
	s_mov_b32 s28, -1
                                        ; implicit-def: $vgpr20_vgpr21
	s_branch .LBB62_3333
.LBB62_3329:
	s_mov_b32 s28, -1
                                        ; implicit-def: $vgpr20_vgpr21
.LBB62_3330:
	s_delay_alu instid0(SALU_CYCLE_1)
	s_and_not1_b32 vcc_lo, exec_lo, s28
	s_cbranch_vccnz .LBB62_3332
; %bb.3331:
	global_load_u16 v1, v[18:19], off
	s_mov_b32 s28, 0
	s_wait_loadcnt 0x1
	v_mov_b32_e32 v21, s28
	s_wait_loadcnt 0x0
	v_and_b32_e32 v20, 0xffff, v1
.LBB62_3332:
	s_mov_b32 s28, 0
.LBB62_3333:
	s_delay_alu instid0(SALU_CYCLE_1)
	s_and_not1_b32 vcc_lo, exec_lo, s28
	s_cbranch_vccnz .LBB62_3339
; %bb.3334:
	global_load_u8 v1, v[18:19], off
	s_mov_b32 s29, 0
	s_mov_b32 s28, exec_lo
	s_wait_loadcnt 0x0
	v_cmpx_lt_i16_e32 0x7f, v1
	s_xor_b32 s28, exec_lo, s28
	s_cbranch_execz .LBB62_3351
; %bb.3335:
	v_cmp_ne_u16_e32 vcc_lo, 0x80, v1
	s_and_b32 s29, vcc_lo, exec_lo
	s_and_not1_saveexec_b32 s28, s28
	s_cbranch_execnz .LBB62_3352
.LBB62_3336:
	s_or_b32 exec_lo, exec_lo, s28
	v_mov_b64_e32 v[20:21], 0
	s_and_saveexec_b32 s28, s29
	s_cbranch_execz .LBB62_3338
.LBB62_3337:
	v_and_b32_e32 v3, 0xffff, v1
	s_delay_alu instid0(VALU_DEP_1) | instskip(SKIP_1) | instid1(VALU_DEP_2)
	v_dual_lshlrev_b32 v1, 24, v1 :: v_dual_bitop2_b32 v5, 7, v3 bitop3:0x40
	v_bfe_u32 v20, v3, 3, 4
	v_and_b32_e32 v1, 0x80000000, v1
	s_delay_alu instid0(VALU_DEP_3) | instskip(NEXT) | instid1(VALU_DEP_3)
	v_clz_i32_u32_e32 v7, v5
	v_cmp_eq_u32_e32 vcc_lo, 0, v20
	s_delay_alu instid0(VALU_DEP_2) | instskip(NEXT) | instid1(VALU_DEP_1)
	v_min_u32_e32 v7, 32, v7
	v_subrev_nc_u32_e32 v9, 28, v7
	v_sub_nc_u32_e32 v7, 29, v7
	s_delay_alu instid0(VALU_DEP_2) | instskip(NEXT) | instid1(VALU_DEP_2)
	v_lshlrev_b32_e32 v3, v9, v3
	v_cndmask_b32_e32 v7, v20, v7, vcc_lo
	s_delay_alu instid0(VALU_DEP_2) | instskip(NEXT) | instid1(VALU_DEP_1)
	v_and_b32_e32 v3, 7, v3
	v_cndmask_b32_e32 v3, v5, v3, vcc_lo
	s_delay_alu instid0(VALU_DEP_3) | instskip(NEXT) | instid1(VALU_DEP_2)
	v_lshl_add_u32 v5, v7, 23, 0x3b800000
	v_lshlrev_b32_e32 v3, 20, v3
	s_delay_alu instid0(VALU_DEP_1) | instskip(NEXT) | instid1(VALU_DEP_1)
	v_or3_b32 v1, v1, v5, v3
	v_trunc_f32_e32 v1, v1
	s_delay_alu instid0(VALU_DEP_1) | instskip(SKIP_1) | instid1(VALU_DEP_2)
	v_mul_f32_e64 v3, 0x2f800000, |v1|
	v_ashrrev_i32_e32 v20, 31, v1
	v_floor_f32_e32 v3, v3
	s_delay_alu instid0(VALU_DEP_2) | instskip(NEXT) | instid1(VALU_DEP_2)
	v_mov_b32_e32 v21, v20
	v_fma_f32 v5, 0xcf800000, v3, |v1|
	v_cvt_u32_f32_e32 v1, v3
	s_delay_alu instid0(VALU_DEP_2) | instskip(NEXT) | instid1(VALU_DEP_2)
	v_cvt_u32_f32_e32 v3, v5
	v_xor_b32_e32 v25, v1, v20
	s_delay_alu instid0(VALU_DEP_2) | instskip(NEXT) | instid1(VALU_DEP_1)
	v_xor_b32_e32 v24, v3, v20
	v_sub_nc_u64_e32 v[20:21], v[24:25], v[20:21]
.LBB62_3338:
	s_or_b32 exec_lo, exec_lo, s28
.LBB62_3339:
	s_mov_b32 s28, -1
.LBB62_3340:
	s_mov_b32 s29, 0
.LBB62_3341:
	s_delay_alu instid0(SALU_CYCLE_1)
	s_and_b32 vcc_lo, exec_lo, s29
	s_cbranch_vccz .LBB62_3372
; %bb.3342:
	s_cmp_gt_i32 s0, 22
	s_cbranch_scc0 .LBB62_3350
; %bb.3343:
	s_cmp_lt_i32 s0, 24
	s_cbranch_scc1 .LBB62_3353
; %bb.3344:
	s_cmp_gt_i32 s0, 24
	s_cbranch_scc0 .LBB62_3354
; %bb.3345:
	global_load_u8 v1, v[18:19], off
	s_mov_b32 s28, 0
	s_mov_b32 s27, exec_lo
	s_wait_loadcnt 0x0
	v_cmpx_lt_i16_e32 0x7f, v1
	s_xor_b32 s27, exec_lo, s27
	s_cbranch_execz .LBB62_3366
; %bb.3346:
	v_cmp_ne_u16_e32 vcc_lo, 0x80, v1
	s_and_b32 s28, vcc_lo, exec_lo
	s_and_not1_saveexec_b32 s27, s27
	s_cbranch_execnz .LBB62_3367
.LBB62_3347:
	s_or_b32 exec_lo, exec_lo, s27
	v_mov_b64_e32 v[20:21], 0
	s_and_saveexec_b32 s27, s28
	s_cbranch_execz .LBB62_3349
.LBB62_3348:
	v_and_b32_e32 v3, 0xffff, v1
	s_delay_alu instid0(VALU_DEP_1) | instskip(SKIP_1) | instid1(VALU_DEP_2)
	v_dual_lshlrev_b32 v1, 24, v1 :: v_dual_bitop2_b32 v5, 3, v3 bitop3:0x40
	v_bfe_u32 v20, v3, 2, 5
	v_and_b32_e32 v1, 0x80000000, v1
	s_delay_alu instid0(VALU_DEP_3) | instskip(NEXT) | instid1(VALU_DEP_3)
	v_clz_i32_u32_e32 v7, v5
	v_cmp_eq_u32_e32 vcc_lo, 0, v20
	s_delay_alu instid0(VALU_DEP_2) | instskip(NEXT) | instid1(VALU_DEP_1)
	v_min_u32_e32 v7, 32, v7
	v_subrev_nc_u32_e32 v9, 29, v7
	v_sub_nc_u32_e32 v7, 30, v7
	s_delay_alu instid0(VALU_DEP_2) | instskip(NEXT) | instid1(VALU_DEP_2)
	v_lshlrev_b32_e32 v3, v9, v3
	v_cndmask_b32_e32 v7, v20, v7, vcc_lo
	s_delay_alu instid0(VALU_DEP_2) | instskip(NEXT) | instid1(VALU_DEP_1)
	v_and_b32_e32 v3, 3, v3
	v_cndmask_b32_e32 v3, v5, v3, vcc_lo
	s_delay_alu instid0(VALU_DEP_3) | instskip(NEXT) | instid1(VALU_DEP_2)
	v_lshl_add_u32 v5, v7, 23, 0x37800000
	v_lshlrev_b32_e32 v3, 21, v3
	s_delay_alu instid0(VALU_DEP_1) | instskip(NEXT) | instid1(VALU_DEP_1)
	v_or3_b32 v1, v1, v5, v3
	v_trunc_f32_e32 v1, v1
	s_delay_alu instid0(VALU_DEP_1) | instskip(SKIP_1) | instid1(VALU_DEP_2)
	v_mul_f32_e64 v3, 0x2f800000, |v1|
	v_ashrrev_i32_e32 v20, 31, v1
	v_floor_f32_e32 v3, v3
	s_delay_alu instid0(VALU_DEP_2) | instskip(NEXT) | instid1(VALU_DEP_2)
	v_mov_b32_e32 v21, v20
	v_fma_f32 v5, 0xcf800000, v3, |v1|
	v_cvt_u32_f32_e32 v1, v3
	s_delay_alu instid0(VALU_DEP_2) | instskip(NEXT) | instid1(VALU_DEP_2)
	v_cvt_u32_f32_e32 v3, v5
	v_xor_b32_e32 v25, v1, v20
	s_delay_alu instid0(VALU_DEP_2) | instskip(NEXT) | instid1(VALU_DEP_1)
	v_xor_b32_e32 v24, v3, v20
	v_sub_nc_u64_e32 v[20:21], v[24:25], v[20:21]
.LBB62_3349:
	s_or_b32 exec_lo, exec_lo, s27
	s_mov_b32 s27, 0
	s_branch .LBB62_3355
.LBB62_3350:
	s_mov_b32 s27, -1
                                        ; implicit-def: $vgpr20_vgpr21
	s_branch .LBB62_3361
.LBB62_3351:
	s_and_not1_saveexec_b32 s28, s28
	s_cbranch_execz .LBB62_3336
.LBB62_3352:
	v_cmp_ne_u16_e32 vcc_lo, 0, v1
	s_and_not1_b32 s29, s29, exec_lo
	s_and_b32 s30, vcc_lo, exec_lo
	s_delay_alu instid0(SALU_CYCLE_1)
	s_or_b32 s29, s29, s30
	s_or_b32 exec_lo, exec_lo, s28
	v_mov_b64_e32 v[20:21], 0
	s_and_saveexec_b32 s28, s29
	s_cbranch_execnz .LBB62_3337
	s_branch .LBB62_3338
.LBB62_3353:
	s_mov_b32 s27, -1
                                        ; implicit-def: $vgpr20_vgpr21
	s_branch .LBB62_3358
.LBB62_3354:
	s_mov_b32 s27, -1
                                        ; implicit-def: $vgpr20_vgpr21
.LBB62_3355:
	s_delay_alu instid0(SALU_CYCLE_1)
	s_and_b32 vcc_lo, exec_lo, s27
	s_cbranch_vccz .LBB62_3357
; %bb.3356:
	global_load_u8 v1, v[18:19], off
	s_wait_loadcnt 0x0
	v_lshlrev_b32_e32 v1, 24, v1
	s_delay_alu instid0(VALU_DEP_1) | instskip(NEXT) | instid1(VALU_DEP_1)
	v_and_b32_e32 v3, 0x7f000000, v1
	v_clz_i32_u32_e32 v5, v3
	v_add_nc_u32_e32 v9, 0x1000000, v3
	v_cmp_ne_u32_e32 vcc_lo, 0, v3
	s_delay_alu instid0(VALU_DEP_3) | instskip(NEXT) | instid1(VALU_DEP_1)
	v_min_u32_e32 v5, 32, v5
	v_sub_nc_u32_e64 v5, v5, 4 clamp
	s_delay_alu instid0(VALU_DEP_1) | instskip(NEXT) | instid1(VALU_DEP_1)
	v_dual_lshlrev_b32 v7, v5, v3 :: v_dual_lshlrev_b32 v5, 23, v5
	v_lshrrev_b32_e32 v7, 4, v7
	s_delay_alu instid0(VALU_DEP_1) | instskip(SKIP_1) | instid1(VALU_DEP_2)
	v_sub_nc_u32_e32 v5, v7, v5
	v_ashrrev_i32_e32 v7, 8, v9
	v_add_nc_u32_e32 v5, 0x3c000000, v5
	s_delay_alu instid0(VALU_DEP_1) | instskip(NEXT) | instid1(VALU_DEP_1)
	v_and_or_b32 v5, 0x7f800000, v7, v5
	v_cndmask_b32_e32 v3, 0, v5, vcc_lo
	s_delay_alu instid0(VALU_DEP_1) | instskip(NEXT) | instid1(VALU_DEP_1)
	v_and_or_b32 v1, 0x80000000, v1, v3
	v_trunc_f32_e32 v1, v1
	s_delay_alu instid0(VALU_DEP_1) | instskip(SKIP_1) | instid1(VALU_DEP_2)
	v_mul_f32_e64 v3, 0x2f800000, |v1|
	v_ashrrev_i32_e32 v20, 31, v1
	v_floor_f32_e32 v3, v3
	s_delay_alu instid0(VALU_DEP_2) | instskip(NEXT) | instid1(VALU_DEP_2)
	v_mov_b32_e32 v21, v20
	v_fma_f32 v5, 0xcf800000, v3, |v1|
	v_cvt_u32_f32_e32 v1, v3
	s_delay_alu instid0(VALU_DEP_2) | instskip(NEXT) | instid1(VALU_DEP_2)
	v_cvt_u32_f32_e32 v3, v5
	v_xor_b32_e32 v25, v1, v20
	s_delay_alu instid0(VALU_DEP_2) | instskip(NEXT) | instid1(VALU_DEP_1)
	v_xor_b32_e32 v24, v3, v20
	v_sub_nc_u64_e32 v[20:21], v[24:25], v[20:21]
.LBB62_3357:
	s_mov_b32 s27, 0
.LBB62_3358:
	s_delay_alu instid0(SALU_CYCLE_1)
	s_and_not1_b32 vcc_lo, exec_lo, s27
	s_cbranch_vccnz .LBB62_3360
; %bb.3359:
	global_load_u8 v1, v[18:19], off
	s_wait_loadcnt 0x0
	v_lshlrev_b32_e32 v3, 25, v1
	v_lshlrev_b16 v1, 8, v1
	s_delay_alu instid0(VALU_DEP_1) | instskip(SKIP_1) | instid1(VALU_DEP_2)
	v_and_or_b32 v7, 0x7f00, v1, 0.5
	v_bfe_i32 v1, v1, 0, 16
	v_add_f32_e32 v7, -0.5, v7
	v_lshrrev_b32_e32 v5, 4, v3
	v_cmp_gt_u32_e32 vcc_lo, 0x8000000, v3
	s_delay_alu instid0(VALU_DEP_2) | instskip(NEXT) | instid1(VALU_DEP_1)
	v_or_b32_e32 v5, 0x70000000, v5
	v_mul_f32_e32 v5, 0x7800000, v5
	s_delay_alu instid0(VALU_DEP_1) | instskip(NEXT) | instid1(VALU_DEP_1)
	v_cndmask_b32_e32 v3, v5, v7, vcc_lo
	v_and_or_b32 v1, 0x80000000, v1, v3
	s_delay_alu instid0(VALU_DEP_1) | instskip(NEXT) | instid1(VALU_DEP_1)
	v_trunc_f32_e32 v1, v1
	v_mul_f32_e64 v3, 0x2f800000, |v1|
	v_ashrrev_i32_e32 v20, 31, v1
	s_delay_alu instid0(VALU_DEP_2) | instskip(NEXT) | instid1(VALU_DEP_2)
	v_floor_f32_e32 v3, v3
	v_mov_b32_e32 v21, v20
	s_delay_alu instid0(VALU_DEP_2) | instskip(SKIP_1) | instid1(VALU_DEP_2)
	v_fma_f32 v5, 0xcf800000, v3, |v1|
	v_cvt_u32_f32_e32 v1, v3
	v_cvt_u32_f32_e32 v3, v5
	s_delay_alu instid0(VALU_DEP_2) | instskip(NEXT) | instid1(VALU_DEP_2)
	v_xor_b32_e32 v25, v1, v20
	v_xor_b32_e32 v24, v3, v20
	s_delay_alu instid0(VALU_DEP_1)
	v_sub_nc_u64_e32 v[20:21], v[24:25], v[20:21]
.LBB62_3360:
	s_mov_b32 s27, 0
	s_mov_b32 s28, -1
.LBB62_3361:
	s_and_not1_b32 vcc_lo, exec_lo, s27
	s_mov_b32 s27, 0
	s_cbranch_vccnz .LBB62_3372
; %bb.3362:
	s_cmp_gt_i32 s0, 14
	s_cbranch_scc0 .LBB62_3365
; %bb.3363:
	s_cmp_eq_u32 s0, 15
	s_cbranch_scc0 .LBB62_3368
; %bb.3364:
	global_load_u16 v1, v[18:19], off
	s_mov_b32 s1, 0
	s_mov_b32 s28, -1
	s_wait_loadcnt 0x0
	v_lshlrev_b32_e32 v1, 16, v1
	s_delay_alu instid0(VALU_DEP_1) | instskip(NEXT) | instid1(VALU_DEP_1)
	v_trunc_f32_e32 v1, v1
	v_mul_f32_e64 v3, 0x2f800000, |v1|
	v_ashrrev_i32_e32 v20, 31, v1
	s_delay_alu instid0(VALU_DEP_2) | instskip(NEXT) | instid1(VALU_DEP_2)
	v_floor_f32_e32 v3, v3
	v_mov_b32_e32 v21, v20
	s_delay_alu instid0(VALU_DEP_2) | instskip(SKIP_1) | instid1(VALU_DEP_2)
	v_fma_f32 v5, 0xcf800000, v3, |v1|
	v_cvt_u32_f32_e32 v1, v3
	v_cvt_u32_f32_e32 v3, v5
	s_delay_alu instid0(VALU_DEP_2) | instskip(NEXT) | instid1(VALU_DEP_2)
	v_xor_b32_e32 v25, v1, v20
	v_xor_b32_e32 v24, v3, v20
	s_delay_alu instid0(VALU_DEP_1)
	v_sub_nc_u64_e32 v[20:21], v[24:25], v[20:21]
	s_branch .LBB62_3370
.LBB62_3365:
	s_mov_b32 s27, -1
	s_branch .LBB62_3369
.LBB62_3366:
	s_and_not1_saveexec_b32 s27, s27
	s_cbranch_execz .LBB62_3347
.LBB62_3367:
	v_cmp_ne_u16_e32 vcc_lo, 0, v1
	s_and_not1_b32 s28, s28, exec_lo
	s_and_b32 s29, vcc_lo, exec_lo
	s_delay_alu instid0(SALU_CYCLE_1)
	s_or_b32 s28, s28, s29
	s_or_b32 exec_lo, exec_lo, s27
	v_mov_b64_e32 v[20:21], 0
	s_and_saveexec_b32 s27, s28
	s_cbranch_execnz .LBB62_3348
	s_branch .LBB62_3349
.LBB62_3368:
	s_mov_b32 s1, -1
.LBB62_3369:
                                        ; implicit-def: $vgpr20_vgpr21
.LBB62_3370:
	s_and_b32 vcc_lo, exec_lo, s27
	s_mov_b32 s27, 0
	s_cbranch_vccz .LBB62_3372
; %bb.3371:
	s_cmp_lg_u32 s0, 11
	s_mov_b32 s27, -1
	s_cselect_b32 s1, -1, 0
.LBB62_3372:
	s_delay_alu instid0(SALU_CYCLE_1)
	s_and_b32 vcc_lo, exec_lo, s1
	s_cbranch_vccnz .LBB62_3499
; %bb.3373:
	s_and_not1_b32 vcc_lo, exec_lo, s27
	s_cbranch_vccnz .LBB62_3375
.LBB62_3374:
	global_load_u8 v1, v[18:19], off
	s_mov_b32 s0, 0
	s_mov_b32 s28, -1
	s_wait_loadcnt 0x1
	v_mov_b32_e32 v21, s0
	s_wait_loadcnt 0x0
	v_cmp_ne_u16_e32 vcc_lo, 0, v1
	v_cndmask_b32_e64 v20, 0, 1, vcc_lo
.LBB62_3375:
	s_mov_b32 s0, 0
.LBB62_3376:
	s_delay_alu instid0(SALU_CYCLE_1)
	s_and_b32 vcc_lo, exec_lo, s0
	s_cbranch_vccz .LBB62_3425
; %bb.3377:
	s_and_b32 s0, 0xffff, s61
	s_delay_alu instid0(SALU_CYCLE_1)
	s_cmp_lt_i32 s0, 5
	s_cbranch_scc1 .LBB62_3382
; %bb.3378:
	s_cmp_lt_i32 s0, 8
	s_cbranch_scc1 .LBB62_3383
; %bb.3379:
	;; [unrolled: 3-line block ×3, first 2 shown]
	s_cmp_gt_i32 s0, 9
	s_cbranch_scc0 .LBB62_3385
; %bb.3381:
	s_wait_loadcnt 0x0
	global_load_b64 v[20:21], v[18:19], off
	s_mov_b32 s1, 0
	s_wait_loadcnt 0x0
	v_trunc_f64_e32 v[20:21], v[20:21]
	s_delay_alu instid0(VALU_DEP_1) | instskip(NEXT) | instid1(VALU_DEP_1)
	v_ldexp_f64 v[24:25], v[20:21], 0xffffffe0
	v_floor_f64_e32 v[24:25], v[24:25]
	s_delay_alu instid0(VALU_DEP_1) | instskip(SKIP_1) | instid1(VALU_DEP_2)
	v_fmamk_f64 v[26:27], v[24:25], 0xc1f00000, v[20:21]
	v_cvt_i32_f64_e32 v21, v[24:25]
	v_cvt_u32_f64_e32 v20, v[26:27]
	s_branch .LBB62_3386
.LBB62_3382:
	s_mov_b32 s1, -1
                                        ; implicit-def: $vgpr20_vgpr21
	s_branch .LBB62_3404
.LBB62_3383:
	s_mov_b32 s1, -1
                                        ; implicit-def: $vgpr20_vgpr21
	s_branch .LBB62_3392
.LBB62_3384:
	s_mov_b32 s1, -1
                                        ; implicit-def: $vgpr20_vgpr21
	s_branch .LBB62_3389
.LBB62_3385:
	s_mov_b32 s1, -1
                                        ; implicit-def: $vgpr20_vgpr21
.LBB62_3386:
	s_delay_alu instid0(SALU_CYCLE_1)
	s_and_not1_b32 vcc_lo, exec_lo, s1
	s_cbranch_vccnz .LBB62_3388
; %bb.3387:
	global_load_b32 v1, v[18:19], off
	s_wait_loadcnt 0x0
	v_trunc_f32_e32 v1, v1
	s_delay_alu instid0(VALU_DEP_1) | instskip(SKIP_1) | instid1(VALU_DEP_2)
	v_mul_f32_e64 v3, 0x2f800000, |v1|
	v_ashrrev_i32_e32 v20, 31, v1
	v_floor_f32_e32 v3, v3
	s_delay_alu instid0(VALU_DEP_1) | instskip(SKIP_1) | instid1(VALU_DEP_4)
	v_fma_f32 v5, 0xcf800000, v3, |v1|
	v_cvt_u32_f32_e32 v1, v3
	v_mov_b32_e32 v21, v20
	s_delay_alu instid0(VALU_DEP_3) | instskip(NEXT) | instid1(VALU_DEP_3)
	v_cvt_u32_f32_e32 v3, v5
	v_xor_b32_e32 v25, v1, v20
	s_delay_alu instid0(VALU_DEP_2) | instskip(NEXT) | instid1(VALU_DEP_1)
	v_xor_b32_e32 v24, v3, v20
	v_sub_nc_u64_e32 v[20:21], v[24:25], v[20:21]
.LBB62_3388:
	s_mov_b32 s1, 0
.LBB62_3389:
	s_delay_alu instid0(SALU_CYCLE_1)
	s_and_not1_b32 vcc_lo, exec_lo, s1
	s_cbranch_vccnz .LBB62_3391
; %bb.3390:
	global_load_b32 v1, v[18:19], off
	s_wait_loadcnt 0x0
	v_cvt_f32_f16_e32 v1, v1
	s_delay_alu instid0(VALU_DEP_1) | instskip(NEXT) | instid1(VALU_DEP_1)
	v_cvt_i32_f32_e32 v20, v1
	v_ashrrev_i32_e32 v21, 31, v20
.LBB62_3391:
	s_mov_b32 s1, 0
.LBB62_3392:
	s_delay_alu instid0(SALU_CYCLE_1)
	s_and_not1_b32 vcc_lo, exec_lo, s1
	s_cbranch_vccnz .LBB62_3403
; %bb.3393:
	s_cmp_lt_i32 s0, 6
	s_cbranch_scc1 .LBB62_3396
; %bb.3394:
	s_cmp_gt_i32 s0, 6
	s_cbranch_scc0 .LBB62_3397
; %bb.3395:
	s_wait_loadcnt 0x0
	global_load_b64 v[20:21], v[18:19], off
	s_mov_b32 s1, 0
	s_wait_loadcnt 0x0
	v_trunc_f64_e32 v[20:21], v[20:21]
	s_delay_alu instid0(VALU_DEP_1) | instskip(NEXT) | instid1(VALU_DEP_1)
	v_ldexp_f64 v[24:25], v[20:21], 0xffffffe0
	v_floor_f64_e32 v[24:25], v[24:25]
	s_delay_alu instid0(VALU_DEP_1) | instskip(SKIP_1) | instid1(VALU_DEP_2)
	v_fmamk_f64 v[26:27], v[24:25], 0xc1f00000, v[20:21]
	v_cvt_i32_f64_e32 v21, v[24:25]
	v_cvt_u32_f64_e32 v20, v[26:27]
	s_branch .LBB62_3398
.LBB62_3396:
	s_mov_b32 s1, -1
                                        ; implicit-def: $vgpr20_vgpr21
	s_branch .LBB62_3401
.LBB62_3397:
	s_mov_b32 s1, -1
                                        ; implicit-def: $vgpr20_vgpr21
.LBB62_3398:
	s_delay_alu instid0(SALU_CYCLE_1)
	s_and_not1_b32 vcc_lo, exec_lo, s1
	s_cbranch_vccnz .LBB62_3400
; %bb.3399:
	global_load_b32 v1, v[18:19], off
	s_wait_loadcnt 0x0
	v_trunc_f32_e32 v1, v1
	s_delay_alu instid0(VALU_DEP_1) | instskip(SKIP_1) | instid1(VALU_DEP_2)
	v_mul_f32_e64 v3, 0x2f800000, |v1|
	v_ashrrev_i32_e32 v20, 31, v1
	v_floor_f32_e32 v3, v3
	s_delay_alu instid0(VALU_DEP_1) | instskip(SKIP_1) | instid1(VALU_DEP_4)
	v_fma_f32 v5, 0xcf800000, v3, |v1|
	v_cvt_u32_f32_e32 v1, v3
	v_mov_b32_e32 v21, v20
	s_delay_alu instid0(VALU_DEP_3) | instskip(NEXT) | instid1(VALU_DEP_3)
	v_cvt_u32_f32_e32 v3, v5
	v_xor_b32_e32 v25, v1, v20
	s_delay_alu instid0(VALU_DEP_2) | instskip(NEXT) | instid1(VALU_DEP_1)
	v_xor_b32_e32 v24, v3, v20
	v_sub_nc_u64_e32 v[20:21], v[24:25], v[20:21]
.LBB62_3400:
	s_mov_b32 s1, 0
.LBB62_3401:
	s_delay_alu instid0(SALU_CYCLE_1)
	s_and_not1_b32 vcc_lo, exec_lo, s1
	s_cbranch_vccnz .LBB62_3403
; %bb.3402:
	global_load_u16 v1, v[18:19], off
	s_wait_loadcnt 0x0
	v_cvt_f32_f16_e32 v1, v1
	s_delay_alu instid0(VALU_DEP_1) | instskip(NEXT) | instid1(VALU_DEP_1)
	v_cvt_i32_f32_e32 v20, v1
	v_ashrrev_i32_e32 v21, 31, v20
.LBB62_3403:
	s_mov_b32 s1, 0
.LBB62_3404:
	s_delay_alu instid0(SALU_CYCLE_1)
	s_and_not1_b32 vcc_lo, exec_lo, s1
	s_cbranch_vccnz .LBB62_3424
; %bb.3405:
	s_cmp_lt_i32 s0, 2
	s_cbranch_scc1 .LBB62_3409
; %bb.3406:
	s_cmp_lt_i32 s0, 3
	s_cbranch_scc1 .LBB62_3410
; %bb.3407:
	s_cmp_gt_i32 s0, 3
	s_cbranch_scc0 .LBB62_3411
; %bb.3408:
	s_wait_loadcnt 0x0
	global_load_b64 v[20:21], v[18:19], off
	s_mov_b32 s1, 0
	s_branch .LBB62_3412
.LBB62_3409:
	s_mov_b32 s1, -1
                                        ; implicit-def: $vgpr20_vgpr21
	s_branch .LBB62_3418
.LBB62_3410:
	s_mov_b32 s1, -1
                                        ; implicit-def: $vgpr20_vgpr21
	s_branch .LBB62_3415
.LBB62_3411:
	s_mov_b32 s1, -1
                                        ; implicit-def: $vgpr20_vgpr21
.LBB62_3412:
	s_delay_alu instid0(SALU_CYCLE_1)
	s_and_not1_b32 vcc_lo, exec_lo, s1
	s_cbranch_vccnz .LBB62_3414
; %bb.3413:
	s_wait_loadcnt 0x0
	global_load_b32 v20, v[18:19], off
	s_wait_loadcnt 0x0
	v_ashrrev_i32_e32 v21, 31, v20
.LBB62_3414:
	s_mov_b32 s1, 0
.LBB62_3415:
	s_delay_alu instid0(SALU_CYCLE_1)
	s_and_not1_b32 vcc_lo, exec_lo, s1
	s_cbranch_vccnz .LBB62_3417
; %bb.3416:
	global_load_u16 v1, v[18:19], off
	s_wait_loadcnt 0x0
	v_bfe_i32 v20, v1, 0, 16
	s_delay_alu instid0(VALU_DEP_1)
	v_ashrrev_i32_e32 v21, 31, v20
.LBB62_3417:
	s_mov_b32 s1, 0
.LBB62_3418:
	s_delay_alu instid0(SALU_CYCLE_1)
	s_and_not1_b32 vcc_lo, exec_lo, s1
	s_cbranch_vccnz .LBB62_3424
; %bb.3419:
	s_cmp_gt_i32 s0, 0
	s_mov_b32 s0, 0
	s_cbranch_scc0 .LBB62_3421
; %bb.3420:
	global_load_i8 v1, v[18:19], off
	s_wait_loadcnt 0x0
	v_bfe_i32 v20, v1, 0, 16
	s_delay_alu instid0(VALU_DEP_1)
	v_ashrrev_i32_e32 v21, 31, v20
	s_branch .LBB62_3422
.LBB62_3421:
	s_mov_b32 s0, -1
                                        ; implicit-def: $vgpr20_vgpr21
.LBB62_3422:
	s_delay_alu instid0(SALU_CYCLE_1)
	s_and_not1_b32 vcc_lo, exec_lo, s0
	s_cbranch_vccnz .LBB62_3424
; %bb.3423:
	global_load_u8 v1, v[18:19], off
	s_mov_b32 s0, 0
	s_wait_loadcnt 0x1
	v_mov_b32_e32 v21, s0
	s_wait_loadcnt 0x0
	v_and_b32_e32 v20, 0xffff, v1
.LBB62_3424:
	s_mov_b32 s28, -1
.LBB62_3425:
	s_delay_alu instid0(SALU_CYCLE_1)
	s_and_not1_b32 vcc_lo, exec_lo, s28
	s_cbranch_vccnz .LBB62_3434
; %bb.3426:
	s_wait_loadcnt 0x0
	v_cmp_ne_u64_e32 vcc_lo, s[36:37], v[10:11]
	s_get_pc_i64 s[0:1]
	s_add_nc_u64 s[0:1], s[0:1], .str.1@rel64+4
	s_delay_alu instid0(SALU_CYCLE_1) | instskip(SKIP_1) | instid1(SALU_CYCLE_1)
	s_cmp_eq_u64 s[0:1], 0
	s_cselect_b32 s0, -1, 0
	s_or_b32 s0, s0, vcc_lo
	s_wait_xcnt 0x0
	s_and_saveexec_b32 s1, s0
	s_delay_alu instid0(SALU_CYCLE_1)
	s_xor_b32 s0, exec_lo, s1
	s_cbranch_execnz .LBB62_3809
.LBB62_3427:
	s_or_saveexec_b32 s27, s0
	s_mov_b32 s1, 0
	s_mov_b32 s28, 0
                                        ; implicit-def: $sgpr0
                                        ; implicit-def: $vgpr10_vgpr11
	s_xor_b32 exec_lo, exec_lo, s27
	s_cbranch_execz .LBB62_4323
; %bb.3428:
	v_cmp_ne_u64_e32 vcc_lo, s[40:41], v[12:13]
	s_get_pc_i64 s[0:1]
	s_add_nc_u64 s[0:1], s[0:1], .str.2@rel64+4
	s_mov_b32 s33, s43
	s_cmp_eq_u64 s[0:1], 0
	s_cselect_b32 s0, -1, 0
	s_delay_alu instid0(SALU_CYCLE_1) | instskip(NEXT) | instid1(SALU_CYCLE_1)
	s_or_b32 s0, s0, vcc_lo
	s_and_saveexec_b32 s1, s0
	s_delay_alu instid0(SALU_CYCLE_1)
	s_xor_b32 s0, exec_lo, s1
	s_cbranch_execnz .LBB62_3938
; %bb.3429:
	s_or_saveexec_b32 s54, s0
	s_mov_b32 s1, 0
                                        ; implicit-def: $sgpr0
                                        ; implicit-def: $vgpr10_vgpr11
	s_xor_b32 exec_lo, exec_lo, s54
	s_cbranch_execz .LBB62_4322
.LBB62_3430:
	v_sub_nc_u64_e32 v[10:11], v[16:17], v[14:15]
	s_get_pc_i64 s[28:29]
	s_add_nc_u64 s[28:29], s[28:29], .str.3@rel64+4
	s_mov_b32 s55, s33
	s_delay_alu instid0(VALU_DEP_1) | instskip(SKIP_4) | instid1(SALU_CYCLE_1)
	v_cmp_gt_i64_e32 vcc_lo, s[36:37], v[10:11]
	v_cmp_lt_i64_e64 s0, s[38:39], v[10:11]
	s_or_b32 s0, vcc_lo, s0
	s_cmp_eq_u64 s[28:29], 0
	s_cselect_b32 s1, -1, 0
	s_or_b32 s0, s1, s0
	s_delay_alu instid0(SALU_CYCLE_1) | instskip(NEXT) | instid1(SALU_CYCLE_1)
	s_and_saveexec_b32 s1, s0
	s_xor_b32 s0, exec_lo, s1
	s_cbranch_execnz .LBB62_4067
.LBB62_3431:
	s_or_saveexec_b32 s56, s0
	s_mov_b32 s1, 0
	s_mov_b32 s28, 0
                                        ; implicit-def: $sgpr0
                                        ; implicit-def: $vgpr10_vgpr11
	s_xor_b32 exec_lo, exec_lo, s56
	s_cbranch_execz .LBB62_4321
; %bb.3432:
	v_cmp_gt_i64_e64 s0, s[40:41], 0
	s_add_co_i32 s28, s42, -1
	v_mov_b64_e32 v[10:11], 0
	s_cmp_gt_i32 s28, -1
	s_cselect_b32 s1, -1, 0
	s_delay_alu instid0(SALU_CYCLE_1) | instskip(NEXT) | instid1(SALU_CYCLE_1)
	s_and_b32 s0, s1, s0
	v_cndmask_b32_e64 v23, 0, 1, s0
	s_delay_alu instid0(VALU_DEP_1)
	v_cmp_ne_u32_e32 vcc_lo, 1, v23
	s_cbranch_vccnz .LBB62_3484
; %bb.3433:
	v_mul_u64_e32 v[18:19], s[40:41], v[20:21]
	s_mov_b32 s1, 0
	v_mov_b64_e32 v[10:11], 0
	s_mov_b32 s29, s1
	v_mov_b32_e32 v12, 0
	s_lshl_b64 s[44:45], s[28:29], 3
	s_mov_b64 s[30:31], 0xffffffff
	s_add_nc_u64 s[34:35], s[20:21], s[44:45]
	s_add_nc_u64 s[44:45], s[22:23], s[44:45]
	s_mov_b32 s29, s42
	s_branch .LBB62_3480
.LBB62_3434:
	s_mov_b32 s1, 0
	s_mov_b32 s28, 0
                                        ; implicit-def: $sgpr0
                                        ; implicit-def: $vgpr10_vgpr11
.LBB62_3435:
	s_and_not1_b32 s2, s52, exec_lo
	s_and_b32 s3, s43, exec_lo
	s_and_b32 s30, s28, exec_lo
	;; [unrolled: 1-line block ×3, first 2 shown]
	s_or_b32 s52, s2, s3
.LBB62_3436:
	s_wait_xcnt 0x0
	s_or_b32 exec_lo, exec_lo, s53
	s_and_saveexec_b32 s1, s52
	s_cbranch_execz .LBB62_3439
; %bb.3437:
	; divergent unreachable
	s_or_b32 exec_lo, exec_lo, s1
	s_and_saveexec_b32 s1, s43
	s_delay_alu instid0(SALU_CYCLE_1)
	s_xor_b32 s1, exec_lo, s1
	s_cbranch_execnz .LBB62_3440
.LBB62_3438:
	s_or_b32 exec_lo, exec_lo, s1
	s_and_saveexec_b32 s1, s30
	s_cbranch_execnz .LBB62_3441
	s_branch .LBB62_3478
.LBB62_3439:
	s_or_b32 exec_lo, exec_lo, s1
	s_and_saveexec_b32 s1, s43
	s_delay_alu instid0(SALU_CYCLE_1)
	s_xor_b32 s1, exec_lo, s1
	s_cbranch_execz .LBB62_3438
.LBB62_3440:
	s_wait_loadcnt 0x0
	v_mov_b32_e32 v0, 0
	global_store_b8 v[10:11], v0, off
	s_wait_xcnt 0x0
	s_or_b32 exec_lo, exec_lo, s1
	s_and_saveexec_b32 s1, s30
	s_cbranch_execz .LBB62_3478
.LBB62_3441:
	s_sext_i32_i16 s2, s0
	s_mov_b32 s1, -1
	s_cmp_lt_i32 s2, 5
	s_cbranch_scc1 .LBB62_3462
; %bb.3442:
	s_cmp_lt_i32 s2, 8
	s_cbranch_scc1 .LBB62_3452
; %bb.3443:
	;; [unrolled: 3-line block ×3, first 2 shown]
	s_cmp_gt_i32 s2, 9
	s_cbranch_scc0 .LBB62_3446
; %bb.3445:
	s_wait_loadcnt 0x0
	v_mov_b32_e32 v0, 0
	s_mov_b32 s1, 0
	s_delay_alu instid0(VALU_DEP_1)
	v_dual_mov_b32 v1, v0 :: v_dual_mov_b32 v2, v0
	v_mov_b32_e32 v3, v0
	global_store_b128 v[10:11], v[0:3], off
.LBB62_3446:
	s_and_not1_b32 vcc_lo, exec_lo, s1
	s_cbranch_vccnz .LBB62_3448
; %bb.3447:
	s_wait_loadcnt 0x0
	v_mov_b64_e32 v[0:1], 0
	global_store_b64 v[10:11], v[0:1], off
.LBB62_3448:
	s_mov_b32 s1, 0
.LBB62_3449:
	s_delay_alu instid0(SALU_CYCLE_1)
	s_and_not1_b32 vcc_lo, exec_lo, s1
	s_cbranch_vccnz .LBB62_3451
; %bb.3450:
	s_wait_loadcnt 0x0
	v_mov_b32_e32 v0, 0
	global_store_b32 v[10:11], v0, off
.LBB62_3451:
	s_mov_b32 s1, 0
.LBB62_3452:
	s_delay_alu instid0(SALU_CYCLE_1)
	s_and_not1_b32 vcc_lo, exec_lo, s1
	s_cbranch_vccnz .LBB62_3461
; %bb.3453:
	s_sext_i32_i16 s2, s0
	s_mov_b32 s1, -1
	s_cmp_lt_i32 s2, 6
	s_cbranch_scc1 .LBB62_3459
; %bb.3454:
	s_cmp_gt_i32 s2, 6
	s_cbranch_scc0 .LBB62_3456
; %bb.3455:
	s_wait_loadcnt 0x0
	v_mov_b64_e32 v[0:1], 0
	s_mov_b32 s1, 0
	global_store_b64 v[10:11], v[0:1], off
.LBB62_3456:
	s_and_not1_b32 vcc_lo, exec_lo, s1
	s_cbranch_vccnz .LBB62_3458
; %bb.3457:
	s_wait_loadcnt 0x0
	v_mov_b32_e32 v0, 0
	global_store_b32 v[10:11], v0, off
.LBB62_3458:
	s_mov_b32 s1, 0
.LBB62_3459:
	s_delay_alu instid0(SALU_CYCLE_1)
	s_and_not1_b32 vcc_lo, exec_lo, s1
	s_cbranch_vccnz .LBB62_3461
; %bb.3460:
	s_wait_loadcnt 0x0
	v_mov_b32_e32 v0, 0
	global_store_b16 v[10:11], v0, off
.LBB62_3461:
	s_mov_b32 s1, 0
.LBB62_3462:
	s_delay_alu instid0(SALU_CYCLE_1)
	s_and_not1_b32 vcc_lo, exec_lo, s1
	s_cbranch_vccnz .LBB62_3478
; %bb.3463:
	s_sext_i32_i16 s2, s0
	s_mov_b32 s1, -1
	s_cmp_lt_i32 s2, 2
	s_cbranch_scc1 .LBB62_3473
; %bb.3464:
	s_cmp_lt_i32 s2, 3
	s_cbranch_scc1 .LBB62_3470
; %bb.3465:
	s_cmp_gt_i32 s2, 3
	s_cbranch_scc0 .LBB62_3467
; %bb.3466:
	s_wait_loadcnt 0x0
	v_mov_b64_e32 v[0:1], 0
	s_mov_b32 s1, 0
	global_store_b64 v[10:11], v[0:1], off
.LBB62_3467:
	s_and_not1_b32 vcc_lo, exec_lo, s1
	s_cbranch_vccnz .LBB62_3469
; %bb.3468:
	s_wait_loadcnt 0x0
	v_mov_b32_e32 v0, 0
	global_store_b32 v[10:11], v0, off
.LBB62_3469:
	s_mov_b32 s1, 0
.LBB62_3470:
	s_delay_alu instid0(SALU_CYCLE_1)
	s_and_not1_b32 vcc_lo, exec_lo, s1
	s_cbranch_vccnz .LBB62_3472
; %bb.3471:
	s_wait_loadcnt 0x0
	v_mov_b32_e32 v0, 0
	global_store_b16 v[10:11], v0, off
.LBB62_3472:
	s_mov_b32 s1, 0
.LBB62_3473:
	s_delay_alu instid0(SALU_CYCLE_1)
	s_and_not1_b32 vcc_lo, exec_lo, s1
	s_cbranch_vccnz .LBB62_3478
; %bb.3474:
	s_sext_i32_i16 s0, s0
	s_delay_alu instid0(SALU_CYCLE_1)
	s_cmp_gt_i32 s0, 0
	s_mov_b32 s0, -1
	s_cbranch_scc0 .LBB62_3476
; %bb.3475:
	s_wait_loadcnt 0x0
	v_mov_b32_e32 v0, 0
	s_mov_b32 s0, 0
	global_store_b8 v[10:11], v0, off
.LBB62_3476:
	s_and_not1_b32 vcc_lo, exec_lo, s0
	s_cbranch_vccnz .LBB62_3478
; %bb.3477:
	s_wait_loadcnt 0x0
	v_mov_b32_e32 v0, 0
	global_store_b8 v[10:11], v0, off
	s_endpgm
.LBB62_3478:
	s_endpgm
.LBB62_3479:                            ;   in Loop: Header=BB62_3480 Depth=1
	s_or_b32 exec_lo, exec_lo, s0
	global_load_b64 v[24:25], v12, s[44:45]
	v_mul_u64_e32 v[26:27], s[46:47], v[20:21]
	s_add_co_i32 s29, s29, -1
	s_add_nc_u64 s[34:35], s[34:35], -8
	s_cmp_eq_u32 s29, 0
	s_wait_xcnt 0x0
	s_add_nc_u64 s[44:45], s[44:45], -8
	s_delay_alu instid0(VALU_DEP_1) | instskip(SKIP_1) | instid1(VALU_DEP_1)
	v_sub_nc_u64_e32 v[18:19], v[18:19], v[26:27]
	s_wait_loadcnt 0x0
	v_mad_nc_u64_u32 v[10:11], v18, v24, v[10:11]
	s_delay_alu instid0(VALU_DEP_1) | instskip(NEXT) | instid1(VALU_DEP_1)
	v_mad_u32 v1, v19, v24, v11
	v_mad_u32 v11, v18, v25, v1
	v_mov_b64_e32 v[18:19], v[20:21]
	s_cbranch_scc1 .LBB62_3484
.LBB62_3480:                            ; =>This Inner Loop Header: Depth=1
	global_load_b64 v[20:21], v12, s[34:35]
	s_mov_b32 s0, exec_lo
	s_wait_loadcnt 0x0
	v_or_b32_e32 v13, v19, v21
	v_readfirstlane_b32 s46, v20
	v_readfirstlane_b32 s47, v21
                                        ; implicit-def: $vgpr20_vgpr21
	s_wait_xcnt 0x0
	s_delay_alu instid0(VALU_DEP_3)
	v_cmpx_ne_u64_e32 0, v[12:13]
	s_xor_b32 s62, exec_lo, s0
	s_cbranch_execz .LBB62_3482
; %bb.3481:                             ;   in Loop: Header=BB62_3480 Depth=1
	s_ashr_i32 s48, s47, 31
	v_dual_mov_b32 v27, v12 :: v_dual_ashrrev_i32 v20, 31, v19
	s_mov_b32 s49, s48
	v_mov_b32_e32 v31, v12
	s_add_nc_u64 s[50:51], s[46:47], s[48:49]
	s_delay_alu instid0(VALU_DEP_2)
	v_mov_b32_e32 v21, v20
	s_xor_b64 s[50:51], s[50:51], s[48:49]
	v_mov_b32_e32 v35, v12
	s_cvt_f32_u32 s0, s50
	s_cvt_f32_u32 s49, s51
	s_sub_nc_u64 s[66:67], 0, s[50:51]
	v_add_nc_u64_e32 v[24:25], v[18:19], v[20:21]
	s_delay_alu instid0(SALU_CYCLE_1) | instskip(NEXT) | instid1(SALU_CYCLE_3)
	s_fmamk_f32 s0, s49, 0x4f800000, s0
	v_s_rcp_f32 s0, s0
	s_delay_alu instid0(VALU_DEP_1) | instskip(NEXT) | instid1(VALU_DEP_2)
	v_xor_b32_e32 v30, v25, v20
	v_xor_b32_e32 v26, v24, v20
	;; [unrolled: 1-line block ×3, first 2 shown]
	s_delay_alu instid0(TRANS32_DEP_1) | instskip(NEXT) | instid1(VALU_DEP_1)
	s_mul_f32 s0, s0, 0x5f7ffffc
	v_mov_b32_e32 v21, v20
	s_delay_alu instid0(SALU_CYCLE_2) | instskip(NEXT) | instid1(SALU_CYCLE_3)
	s_mul_f32 s49, s0, 0x2f800000
	s_trunc_f32 s49, s49
	s_delay_alu instid0(SALU_CYCLE_3) | instskip(SKIP_1) | instid1(SALU_CYCLE_2)
	s_fmamk_f32 s0, s49, 0xcf800000, s0
	s_cvt_u32_f32 s65, s49
	s_cvt_u32_f32 s64, s0
	s_delay_alu instid0(SALU_CYCLE_3) | instskip(NEXT) | instid1(SALU_CYCLE_1)
	s_mul_u64 s[68:69], s[66:67], s[64:65]
	s_mul_hi_u32 s71, s64, s69
	s_mul_i32 s70, s64, s69
	s_mul_hi_u32 s0, s64, s68
	s_mul_i32 s63, s65, s68
	s_add_nc_u64 s[70:71], s[0:1], s[70:71]
	s_mul_hi_u32 s49, s65, s68
	s_mul_hi_u32 s72, s65, s69
	s_add_co_u32 s0, s70, s63
	s_add_co_ci_u32 s0, s71, s49
	s_mul_i32 s68, s65, s69
	s_add_co_ci_u32 s69, s72, 0
	s_delay_alu instid0(SALU_CYCLE_1) | instskip(NEXT) | instid1(SALU_CYCLE_1)
	s_add_nc_u64 s[68:69], s[0:1], s[68:69]
	s_add_co_u32 s64, s64, s68
	s_cselect_b32 s0, -1, 0
	s_delay_alu instid0(SALU_CYCLE_1) | instskip(SKIP_1) | instid1(SALU_CYCLE_1)
	s_cmp_lg_u32 s0, 0
	s_add_co_ci_u32 s65, s65, s69
	s_mul_u64 s[66:67], s[66:67], s[64:65]
	s_delay_alu instid0(SALU_CYCLE_1)
	s_mul_hi_u32 s69, s64, s67
	s_mul_i32 s68, s64, s67
	s_mul_hi_u32 s0, s64, s66
	s_mul_i32 s63, s65, s66
	s_add_nc_u64 s[68:69], s[0:1], s[68:69]
	s_mul_hi_u32 s49, s65, s66
	s_mul_hi_u32 s70, s65, s67
	s_add_co_u32 s0, s68, s63
	s_add_co_ci_u32 s0, s69, s49
	s_mul_i32 s66, s65, s67
	s_add_co_ci_u32 s67, s70, 0
	s_delay_alu instid0(SALU_CYCLE_1) | instskip(NEXT) | instid1(SALU_CYCLE_1)
	s_add_nc_u64 s[66:67], s[0:1], s[66:67]
	s_add_co_u32 s64, s64, s66
	s_cselect_b32 s0, -1, 0
	v_mul_hi_u32 v34, v26, s64
	s_cmp_lg_u32 s0, 0
	s_add_co_ci_u32 s0, s65, s67
	s_and_b64 s[66:67], s[64:65], s[30:31]
	v_mul_u64_e32 v[28:29], s[0:1], v[26:27]
	v_mul_u64_e32 v[24:25], s[66:67], v[30:31]
	v_mul_u64_e32 v[32:33], s[0:1], v[30:31]
	s_delay_alu instid0(VALU_DEP_3) | instskip(NEXT) | instid1(VALU_DEP_1)
	v_add_nc_u64_e32 v[28:29], v[34:35], v[28:29]
	v_add_co_u32 v1, vcc_lo, v28, v24
	s_delay_alu instid0(VALU_DEP_2) | instskip(NEXT) | instid1(VALU_DEP_4)
	v_add_co_ci_u32_e32 v34, vcc_lo, v29, v25, vcc_lo
	v_add_co_ci_u32_e32 v33, vcc_lo, 0, v33, vcc_lo
	s_delay_alu instid0(VALU_DEP_1) | instskip(NEXT) | instid1(VALU_DEP_1)
	v_add_nc_u64_e32 v[24:25], v[34:35], v[32:33]
	v_mul_u64_e32 v[28:29], s[50:51], v[24:25]
	s_delay_alu instid0(VALU_DEP_1) | instskip(NEXT) | instid1(VALU_DEP_2)
	v_sub_nc_u32_e32 v1, v30, v29
	v_sub_co_u32 v3, vcc_lo, v26, v28
	s_delay_alu instid0(VALU_DEP_1) | instskip(NEXT) | instid1(VALU_DEP_3)
	v_sub_co_ci_u32_e64 v7, null, v30, v29, vcc_lo
	v_subrev_co_ci_u32_e64 v1, null, s51, v1, vcc_lo
	s_delay_alu instid0(VALU_DEP_3) | instskip(SKIP_1) | instid1(VALU_DEP_3)
	v_sub_co_u32 v5, s0, v3, s50
	v_add_nc_u64_e32 v[26:27], 2, v[24:25]
	v_subrev_co_ci_u32_e64 v1, null, 0, v1, s0
	s_delay_alu instid0(VALU_DEP_3) | instskip(SKIP_2) | instid1(VALU_DEP_4)
	v_cmp_le_u32_e32 vcc_lo, s50, v5
	v_add_nc_u64_e32 v[28:29], 1, v[24:25]
	v_cndmask_b32_e64 v5, 0, -1, vcc_lo
	v_cmp_le_u32_e32 vcc_lo, s51, v1
	v_cndmask_b32_e64 v9, 0, -1, vcc_lo
	v_cmp_le_u32_e32 vcc_lo, s50, v3
	;; [unrolled: 2-line block ×3, first 2 shown]
	v_cndmask_b32_e64 v13, 0, -1, vcc_lo
	v_cmp_eq_u32_e32 vcc_lo, s51, v1
	v_cndmask_b32_e32 v1, v9, v5, vcc_lo
	v_cmp_eq_u32_e32 vcc_lo, s51, v7
	s_delay_alu instid0(VALU_DEP_4) | instskip(NEXT) | instid1(VALU_DEP_3)
	v_cndmask_b32_e32 v3, v13, v3, vcc_lo
	v_cmp_ne_u32_e32 vcc_lo, 0, v1
	s_delay_alu instid0(VALU_DEP_2) | instskip(SKIP_1) | instid1(VALU_DEP_1)
	v_cmp_ne_u32_e64 s0, 0, v3
	v_dual_cndmask_b32 v1, v29, v27, vcc_lo :: v_dual_cndmask_b32 v3, v28, v26, vcc_lo
	v_dual_cndmask_b32 v1, v25, v1, s0 :: v_dual_cndmask_b32 v3, v24, v3, s0
	s_delay_alu instid0(VALU_DEP_1) | instskip(NEXT) | instid1(VALU_DEP_2)
	v_xor_b32_e32 v25, v1, v20
	v_xor_b32_e32 v24, v3, v20
	s_delay_alu instid0(VALU_DEP_1)
	v_sub_nc_u64_e32 v[20:21], v[24:25], v[20:21]
.LBB62_3482:                            ;   in Loop: Header=BB62_3480 Depth=1
	s_and_not1_saveexec_b32 s0, s62
	s_cbranch_execz .LBB62_3479
; %bb.3483:                             ;   in Loop: Header=BB62_3480 Depth=1
	v_cvt_f32_u32_e32 v1, s46
	s_sub_co_i32 s48, 0, s46
	v_mov_b32_e32 v21, v12
	s_delay_alu instid0(VALU_DEP_2) | instskip(SKIP_1) | instid1(TRANS32_DEP_1)
	v_rcp_iflag_f32_e32 v1, v1
	v_nop
	v_mul_f32_e32 v1, 0x4f7ffffe, v1
	s_delay_alu instid0(VALU_DEP_1) | instskip(NEXT) | instid1(VALU_DEP_1)
	v_cvt_u32_f32_e32 v1, v1
	v_mul_lo_u32 v3, s48, v1
	s_delay_alu instid0(VALU_DEP_1) | instskip(NEXT) | instid1(VALU_DEP_1)
	v_mul_hi_u32 v3, v1, v3
	v_add_nc_u32_e32 v1, v1, v3
	s_delay_alu instid0(VALU_DEP_1) | instskip(NEXT) | instid1(VALU_DEP_1)
	v_mul_hi_u32 v1, v18, v1
	v_mul_lo_u32 v3, v1, s46
	s_delay_alu instid0(VALU_DEP_1) | instskip(NEXT) | instid1(VALU_DEP_1)
	v_sub_nc_u32_e32 v3, v18, v3
	v_subrev_nc_u32_e32 v7, s46, v3
	v_cmp_le_u32_e32 vcc_lo, s46, v3
	s_delay_alu instid0(VALU_DEP_2) | instskip(NEXT) | instid1(VALU_DEP_1)
	v_dual_add_nc_u32 v5, 1, v1 :: v_dual_cndmask_b32 v3, v3, v7, vcc_lo
	v_cndmask_b32_e32 v1, v1, v5, vcc_lo
	s_delay_alu instid0(VALU_DEP_2) | instskip(NEXT) | instid1(VALU_DEP_2)
	v_cmp_le_u32_e32 vcc_lo, s46, v3
	v_add_nc_u32_e32 v5, 1, v1
	s_delay_alu instid0(VALU_DEP_1)
	v_cndmask_b32_e32 v20, v1, v5, vcc_lo
	s_branch .LBB62_3479
.LBB62_3484:
	s_get_pc_i64 s[0:1]
	s_add_nc_u64 s[0:1], s[0:1], .str.4@rel64+4
	s_mov_b32 s30, -1
	s_cmp_lg_u64 s[0:1], 0
	s_mov_b32 s48, s55
	s_cselect_b32 s50, -1, 0
	s_mov_b32 s0, exec_lo
	v_cmpx_gt_i64_e64 v[16:17], v[14:15]
	s_cbranch_execz .LBB62_3491
; %bb.3485:
	v_lshlrev_b64_e32 v[10:11], 3, v[10:11]
	s_mov_b32 s29, 0
	s_xor_b32 s30, s50, -1
                                        ; implicit-def: $sgpr1
                                        ; implicit-def: $sgpr34
                                        ; implicit-def: $sgpr31
	s_delay_alu instid0(VALU_DEP_1) | instskip(SKIP_1) | instid1(VALU_DEP_2)
	v_lshl_add_u64 v[12:13], v[14:15], 3, v[10:11]
	v_add_nc_u64_e32 v[14:15], s[24:25], v[10:11]
	v_add_nc_u64_e32 v[12:13], s[24:25], v[12:13]
	s_delay_alu instid0(VALU_DEP_1) | instskip(NEXT) | instid1(VALU_DEP_3)
	v_add_nc_u64_e32 v[10:11], 8, v[12:13]
	v_lshl_add_u64 v[12:13], v[16:17], 3, v[14:15]
	s_branch .LBB62_3487
.LBB62_3486:                            ;   in Loop: Header=BB62_3487 Depth=1
	s_or_b32 exec_lo, exec_lo, s35
	s_xor_b32 s35, s31, -1
	s_and_b32 s44, exec_lo, s34
	s_delay_alu instid0(SALU_CYCLE_1) | instskip(SKIP_2) | instid1(SALU_CYCLE_1)
	s_or_b32 s29, s44, s29
	s_and_not1_b32 s1, s1, exec_lo
	s_and_b32 s35, s35, exec_lo
	s_or_b32 s1, s1, s35
	s_and_not1_b32 exec_lo, exec_lo, s29
	s_cbranch_execz .LBB62_3489
.LBB62_3487:                            ; =>This Inner Loop Header: Depth=1
	s_or_b32 s31, s31, exec_lo
	s_or_b32 s34, s34, exec_lo
	s_mov_b32 s35, exec_lo
	s_delay_alu instid0(VALU_DEP_2)
	v_cmpx_lt_u64_e64 v[10:11], v[12:13]
	s_cbranch_execz .LBB62_3486
; %bb.3488:                             ;   in Loop: Header=BB62_3487 Depth=1
	global_load_b128 v[14:17], v[10:11], off offset:-8
	s_wait_xcnt 0x0
	v_add_nc_u64_e32 v[10:11], 8, v[10:11]
	s_and_not1_b32 s34, s34, exec_lo
	s_and_not1_b32 s31, s31, exec_lo
	s_wait_loadcnt 0x0
	v_cmp_ge_i64_e32 vcc_lo, v[14:15], v[16:17]
	s_or_b32 s44, s30, vcc_lo
	s_delay_alu instid0(SALU_CYCLE_1) | instskip(NEXT) | instid1(SALU_CYCLE_1)
	s_and_b32 s44, s44, exec_lo
	s_or_b32 s34, s34, s44
	s_branch .LBB62_3486
.LBB62_3489:
	s_or_b32 exec_lo, exec_lo, s29
	s_mov_b32 s29, -1
	s_mov_b32 s30, s55
	s_and_saveexec_b32 s31, s1
	s_delay_alu instid0(SALU_CYCLE_1)
	s_xor_b32 s1, exec_lo, s31
	s_cbranch_execnz .LBB62_3594
.LBB62_3490:
	s_or_b32 exec_lo, exec_lo, s1
	s_delay_alu instid0(SALU_CYCLE_1) | instskip(SKIP_1) | instid1(SALU_CYCLE_1)
	s_and_not1_b32 s1, s55, exec_lo
	s_and_b32 s30, s30, exec_lo
	s_or_b32 s48, s1, s30
	s_or_not1_b32 s30, s29, exec_lo
.LBB62_3491:
	s_or_b32 exec_lo, exec_lo, s0
	s_mov_b32 s1, 0
	s_mov_b32 s29, 0
                                        ; implicit-def: $sgpr0
                                        ; implicit-def: $vgpr10_vgpr11
	s_and_saveexec_b32 s49, s30
	s_cbranch_execz .LBB62_4320
; %bb.3492:
	s_lshl_b32 s69, s17, 7
	s_cmp_lt_i32 s57, 11
	v_add_nc_u32_e32 v0, s69, v0
	s_delay_alu instid0(VALU_DEP_1) | instskip(NEXT) | instid1(VALU_DEP_1)
	v_ashrrev_i32_e32 v1, 31, v0
	v_add_nc_u64_e32 v[12:13], s[6:7], v[0:1]
	s_cbranch_scc1 .LBB62_3500
; %bb.3493:
	s_and_b32 s0, 0xffff, s57
	s_delay_alu instid0(SALU_CYCLE_1)
	s_cmp_gt_i32 s0, 25
	s_cbranch_scc0 .LBB62_3502
; %bb.3494:
	s_cmp_gt_i32 s0, 28
	s_cbranch_scc0 .LBB62_3504
; %bb.3495:
	;; [unrolled: 3-line block ×4, first 2 shown]
	s_cmp_eq_u32 s0, 46
	s_mov_b32 s17, 0
	s_cbranch_scc0 .LBB62_3682
; %bb.3498:
	global_load_b32 v1, v[12:13], off
	s_mov_b32 s30, -1
	s_wait_loadcnt 0x0
	v_lshlrev_b32_e32 v1, 16, v1
	s_delay_alu instid0(VALU_DEP_1) | instskip(NEXT) | instid1(VALU_DEP_1)
	v_trunc_f32_e32 v1, v1
	v_mul_f32_e64 v3, 0x2f800000, |v1|
	v_ashrrev_i32_e32 v10, 31, v1
	s_delay_alu instid0(VALU_DEP_2) | instskip(NEXT) | instid1(VALU_DEP_2)
	v_floor_f32_e32 v3, v3
	v_mov_b32_e32 v11, v10
	s_delay_alu instid0(VALU_DEP_2) | instskip(SKIP_1) | instid1(VALU_DEP_2)
	v_fma_f32 v5, 0xcf800000, v3, |v1|
	v_cvt_u32_f32_e32 v1, v3
	v_cvt_u32_f32_e32 v3, v5
	s_delay_alu instid0(VALU_DEP_2) | instskip(NEXT) | instid1(VALU_DEP_2)
	v_xor_b32_e32 v15, v1, v10
	v_xor_b32_e32 v14, v3, v10
	s_delay_alu instid0(VALU_DEP_1)
	v_sub_nc_u64_e32 v[10:11], v[14:15], v[10:11]
	s_branch .LBB62_3684
.LBB62_3499:
	s_or_b32 s43, s43, exec_lo
	s_trap 2
	s_cbranch_execz .LBB62_3374
	s_branch .LBB62_3375
.LBB62_3500:
	s_mov_b32 s0, -1
	s_mov_b32 s30, 0
	s_mov_b32 s17, s48
                                        ; implicit-def: $vgpr10_vgpr11
	s_branch .LBB62_3746
.LBB62_3501:
	s_mov_b32 s35, -1
	s_mov_b32 s44, 0
	s_mov_b32 s31, s80
	s_branch .LBB62_3636
.LBB62_3502:
	s_mov_b32 s17, -1
	s_mov_b32 s30, 0
                                        ; implicit-def: $vgpr10_vgpr11
	s_branch .LBB62_3711
.LBB62_3503:
	s_mov_b32 s45, -1
	s_mov_b32 s44, 0
	s_mov_b32 s31, s80
	s_branch .LBB62_3616
.LBB62_3504:
	s_mov_b32 s17, -1
	s_mov_b32 s30, 0
                                        ; implicit-def: $vgpr10_vgpr11
	s_branch .LBB62_3694
.LBB62_3505:
	s_mov_b32 s45, -1
	s_mov_b32 s44, 0
	s_mov_b32 s31, s80
	s_branch .LBB62_3605
.LBB62_3506:
	s_mov_b32 s17, -1
	s_mov_b32 s30, 0
                                        ; implicit-def: $vgpr10_vgpr11
	s_branch .LBB62_3689
.LBB62_3507:
	s_mov_b32 s45, -1
	s_mov_b32 s44, 0
	s_mov_b32 s31, s61
.LBB62_3508:
	s_and_b32 vcc_lo, exec_lo, s45
	s_cbranch_vccz .LBB62_3511
; %bb.3509:
	s_cmp_eq_u32 s35, 44
	s_mov_b32 s31, -1
	s_cbranch_scc0 .LBB62_3511
; %bb.3510:
	s_wait_xcnt 0x0
	v_mov_b32_e32 v2, 0
	s_mov_b32 s44, -1
	s_mov_b32 s31, 0
	global_store_b8 v[0:1], v2, off
.LBB62_3511:
	s_mov_b32 s45, 0
.LBB62_3512:
	s_delay_alu instid0(SALU_CYCLE_1)
	s_and_b32 vcc_lo, exec_lo, s45
	s_cbranch_vccz .LBB62_3515
; %bb.3513:
	s_cmp_eq_u32 s35, 29
	s_mov_b32 s31, -1
	s_cbranch_scc0 .LBB62_3515
; %bb.3514:
	s_wait_xcnt 0x0
	v_mov_b64_e32 v[2:3], 0
	s_mov_b32 s44, -1
	s_mov_b32 s31, 0
	s_mov_b32 s45, 0
	global_store_b64 v[0:1], v[2:3], off
	s_branch .LBB62_3516
.LBB62_3515:
	s_mov_b32 s45, 0
.LBB62_3516:
	s_delay_alu instid0(SALU_CYCLE_1)
	s_and_b32 vcc_lo, exec_lo, s45
	s_cbranch_vccz .LBB62_3526
; %bb.3517:
	s_cmp_lt_i32 s35, 27
	s_mov_b32 s44, -1
	s_cbranch_scc1 .LBB62_3523
; %bb.3518:
	s_cmp_gt_i32 s35, 27
	s_cbranch_scc0 .LBB62_3520
; %bb.3519:
	s_wait_xcnt 0x0
	v_mov_b32_e32 v2, 0
	s_mov_b32 s44, 0
	global_store_b32 v[0:1], v2, off
.LBB62_3520:
	s_and_not1_b32 vcc_lo, exec_lo, s44
	s_cbranch_vccnz .LBB62_3522
; %bb.3521:
	s_wait_xcnt 0x0
	v_mov_b32_e32 v2, 0
	global_store_b16 v[0:1], v2, off
.LBB62_3522:
	s_mov_b32 s44, 0
.LBB62_3523:
	s_delay_alu instid0(SALU_CYCLE_1)
	s_and_not1_b32 vcc_lo, exec_lo, s44
	s_cbranch_vccnz .LBB62_3525
; %bb.3524:
	s_wait_xcnt 0x0
	v_mov_b32_e32 v2, 0
	global_store_b8 v[0:1], v2, off
.LBB62_3525:
	s_mov_b32 s44, -1
.LBB62_3526:
	s_mov_b32 s45, 0
.LBB62_3527:
	s_delay_alu instid0(SALU_CYCLE_1)
	s_and_b32 vcc_lo, exec_lo, s45
	s_cbranch_vccz .LBB62_3546
; %bb.3528:
	s_cmp_gt_i32 s35, 22
	s_mov_b32 s45, -1
	s_cbranch_scc0 .LBB62_3538
; %bb.3529:
	s_cmp_lt_i32 s35, 24
	s_mov_b32 s44, -1
	s_cbranch_scc1 .LBB62_3535
; %bb.3530:
	s_cmp_gt_i32 s35, 24
	s_cbranch_scc0 .LBB62_3532
; %bb.3531:
	s_wait_xcnt 0x0
	v_mov_b32_e32 v2, 0
	s_mov_b32 s44, 0
	global_store_b8 v[0:1], v2, off
.LBB62_3532:
	s_and_not1_b32 vcc_lo, exec_lo, s44
	s_cbranch_vccnz .LBB62_3534
; %bb.3533:
	s_wait_xcnt 0x0
	v_mov_b32_e32 v2, 0
	global_store_b8 v[0:1], v2, off
.LBB62_3534:
	s_mov_b32 s44, 0
.LBB62_3535:
	s_delay_alu instid0(SALU_CYCLE_1)
	s_and_not1_b32 vcc_lo, exec_lo, s44
	s_cbranch_vccnz .LBB62_3537
; %bb.3536:
	s_wait_xcnt 0x0
	v_mov_b32_e32 v2, 0
	global_store_b8 v[0:1], v2, off
.LBB62_3537:
	s_mov_b32 s45, 0
	s_mov_b32 s44, -1
.LBB62_3538:
	s_and_not1_b32 vcc_lo, exec_lo, s45
	s_cbranch_vccnz .LBB62_3546
; %bb.3539:
	s_cmp_gt_i32 s35, 14
	s_mov_b32 s45, -1
	s_cbranch_scc0 .LBB62_3543
; %bb.3540:
	s_cmp_eq_u32 s35, 15
	s_mov_b32 s31, -1
	s_cbranch_scc0 .LBB62_3542
; %bb.3541:
	s_wait_xcnt 0x0
	v_mov_b32_e32 v2, 0
	s_mov_b32 s44, -1
	s_mov_b32 s31, 0
	global_store_b16 v[0:1], v2, off
.LBB62_3542:
	s_mov_b32 s45, 0
.LBB62_3543:
	s_delay_alu instid0(SALU_CYCLE_1)
	s_and_b32 vcc_lo, exec_lo, s45
	s_cbranch_vccz .LBB62_3546
; %bb.3544:
	s_cmp_eq_u32 s35, 11
	s_mov_b32 s31, -1
	s_cbranch_scc0 .LBB62_3546
; %bb.3545:
	s_wait_xcnt 0x0
	v_mov_b32_e32 v2, 0
	s_mov_b32 s44, -1
	s_mov_b32 s31, 0
	global_store_b8 v[0:1], v2, off
.LBB62_3546:
	s_mov_b32 s35, 0
.LBB62_3547:
	s_delay_alu instid0(SALU_CYCLE_1)
	s_and_b32 vcc_lo, exec_lo, s35
	s_cbranch_vccz .LBB62_3586
; %bb.3548:
	s_and_b32 s34, 0xffff, s34
	s_mov_b32 s35, -1
	s_cmp_lt_i32 s34, 5
	s_cbranch_scc1 .LBB62_3569
; %bb.3549:
	s_cmp_lt_i32 s34, 8
	s_cbranch_scc1 .LBB62_3559
; %bb.3550:
	;; [unrolled: 3-line block ×3, first 2 shown]
	s_cmp_gt_i32 s34, 9
	s_cbranch_scc0 .LBB62_3553
; %bb.3552:
	s_wait_xcnt 0x0
	v_mov_b32_e32 v2, 0
	s_mov_b32 s35, 0
	s_delay_alu instid0(VALU_DEP_1)
	v_dual_mov_b32 v3, v2 :: v_dual_mov_b32 v4, v2
	v_mov_b32_e32 v5, v2
	global_store_b128 v[0:1], v[2:5], off
.LBB62_3553:
	s_and_not1_b32 vcc_lo, exec_lo, s35
	s_cbranch_vccnz .LBB62_3555
; %bb.3554:
	s_wait_xcnt 0x0
	v_mov_b64_e32 v[2:3], 0
	global_store_b64 v[0:1], v[2:3], off
.LBB62_3555:
	s_mov_b32 s35, 0
.LBB62_3556:
	s_delay_alu instid0(SALU_CYCLE_1)
	s_and_not1_b32 vcc_lo, exec_lo, s35
	s_cbranch_vccnz .LBB62_3558
; %bb.3557:
	s_wait_xcnt 0x0
	v_mov_b32_e32 v2, 0
	global_store_b32 v[0:1], v2, off
.LBB62_3558:
	s_mov_b32 s35, 0
.LBB62_3559:
	s_delay_alu instid0(SALU_CYCLE_1)
	s_and_not1_b32 vcc_lo, exec_lo, s35
	s_cbranch_vccnz .LBB62_3568
; %bb.3560:
	s_cmp_lt_i32 s34, 6
	s_mov_b32 s35, -1
	s_cbranch_scc1 .LBB62_3566
; %bb.3561:
	s_cmp_gt_i32 s34, 6
	s_cbranch_scc0 .LBB62_3563
; %bb.3562:
	s_wait_xcnt 0x0
	v_mov_b64_e32 v[2:3], 0
	s_mov_b32 s35, 0
	global_store_b64 v[0:1], v[2:3], off
.LBB62_3563:
	s_and_not1_b32 vcc_lo, exec_lo, s35
	s_cbranch_vccnz .LBB62_3565
; %bb.3564:
	s_wait_xcnt 0x0
	v_mov_b32_e32 v2, 0
	global_store_b32 v[0:1], v2, off
.LBB62_3565:
	s_mov_b32 s35, 0
.LBB62_3566:
	s_delay_alu instid0(SALU_CYCLE_1)
	s_and_not1_b32 vcc_lo, exec_lo, s35
	s_cbranch_vccnz .LBB62_3568
; %bb.3567:
	s_wait_xcnt 0x0
	v_mov_b32_e32 v2, 0
	global_store_b16 v[0:1], v2, off
.LBB62_3568:
	s_mov_b32 s35, 0
.LBB62_3569:
	s_delay_alu instid0(SALU_CYCLE_1)
	s_and_not1_b32 vcc_lo, exec_lo, s35
	s_cbranch_vccnz .LBB62_3585
; %bb.3570:
	s_cmp_lt_i32 s34, 2
	s_mov_b32 s35, -1
	s_cbranch_scc1 .LBB62_3580
; %bb.3571:
	s_cmp_lt_i32 s34, 3
	s_cbranch_scc1 .LBB62_3577
; %bb.3572:
	s_cmp_gt_i32 s34, 3
	s_cbranch_scc0 .LBB62_3574
; %bb.3573:
	s_wait_xcnt 0x0
	v_mov_b64_e32 v[2:3], 0
	s_mov_b32 s35, 0
	global_store_b64 v[0:1], v[2:3], off
.LBB62_3574:
	s_and_not1_b32 vcc_lo, exec_lo, s35
	s_cbranch_vccnz .LBB62_3576
; %bb.3575:
	s_wait_xcnt 0x0
	v_mov_b32_e32 v2, 0
	global_store_b32 v[0:1], v2, off
.LBB62_3576:
	s_mov_b32 s35, 0
.LBB62_3577:
	s_delay_alu instid0(SALU_CYCLE_1)
	s_and_not1_b32 vcc_lo, exec_lo, s35
	s_cbranch_vccnz .LBB62_3579
; %bb.3578:
	s_wait_xcnt 0x0
	v_mov_b32_e32 v2, 0
	global_store_b16 v[0:1], v2, off
.LBB62_3579:
	s_mov_b32 s35, 0
.LBB62_3580:
	s_delay_alu instid0(SALU_CYCLE_1)
	s_and_not1_b32 vcc_lo, exec_lo, s35
	s_cbranch_vccnz .LBB62_3585
; %bb.3581:
	s_cmp_gt_i32 s34, 0
	s_mov_b32 s34, -1
	s_cbranch_scc0 .LBB62_3583
; %bb.3582:
	s_wait_xcnt 0x0
	v_mov_b32_e32 v2, 0
	s_mov_b32 s34, 0
	global_store_b8 v[0:1], v2, off
.LBB62_3583:
	s_and_not1_b32 vcc_lo, exec_lo, s34
	s_cbranch_vccnz .LBB62_3585
; %bb.3584:
	s_wait_xcnt 0x0
	v_mov_b32_e32 v2, 0
	global_store_b8 v[0:1], v2, off
.LBB62_3585:
	s_mov_b32 s44, -1
.LBB62_3586:
	s_delay_alu instid0(SALU_CYCLE_1)
	s_and_not1_b32 vcc_lo, exec_lo, s44
	s_cbranch_vccnz .LBB62_3588
; %bb.3587:
	v_add_nc_u32_e32 v22, 0x80, v22
	s_mov_b32 s34, -1
	s_branch .LBB62_3589
.LBB62_3588:
	s_mov_b32 s34, 0
                                        ; implicit-def: $vgpr22
.LBB62_3589:
	s_and_not1_b32 s35, s61, exec_lo
	s_and_b32 s31, s31, exec_lo
	s_and_not1_b32 s0, s0, exec_lo
	s_or_b32 s31, s35, s31
	s_and_b32 s34, s34, exec_lo
.LBB62_3590:
	s_wait_xcnt 0x0
	s_or_b32 exec_lo, exec_lo, s1
	s_delay_alu instid0(SALU_CYCLE_1)
	s_and_not1_b32 s1, s61, exec_lo
	s_and_b32 s31, s31, exec_lo
	s_and_not1_b32 s44, s63, exec_lo
	s_and_b32 s0, s0, exec_lo
	s_or_b32 s35, s1, s31
	s_or_b32 s0, s44, s0
	s_xor_b32 s31, exec_lo, -1
	s_and_b32 s1, s34, exec_lo
.LBB62_3591:
	s_or_b32 exec_lo, exec_lo, s80
	s_delay_alu instid0(SALU_CYCLE_1)
	s_and_not1_b32 s34, s61, exec_lo
	s_and_b32 s35, s35, exec_lo
	s_and_b32 s0, s0, exec_lo
	s_or_b32 s44, s34, s35
	s_and_not1_b32 s34, s63, exec_lo
	s_and_not1_b32 s35, s64, exec_lo
	s_and_b32 s45, s31, exec_lo
	s_or_b32 s31, s34, s0
	s_or_b32 s35, s35, s45
	s_xor_b32 s34, exec_lo, -1
	s_and_b32 s0, s1, exec_lo
.LBB62_3592:
	s_or_b32 exec_lo, exec_lo, s79
	s_delay_alu instid0(SALU_CYCLE_1)
	s_and_not1_b32 s1, s61, exec_lo
	s_and_b32 s44, s44, exec_lo
	s_and_not1_b32 s45, s63, exec_lo
	s_and_b32 s31, s31, exec_lo
	s_or_b32 s1, s1, s44
	s_or_b32 s31, s45, s31
	s_and_not1_b32 s44, s64, exec_lo
	s_and_b32 s35, s35, exec_lo
	s_and_not1_b32 s45, s65, exec_lo
	s_and_b32 s46, s34, exec_lo
	s_or_b32 s34, s44, s35
	s_or_b32 s44, s45, s46
	s_xor_b32 s35, exec_lo, -1
	s_and_b32 s0, s0, exec_lo
	s_or_b32 exec_lo, exec_lo, s78
	s_branch .LBB62_1298
.LBB62_3593:
	s_mov_b32 s45, -1
	s_mov_b32 s44, 0
	s_mov_b32 s31, s80
	s_branch .LBB62_3601
.LBB62_3594:
	s_or_b32 s30, s55, exec_lo
	s_xor_b32 s29, exec_lo, -1
	s_trap 2
	s_branch .LBB62_3490
.LBB62_3595:
	s_mov_b32 s17, -1
	s_branch .LBB62_3683
.LBB62_3596:
	s_mov_b32 s45, -1
	s_mov_b32 s44, 0
	s_mov_b32 s31, s80
.LBB62_3597:
	s_and_b32 vcc_lo, exec_lo, s45
	s_cbranch_vccz .LBB62_3600
; %bb.3598:
	s_cmp_eq_u32 s35, 44
	s_mov_b32 s31, -1
	s_cbranch_scc0 .LBB62_3600
; %bb.3599:
	s_wait_xcnt 0x0
	v_mov_b32_e32 v2, 0
	s_mov_b32 s44, -1
	s_mov_b32 s31, 0
	global_store_b8 v[0:1], v2, off
.LBB62_3600:
	s_mov_b32 s45, 0
.LBB62_3601:
	s_delay_alu instid0(SALU_CYCLE_1)
	s_and_b32 vcc_lo, exec_lo, s45
	s_cbranch_vccz .LBB62_3604
; %bb.3602:
	s_cmp_eq_u32 s35, 29
	s_mov_b32 s31, -1
	s_cbranch_scc0 .LBB62_3604
; %bb.3603:
	s_wait_xcnt 0x0
	v_mov_b64_e32 v[2:3], 0
	s_mov_b32 s44, -1
	s_mov_b32 s31, 0
	s_mov_b32 s45, 0
	global_store_b64 v[0:1], v[2:3], off
	s_branch .LBB62_3605
.LBB62_3604:
	s_mov_b32 s45, 0
.LBB62_3605:
	s_delay_alu instid0(SALU_CYCLE_1)
	s_and_b32 vcc_lo, exec_lo, s45
	s_cbranch_vccz .LBB62_3615
; %bb.3606:
	s_cmp_lt_i32 s35, 27
	s_mov_b32 s44, -1
	s_cbranch_scc1 .LBB62_3612
; %bb.3607:
	s_cmp_gt_i32 s35, 27
	s_cbranch_scc0 .LBB62_3609
; %bb.3608:
	s_wait_xcnt 0x0
	v_mov_b32_e32 v2, 0
	s_mov_b32 s44, 0
	global_store_b32 v[0:1], v2, off
.LBB62_3609:
	s_and_not1_b32 vcc_lo, exec_lo, s44
	s_cbranch_vccnz .LBB62_3611
; %bb.3610:
	s_wait_xcnt 0x0
	v_mov_b32_e32 v2, 0
	global_store_b16 v[0:1], v2, off
.LBB62_3611:
	s_mov_b32 s44, 0
.LBB62_3612:
	s_delay_alu instid0(SALU_CYCLE_1)
	s_and_not1_b32 vcc_lo, exec_lo, s44
	s_cbranch_vccnz .LBB62_3614
; %bb.3613:
	s_wait_xcnt 0x0
	v_mov_b32_e32 v2, 0
	global_store_b8 v[0:1], v2, off
.LBB62_3614:
	s_mov_b32 s44, -1
.LBB62_3615:
	s_mov_b32 s45, 0
.LBB62_3616:
	s_delay_alu instid0(SALU_CYCLE_1)
	s_and_b32 vcc_lo, exec_lo, s45
	s_cbranch_vccz .LBB62_3635
; %bb.3617:
	s_cmp_gt_i32 s35, 22
	s_mov_b32 s45, -1
	s_cbranch_scc0 .LBB62_3627
; %bb.3618:
	s_cmp_lt_i32 s35, 24
	s_mov_b32 s44, -1
	s_cbranch_scc1 .LBB62_3624
; %bb.3619:
	s_cmp_gt_i32 s35, 24
	s_cbranch_scc0 .LBB62_3621
; %bb.3620:
	s_wait_xcnt 0x0
	v_mov_b32_e32 v2, 0
	s_mov_b32 s44, 0
	global_store_b8 v[0:1], v2, off
.LBB62_3621:
	s_and_not1_b32 vcc_lo, exec_lo, s44
	s_cbranch_vccnz .LBB62_3623
; %bb.3622:
	s_wait_xcnt 0x0
	v_mov_b32_e32 v2, 0
	global_store_b8 v[0:1], v2, off
.LBB62_3623:
	s_mov_b32 s44, 0
.LBB62_3624:
	s_delay_alu instid0(SALU_CYCLE_1)
	s_and_not1_b32 vcc_lo, exec_lo, s44
	s_cbranch_vccnz .LBB62_3626
; %bb.3625:
	s_wait_xcnt 0x0
	v_mov_b32_e32 v2, 0
	global_store_b8 v[0:1], v2, off
.LBB62_3626:
	s_mov_b32 s45, 0
	s_mov_b32 s44, -1
.LBB62_3627:
	s_and_not1_b32 vcc_lo, exec_lo, s45
	s_cbranch_vccnz .LBB62_3635
; %bb.3628:
	s_cmp_gt_i32 s35, 14
	s_mov_b32 s45, -1
	s_cbranch_scc0 .LBB62_3632
; %bb.3629:
	s_cmp_eq_u32 s35, 15
	s_mov_b32 s31, -1
	s_cbranch_scc0 .LBB62_3631
; %bb.3630:
	s_wait_xcnt 0x0
	v_mov_b32_e32 v2, 0
	s_mov_b32 s44, -1
	s_mov_b32 s31, 0
	global_store_b16 v[0:1], v2, off
.LBB62_3631:
	s_mov_b32 s45, 0
.LBB62_3632:
	s_delay_alu instid0(SALU_CYCLE_1)
	s_and_b32 vcc_lo, exec_lo, s45
	s_cbranch_vccz .LBB62_3635
; %bb.3633:
	s_cmp_eq_u32 s35, 11
	s_mov_b32 s31, -1
	s_cbranch_scc0 .LBB62_3635
; %bb.3634:
	s_wait_xcnt 0x0
	v_mov_b32_e32 v2, 0
	s_mov_b32 s44, -1
	s_mov_b32 s31, 0
	global_store_b8 v[0:1], v2, off
.LBB62_3635:
	s_mov_b32 s35, 0
.LBB62_3636:
	s_delay_alu instid0(SALU_CYCLE_1)
	s_and_b32 vcc_lo, exec_lo, s35
	s_cbranch_vccz .LBB62_3675
; %bb.3637:
	s_and_b32 s34, 0xffff, s34
	s_mov_b32 s35, -1
	s_cmp_lt_i32 s34, 5
	s_cbranch_scc1 .LBB62_3658
; %bb.3638:
	s_cmp_lt_i32 s34, 8
	s_cbranch_scc1 .LBB62_3648
; %bb.3639:
	;; [unrolled: 3-line block ×3, first 2 shown]
	s_cmp_gt_i32 s34, 9
	s_cbranch_scc0 .LBB62_3642
; %bb.3641:
	s_wait_xcnt 0x0
	v_mov_b32_e32 v2, 0
	s_mov_b32 s35, 0
	s_delay_alu instid0(VALU_DEP_1)
	v_dual_mov_b32 v3, v2 :: v_dual_mov_b32 v4, v2
	v_mov_b32_e32 v5, v2
	global_store_b128 v[0:1], v[2:5], off
.LBB62_3642:
	s_and_not1_b32 vcc_lo, exec_lo, s35
	s_cbranch_vccnz .LBB62_3644
; %bb.3643:
	s_wait_xcnt 0x0
	v_mov_b64_e32 v[2:3], 0
	global_store_b64 v[0:1], v[2:3], off
.LBB62_3644:
	s_mov_b32 s35, 0
.LBB62_3645:
	s_delay_alu instid0(SALU_CYCLE_1)
	s_and_not1_b32 vcc_lo, exec_lo, s35
	s_cbranch_vccnz .LBB62_3647
; %bb.3646:
	s_wait_xcnt 0x0
	v_mov_b32_e32 v2, 0
	global_store_b32 v[0:1], v2, off
.LBB62_3647:
	s_mov_b32 s35, 0
.LBB62_3648:
	s_delay_alu instid0(SALU_CYCLE_1)
	s_and_not1_b32 vcc_lo, exec_lo, s35
	s_cbranch_vccnz .LBB62_3657
; %bb.3649:
	s_cmp_lt_i32 s34, 6
	s_mov_b32 s35, -1
	s_cbranch_scc1 .LBB62_3655
; %bb.3650:
	s_cmp_gt_i32 s34, 6
	s_cbranch_scc0 .LBB62_3652
; %bb.3651:
	s_wait_xcnt 0x0
	v_mov_b64_e32 v[2:3], 0
	s_mov_b32 s35, 0
	global_store_b64 v[0:1], v[2:3], off
.LBB62_3652:
	s_and_not1_b32 vcc_lo, exec_lo, s35
	s_cbranch_vccnz .LBB62_3654
; %bb.3653:
	s_wait_xcnt 0x0
	v_mov_b32_e32 v2, 0
	global_store_b32 v[0:1], v2, off
.LBB62_3654:
	s_mov_b32 s35, 0
.LBB62_3655:
	s_delay_alu instid0(SALU_CYCLE_1)
	s_and_not1_b32 vcc_lo, exec_lo, s35
	s_cbranch_vccnz .LBB62_3657
; %bb.3656:
	s_wait_xcnt 0x0
	v_mov_b32_e32 v2, 0
	global_store_b16 v[0:1], v2, off
.LBB62_3657:
	s_mov_b32 s35, 0
.LBB62_3658:
	s_delay_alu instid0(SALU_CYCLE_1)
	s_and_not1_b32 vcc_lo, exec_lo, s35
	s_cbranch_vccnz .LBB62_3674
; %bb.3659:
	s_cmp_lt_i32 s34, 2
	s_mov_b32 s35, -1
	s_cbranch_scc1 .LBB62_3669
; %bb.3660:
	s_cmp_lt_i32 s34, 3
	s_cbranch_scc1 .LBB62_3666
; %bb.3661:
	s_cmp_gt_i32 s34, 3
	s_cbranch_scc0 .LBB62_3663
; %bb.3662:
	s_wait_xcnt 0x0
	v_mov_b64_e32 v[2:3], 0
	s_mov_b32 s35, 0
	global_store_b64 v[0:1], v[2:3], off
.LBB62_3663:
	s_and_not1_b32 vcc_lo, exec_lo, s35
	s_cbranch_vccnz .LBB62_3665
; %bb.3664:
	s_wait_xcnt 0x0
	v_mov_b32_e32 v2, 0
	global_store_b32 v[0:1], v2, off
.LBB62_3665:
	s_mov_b32 s35, 0
.LBB62_3666:
	s_delay_alu instid0(SALU_CYCLE_1)
	s_and_not1_b32 vcc_lo, exec_lo, s35
	s_cbranch_vccnz .LBB62_3668
; %bb.3667:
	s_wait_xcnt 0x0
	v_mov_b32_e32 v2, 0
	global_store_b16 v[0:1], v2, off
.LBB62_3668:
	s_mov_b32 s35, 0
.LBB62_3669:
	s_delay_alu instid0(SALU_CYCLE_1)
	s_and_not1_b32 vcc_lo, exec_lo, s35
	s_cbranch_vccnz .LBB62_3674
; %bb.3670:
	s_cmp_gt_i32 s34, 0
	s_mov_b32 s34, -1
	s_cbranch_scc0 .LBB62_3672
; %bb.3671:
	s_wait_xcnt 0x0
	v_mov_b32_e32 v2, 0
	s_mov_b32 s34, 0
	global_store_b8 v[0:1], v2, off
.LBB62_3672:
	s_and_not1_b32 vcc_lo, exec_lo, s34
	s_cbranch_vccnz .LBB62_3674
; %bb.3673:
	s_wait_xcnt 0x0
	v_mov_b32_e32 v2, 0
	global_store_b8 v[0:1], v2, off
.LBB62_3674:
	s_mov_b32 s44, -1
.LBB62_3675:
	s_delay_alu instid0(SALU_CYCLE_1)
	s_and_not1_b32 vcc_lo, exec_lo, s44
	s_cbranch_vccnz .LBB62_3677
; %bb.3676:
	v_add_nc_u32_e32 v22, 0x80, v22
	s_mov_b32 s34, -1
	s_branch .LBB62_3678
.LBB62_3677:
	s_mov_b32 s34, 0
                                        ; implicit-def: $vgpr22
.LBB62_3678:
	s_and_not1_b32 s35, s80, exec_lo
	s_and_b32 s31, s31, exec_lo
	s_and_not1_b32 s0, s0, exec_lo
	s_or_b32 s31, s35, s31
	s_and_b32 s34, s34, exec_lo
.LBB62_3679:
	s_wait_xcnt 0x0
	s_or_b32 exec_lo, exec_lo, s1
	s_delay_alu instid0(SALU_CYCLE_1)
	s_and_not1_b32 s1, s80, exec_lo
	s_and_b32 s31, s31, exec_lo
	s_and_not1_b32 s44, s81, exec_lo
	s_and_b32 s0, s0, exec_lo
	s_or_b32 s35, s1, s31
	s_or_b32 s0, s44, s0
	s_xor_b32 s31, exec_lo, -1
	s_and_b32 s1, s34, exec_lo
.LBB62_3680:
	s_or_b32 exec_lo, exec_lo, s92
	s_delay_alu instid0(SALU_CYCLE_1)
	s_and_not1_b32 s34, s80, exec_lo
	s_and_b32 s35, s35, exec_lo
	s_and_b32 s0, s0, exec_lo
	s_or_b32 s44, s34, s35
	s_and_not1_b32 s34, s81, exec_lo
	s_and_not1_b32 s35, s82, exec_lo
	s_and_b32 s45, s31, exec_lo
	s_or_b32 s31, s34, s0
	s_or_b32 s35, s35, s45
	s_xor_b32 s34, exec_lo, -1
	s_and_b32 s0, s1, exec_lo
.LBB62_3681:
	s_or_b32 exec_lo, exec_lo, s91
	s_delay_alu instid0(SALU_CYCLE_1)
	s_and_not1_b32 s1, s80, exec_lo
	s_and_b32 s44, s44, exec_lo
	s_and_not1_b32 s45, s81, exec_lo
	s_and_b32 s31, s31, exec_lo
	s_or_b32 s1, s1, s44
	s_or_b32 s31, s45, s31
	s_and_not1_b32 s44, s82, exec_lo
	s_and_b32 s35, s35, exec_lo
	s_and_not1_b32 s45, s78, exec_lo
	s_and_b32 s46, s34, exec_lo
	s_or_b32 s34, s44, s35
	s_or_b32 s44, s45, s46
	s_xor_b32 s35, exec_lo, -1
	s_and_b32 s0, s0, exec_lo
	s_or_b32 exec_lo, exec_lo, s90
	s_branch .LBB62_2046
.LBB62_3682:
	s_mov_b32 s1, -1
.LBB62_3683:
	s_mov_b32 s30, 0
                                        ; implicit-def: $vgpr10_vgpr11
.LBB62_3684:
	s_and_b32 vcc_lo, exec_lo, s17
	s_cbranch_vccz .LBB62_3688
; %bb.3685:
	s_cmp_eq_u32 s0, 44
	s_cbranch_scc0 .LBB62_3687
; %bb.3686:
	global_load_u8 v1, v[12:13], off
	s_mov_b32 s1, 0
	s_mov_b32 s30, -1
	s_wait_loadcnt 0x0
	v_lshlrev_b32_e32 v3, 23, v1
	v_cmp_ne_u32_e32 vcc_lo, 0, v1
	s_delay_alu instid0(VALU_DEP_2) | instskip(NEXT) | instid1(VALU_DEP_1)
	v_trunc_f32_e32 v3, v3
	v_mul_f32_e64 v5, 0x2f800000, |v3|
	v_ashrrev_i32_e32 v10, 31, v3
	s_delay_alu instid0(VALU_DEP_2) | instskip(NEXT) | instid1(VALU_DEP_2)
	v_floor_f32_e32 v5, v5
	v_mov_b32_e32 v11, v10
	s_delay_alu instid0(VALU_DEP_2) | instskip(SKIP_1) | instid1(VALU_DEP_2)
	v_fma_f32 v7, 0xcf800000, v5, |v3|
	v_cvt_u32_f32_e32 v3, v5
	v_cvt_u32_f32_e32 v5, v7
	s_delay_alu instid0(VALU_DEP_2) | instskip(NEXT) | instid1(VALU_DEP_2)
	v_xor_b32_e32 v15, v3, v10
	v_xor_b32_e32 v14, v5, v10
	s_delay_alu instid0(VALU_DEP_1) | instskip(NEXT) | instid1(VALU_DEP_1)
	v_sub_nc_u64_e32 v[10:11], v[14:15], v[10:11]
	v_dual_cndmask_b32 v11, 0, v11 :: v_dual_cndmask_b32 v10, 0, v10
	s_branch .LBB62_3688
.LBB62_3687:
	s_mov_b32 s1, -1
                                        ; implicit-def: $vgpr10_vgpr11
.LBB62_3688:
	s_mov_b32 s17, 0
.LBB62_3689:
	s_delay_alu instid0(SALU_CYCLE_1)
	s_and_b32 vcc_lo, exec_lo, s17
	s_cbranch_vccz .LBB62_3693
; %bb.3690:
	s_cmp_eq_u32 s0, 29
	s_cbranch_scc0 .LBB62_3692
; %bb.3691:
	global_load_b64 v[10:11], v[12:13], off
	s_mov_b32 s1, 0
	s_mov_b32 s30, -1
	s_branch .LBB62_3693
.LBB62_3692:
	s_mov_b32 s1, -1
                                        ; implicit-def: $vgpr10_vgpr11
.LBB62_3693:
	s_mov_b32 s17, 0
.LBB62_3694:
	s_delay_alu instid0(SALU_CYCLE_1)
	s_and_b32 vcc_lo, exec_lo, s17
	s_cbranch_vccz .LBB62_3710
; %bb.3695:
	s_cmp_lt_i32 s0, 27
	s_cbranch_scc1 .LBB62_3698
; %bb.3696:
	s_cmp_gt_i32 s0, 27
	s_cbranch_scc0 .LBB62_3699
; %bb.3697:
	s_wait_loadcnt 0x0
	global_load_b32 v10, v[12:13], off
	v_mov_b32_e32 v11, 0
	s_mov_b32 s17, 0
	s_branch .LBB62_3700
.LBB62_3698:
	s_mov_b32 s17, -1
                                        ; implicit-def: $vgpr10_vgpr11
	s_branch .LBB62_3703
.LBB62_3699:
	s_mov_b32 s17, -1
                                        ; implicit-def: $vgpr10_vgpr11
.LBB62_3700:
	s_delay_alu instid0(SALU_CYCLE_1)
	s_and_not1_b32 vcc_lo, exec_lo, s17
	s_cbranch_vccnz .LBB62_3702
; %bb.3701:
	global_load_u16 v1, v[12:13], off
	s_mov_b32 s17, 0
	s_wait_loadcnt 0x1
	v_mov_b32_e32 v11, s17
	s_wait_loadcnt 0x0
	v_and_b32_e32 v10, 0xffff, v1
.LBB62_3702:
	s_mov_b32 s17, 0
.LBB62_3703:
	s_delay_alu instid0(SALU_CYCLE_1)
	s_and_not1_b32 vcc_lo, exec_lo, s17
	s_cbranch_vccnz .LBB62_3709
; %bb.3704:
	global_load_u8 v1, v[12:13], off
	s_mov_b32 s30, 0
	s_mov_b32 s17, exec_lo
	s_wait_loadcnt 0x0
	v_cmpx_lt_i16_e32 0x7f, v1
	s_xor_b32 s17, exec_lo, s17
	s_cbranch_execz .LBB62_3721
; %bb.3705:
	v_cmp_ne_u16_e32 vcc_lo, 0x80, v1
	s_and_b32 s30, vcc_lo, exec_lo
	s_and_not1_saveexec_b32 s17, s17
	s_cbranch_execnz .LBB62_3722
.LBB62_3706:
	s_or_b32 exec_lo, exec_lo, s17
	v_mov_b64_e32 v[10:11], 0
	s_and_saveexec_b32 s17, s30
	s_cbranch_execz .LBB62_3708
.LBB62_3707:
	v_and_b32_e32 v3, 0xffff, v1
	s_delay_alu instid0(VALU_DEP_1) | instskip(SKIP_1) | instid1(VALU_DEP_2)
	v_dual_lshlrev_b32 v1, 24, v1 :: v_dual_bitop2_b32 v5, 7, v3 bitop3:0x40
	v_bfe_u32 v10, v3, 3, 4
	v_and_b32_e32 v1, 0x80000000, v1
	s_delay_alu instid0(VALU_DEP_3) | instskip(NEXT) | instid1(VALU_DEP_3)
	v_clz_i32_u32_e32 v7, v5
	v_cmp_eq_u32_e32 vcc_lo, 0, v10
	s_delay_alu instid0(VALU_DEP_2) | instskip(NEXT) | instid1(VALU_DEP_1)
	v_min_u32_e32 v7, 32, v7
	v_subrev_nc_u32_e32 v9, 28, v7
	v_sub_nc_u32_e32 v7, 29, v7
	s_delay_alu instid0(VALU_DEP_2) | instskip(NEXT) | instid1(VALU_DEP_2)
	v_lshlrev_b32_e32 v3, v9, v3
	v_cndmask_b32_e32 v7, v10, v7, vcc_lo
	s_delay_alu instid0(VALU_DEP_2) | instskip(NEXT) | instid1(VALU_DEP_1)
	v_and_b32_e32 v3, 7, v3
	v_cndmask_b32_e32 v3, v5, v3, vcc_lo
	s_delay_alu instid0(VALU_DEP_3) | instskip(NEXT) | instid1(VALU_DEP_2)
	v_lshl_add_u32 v5, v7, 23, 0x3b800000
	v_lshlrev_b32_e32 v3, 20, v3
	s_delay_alu instid0(VALU_DEP_1) | instskip(NEXT) | instid1(VALU_DEP_1)
	v_or3_b32 v1, v1, v5, v3
	v_trunc_f32_e32 v1, v1
	s_delay_alu instid0(VALU_DEP_1) | instskip(SKIP_1) | instid1(VALU_DEP_2)
	v_mul_f32_e64 v3, 0x2f800000, |v1|
	v_ashrrev_i32_e32 v10, 31, v1
	v_floor_f32_e32 v3, v3
	s_delay_alu instid0(VALU_DEP_2) | instskip(NEXT) | instid1(VALU_DEP_2)
	v_mov_b32_e32 v11, v10
	v_fma_f32 v5, 0xcf800000, v3, |v1|
	v_cvt_u32_f32_e32 v1, v3
	s_delay_alu instid0(VALU_DEP_2) | instskip(NEXT) | instid1(VALU_DEP_2)
	v_cvt_u32_f32_e32 v3, v5
	v_xor_b32_e32 v15, v1, v10
	s_delay_alu instid0(VALU_DEP_2) | instskip(NEXT) | instid1(VALU_DEP_1)
	v_xor_b32_e32 v14, v3, v10
	v_sub_nc_u64_e32 v[10:11], v[14:15], v[10:11]
.LBB62_3708:
	s_or_b32 exec_lo, exec_lo, s17
.LBB62_3709:
	s_mov_b32 s30, -1
.LBB62_3710:
	s_mov_b32 s17, 0
.LBB62_3711:
	s_delay_alu instid0(SALU_CYCLE_1)
	s_and_b32 vcc_lo, exec_lo, s17
	s_cbranch_vccz .LBB62_3742
; %bb.3712:
	s_cmp_gt_i32 s0, 22
	s_cbranch_scc0 .LBB62_3720
; %bb.3713:
	s_cmp_lt_i32 s0, 24
	s_cbranch_scc1 .LBB62_3723
; %bb.3714:
	s_cmp_gt_i32 s0, 24
	s_cbranch_scc0 .LBB62_3724
; %bb.3715:
	global_load_u8 v1, v[12:13], off
	s_mov_b32 s17, exec_lo
	s_wait_loadcnt 0x0
	v_cmpx_lt_i16_e32 0x7f, v1
	s_xor_b32 s17, exec_lo, s17
	s_cbranch_execz .LBB62_3736
; %bb.3716:
	v_cmp_ne_u16_e32 vcc_lo, 0x80, v1
	s_and_b32 s29, vcc_lo, exec_lo
	s_and_not1_saveexec_b32 s17, s17
	s_cbranch_execnz .LBB62_3737
.LBB62_3717:
	s_or_b32 exec_lo, exec_lo, s17
	v_mov_b64_e32 v[10:11], 0
	s_and_saveexec_b32 s17, s29
	s_cbranch_execz .LBB62_3719
.LBB62_3718:
	v_and_b32_e32 v3, 0xffff, v1
	s_delay_alu instid0(VALU_DEP_1) | instskip(SKIP_1) | instid1(VALU_DEP_2)
	v_dual_lshlrev_b32 v1, 24, v1 :: v_dual_bitop2_b32 v5, 3, v3 bitop3:0x40
	v_bfe_u32 v10, v3, 2, 5
	v_and_b32_e32 v1, 0x80000000, v1
	s_delay_alu instid0(VALU_DEP_3) | instskip(NEXT) | instid1(VALU_DEP_3)
	v_clz_i32_u32_e32 v7, v5
	v_cmp_eq_u32_e32 vcc_lo, 0, v10
	s_delay_alu instid0(VALU_DEP_2) | instskip(NEXT) | instid1(VALU_DEP_1)
	v_min_u32_e32 v7, 32, v7
	v_subrev_nc_u32_e32 v9, 29, v7
	v_sub_nc_u32_e32 v7, 30, v7
	s_delay_alu instid0(VALU_DEP_2) | instskip(NEXT) | instid1(VALU_DEP_2)
	v_lshlrev_b32_e32 v3, v9, v3
	v_cndmask_b32_e32 v7, v10, v7, vcc_lo
	s_delay_alu instid0(VALU_DEP_2) | instskip(NEXT) | instid1(VALU_DEP_1)
	v_and_b32_e32 v3, 3, v3
	v_cndmask_b32_e32 v3, v5, v3, vcc_lo
	s_delay_alu instid0(VALU_DEP_3) | instskip(NEXT) | instid1(VALU_DEP_2)
	v_lshl_add_u32 v5, v7, 23, 0x37800000
	v_lshlrev_b32_e32 v3, 21, v3
	s_delay_alu instid0(VALU_DEP_1) | instskip(NEXT) | instid1(VALU_DEP_1)
	v_or3_b32 v1, v1, v5, v3
	v_trunc_f32_e32 v1, v1
	s_delay_alu instid0(VALU_DEP_1) | instskip(SKIP_1) | instid1(VALU_DEP_2)
	v_mul_f32_e64 v3, 0x2f800000, |v1|
	v_ashrrev_i32_e32 v10, 31, v1
	v_floor_f32_e32 v3, v3
	s_delay_alu instid0(VALU_DEP_2) | instskip(NEXT) | instid1(VALU_DEP_2)
	v_mov_b32_e32 v11, v10
	v_fma_f32 v5, 0xcf800000, v3, |v1|
	v_cvt_u32_f32_e32 v1, v3
	s_delay_alu instid0(VALU_DEP_2) | instskip(NEXT) | instid1(VALU_DEP_2)
	v_cvt_u32_f32_e32 v3, v5
	v_xor_b32_e32 v15, v1, v10
	s_delay_alu instid0(VALU_DEP_2) | instskip(NEXT) | instid1(VALU_DEP_1)
	v_xor_b32_e32 v14, v3, v10
	v_sub_nc_u64_e32 v[10:11], v[14:15], v[10:11]
.LBB62_3719:
	s_or_b32 exec_lo, exec_lo, s17
	s_mov_b32 s17, 0
	s_branch .LBB62_3725
.LBB62_3720:
	s_mov_b32 s17, -1
                                        ; implicit-def: $vgpr10_vgpr11
	s_branch .LBB62_3731
.LBB62_3721:
	s_and_not1_saveexec_b32 s17, s17
	s_cbranch_execz .LBB62_3706
.LBB62_3722:
	v_cmp_ne_u16_e32 vcc_lo, 0, v1
	s_and_not1_b32 s30, s30, exec_lo
	s_and_b32 s31, vcc_lo, exec_lo
	s_delay_alu instid0(SALU_CYCLE_1)
	s_or_b32 s30, s30, s31
	s_or_b32 exec_lo, exec_lo, s17
	v_mov_b64_e32 v[10:11], 0
	s_and_saveexec_b32 s17, s30
	s_cbranch_execnz .LBB62_3707
	s_branch .LBB62_3708
.LBB62_3723:
	s_mov_b32 s17, -1
                                        ; implicit-def: $vgpr10_vgpr11
	s_branch .LBB62_3728
.LBB62_3724:
	s_mov_b32 s17, -1
                                        ; implicit-def: $vgpr10_vgpr11
.LBB62_3725:
	s_delay_alu instid0(SALU_CYCLE_1)
	s_and_b32 vcc_lo, exec_lo, s17
	s_cbranch_vccz .LBB62_3727
; %bb.3726:
	global_load_u8 v1, v[12:13], off
	s_wait_loadcnt 0x0
	v_lshlrev_b32_e32 v1, 24, v1
	s_delay_alu instid0(VALU_DEP_1) | instskip(NEXT) | instid1(VALU_DEP_1)
	v_and_b32_e32 v3, 0x7f000000, v1
	v_clz_i32_u32_e32 v5, v3
	v_add_nc_u32_e32 v9, 0x1000000, v3
	v_cmp_ne_u32_e32 vcc_lo, 0, v3
	s_delay_alu instid0(VALU_DEP_3) | instskip(NEXT) | instid1(VALU_DEP_1)
	v_min_u32_e32 v5, 32, v5
	v_sub_nc_u32_e64 v5, v5, 4 clamp
	s_delay_alu instid0(VALU_DEP_1) | instskip(NEXT) | instid1(VALU_DEP_1)
	v_dual_lshlrev_b32 v7, v5, v3 :: v_dual_lshlrev_b32 v5, 23, v5
	v_lshrrev_b32_e32 v7, 4, v7
	s_delay_alu instid0(VALU_DEP_1) | instskip(SKIP_1) | instid1(VALU_DEP_2)
	v_sub_nc_u32_e32 v5, v7, v5
	v_ashrrev_i32_e32 v7, 8, v9
	v_add_nc_u32_e32 v5, 0x3c000000, v5
	s_delay_alu instid0(VALU_DEP_1) | instskip(NEXT) | instid1(VALU_DEP_1)
	v_and_or_b32 v5, 0x7f800000, v7, v5
	v_cndmask_b32_e32 v3, 0, v5, vcc_lo
	s_delay_alu instid0(VALU_DEP_1) | instskip(NEXT) | instid1(VALU_DEP_1)
	v_and_or_b32 v1, 0x80000000, v1, v3
	v_trunc_f32_e32 v1, v1
	s_delay_alu instid0(VALU_DEP_1) | instskip(SKIP_1) | instid1(VALU_DEP_2)
	v_mul_f32_e64 v3, 0x2f800000, |v1|
	v_ashrrev_i32_e32 v10, 31, v1
	v_floor_f32_e32 v3, v3
	s_delay_alu instid0(VALU_DEP_2) | instskip(NEXT) | instid1(VALU_DEP_2)
	v_mov_b32_e32 v11, v10
	v_fma_f32 v5, 0xcf800000, v3, |v1|
	v_cvt_u32_f32_e32 v1, v3
	s_delay_alu instid0(VALU_DEP_2) | instskip(NEXT) | instid1(VALU_DEP_2)
	v_cvt_u32_f32_e32 v3, v5
	v_xor_b32_e32 v15, v1, v10
	s_delay_alu instid0(VALU_DEP_2) | instskip(NEXT) | instid1(VALU_DEP_1)
	v_xor_b32_e32 v14, v3, v10
	v_sub_nc_u64_e32 v[10:11], v[14:15], v[10:11]
.LBB62_3727:
	s_mov_b32 s17, 0
.LBB62_3728:
	s_delay_alu instid0(SALU_CYCLE_1)
	s_and_not1_b32 vcc_lo, exec_lo, s17
	s_cbranch_vccnz .LBB62_3730
; %bb.3729:
	global_load_u8 v1, v[12:13], off
	s_wait_loadcnt 0x0
	v_lshlrev_b32_e32 v3, 25, v1
	v_lshlrev_b16 v1, 8, v1
	s_delay_alu instid0(VALU_DEP_1) | instskip(SKIP_1) | instid1(VALU_DEP_2)
	v_and_or_b32 v7, 0x7f00, v1, 0.5
	v_bfe_i32 v1, v1, 0, 16
	v_add_f32_e32 v7, -0.5, v7
	v_lshrrev_b32_e32 v5, 4, v3
	v_cmp_gt_u32_e32 vcc_lo, 0x8000000, v3
	s_delay_alu instid0(VALU_DEP_2) | instskip(NEXT) | instid1(VALU_DEP_1)
	v_or_b32_e32 v5, 0x70000000, v5
	v_mul_f32_e32 v5, 0x7800000, v5
	s_delay_alu instid0(VALU_DEP_1) | instskip(NEXT) | instid1(VALU_DEP_1)
	v_cndmask_b32_e32 v3, v5, v7, vcc_lo
	v_and_or_b32 v1, 0x80000000, v1, v3
	s_delay_alu instid0(VALU_DEP_1) | instskip(NEXT) | instid1(VALU_DEP_1)
	v_trunc_f32_e32 v1, v1
	v_mul_f32_e64 v3, 0x2f800000, |v1|
	v_ashrrev_i32_e32 v10, 31, v1
	s_delay_alu instid0(VALU_DEP_2) | instskip(NEXT) | instid1(VALU_DEP_2)
	v_floor_f32_e32 v3, v3
	v_mov_b32_e32 v11, v10
	s_delay_alu instid0(VALU_DEP_2) | instskip(SKIP_1) | instid1(VALU_DEP_2)
	v_fma_f32 v5, 0xcf800000, v3, |v1|
	v_cvt_u32_f32_e32 v1, v3
	v_cvt_u32_f32_e32 v3, v5
	s_delay_alu instid0(VALU_DEP_2) | instskip(NEXT) | instid1(VALU_DEP_2)
	v_xor_b32_e32 v15, v1, v10
	v_xor_b32_e32 v14, v3, v10
	s_delay_alu instid0(VALU_DEP_1)
	v_sub_nc_u64_e32 v[10:11], v[14:15], v[10:11]
.LBB62_3730:
	s_mov_b32 s17, 0
	s_mov_b32 s30, -1
.LBB62_3731:
	s_and_not1_b32 vcc_lo, exec_lo, s17
	s_mov_b32 s29, 0
	s_cbranch_vccnz .LBB62_3742
; %bb.3732:
	s_cmp_gt_i32 s0, 14
	s_cbranch_scc0 .LBB62_3735
; %bb.3733:
	s_cmp_eq_u32 s0, 15
	s_cbranch_scc0 .LBB62_3738
; %bb.3734:
	global_load_u16 v1, v[12:13], off
	s_mov_b32 s1, 0
	s_mov_b32 s30, -1
	s_wait_loadcnt 0x0
	v_lshlrev_b32_e32 v1, 16, v1
	s_delay_alu instid0(VALU_DEP_1) | instskip(NEXT) | instid1(VALU_DEP_1)
	v_trunc_f32_e32 v1, v1
	v_mul_f32_e64 v3, 0x2f800000, |v1|
	v_ashrrev_i32_e32 v10, 31, v1
	s_delay_alu instid0(VALU_DEP_2) | instskip(NEXT) | instid1(VALU_DEP_2)
	v_floor_f32_e32 v3, v3
	v_mov_b32_e32 v11, v10
	s_delay_alu instid0(VALU_DEP_2) | instskip(SKIP_1) | instid1(VALU_DEP_2)
	v_fma_f32 v5, 0xcf800000, v3, |v1|
	v_cvt_u32_f32_e32 v1, v3
	v_cvt_u32_f32_e32 v3, v5
	s_delay_alu instid0(VALU_DEP_2) | instskip(NEXT) | instid1(VALU_DEP_2)
	v_xor_b32_e32 v15, v1, v10
	v_xor_b32_e32 v14, v3, v10
	s_delay_alu instid0(VALU_DEP_1)
	v_sub_nc_u64_e32 v[10:11], v[14:15], v[10:11]
	s_branch .LBB62_3739
.LBB62_3735:
	s_mov_b32 s17, -1
                                        ; implicit-def: $vgpr10_vgpr11
	s_branch .LBB62_3740
.LBB62_3736:
	s_and_not1_saveexec_b32 s17, s17
	s_cbranch_execz .LBB62_3717
.LBB62_3737:
	v_cmp_ne_u16_e32 vcc_lo, 0, v1
	s_and_not1_b32 s29, s29, exec_lo
	s_and_b32 s30, vcc_lo, exec_lo
	s_delay_alu instid0(SALU_CYCLE_1)
	s_or_b32 s29, s29, s30
	s_or_b32 exec_lo, exec_lo, s17
	v_mov_b64_e32 v[10:11], 0
	s_and_saveexec_b32 s17, s29
	s_cbranch_execnz .LBB62_3718
	s_branch .LBB62_3719
.LBB62_3738:
	s_mov_b32 s1, -1
                                        ; implicit-def: $vgpr10_vgpr11
.LBB62_3739:
	s_mov_b32 s17, 0
.LBB62_3740:
	s_delay_alu instid0(SALU_CYCLE_1)
	s_and_b32 vcc_lo, exec_lo, s17
	s_cbranch_vccz .LBB62_3742
; %bb.3741:
	s_cmp_lg_u32 s0, 11
	s_mov_b32 s29, -1
	s_cselect_b32 s1, -1, 0
.LBB62_3742:
	s_delay_alu instid0(SALU_CYCLE_1)
	s_and_b32 vcc_lo, exec_lo, s1
	s_mov_b32 s17, s48
	s_cbranch_vccnz .LBB62_3807
; %bb.3743:
	s_and_not1_b32 vcc_lo, exec_lo, s29
	s_cbranch_vccnz .LBB62_3745
.LBB62_3744:
	global_load_u8 v1, v[12:13], off
	s_mov_b32 s0, 0
	s_mov_b32 s30, -1
	s_wait_loadcnt 0x1
	v_mov_b32_e32 v11, s0
	s_wait_loadcnt 0x0
	v_cmp_ne_u16_e32 vcc_lo, 0, v1
	v_cndmask_b32_e64 v10, 0, 1, vcc_lo
.LBB62_3745:
	s_mov_b32 s0, 0
.LBB62_3746:
	s_delay_alu instid0(SALU_CYCLE_1)
	s_and_b32 vcc_lo, exec_lo, s0
	s_cbranch_vccz .LBB62_3795
; %bb.3747:
	s_and_b32 s0, 0xffff, s57
	s_delay_alu instid0(SALU_CYCLE_1)
	s_cmp_lt_i32 s0, 5
	s_cbranch_scc1 .LBB62_3752
; %bb.3748:
	s_cmp_lt_i32 s0, 8
	s_cbranch_scc1 .LBB62_3753
; %bb.3749:
	s_cmp_lt_i32 s0, 9
	s_cbranch_scc1 .LBB62_3754
; %bb.3750:
	s_cmp_gt_i32 s0, 9
	s_cbranch_scc0 .LBB62_3755
; %bb.3751:
	s_wait_loadcnt 0x0
	global_load_b64 v[10:11], v[12:13], off
	s_mov_b32 s1, 0
	s_wait_loadcnt 0x0
	v_trunc_f64_e32 v[10:11], v[10:11]
	s_delay_alu instid0(VALU_DEP_1) | instskip(NEXT) | instid1(VALU_DEP_1)
	v_ldexp_f64 v[14:15], v[10:11], 0xffffffe0
	v_floor_f64_e32 v[14:15], v[14:15]
	s_delay_alu instid0(VALU_DEP_1) | instskip(SKIP_1) | instid1(VALU_DEP_2)
	v_fmamk_f64 v[16:17], v[14:15], 0xc1f00000, v[10:11]
	v_cvt_i32_f64_e32 v11, v[14:15]
	v_cvt_u32_f64_e32 v10, v[16:17]
	s_branch .LBB62_3756
.LBB62_3752:
	s_mov_b32 s1, -1
                                        ; implicit-def: $vgpr10_vgpr11
	s_branch .LBB62_3774
.LBB62_3753:
	s_mov_b32 s1, -1
                                        ; implicit-def: $vgpr10_vgpr11
	s_branch .LBB62_3762
.LBB62_3754:
	s_mov_b32 s1, -1
                                        ; implicit-def: $vgpr10_vgpr11
	s_branch .LBB62_3759
.LBB62_3755:
	s_mov_b32 s1, -1
                                        ; implicit-def: $vgpr10_vgpr11
.LBB62_3756:
	s_delay_alu instid0(SALU_CYCLE_1)
	s_and_not1_b32 vcc_lo, exec_lo, s1
	s_cbranch_vccnz .LBB62_3758
; %bb.3757:
	global_load_b32 v1, v[12:13], off
	s_wait_loadcnt 0x0
	v_trunc_f32_e32 v1, v1
	s_delay_alu instid0(VALU_DEP_1) | instskip(SKIP_1) | instid1(VALU_DEP_2)
	v_mul_f32_e64 v3, 0x2f800000, |v1|
	v_ashrrev_i32_e32 v10, 31, v1
	v_floor_f32_e32 v3, v3
	s_delay_alu instid0(VALU_DEP_1) | instskip(SKIP_1) | instid1(VALU_DEP_4)
	v_fma_f32 v5, 0xcf800000, v3, |v1|
	v_cvt_u32_f32_e32 v1, v3
	v_mov_b32_e32 v11, v10
	s_delay_alu instid0(VALU_DEP_3) | instskip(NEXT) | instid1(VALU_DEP_3)
	v_cvt_u32_f32_e32 v3, v5
	v_xor_b32_e32 v15, v1, v10
	s_delay_alu instid0(VALU_DEP_2) | instskip(NEXT) | instid1(VALU_DEP_1)
	v_xor_b32_e32 v14, v3, v10
	v_sub_nc_u64_e32 v[10:11], v[14:15], v[10:11]
.LBB62_3758:
	s_mov_b32 s1, 0
.LBB62_3759:
	s_delay_alu instid0(SALU_CYCLE_1)
	s_and_not1_b32 vcc_lo, exec_lo, s1
	s_cbranch_vccnz .LBB62_3761
; %bb.3760:
	global_load_b32 v1, v[12:13], off
	s_wait_loadcnt 0x0
	v_cvt_f32_f16_e32 v1, v1
	s_delay_alu instid0(VALU_DEP_1) | instskip(NEXT) | instid1(VALU_DEP_1)
	v_cvt_i32_f32_e32 v10, v1
	v_ashrrev_i32_e32 v11, 31, v10
.LBB62_3761:
	s_mov_b32 s1, 0
.LBB62_3762:
	s_delay_alu instid0(SALU_CYCLE_1)
	s_and_not1_b32 vcc_lo, exec_lo, s1
	s_cbranch_vccnz .LBB62_3773
; %bb.3763:
	s_cmp_lt_i32 s0, 6
	s_cbranch_scc1 .LBB62_3766
; %bb.3764:
	s_cmp_gt_i32 s0, 6
	s_cbranch_scc0 .LBB62_3767
; %bb.3765:
	s_wait_loadcnt 0x0
	global_load_b64 v[10:11], v[12:13], off
	s_mov_b32 s1, 0
	s_wait_loadcnt 0x0
	v_trunc_f64_e32 v[10:11], v[10:11]
	s_delay_alu instid0(VALU_DEP_1) | instskip(NEXT) | instid1(VALU_DEP_1)
	v_ldexp_f64 v[14:15], v[10:11], 0xffffffe0
	v_floor_f64_e32 v[14:15], v[14:15]
	s_delay_alu instid0(VALU_DEP_1) | instskip(SKIP_1) | instid1(VALU_DEP_2)
	v_fmamk_f64 v[16:17], v[14:15], 0xc1f00000, v[10:11]
	v_cvt_i32_f64_e32 v11, v[14:15]
	v_cvt_u32_f64_e32 v10, v[16:17]
	s_branch .LBB62_3768
.LBB62_3766:
	s_mov_b32 s1, -1
                                        ; implicit-def: $vgpr10_vgpr11
	s_branch .LBB62_3771
.LBB62_3767:
	s_mov_b32 s1, -1
                                        ; implicit-def: $vgpr10_vgpr11
.LBB62_3768:
	s_delay_alu instid0(SALU_CYCLE_1)
	s_and_not1_b32 vcc_lo, exec_lo, s1
	s_cbranch_vccnz .LBB62_3770
; %bb.3769:
	global_load_b32 v1, v[12:13], off
	s_wait_loadcnt 0x0
	v_trunc_f32_e32 v1, v1
	s_delay_alu instid0(VALU_DEP_1) | instskip(SKIP_1) | instid1(VALU_DEP_2)
	v_mul_f32_e64 v3, 0x2f800000, |v1|
	v_ashrrev_i32_e32 v10, 31, v1
	v_floor_f32_e32 v3, v3
	s_delay_alu instid0(VALU_DEP_1) | instskip(SKIP_1) | instid1(VALU_DEP_4)
	v_fma_f32 v5, 0xcf800000, v3, |v1|
	v_cvt_u32_f32_e32 v1, v3
	v_mov_b32_e32 v11, v10
	s_delay_alu instid0(VALU_DEP_3) | instskip(NEXT) | instid1(VALU_DEP_3)
	v_cvt_u32_f32_e32 v3, v5
	v_xor_b32_e32 v15, v1, v10
	s_delay_alu instid0(VALU_DEP_2) | instskip(NEXT) | instid1(VALU_DEP_1)
	v_xor_b32_e32 v14, v3, v10
	v_sub_nc_u64_e32 v[10:11], v[14:15], v[10:11]
.LBB62_3770:
	s_mov_b32 s1, 0
.LBB62_3771:
	s_delay_alu instid0(SALU_CYCLE_1)
	s_and_not1_b32 vcc_lo, exec_lo, s1
	s_cbranch_vccnz .LBB62_3773
; %bb.3772:
	global_load_u16 v1, v[12:13], off
	s_wait_loadcnt 0x0
	v_cvt_f32_f16_e32 v1, v1
	s_delay_alu instid0(VALU_DEP_1) | instskip(NEXT) | instid1(VALU_DEP_1)
	v_cvt_i32_f32_e32 v10, v1
	v_ashrrev_i32_e32 v11, 31, v10
.LBB62_3773:
	s_mov_b32 s1, 0
.LBB62_3774:
	s_delay_alu instid0(SALU_CYCLE_1)
	s_and_not1_b32 vcc_lo, exec_lo, s1
	s_cbranch_vccnz .LBB62_3794
; %bb.3775:
	s_cmp_lt_i32 s0, 2
	s_cbranch_scc1 .LBB62_3779
; %bb.3776:
	s_cmp_lt_i32 s0, 3
	s_cbranch_scc1 .LBB62_3780
; %bb.3777:
	s_cmp_gt_i32 s0, 3
	s_cbranch_scc0 .LBB62_3781
; %bb.3778:
	s_wait_loadcnt 0x0
	global_load_b64 v[10:11], v[12:13], off
	s_mov_b32 s1, 0
	s_branch .LBB62_3782
.LBB62_3779:
	s_mov_b32 s1, -1
                                        ; implicit-def: $vgpr10_vgpr11
	s_branch .LBB62_3788
.LBB62_3780:
	s_mov_b32 s1, -1
                                        ; implicit-def: $vgpr10_vgpr11
	s_branch .LBB62_3785
.LBB62_3781:
	s_mov_b32 s1, -1
                                        ; implicit-def: $vgpr10_vgpr11
.LBB62_3782:
	s_delay_alu instid0(SALU_CYCLE_1)
	s_and_not1_b32 vcc_lo, exec_lo, s1
	s_cbranch_vccnz .LBB62_3784
; %bb.3783:
	s_wait_loadcnt 0x0
	global_load_b32 v10, v[12:13], off
	s_wait_loadcnt 0x0
	v_ashrrev_i32_e32 v11, 31, v10
.LBB62_3784:
	s_mov_b32 s1, 0
.LBB62_3785:
	s_delay_alu instid0(SALU_CYCLE_1)
	s_and_not1_b32 vcc_lo, exec_lo, s1
	s_cbranch_vccnz .LBB62_3787
; %bb.3786:
	global_load_u16 v1, v[12:13], off
	s_wait_loadcnt 0x0
	v_bfe_i32 v10, v1, 0, 16
	s_delay_alu instid0(VALU_DEP_1)
	v_ashrrev_i32_e32 v11, 31, v10
.LBB62_3787:
	s_mov_b32 s1, 0
.LBB62_3788:
	s_delay_alu instid0(SALU_CYCLE_1)
	s_and_not1_b32 vcc_lo, exec_lo, s1
	s_cbranch_vccnz .LBB62_3794
; %bb.3789:
	s_cmp_gt_i32 s0, 0
	s_mov_b32 s0, 0
	s_cbranch_scc0 .LBB62_3791
; %bb.3790:
	global_load_i8 v1, v[12:13], off
	s_wait_loadcnt 0x0
	v_bfe_i32 v10, v1, 0, 16
	s_delay_alu instid0(VALU_DEP_1)
	v_ashrrev_i32_e32 v11, 31, v10
	s_branch .LBB62_3792
.LBB62_3791:
	s_mov_b32 s0, -1
                                        ; implicit-def: $vgpr10_vgpr11
.LBB62_3792:
	s_delay_alu instid0(SALU_CYCLE_1)
	s_and_not1_b32 vcc_lo, exec_lo, s0
	s_cbranch_vccnz .LBB62_3794
; %bb.3793:
	global_load_u8 v1, v[12:13], off
	s_mov_b32 s0, 0
	s_wait_loadcnt 0x1
	v_mov_b32_e32 v11, s0
	s_wait_loadcnt 0x0
	v_and_b32_e32 v10, 0xffff, v1
.LBB62_3794:
	s_mov_b32 s30, -1
.LBB62_3795:
	s_delay_alu instid0(SALU_CYCLE_1)
	s_and_not1_b32 vcc_lo, exec_lo, s30
	s_cbranch_vccnz .LBB62_4318
; %bb.3796:
	s_lshl_b32 s70, s18, 7
	s_cmp_lt_i32 s58, 11
	v_add_nc_u32_e32 v2, s70, v2
	s_delay_alu instid0(VALU_DEP_1) | instskip(NEXT) | instid1(VALU_DEP_1)
	v_ashrrev_i32_e32 v3, 31, v2
	v_add_nc_u64_e32 v[14:15], s[8:9], v[2:3]
	s_cbranch_scc1 .LBB62_3803
; %bb.3797:
	s_and_b32 s0, 0xffff, s58
	s_mov_b32 s18, 0
	s_cmp_gt_i32 s0, 25
	s_cbranch_scc0 .LBB62_3804
; %bb.3798:
	s_cmp_gt_i32 s0, 28
	s_cbranch_scc0 .LBB62_3805
; %bb.3799:
	;; [unrolled: 3-line block ×4, first 2 shown]
	s_cmp_eq_u32 s0, 46
	s_mov_b32 s30, 0
	s_cbranch_scc0 .LBB62_3810
; %bb.3802:
	global_load_b32 v1, v[14:15], off
	s_mov_b32 s1, 0
	s_mov_b32 s29, -1
	s_wait_loadcnt 0x0
	v_lshlrev_b32_e32 v1, 16, v1
	s_delay_alu instid0(VALU_DEP_1) | instskip(NEXT) | instid1(VALU_DEP_1)
	v_trunc_f32_e32 v1, v1
	v_mul_f32_e64 v3, 0x2f800000, |v1|
	s_wait_xcnt 0x1
	v_ashrrev_i32_e32 v12, 31, v1
	s_delay_alu instid0(VALU_DEP_2) | instskip(NEXT) | instid1(VALU_DEP_2)
	v_floor_f32_e32 v3, v3
	v_mov_b32_e32 v13, v12
	s_delay_alu instid0(VALU_DEP_2) | instskip(SKIP_1) | instid1(VALU_DEP_2)
	v_fma_f32 v5, 0xcf800000, v3, |v1|
	v_cvt_u32_f32_e32 v1, v3
	v_cvt_u32_f32_e32 v3, v5
	s_delay_alu instid0(VALU_DEP_2) | instskip(NEXT) | instid1(VALU_DEP_2)
	v_xor_b32_e32 v17, v1, v12
	v_xor_b32_e32 v16, v3, v12
	s_delay_alu instid0(VALU_DEP_1)
	v_sub_nc_u64_e32 v[12:13], v[16:17], v[12:13]
	s_branch .LBB62_3812
.LBB62_3803:
	s_mov_b32 s0, -1
	s_mov_b32 s29, 0
                                        ; implicit-def: $vgpr12_vgpr13
	s_branch .LBB62_3874
.LBB62_3804:
	s_mov_b32 s30, -1
	s_mov_b32 s29, 0
	s_mov_b32 s1, 0
                                        ; implicit-def: $vgpr12_vgpr13
	s_branch .LBB62_3839
.LBB62_3805:
	s_mov_b32 s30, -1
	s_mov_b32 s29, 0
	s_mov_b32 s1, 0
                                        ; implicit-def: $vgpr12_vgpr13
	s_branch .LBB62_3822
.LBB62_3806:
	s_mov_b32 s30, -1
	s_mov_b32 s29, 0
	s_mov_b32 s1, 0
                                        ; implicit-def: $vgpr12_vgpr13
	s_branch .LBB62_3817
.LBB62_3807:
	s_or_b32 s17, s48, exec_lo
	s_trap 2
	s_cbranch_execz .LBB62_3744
	s_branch .LBB62_3745
.LBB62_3808:
	s_mov_b32 s30, -1
	s_mov_b32 s29, 0
	s_mov_b32 s1, 0
	s_branch .LBB62_3811
.LBB62_3809:
	s_or_b32 s43, s43, exec_lo
	s_trap 2
                                        ; implicit-def: $vgpr0
                                        ; implicit-def: $vgpr2
                                        ; implicit-def: $vgpr12_vgpr13
                                        ; implicit-def: $vgpr4
                                        ; implicit-def: $vgpr14_vgpr15
                                        ; implicit-def: $vgpr6
                                        ; implicit-def: $vgpr16_vgpr17
                                        ; implicit-def: $vgpr8
                                        ; implicit-def: $vgpr20_vgpr21
                                        ; implicit-def: $vgpr22
	s_branch .LBB62_3427
.LBB62_3810:
	s_mov_b32 s1, -1
	s_mov_b32 s29, 0
.LBB62_3811:
                                        ; implicit-def: $vgpr12_vgpr13
.LBB62_3812:
	s_and_b32 vcc_lo, exec_lo, s30
	s_cbranch_vccz .LBB62_3816
; %bb.3813:
	s_cmp_eq_u32 s0, 44
	s_cbranch_scc0 .LBB62_3815
; %bb.3814:
	global_load_u8 v1, v[14:15], off
	s_mov_b32 s1, 0
	s_mov_b32 s29, -1
	s_wait_loadcnt 0x0
	v_lshlrev_b32_e32 v3, 23, v1
	v_cmp_ne_u32_e32 vcc_lo, 0, v1
	s_delay_alu instid0(VALU_DEP_2) | instskip(NEXT) | instid1(VALU_DEP_1)
	v_trunc_f32_e32 v3, v3
	v_mul_f32_e64 v5, 0x2f800000, |v3|
	s_wait_xcnt 0x1
	v_ashrrev_i32_e32 v12, 31, v3
	s_delay_alu instid0(VALU_DEP_2) | instskip(NEXT) | instid1(VALU_DEP_2)
	v_floor_f32_e32 v5, v5
	v_mov_b32_e32 v13, v12
	s_delay_alu instid0(VALU_DEP_2) | instskip(SKIP_1) | instid1(VALU_DEP_2)
	v_fma_f32 v7, 0xcf800000, v5, |v3|
	v_cvt_u32_f32_e32 v3, v5
	v_cvt_u32_f32_e32 v5, v7
	s_delay_alu instid0(VALU_DEP_2) | instskip(NEXT) | instid1(VALU_DEP_2)
	v_xor_b32_e32 v17, v3, v12
	v_xor_b32_e32 v16, v5, v12
	s_delay_alu instid0(VALU_DEP_1) | instskip(NEXT) | instid1(VALU_DEP_1)
	v_sub_nc_u64_e32 v[12:13], v[16:17], v[12:13]
	v_dual_cndmask_b32 v13, 0, v13 :: v_dual_cndmask_b32 v12, 0, v12
	s_branch .LBB62_3816
.LBB62_3815:
	s_mov_b32 s1, -1
                                        ; implicit-def: $vgpr12_vgpr13
.LBB62_3816:
	s_mov_b32 s30, 0
.LBB62_3817:
	s_delay_alu instid0(SALU_CYCLE_1)
	s_and_b32 vcc_lo, exec_lo, s30
	s_cbranch_vccz .LBB62_3821
; %bb.3818:
	s_cmp_eq_u32 s0, 29
	s_cbranch_scc0 .LBB62_3820
; %bb.3819:
	global_load_b64 v[12:13], v[14:15], off
	s_mov_b32 s1, 0
	s_mov_b32 s29, -1
	s_branch .LBB62_3821
.LBB62_3820:
	s_mov_b32 s1, -1
                                        ; implicit-def: $vgpr12_vgpr13
.LBB62_3821:
	s_mov_b32 s30, 0
.LBB62_3822:
	s_delay_alu instid0(SALU_CYCLE_1)
	s_and_b32 vcc_lo, exec_lo, s30
	s_cbranch_vccz .LBB62_3838
; %bb.3823:
	s_cmp_lt_i32 s0, 27
	s_cbranch_scc1 .LBB62_3826
; %bb.3824:
	s_cmp_gt_i32 s0, 27
	s_cbranch_scc0 .LBB62_3827
; %bb.3825:
	s_wait_loadcnt 0x0
	global_load_b32 v12, v[14:15], off
	v_mov_b32_e32 v13, 0
	s_mov_b32 s29, 0
	s_branch .LBB62_3828
.LBB62_3826:
	s_mov_b32 s29, -1
                                        ; implicit-def: $vgpr12_vgpr13
	s_branch .LBB62_3831
.LBB62_3827:
	s_mov_b32 s29, -1
                                        ; implicit-def: $vgpr12_vgpr13
.LBB62_3828:
	s_delay_alu instid0(SALU_CYCLE_1)
	s_and_not1_b32 vcc_lo, exec_lo, s29
	s_cbranch_vccnz .LBB62_3830
; %bb.3829:
	global_load_u16 v1, v[14:15], off
	s_mov_b32 s29, 0
	s_wait_loadcnt 0x1
	s_wait_xcnt 0x1
	v_mov_b32_e32 v13, s29
	s_wait_loadcnt 0x0
	v_and_b32_e32 v12, 0xffff, v1
.LBB62_3830:
	s_mov_b32 s29, 0
.LBB62_3831:
	s_delay_alu instid0(SALU_CYCLE_1)
	s_and_not1_b32 vcc_lo, exec_lo, s29
	s_cbranch_vccnz .LBB62_3837
; %bb.3832:
	global_load_u8 v1, v[14:15], off
	s_mov_b32 s30, 0
	s_mov_b32 s29, exec_lo
	s_wait_loadcnt 0x0
	v_cmpx_lt_i16_e32 0x7f, v1
	s_xor_b32 s29, exec_lo, s29
	s_cbranch_execz .LBB62_3849
; %bb.3833:
	v_cmp_ne_u16_e32 vcc_lo, 0x80, v1
	s_and_b32 s30, vcc_lo, exec_lo
	s_and_not1_saveexec_b32 s29, s29
	s_cbranch_execnz .LBB62_3850
.LBB62_3834:
	s_or_b32 exec_lo, exec_lo, s29
	v_mov_b64_e32 v[12:13], 0
	s_and_saveexec_b32 s29, s30
	s_cbranch_execz .LBB62_3836
.LBB62_3835:
	v_and_b32_e32 v3, 0xffff, v1
	s_delay_alu instid0(VALU_DEP_1) | instskip(SKIP_1) | instid1(VALU_DEP_2)
	v_dual_lshlrev_b32 v1, 24, v1 :: v_dual_bitop2_b32 v5, 7, v3 bitop3:0x40
	v_bfe_u32 v12, v3, 3, 4
	v_and_b32_e32 v1, 0x80000000, v1
	s_delay_alu instid0(VALU_DEP_3) | instskip(NEXT) | instid1(VALU_DEP_3)
	v_clz_i32_u32_e32 v7, v5
	v_cmp_eq_u32_e32 vcc_lo, 0, v12
	s_delay_alu instid0(VALU_DEP_2) | instskip(NEXT) | instid1(VALU_DEP_1)
	v_min_u32_e32 v7, 32, v7
	v_subrev_nc_u32_e32 v9, 28, v7
	v_sub_nc_u32_e32 v7, 29, v7
	s_delay_alu instid0(VALU_DEP_2) | instskip(NEXT) | instid1(VALU_DEP_2)
	v_lshlrev_b32_e32 v3, v9, v3
	v_cndmask_b32_e32 v7, v12, v7, vcc_lo
	s_delay_alu instid0(VALU_DEP_2) | instskip(NEXT) | instid1(VALU_DEP_1)
	v_and_b32_e32 v3, 7, v3
	v_cndmask_b32_e32 v3, v5, v3, vcc_lo
	s_delay_alu instid0(VALU_DEP_3) | instskip(NEXT) | instid1(VALU_DEP_2)
	v_lshl_add_u32 v5, v7, 23, 0x3b800000
	v_lshlrev_b32_e32 v3, 20, v3
	s_delay_alu instid0(VALU_DEP_1) | instskip(NEXT) | instid1(VALU_DEP_1)
	v_or3_b32 v1, v1, v5, v3
	v_trunc_f32_e32 v1, v1
	s_delay_alu instid0(VALU_DEP_1) | instskip(SKIP_1) | instid1(VALU_DEP_2)
	v_mul_f32_e64 v3, 0x2f800000, |v1|
	v_ashrrev_i32_e32 v12, 31, v1
	v_floor_f32_e32 v3, v3
	s_delay_alu instid0(VALU_DEP_2) | instskip(NEXT) | instid1(VALU_DEP_2)
	v_mov_b32_e32 v13, v12
	v_fma_f32 v5, 0xcf800000, v3, |v1|
	v_cvt_u32_f32_e32 v1, v3
	s_delay_alu instid0(VALU_DEP_2) | instskip(NEXT) | instid1(VALU_DEP_2)
	v_cvt_u32_f32_e32 v3, v5
	v_xor_b32_e32 v17, v1, v12
	s_delay_alu instid0(VALU_DEP_2) | instskip(NEXT) | instid1(VALU_DEP_1)
	v_xor_b32_e32 v16, v3, v12
	v_sub_nc_u64_e32 v[12:13], v[16:17], v[12:13]
.LBB62_3836:
	s_or_b32 exec_lo, exec_lo, s29
.LBB62_3837:
	s_mov_b32 s29, -1
.LBB62_3838:
	s_mov_b32 s30, 0
.LBB62_3839:
	s_delay_alu instid0(SALU_CYCLE_1)
	s_and_b32 vcc_lo, exec_lo, s30
	s_cbranch_vccz .LBB62_3870
; %bb.3840:
	s_cmp_gt_i32 s0, 22
	s_cbranch_scc0 .LBB62_3848
; %bb.3841:
	s_cmp_lt_i32 s0, 24
	s_cbranch_scc1 .LBB62_3851
; %bb.3842:
	s_cmp_gt_i32 s0, 24
	s_cbranch_scc0 .LBB62_3852
; %bb.3843:
	global_load_u8 v1, v[14:15], off
	s_mov_b32 s29, 0
	s_mov_b32 s18, exec_lo
	s_wait_loadcnt 0x0
	v_cmpx_lt_i16_e32 0x7f, v1
	s_xor_b32 s18, exec_lo, s18
	s_cbranch_execz .LBB62_3864
; %bb.3844:
	v_cmp_ne_u16_e32 vcc_lo, 0x80, v1
	s_and_b32 s29, vcc_lo, exec_lo
	s_and_not1_saveexec_b32 s18, s18
	s_cbranch_execnz .LBB62_3865
.LBB62_3845:
	s_or_b32 exec_lo, exec_lo, s18
	v_mov_b64_e32 v[12:13], 0
	s_and_saveexec_b32 s18, s29
	s_cbranch_execz .LBB62_3847
.LBB62_3846:
	v_and_b32_e32 v3, 0xffff, v1
	s_delay_alu instid0(VALU_DEP_1) | instskip(SKIP_1) | instid1(VALU_DEP_2)
	v_dual_lshlrev_b32 v1, 24, v1 :: v_dual_bitop2_b32 v5, 3, v3 bitop3:0x40
	v_bfe_u32 v12, v3, 2, 5
	v_and_b32_e32 v1, 0x80000000, v1
	s_delay_alu instid0(VALU_DEP_3) | instskip(NEXT) | instid1(VALU_DEP_3)
	v_clz_i32_u32_e32 v7, v5
	v_cmp_eq_u32_e32 vcc_lo, 0, v12
	s_delay_alu instid0(VALU_DEP_2) | instskip(NEXT) | instid1(VALU_DEP_1)
	v_min_u32_e32 v7, 32, v7
	v_subrev_nc_u32_e32 v9, 29, v7
	v_sub_nc_u32_e32 v7, 30, v7
	s_delay_alu instid0(VALU_DEP_2) | instskip(NEXT) | instid1(VALU_DEP_2)
	v_lshlrev_b32_e32 v3, v9, v3
	v_cndmask_b32_e32 v7, v12, v7, vcc_lo
	s_delay_alu instid0(VALU_DEP_2) | instskip(NEXT) | instid1(VALU_DEP_1)
	v_and_b32_e32 v3, 3, v3
	v_cndmask_b32_e32 v3, v5, v3, vcc_lo
	s_delay_alu instid0(VALU_DEP_3) | instskip(NEXT) | instid1(VALU_DEP_2)
	v_lshl_add_u32 v5, v7, 23, 0x37800000
	v_lshlrev_b32_e32 v3, 21, v3
	s_delay_alu instid0(VALU_DEP_1) | instskip(NEXT) | instid1(VALU_DEP_1)
	v_or3_b32 v1, v1, v5, v3
	v_trunc_f32_e32 v1, v1
	s_delay_alu instid0(VALU_DEP_1) | instskip(SKIP_1) | instid1(VALU_DEP_2)
	v_mul_f32_e64 v3, 0x2f800000, |v1|
	v_ashrrev_i32_e32 v12, 31, v1
	v_floor_f32_e32 v3, v3
	s_delay_alu instid0(VALU_DEP_2) | instskip(NEXT) | instid1(VALU_DEP_2)
	v_mov_b32_e32 v13, v12
	v_fma_f32 v5, 0xcf800000, v3, |v1|
	v_cvt_u32_f32_e32 v1, v3
	s_delay_alu instid0(VALU_DEP_2) | instskip(NEXT) | instid1(VALU_DEP_2)
	v_cvt_u32_f32_e32 v3, v5
	v_xor_b32_e32 v17, v1, v12
	s_delay_alu instid0(VALU_DEP_2) | instskip(NEXT) | instid1(VALU_DEP_1)
	v_xor_b32_e32 v16, v3, v12
	v_sub_nc_u64_e32 v[12:13], v[16:17], v[12:13]
.LBB62_3847:
	s_or_b32 exec_lo, exec_lo, s18
	s_mov_b32 s18, 0
	s_branch .LBB62_3853
.LBB62_3848:
	s_mov_b32 s18, -1
                                        ; implicit-def: $vgpr12_vgpr13
	s_branch .LBB62_3859
.LBB62_3849:
	s_and_not1_saveexec_b32 s29, s29
	s_cbranch_execz .LBB62_3834
.LBB62_3850:
	v_cmp_ne_u16_e32 vcc_lo, 0, v1
	s_and_not1_b32 s30, s30, exec_lo
	s_and_b32 s31, vcc_lo, exec_lo
	s_delay_alu instid0(SALU_CYCLE_1)
	s_or_b32 s30, s30, s31
	s_or_b32 exec_lo, exec_lo, s29
	v_mov_b64_e32 v[12:13], 0
	s_and_saveexec_b32 s29, s30
	s_cbranch_execnz .LBB62_3835
	s_branch .LBB62_3836
.LBB62_3851:
	s_mov_b32 s18, -1
                                        ; implicit-def: $vgpr12_vgpr13
	s_branch .LBB62_3856
.LBB62_3852:
	s_mov_b32 s18, -1
                                        ; implicit-def: $vgpr12_vgpr13
.LBB62_3853:
	s_delay_alu instid0(SALU_CYCLE_1)
	s_and_b32 vcc_lo, exec_lo, s18
	s_cbranch_vccz .LBB62_3855
; %bb.3854:
	global_load_u8 v1, v[14:15], off
	s_wait_loadcnt 0x0
	v_lshlrev_b32_e32 v1, 24, v1
	s_delay_alu instid0(VALU_DEP_1) | instskip(NEXT) | instid1(VALU_DEP_1)
	v_and_b32_e32 v3, 0x7f000000, v1
	v_clz_i32_u32_e32 v5, v3
	v_add_nc_u32_e32 v9, 0x1000000, v3
	v_cmp_ne_u32_e32 vcc_lo, 0, v3
	s_delay_alu instid0(VALU_DEP_3) | instskip(NEXT) | instid1(VALU_DEP_1)
	v_min_u32_e32 v5, 32, v5
	v_sub_nc_u32_e64 v5, v5, 4 clamp
	s_delay_alu instid0(VALU_DEP_1) | instskip(NEXT) | instid1(VALU_DEP_1)
	v_dual_lshlrev_b32 v7, v5, v3 :: v_dual_lshlrev_b32 v5, 23, v5
	v_lshrrev_b32_e32 v7, 4, v7
	s_delay_alu instid0(VALU_DEP_1) | instskip(SKIP_1) | instid1(VALU_DEP_2)
	v_sub_nc_u32_e32 v5, v7, v5
	v_ashrrev_i32_e32 v7, 8, v9
	v_add_nc_u32_e32 v5, 0x3c000000, v5
	s_delay_alu instid0(VALU_DEP_1) | instskip(NEXT) | instid1(VALU_DEP_1)
	v_and_or_b32 v5, 0x7f800000, v7, v5
	v_cndmask_b32_e32 v3, 0, v5, vcc_lo
	s_delay_alu instid0(VALU_DEP_1) | instskip(NEXT) | instid1(VALU_DEP_1)
	v_and_or_b32 v1, 0x80000000, v1, v3
	v_trunc_f32_e32 v1, v1
	s_delay_alu instid0(VALU_DEP_1) | instskip(SKIP_2) | instid1(VALU_DEP_2)
	v_mul_f32_e64 v3, 0x2f800000, |v1|
	s_wait_xcnt 0x1
	v_ashrrev_i32_e32 v12, 31, v1
	v_floor_f32_e32 v3, v3
	s_delay_alu instid0(VALU_DEP_2) | instskip(NEXT) | instid1(VALU_DEP_2)
	v_mov_b32_e32 v13, v12
	v_fma_f32 v5, 0xcf800000, v3, |v1|
	v_cvt_u32_f32_e32 v1, v3
	s_delay_alu instid0(VALU_DEP_2) | instskip(NEXT) | instid1(VALU_DEP_2)
	v_cvt_u32_f32_e32 v3, v5
	v_xor_b32_e32 v17, v1, v12
	s_delay_alu instid0(VALU_DEP_2) | instskip(NEXT) | instid1(VALU_DEP_1)
	v_xor_b32_e32 v16, v3, v12
	v_sub_nc_u64_e32 v[12:13], v[16:17], v[12:13]
.LBB62_3855:
	s_mov_b32 s18, 0
.LBB62_3856:
	s_delay_alu instid0(SALU_CYCLE_1)
	s_and_not1_b32 vcc_lo, exec_lo, s18
	s_cbranch_vccnz .LBB62_3858
; %bb.3857:
	global_load_u8 v1, v[14:15], off
	s_wait_loadcnt 0x0
	v_lshlrev_b32_e32 v3, 25, v1
	v_lshlrev_b16 v1, 8, v1
	s_delay_alu instid0(VALU_DEP_1) | instskip(SKIP_1) | instid1(VALU_DEP_2)
	v_and_or_b32 v7, 0x7f00, v1, 0.5
	v_bfe_i32 v1, v1, 0, 16
	v_add_f32_e32 v7, -0.5, v7
	v_lshrrev_b32_e32 v5, 4, v3
	v_cmp_gt_u32_e32 vcc_lo, 0x8000000, v3
	s_delay_alu instid0(VALU_DEP_2) | instskip(NEXT) | instid1(VALU_DEP_1)
	v_or_b32_e32 v5, 0x70000000, v5
	v_mul_f32_e32 v5, 0x7800000, v5
	s_delay_alu instid0(VALU_DEP_1) | instskip(NEXT) | instid1(VALU_DEP_1)
	v_cndmask_b32_e32 v3, v5, v7, vcc_lo
	v_and_or_b32 v1, 0x80000000, v1, v3
	s_delay_alu instid0(VALU_DEP_1) | instskip(NEXT) | instid1(VALU_DEP_1)
	v_trunc_f32_e32 v1, v1
	v_mul_f32_e64 v3, 0x2f800000, |v1|
	s_wait_xcnt 0x1
	v_ashrrev_i32_e32 v12, 31, v1
	s_delay_alu instid0(VALU_DEP_2) | instskip(NEXT) | instid1(VALU_DEP_2)
	v_floor_f32_e32 v3, v3
	v_mov_b32_e32 v13, v12
	s_delay_alu instid0(VALU_DEP_2) | instskip(SKIP_1) | instid1(VALU_DEP_2)
	v_fma_f32 v5, 0xcf800000, v3, |v1|
	v_cvt_u32_f32_e32 v1, v3
	v_cvt_u32_f32_e32 v3, v5
	s_delay_alu instid0(VALU_DEP_2) | instskip(NEXT) | instid1(VALU_DEP_2)
	v_xor_b32_e32 v17, v1, v12
	v_xor_b32_e32 v16, v3, v12
	s_delay_alu instid0(VALU_DEP_1)
	v_sub_nc_u64_e32 v[12:13], v[16:17], v[12:13]
.LBB62_3858:
	s_mov_b32 s18, 0
	s_mov_b32 s29, -1
.LBB62_3859:
	s_and_not1_b32 vcc_lo, exec_lo, s18
	s_mov_b32 s18, 0
	s_cbranch_vccnz .LBB62_3870
; %bb.3860:
	s_cmp_gt_i32 s0, 14
	s_cbranch_scc0 .LBB62_3863
; %bb.3861:
	s_cmp_eq_u32 s0, 15
	s_cbranch_scc0 .LBB62_3866
; %bb.3862:
	global_load_u16 v1, v[14:15], off
	s_mov_b32 s1, 0
	s_mov_b32 s29, -1
	s_wait_loadcnt 0x0
	v_lshlrev_b32_e32 v1, 16, v1
	s_delay_alu instid0(VALU_DEP_1) | instskip(NEXT) | instid1(VALU_DEP_1)
	v_trunc_f32_e32 v1, v1
	v_mul_f32_e64 v3, 0x2f800000, |v1|
	s_wait_xcnt 0x1
	v_ashrrev_i32_e32 v12, 31, v1
	s_delay_alu instid0(VALU_DEP_2) | instskip(NEXT) | instid1(VALU_DEP_2)
	v_floor_f32_e32 v3, v3
	v_mov_b32_e32 v13, v12
	s_delay_alu instid0(VALU_DEP_2) | instskip(SKIP_1) | instid1(VALU_DEP_2)
	v_fma_f32 v5, 0xcf800000, v3, |v1|
	v_cvt_u32_f32_e32 v1, v3
	v_cvt_u32_f32_e32 v3, v5
	s_delay_alu instid0(VALU_DEP_2) | instskip(NEXT) | instid1(VALU_DEP_2)
	v_xor_b32_e32 v17, v1, v12
	v_xor_b32_e32 v16, v3, v12
	s_delay_alu instid0(VALU_DEP_1)
	v_sub_nc_u64_e32 v[12:13], v[16:17], v[12:13]
	s_branch .LBB62_3868
.LBB62_3863:
	s_mov_b32 s18, -1
	s_branch .LBB62_3867
.LBB62_3864:
	s_and_not1_saveexec_b32 s18, s18
	s_cbranch_execz .LBB62_3845
.LBB62_3865:
	v_cmp_ne_u16_e32 vcc_lo, 0, v1
	s_and_not1_b32 s29, s29, exec_lo
	s_and_b32 s30, vcc_lo, exec_lo
	s_delay_alu instid0(SALU_CYCLE_1)
	s_or_b32 s29, s29, s30
	s_or_b32 exec_lo, exec_lo, s18
	v_mov_b64_e32 v[12:13], 0
	s_and_saveexec_b32 s18, s29
	s_cbranch_execnz .LBB62_3846
	s_branch .LBB62_3847
.LBB62_3866:
	s_mov_b32 s1, -1
.LBB62_3867:
                                        ; implicit-def: $vgpr12_vgpr13
.LBB62_3868:
	s_and_b32 vcc_lo, exec_lo, s18
	s_mov_b32 s18, 0
	s_cbranch_vccz .LBB62_3870
; %bb.3869:
	s_cmp_lg_u32 s0, 11
	s_mov_b32 s18, -1
	s_cselect_b32 s1, -1, 0
.LBB62_3870:
	s_delay_alu instid0(SALU_CYCLE_1)
	s_and_b32 vcc_lo, exec_lo, s1
	s_cbranch_vccnz .LBB62_3935
; %bb.3871:
	s_and_not1_b32 vcc_lo, exec_lo, s18
	s_cbranch_vccnz .LBB62_3873
.LBB62_3872:
	global_load_u8 v1, v[14:15], off
	s_mov_b32 s0, 0
	s_mov_b32 s29, -1
	s_wait_loadcnt 0x1
	s_wait_xcnt 0x1
	v_mov_b32_e32 v13, s0
	s_wait_loadcnt 0x0
	v_cmp_ne_u16_e32 vcc_lo, 0, v1
	v_cndmask_b32_e64 v12, 0, 1, vcc_lo
.LBB62_3873:
	s_mov_b32 s0, 0
.LBB62_3874:
	s_delay_alu instid0(SALU_CYCLE_1)
	s_and_b32 vcc_lo, exec_lo, s0
	s_cbranch_vccz .LBB62_3923
; %bb.3875:
	s_and_b32 s0, 0xffff, s58
	s_delay_alu instid0(SALU_CYCLE_1)
	s_cmp_lt_i32 s0, 5
	s_cbranch_scc1 .LBB62_3880
; %bb.3876:
	s_cmp_lt_i32 s0, 8
	s_cbranch_scc1 .LBB62_3881
; %bb.3877:
	;; [unrolled: 3-line block ×3, first 2 shown]
	s_cmp_gt_i32 s0, 9
	s_cbranch_scc0 .LBB62_3883
; %bb.3879:
	s_wait_loadcnt 0x0
	global_load_b64 v[12:13], v[14:15], off
	s_mov_b32 s1, 0
	s_wait_loadcnt 0x0
	v_trunc_f64_e32 v[12:13], v[12:13]
	s_delay_alu instid0(VALU_DEP_1) | instskip(NEXT) | instid1(VALU_DEP_1)
	v_ldexp_f64 v[16:17], v[12:13], 0xffffffe0
	v_floor_f64_e32 v[16:17], v[16:17]
	s_delay_alu instid0(VALU_DEP_1) | instskip(SKIP_1) | instid1(VALU_DEP_2)
	v_fmamk_f64 v[18:19], v[16:17], 0xc1f00000, v[12:13]
	v_cvt_i32_f64_e32 v13, v[16:17]
	v_cvt_u32_f64_e32 v12, v[18:19]
	s_branch .LBB62_3884
.LBB62_3880:
	s_mov_b32 s1, -1
                                        ; implicit-def: $vgpr12_vgpr13
	s_branch .LBB62_3902
.LBB62_3881:
	s_mov_b32 s1, -1
                                        ; implicit-def: $vgpr12_vgpr13
	s_branch .LBB62_3890
.LBB62_3882:
	s_mov_b32 s1, -1
                                        ; implicit-def: $vgpr12_vgpr13
	s_branch .LBB62_3887
.LBB62_3883:
	s_mov_b32 s1, -1
                                        ; implicit-def: $vgpr12_vgpr13
.LBB62_3884:
	s_delay_alu instid0(SALU_CYCLE_1)
	s_and_not1_b32 vcc_lo, exec_lo, s1
	s_cbranch_vccnz .LBB62_3886
; %bb.3885:
	global_load_b32 v1, v[14:15], off
	s_wait_loadcnt 0x0
	v_trunc_f32_e32 v1, v1
	s_delay_alu instid0(VALU_DEP_1) | instskip(SKIP_2) | instid1(VALU_DEP_2)
	v_mul_f32_e64 v3, 0x2f800000, |v1|
	s_wait_xcnt 0x1
	v_ashrrev_i32_e32 v12, 31, v1
	v_floor_f32_e32 v3, v3
	s_delay_alu instid0(VALU_DEP_1) | instskip(SKIP_1) | instid1(VALU_DEP_4)
	v_fma_f32 v5, 0xcf800000, v3, |v1|
	v_cvt_u32_f32_e32 v1, v3
	v_mov_b32_e32 v13, v12
	s_delay_alu instid0(VALU_DEP_3) | instskip(NEXT) | instid1(VALU_DEP_3)
	v_cvt_u32_f32_e32 v3, v5
	v_xor_b32_e32 v17, v1, v12
	s_delay_alu instid0(VALU_DEP_2) | instskip(NEXT) | instid1(VALU_DEP_1)
	v_xor_b32_e32 v16, v3, v12
	v_sub_nc_u64_e32 v[12:13], v[16:17], v[12:13]
.LBB62_3886:
	s_mov_b32 s1, 0
.LBB62_3887:
	s_delay_alu instid0(SALU_CYCLE_1)
	s_and_not1_b32 vcc_lo, exec_lo, s1
	s_cbranch_vccnz .LBB62_3889
; %bb.3888:
	global_load_b32 v1, v[14:15], off
	s_wait_loadcnt 0x0
	v_cvt_f32_f16_e32 v1, v1
	s_wait_xcnt 0x1
	s_delay_alu instid0(VALU_DEP_1) | instskip(NEXT) | instid1(VALU_DEP_1)
	v_cvt_i32_f32_e32 v12, v1
	v_ashrrev_i32_e32 v13, 31, v12
.LBB62_3889:
	s_mov_b32 s1, 0
.LBB62_3890:
	s_delay_alu instid0(SALU_CYCLE_1)
	s_and_not1_b32 vcc_lo, exec_lo, s1
	s_cbranch_vccnz .LBB62_3901
; %bb.3891:
	s_cmp_lt_i32 s0, 6
	s_cbranch_scc1 .LBB62_3894
; %bb.3892:
	s_cmp_gt_i32 s0, 6
	s_cbranch_scc0 .LBB62_3895
; %bb.3893:
	s_wait_loadcnt 0x0
	global_load_b64 v[12:13], v[14:15], off
	s_mov_b32 s1, 0
	s_wait_loadcnt 0x0
	v_trunc_f64_e32 v[12:13], v[12:13]
	s_delay_alu instid0(VALU_DEP_1) | instskip(NEXT) | instid1(VALU_DEP_1)
	v_ldexp_f64 v[16:17], v[12:13], 0xffffffe0
	v_floor_f64_e32 v[16:17], v[16:17]
	s_delay_alu instid0(VALU_DEP_1) | instskip(SKIP_1) | instid1(VALU_DEP_2)
	v_fmamk_f64 v[18:19], v[16:17], 0xc1f00000, v[12:13]
	v_cvt_i32_f64_e32 v13, v[16:17]
	v_cvt_u32_f64_e32 v12, v[18:19]
	s_branch .LBB62_3896
.LBB62_3894:
	s_mov_b32 s1, -1
                                        ; implicit-def: $vgpr12_vgpr13
	s_branch .LBB62_3899
.LBB62_3895:
	s_mov_b32 s1, -1
                                        ; implicit-def: $vgpr12_vgpr13
.LBB62_3896:
	s_delay_alu instid0(SALU_CYCLE_1)
	s_and_not1_b32 vcc_lo, exec_lo, s1
	s_cbranch_vccnz .LBB62_3898
; %bb.3897:
	global_load_b32 v1, v[14:15], off
	s_wait_loadcnt 0x0
	v_trunc_f32_e32 v1, v1
	s_delay_alu instid0(VALU_DEP_1) | instskip(SKIP_2) | instid1(VALU_DEP_2)
	v_mul_f32_e64 v3, 0x2f800000, |v1|
	s_wait_xcnt 0x1
	v_ashrrev_i32_e32 v12, 31, v1
	v_floor_f32_e32 v3, v3
	s_delay_alu instid0(VALU_DEP_1) | instskip(SKIP_1) | instid1(VALU_DEP_4)
	v_fma_f32 v5, 0xcf800000, v3, |v1|
	v_cvt_u32_f32_e32 v1, v3
	v_mov_b32_e32 v13, v12
	s_delay_alu instid0(VALU_DEP_3) | instskip(NEXT) | instid1(VALU_DEP_3)
	v_cvt_u32_f32_e32 v3, v5
	v_xor_b32_e32 v17, v1, v12
	s_delay_alu instid0(VALU_DEP_2) | instskip(NEXT) | instid1(VALU_DEP_1)
	v_xor_b32_e32 v16, v3, v12
	v_sub_nc_u64_e32 v[12:13], v[16:17], v[12:13]
.LBB62_3898:
	s_mov_b32 s1, 0
.LBB62_3899:
	s_delay_alu instid0(SALU_CYCLE_1)
	s_and_not1_b32 vcc_lo, exec_lo, s1
	s_cbranch_vccnz .LBB62_3901
; %bb.3900:
	global_load_u16 v1, v[14:15], off
	s_wait_loadcnt 0x0
	v_cvt_f32_f16_e32 v1, v1
	s_wait_xcnt 0x1
	s_delay_alu instid0(VALU_DEP_1) | instskip(NEXT) | instid1(VALU_DEP_1)
	v_cvt_i32_f32_e32 v12, v1
	v_ashrrev_i32_e32 v13, 31, v12
.LBB62_3901:
	s_mov_b32 s1, 0
.LBB62_3902:
	s_delay_alu instid0(SALU_CYCLE_1)
	s_and_not1_b32 vcc_lo, exec_lo, s1
	s_cbranch_vccnz .LBB62_3922
; %bb.3903:
	s_cmp_lt_i32 s0, 2
	s_cbranch_scc1 .LBB62_3907
; %bb.3904:
	s_cmp_lt_i32 s0, 3
	s_cbranch_scc1 .LBB62_3908
; %bb.3905:
	s_cmp_gt_i32 s0, 3
	s_cbranch_scc0 .LBB62_3909
; %bb.3906:
	s_wait_loadcnt 0x0
	global_load_b64 v[12:13], v[14:15], off
	s_mov_b32 s1, 0
	s_branch .LBB62_3910
.LBB62_3907:
	s_mov_b32 s1, -1
                                        ; implicit-def: $vgpr12_vgpr13
	s_branch .LBB62_3916
.LBB62_3908:
	s_mov_b32 s1, -1
                                        ; implicit-def: $vgpr12_vgpr13
	s_branch .LBB62_3913
.LBB62_3909:
	s_mov_b32 s1, -1
                                        ; implicit-def: $vgpr12_vgpr13
.LBB62_3910:
	s_delay_alu instid0(SALU_CYCLE_1)
	s_and_not1_b32 vcc_lo, exec_lo, s1
	s_cbranch_vccnz .LBB62_3912
; %bb.3911:
	s_wait_loadcnt 0x0
	global_load_b32 v12, v[14:15], off
	s_wait_loadcnt 0x0
	v_ashrrev_i32_e32 v13, 31, v12
.LBB62_3912:
	s_mov_b32 s1, 0
.LBB62_3913:
	s_delay_alu instid0(SALU_CYCLE_1)
	s_and_not1_b32 vcc_lo, exec_lo, s1
	s_cbranch_vccnz .LBB62_3915
; %bb.3914:
	global_load_u16 v1, v[14:15], off
	s_wait_loadcnt 0x0
	s_wait_xcnt 0x1
	v_bfe_i32 v12, v1, 0, 16
	s_delay_alu instid0(VALU_DEP_1)
	v_ashrrev_i32_e32 v13, 31, v12
.LBB62_3915:
	s_mov_b32 s1, 0
.LBB62_3916:
	s_delay_alu instid0(SALU_CYCLE_1)
	s_and_not1_b32 vcc_lo, exec_lo, s1
	s_cbranch_vccnz .LBB62_3922
; %bb.3917:
	s_cmp_gt_i32 s0, 0
	s_mov_b32 s0, 0
	s_cbranch_scc0 .LBB62_3919
; %bb.3918:
	global_load_i8 v1, v[14:15], off
	s_wait_loadcnt 0x0
	s_wait_xcnt 0x1
	v_bfe_i32 v12, v1, 0, 16
	s_delay_alu instid0(VALU_DEP_1)
	v_ashrrev_i32_e32 v13, 31, v12
	s_branch .LBB62_3920
.LBB62_3919:
	s_mov_b32 s0, -1
                                        ; implicit-def: $vgpr12_vgpr13
.LBB62_3920:
	s_delay_alu instid0(SALU_CYCLE_1)
	s_and_not1_b32 vcc_lo, exec_lo, s0
	s_cbranch_vccnz .LBB62_3922
; %bb.3921:
	global_load_u8 v1, v[14:15], off
	s_mov_b32 s0, 0
	s_wait_loadcnt 0x1
	s_wait_xcnt 0x1
	v_mov_b32_e32 v13, s0
	s_wait_loadcnt 0x0
	v_and_b32_e32 v12, 0xffff, v1
.LBB62_3922:
	s_mov_b32 s29, -1
.LBB62_3923:
	s_delay_alu instid0(SALU_CYCLE_1)
	s_and_not1_b32 vcc_lo, exec_lo, s29
	s_cbranch_vccnz .LBB62_4318
; %bb.3924:
	s_lshl_b32 s71, s19, 7
	s_cmp_lt_i32 s59, 11
	v_add_nc_u32_e32 v4, s71, v4
	s_delay_alu instid0(VALU_DEP_1) | instskip(NEXT) | instid1(VALU_DEP_1)
	v_ashrrev_i32_e32 v5, 31, v4
	v_add_nc_u64_e32 v[16:17], s[10:11], v[4:5]
	s_cbranch_scc1 .LBB62_3931
; %bb.3925:
	s_and_b32 s0, 0xffff, s59
	s_mov_b32 s18, 0
	s_cmp_gt_i32 s0, 25
	s_cbranch_scc0 .LBB62_3932
; %bb.3926:
	s_cmp_gt_i32 s0, 28
	s_cbranch_scc0 .LBB62_3933
; %bb.3927:
	;; [unrolled: 3-line block ×4, first 2 shown]
	s_cmp_eq_u32 s0, 46
	s_mov_b32 s29, 0
	s_cbranch_scc0 .LBB62_3939
; %bb.3930:
	global_load_b32 v1, v[16:17], off
	s_mov_b32 s1, 0
	s_mov_b32 s19, -1
	s_wait_loadcnt 0x0
	v_lshlrev_b32_e32 v1, 16, v1
	s_delay_alu instid0(VALU_DEP_1) | instskip(NEXT) | instid1(VALU_DEP_1)
	v_trunc_f32_e32 v1, v1
	v_mul_f32_e64 v3, 0x2f800000, |v1|
	s_wait_xcnt 0x1
	v_ashrrev_i32_e32 v14, 31, v1
	s_delay_alu instid0(VALU_DEP_2) | instskip(NEXT) | instid1(VALU_DEP_2)
	v_floor_f32_e32 v3, v3
	v_mov_b32_e32 v15, v14
	s_delay_alu instid0(VALU_DEP_2) | instskip(SKIP_1) | instid1(VALU_DEP_2)
	v_fma_f32 v5, 0xcf800000, v3, |v1|
	v_cvt_u32_f32_e32 v1, v3
	v_cvt_u32_f32_e32 v3, v5
	s_delay_alu instid0(VALU_DEP_2) | instskip(NEXT) | instid1(VALU_DEP_2)
	v_xor_b32_e32 v19, v1, v14
	v_xor_b32_e32 v18, v3, v14
	s_delay_alu instid0(VALU_DEP_1)
	v_sub_nc_u64_e32 v[14:15], v[18:19], v[14:15]
	s_branch .LBB62_3941
.LBB62_3931:
	s_mov_b32 s0, -1
	s_mov_b32 s19, 0
                                        ; implicit-def: $vgpr14_vgpr15
	s_branch .LBB62_4003
.LBB62_3932:
	s_mov_b32 s29, -1
	s_mov_b32 s19, 0
	s_mov_b32 s1, 0
                                        ; implicit-def: $vgpr14_vgpr15
	s_branch .LBB62_3968
.LBB62_3933:
	s_mov_b32 s29, -1
	s_mov_b32 s19, 0
	s_mov_b32 s1, 0
                                        ; implicit-def: $vgpr14_vgpr15
	s_branch .LBB62_3951
.LBB62_3934:
	s_mov_b32 s29, -1
	s_mov_b32 s19, 0
	s_mov_b32 s1, 0
                                        ; implicit-def: $vgpr14_vgpr15
	s_branch .LBB62_3946
.LBB62_3935:
	s_or_b32 s17, s17, exec_lo
	s_trap 2
	s_cbranch_execz .LBB62_3872
	s_branch .LBB62_3873
.LBB62_3936:
	s_mov_b32 s29, -1
	s_mov_b32 s19, 0
	s_mov_b32 s1, 0
	s_branch .LBB62_3940
.LBB62_3937:
	s_or_b32 exec_lo, exec_lo, s61
	s_branch .LBB62_629
.LBB62_3938:
	s_or_b32 s33, s43, exec_lo
	s_trap 2
                                        ; implicit-def: $vgpr0
                                        ; implicit-def: $vgpr2
                                        ; implicit-def: $vgpr4
                                        ; implicit-def: $vgpr14_vgpr15
                                        ; implicit-def: $vgpr6
                                        ; implicit-def: $vgpr16_vgpr17
                                        ; implicit-def: $vgpr8
                                        ; implicit-def: $vgpr20_vgpr21
                                        ; implicit-def: $vgpr22
	s_or_saveexec_b32 s54, s0
	s_mov_b32 s1, 0
                                        ; implicit-def: $sgpr0
                                        ; implicit-def: $vgpr10_vgpr11
	s_xor_b32 exec_lo, exec_lo, s54
	s_cbranch_execz .LBB62_4322
	s_branch .LBB62_3430
.LBB62_3939:
	s_mov_b32 s1, -1
	s_mov_b32 s19, 0
.LBB62_3940:
                                        ; implicit-def: $vgpr14_vgpr15
.LBB62_3941:
	s_and_b32 vcc_lo, exec_lo, s29
	s_cbranch_vccz .LBB62_3945
; %bb.3942:
	s_cmp_eq_u32 s0, 44
	s_cbranch_scc0 .LBB62_3944
; %bb.3943:
	global_load_u8 v1, v[16:17], off
	s_mov_b32 s1, 0
	s_mov_b32 s19, -1
	s_wait_loadcnt 0x0
	v_lshlrev_b32_e32 v3, 23, v1
	v_cmp_ne_u32_e32 vcc_lo, 0, v1
	s_delay_alu instid0(VALU_DEP_2) | instskip(NEXT) | instid1(VALU_DEP_1)
	v_trunc_f32_e32 v3, v3
	v_mul_f32_e64 v5, 0x2f800000, |v3|
	s_wait_xcnt 0x1
	v_ashrrev_i32_e32 v14, 31, v3
	s_delay_alu instid0(VALU_DEP_2) | instskip(NEXT) | instid1(VALU_DEP_2)
	v_floor_f32_e32 v5, v5
	v_mov_b32_e32 v15, v14
	s_delay_alu instid0(VALU_DEP_2) | instskip(SKIP_1) | instid1(VALU_DEP_2)
	v_fma_f32 v7, 0xcf800000, v5, |v3|
	v_cvt_u32_f32_e32 v3, v5
	v_cvt_u32_f32_e32 v5, v7
	s_delay_alu instid0(VALU_DEP_2) | instskip(NEXT) | instid1(VALU_DEP_2)
	v_xor_b32_e32 v19, v3, v14
	v_xor_b32_e32 v18, v5, v14
	s_delay_alu instid0(VALU_DEP_1) | instskip(NEXT) | instid1(VALU_DEP_1)
	v_sub_nc_u64_e32 v[14:15], v[18:19], v[14:15]
	v_dual_cndmask_b32 v15, 0, v15 :: v_dual_cndmask_b32 v14, 0, v14
	s_branch .LBB62_3945
.LBB62_3944:
	s_mov_b32 s1, -1
                                        ; implicit-def: $vgpr14_vgpr15
.LBB62_3945:
	s_mov_b32 s29, 0
.LBB62_3946:
	s_delay_alu instid0(SALU_CYCLE_1)
	s_and_b32 vcc_lo, exec_lo, s29
	s_cbranch_vccz .LBB62_3950
; %bb.3947:
	s_cmp_eq_u32 s0, 29
	s_cbranch_scc0 .LBB62_3949
; %bb.3948:
	global_load_b64 v[14:15], v[16:17], off
	s_mov_b32 s1, 0
	s_mov_b32 s19, -1
	s_branch .LBB62_3950
.LBB62_3949:
	s_mov_b32 s1, -1
                                        ; implicit-def: $vgpr14_vgpr15
.LBB62_3950:
	s_mov_b32 s29, 0
.LBB62_3951:
	s_delay_alu instid0(SALU_CYCLE_1)
	s_and_b32 vcc_lo, exec_lo, s29
	s_cbranch_vccz .LBB62_3967
; %bb.3952:
	s_cmp_lt_i32 s0, 27
	s_cbranch_scc1 .LBB62_3955
; %bb.3953:
	s_cmp_gt_i32 s0, 27
	s_cbranch_scc0 .LBB62_3956
; %bb.3954:
	s_wait_loadcnt 0x0
	global_load_b32 v14, v[16:17], off
	v_mov_b32_e32 v15, 0
	s_mov_b32 s19, 0
	s_branch .LBB62_3957
.LBB62_3955:
	s_mov_b32 s19, -1
                                        ; implicit-def: $vgpr14_vgpr15
	s_branch .LBB62_3960
.LBB62_3956:
	s_mov_b32 s19, -1
                                        ; implicit-def: $vgpr14_vgpr15
.LBB62_3957:
	s_delay_alu instid0(SALU_CYCLE_1)
	s_and_not1_b32 vcc_lo, exec_lo, s19
	s_cbranch_vccnz .LBB62_3959
; %bb.3958:
	global_load_u16 v1, v[16:17], off
	s_mov_b32 s19, 0
	s_wait_loadcnt 0x1
	s_wait_xcnt 0x1
	v_mov_b32_e32 v15, s19
	s_wait_loadcnt 0x0
	v_and_b32_e32 v14, 0xffff, v1
.LBB62_3959:
	s_mov_b32 s19, 0
.LBB62_3960:
	s_delay_alu instid0(SALU_CYCLE_1)
	s_and_not1_b32 vcc_lo, exec_lo, s19
	s_cbranch_vccnz .LBB62_3966
; %bb.3961:
	global_load_u8 v1, v[16:17], off
	s_mov_b32 s29, 0
	s_mov_b32 s19, exec_lo
	s_wait_loadcnt 0x0
	v_cmpx_lt_i16_e32 0x7f, v1
	s_xor_b32 s19, exec_lo, s19
	s_cbranch_execz .LBB62_3978
; %bb.3962:
	v_cmp_ne_u16_e32 vcc_lo, 0x80, v1
	s_and_b32 s29, vcc_lo, exec_lo
	s_and_not1_saveexec_b32 s19, s19
	s_cbranch_execnz .LBB62_3979
.LBB62_3963:
	s_or_b32 exec_lo, exec_lo, s19
	v_mov_b64_e32 v[14:15], 0
	s_and_saveexec_b32 s19, s29
	s_cbranch_execz .LBB62_3965
.LBB62_3964:
	v_and_b32_e32 v3, 0xffff, v1
	s_delay_alu instid0(VALU_DEP_1) | instskip(SKIP_1) | instid1(VALU_DEP_2)
	v_dual_lshlrev_b32 v1, 24, v1 :: v_dual_bitop2_b32 v5, 7, v3 bitop3:0x40
	v_bfe_u32 v14, v3, 3, 4
	v_and_b32_e32 v1, 0x80000000, v1
	s_delay_alu instid0(VALU_DEP_3) | instskip(NEXT) | instid1(VALU_DEP_3)
	v_clz_i32_u32_e32 v7, v5
	v_cmp_eq_u32_e32 vcc_lo, 0, v14
	s_delay_alu instid0(VALU_DEP_2) | instskip(NEXT) | instid1(VALU_DEP_1)
	v_min_u32_e32 v7, 32, v7
	v_subrev_nc_u32_e32 v9, 28, v7
	v_sub_nc_u32_e32 v7, 29, v7
	s_delay_alu instid0(VALU_DEP_2) | instskip(NEXT) | instid1(VALU_DEP_2)
	v_lshlrev_b32_e32 v3, v9, v3
	v_cndmask_b32_e32 v7, v14, v7, vcc_lo
	s_delay_alu instid0(VALU_DEP_2) | instskip(NEXT) | instid1(VALU_DEP_1)
	v_and_b32_e32 v3, 7, v3
	v_cndmask_b32_e32 v3, v5, v3, vcc_lo
	s_delay_alu instid0(VALU_DEP_3) | instskip(NEXT) | instid1(VALU_DEP_2)
	v_lshl_add_u32 v5, v7, 23, 0x3b800000
	v_lshlrev_b32_e32 v3, 20, v3
	s_delay_alu instid0(VALU_DEP_1) | instskip(NEXT) | instid1(VALU_DEP_1)
	v_or3_b32 v1, v1, v5, v3
	v_trunc_f32_e32 v1, v1
	s_delay_alu instid0(VALU_DEP_1) | instskip(SKIP_1) | instid1(VALU_DEP_2)
	v_mul_f32_e64 v3, 0x2f800000, |v1|
	v_ashrrev_i32_e32 v14, 31, v1
	v_floor_f32_e32 v3, v3
	s_delay_alu instid0(VALU_DEP_2) | instskip(NEXT) | instid1(VALU_DEP_2)
	v_mov_b32_e32 v15, v14
	v_fma_f32 v5, 0xcf800000, v3, |v1|
	v_cvt_u32_f32_e32 v1, v3
	s_delay_alu instid0(VALU_DEP_2) | instskip(NEXT) | instid1(VALU_DEP_2)
	v_cvt_u32_f32_e32 v3, v5
	v_xor_b32_e32 v19, v1, v14
	s_delay_alu instid0(VALU_DEP_2) | instskip(NEXT) | instid1(VALU_DEP_1)
	v_xor_b32_e32 v18, v3, v14
	v_sub_nc_u64_e32 v[14:15], v[18:19], v[14:15]
.LBB62_3965:
	s_or_b32 exec_lo, exec_lo, s19
.LBB62_3966:
	s_mov_b32 s19, -1
.LBB62_3967:
	s_mov_b32 s29, 0
.LBB62_3968:
	s_delay_alu instid0(SALU_CYCLE_1)
	s_and_b32 vcc_lo, exec_lo, s29
	s_cbranch_vccz .LBB62_3999
; %bb.3969:
	s_cmp_gt_i32 s0, 22
	s_cbranch_scc0 .LBB62_3977
; %bb.3970:
	s_cmp_lt_i32 s0, 24
	s_cbranch_scc1 .LBB62_3980
; %bb.3971:
	s_cmp_gt_i32 s0, 24
	s_cbranch_scc0 .LBB62_3981
; %bb.3972:
	global_load_u8 v1, v[16:17], off
	s_mov_b32 s19, 0
	s_mov_b32 s18, exec_lo
	s_wait_loadcnt 0x0
	v_cmpx_lt_i16_e32 0x7f, v1
	s_xor_b32 s18, exec_lo, s18
	s_cbranch_execz .LBB62_3993
; %bb.3973:
	v_cmp_ne_u16_e32 vcc_lo, 0x80, v1
	s_and_b32 s19, vcc_lo, exec_lo
	s_and_not1_saveexec_b32 s18, s18
	s_cbranch_execnz .LBB62_3994
.LBB62_3974:
	s_or_b32 exec_lo, exec_lo, s18
	v_mov_b64_e32 v[14:15], 0
	s_and_saveexec_b32 s18, s19
	s_cbranch_execz .LBB62_3976
.LBB62_3975:
	v_and_b32_e32 v3, 0xffff, v1
	s_delay_alu instid0(VALU_DEP_1) | instskip(SKIP_1) | instid1(VALU_DEP_2)
	v_dual_lshlrev_b32 v1, 24, v1 :: v_dual_bitop2_b32 v5, 3, v3 bitop3:0x40
	v_bfe_u32 v14, v3, 2, 5
	v_and_b32_e32 v1, 0x80000000, v1
	s_delay_alu instid0(VALU_DEP_3) | instskip(NEXT) | instid1(VALU_DEP_3)
	v_clz_i32_u32_e32 v7, v5
	v_cmp_eq_u32_e32 vcc_lo, 0, v14
	s_delay_alu instid0(VALU_DEP_2) | instskip(NEXT) | instid1(VALU_DEP_1)
	v_min_u32_e32 v7, 32, v7
	v_subrev_nc_u32_e32 v9, 29, v7
	v_sub_nc_u32_e32 v7, 30, v7
	s_delay_alu instid0(VALU_DEP_2) | instskip(NEXT) | instid1(VALU_DEP_2)
	v_lshlrev_b32_e32 v3, v9, v3
	v_cndmask_b32_e32 v7, v14, v7, vcc_lo
	s_delay_alu instid0(VALU_DEP_2) | instskip(NEXT) | instid1(VALU_DEP_1)
	v_and_b32_e32 v3, 3, v3
	v_cndmask_b32_e32 v3, v5, v3, vcc_lo
	s_delay_alu instid0(VALU_DEP_3) | instskip(NEXT) | instid1(VALU_DEP_2)
	v_lshl_add_u32 v5, v7, 23, 0x37800000
	v_lshlrev_b32_e32 v3, 21, v3
	s_delay_alu instid0(VALU_DEP_1) | instskip(NEXT) | instid1(VALU_DEP_1)
	v_or3_b32 v1, v1, v5, v3
	v_trunc_f32_e32 v1, v1
	s_delay_alu instid0(VALU_DEP_1) | instskip(SKIP_1) | instid1(VALU_DEP_2)
	v_mul_f32_e64 v3, 0x2f800000, |v1|
	v_ashrrev_i32_e32 v14, 31, v1
	v_floor_f32_e32 v3, v3
	s_delay_alu instid0(VALU_DEP_2) | instskip(NEXT) | instid1(VALU_DEP_2)
	v_mov_b32_e32 v15, v14
	v_fma_f32 v5, 0xcf800000, v3, |v1|
	v_cvt_u32_f32_e32 v1, v3
	s_delay_alu instid0(VALU_DEP_2) | instskip(NEXT) | instid1(VALU_DEP_2)
	v_cvt_u32_f32_e32 v3, v5
	v_xor_b32_e32 v19, v1, v14
	s_delay_alu instid0(VALU_DEP_2) | instskip(NEXT) | instid1(VALU_DEP_1)
	v_xor_b32_e32 v18, v3, v14
	v_sub_nc_u64_e32 v[14:15], v[18:19], v[14:15]
.LBB62_3976:
	s_or_b32 exec_lo, exec_lo, s18
	s_mov_b32 s18, 0
	s_branch .LBB62_3982
.LBB62_3977:
	s_mov_b32 s18, -1
                                        ; implicit-def: $vgpr14_vgpr15
	s_branch .LBB62_3988
.LBB62_3978:
	s_and_not1_saveexec_b32 s19, s19
	s_cbranch_execz .LBB62_3963
.LBB62_3979:
	v_cmp_ne_u16_e32 vcc_lo, 0, v1
	s_and_not1_b32 s29, s29, exec_lo
	s_and_b32 s30, vcc_lo, exec_lo
	s_delay_alu instid0(SALU_CYCLE_1)
	s_or_b32 s29, s29, s30
	s_or_b32 exec_lo, exec_lo, s19
	v_mov_b64_e32 v[14:15], 0
	s_and_saveexec_b32 s19, s29
	s_cbranch_execnz .LBB62_3964
	s_branch .LBB62_3965
.LBB62_3980:
	s_mov_b32 s18, -1
                                        ; implicit-def: $vgpr14_vgpr15
	s_branch .LBB62_3985
.LBB62_3981:
	s_mov_b32 s18, -1
                                        ; implicit-def: $vgpr14_vgpr15
.LBB62_3982:
	s_delay_alu instid0(SALU_CYCLE_1)
	s_and_b32 vcc_lo, exec_lo, s18
	s_cbranch_vccz .LBB62_3984
; %bb.3983:
	global_load_u8 v1, v[16:17], off
	s_wait_loadcnt 0x0
	v_lshlrev_b32_e32 v1, 24, v1
	s_delay_alu instid0(VALU_DEP_1) | instskip(NEXT) | instid1(VALU_DEP_1)
	v_and_b32_e32 v3, 0x7f000000, v1
	v_clz_i32_u32_e32 v5, v3
	v_add_nc_u32_e32 v9, 0x1000000, v3
	v_cmp_ne_u32_e32 vcc_lo, 0, v3
	s_delay_alu instid0(VALU_DEP_3) | instskip(NEXT) | instid1(VALU_DEP_1)
	v_min_u32_e32 v5, 32, v5
	v_sub_nc_u32_e64 v5, v5, 4 clamp
	s_delay_alu instid0(VALU_DEP_1) | instskip(NEXT) | instid1(VALU_DEP_1)
	v_dual_lshlrev_b32 v7, v5, v3 :: v_dual_lshlrev_b32 v5, 23, v5
	v_lshrrev_b32_e32 v7, 4, v7
	s_delay_alu instid0(VALU_DEP_1) | instskip(SKIP_1) | instid1(VALU_DEP_2)
	v_sub_nc_u32_e32 v5, v7, v5
	v_ashrrev_i32_e32 v7, 8, v9
	v_add_nc_u32_e32 v5, 0x3c000000, v5
	s_delay_alu instid0(VALU_DEP_1) | instskip(NEXT) | instid1(VALU_DEP_1)
	v_and_or_b32 v5, 0x7f800000, v7, v5
	v_cndmask_b32_e32 v3, 0, v5, vcc_lo
	s_delay_alu instid0(VALU_DEP_1) | instskip(NEXT) | instid1(VALU_DEP_1)
	v_and_or_b32 v1, 0x80000000, v1, v3
	v_trunc_f32_e32 v1, v1
	s_delay_alu instid0(VALU_DEP_1) | instskip(SKIP_2) | instid1(VALU_DEP_2)
	v_mul_f32_e64 v3, 0x2f800000, |v1|
	s_wait_xcnt 0x1
	v_ashrrev_i32_e32 v14, 31, v1
	v_floor_f32_e32 v3, v3
	s_delay_alu instid0(VALU_DEP_2) | instskip(NEXT) | instid1(VALU_DEP_2)
	v_mov_b32_e32 v15, v14
	v_fma_f32 v5, 0xcf800000, v3, |v1|
	v_cvt_u32_f32_e32 v1, v3
	s_delay_alu instid0(VALU_DEP_2) | instskip(NEXT) | instid1(VALU_DEP_2)
	v_cvt_u32_f32_e32 v3, v5
	v_xor_b32_e32 v19, v1, v14
	s_delay_alu instid0(VALU_DEP_2) | instskip(NEXT) | instid1(VALU_DEP_1)
	v_xor_b32_e32 v18, v3, v14
	v_sub_nc_u64_e32 v[14:15], v[18:19], v[14:15]
.LBB62_3984:
	s_mov_b32 s18, 0
.LBB62_3985:
	s_delay_alu instid0(SALU_CYCLE_1)
	s_and_not1_b32 vcc_lo, exec_lo, s18
	s_cbranch_vccnz .LBB62_3987
; %bb.3986:
	global_load_u8 v1, v[16:17], off
	s_wait_loadcnt 0x0
	v_lshlrev_b32_e32 v3, 25, v1
	v_lshlrev_b16 v1, 8, v1
	s_delay_alu instid0(VALU_DEP_1) | instskip(SKIP_1) | instid1(VALU_DEP_2)
	v_and_or_b32 v7, 0x7f00, v1, 0.5
	v_bfe_i32 v1, v1, 0, 16
	v_add_f32_e32 v7, -0.5, v7
	v_lshrrev_b32_e32 v5, 4, v3
	v_cmp_gt_u32_e32 vcc_lo, 0x8000000, v3
	s_delay_alu instid0(VALU_DEP_2) | instskip(NEXT) | instid1(VALU_DEP_1)
	v_or_b32_e32 v5, 0x70000000, v5
	v_mul_f32_e32 v5, 0x7800000, v5
	s_delay_alu instid0(VALU_DEP_1) | instskip(NEXT) | instid1(VALU_DEP_1)
	v_cndmask_b32_e32 v3, v5, v7, vcc_lo
	v_and_or_b32 v1, 0x80000000, v1, v3
	s_delay_alu instid0(VALU_DEP_1) | instskip(NEXT) | instid1(VALU_DEP_1)
	v_trunc_f32_e32 v1, v1
	v_mul_f32_e64 v3, 0x2f800000, |v1|
	s_wait_xcnt 0x1
	v_ashrrev_i32_e32 v14, 31, v1
	s_delay_alu instid0(VALU_DEP_2) | instskip(NEXT) | instid1(VALU_DEP_2)
	v_floor_f32_e32 v3, v3
	v_mov_b32_e32 v15, v14
	s_delay_alu instid0(VALU_DEP_2) | instskip(SKIP_1) | instid1(VALU_DEP_2)
	v_fma_f32 v5, 0xcf800000, v3, |v1|
	v_cvt_u32_f32_e32 v1, v3
	v_cvt_u32_f32_e32 v3, v5
	s_delay_alu instid0(VALU_DEP_2) | instskip(NEXT) | instid1(VALU_DEP_2)
	v_xor_b32_e32 v19, v1, v14
	v_xor_b32_e32 v18, v3, v14
	s_delay_alu instid0(VALU_DEP_1)
	v_sub_nc_u64_e32 v[14:15], v[18:19], v[14:15]
.LBB62_3987:
	s_mov_b32 s18, 0
	s_mov_b32 s19, -1
.LBB62_3988:
	s_and_not1_b32 vcc_lo, exec_lo, s18
	s_mov_b32 s18, 0
	s_cbranch_vccnz .LBB62_3999
; %bb.3989:
	s_cmp_gt_i32 s0, 14
	s_cbranch_scc0 .LBB62_3992
; %bb.3990:
	s_cmp_eq_u32 s0, 15
	s_cbranch_scc0 .LBB62_3995
; %bb.3991:
	global_load_u16 v1, v[16:17], off
	s_mov_b32 s1, 0
	s_mov_b32 s19, -1
	s_wait_loadcnt 0x0
	v_lshlrev_b32_e32 v1, 16, v1
	s_delay_alu instid0(VALU_DEP_1) | instskip(NEXT) | instid1(VALU_DEP_1)
	v_trunc_f32_e32 v1, v1
	v_mul_f32_e64 v3, 0x2f800000, |v1|
	s_wait_xcnt 0x1
	v_ashrrev_i32_e32 v14, 31, v1
	s_delay_alu instid0(VALU_DEP_2) | instskip(NEXT) | instid1(VALU_DEP_2)
	v_floor_f32_e32 v3, v3
	v_mov_b32_e32 v15, v14
	s_delay_alu instid0(VALU_DEP_2) | instskip(SKIP_1) | instid1(VALU_DEP_2)
	v_fma_f32 v5, 0xcf800000, v3, |v1|
	v_cvt_u32_f32_e32 v1, v3
	v_cvt_u32_f32_e32 v3, v5
	s_delay_alu instid0(VALU_DEP_2) | instskip(NEXT) | instid1(VALU_DEP_2)
	v_xor_b32_e32 v19, v1, v14
	v_xor_b32_e32 v18, v3, v14
	s_delay_alu instid0(VALU_DEP_1)
	v_sub_nc_u64_e32 v[14:15], v[18:19], v[14:15]
	s_branch .LBB62_3997
.LBB62_3992:
	s_mov_b32 s18, -1
	s_branch .LBB62_3996
.LBB62_3993:
	s_and_not1_saveexec_b32 s18, s18
	s_cbranch_execz .LBB62_3974
.LBB62_3994:
	v_cmp_ne_u16_e32 vcc_lo, 0, v1
	s_and_not1_b32 s19, s19, exec_lo
	s_and_b32 s29, vcc_lo, exec_lo
	s_delay_alu instid0(SALU_CYCLE_1)
	s_or_b32 s19, s19, s29
	s_or_b32 exec_lo, exec_lo, s18
	v_mov_b64_e32 v[14:15], 0
	s_and_saveexec_b32 s18, s19
	s_cbranch_execnz .LBB62_3975
	s_branch .LBB62_3976
.LBB62_3995:
	s_mov_b32 s1, -1
.LBB62_3996:
                                        ; implicit-def: $vgpr14_vgpr15
.LBB62_3997:
	s_and_b32 vcc_lo, exec_lo, s18
	s_mov_b32 s18, 0
	s_cbranch_vccz .LBB62_3999
; %bb.3998:
	s_cmp_lg_u32 s0, 11
	s_mov_b32 s18, -1
	s_cselect_b32 s1, -1, 0
.LBB62_3999:
	s_delay_alu instid0(SALU_CYCLE_1)
	s_and_b32 vcc_lo, exec_lo, s1
	s_cbranch_vccnz .LBB62_4064
; %bb.4000:
	s_and_not1_b32 vcc_lo, exec_lo, s18
	s_cbranch_vccnz .LBB62_4002
.LBB62_4001:
	global_load_u8 v1, v[16:17], off
	s_mov_b32 s0, 0
	s_mov_b32 s19, -1
	s_wait_loadcnt 0x1
	s_wait_xcnt 0x1
	v_mov_b32_e32 v15, s0
	s_wait_loadcnt 0x0
	v_cmp_ne_u16_e32 vcc_lo, 0, v1
	v_cndmask_b32_e64 v14, 0, 1, vcc_lo
.LBB62_4002:
	s_mov_b32 s0, 0
.LBB62_4003:
	s_delay_alu instid0(SALU_CYCLE_1)
	s_and_b32 vcc_lo, exec_lo, s0
	s_cbranch_vccz .LBB62_4052
; %bb.4004:
	s_and_b32 s0, 0xffff, s59
	s_delay_alu instid0(SALU_CYCLE_1)
	s_cmp_lt_i32 s0, 5
	s_cbranch_scc1 .LBB62_4009
; %bb.4005:
	s_cmp_lt_i32 s0, 8
	s_cbranch_scc1 .LBB62_4010
; %bb.4006:
	;; [unrolled: 3-line block ×3, first 2 shown]
	s_cmp_gt_i32 s0, 9
	s_cbranch_scc0 .LBB62_4012
; %bb.4008:
	s_wait_loadcnt 0x0
	global_load_b64 v[14:15], v[16:17], off
	s_mov_b32 s1, 0
	s_wait_loadcnt 0x0
	v_trunc_f64_e32 v[14:15], v[14:15]
	s_delay_alu instid0(VALU_DEP_1) | instskip(NEXT) | instid1(VALU_DEP_1)
	v_ldexp_f64 v[18:19], v[14:15], 0xffffffe0
	v_floor_f64_e32 v[18:19], v[18:19]
	s_delay_alu instid0(VALU_DEP_1) | instskip(SKIP_1) | instid1(VALU_DEP_2)
	v_fmamk_f64 v[20:21], v[18:19], 0xc1f00000, v[14:15]
	v_cvt_i32_f64_e32 v15, v[18:19]
	v_cvt_u32_f64_e32 v14, v[20:21]
	s_branch .LBB62_4013
.LBB62_4009:
	s_mov_b32 s1, -1
                                        ; implicit-def: $vgpr14_vgpr15
	s_branch .LBB62_4031
.LBB62_4010:
	s_mov_b32 s1, -1
                                        ; implicit-def: $vgpr14_vgpr15
	s_branch .LBB62_4019
.LBB62_4011:
	s_mov_b32 s1, -1
                                        ; implicit-def: $vgpr14_vgpr15
	s_branch .LBB62_4016
.LBB62_4012:
	s_mov_b32 s1, -1
                                        ; implicit-def: $vgpr14_vgpr15
.LBB62_4013:
	s_delay_alu instid0(SALU_CYCLE_1)
	s_and_not1_b32 vcc_lo, exec_lo, s1
	s_cbranch_vccnz .LBB62_4015
; %bb.4014:
	global_load_b32 v1, v[16:17], off
	s_wait_loadcnt 0x0
	v_trunc_f32_e32 v1, v1
	s_delay_alu instid0(VALU_DEP_1) | instskip(SKIP_2) | instid1(VALU_DEP_2)
	v_mul_f32_e64 v3, 0x2f800000, |v1|
	s_wait_xcnt 0x1
	v_ashrrev_i32_e32 v14, 31, v1
	v_floor_f32_e32 v3, v3
	s_delay_alu instid0(VALU_DEP_1) | instskip(SKIP_1) | instid1(VALU_DEP_4)
	v_fma_f32 v5, 0xcf800000, v3, |v1|
	v_cvt_u32_f32_e32 v1, v3
	v_mov_b32_e32 v15, v14
	s_delay_alu instid0(VALU_DEP_3) | instskip(NEXT) | instid1(VALU_DEP_3)
	v_cvt_u32_f32_e32 v3, v5
	v_xor_b32_e32 v19, v1, v14
	s_delay_alu instid0(VALU_DEP_2) | instskip(NEXT) | instid1(VALU_DEP_1)
	v_xor_b32_e32 v18, v3, v14
	v_sub_nc_u64_e32 v[14:15], v[18:19], v[14:15]
.LBB62_4015:
	s_mov_b32 s1, 0
.LBB62_4016:
	s_delay_alu instid0(SALU_CYCLE_1)
	s_and_not1_b32 vcc_lo, exec_lo, s1
	s_cbranch_vccnz .LBB62_4018
; %bb.4017:
	global_load_b32 v1, v[16:17], off
	s_wait_loadcnt 0x0
	v_cvt_f32_f16_e32 v1, v1
	s_wait_xcnt 0x1
	s_delay_alu instid0(VALU_DEP_1) | instskip(NEXT) | instid1(VALU_DEP_1)
	v_cvt_i32_f32_e32 v14, v1
	v_ashrrev_i32_e32 v15, 31, v14
.LBB62_4018:
	s_mov_b32 s1, 0
.LBB62_4019:
	s_delay_alu instid0(SALU_CYCLE_1)
	s_and_not1_b32 vcc_lo, exec_lo, s1
	s_cbranch_vccnz .LBB62_4030
; %bb.4020:
	s_cmp_lt_i32 s0, 6
	s_cbranch_scc1 .LBB62_4023
; %bb.4021:
	s_cmp_gt_i32 s0, 6
	s_cbranch_scc0 .LBB62_4024
; %bb.4022:
	s_wait_loadcnt 0x0
	global_load_b64 v[14:15], v[16:17], off
	s_mov_b32 s1, 0
	s_wait_loadcnt 0x0
	v_trunc_f64_e32 v[14:15], v[14:15]
	s_delay_alu instid0(VALU_DEP_1) | instskip(NEXT) | instid1(VALU_DEP_1)
	v_ldexp_f64 v[18:19], v[14:15], 0xffffffe0
	v_floor_f64_e32 v[18:19], v[18:19]
	s_delay_alu instid0(VALU_DEP_1) | instskip(SKIP_1) | instid1(VALU_DEP_2)
	v_fmamk_f64 v[20:21], v[18:19], 0xc1f00000, v[14:15]
	v_cvt_i32_f64_e32 v15, v[18:19]
	v_cvt_u32_f64_e32 v14, v[20:21]
	s_branch .LBB62_4025
.LBB62_4023:
	s_mov_b32 s1, -1
                                        ; implicit-def: $vgpr14_vgpr15
	s_branch .LBB62_4028
.LBB62_4024:
	s_mov_b32 s1, -1
                                        ; implicit-def: $vgpr14_vgpr15
.LBB62_4025:
	s_delay_alu instid0(SALU_CYCLE_1)
	s_and_not1_b32 vcc_lo, exec_lo, s1
	s_cbranch_vccnz .LBB62_4027
; %bb.4026:
	global_load_b32 v1, v[16:17], off
	s_wait_loadcnt 0x0
	v_trunc_f32_e32 v1, v1
	s_delay_alu instid0(VALU_DEP_1) | instskip(SKIP_2) | instid1(VALU_DEP_2)
	v_mul_f32_e64 v3, 0x2f800000, |v1|
	s_wait_xcnt 0x1
	v_ashrrev_i32_e32 v14, 31, v1
	v_floor_f32_e32 v3, v3
	s_delay_alu instid0(VALU_DEP_1) | instskip(SKIP_1) | instid1(VALU_DEP_4)
	v_fma_f32 v5, 0xcf800000, v3, |v1|
	v_cvt_u32_f32_e32 v1, v3
	v_mov_b32_e32 v15, v14
	s_delay_alu instid0(VALU_DEP_3) | instskip(NEXT) | instid1(VALU_DEP_3)
	v_cvt_u32_f32_e32 v3, v5
	v_xor_b32_e32 v19, v1, v14
	s_delay_alu instid0(VALU_DEP_2) | instskip(NEXT) | instid1(VALU_DEP_1)
	v_xor_b32_e32 v18, v3, v14
	v_sub_nc_u64_e32 v[14:15], v[18:19], v[14:15]
.LBB62_4027:
	s_mov_b32 s1, 0
.LBB62_4028:
	s_delay_alu instid0(SALU_CYCLE_1)
	s_and_not1_b32 vcc_lo, exec_lo, s1
	s_cbranch_vccnz .LBB62_4030
; %bb.4029:
	global_load_u16 v1, v[16:17], off
	s_wait_loadcnt 0x0
	v_cvt_f32_f16_e32 v1, v1
	s_wait_xcnt 0x1
	s_delay_alu instid0(VALU_DEP_1) | instskip(NEXT) | instid1(VALU_DEP_1)
	v_cvt_i32_f32_e32 v14, v1
	v_ashrrev_i32_e32 v15, 31, v14
.LBB62_4030:
	s_mov_b32 s1, 0
.LBB62_4031:
	s_delay_alu instid0(SALU_CYCLE_1)
	s_and_not1_b32 vcc_lo, exec_lo, s1
	s_cbranch_vccnz .LBB62_4051
; %bb.4032:
	s_cmp_lt_i32 s0, 2
	s_cbranch_scc1 .LBB62_4036
; %bb.4033:
	s_cmp_lt_i32 s0, 3
	s_cbranch_scc1 .LBB62_4037
; %bb.4034:
	s_cmp_gt_i32 s0, 3
	s_cbranch_scc0 .LBB62_4038
; %bb.4035:
	s_wait_loadcnt 0x0
	global_load_b64 v[14:15], v[16:17], off
	s_mov_b32 s1, 0
	s_branch .LBB62_4039
.LBB62_4036:
	s_mov_b32 s1, -1
                                        ; implicit-def: $vgpr14_vgpr15
	s_branch .LBB62_4045
.LBB62_4037:
	s_mov_b32 s1, -1
                                        ; implicit-def: $vgpr14_vgpr15
	s_branch .LBB62_4042
.LBB62_4038:
	s_mov_b32 s1, -1
                                        ; implicit-def: $vgpr14_vgpr15
.LBB62_4039:
	s_delay_alu instid0(SALU_CYCLE_1)
	s_and_not1_b32 vcc_lo, exec_lo, s1
	s_cbranch_vccnz .LBB62_4041
; %bb.4040:
	s_wait_loadcnt 0x0
	global_load_b32 v14, v[16:17], off
	s_wait_loadcnt 0x0
	v_ashrrev_i32_e32 v15, 31, v14
.LBB62_4041:
	s_mov_b32 s1, 0
.LBB62_4042:
	s_delay_alu instid0(SALU_CYCLE_1)
	s_and_not1_b32 vcc_lo, exec_lo, s1
	s_cbranch_vccnz .LBB62_4044
; %bb.4043:
	global_load_u16 v1, v[16:17], off
	s_wait_loadcnt 0x0
	s_wait_xcnt 0x1
	v_bfe_i32 v14, v1, 0, 16
	s_delay_alu instid0(VALU_DEP_1)
	v_ashrrev_i32_e32 v15, 31, v14
.LBB62_4044:
	s_mov_b32 s1, 0
.LBB62_4045:
	s_delay_alu instid0(SALU_CYCLE_1)
	s_and_not1_b32 vcc_lo, exec_lo, s1
	s_cbranch_vccnz .LBB62_4051
; %bb.4046:
	s_cmp_gt_i32 s0, 0
	s_mov_b32 s0, 0
	s_cbranch_scc0 .LBB62_4048
; %bb.4047:
	global_load_i8 v1, v[16:17], off
	s_wait_loadcnt 0x0
	s_wait_xcnt 0x1
	v_bfe_i32 v14, v1, 0, 16
	s_delay_alu instid0(VALU_DEP_1)
	v_ashrrev_i32_e32 v15, 31, v14
	s_branch .LBB62_4049
.LBB62_4048:
	s_mov_b32 s0, -1
                                        ; implicit-def: $vgpr14_vgpr15
.LBB62_4049:
	s_delay_alu instid0(SALU_CYCLE_1)
	s_and_not1_b32 vcc_lo, exec_lo, s0
	s_cbranch_vccnz .LBB62_4051
; %bb.4050:
	global_load_u8 v1, v[16:17], off
	s_mov_b32 s0, 0
	s_wait_loadcnt 0x1
	s_wait_xcnt 0x1
	v_mov_b32_e32 v15, s0
	s_wait_loadcnt 0x0
	v_and_b32_e32 v14, 0xffff, v1
.LBB62_4051:
	s_mov_b32 s19, -1
.LBB62_4052:
	s_delay_alu instid0(SALU_CYCLE_1)
	s_and_not1_b32 vcc_lo, exec_lo, s19
	s_cbranch_vccnz .LBB62_4318
; %bb.4053:
	s_lshl_b32 s72, s2, 7
	s_cmp_lt_i32 s60, 11
	v_add_nc_u32_e32 v6, s72, v6
	s_delay_alu instid0(VALU_DEP_1) | instskip(NEXT) | instid1(VALU_DEP_1)
	v_ashrrev_i32_e32 v7, 31, v6
	v_add_nc_u64_e32 v[18:19], s[12:13], v[6:7]
	s_cbranch_scc1 .LBB62_4060
; %bb.4054:
	s_and_b32 s0, 0xffff, s60
	s_mov_b32 s2, 0
	s_cmp_gt_i32 s0, 25
	s_cbranch_scc0 .LBB62_4061
; %bb.4055:
	s_cmp_gt_i32 s0, 28
	s_cbranch_scc0 .LBB62_4062
; %bb.4056:
	;; [unrolled: 3-line block ×4, first 2 shown]
	s_cmp_eq_u32 s0, 46
	s_mov_b32 s19, 0
	s_cbranch_scc0 .LBB62_4068
; %bb.4059:
	global_load_b32 v1, v[18:19], off
	s_mov_b32 s1, 0
	s_mov_b32 s18, -1
	s_wait_loadcnt 0x0
	v_lshlrev_b32_e32 v1, 16, v1
	s_delay_alu instid0(VALU_DEP_1) | instskip(NEXT) | instid1(VALU_DEP_1)
	v_trunc_f32_e32 v1, v1
	v_mul_f32_e64 v3, 0x2f800000, |v1|
	s_wait_xcnt 0x1
	v_ashrrev_i32_e32 v16, 31, v1
	s_delay_alu instid0(VALU_DEP_2) | instskip(NEXT) | instid1(VALU_DEP_2)
	v_floor_f32_e32 v3, v3
	v_mov_b32_e32 v17, v16
	s_delay_alu instid0(VALU_DEP_2) | instskip(SKIP_1) | instid1(VALU_DEP_2)
	v_fma_f32 v5, 0xcf800000, v3, |v1|
	v_cvt_u32_f32_e32 v1, v3
	v_cvt_u32_f32_e32 v3, v5
	s_delay_alu instid0(VALU_DEP_2) | instskip(NEXT) | instid1(VALU_DEP_2)
	v_xor_b32_e32 v21, v1, v16
	v_xor_b32_e32 v20, v3, v16
	s_delay_alu instid0(VALU_DEP_1)
	v_sub_nc_u64_e32 v[16:17], v[20:21], v[16:17]
	s_branch .LBB62_4070
.LBB62_4060:
	s_mov_b32 s0, -1
	s_mov_b32 s18, 0
                                        ; implicit-def: $vgpr16_vgpr17
	s_branch .LBB62_4132
.LBB62_4061:
	s_mov_b32 s19, -1
	s_mov_b32 s18, 0
	s_mov_b32 s1, 0
                                        ; implicit-def: $vgpr16_vgpr17
	s_branch .LBB62_4097
.LBB62_4062:
	s_mov_b32 s19, -1
	s_mov_b32 s18, 0
	s_mov_b32 s1, 0
                                        ; implicit-def: $vgpr16_vgpr17
	s_branch .LBB62_4080
.LBB62_4063:
	s_mov_b32 s19, -1
	s_mov_b32 s18, 0
	s_mov_b32 s1, 0
                                        ; implicit-def: $vgpr16_vgpr17
	s_branch .LBB62_4075
.LBB62_4064:
	s_or_b32 s17, s17, exec_lo
	s_trap 2
	s_cbranch_execz .LBB62_4001
	s_branch .LBB62_4002
.LBB62_4065:
	s_mov_b32 s19, -1
	s_mov_b32 s18, 0
	s_mov_b32 s1, 0
	s_branch .LBB62_4069
.LBB62_4066:
	s_or_b32 exec_lo, exec_lo, s78
	s_branch .LBB62_1298
.LBB62_4067:
	s_or_b32 s55, s33, exec_lo
	s_trap 2
                                        ; implicit-def: $vgpr0
                                        ; implicit-def: $vgpr2
                                        ; implicit-def: $vgpr4
                                        ; implicit-def: $vgpr14_vgpr15
                                        ; implicit-def: $vgpr6
                                        ; implicit-def: $vgpr16_vgpr17
                                        ; implicit-def: $vgpr8
                                        ; implicit-def: $vgpr20_vgpr21
                                        ; implicit-def: $vgpr22
	s_branch .LBB62_3431
.LBB62_4068:
	s_mov_b32 s1, -1
	s_mov_b32 s18, 0
.LBB62_4069:
                                        ; implicit-def: $vgpr16_vgpr17
.LBB62_4070:
	s_and_b32 vcc_lo, exec_lo, s19
	s_cbranch_vccz .LBB62_4074
; %bb.4071:
	s_cmp_eq_u32 s0, 44
	s_cbranch_scc0 .LBB62_4073
; %bb.4072:
	global_load_u8 v1, v[18:19], off
	s_mov_b32 s1, 0
	s_mov_b32 s18, -1
	s_wait_loadcnt 0x0
	v_lshlrev_b32_e32 v3, 23, v1
	v_cmp_ne_u32_e32 vcc_lo, 0, v1
	s_delay_alu instid0(VALU_DEP_2) | instskip(NEXT) | instid1(VALU_DEP_1)
	v_trunc_f32_e32 v3, v3
	v_mul_f32_e64 v5, 0x2f800000, |v3|
	s_wait_xcnt 0x1
	v_ashrrev_i32_e32 v16, 31, v3
	s_delay_alu instid0(VALU_DEP_2) | instskip(NEXT) | instid1(VALU_DEP_2)
	v_floor_f32_e32 v5, v5
	v_mov_b32_e32 v17, v16
	s_delay_alu instid0(VALU_DEP_2) | instskip(SKIP_1) | instid1(VALU_DEP_2)
	v_fma_f32 v7, 0xcf800000, v5, |v3|
	v_cvt_u32_f32_e32 v3, v5
	v_cvt_u32_f32_e32 v5, v7
	s_delay_alu instid0(VALU_DEP_2) | instskip(NEXT) | instid1(VALU_DEP_2)
	v_xor_b32_e32 v21, v3, v16
	v_xor_b32_e32 v20, v5, v16
	s_delay_alu instid0(VALU_DEP_1) | instskip(NEXT) | instid1(VALU_DEP_1)
	v_sub_nc_u64_e32 v[16:17], v[20:21], v[16:17]
	v_dual_cndmask_b32 v17, 0, v17 :: v_dual_cndmask_b32 v16, 0, v16
	s_branch .LBB62_4074
.LBB62_4073:
	s_mov_b32 s1, -1
                                        ; implicit-def: $vgpr16_vgpr17
.LBB62_4074:
	s_mov_b32 s19, 0
.LBB62_4075:
	s_delay_alu instid0(SALU_CYCLE_1)
	s_and_b32 vcc_lo, exec_lo, s19
	s_cbranch_vccz .LBB62_4079
; %bb.4076:
	s_cmp_eq_u32 s0, 29
	s_cbranch_scc0 .LBB62_4078
; %bb.4077:
	global_load_b64 v[16:17], v[18:19], off
	s_mov_b32 s1, 0
	s_mov_b32 s18, -1
	s_branch .LBB62_4079
.LBB62_4078:
	s_mov_b32 s1, -1
                                        ; implicit-def: $vgpr16_vgpr17
.LBB62_4079:
	s_mov_b32 s19, 0
.LBB62_4080:
	s_delay_alu instid0(SALU_CYCLE_1)
	s_and_b32 vcc_lo, exec_lo, s19
	s_cbranch_vccz .LBB62_4096
; %bb.4081:
	s_cmp_lt_i32 s0, 27
	s_cbranch_scc1 .LBB62_4084
; %bb.4082:
	s_cmp_gt_i32 s0, 27
	s_cbranch_scc0 .LBB62_4085
; %bb.4083:
	s_wait_loadcnt 0x0
	global_load_b32 v16, v[18:19], off
	v_mov_b32_e32 v17, 0
	s_mov_b32 s18, 0
	s_branch .LBB62_4086
.LBB62_4084:
	s_mov_b32 s18, -1
                                        ; implicit-def: $vgpr16_vgpr17
	s_branch .LBB62_4089
.LBB62_4085:
	s_mov_b32 s18, -1
                                        ; implicit-def: $vgpr16_vgpr17
.LBB62_4086:
	s_delay_alu instid0(SALU_CYCLE_1)
	s_and_not1_b32 vcc_lo, exec_lo, s18
	s_cbranch_vccnz .LBB62_4088
; %bb.4087:
	global_load_u16 v1, v[18:19], off
	s_mov_b32 s18, 0
	s_wait_loadcnt 0x1
	s_wait_xcnt 0x1
	v_mov_b32_e32 v17, s18
	s_wait_loadcnt 0x0
	v_and_b32_e32 v16, 0xffff, v1
.LBB62_4088:
	s_mov_b32 s18, 0
.LBB62_4089:
	s_delay_alu instid0(SALU_CYCLE_1)
	s_and_not1_b32 vcc_lo, exec_lo, s18
	s_cbranch_vccnz .LBB62_4095
; %bb.4090:
	global_load_u8 v1, v[18:19], off
	s_mov_b32 s19, 0
	s_mov_b32 s18, exec_lo
	s_wait_loadcnt 0x0
	v_cmpx_lt_i16_e32 0x7f, v1
	s_xor_b32 s18, exec_lo, s18
	s_cbranch_execz .LBB62_4107
; %bb.4091:
	v_cmp_ne_u16_e32 vcc_lo, 0x80, v1
	s_and_b32 s19, vcc_lo, exec_lo
	s_and_not1_saveexec_b32 s18, s18
	s_cbranch_execnz .LBB62_4108
.LBB62_4092:
	s_or_b32 exec_lo, exec_lo, s18
	v_mov_b64_e32 v[16:17], 0
	s_and_saveexec_b32 s18, s19
	s_cbranch_execz .LBB62_4094
.LBB62_4093:
	v_and_b32_e32 v3, 0xffff, v1
	s_delay_alu instid0(VALU_DEP_1) | instskip(SKIP_1) | instid1(VALU_DEP_2)
	v_dual_lshlrev_b32 v1, 24, v1 :: v_dual_bitop2_b32 v5, 7, v3 bitop3:0x40
	v_bfe_u32 v16, v3, 3, 4
	v_and_b32_e32 v1, 0x80000000, v1
	s_delay_alu instid0(VALU_DEP_3) | instskip(NEXT) | instid1(VALU_DEP_3)
	v_clz_i32_u32_e32 v7, v5
	v_cmp_eq_u32_e32 vcc_lo, 0, v16
	s_delay_alu instid0(VALU_DEP_2) | instskip(NEXT) | instid1(VALU_DEP_1)
	v_min_u32_e32 v7, 32, v7
	v_subrev_nc_u32_e32 v9, 28, v7
	v_sub_nc_u32_e32 v7, 29, v7
	s_delay_alu instid0(VALU_DEP_2) | instskip(NEXT) | instid1(VALU_DEP_2)
	v_lshlrev_b32_e32 v3, v9, v3
	v_cndmask_b32_e32 v7, v16, v7, vcc_lo
	s_delay_alu instid0(VALU_DEP_2) | instskip(NEXT) | instid1(VALU_DEP_1)
	v_and_b32_e32 v3, 7, v3
	v_cndmask_b32_e32 v3, v5, v3, vcc_lo
	s_delay_alu instid0(VALU_DEP_3) | instskip(NEXT) | instid1(VALU_DEP_2)
	v_lshl_add_u32 v5, v7, 23, 0x3b800000
	v_lshlrev_b32_e32 v3, 20, v3
	s_delay_alu instid0(VALU_DEP_1) | instskip(NEXT) | instid1(VALU_DEP_1)
	v_or3_b32 v1, v1, v5, v3
	v_trunc_f32_e32 v1, v1
	s_delay_alu instid0(VALU_DEP_1) | instskip(SKIP_1) | instid1(VALU_DEP_2)
	v_mul_f32_e64 v3, 0x2f800000, |v1|
	v_ashrrev_i32_e32 v16, 31, v1
	v_floor_f32_e32 v3, v3
	s_delay_alu instid0(VALU_DEP_2) | instskip(NEXT) | instid1(VALU_DEP_2)
	v_mov_b32_e32 v17, v16
	v_fma_f32 v5, 0xcf800000, v3, |v1|
	v_cvt_u32_f32_e32 v1, v3
	s_delay_alu instid0(VALU_DEP_2) | instskip(NEXT) | instid1(VALU_DEP_2)
	v_cvt_u32_f32_e32 v3, v5
	v_xor_b32_e32 v21, v1, v16
	s_delay_alu instid0(VALU_DEP_2) | instskip(NEXT) | instid1(VALU_DEP_1)
	v_xor_b32_e32 v20, v3, v16
	v_sub_nc_u64_e32 v[16:17], v[20:21], v[16:17]
.LBB62_4094:
	s_or_b32 exec_lo, exec_lo, s18
.LBB62_4095:
	s_mov_b32 s18, -1
.LBB62_4096:
	s_mov_b32 s19, 0
.LBB62_4097:
	s_delay_alu instid0(SALU_CYCLE_1)
	s_and_b32 vcc_lo, exec_lo, s19
	s_cbranch_vccz .LBB62_4128
; %bb.4098:
	s_cmp_gt_i32 s0, 22
	s_cbranch_scc0 .LBB62_4106
; %bb.4099:
	s_cmp_lt_i32 s0, 24
	s_cbranch_scc1 .LBB62_4109
; %bb.4100:
	s_cmp_gt_i32 s0, 24
	s_cbranch_scc0 .LBB62_4110
; %bb.4101:
	global_load_u8 v1, v[18:19], off
	s_mov_b32 s18, 0
	s_mov_b32 s2, exec_lo
	s_wait_loadcnt 0x0
	v_cmpx_lt_i16_e32 0x7f, v1
	s_xor_b32 s2, exec_lo, s2
	s_cbranch_execz .LBB62_4122
; %bb.4102:
	v_cmp_ne_u16_e32 vcc_lo, 0x80, v1
	s_and_b32 s18, vcc_lo, exec_lo
	s_and_not1_saveexec_b32 s2, s2
	s_cbranch_execnz .LBB62_4123
.LBB62_4103:
	s_or_b32 exec_lo, exec_lo, s2
	v_mov_b64_e32 v[16:17], 0
	s_and_saveexec_b32 s2, s18
	s_cbranch_execz .LBB62_4105
.LBB62_4104:
	v_and_b32_e32 v3, 0xffff, v1
	s_delay_alu instid0(VALU_DEP_1) | instskip(SKIP_1) | instid1(VALU_DEP_2)
	v_dual_lshlrev_b32 v1, 24, v1 :: v_dual_bitop2_b32 v5, 3, v3 bitop3:0x40
	v_bfe_u32 v16, v3, 2, 5
	v_and_b32_e32 v1, 0x80000000, v1
	s_delay_alu instid0(VALU_DEP_3) | instskip(NEXT) | instid1(VALU_DEP_3)
	v_clz_i32_u32_e32 v7, v5
	v_cmp_eq_u32_e32 vcc_lo, 0, v16
	s_delay_alu instid0(VALU_DEP_2) | instskip(NEXT) | instid1(VALU_DEP_1)
	v_min_u32_e32 v7, 32, v7
	v_subrev_nc_u32_e32 v9, 29, v7
	v_sub_nc_u32_e32 v7, 30, v7
	s_delay_alu instid0(VALU_DEP_2) | instskip(NEXT) | instid1(VALU_DEP_2)
	v_lshlrev_b32_e32 v3, v9, v3
	v_cndmask_b32_e32 v7, v16, v7, vcc_lo
	s_delay_alu instid0(VALU_DEP_2) | instskip(NEXT) | instid1(VALU_DEP_1)
	v_and_b32_e32 v3, 3, v3
	v_cndmask_b32_e32 v3, v5, v3, vcc_lo
	s_delay_alu instid0(VALU_DEP_3) | instskip(NEXT) | instid1(VALU_DEP_2)
	v_lshl_add_u32 v5, v7, 23, 0x37800000
	v_lshlrev_b32_e32 v3, 21, v3
	s_delay_alu instid0(VALU_DEP_1) | instskip(NEXT) | instid1(VALU_DEP_1)
	v_or3_b32 v1, v1, v5, v3
	v_trunc_f32_e32 v1, v1
	s_delay_alu instid0(VALU_DEP_1) | instskip(SKIP_1) | instid1(VALU_DEP_2)
	v_mul_f32_e64 v3, 0x2f800000, |v1|
	v_ashrrev_i32_e32 v16, 31, v1
	v_floor_f32_e32 v3, v3
	s_delay_alu instid0(VALU_DEP_2) | instskip(NEXT) | instid1(VALU_DEP_2)
	v_mov_b32_e32 v17, v16
	v_fma_f32 v5, 0xcf800000, v3, |v1|
	v_cvt_u32_f32_e32 v1, v3
	s_delay_alu instid0(VALU_DEP_2) | instskip(NEXT) | instid1(VALU_DEP_2)
	v_cvt_u32_f32_e32 v3, v5
	v_xor_b32_e32 v21, v1, v16
	s_delay_alu instid0(VALU_DEP_2) | instskip(NEXT) | instid1(VALU_DEP_1)
	v_xor_b32_e32 v20, v3, v16
	v_sub_nc_u64_e32 v[16:17], v[20:21], v[16:17]
.LBB62_4105:
	s_or_b32 exec_lo, exec_lo, s2
	s_mov_b32 s2, 0
	s_branch .LBB62_4111
.LBB62_4106:
	s_mov_b32 s2, -1
                                        ; implicit-def: $vgpr16_vgpr17
	s_branch .LBB62_4117
.LBB62_4107:
	s_and_not1_saveexec_b32 s18, s18
	s_cbranch_execz .LBB62_4092
.LBB62_4108:
	v_cmp_ne_u16_e32 vcc_lo, 0, v1
	s_and_not1_b32 s19, s19, exec_lo
	s_and_b32 s29, vcc_lo, exec_lo
	s_delay_alu instid0(SALU_CYCLE_1)
	s_or_b32 s19, s19, s29
	s_or_b32 exec_lo, exec_lo, s18
	v_mov_b64_e32 v[16:17], 0
	s_and_saveexec_b32 s18, s19
	s_cbranch_execnz .LBB62_4093
	s_branch .LBB62_4094
.LBB62_4109:
	s_mov_b32 s2, -1
                                        ; implicit-def: $vgpr16_vgpr17
	s_branch .LBB62_4114
.LBB62_4110:
	s_mov_b32 s2, -1
                                        ; implicit-def: $vgpr16_vgpr17
.LBB62_4111:
	s_delay_alu instid0(SALU_CYCLE_1)
	s_and_b32 vcc_lo, exec_lo, s2
	s_cbranch_vccz .LBB62_4113
; %bb.4112:
	global_load_u8 v1, v[18:19], off
	s_wait_loadcnt 0x0
	v_lshlrev_b32_e32 v1, 24, v1
	s_delay_alu instid0(VALU_DEP_1) | instskip(NEXT) | instid1(VALU_DEP_1)
	v_and_b32_e32 v3, 0x7f000000, v1
	v_clz_i32_u32_e32 v5, v3
	v_add_nc_u32_e32 v9, 0x1000000, v3
	v_cmp_ne_u32_e32 vcc_lo, 0, v3
	s_delay_alu instid0(VALU_DEP_3) | instskip(NEXT) | instid1(VALU_DEP_1)
	v_min_u32_e32 v5, 32, v5
	v_sub_nc_u32_e64 v5, v5, 4 clamp
	s_delay_alu instid0(VALU_DEP_1) | instskip(NEXT) | instid1(VALU_DEP_1)
	v_dual_lshlrev_b32 v7, v5, v3 :: v_dual_lshlrev_b32 v5, 23, v5
	v_lshrrev_b32_e32 v7, 4, v7
	s_delay_alu instid0(VALU_DEP_1) | instskip(SKIP_1) | instid1(VALU_DEP_2)
	v_sub_nc_u32_e32 v5, v7, v5
	v_ashrrev_i32_e32 v7, 8, v9
	v_add_nc_u32_e32 v5, 0x3c000000, v5
	s_delay_alu instid0(VALU_DEP_1) | instskip(NEXT) | instid1(VALU_DEP_1)
	v_and_or_b32 v5, 0x7f800000, v7, v5
	v_cndmask_b32_e32 v3, 0, v5, vcc_lo
	s_delay_alu instid0(VALU_DEP_1) | instskip(NEXT) | instid1(VALU_DEP_1)
	v_and_or_b32 v1, 0x80000000, v1, v3
	v_trunc_f32_e32 v1, v1
	s_delay_alu instid0(VALU_DEP_1) | instskip(SKIP_2) | instid1(VALU_DEP_2)
	v_mul_f32_e64 v3, 0x2f800000, |v1|
	s_wait_xcnt 0x1
	v_ashrrev_i32_e32 v16, 31, v1
	v_floor_f32_e32 v3, v3
	s_delay_alu instid0(VALU_DEP_2) | instskip(NEXT) | instid1(VALU_DEP_2)
	v_mov_b32_e32 v17, v16
	v_fma_f32 v5, 0xcf800000, v3, |v1|
	v_cvt_u32_f32_e32 v1, v3
	s_delay_alu instid0(VALU_DEP_2) | instskip(NEXT) | instid1(VALU_DEP_2)
	v_cvt_u32_f32_e32 v3, v5
	v_xor_b32_e32 v21, v1, v16
	s_delay_alu instid0(VALU_DEP_2) | instskip(NEXT) | instid1(VALU_DEP_1)
	v_xor_b32_e32 v20, v3, v16
	v_sub_nc_u64_e32 v[16:17], v[20:21], v[16:17]
.LBB62_4113:
	s_mov_b32 s2, 0
.LBB62_4114:
	s_delay_alu instid0(SALU_CYCLE_1)
	s_and_not1_b32 vcc_lo, exec_lo, s2
	s_cbranch_vccnz .LBB62_4116
; %bb.4115:
	global_load_u8 v1, v[18:19], off
	s_wait_loadcnt 0x0
	v_lshlrev_b32_e32 v3, 25, v1
	v_lshlrev_b16 v1, 8, v1
	s_delay_alu instid0(VALU_DEP_1) | instskip(SKIP_1) | instid1(VALU_DEP_2)
	v_and_or_b32 v7, 0x7f00, v1, 0.5
	v_bfe_i32 v1, v1, 0, 16
	v_add_f32_e32 v7, -0.5, v7
	v_lshrrev_b32_e32 v5, 4, v3
	v_cmp_gt_u32_e32 vcc_lo, 0x8000000, v3
	s_delay_alu instid0(VALU_DEP_2) | instskip(NEXT) | instid1(VALU_DEP_1)
	v_or_b32_e32 v5, 0x70000000, v5
	v_mul_f32_e32 v5, 0x7800000, v5
	s_delay_alu instid0(VALU_DEP_1) | instskip(NEXT) | instid1(VALU_DEP_1)
	v_cndmask_b32_e32 v3, v5, v7, vcc_lo
	v_and_or_b32 v1, 0x80000000, v1, v3
	s_delay_alu instid0(VALU_DEP_1) | instskip(NEXT) | instid1(VALU_DEP_1)
	v_trunc_f32_e32 v1, v1
	v_mul_f32_e64 v3, 0x2f800000, |v1|
	s_wait_xcnt 0x1
	v_ashrrev_i32_e32 v16, 31, v1
	s_delay_alu instid0(VALU_DEP_2) | instskip(NEXT) | instid1(VALU_DEP_2)
	v_floor_f32_e32 v3, v3
	v_mov_b32_e32 v17, v16
	s_delay_alu instid0(VALU_DEP_2) | instskip(SKIP_1) | instid1(VALU_DEP_2)
	v_fma_f32 v5, 0xcf800000, v3, |v1|
	v_cvt_u32_f32_e32 v1, v3
	v_cvt_u32_f32_e32 v3, v5
	s_delay_alu instid0(VALU_DEP_2) | instskip(NEXT) | instid1(VALU_DEP_2)
	v_xor_b32_e32 v21, v1, v16
	v_xor_b32_e32 v20, v3, v16
	s_delay_alu instid0(VALU_DEP_1)
	v_sub_nc_u64_e32 v[16:17], v[20:21], v[16:17]
.LBB62_4116:
	s_mov_b32 s2, 0
	s_mov_b32 s18, -1
.LBB62_4117:
	s_and_not1_b32 vcc_lo, exec_lo, s2
	s_mov_b32 s2, 0
	s_cbranch_vccnz .LBB62_4128
; %bb.4118:
	s_cmp_gt_i32 s0, 14
	s_cbranch_scc0 .LBB62_4121
; %bb.4119:
	s_cmp_eq_u32 s0, 15
	s_cbranch_scc0 .LBB62_4124
; %bb.4120:
	global_load_u16 v1, v[18:19], off
	s_mov_b32 s1, 0
	s_mov_b32 s18, -1
	s_wait_loadcnt 0x0
	v_lshlrev_b32_e32 v1, 16, v1
	s_delay_alu instid0(VALU_DEP_1) | instskip(NEXT) | instid1(VALU_DEP_1)
	v_trunc_f32_e32 v1, v1
	v_mul_f32_e64 v3, 0x2f800000, |v1|
	s_wait_xcnt 0x1
	v_ashrrev_i32_e32 v16, 31, v1
	s_delay_alu instid0(VALU_DEP_2) | instskip(NEXT) | instid1(VALU_DEP_2)
	v_floor_f32_e32 v3, v3
	v_mov_b32_e32 v17, v16
	s_delay_alu instid0(VALU_DEP_2) | instskip(SKIP_1) | instid1(VALU_DEP_2)
	v_fma_f32 v5, 0xcf800000, v3, |v1|
	v_cvt_u32_f32_e32 v1, v3
	v_cvt_u32_f32_e32 v3, v5
	s_delay_alu instid0(VALU_DEP_2) | instskip(NEXT) | instid1(VALU_DEP_2)
	v_xor_b32_e32 v21, v1, v16
	v_xor_b32_e32 v20, v3, v16
	s_delay_alu instid0(VALU_DEP_1)
	v_sub_nc_u64_e32 v[16:17], v[20:21], v[16:17]
	s_branch .LBB62_4126
.LBB62_4121:
	s_mov_b32 s2, -1
	s_branch .LBB62_4125
.LBB62_4122:
	s_and_not1_saveexec_b32 s2, s2
	s_cbranch_execz .LBB62_4103
.LBB62_4123:
	v_cmp_ne_u16_e32 vcc_lo, 0, v1
	s_and_not1_b32 s18, s18, exec_lo
	s_and_b32 s19, vcc_lo, exec_lo
	s_delay_alu instid0(SALU_CYCLE_1)
	s_or_b32 s18, s18, s19
	s_or_b32 exec_lo, exec_lo, s2
	v_mov_b64_e32 v[16:17], 0
	s_and_saveexec_b32 s2, s18
	s_cbranch_execnz .LBB62_4104
	s_branch .LBB62_4105
.LBB62_4124:
	s_mov_b32 s1, -1
.LBB62_4125:
                                        ; implicit-def: $vgpr16_vgpr17
.LBB62_4126:
	s_and_b32 vcc_lo, exec_lo, s2
	s_mov_b32 s2, 0
	s_cbranch_vccz .LBB62_4128
; %bb.4127:
	s_cmp_lg_u32 s0, 11
	s_mov_b32 s2, -1
	s_cselect_b32 s1, -1, 0
.LBB62_4128:
	s_delay_alu instid0(SALU_CYCLE_1)
	s_and_b32 vcc_lo, exec_lo, s1
	s_cbranch_vccnz .LBB62_4193
; %bb.4129:
	s_and_not1_b32 vcc_lo, exec_lo, s2
	s_cbranch_vccnz .LBB62_4131
.LBB62_4130:
	global_load_u8 v1, v[18:19], off
	s_mov_b32 s0, 0
	s_mov_b32 s18, -1
	s_wait_loadcnt 0x1
	s_wait_xcnt 0x1
	v_mov_b32_e32 v17, s0
	s_wait_loadcnt 0x0
	v_cmp_ne_u16_e32 vcc_lo, 0, v1
	v_cndmask_b32_e64 v16, 0, 1, vcc_lo
.LBB62_4131:
	s_mov_b32 s0, 0
.LBB62_4132:
	s_delay_alu instid0(SALU_CYCLE_1)
	s_and_b32 vcc_lo, exec_lo, s0
	s_cbranch_vccz .LBB62_4181
; %bb.4133:
	s_and_b32 s0, 0xffff, s60
	s_delay_alu instid0(SALU_CYCLE_1)
	s_cmp_lt_i32 s0, 5
	s_cbranch_scc1 .LBB62_4138
; %bb.4134:
	s_cmp_lt_i32 s0, 8
	s_cbranch_scc1 .LBB62_4139
; %bb.4135:
	;; [unrolled: 3-line block ×3, first 2 shown]
	s_cmp_gt_i32 s0, 9
	s_cbranch_scc0 .LBB62_4141
; %bb.4137:
	s_wait_loadcnt 0x0
	global_load_b64 v[16:17], v[18:19], off
	s_mov_b32 s1, 0
	s_wait_loadcnt 0x0
	v_trunc_f64_e32 v[16:17], v[16:17]
	s_delay_alu instid0(VALU_DEP_1) | instskip(NEXT) | instid1(VALU_DEP_1)
	v_ldexp_f64 v[20:21], v[16:17], 0xffffffe0
	v_floor_f64_e32 v[20:21], v[20:21]
	s_delay_alu instid0(VALU_DEP_1) | instskip(SKIP_1) | instid1(VALU_DEP_2)
	v_fmamk_f64 v[24:25], v[20:21], 0xc1f00000, v[16:17]
	v_cvt_i32_f64_e32 v17, v[20:21]
	v_cvt_u32_f64_e32 v16, v[24:25]
	s_branch .LBB62_4142
.LBB62_4138:
	s_mov_b32 s1, -1
                                        ; implicit-def: $vgpr16_vgpr17
	s_branch .LBB62_4160
.LBB62_4139:
	s_mov_b32 s1, -1
                                        ; implicit-def: $vgpr16_vgpr17
	s_branch .LBB62_4148
.LBB62_4140:
	s_mov_b32 s1, -1
                                        ; implicit-def: $vgpr16_vgpr17
	s_branch .LBB62_4145
.LBB62_4141:
	s_mov_b32 s1, -1
                                        ; implicit-def: $vgpr16_vgpr17
.LBB62_4142:
	s_delay_alu instid0(SALU_CYCLE_1)
	s_and_not1_b32 vcc_lo, exec_lo, s1
	s_cbranch_vccnz .LBB62_4144
; %bb.4143:
	global_load_b32 v1, v[18:19], off
	s_wait_loadcnt 0x0
	v_trunc_f32_e32 v1, v1
	s_delay_alu instid0(VALU_DEP_1) | instskip(SKIP_2) | instid1(VALU_DEP_2)
	v_mul_f32_e64 v3, 0x2f800000, |v1|
	s_wait_xcnt 0x1
	v_ashrrev_i32_e32 v16, 31, v1
	v_floor_f32_e32 v3, v3
	s_delay_alu instid0(VALU_DEP_1) | instskip(SKIP_1) | instid1(VALU_DEP_4)
	v_fma_f32 v5, 0xcf800000, v3, |v1|
	v_cvt_u32_f32_e32 v1, v3
	v_mov_b32_e32 v17, v16
	s_delay_alu instid0(VALU_DEP_3) | instskip(NEXT) | instid1(VALU_DEP_3)
	v_cvt_u32_f32_e32 v3, v5
	v_xor_b32_e32 v21, v1, v16
	s_delay_alu instid0(VALU_DEP_2) | instskip(NEXT) | instid1(VALU_DEP_1)
	v_xor_b32_e32 v20, v3, v16
	v_sub_nc_u64_e32 v[16:17], v[20:21], v[16:17]
.LBB62_4144:
	s_mov_b32 s1, 0
.LBB62_4145:
	s_delay_alu instid0(SALU_CYCLE_1)
	s_and_not1_b32 vcc_lo, exec_lo, s1
	s_cbranch_vccnz .LBB62_4147
; %bb.4146:
	global_load_b32 v1, v[18:19], off
	s_wait_loadcnt 0x0
	v_cvt_f32_f16_e32 v1, v1
	s_wait_xcnt 0x1
	s_delay_alu instid0(VALU_DEP_1) | instskip(NEXT) | instid1(VALU_DEP_1)
	v_cvt_i32_f32_e32 v16, v1
	v_ashrrev_i32_e32 v17, 31, v16
.LBB62_4147:
	s_mov_b32 s1, 0
.LBB62_4148:
	s_delay_alu instid0(SALU_CYCLE_1)
	s_and_not1_b32 vcc_lo, exec_lo, s1
	s_cbranch_vccnz .LBB62_4159
; %bb.4149:
	s_cmp_lt_i32 s0, 6
	s_cbranch_scc1 .LBB62_4152
; %bb.4150:
	s_cmp_gt_i32 s0, 6
	s_cbranch_scc0 .LBB62_4153
; %bb.4151:
	s_wait_loadcnt 0x0
	global_load_b64 v[16:17], v[18:19], off
	s_mov_b32 s1, 0
	s_wait_loadcnt 0x0
	v_trunc_f64_e32 v[16:17], v[16:17]
	s_delay_alu instid0(VALU_DEP_1) | instskip(NEXT) | instid1(VALU_DEP_1)
	v_ldexp_f64 v[20:21], v[16:17], 0xffffffe0
	v_floor_f64_e32 v[20:21], v[20:21]
	s_delay_alu instid0(VALU_DEP_1) | instskip(SKIP_1) | instid1(VALU_DEP_2)
	v_fmamk_f64 v[24:25], v[20:21], 0xc1f00000, v[16:17]
	v_cvt_i32_f64_e32 v17, v[20:21]
	v_cvt_u32_f64_e32 v16, v[24:25]
	s_branch .LBB62_4154
.LBB62_4152:
	s_mov_b32 s1, -1
                                        ; implicit-def: $vgpr16_vgpr17
	s_branch .LBB62_4157
.LBB62_4153:
	s_mov_b32 s1, -1
                                        ; implicit-def: $vgpr16_vgpr17
.LBB62_4154:
	s_delay_alu instid0(SALU_CYCLE_1)
	s_and_not1_b32 vcc_lo, exec_lo, s1
	s_cbranch_vccnz .LBB62_4156
; %bb.4155:
	global_load_b32 v1, v[18:19], off
	s_wait_loadcnt 0x0
	v_trunc_f32_e32 v1, v1
	s_delay_alu instid0(VALU_DEP_1) | instskip(SKIP_2) | instid1(VALU_DEP_2)
	v_mul_f32_e64 v3, 0x2f800000, |v1|
	s_wait_xcnt 0x1
	v_ashrrev_i32_e32 v16, 31, v1
	v_floor_f32_e32 v3, v3
	s_delay_alu instid0(VALU_DEP_1) | instskip(SKIP_1) | instid1(VALU_DEP_4)
	v_fma_f32 v5, 0xcf800000, v3, |v1|
	v_cvt_u32_f32_e32 v1, v3
	v_mov_b32_e32 v17, v16
	s_delay_alu instid0(VALU_DEP_3) | instskip(NEXT) | instid1(VALU_DEP_3)
	v_cvt_u32_f32_e32 v3, v5
	v_xor_b32_e32 v21, v1, v16
	s_delay_alu instid0(VALU_DEP_2) | instskip(NEXT) | instid1(VALU_DEP_1)
	v_xor_b32_e32 v20, v3, v16
	v_sub_nc_u64_e32 v[16:17], v[20:21], v[16:17]
.LBB62_4156:
	s_mov_b32 s1, 0
.LBB62_4157:
	s_delay_alu instid0(SALU_CYCLE_1)
	s_and_not1_b32 vcc_lo, exec_lo, s1
	s_cbranch_vccnz .LBB62_4159
; %bb.4158:
	global_load_u16 v1, v[18:19], off
	s_wait_loadcnt 0x0
	v_cvt_f32_f16_e32 v1, v1
	s_wait_xcnt 0x1
	s_delay_alu instid0(VALU_DEP_1) | instskip(NEXT) | instid1(VALU_DEP_1)
	v_cvt_i32_f32_e32 v16, v1
	v_ashrrev_i32_e32 v17, 31, v16
.LBB62_4159:
	s_mov_b32 s1, 0
.LBB62_4160:
	s_delay_alu instid0(SALU_CYCLE_1)
	s_and_not1_b32 vcc_lo, exec_lo, s1
	s_cbranch_vccnz .LBB62_4180
; %bb.4161:
	s_cmp_lt_i32 s0, 2
	s_cbranch_scc1 .LBB62_4165
; %bb.4162:
	s_cmp_lt_i32 s0, 3
	s_cbranch_scc1 .LBB62_4166
; %bb.4163:
	s_cmp_gt_i32 s0, 3
	s_cbranch_scc0 .LBB62_4167
; %bb.4164:
	s_wait_loadcnt 0x0
	global_load_b64 v[16:17], v[18:19], off
	s_mov_b32 s1, 0
	s_branch .LBB62_4168
.LBB62_4165:
	s_mov_b32 s1, -1
                                        ; implicit-def: $vgpr16_vgpr17
	s_branch .LBB62_4174
.LBB62_4166:
	s_mov_b32 s1, -1
                                        ; implicit-def: $vgpr16_vgpr17
	s_branch .LBB62_4171
.LBB62_4167:
	s_mov_b32 s1, -1
                                        ; implicit-def: $vgpr16_vgpr17
.LBB62_4168:
	s_delay_alu instid0(SALU_CYCLE_1)
	s_and_not1_b32 vcc_lo, exec_lo, s1
	s_cbranch_vccnz .LBB62_4170
; %bb.4169:
	s_wait_loadcnt 0x0
	global_load_b32 v16, v[18:19], off
	s_wait_loadcnt 0x0
	v_ashrrev_i32_e32 v17, 31, v16
.LBB62_4170:
	s_mov_b32 s1, 0
.LBB62_4171:
	s_delay_alu instid0(SALU_CYCLE_1)
	s_and_not1_b32 vcc_lo, exec_lo, s1
	s_cbranch_vccnz .LBB62_4173
; %bb.4172:
	global_load_u16 v1, v[18:19], off
	s_wait_loadcnt 0x0
	s_wait_xcnt 0x1
	v_bfe_i32 v16, v1, 0, 16
	s_delay_alu instid0(VALU_DEP_1)
	v_ashrrev_i32_e32 v17, 31, v16
.LBB62_4173:
	s_mov_b32 s1, 0
.LBB62_4174:
	s_delay_alu instid0(SALU_CYCLE_1)
	s_and_not1_b32 vcc_lo, exec_lo, s1
	s_cbranch_vccnz .LBB62_4180
; %bb.4175:
	s_cmp_gt_i32 s0, 0
	s_mov_b32 s0, 0
	s_cbranch_scc0 .LBB62_4177
; %bb.4176:
	global_load_i8 v1, v[18:19], off
	s_wait_loadcnt 0x0
	s_wait_xcnt 0x1
	v_bfe_i32 v16, v1, 0, 16
	s_delay_alu instid0(VALU_DEP_1)
	v_ashrrev_i32_e32 v17, 31, v16
	s_branch .LBB62_4178
.LBB62_4177:
	s_mov_b32 s0, -1
                                        ; implicit-def: $vgpr16_vgpr17
.LBB62_4178:
	s_delay_alu instid0(SALU_CYCLE_1)
	s_and_not1_b32 vcc_lo, exec_lo, s0
	s_cbranch_vccnz .LBB62_4180
; %bb.4179:
	global_load_u8 v1, v[18:19], off
	s_mov_b32 s0, 0
	s_wait_loadcnt 0x1
	s_wait_xcnt 0x1
	v_mov_b32_e32 v17, s0
	s_wait_loadcnt 0x0
	v_and_b32_e32 v16, 0xffff, v1
.LBB62_4180:
	s_mov_b32 s18, -1
.LBB62_4181:
	s_delay_alu instid0(SALU_CYCLE_1)
	s_and_not1_b32 vcc_lo, exec_lo, s18
	s_cbranch_vccnz .LBB62_4318
; %bb.4182:
	s_lshl_b32 s73, s3, 7
	s_cmp_lt_i32 s61, 11
	v_add_nc_u32_e32 v8, s73, v8
	s_delay_alu instid0(VALU_DEP_1) | instskip(SKIP_1) | instid1(VALU_DEP_1)
	v_ashrrev_i32_e32 v9, 31, v8
	s_wait_xcnt 0x0
	v_add_nc_u64_e32 v[18:19], s[14:15], v[8:9]
	s_cbranch_scc1 .LBB62_4189
; %bb.4183:
	s_and_b32 s0, 0xffff, s61
	s_mov_b32 s2, 0
	s_cmp_gt_i32 s0, 25
	s_cbranch_scc0 .LBB62_4190
; %bb.4184:
	s_cmp_gt_i32 s0, 28
	s_cbranch_scc0 .LBB62_4191
; %bb.4185:
	s_cmp_gt_i32 s0, 43
	s_cbranch_scc0 .LBB62_4192
; %bb.4186:
	s_cmp_gt_i32 s0, 45
	s_cbranch_scc0 .LBB62_4194
; %bb.4187:
	s_cmp_eq_u32 s0, 46
	s_mov_b32 s18, 0
	s_cbranch_scc0 .LBB62_4196
; %bb.4188:
	global_load_b32 v1, v[18:19], off
	s_mov_b32 s1, 0
	s_mov_b32 s3, -1
	s_wait_loadcnt 0x0
	v_lshlrev_b32_e32 v1, 16, v1
	s_delay_alu instid0(VALU_DEP_1) | instskip(NEXT) | instid1(VALU_DEP_1)
	v_trunc_f32_e32 v1, v1
	v_mul_f32_e64 v3, 0x2f800000, |v1|
	v_ashrrev_i32_e32 v20, 31, v1
	s_delay_alu instid0(VALU_DEP_2) | instskip(NEXT) | instid1(VALU_DEP_2)
	v_floor_f32_e32 v3, v3
	v_mov_b32_e32 v21, v20
	s_delay_alu instid0(VALU_DEP_2) | instskip(SKIP_1) | instid1(VALU_DEP_2)
	v_fma_f32 v5, 0xcf800000, v3, |v1|
	v_cvt_u32_f32_e32 v1, v3
	v_cvt_u32_f32_e32 v3, v5
	s_delay_alu instid0(VALU_DEP_2) | instskip(NEXT) | instid1(VALU_DEP_2)
	v_xor_b32_e32 v25, v1, v20
	v_xor_b32_e32 v24, v3, v20
	s_delay_alu instid0(VALU_DEP_1)
	v_sub_nc_u64_e32 v[20:21], v[24:25], v[20:21]
	s_branch .LBB62_4198
.LBB62_4189:
	s_mov_b32 s0, -1
	s_mov_b32 s3, 0
                                        ; implicit-def: $vgpr20_vgpr21
	s_branch .LBB62_4260
.LBB62_4190:
	s_mov_b32 s18, -1
	s_mov_b32 s3, 0
	s_mov_b32 s1, 0
                                        ; implicit-def: $vgpr20_vgpr21
	s_branch .LBB62_4225
.LBB62_4191:
	s_mov_b32 s18, -1
	s_mov_b32 s3, 0
	s_mov_b32 s1, 0
                                        ; implicit-def: $vgpr20_vgpr21
	s_branch .LBB62_4208
.LBB62_4192:
	s_mov_b32 s18, -1
	s_mov_b32 s3, 0
	s_mov_b32 s1, 0
                                        ; implicit-def: $vgpr20_vgpr21
	s_branch .LBB62_4203
.LBB62_4193:
	s_or_b32 s17, s17, exec_lo
	s_trap 2
	s_cbranch_execz .LBB62_4130
	s_branch .LBB62_4131
.LBB62_4194:
	s_mov_b32 s18, -1
	s_mov_b32 s3, 0
	s_mov_b32 s1, 0
	s_branch .LBB62_4197
.LBB62_4195:
	s_or_b32 exec_lo, exec_lo, s90
	s_branch .LBB62_2046
.LBB62_4196:
	s_mov_b32 s1, -1
	s_mov_b32 s3, 0
.LBB62_4197:
                                        ; implicit-def: $vgpr20_vgpr21
.LBB62_4198:
	s_and_b32 vcc_lo, exec_lo, s18
	s_cbranch_vccz .LBB62_4202
; %bb.4199:
	s_cmp_eq_u32 s0, 44
	s_cbranch_scc0 .LBB62_4201
; %bb.4200:
	global_load_u8 v1, v[18:19], off
	s_mov_b32 s1, 0
	s_mov_b32 s3, -1
	s_wait_loadcnt 0x0
	v_lshlrev_b32_e32 v3, 23, v1
	v_cmp_ne_u32_e32 vcc_lo, 0, v1
	s_delay_alu instid0(VALU_DEP_2) | instskip(NEXT) | instid1(VALU_DEP_1)
	v_trunc_f32_e32 v3, v3
	v_mul_f32_e64 v5, 0x2f800000, |v3|
	v_ashrrev_i32_e32 v20, 31, v3
	s_delay_alu instid0(VALU_DEP_2) | instskip(NEXT) | instid1(VALU_DEP_2)
	v_floor_f32_e32 v5, v5
	v_mov_b32_e32 v21, v20
	s_delay_alu instid0(VALU_DEP_2) | instskip(SKIP_1) | instid1(VALU_DEP_2)
	v_fma_f32 v7, 0xcf800000, v5, |v3|
	v_cvt_u32_f32_e32 v3, v5
	v_cvt_u32_f32_e32 v5, v7
	s_delay_alu instid0(VALU_DEP_2) | instskip(NEXT) | instid1(VALU_DEP_2)
	v_xor_b32_e32 v25, v3, v20
	v_xor_b32_e32 v24, v5, v20
	s_delay_alu instid0(VALU_DEP_1) | instskip(NEXT) | instid1(VALU_DEP_1)
	v_sub_nc_u64_e32 v[20:21], v[24:25], v[20:21]
	v_dual_cndmask_b32 v21, 0, v21 :: v_dual_cndmask_b32 v20, 0, v20
	s_branch .LBB62_4202
.LBB62_4201:
	s_mov_b32 s1, -1
                                        ; implicit-def: $vgpr20_vgpr21
.LBB62_4202:
	s_mov_b32 s18, 0
.LBB62_4203:
	s_delay_alu instid0(SALU_CYCLE_1)
	s_and_b32 vcc_lo, exec_lo, s18
	s_cbranch_vccz .LBB62_4207
; %bb.4204:
	s_cmp_eq_u32 s0, 29
	s_cbranch_scc0 .LBB62_4206
; %bb.4205:
	global_load_b64 v[20:21], v[18:19], off
	s_mov_b32 s1, 0
	s_mov_b32 s3, -1
	s_branch .LBB62_4207
.LBB62_4206:
	s_mov_b32 s1, -1
                                        ; implicit-def: $vgpr20_vgpr21
.LBB62_4207:
	s_mov_b32 s18, 0
.LBB62_4208:
	s_delay_alu instid0(SALU_CYCLE_1)
	s_and_b32 vcc_lo, exec_lo, s18
	s_cbranch_vccz .LBB62_4224
; %bb.4209:
	s_cmp_lt_i32 s0, 27
	s_cbranch_scc1 .LBB62_4212
; %bb.4210:
	s_cmp_gt_i32 s0, 27
	s_cbranch_scc0 .LBB62_4213
; %bb.4211:
	s_wait_loadcnt 0x0
	global_load_b32 v20, v[18:19], off
	v_mov_b32_e32 v21, 0
	s_mov_b32 s3, 0
	s_branch .LBB62_4214
.LBB62_4212:
	s_mov_b32 s3, -1
                                        ; implicit-def: $vgpr20_vgpr21
	s_branch .LBB62_4217
.LBB62_4213:
	s_mov_b32 s3, -1
                                        ; implicit-def: $vgpr20_vgpr21
.LBB62_4214:
	s_delay_alu instid0(SALU_CYCLE_1)
	s_and_not1_b32 vcc_lo, exec_lo, s3
	s_cbranch_vccnz .LBB62_4216
; %bb.4215:
	global_load_u16 v1, v[18:19], off
	s_mov_b32 s3, 0
	s_wait_loadcnt 0x1
	v_mov_b32_e32 v21, s3
	s_wait_loadcnt 0x0
	v_and_b32_e32 v20, 0xffff, v1
.LBB62_4216:
	s_mov_b32 s3, 0
.LBB62_4217:
	s_delay_alu instid0(SALU_CYCLE_1)
	s_and_not1_b32 vcc_lo, exec_lo, s3
	s_cbranch_vccnz .LBB62_4223
; %bb.4218:
	global_load_u8 v1, v[18:19], off
	s_mov_b32 s18, 0
	s_mov_b32 s3, exec_lo
	s_wait_loadcnt 0x0
	v_cmpx_lt_i16_e32 0x7f, v1
	s_xor_b32 s3, exec_lo, s3
	s_cbranch_execz .LBB62_4235
; %bb.4219:
	v_cmp_ne_u16_e32 vcc_lo, 0x80, v1
	s_and_b32 s18, vcc_lo, exec_lo
	s_and_not1_saveexec_b32 s3, s3
	s_cbranch_execnz .LBB62_4236
.LBB62_4220:
	s_or_b32 exec_lo, exec_lo, s3
	v_mov_b64_e32 v[20:21], 0
	s_and_saveexec_b32 s3, s18
	s_cbranch_execz .LBB62_4222
.LBB62_4221:
	v_and_b32_e32 v3, 0xffff, v1
	s_delay_alu instid0(VALU_DEP_1) | instskip(SKIP_1) | instid1(VALU_DEP_2)
	v_dual_lshlrev_b32 v1, 24, v1 :: v_dual_bitop2_b32 v5, 7, v3 bitop3:0x40
	v_bfe_u32 v20, v3, 3, 4
	v_and_b32_e32 v1, 0x80000000, v1
	s_delay_alu instid0(VALU_DEP_3) | instskip(NEXT) | instid1(VALU_DEP_3)
	v_clz_i32_u32_e32 v7, v5
	v_cmp_eq_u32_e32 vcc_lo, 0, v20
	s_delay_alu instid0(VALU_DEP_2) | instskip(NEXT) | instid1(VALU_DEP_1)
	v_min_u32_e32 v7, 32, v7
	v_subrev_nc_u32_e32 v9, 28, v7
	v_sub_nc_u32_e32 v7, 29, v7
	s_delay_alu instid0(VALU_DEP_2) | instskip(NEXT) | instid1(VALU_DEP_2)
	v_lshlrev_b32_e32 v3, v9, v3
	v_cndmask_b32_e32 v7, v20, v7, vcc_lo
	s_delay_alu instid0(VALU_DEP_2) | instskip(NEXT) | instid1(VALU_DEP_1)
	v_and_b32_e32 v3, 7, v3
	v_cndmask_b32_e32 v3, v5, v3, vcc_lo
	s_delay_alu instid0(VALU_DEP_3) | instskip(NEXT) | instid1(VALU_DEP_2)
	v_lshl_add_u32 v5, v7, 23, 0x3b800000
	v_lshlrev_b32_e32 v3, 20, v3
	s_delay_alu instid0(VALU_DEP_1) | instskip(NEXT) | instid1(VALU_DEP_1)
	v_or3_b32 v1, v1, v5, v3
	v_trunc_f32_e32 v1, v1
	s_delay_alu instid0(VALU_DEP_1) | instskip(SKIP_1) | instid1(VALU_DEP_2)
	v_mul_f32_e64 v3, 0x2f800000, |v1|
	v_ashrrev_i32_e32 v20, 31, v1
	v_floor_f32_e32 v3, v3
	s_delay_alu instid0(VALU_DEP_2) | instskip(NEXT) | instid1(VALU_DEP_2)
	v_mov_b32_e32 v21, v20
	v_fma_f32 v5, 0xcf800000, v3, |v1|
	v_cvt_u32_f32_e32 v1, v3
	s_delay_alu instid0(VALU_DEP_2) | instskip(NEXT) | instid1(VALU_DEP_2)
	v_cvt_u32_f32_e32 v3, v5
	v_xor_b32_e32 v25, v1, v20
	s_delay_alu instid0(VALU_DEP_2) | instskip(NEXT) | instid1(VALU_DEP_1)
	v_xor_b32_e32 v24, v3, v20
	v_sub_nc_u64_e32 v[20:21], v[24:25], v[20:21]
.LBB62_4222:
	s_or_b32 exec_lo, exec_lo, s3
.LBB62_4223:
	s_mov_b32 s3, -1
.LBB62_4224:
	s_mov_b32 s18, 0
.LBB62_4225:
	s_delay_alu instid0(SALU_CYCLE_1)
	s_and_b32 vcc_lo, exec_lo, s18
	s_cbranch_vccz .LBB62_4256
; %bb.4226:
	s_cmp_gt_i32 s0, 22
	s_cbranch_scc0 .LBB62_4234
; %bb.4227:
	s_cmp_lt_i32 s0, 24
	s_cbranch_scc1 .LBB62_4237
; %bb.4228:
	s_cmp_gt_i32 s0, 24
	s_cbranch_scc0 .LBB62_4238
; %bb.4229:
	global_load_u8 v1, v[18:19], off
	s_mov_b32 s3, 0
	s_mov_b32 s2, exec_lo
	s_wait_loadcnt 0x0
	v_cmpx_lt_i16_e32 0x7f, v1
	s_xor_b32 s2, exec_lo, s2
	s_cbranch_execz .LBB62_4250
; %bb.4230:
	v_cmp_ne_u16_e32 vcc_lo, 0x80, v1
	s_and_b32 s3, vcc_lo, exec_lo
	s_and_not1_saveexec_b32 s2, s2
	s_cbranch_execnz .LBB62_4251
.LBB62_4231:
	s_or_b32 exec_lo, exec_lo, s2
	v_mov_b64_e32 v[20:21], 0
	s_and_saveexec_b32 s2, s3
	s_cbranch_execz .LBB62_4233
.LBB62_4232:
	v_and_b32_e32 v3, 0xffff, v1
	s_delay_alu instid0(VALU_DEP_1) | instskip(SKIP_1) | instid1(VALU_DEP_2)
	v_dual_lshlrev_b32 v1, 24, v1 :: v_dual_bitop2_b32 v5, 3, v3 bitop3:0x40
	v_bfe_u32 v20, v3, 2, 5
	v_and_b32_e32 v1, 0x80000000, v1
	s_delay_alu instid0(VALU_DEP_3) | instskip(NEXT) | instid1(VALU_DEP_3)
	v_clz_i32_u32_e32 v7, v5
	v_cmp_eq_u32_e32 vcc_lo, 0, v20
	s_delay_alu instid0(VALU_DEP_2) | instskip(NEXT) | instid1(VALU_DEP_1)
	v_min_u32_e32 v7, 32, v7
	v_subrev_nc_u32_e32 v9, 29, v7
	v_sub_nc_u32_e32 v7, 30, v7
	s_delay_alu instid0(VALU_DEP_2) | instskip(NEXT) | instid1(VALU_DEP_2)
	v_lshlrev_b32_e32 v3, v9, v3
	v_cndmask_b32_e32 v7, v20, v7, vcc_lo
	s_delay_alu instid0(VALU_DEP_2) | instskip(NEXT) | instid1(VALU_DEP_1)
	v_and_b32_e32 v3, 3, v3
	v_cndmask_b32_e32 v3, v5, v3, vcc_lo
	s_delay_alu instid0(VALU_DEP_3) | instskip(NEXT) | instid1(VALU_DEP_2)
	v_lshl_add_u32 v5, v7, 23, 0x37800000
	v_lshlrev_b32_e32 v3, 21, v3
	s_delay_alu instid0(VALU_DEP_1) | instskip(NEXT) | instid1(VALU_DEP_1)
	v_or3_b32 v1, v1, v5, v3
	v_trunc_f32_e32 v1, v1
	s_delay_alu instid0(VALU_DEP_1) | instskip(SKIP_1) | instid1(VALU_DEP_2)
	v_mul_f32_e64 v3, 0x2f800000, |v1|
	v_ashrrev_i32_e32 v20, 31, v1
	v_floor_f32_e32 v3, v3
	s_delay_alu instid0(VALU_DEP_2) | instskip(NEXT) | instid1(VALU_DEP_2)
	v_mov_b32_e32 v21, v20
	v_fma_f32 v5, 0xcf800000, v3, |v1|
	v_cvt_u32_f32_e32 v1, v3
	s_delay_alu instid0(VALU_DEP_2) | instskip(NEXT) | instid1(VALU_DEP_2)
	v_cvt_u32_f32_e32 v3, v5
	v_xor_b32_e32 v25, v1, v20
	s_delay_alu instid0(VALU_DEP_2) | instskip(NEXT) | instid1(VALU_DEP_1)
	v_xor_b32_e32 v24, v3, v20
	v_sub_nc_u64_e32 v[20:21], v[24:25], v[20:21]
.LBB62_4233:
	s_or_b32 exec_lo, exec_lo, s2
	s_mov_b32 s2, 0
	s_branch .LBB62_4239
.LBB62_4234:
	s_mov_b32 s2, -1
                                        ; implicit-def: $vgpr20_vgpr21
	s_branch .LBB62_4245
.LBB62_4235:
	s_and_not1_saveexec_b32 s3, s3
	s_cbranch_execz .LBB62_4220
.LBB62_4236:
	v_cmp_ne_u16_e32 vcc_lo, 0, v1
	s_and_not1_b32 s18, s18, exec_lo
	s_and_b32 s19, vcc_lo, exec_lo
	s_delay_alu instid0(SALU_CYCLE_1)
	s_or_b32 s18, s18, s19
	s_or_b32 exec_lo, exec_lo, s3
	v_mov_b64_e32 v[20:21], 0
	s_and_saveexec_b32 s3, s18
	s_cbranch_execnz .LBB62_4221
	s_branch .LBB62_4222
.LBB62_4237:
	s_mov_b32 s2, -1
                                        ; implicit-def: $vgpr20_vgpr21
	s_branch .LBB62_4242
.LBB62_4238:
	s_mov_b32 s2, -1
                                        ; implicit-def: $vgpr20_vgpr21
.LBB62_4239:
	s_delay_alu instid0(SALU_CYCLE_1)
	s_and_b32 vcc_lo, exec_lo, s2
	s_cbranch_vccz .LBB62_4241
; %bb.4240:
	global_load_u8 v1, v[18:19], off
	s_wait_loadcnt 0x0
	v_lshlrev_b32_e32 v1, 24, v1
	s_delay_alu instid0(VALU_DEP_1) | instskip(NEXT) | instid1(VALU_DEP_1)
	v_and_b32_e32 v3, 0x7f000000, v1
	v_clz_i32_u32_e32 v5, v3
	v_add_nc_u32_e32 v9, 0x1000000, v3
	v_cmp_ne_u32_e32 vcc_lo, 0, v3
	s_delay_alu instid0(VALU_DEP_3) | instskip(NEXT) | instid1(VALU_DEP_1)
	v_min_u32_e32 v5, 32, v5
	v_sub_nc_u32_e64 v5, v5, 4 clamp
	s_delay_alu instid0(VALU_DEP_1) | instskip(NEXT) | instid1(VALU_DEP_1)
	v_dual_lshlrev_b32 v7, v5, v3 :: v_dual_lshlrev_b32 v5, 23, v5
	v_lshrrev_b32_e32 v7, 4, v7
	s_delay_alu instid0(VALU_DEP_1) | instskip(SKIP_1) | instid1(VALU_DEP_2)
	v_sub_nc_u32_e32 v5, v7, v5
	v_ashrrev_i32_e32 v7, 8, v9
	v_add_nc_u32_e32 v5, 0x3c000000, v5
	s_delay_alu instid0(VALU_DEP_1) | instskip(NEXT) | instid1(VALU_DEP_1)
	v_and_or_b32 v5, 0x7f800000, v7, v5
	v_cndmask_b32_e32 v3, 0, v5, vcc_lo
	s_delay_alu instid0(VALU_DEP_1) | instskip(NEXT) | instid1(VALU_DEP_1)
	v_and_or_b32 v1, 0x80000000, v1, v3
	v_trunc_f32_e32 v1, v1
	s_delay_alu instid0(VALU_DEP_1) | instskip(SKIP_1) | instid1(VALU_DEP_2)
	v_mul_f32_e64 v3, 0x2f800000, |v1|
	v_ashrrev_i32_e32 v20, 31, v1
	v_floor_f32_e32 v3, v3
	s_delay_alu instid0(VALU_DEP_2) | instskip(NEXT) | instid1(VALU_DEP_2)
	v_mov_b32_e32 v21, v20
	v_fma_f32 v5, 0xcf800000, v3, |v1|
	v_cvt_u32_f32_e32 v1, v3
	s_delay_alu instid0(VALU_DEP_2) | instskip(NEXT) | instid1(VALU_DEP_2)
	v_cvt_u32_f32_e32 v3, v5
	v_xor_b32_e32 v25, v1, v20
	s_delay_alu instid0(VALU_DEP_2) | instskip(NEXT) | instid1(VALU_DEP_1)
	v_xor_b32_e32 v24, v3, v20
	v_sub_nc_u64_e32 v[20:21], v[24:25], v[20:21]
.LBB62_4241:
	s_mov_b32 s2, 0
.LBB62_4242:
	s_delay_alu instid0(SALU_CYCLE_1)
	s_and_not1_b32 vcc_lo, exec_lo, s2
	s_cbranch_vccnz .LBB62_4244
; %bb.4243:
	global_load_u8 v1, v[18:19], off
	s_wait_loadcnt 0x0
	v_lshlrev_b32_e32 v3, 25, v1
	v_lshlrev_b16 v1, 8, v1
	s_delay_alu instid0(VALU_DEP_1) | instskip(SKIP_1) | instid1(VALU_DEP_2)
	v_and_or_b32 v7, 0x7f00, v1, 0.5
	v_bfe_i32 v1, v1, 0, 16
	v_add_f32_e32 v7, -0.5, v7
	v_lshrrev_b32_e32 v5, 4, v3
	v_cmp_gt_u32_e32 vcc_lo, 0x8000000, v3
	s_delay_alu instid0(VALU_DEP_2) | instskip(NEXT) | instid1(VALU_DEP_1)
	v_or_b32_e32 v5, 0x70000000, v5
	v_mul_f32_e32 v5, 0x7800000, v5
	s_delay_alu instid0(VALU_DEP_1) | instskip(NEXT) | instid1(VALU_DEP_1)
	v_cndmask_b32_e32 v3, v5, v7, vcc_lo
	v_and_or_b32 v1, 0x80000000, v1, v3
	s_delay_alu instid0(VALU_DEP_1) | instskip(NEXT) | instid1(VALU_DEP_1)
	v_trunc_f32_e32 v1, v1
	v_mul_f32_e64 v3, 0x2f800000, |v1|
	v_ashrrev_i32_e32 v20, 31, v1
	s_delay_alu instid0(VALU_DEP_2) | instskip(NEXT) | instid1(VALU_DEP_2)
	v_floor_f32_e32 v3, v3
	v_mov_b32_e32 v21, v20
	s_delay_alu instid0(VALU_DEP_2) | instskip(SKIP_1) | instid1(VALU_DEP_2)
	v_fma_f32 v5, 0xcf800000, v3, |v1|
	v_cvt_u32_f32_e32 v1, v3
	v_cvt_u32_f32_e32 v3, v5
	s_delay_alu instid0(VALU_DEP_2) | instskip(NEXT) | instid1(VALU_DEP_2)
	v_xor_b32_e32 v25, v1, v20
	v_xor_b32_e32 v24, v3, v20
	s_delay_alu instid0(VALU_DEP_1)
	v_sub_nc_u64_e32 v[20:21], v[24:25], v[20:21]
.LBB62_4244:
	s_mov_b32 s2, 0
	s_mov_b32 s3, -1
.LBB62_4245:
	s_and_not1_b32 vcc_lo, exec_lo, s2
	s_mov_b32 s2, 0
	s_cbranch_vccnz .LBB62_4256
; %bb.4246:
	s_cmp_gt_i32 s0, 14
	s_cbranch_scc0 .LBB62_4249
; %bb.4247:
	s_cmp_eq_u32 s0, 15
	s_cbranch_scc0 .LBB62_4252
; %bb.4248:
	global_load_u16 v1, v[18:19], off
	s_mov_b32 s1, 0
	s_mov_b32 s3, -1
	s_wait_loadcnt 0x0
	v_lshlrev_b32_e32 v1, 16, v1
	s_delay_alu instid0(VALU_DEP_1) | instskip(NEXT) | instid1(VALU_DEP_1)
	v_trunc_f32_e32 v1, v1
	v_mul_f32_e64 v3, 0x2f800000, |v1|
	v_ashrrev_i32_e32 v20, 31, v1
	s_delay_alu instid0(VALU_DEP_2) | instskip(NEXT) | instid1(VALU_DEP_2)
	v_floor_f32_e32 v3, v3
	v_mov_b32_e32 v21, v20
	s_delay_alu instid0(VALU_DEP_2) | instskip(SKIP_1) | instid1(VALU_DEP_2)
	v_fma_f32 v5, 0xcf800000, v3, |v1|
	v_cvt_u32_f32_e32 v1, v3
	v_cvt_u32_f32_e32 v3, v5
	s_delay_alu instid0(VALU_DEP_2) | instskip(NEXT) | instid1(VALU_DEP_2)
	v_xor_b32_e32 v25, v1, v20
	v_xor_b32_e32 v24, v3, v20
	s_delay_alu instid0(VALU_DEP_1)
	v_sub_nc_u64_e32 v[20:21], v[24:25], v[20:21]
	s_branch .LBB62_4254
.LBB62_4249:
	s_mov_b32 s2, -1
	s_branch .LBB62_4253
.LBB62_4250:
	s_and_not1_saveexec_b32 s2, s2
	s_cbranch_execz .LBB62_4231
.LBB62_4251:
	v_cmp_ne_u16_e32 vcc_lo, 0, v1
	s_and_not1_b32 s3, s3, exec_lo
	s_and_b32 s18, vcc_lo, exec_lo
	s_delay_alu instid0(SALU_CYCLE_1)
	s_or_b32 s3, s3, s18
	s_or_b32 exec_lo, exec_lo, s2
	v_mov_b64_e32 v[20:21], 0
	s_and_saveexec_b32 s2, s3
	s_cbranch_execnz .LBB62_4232
	s_branch .LBB62_4233
.LBB62_4252:
	s_mov_b32 s1, -1
.LBB62_4253:
                                        ; implicit-def: $vgpr20_vgpr21
.LBB62_4254:
	s_and_b32 vcc_lo, exec_lo, s2
	s_mov_b32 s2, 0
	s_cbranch_vccz .LBB62_4256
; %bb.4255:
	s_cmp_lg_u32 s0, 11
	s_mov_b32 s2, -1
	s_cselect_b32 s1, -1, 0
.LBB62_4256:
	s_delay_alu instid0(SALU_CYCLE_1)
	s_and_b32 vcc_lo, exec_lo, s1
	s_cbranch_vccnz .LBB62_4344
; %bb.4257:
	s_and_not1_b32 vcc_lo, exec_lo, s2
	s_cbranch_vccnz .LBB62_4259
.LBB62_4258:
	global_load_u8 v1, v[18:19], off
	s_mov_b32 s0, 0
	s_mov_b32 s3, -1
	s_wait_loadcnt 0x1
	v_mov_b32_e32 v21, s0
	s_wait_loadcnt 0x0
	v_cmp_ne_u16_e32 vcc_lo, 0, v1
	v_cndmask_b32_e64 v20, 0, 1, vcc_lo
.LBB62_4259:
	s_mov_b32 s0, 0
.LBB62_4260:
	s_delay_alu instid0(SALU_CYCLE_1)
	s_and_b32 vcc_lo, exec_lo, s0
	s_cbranch_vccz .LBB62_4309
; %bb.4261:
	s_and_b32 s0, 0xffff, s61
	s_delay_alu instid0(SALU_CYCLE_1)
	s_cmp_lt_i32 s0, 5
	s_cbranch_scc1 .LBB62_4266
; %bb.4262:
	s_cmp_lt_i32 s0, 8
	s_cbranch_scc1 .LBB62_4267
; %bb.4263:
	;; [unrolled: 3-line block ×3, first 2 shown]
	s_cmp_gt_i32 s0, 9
	s_cbranch_scc0 .LBB62_4269
; %bb.4265:
	s_wait_loadcnt 0x0
	global_load_b64 v[20:21], v[18:19], off
	s_mov_b32 s1, 0
	s_wait_loadcnt 0x0
	v_trunc_f64_e32 v[20:21], v[20:21]
	s_delay_alu instid0(VALU_DEP_1) | instskip(NEXT) | instid1(VALU_DEP_1)
	v_ldexp_f64 v[24:25], v[20:21], 0xffffffe0
	v_floor_f64_e32 v[24:25], v[24:25]
	s_delay_alu instid0(VALU_DEP_1) | instskip(SKIP_1) | instid1(VALU_DEP_2)
	v_fmamk_f64 v[26:27], v[24:25], 0xc1f00000, v[20:21]
	v_cvt_i32_f64_e32 v21, v[24:25]
	v_cvt_u32_f64_e32 v20, v[26:27]
	s_branch .LBB62_4270
.LBB62_4266:
	s_mov_b32 s1, -1
                                        ; implicit-def: $vgpr20_vgpr21
	s_branch .LBB62_4288
.LBB62_4267:
	s_mov_b32 s1, -1
                                        ; implicit-def: $vgpr20_vgpr21
	s_branch .LBB62_4276
.LBB62_4268:
	s_mov_b32 s1, -1
                                        ; implicit-def: $vgpr20_vgpr21
	s_branch .LBB62_4273
.LBB62_4269:
	s_mov_b32 s1, -1
                                        ; implicit-def: $vgpr20_vgpr21
.LBB62_4270:
	s_delay_alu instid0(SALU_CYCLE_1)
	s_and_not1_b32 vcc_lo, exec_lo, s1
	s_cbranch_vccnz .LBB62_4272
; %bb.4271:
	global_load_b32 v1, v[18:19], off
	s_wait_loadcnt 0x0
	v_trunc_f32_e32 v1, v1
	s_delay_alu instid0(VALU_DEP_1) | instskip(SKIP_1) | instid1(VALU_DEP_2)
	v_mul_f32_e64 v3, 0x2f800000, |v1|
	v_ashrrev_i32_e32 v20, 31, v1
	v_floor_f32_e32 v3, v3
	s_delay_alu instid0(VALU_DEP_1) | instskip(SKIP_1) | instid1(VALU_DEP_4)
	v_fma_f32 v5, 0xcf800000, v3, |v1|
	v_cvt_u32_f32_e32 v1, v3
	v_mov_b32_e32 v21, v20
	s_delay_alu instid0(VALU_DEP_3) | instskip(NEXT) | instid1(VALU_DEP_3)
	v_cvt_u32_f32_e32 v3, v5
	v_xor_b32_e32 v25, v1, v20
	s_delay_alu instid0(VALU_DEP_2) | instskip(NEXT) | instid1(VALU_DEP_1)
	v_xor_b32_e32 v24, v3, v20
	v_sub_nc_u64_e32 v[20:21], v[24:25], v[20:21]
.LBB62_4272:
	s_mov_b32 s1, 0
.LBB62_4273:
	s_delay_alu instid0(SALU_CYCLE_1)
	s_and_not1_b32 vcc_lo, exec_lo, s1
	s_cbranch_vccnz .LBB62_4275
; %bb.4274:
	global_load_b32 v1, v[18:19], off
	s_wait_loadcnt 0x0
	v_cvt_f32_f16_e32 v1, v1
	s_delay_alu instid0(VALU_DEP_1) | instskip(NEXT) | instid1(VALU_DEP_1)
	v_cvt_i32_f32_e32 v20, v1
	v_ashrrev_i32_e32 v21, 31, v20
.LBB62_4275:
	s_mov_b32 s1, 0
.LBB62_4276:
	s_delay_alu instid0(SALU_CYCLE_1)
	s_and_not1_b32 vcc_lo, exec_lo, s1
	s_cbranch_vccnz .LBB62_4287
; %bb.4277:
	s_cmp_lt_i32 s0, 6
	s_cbranch_scc1 .LBB62_4280
; %bb.4278:
	s_cmp_gt_i32 s0, 6
	s_cbranch_scc0 .LBB62_4281
; %bb.4279:
	s_wait_loadcnt 0x0
	global_load_b64 v[20:21], v[18:19], off
	s_mov_b32 s1, 0
	s_wait_loadcnt 0x0
	v_trunc_f64_e32 v[20:21], v[20:21]
	s_delay_alu instid0(VALU_DEP_1) | instskip(NEXT) | instid1(VALU_DEP_1)
	v_ldexp_f64 v[24:25], v[20:21], 0xffffffe0
	v_floor_f64_e32 v[24:25], v[24:25]
	s_delay_alu instid0(VALU_DEP_1) | instskip(SKIP_1) | instid1(VALU_DEP_2)
	v_fmamk_f64 v[26:27], v[24:25], 0xc1f00000, v[20:21]
	v_cvt_i32_f64_e32 v21, v[24:25]
	v_cvt_u32_f64_e32 v20, v[26:27]
	s_branch .LBB62_4282
.LBB62_4280:
	s_mov_b32 s1, -1
                                        ; implicit-def: $vgpr20_vgpr21
	s_branch .LBB62_4285
.LBB62_4281:
	s_mov_b32 s1, -1
                                        ; implicit-def: $vgpr20_vgpr21
.LBB62_4282:
	s_delay_alu instid0(SALU_CYCLE_1)
	s_and_not1_b32 vcc_lo, exec_lo, s1
	s_cbranch_vccnz .LBB62_4284
; %bb.4283:
	global_load_b32 v1, v[18:19], off
	s_wait_loadcnt 0x0
	v_trunc_f32_e32 v1, v1
	s_delay_alu instid0(VALU_DEP_1) | instskip(SKIP_1) | instid1(VALU_DEP_2)
	v_mul_f32_e64 v3, 0x2f800000, |v1|
	v_ashrrev_i32_e32 v20, 31, v1
	v_floor_f32_e32 v3, v3
	s_delay_alu instid0(VALU_DEP_1) | instskip(SKIP_1) | instid1(VALU_DEP_4)
	v_fma_f32 v5, 0xcf800000, v3, |v1|
	v_cvt_u32_f32_e32 v1, v3
	v_mov_b32_e32 v21, v20
	s_delay_alu instid0(VALU_DEP_3) | instskip(NEXT) | instid1(VALU_DEP_3)
	v_cvt_u32_f32_e32 v3, v5
	v_xor_b32_e32 v25, v1, v20
	s_delay_alu instid0(VALU_DEP_2) | instskip(NEXT) | instid1(VALU_DEP_1)
	v_xor_b32_e32 v24, v3, v20
	v_sub_nc_u64_e32 v[20:21], v[24:25], v[20:21]
.LBB62_4284:
	s_mov_b32 s1, 0
.LBB62_4285:
	s_delay_alu instid0(SALU_CYCLE_1)
	s_and_not1_b32 vcc_lo, exec_lo, s1
	s_cbranch_vccnz .LBB62_4287
; %bb.4286:
	global_load_u16 v1, v[18:19], off
	s_wait_loadcnt 0x0
	v_cvt_f32_f16_e32 v1, v1
	s_delay_alu instid0(VALU_DEP_1) | instskip(NEXT) | instid1(VALU_DEP_1)
	v_cvt_i32_f32_e32 v20, v1
	v_ashrrev_i32_e32 v21, 31, v20
.LBB62_4287:
	s_mov_b32 s1, 0
.LBB62_4288:
	s_delay_alu instid0(SALU_CYCLE_1)
	s_and_not1_b32 vcc_lo, exec_lo, s1
	s_cbranch_vccnz .LBB62_4308
; %bb.4289:
	s_cmp_lt_i32 s0, 2
	s_cbranch_scc1 .LBB62_4293
; %bb.4290:
	s_cmp_lt_i32 s0, 3
	s_cbranch_scc1 .LBB62_4294
; %bb.4291:
	s_cmp_gt_i32 s0, 3
	s_cbranch_scc0 .LBB62_4295
; %bb.4292:
	s_wait_loadcnt 0x0
	global_load_b64 v[20:21], v[18:19], off
	s_mov_b32 s1, 0
	s_branch .LBB62_4296
.LBB62_4293:
	s_mov_b32 s1, -1
                                        ; implicit-def: $vgpr20_vgpr21
	s_branch .LBB62_4302
.LBB62_4294:
	s_mov_b32 s1, -1
                                        ; implicit-def: $vgpr20_vgpr21
	s_branch .LBB62_4299
.LBB62_4295:
	s_mov_b32 s1, -1
                                        ; implicit-def: $vgpr20_vgpr21
.LBB62_4296:
	s_delay_alu instid0(SALU_CYCLE_1)
	s_and_not1_b32 vcc_lo, exec_lo, s1
	s_cbranch_vccnz .LBB62_4298
; %bb.4297:
	s_wait_loadcnt 0x0
	global_load_b32 v20, v[18:19], off
	s_wait_loadcnt 0x0
	v_ashrrev_i32_e32 v21, 31, v20
.LBB62_4298:
	s_mov_b32 s1, 0
.LBB62_4299:
	s_delay_alu instid0(SALU_CYCLE_1)
	s_and_not1_b32 vcc_lo, exec_lo, s1
	s_cbranch_vccnz .LBB62_4301
; %bb.4300:
	global_load_u16 v1, v[18:19], off
	s_wait_loadcnt 0x0
	v_bfe_i32 v20, v1, 0, 16
	s_delay_alu instid0(VALU_DEP_1)
	v_ashrrev_i32_e32 v21, 31, v20
.LBB62_4301:
	s_mov_b32 s1, 0
.LBB62_4302:
	s_delay_alu instid0(SALU_CYCLE_1)
	s_and_not1_b32 vcc_lo, exec_lo, s1
	s_cbranch_vccnz .LBB62_4308
; %bb.4303:
	s_cmp_gt_i32 s0, 0
	s_mov_b32 s0, 0
	s_cbranch_scc0 .LBB62_4305
; %bb.4304:
	global_load_i8 v1, v[18:19], off
	s_wait_loadcnt 0x0
	v_bfe_i32 v20, v1, 0, 16
	s_delay_alu instid0(VALU_DEP_1)
	v_ashrrev_i32_e32 v21, 31, v20
	s_branch .LBB62_4306
.LBB62_4305:
	s_mov_b32 s0, -1
                                        ; implicit-def: $vgpr20_vgpr21
.LBB62_4306:
	s_delay_alu instid0(SALU_CYCLE_1)
	s_and_not1_b32 vcc_lo, exec_lo, s0
	s_cbranch_vccnz .LBB62_4308
; %bb.4307:
	global_load_u8 v1, v[18:19], off
	s_mov_b32 s0, 0
	s_wait_loadcnt 0x1
	v_mov_b32_e32 v21, s0
	s_wait_loadcnt 0x0
	v_and_b32_e32 v20, 0xffff, v1
.LBB62_4308:
	s_mov_b32 s3, -1
.LBB62_4309:
	s_delay_alu instid0(SALU_CYCLE_1)
	s_and_not1_b32 vcc_lo, exec_lo, s3
	s_cbranch_vccnz .LBB62_4318
; %bb.4310:
	s_mov_b32 s0, exec_lo
	s_wait_loadcnt 0x0
	v_cmpx_ne_u64_e64 s[36:37], v[10:11]
	s_xor_b32 s0, exec_lo, s0
	s_cbranch_execnz .LBB62_4478
.LBB62_4311:
	s_or_saveexec_b32 s51, s0
	s_mov_b32 s1, 0
	s_mov_b32 s2, 0
                                        ; implicit-def: $sgpr0
                                        ; implicit-def: $vgpr10_vgpr11
	s_xor_b32 exec_lo, exec_lo, s51
	s_cbranch_execz .LBB62_4989
; %bb.4312:
	s_mov_b32 s62, s17
	s_mov_b32 s0, exec_lo
	v_cmpx_ne_u64_e64 s[40:41], v[12:13]
	s_xor_b32 s0, exec_lo, s0
	s_cbranch_execnz .LBB62_4606
; %bb.4313:
	s_or_saveexec_b32 s63, s0
                                        ; implicit-def: $sgpr0
                                        ; implicit-def: $vgpr10_vgpr11
	s_delay_alu instid0(SALU_CYCLE_1)
	s_xor_b32 exec_lo, exec_lo, s63
	s_cbranch_execz .LBB62_4988
.LBB62_4314:
	v_sub_nc_u64_e32 v[10:11], v[16:17], v[14:15]
	s_mov_b32 s64, s62
	s_delay_alu instid0(VALU_DEP_1) | instskip(SKIP_2) | instid1(SALU_CYCLE_1)
	v_cmp_gt_i64_e32 vcc_lo, s[36:37], v[10:11]
	v_cmp_lt_i64_e64 s0, s[38:39], v[10:11]
	s_or_b32 s0, vcc_lo, s0
	s_and_saveexec_b32 s1, s0
	s_delay_alu instid0(SALU_CYCLE_1)
	s_xor_b32 s0, exec_lo, s1
	s_cbranch_execnz .LBB62_4734
; %bb.4315:
	s_or_saveexec_b32 s65, s0
	s_mov_b32 s1, 0
                                        ; implicit-def: $sgpr0
                                        ; implicit-def: $vgpr10_vgpr11
	s_xor_b32 exec_lo, exec_lo, s65
	s_cbranch_execz .LBB62_4987
.LBB62_4316:
	v_cmp_ne_u32_e32 vcc_lo, 1, v23
	v_mov_b64_e32 v[10:11], 0
	s_cbranch_vccnz .LBB62_4329
; %bb.4317:
	v_mul_u64_e32 v[18:19], s[40:41], v[20:21]
	v_mov_b64_e32 v[10:11], 0
	s_mov_b32 s29, s1
	v_mov_b32_e32 v12, 0
	s_lshl_b64 s[30:31], s[28:29], 3
	s_mov_b64 s[2:3], 0xffffffff
	s_add_nc_u64 s[18:19], s[20:21], s[30:31]
	s_add_nc_u64 s[30:31], s[22:23], s[30:31]
	s_mov_b32 s29, s42
	s_branch .LBB62_4325
.LBB62_4318:
	s_mov_b32 s1, 0
	s_mov_b32 s2, 0
                                        ; implicit-def: $sgpr0
                                        ; implicit-def: $vgpr10_vgpr11
.LBB62_4319:
	s_delay_alu instid0(SALU_CYCLE_1)
	s_and_b32 s29, s2, exec_lo
	s_and_not1_b32 s2, s48, exec_lo
	s_and_b32 s3, s17, exec_lo
	s_and_b32 s1, s1, exec_lo
	s_or_b32 s48, s2, s3
.LBB62_4320:
	s_wait_xcnt 0x0
	s_or_b32 exec_lo, exec_lo, s49
	s_delay_alu instid0(SALU_CYCLE_1)
	s_and_not1_b32 s2, s55, exec_lo
	s_and_b32 s3, s48, exec_lo
	s_and_b32 s28, s29, exec_lo
	;; [unrolled: 1-line block ×3, first 2 shown]
	s_or_b32 s55, s2, s3
.LBB62_4321:
	s_or_b32 exec_lo, exec_lo, s56
	s_delay_alu instid0(SALU_CYCLE_1)
	s_and_not1_b32 s2, s33, exec_lo
	s_and_b32 s3, s55, exec_lo
	s_and_b32 s28, s28, exec_lo
	;; [unrolled: 1-line block ×3, first 2 shown]
	s_or_b32 s33, s2, s3
.LBB62_4322:
	s_or_b32 exec_lo, exec_lo, s54
	s_delay_alu instid0(SALU_CYCLE_1)
	s_and_not1_b32 s2, s43, exec_lo
	s_and_b32 s3, s33, exec_lo
	s_and_b32 s28, s28, exec_lo
	;; [unrolled: 1-line block ×3, first 2 shown]
	s_or_b32 s43, s2, s3
.LBB62_4323:
	s_or_b32 exec_lo, exec_lo, s27
	s_branch .LBB62_3435
.LBB62_4324:                            ;   in Loop: Header=BB62_4325 Depth=1
	s_or_b32 exec_lo, exec_lo, s0
	global_load_b64 v[24:25], v12, s[30:31]
	v_mul_u64_e32 v[26:27], s[34:35], v[20:21]
	s_add_co_i32 s29, s29, -1
	s_add_nc_u64 s[18:19], s[18:19], -8
	s_cmp_eq_u32 s29, 0
	s_wait_xcnt 0x0
	s_add_nc_u64 s[30:31], s[30:31], -8
	s_delay_alu instid0(VALU_DEP_1) | instskip(SKIP_1) | instid1(VALU_DEP_1)
	v_sub_nc_u64_e32 v[18:19], v[18:19], v[26:27]
	s_wait_loadcnt 0x0
	v_mad_nc_u64_u32 v[10:11], v18, v24, v[10:11]
	s_delay_alu instid0(VALU_DEP_1) | instskip(NEXT) | instid1(VALU_DEP_1)
	v_mad_u32 v1, v19, v24, v11
	v_mad_u32 v11, v18, v25, v1
	v_mov_b64_e32 v[18:19], v[20:21]
	s_cbranch_scc1 .LBB62_4329
.LBB62_4325:                            ; =>This Inner Loop Header: Depth=1
	global_load_b64 v[20:21], v12, s[18:19]
	s_mov_b32 s0, exec_lo
	s_wait_loadcnt 0x0
	v_or_b32_e32 v13, v19, v21
	v_readfirstlane_b32 s34, v20
	v_readfirstlane_b32 s35, v21
                                        ; implicit-def: $vgpr20_vgpr21
	s_wait_xcnt 0x0
	s_delay_alu instid0(VALU_DEP_3)
	v_cmpx_ne_u64_e32 0, v[12:13]
	s_xor_b32 s66, exec_lo, s0
	s_cbranch_execz .LBB62_4327
; %bb.4326:                             ;   in Loop: Header=BB62_4325 Depth=1
	s_ashr_i32 s44, s35, 31
	v_dual_mov_b32 v27, v12 :: v_dual_ashrrev_i32 v20, 31, v19
	s_mov_b32 s45, s44
	v_mov_b32_e32 v31, v12
	s_add_nc_u64 s[46:47], s[34:35], s[44:45]
	s_delay_alu instid0(VALU_DEP_2)
	v_mov_b32_e32 v21, v20
	s_xor_b64 s[46:47], s[46:47], s[44:45]
	v_mov_b32_e32 v35, v12
	s_cvt_f32_u32 s0, s46
	s_cvt_f32_u32 s45, s47
	s_sub_nc_u64 s[76:77], 0, s[46:47]
	v_add_nc_u64_e32 v[24:25], v[18:19], v[20:21]
	s_delay_alu instid0(SALU_CYCLE_1) | instskip(NEXT) | instid1(SALU_CYCLE_3)
	s_fmamk_f32 s0, s45, 0x4f800000, s0
	v_s_rcp_f32 s0, s0
	s_delay_alu instid0(VALU_DEP_1) | instskip(NEXT) | instid1(VALU_DEP_2)
	v_xor_b32_e32 v30, v25, v20
	v_xor_b32_e32 v26, v24, v20
	;; [unrolled: 1-line block ×3, first 2 shown]
	s_delay_alu instid0(TRANS32_DEP_1) | instskip(NEXT) | instid1(VALU_DEP_1)
	s_mul_f32 s0, s0, 0x5f7ffffc
	v_mov_b32_e32 v21, v20
	s_delay_alu instid0(SALU_CYCLE_2) | instskip(NEXT) | instid1(SALU_CYCLE_3)
	s_mul_f32 s45, s0, 0x2f800000
	s_trunc_f32 s45, s45
	s_delay_alu instid0(SALU_CYCLE_3) | instskip(SKIP_1) | instid1(SALU_CYCLE_2)
	s_fmamk_f32 s0, s45, 0xcf800000, s0
	s_cvt_u32_f32 s75, s45
	s_cvt_u32_f32 s74, s0
	s_delay_alu instid0(SALU_CYCLE_3) | instskip(NEXT) | instid1(SALU_CYCLE_1)
	s_mul_u64 s[78:79], s[76:77], s[74:75]
	s_mul_hi_u32 s81, s74, s79
	s_mul_i32 s80, s74, s79
	s_mul_hi_u32 s0, s74, s78
	s_mul_i32 s67, s75, s78
	s_add_nc_u64 s[80:81], s[0:1], s[80:81]
	s_mul_hi_u32 s45, s75, s78
	s_mul_hi_u32 s68, s75, s79
	s_add_co_u32 s0, s80, s67
	s_add_co_ci_u32 s0, s81, s45
	s_mul_i32 s78, s75, s79
	s_add_co_ci_u32 s79, s68, 0
	s_delay_alu instid0(SALU_CYCLE_1) | instskip(NEXT) | instid1(SALU_CYCLE_1)
	s_add_nc_u64 s[78:79], s[0:1], s[78:79]
	s_add_co_u32 s74, s74, s78
	s_cselect_b32 s0, -1, 0
	s_delay_alu instid0(SALU_CYCLE_1) | instskip(SKIP_1) | instid1(SALU_CYCLE_1)
	s_cmp_lg_u32 s0, 0
	s_add_co_ci_u32 s75, s75, s79
	s_mul_u64 s[76:77], s[76:77], s[74:75]
	s_delay_alu instid0(SALU_CYCLE_1)
	s_mul_hi_u32 s79, s74, s77
	s_mul_i32 s78, s74, s77
	s_mul_hi_u32 s0, s74, s76
	s_mul_i32 s67, s75, s76
	s_add_nc_u64 s[78:79], s[0:1], s[78:79]
	s_mul_hi_u32 s45, s75, s76
	s_mul_hi_u32 s68, s75, s77
	s_add_co_u32 s0, s78, s67
	s_add_co_ci_u32 s0, s79, s45
	s_mul_i32 s76, s75, s77
	s_add_co_ci_u32 s77, s68, 0
	s_delay_alu instid0(SALU_CYCLE_1) | instskip(NEXT) | instid1(SALU_CYCLE_1)
	s_add_nc_u64 s[76:77], s[0:1], s[76:77]
	s_add_co_u32 s68, s74, s76
	s_cselect_b32 s0, -1, 0
	v_mul_hi_u32 v34, v26, s68
	s_cmp_lg_u32 s0, 0
	s_add_co_ci_u32 s0, s75, s77
	s_and_b64 s[74:75], s[68:69], s[2:3]
	v_mul_u64_e32 v[28:29], s[0:1], v[26:27]
	v_mul_u64_e32 v[24:25], s[74:75], v[30:31]
	;; [unrolled: 1-line block ×3, first 2 shown]
	s_delay_alu instid0(VALU_DEP_3) | instskip(NEXT) | instid1(VALU_DEP_1)
	v_add_nc_u64_e32 v[28:29], v[34:35], v[28:29]
	v_add_co_u32 v1, vcc_lo, v28, v24
	s_delay_alu instid0(VALU_DEP_2) | instskip(NEXT) | instid1(VALU_DEP_4)
	v_add_co_ci_u32_e32 v34, vcc_lo, v29, v25, vcc_lo
	v_add_co_ci_u32_e32 v33, vcc_lo, 0, v33, vcc_lo
	s_delay_alu instid0(VALU_DEP_1) | instskip(NEXT) | instid1(VALU_DEP_1)
	v_add_nc_u64_e32 v[24:25], v[34:35], v[32:33]
	v_mul_u64_e32 v[28:29], s[46:47], v[24:25]
	s_delay_alu instid0(VALU_DEP_1) | instskip(NEXT) | instid1(VALU_DEP_2)
	v_sub_nc_u32_e32 v1, v30, v29
	v_sub_co_u32 v3, vcc_lo, v26, v28
	s_delay_alu instid0(VALU_DEP_1) | instskip(NEXT) | instid1(VALU_DEP_3)
	v_sub_co_ci_u32_e64 v7, null, v30, v29, vcc_lo
	v_subrev_co_ci_u32_e64 v1, null, s47, v1, vcc_lo
	s_delay_alu instid0(VALU_DEP_3) | instskip(SKIP_1) | instid1(VALU_DEP_3)
	v_sub_co_u32 v5, s0, v3, s46
	v_add_nc_u64_e32 v[26:27], 2, v[24:25]
	v_subrev_co_ci_u32_e64 v1, null, 0, v1, s0
	s_delay_alu instid0(VALU_DEP_3) | instskip(SKIP_2) | instid1(VALU_DEP_4)
	v_cmp_le_u32_e32 vcc_lo, s46, v5
	v_add_nc_u64_e32 v[28:29], 1, v[24:25]
	v_cndmask_b32_e64 v5, 0, -1, vcc_lo
	v_cmp_le_u32_e32 vcc_lo, s47, v1
	v_cndmask_b32_e64 v9, 0, -1, vcc_lo
	v_cmp_le_u32_e32 vcc_lo, s46, v3
	;; [unrolled: 2-line block ×3, first 2 shown]
	v_cndmask_b32_e64 v13, 0, -1, vcc_lo
	v_cmp_eq_u32_e32 vcc_lo, s47, v1
	v_cndmask_b32_e32 v1, v9, v5, vcc_lo
	v_cmp_eq_u32_e32 vcc_lo, s47, v7
	s_delay_alu instid0(VALU_DEP_4) | instskip(NEXT) | instid1(VALU_DEP_3)
	v_cndmask_b32_e32 v3, v13, v3, vcc_lo
	v_cmp_ne_u32_e32 vcc_lo, 0, v1
	s_delay_alu instid0(VALU_DEP_2) | instskip(SKIP_1) | instid1(VALU_DEP_1)
	v_cmp_ne_u32_e64 s0, 0, v3
	v_dual_cndmask_b32 v1, v29, v27, vcc_lo :: v_dual_cndmask_b32 v3, v28, v26, vcc_lo
	v_dual_cndmask_b32 v1, v25, v1, s0 :: v_dual_cndmask_b32 v3, v24, v3, s0
	s_delay_alu instid0(VALU_DEP_1) | instskip(NEXT) | instid1(VALU_DEP_2)
	v_xor_b32_e32 v25, v1, v20
	v_xor_b32_e32 v24, v3, v20
	s_delay_alu instid0(VALU_DEP_1)
	v_sub_nc_u64_e32 v[20:21], v[24:25], v[20:21]
.LBB62_4327:                            ;   in Loop: Header=BB62_4325 Depth=1
	s_and_not1_saveexec_b32 s0, s66
	s_cbranch_execz .LBB62_4324
; %bb.4328:                             ;   in Loop: Header=BB62_4325 Depth=1
	v_cvt_f32_u32_e32 v1, s34
	s_sub_co_i32 s44, 0, s34
	v_mov_b32_e32 v21, v12
	s_delay_alu instid0(VALU_DEP_2) | instskip(SKIP_1) | instid1(TRANS32_DEP_1)
	v_rcp_iflag_f32_e32 v1, v1
	v_nop
	v_mul_f32_e32 v1, 0x4f7ffffe, v1
	s_delay_alu instid0(VALU_DEP_1) | instskip(NEXT) | instid1(VALU_DEP_1)
	v_cvt_u32_f32_e32 v1, v1
	v_mul_lo_u32 v3, s44, v1
	s_delay_alu instid0(VALU_DEP_1) | instskip(NEXT) | instid1(VALU_DEP_1)
	v_mul_hi_u32 v3, v1, v3
	v_add_nc_u32_e32 v1, v1, v3
	s_delay_alu instid0(VALU_DEP_1) | instskip(NEXT) | instid1(VALU_DEP_1)
	v_mul_hi_u32 v1, v18, v1
	v_mul_lo_u32 v3, v1, s34
	s_delay_alu instid0(VALU_DEP_1) | instskip(NEXT) | instid1(VALU_DEP_1)
	v_sub_nc_u32_e32 v3, v18, v3
	v_subrev_nc_u32_e32 v7, s34, v3
	v_cmp_le_u32_e32 vcc_lo, s34, v3
	s_delay_alu instid0(VALU_DEP_2) | instskip(NEXT) | instid1(VALU_DEP_1)
	v_dual_add_nc_u32 v5, 1, v1 :: v_dual_cndmask_b32 v3, v3, v7, vcc_lo
	v_cndmask_b32_e32 v1, v1, v5, vcc_lo
	s_delay_alu instid0(VALU_DEP_2) | instskip(NEXT) | instid1(VALU_DEP_2)
	v_cmp_le_u32_e32 vcc_lo, s34, v3
	v_add_nc_u32_e32 v5, 1, v1
	s_delay_alu instid0(VALU_DEP_1)
	v_cndmask_b32_e32 v20, v1, v5, vcc_lo
	s_branch .LBB62_4324
.LBB62_4329:
	s_mov_b32 s3, -1
	s_mov_b32 s66, s64
	s_mov_b32 s0, exec_lo
	v_cmpx_gt_i64_e64 v[16:17], v[14:15]
	s_cbranch_execz .LBB62_4336
; %bb.4330:
	s_delay_alu instid0(VALU_DEP_2) | instskip(SKIP_2) | instid1(VALU_DEP_1)
	v_lshlrev_b64_e32 v[10:11], 3, v[10:11]
	s_mov_b32 s2, 0
	s_xor_b32 s3, s50, -1
                                        ; implicit-def: $sgpr1
                                        ; implicit-def: $sgpr19
                                        ; implicit-def: $sgpr18
	v_lshl_add_u64 v[12:13], v[14:15], 3, v[10:11]
	v_add_nc_u64_e32 v[14:15], s[24:25], v[10:11]
	s_delay_alu instid0(VALU_DEP_2) | instskip(NEXT) | instid1(VALU_DEP_1)
	v_add_nc_u64_e32 v[12:13], s[24:25], v[12:13]
	v_add_nc_u64_e32 v[10:11], 8, v[12:13]
	s_delay_alu instid0(VALU_DEP_3)
	v_lshl_add_u64 v[12:13], v[16:17], 3, v[14:15]
	s_branch .LBB62_4332
.LBB62_4331:                            ;   in Loop: Header=BB62_4332 Depth=1
	s_or_b32 exec_lo, exec_lo, s29
	s_xor_b32 s29, s18, -1
	s_and_b32 s30, exec_lo, s19
	s_delay_alu instid0(SALU_CYCLE_1) | instskip(SKIP_2) | instid1(SALU_CYCLE_1)
	s_or_b32 s2, s30, s2
	s_and_not1_b32 s1, s1, exec_lo
	s_and_b32 s29, s29, exec_lo
	s_or_b32 s1, s1, s29
	s_and_not1_b32 exec_lo, exec_lo, s2
	s_cbranch_execz .LBB62_4334
.LBB62_4332:                            ; =>This Inner Loop Header: Depth=1
	s_or_b32 s18, s18, exec_lo
	s_or_b32 s19, s19, exec_lo
	s_mov_b32 s29, exec_lo
	s_delay_alu instid0(VALU_DEP_2)
	v_cmpx_lt_u64_e64 v[10:11], v[12:13]
	s_cbranch_execz .LBB62_4331
; %bb.4333:                             ;   in Loop: Header=BB62_4332 Depth=1
	global_load_b128 v[14:17], v[10:11], off offset:-8
	s_wait_xcnt 0x0
	v_add_nc_u64_e32 v[10:11], 8, v[10:11]
	s_and_not1_b32 s19, s19, exec_lo
	s_and_not1_b32 s18, s18, exec_lo
	s_wait_loadcnt 0x0
	v_cmp_ge_i64_e32 vcc_lo, v[14:15], v[16:17]
	s_or_b32 s30, s3, vcc_lo
	s_delay_alu instid0(SALU_CYCLE_1) | instskip(NEXT) | instid1(SALU_CYCLE_1)
	s_and_b32 s30, s30, exec_lo
	s_or_b32 s19, s19, s30
	s_branch .LBB62_4331
.LBB62_4334:
	s_or_b32 exec_lo, exec_lo, s2
	s_mov_b32 s2, -1
	s_mov_b32 s3, s64
	s_and_saveexec_b32 s18, s1
	s_delay_alu instid0(SALU_CYCLE_1)
	s_xor_b32 s1, exec_lo, s18
	s_cbranch_execnz .LBB62_4349
.LBB62_4335:
	s_or_b32 exec_lo, exec_lo, s1
	s_delay_alu instid0(SALU_CYCLE_1) | instskip(SKIP_1) | instid1(SALU_CYCLE_1)
	s_and_not1_b32 s1, s64, exec_lo
	s_and_b32 s3, s3, exec_lo
	s_or_b32 s66, s1, s3
	s_or_not1_b32 s3, s2, exec_lo
.LBB62_4336:
	s_or_b32 exec_lo, exec_lo, s0
	s_mov_b32 s1, 0
	s_mov_b32 s2, 0
                                        ; implicit-def: $sgpr0
                                        ; implicit-def: $vgpr10_vgpr11
	s_and_saveexec_b32 s67, s3
	s_cbranch_execz .LBB62_4986
; %bb.4337:
	v_add_nc_u32_e32 v0, s69, v0
	s_cmp_lt_i32 s57, 11
	s_delay_alu instid0(VALU_DEP_1) | instskip(NEXT) | instid1(VALU_DEP_1)
	v_ashrrev_i32_e32 v1, 31, v0
	v_add_nc_u64_e32 v[12:13], s[6:7], v[0:1]
	s_cbranch_scc1 .LBB62_4345
; %bb.4338:
	s_and_b32 s0, 0xffff, s57
	s_delay_alu instid0(SALU_CYCLE_1)
	s_cmp_gt_i32 s0, 25
	s_cbranch_scc0 .LBB62_4346
; %bb.4339:
	s_cmp_gt_i32 s0, 28
	s_cbranch_scc0 .LBB62_4347
; %bb.4340:
	;; [unrolled: 3-line block ×4, first 2 shown]
	s_cmp_eq_u32 s0, 46
	s_mov_b32 s18, 0
	s_cbranch_scc0 .LBB62_4351
; %bb.4343:
	global_load_b32 v1, v[12:13], off
	s_mov_b32 s3, -1
	s_wait_loadcnt 0x0
	v_lshlrev_b32_e32 v1, 16, v1
	s_delay_alu instid0(VALU_DEP_1) | instskip(NEXT) | instid1(VALU_DEP_1)
	v_trunc_f32_e32 v1, v1
	v_mul_f32_e64 v3, 0x2f800000, |v1|
	v_ashrrev_i32_e32 v10, 31, v1
	s_delay_alu instid0(VALU_DEP_2) | instskip(NEXT) | instid1(VALU_DEP_2)
	v_floor_f32_e32 v3, v3
	v_mov_b32_e32 v11, v10
	s_delay_alu instid0(VALU_DEP_2) | instskip(SKIP_1) | instid1(VALU_DEP_2)
	v_fma_f32 v5, 0xcf800000, v3, |v1|
	v_cvt_u32_f32_e32 v1, v3
	v_cvt_u32_f32_e32 v3, v5
	s_delay_alu instid0(VALU_DEP_2) | instskip(NEXT) | instid1(VALU_DEP_2)
	v_xor_b32_e32 v15, v1, v10
	v_xor_b32_e32 v14, v3, v10
	s_delay_alu instid0(VALU_DEP_1)
	v_sub_nc_u64_e32 v[10:11], v[14:15], v[10:11]
	s_branch .LBB62_4353
.LBB62_4344:
	s_or_b32 s17, s17, exec_lo
	s_trap 2
	s_cbranch_execz .LBB62_4258
	s_branch .LBB62_4259
.LBB62_4345:
	s_mov_b32 s0, -1
	s_mov_b32 s3, 0
	s_mov_b32 s68, s66
                                        ; implicit-def: $vgpr10_vgpr11
	s_branch .LBB62_4415
.LBB62_4346:
	s_mov_b32 s18, -1
	s_mov_b32 s3, 0
                                        ; implicit-def: $vgpr10_vgpr11
	s_branch .LBB62_4380
.LBB62_4347:
	s_mov_b32 s18, -1
	s_mov_b32 s3, 0
                                        ; implicit-def: $vgpr10_vgpr11
	s_branch .LBB62_4363
.LBB62_4348:
	s_mov_b32 s18, -1
	s_mov_b32 s3, 0
                                        ; implicit-def: $vgpr10_vgpr11
	s_branch .LBB62_4358
.LBB62_4349:
	s_or_b32 s3, s64, exec_lo
	s_xor_b32 s2, exec_lo, -1
	s_trap 2
	s_branch .LBB62_4335
.LBB62_4350:
	s_mov_b32 s18, -1
	s_branch .LBB62_4352
.LBB62_4351:
	s_mov_b32 s1, -1
.LBB62_4352:
	s_mov_b32 s3, 0
                                        ; implicit-def: $vgpr10_vgpr11
.LBB62_4353:
	s_and_b32 vcc_lo, exec_lo, s18
	s_cbranch_vccz .LBB62_4357
; %bb.4354:
	s_cmp_eq_u32 s0, 44
	s_cbranch_scc0 .LBB62_4356
; %bb.4355:
	global_load_u8 v1, v[12:13], off
	s_mov_b32 s1, 0
	s_mov_b32 s3, -1
	s_wait_loadcnt 0x0
	v_lshlrev_b32_e32 v3, 23, v1
	v_cmp_ne_u32_e32 vcc_lo, 0, v1
	s_delay_alu instid0(VALU_DEP_2) | instskip(NEXT) | instid1(VALU_DEP_1)
	v_trunc_f32_e32 v3, v3
	v_mul_f32_e64 v5, 0x2f800000, |v3|
	v_ashrrev_i32_e32 v10, 31, v3
	s_delay_alu instid0(VALU_DEP_2) | instskip(NEXT) | instid1(VALU_DEP_2)
	v_floor_f32_e32 v5, v5
	v_mov_b32_e32 v11, v10
	s_delay_alu instid0(VALU_DEP_2) | instskip(SKIP_1) | instid1(VALU_DEP_2)
	v_fma_f32 v7, 0xcf800000, v5, |v3|
	v_cvt_u32_f32_e32 v3, v5
	v_cvt_u32_f32_e32 v5, v7
	s_delay_alu instid0(VALU_DEP_2) | instskip(NEXT) | instid1(VALU_DEP_2)
	v_xor_b32_e32 v15, v3, v10
	v_xor_b32_e32 v14, v5, v10
	s_delay_alu instid0(VALU_DEP_1) | instskip(NEXT) | instid1(VALU_DEP_1)
	v_sub_nc_u64_e32 v[10:11], v[14:15], v[10:11]
	v_dual_cndmask_b32 v11, 0, v11 :: v_dual_cndmask_b32 v10, 0, v10
	s_branch .LBB62_4357
.LBB62_4356:
	s_mov_b32 s1, -1
                                        ; implicit-def: $vgpr10_vgpr11
.LBB62_4357:
	s_mov_b32 s18, 0
.LBB62_4358:
	s_delay_alu instid0(SALU_CYCLE_1)
	s_and_b32 vcc_lo, exec_lo, s18
	s_cbranch_vccz .LBB62_4362
; %bb.4359:
	s_cmp_eq_u32 s0, 29
	s_cbranch_scc0 .LBB62_4361
; %bb.4360:
	global_load_b64 v[10:11], v[12:13], off
	s_mov_b32 s1, 0
	s_mov_b32 s3, -1
	s_branch .LBB62_4362
.LBB62_4361:
	s_mov_b32 s1, -1
                                        ; implicit-def: $vgpr10_vgpr11
.LBB62_4362:
	s_mov_b32 s18, 0
.LBB62_4363:
	s_delay_alu instid0(SALU_CYCLE_1)
	s_and_b32 vcc_lo, exec_lo, s18
	s_cbranch_vccz .LBB62_4379
; %bb.4364:
	s_cmp_lt_i32 s0, 27
	s_cbranch_scc1 .LBB62_4367
; %bb.4365:
	s_cmp_gt_i32 s0, 27
	s_cbranch_scc0 .LBB62_4368
; %bb.4366:
	s_wait_loadcnt 0x0
	global_load_b32 v10, v[12:13], off
	v_mov_b32_e32 v11, 0
	s_mov_b32 s3, 0
	s_branch .LBB62_4369
.LBB62_4367:
	s_mov_b32 s3, -1
                                        ; implicit-def: $vgpr10_vgpr11
	s_branch .LBB62_4372
.LBB62_4368:
	s_mov_b32 s3, -1
                                        ; implicit-def: $vgpr10_vgpr11
.LBB62_4369:
	s_delay_alu instid0(SALU_CYCLE_1)
	s_and_not1_b32 vcc_lo, exec_lo, s3
	s_cbranch_vccnz .LBB62_4371
; %bb.4370:
	global_load_u16 v1, v[12:13], off
	s_mov_b32 s3, 0
	s_wait_loadcnt 0x1
	v_mov_b32_e32 v11, s3
	s_wait_loadcnt 0x0
	v_and_b32_e32 v10, 0xffff, v1
.LBB62_4371:
	s_mov_b32 s3, 0
.LBB62_4372:
	s_delay_alu instid0(SALU_CYCLE_1)
	s_and_not1_b32 vcc_lo, exec_lo, s3
	s_cbranch_vccnz .LBB62_4378
; %bb.4373:
	global_load_u8 v1, v[12:13], off
	s_mov_b32 s18, 0
	s_mov_b32 s3, exec_lo
	s_wait_loadcnt 0x0
	v_cmpx_lt_i16_e32 0x7f, v1
	s_xor_b32 s3, exec_lo, s3
	s_cbranch_execz .LBB62_4390
; %bb.4374:
	v_cmp_ne_u16_e32 vcc_lo, 0x80, v1
	s_and_b32 s18, vcc_lo, exec_lo
	s_and_not1_saveexec_b32 s3, s3
	s_cbranch_execnz .LBB62_4391
.LBB62_4375:
	s_or_b32 exec_lo, exec_lo, s3
	v_mov_b64_e32 v[10:11], 0
	s_and_saveexec_b32 s3, s18
	s_cbranch_execz .LBB62_4377
.LBB62_4376:
	v_and_b32_e32 v3, 0xffff, v1
	s_delay_alu instid0(VALU_DEP_1) | instskip(SKIP_1) | instid1(VALU_DEP_2)
	v_dual_lshlrev_b32 v1, 24, v1 :: v_dual_bitop2_b32 v5, 7, v3 bitop3:0x40
	v_bfe_u32 v10, v3, 3, 4
	v_and_b32_e32 v1, 0x80000000, v1
	s_delay_alu instid0(VALU_DEP_3) | instskip(NEXT) | instid1(VALU_DEP_3)
	v_clz_i32_u32_e32 v7, v5
	v_cmp_eq_u32_e32 vcc_lo, 0, v10
	s_delay_alu instid0(VALU_DEP_2) | instskip(NEXT) | instid1(VALU_DEP_1)
	v_min_u32_e32 v7, 32, v7
	v_subrev_nc_u32_e32 v9, 28, v7
	v_sub_nc_u32_e32 v7, 29, v7
	s_delay_alu instid0(VALU_DEP_2) | instskip(NEXT) | instid1(VALU_DEP_2)
	v_lshlrev_b32_e32 v3, v9, v3
	v_cndmask_b32_e32 v7, v10, v7, vcc_lo
	s_delay_alu instid0(VALU_DEP_2) | instskip(NEXT) | instid1(VALU_DEP_1)
	v_and_b32_e32 v3, 7, v3
	v_cndmask_b32_e32 v3, v5, v3, vcc_lo
	s_delay_alu instid0(VALU_DEP_3) | instskip(NEXT) | instid1(VALU_DEP_2)
	v_lshl_add_u32 v5, v7, 23, 0x3b800000
	v_lshlrev_b32_e32 v3, 20, v3
	s_delay_alu instid0(VALU_DEP_1) | instskip(NEXT) | instid1(VALU_DEP_1)
	v_or3_b32 v1, v1, v5, v3
	v_trunc_f32_e32 v1, v1
	s_delay_alu instid0(VALU_DEP_1) | instskip(SKIP_1) | instid1(VALU_DEP_2)
	v_mul_f32_e64 v3, 0x2f800000, |v1|
	v_ashrrev_i32_e32 v10, 31, v1
	v_floor_f32_e32 v3, v3
	s_delay_alu instid0(VALU_DEP_2) | instskip(NEXT) | instid1(VALU_DEP_2)
	v_mov_b32_e32 v11, v10
	v_fma_f32 v5, 0xcf800000, v3, |v1|
	v_cvt_u32_f32_e32 v1, v3
	s_delay_alu instid0(VALU_DEP_2) | instskip(NEXT) | instid1(VALU_DEP_2)
	v_cvt_u32_f32_e32 v3, v5
	v_xor_b32_e32 v15, v1, v10
	s_delay_alu instid0(VALU_DEP_2) | instskip(NEXT) | instid1(VALU_DEP_1)
	v_xor_b32_e32 v14, v3, v10
	v_sub_nc_u64_e32 v[10:11], v[14:15], v[10:11]
.LBB62_4377:
	s_or_b32 exec_lo, exec_lo, s3
.LBB62_4378:
	s_mov_b32 s3, -1
.LBB62_4379:
	s_mov_b32 s18, 0
.LBB62_4380:
	s_delay_alu instid0(SALU_CYCLE_1)
	s_and_b32 vcc_lo, exec_lo, s18
	s_cbranch_vccz .LBB62_4411
; %bb.4381:
	s_cmp_gt_i32 s0, 22
	s_cbranch_scc0 .LBB62_4389
; %bb.4382:
	s_cmp_lt_i32 s0, 24
	s_cbranch_scc1 .LBB62_4392
; %bb.4383:
	s_cmp_gt_i32 s0, 24
	s_cbranch_scc0 .LBB62_4393
; %bb.4384:
	global_load_u8 v1, v[12:13], off
	s_mov_b32 s3, 0
	s_mov_b32 s2, exec_lo
	s_wait_loadcnt 0x0
	v_cmpx_lt_i16_e32 0x7f, v1
	s_xor_b32 s2, exec_lo, s2
	s_cbranch_execz .LBB62_4405
; %bb.4385:
	v_cmp_ne_u16_e32 vcc_lo, 0x80, v1
	s_and_b32 s3, vcc_lo, exec_lo
	s_and_not1_saveexec_b32 s2, s2
	s_cbranch_execnz .LBB62_4406
.LBB62_4386:
	s_or_b32 exec_lo, exec_lo, s2
	v_mov_b64_e32 v[10:11], 0
	s_and_saveexec_b32 s2, s3
	s_cbranch_execz .LBB62_4388
.LBB62_4387:
	v_and_b32_e32 v3, 0xffff, v1
	s_delay_alu instid0(VALU_DEP_1) | instskip(SKIP_1) | instid1(VALU_DEP_2)
	v_dual_lshlrev_b32 v1, 24, v1 :: v_dual_bitop2_b32 v5, 3, v3 bitop3:0x40
	v_bfe_u32 v10, v3, 2, 5
	v_and_b32_e32 v1, 0x80000000, v1
	s_delay_alu instid0(VALU_DEP_3) | instskip(NEXT) | instid1(VALU_DEP_3)
	v_clz_i32_u32_e32 v7, v5
	v_cmp_eq_u32_e32 vcc_lo, 0, v10
	s_delay_alu instid0(VALU_DEP_2) | instskip(NEXT) | instid1(VALU_DEP_1)
	v_min_u32_e32 v7, 32, v7
	v_subrev_nc_u32_e32 v9, 29, v7
	v_sub_nc_u32_e32 v7, 30, v7
	s_delay_alu instid0(VALU_DEP_2) | instskip(NEXT) | instid1(VALU_DEP_2)
	v_lshlrev_b32_e32 v3, v9, v3
	v_cndmask_b32_e32 v7, v10, v7, vcc_lo
	s_delay_alu instid0(VALU_DEP_2) | instskip(NEXT) | instid1(VALU_DEP_1)
	v_and_b32_e32 v3, 3, v3
	v_cndmask_b32_e32 v3, v5, v3, vcc_lo
	s_delay_alu instid0(VALU_DEP_3) | instskip(NEXT) | instid1(VALU_DEP_2)
	v_lshl_add_u32 v5, v7, 23, 0x37800000
	v_lshlrev_b32_e32 v3, 21, v3
	s_delay_alu instid0(VALU_DEP_1) | instskip(NEXT) | instid1(VALU_DEP_1)
	v_or3_b32 v1, v1, v5, v3
	v_trunc_f32_e32 v1, v1
	s_delay_alu instid0(VALU_DEP_1) | instskip(SKIP_1) | instid1(VALU_DEP_2)
	v_mul_f32_e64 v3, 0x2f800000, |v1|
	v_ashrrev_i32_e32 v10, 31, v1
	v_floor_f32_e32 v3, v3
	s_delay_alu instid0(VALU_DEP_2) | instskip(NEXT) | instid1(VALU_DEP_2)
	v_mov_b32_e32 v11, v10
	v_fma_f32 v5, 0xcf800000, v3, |v1|
	v_cvt_u32_f32_e32 v1, v3
	s_delay_alu instid0(VALU_DEP_2) | instskip(NEXT) | instid1(VALU_DEP_2)
	v_cvt_u32_f32_e32 v3, v5
	v_xor_b32_e32 v15, v1, v10
	s_delay_alu instid0(VALU_DEP_2) | instskip(NEXT) | instid1(VALU_DEP_1)
	v_xor_b32_e32 v14, v3, v10
	v_sub_nc_u64_e32 v[10:11], v[14:15], v[10:11]
.LBB62_4388:
	s_or_b32 exec_lo, exec_lo, s2
	s_mov_b32 s2, 0
	s_branch .LBB62_4394
.LBB62_4389:
	s_mov_b32 s2, -1
                                        ; implicit-def: $vgpr10_vgpr11
	s_branch .LBB62_4400
.LBB62_4390:
	s_and_not1_saveexec_b32 s3, s3
	s_cbranch_execz .LBB62_4375
.LBB62_4391:
	v_cmp_ne_u16_e32 vcc_lo, 0, v1
	s_and_not1_b32 s18, s18, exec_lo
	s_and_b32 s19, vcc_lo, exec_lo
	s_delay_alu instid0(SALU_CYCLE_1)
	s_or_b32 s18, s18, s19
	s_or_b32 exec_lo, exec_lo, s3
	v_mov_b64_e32 v[10:11], 0
	s_and_saveexec_b32 s3, s18
	s_cbranch_execnz .LBB62_4376
	s_branch .LBB62_4377
.LBB62_4392:
	s_mov_b32 s2, -1
                                        ; implicit-def: $vgpr10_vgpr11
	s_branch .LBB62_4397
.LBB62_4393:
	s_mov_b32 s2, -1
                                        ; implicit-def: $vgpr10_vgpr11
.LBB62_4394:
	s_delay_alu instid0(SALU_CYCLE_1)
	s_and_b32 vcc_lo, exec_lo, s2
	s_cbranch_vccz .LBB62_4396
; %bb.4395:
	global_load_u8 v1, v[12:13], off
	s_wait_loadcnt 0x0
	v_lshlrev_b32_e32 v1, 24, v1
	s_delay_alu instid0(VALU_DEP_1) | instskip(NEXT) | instid1(VALU_DEP_1)
	v_and_b32_e32 v3, 0x7f000000, v1
	v_clz_i32_u32_e32 v5, v3
	v_add_nc_u32_e32 v9, 0x1000000, v3
	v_cmp_ne_u32_e32 vcc_lo, 0, v3
	s_delay_alu instid0(VALU_DEP_3) | instskip(NEXT) | instid1(VALU_DEP_1)
	v_min_u32_e32 v5, 32, v5
	v_sub_nc_u32_e64 v5, v5, 4 clamp
	s_delay_alu instid0(VALU_DEP_1) | instskip(NEXT) | instid1(VALU_DEP_1)
	v_dual_lshlrev_b32 v7, v5, v3 :: v_dual_lshlrev_b32 v5, 23, v5
	v_lshrrev_b32_e32 v7, 4, v7
	s_delay_alu instid0(VALU_DEP_1) | instskip(SKIP_1) | instid1(VALU_DEP_2)
	v_sub_nc_u32_e32 v5, v7, v5
	v_ashrrev_i32_e32 v7, 8, v9
	v_add_nc_u32_e32 v5, 0x3c000000, v5
	s_delay_alu instid0(VALU_DEP_1) | instskip(NEXT) | instid1(VALU_DEP_1)
	v_and_or_b32 v5, 0x7f800000, v7, v5
	v_cndmask_b32_e32 v3, 0, v5, vcc_lo
	s_delay_alu instid0(VALU_DEP_1) | instskip(NEXT) | instid1(VALU_DEP_1)
	v_and_or_b32 v1, 0x80000000, v1, v3
	v_trunc_f32_e32 v1, v1
	s_delay_alu instid0(VALU_DEP_1) | instskip(SKIP_1) | instid1(VALU_DEP_2)
	v_mul_f32_e64 v3, 0x2f800000, |v1|
	v_ashrrev_i32_e32 v10, 31, v1
	v_floor_f32_e32 v3, v3
	s_delay_alu instid0(VALU_DEP_2) | instskip(NEXT) | instid1(VALU_DEP_2)
	v_mov_b32_e32 v11, v10
	v_fma_f32 v5, 0xcf800000, v3, |v1|
	v_cvt_u32_f32_e32 v1, v3
	s_delay_alu instid0(VALU_DEP_2) | instskip(NEXT) | instid1(VALU_DEP_2)
	v_cvt_u32_f32_e32 v3, v5
	v_xor_b32_e32 v15, v1, v10
	s_delay_alu instid0(VALU_DEP_2) | instskip(NEXT) | instid1(VALU_DEP_1)
	v_xor_b32_e32 v14, v3, v10
	v_sub_nc_u64_e32 v[10:11], v[14:15], v[10:11]
.LBB62_4396:
	s_mov_b32 s2, 0
.LBB62_4397:
	s_delay_alu instid0(SALU_CYCLE_1)
	s_and_not1_b32 vcc_lo, exec_lo, s2
	s_cbranch_vccnz .LBB62_4399
; %bb.4398:
	global_load_u8 v1, v[12:13], off
	s_wait_loadcnt 0x0
	v_lshlrev_b32_e32 v3, 25, v1
	v_lshlrev_b16 v1, 8, v1
	s_delay_alu instid0(VALU_DEP_1) | instskip(SKIP_1) | instid1(VALU_DEP_2)
	v_and_or_b32 v7, 0x7f00, v1, 0.5
	v_bfe_i32 v1, v1, 0, 16
	v_add_f32_e32 v7, -0.5, v7
	v_lshrrev_b32_e32 v5, 4, v3
	v_cmp_gt_u32_e32 vcc_lo, 0x8000000, v3
	s_delay_alu instid0(VALU_DEP_2) | instskip(NEXT) | instid1(VALU_DEP_1)
	v_or_b32_e32 v5, 0x70000000, v5
	v_mul_f32_e32 v5, 0x7800000, v5
	s_delay_alu instid0(VALU_DEP_1) | instskip(NEXT) | instid1(VALU_DEP_1)
	v_cndmask_b32_e32 v3, v5, v7, vcc_lo
	v_and_or_b32 v1, 0x80000000, v1, v3
	s_delay_alu instid0(VALU_DEP_1) | instskip(NEXT) | instid1(VALU_DEP_1)
	v_trunc_f32_e32 v1, v1
	v_mul_f32_e64 v3, 0x2f800000, |v1|
	v_ashrrev_i32_e32 v10, 31, v1
	s_delay_alu instid0(VALU_DEP_2) | instskip(NEXT) | instid1(VALU_DEP_2)
	v_floor_f32_e32 v3, v3
	v_mov_b32_e32 v11, v10
	s_delay_alu instid0(VALU_DEP_2) | instskip(SKIP_1) | instid1(VALU_DEP_2)
	v_fma_f32 v5, 0xcf800000, v3, |v1|
	v_cvt_u32_f32_e32 v1, v3
	v_cvt_u32_f32_e32 v3, v5
	s_delay_alu instid0(VALU_DEP_2) | instskip(NEXT) | instid1(VALU_DEP_2)
	v_xor_b32_e32 v15, v1, v10
	v_xor_b32_e32 v14, v3, v10
	s_delay_alu instid0(VALU_DEP_1)
	v_sub_nc_u64_e32 v[10:11], v[14:15], v[10:11]
.LBB62_4399:
	s_mov_b32 s2, 0
	s_mov_b32 s3, -1
.LBB62_4400:
	s_and_not1_b32 vcc_lo, exec_lo, s2
	s_mov_b32 s2, 0
	s_cbranch_vccnz .LBB62_4411
; %bb.4401:
	s_cmp_gt_i32 s0, 14
	s_cbranch_scc0 .LBB62_4404
; %bb.4402:
	s_cmp_eq_u32 s0, 15
	s_cbranch_scc0 .LBB62_4407
; %bb.4403:
	global_load_u16 v1, v[12:13], off
	s_mov_b32 s1, 0
	s_mov_b32 s3, -1
	s_wait_loadcnt 0x0
	v_lshlrev_b32_e32 v1, 16, v1
	s_delay_alu instid0(VALU_DEP_1) | instskip(NEXT) | instid1(VALU_DEP_1)
	v_trunc_f32_e32 v1, v1
	v_mul_f32_e64 v3, 0x2f800000, |v1|
	v_ashrrev_i32_e32 v10, 31, v1
	s_delay_alu instid0(VALU_DEP_2) | instskip(NEXT) | instid1(VALU_DEP_2)
	v_floor_f32_e32 v3, v3
	v_mov_b32_e32 v11, v10
	s_delay_alu instid0(VALU_DEP_2) | instskip(SKIP_1) | instid1(VALU_DEP_2)
	v_fma_f32 v5, 0xcf800000, v3, |v1|
	v_cvt_u32_f32_e32 v1, v3
	v_cvt_u32_f32_e32 v3, v5
	s_delay_alu instid0(VALU_DEP_2) | instskip(NEXT) | instid1(VALU_DEP_2)
	v_xor_b32_e32 v15, v1, v10
	v_xor_b32_e32 v14, v3, v10
	s_delay_alu instid0(VALU_DEP_1)
	v_sub_nc_u64_e32 v[10:11], v[14:15], v[10:11]
	s_branch .LBB62_4409
.LBB62_4404:
	s_mov_b32 s2, -1
	s_branch .LBB62_4408
.LBB62_4405:
	s_and_not1_saveexec_b32 s2, s2
	s_cbranch_execz .LBB62_4386
.LBB62_4406:
	v_cmp_ne_u16_e32 vcc_lo, 0, v1
	s_and_not1_b32 s3, s3, exec_lo
	s_and_b32 s18, vcc_lo, exec_lo
	s_delay_alu instid0(SALU_CYCLE_1)
	s_or_b32 s3, s3, s18
	s_or_b32 exec_lo, exec_lo, s2
	v_mov_b64_e32 v[10:11], 0
	s_and_saveexec_b32 s2, s3
	s_cbranch_execnz .LBB62_4387
	s_branch .LBB62_4388
.LBB62_4407:
	s_mov_b32 s1, -1
.LBB62_4408:
                                        ; implicit-def: $vgpr10_vgpr11
.LBB62_4409:
	s_and_b32 vcc_lo, exec_lo, s2
	s_mov_b32 s2, 0
	s_cbranch_vccz .LBB62_4411
; %bb.4410:
	s_cmp_lg_u32 s0, 11
	s_mov_b32 s2, -1
	s_cselect_b32 s1, -1, 0
.LBB62_4411:
	s_delay_alu instid0(SALU_CYCLE_1)
	s_and_b32 vcc_lo, exec_lo, s1
	s_mov_b32 s68, s66
	s_cbranch_vccnz .LBB62_4476
; %bb.4412:
	s_and_not1_b32 vcc_lo, exec_lo, s2
	s_cbranch_vccnz .LBB62_4414
.LBB62_4413:
	global_load_u8 v1, v[12:13], off
	s_mov_b32 s0, 0
	s_mov_b32 s3, -1
	s_wait_loadcnt 0x1
	v_mov_b32_e32 v11, s0
	s_wait_loadcnt 0x0
	v_cmp_ne_u16_e32 vcc_lo, 0, v1
	v_cndmask_b32_e64 v10, 0, 1, vcc_lo
.LBB62_4414:
	s_mov_b32 s0, 0
.LBB62_4415:
	s_delay_alu instid0(SALU_CYCLE_1)
	s_and_b32 vcc_lo, exec_lo, s0
	s_cbranch_vccz .LBB62_4464
; %bb.4416:
	s_and_b32 s0, 0xffff, s57
	s_delay_alu instid0(SALU_CYCLE_1)
	s_cmp_lt_i32 s0, 5
	s_cbranch_scc1 .LBB62_4421
; %bb.4417:
	s_cmp_lt_i32 s0, 8
	s_cbranch_scc1 .LBB62_4422
; %bb.4418:
	;; [unrolled: 3-line block ×3, first 2 shown]
	s_cmp_gt_i32 s0, 9
	s_cbranch_scc0 .LBB62_4424
; %bb.4420:
	s_wait_loadcnt 0x0
	global_load_b64 v[10:11], v[12:13], off
	s_mov_b32 s1, 0
	s_wait_loadcnt 0x0
	v_trunc_f64_e32 v[10:11], v[10:11]
	s_delay_alu instid0(VALU_DEP_1) | instskip(NEXT) | instid1(VALU_DEP_1)
	v_ldexp_f64 v[14:15], v[10:11], 0xffffffe0
	v_floor_f64_e32 v[14:15], v[14:15]
	s_delay_alu instid0(VALU_DEP_1) | instskip(SKIP_1) | instid1(VALU_DEP_2)
	v_fmamk_f64 v[16:17], v[14:15], 0xc1f00000, v[10:11]
	v_cvt_i32_f64_e32 v11, v[14:15]
	v_cvt_u32_f64_e32 v10, v[16:17]
	s_branch .LBB62_4425
.LBB62_4421:
	s_mov_b32 s1, -1
                                        ; implicit-def: $vgpr10_vgpr11
	s_branch .LBB62_4443
.LBB62_4422:
	s_mov_b32 s1, -1
                                        ; implicit-def: $vgpr10_vgpr11
	s_branch .LBB62_4431
.LBB62_4423:
	s_mov_b32 s1, -1
                                        ; implicit-def: $vgpr10_vgpr11
	s_branch .LBB62_4428
.LBB62_4424:
	s_mov_b32 s1, -1
                                        ; implicit-def: $vgpr10_vgpr11
.LBB62_4425:
	s_delay_alu instid0(SALU_CYCLE_1)
	s_and_not1_b32 vcc_lo, exec_lo, s1
	s_cbranch_vccnz .LBB62_4427
; %bb.4426:
	global_load_b32 v1, v[12:13], off
	s_wait_loadcnt 0x0
	v_trunc_f32_e32 v1, v1
	s_delay_alu instid0(VALU_DEP_1) | instskip(SKIP_1) | instid1(VALU_DEP_2)
	v_mul_f32_e64 v3, 0x2f800000, |v1|
	v_ashrrev_i32_e32 v10, 31, v1
	v_floor_f32_e32 v3, v3
	s_delay_alu instid0(VALU_DEP_1) | instskip(SKIP_1) | instid1(VALU_DEP_4)
	v_fma_f32 v5, 0xcf800000, v3, |v1|
	v_cvt_u32_f32_e32 v1, v3
	v_mov_b32_e32 v11, v10
	s_delay_alu instid0(VALU_DEP_3) | instskip(NEXT) | instid1(VALU_DEP_3)
	v_cvt_u32_f32_e32 v3, v5
	v_xor_b32_e32 v15, v1, v10
	s_delay_alu instid0(VALU_DEP_2) | instskip(NEXT) | instid1(VALU_DEP_1)
	v_xor_b32_e32 v14, v3, v10
	v_sub_nc_u64_e32 v[10:11], v[14:15], v[10:11]
.LBB62_4427:
	s_mov_b32 s1, 0
.LBB62_4428:
	s_delay_alu instid0(SALU_CYCLE_1)
	s_and_not1_b32 vcc_lo, exec_lo, s1
	s_cbranch_vccnz .LBB62_4430
; %bb.4429:
	global_load_b32 v1, v[12:13], off
	s_wait_loadcnt 0x0
	v_cvt_f32_f16_e32 v1, v1
	s_delay_alu instid0(VALU_DEP_1) | instskip(NEXT) | instid1(VALU_DEP_1)
	v_cvt_i32_f32_e32 v10, v1
	v_ashrrev_i32_e32 v11, 31, v10
.LBB62_4430:
	s_mov_b32 s1, 0
.LBB62_4431:
	s_delay_alu instid0(SALU_CYCLE_1)
	s_and_not1_b32 vcc_lo, exec_lo, s1
	s_cbranch_vccnz .LBB62_4442
; %bb.4432:
	s_cmp_lt_i32 s0, 6
	s_cbranch_scc1 .LBB62_4435
; %bb.4433:
	s_cmp_gt_i32 s0, 6
	s_cbranch_scc0 .LBB62_4436
; %bb.4434:
	s_wait_loadcnt 0x0
	global_load_b64 v[10:11], v[12:13], off
	s_mov_b32 s1, 0
	s_wait_loadcnt 0x0
	v_trunc_f64_e32 v[10:11], v[10:11]
	s_delay_alu instid0(VALU_DEP_1) | instskip(NEXT) | instid1(VALU_DEP_1)
	v_ldexp_f64 v[14:15], v[10:11], 0xffffffe0
	v_floor_f64_e32 v[14:15], v[14:15]
	s_delay_alu instid0(VALU_DEP_1) | instskip(SKIP_1) | instid1(VALU_DEP_2)
	v_fmamk_f64 v[16:17], v[14:15], 0xc1f00000, v[10:11]
	v_cvt_i32_f64_e32 v11, v[14:15]
	v_cvt_u32_f64_e32 v10, v[16:17]
	s_branch .LBB62_4437
.LBB62_4435:
	s_mov_b32 s1, -1
                                        ; implicit-def: $vgpr10_vgpr11
	s_branch .LBB62_4440
.LBB62_4436:
	s_mov_b32 s1, -1
                                        ; implicit-def: $vgpr10_vgpr11
.LBB62_4437:
	s_delay_alu instid0(SALU_CYCLE_1)
	s_and_not1_b32 vcc_lo, exec_lo, s1
	s_cbranch_vccnz .LBB62_4439
; %bb.4438:
	global_load_b32 v1, v[12:13], off
	s_wait_loadcnt 0x0
	v_trunc_f32_e32 v1, v1
	s_delay_alu instid0(VALU_DEP_1) | instskip(SKIP_1) | instid1(VALU_DEP_2)
	v_mul_f32_e64 v3, 0x2f800000, |v1|
	v_ashrrev_i32_e32 v10, 31, v1
	v_floor_f32_e32 v3, v3
	s_delay_alu instid0(VALU_DEP_1) | instskip(SKIP_1) | instid1(VALU_DEP_4)
	v_fma_f32 v5, 0xcf800000, v3, |v1|
	v_cvt_u32_f32_e32 v1, v3
	v_mov_b32_e32 v11, v10
	s_delay_alu instid0(VALU_DEP_3) | instskip(NEXT) | instid1(VALU_DEP_3)
	v_cvt_u32_f32_e32 v3, v5
	v_xor_b32_e32 v15, v1, v10
	s_delay_alu instid0(VALU_DEP_2) | instskip(NEXT) | instid1(VALU_DEP_1)
	v_xor_b32_e32 v14, v3, v10
	v_sub_nc_u64_e32 v[10:11], v[14:15], v[10:11]
.LBB62_4439:
	s_mov_b32 s1, 0
.LBB62_4440:
	s_delay_alu instid0(SALU_CYCLE_1)
	s_and_not1_b32 vcc_lo, exec_lo, s1
	s_cbranch_vccnz .LBB62_4442
; %bb.4441:
	global_load_u16 v1, v[12:13], off
	s_wait_loadcnt 0x0
	v_cvt_f32_f16_e32 v1, v1
	s_delay_alu instid0(VALU_DEP_1) | instskip(NEXT) | instid1(VALU_DEP_1)
	v_cvt_i32_f32_e32 v10, v1
	v_ashrrev_i32_e32 v11, 31, v10
.LBB62_4442:
	s_mov_b32 s1, 0
.LBB62_4443:
	s_delay_alu instid0(SALU_CYCLE_1)
	s_and_not1_b32 vcc_lo, exec_lo, s1
	s_cbranch_vccnz .LBB62_4463
; %bb.4444:
	s_cmp_lt_i32 s0, 2
	s_cbranch_scc1 .LBB62_4448
; %bb.4445:
	s_cmp_lt_i32 s0, 3
	s_cbranch_scc1 .LBB62_4449
; %bb.4446:
	s_cmp_gt_i32 s0, 3
	s_cbranch_scc0 .LBB62_4450
; %bb.4447:
	s_wait_loadcnt 0x0
	global_load_b64 v[10:11], v[12:13], off
	s_mov_b32 s1, 0
	s_branch .LBB62_4451
.LBB62_4448:
	s_mov_b32 s1, -1
                                        ; implicit-def: $vgpr10_vgpr11
	s_branch .LBB62_4457
.LBB62_4449:
	s_mov_b32 s1, -1
                                        ; implicit-def: $vgpr10_vgpr11
	s_branch .LBB62_4454
.LBB62_4450:
	s_mov_b32 s1, -1
                                        ; implicit-def: $vgpr10_vgpr11
.LBB62_4451:
	s_delay_alu instid0(SALU_CYCLE_1)
	s_and_not1_b32 vcc_lo, exec_lo, s1
	s_cbranch_vccnz .LBB62_4453
; %bb.4452:
	s_wait_loadcnt 0x0
	global_load_b32 v10, v[12:13], off
	s_wait_loadcnt 0x0
	v_ashrrev_i32_e32 v11, 31, v10
.LBB62_4453:
	s_mov_b32 s1, 0
.LBB62_4454:
	s_delay_alu instid0(SALU_CYCLE_1)
	s_and_not1_b32 vcc_lo, exec_lo, s1
	s_cbranch_vccnz .LBB62_4456
; %bb.4455:
	global_load_u16 v1, v[12:13], off
	s_wait_loadcnt 0x0
	v_bfe_i32 v10, v1, 0, 16
	s_delay_alu instid0(VALU_DEP_1)
	v_ashrrev_i32_e32 v11, 31, v10
.LBB62_4456:
	s_mov_b32 s1, 0
.LBB62_4457:
	s_delay_alu instid0(SALU_CYCLE_1)
	s_and_not1_b32 vcc_lo, exec_lo, s1
	s_cbranch_vccnz .LBB62_4463
; %bb.4458:
	s_cmp_gt_i32 s0, 0
	s_mov_b32 s0, 0
	s_cbranch_scc0 .LBB62_4460
; %bb.4459:
	global_load_i8 v1, v[12:13], off
	s_wait_loadcnt 0x0
	v_bfe_i32 v10, v1, 0, 16
	s_delay_alu instid0(VALU_DEP_1)
	v_ashrrev_i32_e32 v11, 31, v10
	s_branch .LBB62_4461
.LBB62_4460:
	s_mov_b32 s0, -1
                                        ; implicit-def: $vgpr10_vgpr11
.LBB62_4461:
	s_delay_alu instid0(SALU_CYCLE_1)
	s_and_not1_b32 vcc_lo, exec_lo, s0
	s_cbranch_vccnz .LBB62_4463
; %bb.4462:
	global_load_u8 v1, v[12:13], off
	s_mov_b32 s0, 0
	s_wait_loadcnt 0x1
	v_mov_b32_e32 v11, s0
	s_wait_loadcnt 0x0
	v_and_b32_e32 v10, 0xffff, v1
.LBB62_4463:
	s_mov_b32 s3, -1
.LBB62_4464:
	s_delay_alu instid0(SALU_CYCLE_1)
	s_and_not1_b32 vcc_lo, exec_lo, s3
	s_cbranch_vccnz .LBB62_4984
; %bb.4465:
	v_add_nc_u32_e32 v2, s70, v2
	s_cmp_lt_i32 s58, 11
	s_delay_alu instid0(VALU_DEP_1) | instskip(NEXT) | instid1(VALU_DEP_1)
	v_ashrrev_i32_e32 v3, 31, v2
	v_add_nc_u64_e32 v[14:15], s[8:9], v[2:3]
	s_cbranch_scc1 .LBB62_4472
; %bb.4466:
	s_and_b32 s0, 0xffff, s58
	s_mov_b32 s2, 0
	s_cmp_gt_i32 s0, 25
	s_cbranch_scc0 .LBB62_4473
; %bb.4467:
	s_cmp_gt_i32 s0, 28
	s_cbranch_scc0 .LBB62_4474
; %bb.4468:
	;; [unrolled: 3-line block ×4, first 2 shown]
	s_cmp_eq_u32 s0, 46
	s_mov_b32 s18, 0
	s_cbranch_scc0 .LBB62_4479
; %bb.4471:
	global_load_b32 v1, v[14:15], off
	s_mov_b32 s1, 0
	s_mov_b32 s3, -1
	s_wait_loadcnt 0x0
	v_lshlrev_b32_e32 v1, 16, v1
	s_delay_alu instid0(VALU_DEP_1) | instskip(NEXT) | instid1(VALU_DEP_1)
	v_trunc_f32_e32 v1, v1
	v_mul_f32_e64 v3, 0x2f800000, |v1|
	s_wait_xcnt 0x1
	v_ashrrev_i32_e32 v12, 31, v1
	s_delay_alu instid0(VALU_DEP_2) | instskip(NEXT) | instid1(VALU_DEP_2)
	v_floor_f32_e32 v3, v3
	v_mov_b32_e32 v13, v12
	s_delay_alu instid0(VALU_DEP_2) | instskip(SKIP_1) | instid1(VALU_DEP_2)
	v_fma_f32 v5, 0xcf800000, v3, |v1|
	v_cvt_u32_f32_e32 v1, v3
	v_cvt_u32_f32_e32 v3, v5
	s_delay_alu instid0(VALU_DEP_2) | instskip(NEXT) | instid1(VALU_DEP_2)
	v_xor_b32_e32 v17, v1, v12
	v_xor_b32_e32 v16, v3, v12
	s_delay_alu instid0(VALU_DEP_1)
	v_sub_nc_u64_e32 v[12:13], v[16:17], v[12:13]
	s_branch .LBB62_4481
.LBB62_4472:
	s_mov_b32 s0, -1
	s_mov_b32 s3, 0
                                        ; implicit-def: $vgpr12_vgpr13
	s_branch .LBB62_4543
.LBB62_4473:
	s_mov_b32 s18, -1
	s_mov_b32 s3, 0
	s_mov_b32 s1, 0
                                        ; implicit-def: $vgpr12_vgpr13
	s_branch .LBB62_4508
.LBB62_4474:
	s_mov_b32 s18, -1
	s_mov_b32 s3, 0
	s_mov_b32 s1, 0
                                        ; implicit-def: $vgpr12_vgpr13
	s_branch .LBB62_4491
.LBB62_4475:
	s_mov_b32 s18, -1
	s_mov_b32 s3, 0
	s_mov_b32 s1, 0
                                        ; implicit-def: $vgpr12_vgpr13
	s_branch .LBB62_4486
.LBB62_4476:
	s_or_b32 s68, s66, exec_lo
	s_trap 2
	s_cbranch_execz .LBB62_4413
	s_branch .LBB62_4414
.LBB62_4477:
	s_mov_b32 s18, -1
	s_mov_b32 s3, 0
	s_mov_b32 s1, 0
	s_branch .LBB62_4480
.LBB62_4478:
	s_or_b32 s17, s17, exec_lo
	s_trap 2
                                        ; implicit-def: $vgpr0
                                        ; implicit-def: $vgpr2
                                        ; implicit-def: $vgpr12_vgpr13
                                        ; implicit-def: $vgpr4
                                        ; implicit-def: $vgpr14_vgpr15
                                        ; implicit-def: $vgpr6
                                        ; implicit-def: $vgpr16_vgpr17
                                        ; implicit-def: $vgpr8
                                        ; implicit-def: $vgpr20_vgpr21
                                        ; implicit-def: $vgpr23
                                        ; implicit-def: $vgpr22
	s_branch .LBB62_4311
.LBB62_4479:
	s_mov_b32 s1, -1
	s_mov_b32 s3, 0
.LBB62_4480:
                                        ; implicit-def: $vgpr12_vgpr13
.LBB62_4481:
	s_and_b32 vcc_lo, exec_lo, s18
	s_cbranch_vccz .LBB62_4485
; %bb.4482:
	s_cmp_eq_u32 s0, 44
	s_cbranch_scc0 .LBB62_4484
; %bb.4483:
	global_load_u8 v1, v[14:15], off
	s_mov_b32 s1, 0
	s_mov_b32 s3, -1
	s_wait_loadcnt 0x0
	v_lshlrev_b32_e32 v3, 23, v1
	v_cmp_ne_u32_e32 vcc_lo, 0, v1
	s_delay_alu instid0(VALU_DEP_2) | instskip(NEXT) | instid1(VALU_DEP_1)
	v_trunc_f32_e32 v3, v3
	v_mul_f32_e64 v5, 0x2f800000, |v3|
	s_wait_xcnt 0x1
	v_ashrrev_i32_e32 v12, 31, v3
	s_delay_alu instid0(VALU_DEP_2) | instskip(NEXT) | instid1(VALU_DEP_2)
	v_floor_f32_e32 v5, v5
	v_mov_b32_e32 v13, v12
	s_delay_alu instid0(VALU_DEP_2) | instskip(SKIP_1) | instid1(VALU_DEP_2)
	v_fma_f32 v7, 0xcf800000, v5, |v3|
	v_cvt_u32_f32_e32 v3, v5
	v_cvt_u32_f32_e32 v5, v7
	s_delay_alu instid0(VALU_DEP_2) | instskip(NEXT) | instid1(VALU_DEP_2)
	v_xor_b32_e32 v17, v3, v12
	v_xor_b32_e32 v16, v5, v12
	s_delay_alu instid0(VALU_DEP_1) | instskip(NEXT) | instid1(VALU_DEP_1)
	v_sub_nc_u64_e32 v[12:13], v[16:17], v[12:13]
	v_dual_cndmask_b32 v13, 0, v13 :: v_dual_cndmask_b32 v12, 0, v12
	s_branch .LBB62_4485
.LBB62_4484:
	s_mov_b32 s1, -1
                                        ; implicit-def: $vgpr12_vgpr13
.LBB62_4485:
	s_mov_b32 s18, 0
.LBB62_4486:
	s_delay_alu instid0(SALU_CYCLE_1)
	s_and_b32 vcc_lo, exec_lo, s18
	s_cbranch_vccz .LBB62_4490
; %bb.4487:
	s_cmp_eq_u32 s0, 29
	s_cbranch_scc0 .LBB62_4489
; %bb.4488:
	global_load_b64 v[12:13], v[14:15], off
	s_mov_b32 s1, 0
	s_mov_b32 s3, -1
	s_branch .LBB62_4490
.LBB62_4489:
	s_mov_b32 s1, -1
                                        ; implicit-def: $vgpr12_vgpr13
.LBB62_4490:
	s_mov_b32 s18, 0
.LBB62_4491:
	s_delay_alu instid0(SALU_CYCLE_1)
	s_and_b32 vcc_lo, exec_lo, s18
	s_cbranch_vccz .LBB62_4507
; %bb.4492:
	s_cmp_lt_i32 s0, 27
	s_cbranch_scc1 .LBB62_4495
; %bb.4493:
	s_cmp_gt_i32 s0, 27
	s_cbranch_scc0 .LBB62_4496
; %bb.4494:
	s_wait_loadcnt 0x0
	global_load_b32 v12, v[14:15], off
	v_mov_b32_e32 v13, 0
	s_mov_b32 s3, 0
	s_branch .LBB62_4497
.LBB62_4495:
	s_mov_b32 s3, -1
                                        ; implicit-def: $vgpr12_vgpr13
	s_branch .LBB62_4500
.LBB62_4496:
	s_mov_b32 s3, -1
                                        ; implicit-def: $vgpr12_vgpr13
.LBB62_4497:
	s_delay_alu instid0(SALU_CYCLE_1)
	s_and_not1_b32 vcc_lo, exec_lo, s3
	s_cbranch_vccnz .LBB62_4499
; %bb.4498:
	global_load_u16 v1, v[14:15], off
	s_mov_b32 s3, 0
	s_wait_loadcnt 0x1
	s_wait_xcnt 0x1
	v_mov_b32_e32 v13, s3
	s_wait_loadcnt 0x0
	v_and_b32_e32 v12, 0xffff, v1
.LBB62_4499:
	s_mov_b32 s3, 0
.LBB62_4500:
	s_delay_alu instid0(SALU_CYCLE_1)
	s_and_not1_b32 vcc_lo, exec_lo, s3
	s_cbranch_vccnz .LBB62_4506
; %bb.4501:
	global_load_u8 v1, v[14:15], off
	s_mov_b32 s18, 0
	s_mov_b32 s3, exec_lo
	s_wait_loadcnt 0x0
	v_cmpx_lt_i16_e32 0x7f, v1
	s_xor_b32 s3, exec_lo, s3
	s_cbranch_execz .LBB62_4518
; %bb.4502:
	v_cmp_ne_u16_e32 vcc_lo, 0x80, v1
	s_and_b32 s18, vcc_lo, exec_lo
	s_and_not1_saveexec_b32 s3, s3
	s_cbranch_execnz .LBB62_4519
.LBB62_4503:
	s_or_b32 exec_lo, exec_lo, s3
	v_mov_b64_e32 v[12:13], 0
	s_and_saveexec_b32 s3, s18
	s_cbranch_execz .LBB62_4505
.LBB62_4504:
	v_and_b32_e32 v3, 0xffff, v1
	s_delay_alu instid0(VALU_DEP_1) | instskip(SKIP_1) | instid1(VALU_DEP_2)
	v_dual_lshlrev_b32 v1, 24, v1 :: v_dual_bitop2_b32 v5, 7, v3 bitop3:0x40
	v_bfe_u32 v12, v3, 3, 4
	v_and_b32_e32 v1, 0x80000000, v1
	s_delay_alu instid0(VALU_DEP_3) | instskip(NEXT) | instid1(VALU_DEP_3)
	v_clz_i32_u32_e32 v7, v5
	v_cmp_eq_u32_e32 vcc_lo, 0, v12
	s_delay_alu instid0(VALU_DEP_2) | instskip(NEXT) | instid1(VALU_DEP_1)
	v_min_u32_e32 v7, 32, v7
	v_subrev_nc_u32_e32 v9, 28, v7
	v_sub_nc_u32_e32 v7, 29, v7
	s_delay_alu instid0(VALU_DEP_2) | instskip(NEXT) | instid1(VALU_DEP_2)
	v_lshlrev_b32_e32 v3, v9, v3
	v_cndmask_b32_e32 v7, v12, v7, vcc_lo
	s_delay_alu instid0(VALU_DEP_2) | instskip(NEXT) | instid1(VALU_DEP_1)
	v_and_b32_e32 v3, 7, v3
	v_cndmask_b32_e32 v3, v5, v3, vcc_lo
	s_delay_alu instid0(VALU_DEP_3) | instskip(NEXT) | instid1(VALU_DEP_2)
	v_lshl_add_u32 v5, v7, 23, 0x3b800000
	v_lshlrev_b32_e32 v3, 20, v3
	s_delay_alu instid0(VALU_DEP_1) | instskip(NEXT) | instid1(VALU_DEP_1)
	v_or3_b32 v1, v1, v5, v3
	v_trunc_f32_e32 v1, v1
	s_delay_alu instid0(VALU_DEP_1) | instskip(SKIP_1) | instid1(VALU_DEP_2)
	v_mul_f32_e64 v3, 0x2f800000, |v1|
	v_ashrrev_i32_e32 v12, 31, v1
	v_floor_f32_e32 v3, v3
	s_delay_alu instid0(VALU_DEP_2) | instskip(NEXT) | instid1(VALU_DEP_2)
	v_mov_b32_e32 v13, v12
	v_fma_f32 v5, 0xcf800000, v3, |v1|
	v_cvt_u32_f32_e32 v1, v3
	s_delay_alu instid0(VALU_DEP_2) | instskip(NEXT) | instid1(VALU_DEP_2)
	v_cvt_u32_f32_e32 v3, v5
	v_xor_b32_e32 v17, v1, v12
	s_delay_alu instid0(VALU_DEP_2) | instskip(NEXT) | instid1(VALU_DEP_1)
	v_xor_b32_e32 v16, v3, v12
	v_sub_nc_u64_e32 v[12:13], v[16:17], v[12:13]
.LBB62_4505:
	s_or_b32 exec_lo, exec_lo, s3
.LBB62_4506:
	s_mov_b32 s3, -1
.LBB62_4507:
	s_mov_b32 s18, 0
.LBB62_4508:
	s_delay_alu instid0(SALU_CYCLE_1)
	s_and_b32 vcc_lo, exec_lo, s18
	s_cbranch_vccz .LBB62_4539
; %bb.4509:
	s_cmp_gt_i32 s0, 22
	s_cbranch_scc0 .LBB62_4517
; %bb.4510:
	s_cmp_lt_i32 s0, 24
	s_cbranch_scc1 .LBB62_4520
; %bb.4511:
	s_cmp_gt_i32 s0, 24
	s_cbranch_scc0 .LBB62_4521
; %bb.4512:
	global_load_u8 v1, v[14:15], off
	s_mov_b32 s3, 0
	s_mov_b32 s2, exec_lo
	s_wait_loadcnt 0x0
	v_cmpx_lt_i16_e32 0x7f, v1
	s_xor_b32 s2, exec_lo, s2
	s_cbranch_execz .LBB62_4533
; %bb.4513:
	v_cmp_ne_u16_e32 vcc_lo, 0x80, v1
	s_and_b32 s3, vcc_lo, exec_lo
	s_and_not1_saveexec_b32 s2, s2
	s_cbranch_execnz .LBB62_4534
.LBB62_4514:
	s_or_b32 exec_lo, exec_lo, s2
	v_mov_b64_e32 v[12:13], 0
	s_and_saveexec_b32 s2, s3
	s_cbranch_execz .LBB62_4516
.LBB62_4515:
	v_and_b32_e32 v3, 0xffff, v1
	s_delay_alu instid0(VALU_DEP_1) | instskip(SKIP_1) | instid1(VALU_DEP_2)
	v_dual_lshlrev_b32 v1, 24, v1 :: v_dual_bitop2_b32 v5, 3, v3 bitop3:0x40
	v_bfe_u32 v12, v3, 2, 5
	v_and_b32_e32 v1, 0x80000000, v1
	s_delay_alu instid0(VALU_DEP_3) | instskip(NEXT) | instid1(VALU_DEP_3)
	v_clz_i32_u32_e32 v7, v5
	v_cmp_eq_u32_e32 vcc_lo, 0, v12
	s_delay_alu instid0(VALU_DEP_2) | instskip(NEXT) | instid1(VALU_DEP_1)
	v_min_u32_e32 v7, 32, v7
	v_subrev_nc_u32_e32 v9, 29, v7
	v_sub_nc_u32_e32 v7, 30, v7
	s_delay_alu instid0(VALU_DEP_2) | instskip(NEXT) | instid1(VALU_DEP_2)
	v_lshlrev_b32_e32 v3, v9, v3
	v_cndmask_b32_e32 v7, v12, v7, vcc_lo
	s_delay_alu instid0(VALU_DEP_2) | instskip(NEXT) | instid1(VALU_DEP_1)
	v_and_b32_e32 v3, 3, v3
	v_cndmask_b32_e32 v3, v5, v3, vcc_lo
	s_delay_alu instid0(VALU_DEP_3) | instskip(NEXT) | instid1(VALU_DEP_2)
	v_lshl_add_u32 v5, v7, 23, 0x37800000
	v_lshlrev_b32_e32 v3, 21, v3
	s_delay_alu instid0(VALU_DEP_1) | instskip(NEXT) | instid1(VALU_DEP_1)
	v_or3_b32 v1, v1, v5, v3
	v_trunc_f32_e32 v1, v1
	s_delay_alu instid0(VALU_DEP_1) | instskip(SKIP_1) | instid1(VALU_DEP_2)
	v_mul_f32_e64 v3, 0x2f800000, |v1|
	v_ashrrev_i32_e32 v12, 31, v1
	v_floor_f32_e32 v3, v3
	s_delay_alu instid0(VALU_DEP_2) | instskip(NEXT) | instid1(VALU_DEP_2)
	v_mov_b32_e32 v13, v12
	v_fma_f32 v5, 0xcf800000, v3, |v1|
	v_cvt_u32_f32_e32 v1, v3
	s_delay_alu instid0(VALU_DEP_2) | instskip(NEXT) | instid1(VALU_DEP_2)
	v_cvt_u32_f32_e32 v3, v5
	v_xor_b32_e32 v17, v1, v12
	s_delay_alu instid0(VALU_DEP_2) | instskip(NEXT) | instid1(VALU_DEP_1)
	v_xor_b32_e32 v16, v3, v12
	v_sub_nc_u64_e32 v[12:13], v[16:17], v[12:13]
.LBB62_4516:
	s_or_b32 exec_lo, exec_lo, s2
	s_mov_b32 s2, 0
	s_branch .LBB62_4522
.LBB62_4517:
	s_mov_b32 s2, -1
                                        ; implicit-def: $vgpr12_vgpr13
	s_branch .LBB62_4528
.LBB62_4518:
	s_and_not1_saveexec_b32 s3, s3
	s_cbranch_execz .LBB62_4503
.LBB62_4519:
	v_cmp_ne_u16_e32 vcc_lo, 0, v1
	s_and_not1_b32 s18, s18, exec_lo
	s_and_b32 s19, vcc_lo, exec_lo
	s_delay_alu instid0(SALU_CYCLE_1)
	s_or_b32 s18, s18, s19
	s_or_b32 exec_lo, exec_lo, s3
	v_mov_b64_e32 v[12:13], 0
	s_and_saveexec_b32 s3, s18
	s_cbranch_execnz .LBB62_4504
	s_branch .LBB62_4505
.LBB62_4520:
	s_mov_b32 s2, -1
                                        ; implicit-def: $vgpr12_vgpr13
	s_branch .LBB62_4525
.LBB62_4521:
	s_mov_b32 s2, -1
                                        ; implicit-def: $vgpr12_vgpr13
.LBB62_4522:
	s_delay_alu instid0(SALU_CYCLE_1)
	s_and_b32 vcc_lo, exec_lo, s2
	s_cbranch_vccz .LBB62_4524
; %bb.4523:
	global_load_u8 v1, v[14:15], off
	s_wait_loadcnt 0x0
	v_lshlrev_b32_e32 v1, 24, v1
	s_delay_alu instid0(VALU_DEP_1) | instskip(NEXT) | instid1(VALU_DEP_1)
	v_and_b32_e32 v3, 0x7f000000, v1
	v_clz_i32_u32_e32 v5, v3
	v_add_nc_u32_e32 v9, 0x1000000, v3
	v_cmp_ne_u32_e32 vcc_lo, 0, v3
	s_delay_alu instid0(VALU_DEP_3) | instskip(NEXT) | instid1(VALU_DEP_1)
	v_min_u32_e32 v5, 32, v5
	v_sub_nc_u32_e64 v5, v5, 4 clamp
	s_delay_alu instid0(VALU_DEP_1) | instskip(NEXT) | instid1(VALU_DEP_1)
	v_dual_lshlrev_b32 v7, v5, v3 :: v_dual_lshlrev_b32 v5, 23, v5
	v_lshrrev_b32_e32 v7, 4, v7
	s_delay_alu instid0(VALU_DEP_1) | instskip(SKIP_1) | instid1(VALU_DEP_2)
	v_sub_nc_u32_e32 v5, v7, v5
	v_ashrrev_i32_e32 v7, 8, v9
	v_add_nc_u32_e32 v5, 0x3c000000, v5
	s_delay_alu instid0(VALU_DEP_1) | instskip(NEXT) | instid1(VALU_DEP_1)
	v_and_or_b32 v5, 0x7f800000, v7, v5
	v_cndmask_b32_e32 v3, 0, v5, vcc_lo
	s_delay_alu instid0(VALU_DEP_1) | instskip(NEXT) | instid1(VALU_DEP_1)
	v_and_or_b32 v1, 0x80000000, v1, v3
	v_trunc_f32_e32 v1, v1
	s_delay_alu instid0(VALU_DEP_1) | instskip(SKIP_2) | instid1(VALU_DEP_2)
	v_mul_f32_e64 v3, 0x2f800000, |v1|
	s_wait_xcnt 0x1
	v_ashrrev_i32_e32 v12, 31, v1
	v_floor_f32_e32 v3, v3
	s_delay_alu instid0(VALU_DEP_2) | instskip(NEXT) | instid1(VALU_DEP_2)
	v_mov_b32_e32 v13, v12
	v_fma_f32 v5, 0xcf800000, v3, |v1|
	v_cvt_u32_f32_e32 v1, v3
	s_delay_alu instid0(VALU_DEP_2) | instskip(NEXT) | instid1(VALU_DEP_2)
	v_cvt_u32_f32_e32 v3, v5
	v_xor_b32_e32 v17, v1, v12
	s_delay_alu instid0(VALU_DEP_2) | instskip(NEXT) | instid1(VALU_DEP_1)
	v_xor_b32_e32 v16, v3, v12
	v_sub_nc_u64_e32 v[12:13], v[16:17], v[12:13]
.LBB62_4524:
	s_mov_b32 s2, 0
.LBB62_4525:
	s_delay_alu instid0(SALU_CYCLE_1)
	s_and_not1_b32 vcc_lo, exec_lo, s2
	s_cbranch_vccnz .LBB62_4527
; %bb.4526:
	global_load_u8 v1, v[14:15], off
	s_wait_loadcnt 0x0
	v_lshlrev_b32_e32 v3, 25, v1
	v_lshlrev_b16 v1, 8, v1
	s_delay_alu instid0(VALU_DEP_1) | instskip(SKIP_1) | instid1(VALU_DEP_2)
	v_and_or_b32 v7, 0x7f00, v1, 0.5
	v_bfe_i32 v1, v1, 0, 16
	v_add_f32_e32 v7, -0.5, v7
	v_lshrrev_b32_e32 v5, 4, v3
	v_cmp_gt_u32_e32 vcc_lo, 0x8000000, v3
	s_delay_alu instid0(VALU_DEP_2) | instskip(NEXT) | instid1(VALU_DEP_1)
	v_or_b32_e32 v5, 0x70000000, v5
	v_mul_f32_e32 v5, 0x7800000, v5
	s_delay_alu instid0(VALU_DEP_1) | instskip(NEXT) | instid1(VALU_DEP_1)
	v_cndmask_b32_e32 v3, v5, v7, vcc_lo
	v_and_or_b32 v1, 0x80000000, v1, v3
	s_delay_alu instid0(VALU_DEP_1) | instskip(NEXT) | instid1(VALU_DEP_1)
	v_trunc_f32_e32 v1, v1
	v_mul_f32_e64 v3, 0x2f800000, |v1|
	s_wait_xcnt 0x1
	v_ashrrev_i32_e32 v12, 31, v1
	s_delay_alu instid0(VALU_DEP_2) | instskip(NEXT) | instid1(VALU_DEP_2)
	v_floor_f32_e32 v3, v3
	v_mov_b32_e32 v13, v12
	s_delay_alu instid0(VALU_DEP_2) | instskip(SKIP_1) | instid1(VALU_DEP_2)
	v_fma_f32 v5, 0xcf800000, v3, |v1|
	v_cvt_u32_f32_e32 v1, v3
	v_cvt_u32_f32_e32 v3, v5
	s_delay_alu instid0(VALU_DEP_2) | instskip(NEXT) | instid1(VALU_DEP_2)
	v_xor_b32_e32 v17, v1, v12
	v_xor_b32_e32 v16, v3, v12
	s_delay_alu instid0(VALU_DEP_1)
	v_sub_nc_u64_e32 v[12:13], v[16:17], v[12:13]
.LBB62_4527:
	s_mov_b32 s2, 0
	s_mov_b32 s3, -1
.LBB62_4528:
	s_and_not1_b32 vcc_lo, exec_lo, s2
	s_mov_b32 s2, 0
	s_cbranch_vccnz .LBB62_4539
; %bb.4529:
	s_cmp_gt_i32 s0, 14
	s_cbranch_scc0 .LBB62_4532
; %bb.4530:
	s_cmp_eq_u32 s0, 15
	s_cbranch_scc0 .LBB62_4535
; %bb.4531:
	global_load_u16 v1, v[14:15], off
	s_mov_b32 s1, 0
	s_mov_b32 s3, -1
	s_wait_loadcnt 0x0
	v_lshlrev_b32_e32 v1, 16, v1
	s_delay_alu instid0(VALU_DEP_1) | instskip(NEXT) | instid1(VALU_DEP_1)
	v_trunc_f32_e32 v1, v1
	v_mul_f32_e64 v3, 0x2f800000, |v1|
	s_wait_xcnt 0x1
	v_ashrrev_i32_e32 v12, 31, v1
	s_delay_alu instid0(VALU_DEP_2) | instskip(NEXT) | instid1(VALU_DEP_2)
	v_floor_f32_e32 v3, v3
	v_mov_b32_e32 v13, v12
	s_delay_alu instid0(VALU_DEP_2) | instskip(SKIP_1) | instid1(VALU_DEP_2)
	v_fma_f32 v5, 0xcf800000, v3, |v1|
	v_cvt_u32_f32_e32 v1, v3
	v_cvt_u32_f32_e32 v3, v5
	s_delay_alu instid0(VALU_DEP_2) | instskip(NEXT) | instid1(VALU_DEP_2)
	v_xor_b32_e32 v17, v1, v12
	v_xor_b32_e32 v16, v3, v12
	s_delay_alu instid0(VALU_DEP_1)
	v_sub_nc_u64_e32 v[12:13], v[16:17], v[12:13]
	s_branch .LBB62_4537
.LBB62_4532:
	s_mov_b32 s2, -1
	s_branch .LBB62_4536
.LBB62_4533:
	s_and_not1_saveexec_b32 s2, s2
	s_cbranch_execz .LBB62_4514
.LBB62_4534:
	v_cmp_ne_u16_e32 vcc_lo, 0, v1
	s_and_not1_b32 s3, s3, exec_lo
	s_and_b32 s18, vcc_lo, exec_lo
	s_delay_alu instid0(SALU_CYCLE_1)
	s_or_b32 s3, s3, s18
	s_or_b32 exec_lo, exec_lo, s2
	v_mov_b64_e32 v[12:13], 0
	s_and_saveexec_b32 s2, s3
	s_cbranch_execnz .LBB62_4515
	s_branch .LBB62_4516
.LBB62_4535:
	s_mov_b32 s1, -1
.LBB62_4536:
                                        ; implicit-def: $vgpr12_vgpr13
.LBB62_4537:
	s_and_b32 vcc_lo, exec_lo, s2
	s_mov_b32 s2, 0
	s_cbranch_vccz .LBB62_4539
; %bb.4538:
	s_cmp_lg_u32 s0, 11
	s_mov_b32 s2, -1
	s_cselect_b32 s1, -1, 0
.LBB62_4539:
	s_delay_alu instid0(SALU_CYCLE_1)
	s_and_b32 vcc_lo, exec_lo, s1
	s_cbranch_vccnz .LBB62_4604
; %bb.4540:
	s_and_not1_b32 vcc_lo, exec_lo, s2
	s_cbranch_vccnz .LBB62_4542
.LBB62_4541:
	global_load_u8 v1, v[14:15], off
	s_mov_b32 s0, 0
	s_mov_b32 s3, -1
	s_wait_loadcnt 0x1
	s_wait_xcnt 0x1
	v_mov_b32_e32 v13, s0
	s_wait_loadcnt 0x0
	v_cmp_ne_u16_e32 vcc_lo, 0, v1
	v_cndmask_b32_e64 v12, 0, 1, vcc_lo
.LBB62_4542:
	s_mov_b32 s0, 0
.LBB62_4543:
	s_delay_alu instid0(SALU_CYCLE_1)
	s_and_b32 vcc_lo, exec_lo, s0
	s_cbranch_vccz .LBB62_4592
; %bb.4544:
	s_and_b32 s0, 0xffff, s58
	s_delay_alu instid0(SALU_CYCLE_1)
	s_cmp_lt_i32 s0, 5
	s_cbranch_scc1 .LBB62_4549
; %bb.4545:
	s_cmp_lt_i32 s0, 8
	s_cbranch_scc1 .LBB62_4550
; %bb.4546:
	;; [unrolled: 3-line block ×3, first 2 shown]
	s_cmp_gt_i32 s0, 9
	s_cbranch_scc0 .LBB62_4552
; %bb.4548:
	s_wait_loadcnt 0x0
	global_load_b64 v[12:13], v[14:15], off
	s_mov_b32 s1, 0
	s_wait_loadcnt 0x0
	v_trunc_f64_e32 v[12:13], v[12:13]
	s_delay_alu instid0(VALU_DEP_1) | instskip(NEXT) | instid1(VALU_DEP_1)
	v_ldexp_f64 v[16:17], v[12:13], 0xffffffe0
	v_floor_f64_e32 v[16:17], v[16:17]
	s_delay_alu instid0(VALU_DEP_1) | instskip(SKIP_1) | instid1(VALU_DEP_2)
	v_fmamk_f64 v[18:19], v[16:17], 0xc1f00000, v[12:13]
	v_cvt_i32_f64_e32 v13, v[16:17]
	v_cvt_u32_f64_e32 v12, v[18:19]
	s_branch .LBB62_4553
.LBB62_4549:
	s_mov_b32 s1, -1
                                        ; implicit-def: $vgpr12_vgpr13
	s_branch .LBB62_4571
.LBB62_4550:
	s_mov_b32 s1, -1
                                        ; implicit-def: $vgpr12_vgpr13
	s_branch .LBB62_4559
.LBB62_4551:
	s_mov_b32 s1, -1
                                        ; implicit-def: $vgpr12_vgpr13
	s_branch .LBB62_4556
.LBB62_4552:
	s_mov_b32 s1, -1
                                        ; implicit-def: $vgpr12_vgpr13
.LBB62_4553:
	s_delay_alu instid0(SALU_CYCLE_1)
	s_and_not1_b32 vcc_lo, exec_lo, s1
	s_cbranch_vccnz .LBB62_4555
; %bb.4554:
	global_load_b32 v1, v[14:15], off
	s_wait_loadcnt 0x0
	v_trunc_f32_e32 v1, v1
	s_delay_alu instid0(VALU_DEP_1) | instskip(SKIP_2) | instid1(VALU_DEP_2)
	v_mul_f32_e64 v3, 0x2f800000, |v1|
	s_wait_xcnt 0x1
	v_ashrrev_i32_e32 v12, 31, v1
	v_floor_f32_e32 v3, v3
	s_delay_alu instid0(VALU_DEP_1) | instskip(SKIP_1) | instid1(VALU_DEP_4)
	v_fma_f32 v5, 0xcf800000, v3, |v1|
	v_cvt_u32_f32_e32 v1, v3
	v_mov_b32_e32 v13, v12
	s_delay_alu instid0(VALU_DEP_3) | instskip(NEXT) | instid1(VALU_DEP_3)
	v_cvt_u32_f32_e32 v3, v5
	v_xor_b32_e32 v17, v1, v12
	s_delay_alu instid0(VALU_DEP_2) | instskip(NEXT) | instid1(VALU_DEP_1)
	v_xor_b32_e32 v16, v3, v12
	v_sub_nc_u64_e32 v[12:13], v[16:17], v[12:13]
.LBB62_4555:
	s_mov_b32 s1, 0
.LBB62_4556:
	s_delay_alu instid0(SALU_CYCLE_1)
	s_and_not1_b32 vcc_lo, exec_lo, s1
	s_cbranch_vccnz .LBB62_4558
; %bb.4557:
	global_load_b32 v1, v[14:15], off
	s_wait_loadcnt 0x0
	v_cvt_f32_f16_e32 v1, v1
	s_wait_xcnt 0x1
	s_delay_alu instid0(VALU_DEP_1) | instskip(NEXT) | instid1(VALU_DEP_1)
	v_cvt_i32_f32_e32 v12, v1
	v_ashrrev_i32_e32 v13, 31, v12
.LBB62_4558:
	s_mov_b32 s1, 0
.LBB62_4559:
	s_delay_alu instid0(SALU_CYCLE_1)
	s_and_not1_b32 vcc_lo, exec_lo, s1
	s_cbranch_vccnz .LBB62_4570
; %bb.4560:
	s_cmp_lt_i32 s0, 6
	s_cbranch_scc1 .LBB62_4563
; %bb.4561:
	s_cmp_gt_i32 s0, 6
	s_cbranch_scc0 .LBB62_4564
; %bb.4562:
	s_wait_loadcnt 0x0
	global_load_b64 v[12:13], v[14:15], off
	s_mov_b32 s1, 0
	s_wait_loadcnt 0x0
	v_trunc_f64_e32 v[12:13], v[12:13]
	s_delay_alu instid0(VALU_DEP_1) | instskip(NEXT) | instid1(VALU_DEP_1)
	v_ldexp_f64 v[16:17], v[12:13], 0xffffffe0
	v_floor_f64_e32 v[16:17], v[16:17]
	s_delay_alu instid0(VALU_DEP_1) | instskip(SKIP_1) | instid1(VALU_DEP_2)
	v_fmamk_f64 v[18:19], v[16:17], 0xc1f00000, v[12:13]
	v_cvt_i32_f64_e32 v13, v[16:17]
	v_cvt_u32_f64_e32 v12, v[18:19]
	s_branch .LBB62_4565
.LBB62_4563:
	s_mov_b32 s1, -1
                                        ; implicit-def: $vgpr12_vgpr13
	s_branch .LBB62_4568
.LBB62_4564:
	s_mov_b32 s1, -1
                                        ; implicit-def: $vgpr12_vgpr13
.LBB62_4565:
	s_delay_alu instid0(SALU_CYCLE_1)
	s_and_not1_b32 vcc_lo, exec_lo, s1
	s_cbranch_vccnz .LBB62_4567
; %bb.4566:
	global_load_b32 v1, v[14:15], off
	s_wait_loadcnt 0x0
	v_trunc_f32_e32 v1, v1
	s_delay_alu instid0(VALU_DEP_1) | instskip(SKIP_2) | instid1(VALU_DEP_2)
	v_mul_f32_e64 v3, 0x2f800000, |v1|
	s_wait_xcnt 0x1
	v_ashrrev_i32_e32 v12, 31, v1
	v_floor_f32_e32 v3, v3
	s_delay_alu instid0(VALU_DEP_1) | instskip(SKIP_1) | instid1(VALU_DEP_4)
	v_fma_f32 v5, 0xcf800000, v3, |v1|
	v_cvt_u32_f32_e32 v1, v3
	v_mov_b32_e32 v13, v12
	s_delay_alu instid0(VALU_DEP_3) | instskip(NEXT) | instid1(VALU_DEP_3)
	v_cvt_u32_f32_e32 v3, v5
	v_xor_b32_e32 v17, v1, v12
	s_delay_alu instid0(VALU_DEP_2) | instskip(NEXT) | instid1(VALU_DEP_1)
	v_xor_b32_e32 v16, v3, v12
	v_sub_nc_u64_e32 v[12:13], v[16:17], v[12:13]
.LBB62_4567:
	s_mov_b32 s1, 0
.LBB62_4568:
	s_delay_alu instid0(SALU_CYCLE_1)
	s_and_not1_b32 vcc_lo, exec_lo, s1
	s_cbranch_vccnz .LBB62_4570
; %bb.4569:
	global_load_u16 v1, v[14:15], off
	s_wait_loadcnt 0x0
	v_cvt_f32_f16_e32 v1, v1
	s_wait_xcnt 0x1
	s_delay_alu instid0(VALU_DEP_1) | instskip(NEXT) | instid1(VALU_DEP_1)
	v_cvt_i32_f32_e32 v12, v1
	v_ashrrev_i32_e32 v13, 31, v12
.LBB62_4570:
	s_mov_b32 s1, 0
.LBB62_4571:
	s_delay_alu instid0(SALU_CYCLE_1)
	s_and_not1_b32 vcc_lo, exec_lo, s1
	s_cbranch_vccnz .LBB62_4591
; %bb.4572:
	s_cmp_lt_i32 s0, 2
	s_cbranch_scc1 .LBB62_4576
; %bb.4573:
	s_cmp_lt_i32 s0, 3
	s_cbranch_scc1 .LBB62_4577
; %bb.4574:
	s_cmp_gt_i32 s0, 3
	s_cbranch_scc0 .LBB62_4578
; %bb.4575:
	s_wait_loadcnt 0x0
	global_load_b64 v[12:13], v[14:15], off
	s_mov_b32 s1, 0
	s_branch .LBB62_4579
.LBB62_4576:
	s_mov_b32 s1, -1
                                        ; implicit-def: $vgpr12_vgpr13
	s_branch .LBB62_4585
.LBB62_4577:
	s_mov_b32 s1, -1
                                        ; implicit-def: $vgpr12_vgpr13
	s_branch .LBB62_4582
.LBB62_4578:
	s_mov_b32 s1, -1
                                        ; implicit-def: $vgpr12_vgpr13
.LBB62_4579:
	s_delay_alu instid0(SALU_CYCLE_1)
	s_and_not1_b32 vcc_lo, exec_lo, s1
	s_cbranch_vccnz .LBB62_4581
; %bb.4580:
	s_wait_loadcnt 0x0
	global_load_b32 v12, v[14:15], off
	s_wait_loadcnt 0x0
	v_ashrrev_i32_e32 v13, 31, v12
.LBB62_4581:
	s_mov_b32 s1, 0
.LBB62_4582:
	s_delay_alu instid0(SALU_CYCLE_1)
	s_and_not1_b32 vcc_lo, exec_lo, s1
	s_cbranch_vccnz .LBB62_4584
; %bb.4583:
	global_load_u16 v1, v[14:15], off
	s_wait_loadcnt 0x0
	s_wait_xcnt 0x1
	v_bfe_i32 v12, v1, 0, 16
	s_delay_alu instid0(VALU_DEP_1)
	v_ashrrev_i32_e32 v13, 31, v12
.LBB62_4584:
	s_mov_b32 s1, 0
.LBB62_4585:
	s_delay_alu instid0(SALU_CYCLE_1)
	s_and_not1_b32 vcc_lo, exec_lo, s1
	s_cbranch_vccnz .LBB62_4591
; %bb.4586:
	s_cmp_gt_i32 s0, 0
	s_mov_b32 s0, 0
	s_cbranch_scc0 .LBB62_4588
; %bb.4587:
	global_load_i8 v1, v[14:15], off
	s_wait_loadcnt 0x0
	s_wait_xcnt 0x1
	v_bfe_i32 v12, v1, 0, 16
	s_delay_alu instid0(VALU_DEP_1)
	v_ashrrev_i32_e32 v13, 31, v12
	s_branch .LBB62_4589
.LBB62_4588:
	s_mov_b32 s0, -1
                                        ; implicit-def: $vgpr12_vgpr13
.LBB62_4589:
	s_delay_alu instid0(SALU_CYCLE_1)
	s_and_not1_b32 vcc_lo, exec_lo, s0
	s_cbranch_vccnz .LBB62_4591
; %bb.4590:
	global_load_u8 v1, v[14:15], off
	s_mov_b32 s0, 0
	s_wait_loadcnt 0x1
	s_wait_xcnt 0x1
	v_mov_b32_e32 v13, s0
	s_wait_loadcnt 0x0
	v_and_b32_e32 v12, 0xffff, v1
.LBB62_4591:
	s_mov_b32 s3, -1
.LBB62_4592:
	s_delay_alu instid0(SALU_CYCLE_1)
	s_and_not1_b32 vcc_lo, exec_lo, s3
	s_cbranch_vccnz .LBB62_4984
; %bb.4593:
	v_add_nc_u32_e32 v4, s71, v4
	s_cmp_lt_i32 s59, 11
	s_delay_alu instid0(VALU_DEP_1) | instskip(NEXT) | instid1(VALU_DEP_1)
	v_ashrrev_i32_e32 v5, 31, v4
	v_add_nc_u64_e32 v[16:17], s[10:11], v[4:5]
	s_cbranch_scc1 .LBB62_4600
; %bb.4594:
	s_and_b32 s0, 0xffff, s59
	s_mov_b32 s2, 0
	s_cmp_gt_i32 s0, 25
	s_cbranch_scc0 .LBB62_4601
; %bb.4595:
	s_cmp_gt_i32 s0, 28
	s_cbranch_scc0 .LBB62_4602
; %bb.4596:
	;; [unrolled: 3-line block ×4, first 2 shown]
	s_cmp_eq_u32 s0, 46
	s_mov_b32 s18, 0
	s_cbranch_scc0 .LBB62_4607
; %bb.4599:
	global_load_b32 v1, v[16:17], off
	s_mov_b32 s1, 0
	s_mov_b32 s3, -1
	s_wait_loadcnt 0x0
	v_lshlrev_b32_e32 v1, 16, v1
	s_delay_alu instid0(VALU_DEP_1) | instskip(NEXT) | instid1(VALU_DEP_1)
	v_trunc_f32_e32 v1, v1
	v_mul_f32_e64 v3, 0x2f800000, |v1|
	s_wait_xcnt 0x1
	v_ashrrev_i32_e32 v14, 31, v1
	s_delay_alu instid0(VALU_DEP_2) | instskip(NEXT) | instid1(VALU_DEP_2)
	v_floor_f32_e32 v3, v3
	v_mov_b32_e32 v15, v14
	s_delay_alu instid0(VALU_DEP_2) | instskip(SKIP_1) | instid1(VALU_DEP_2)
	v_fma_f32 v5, 0xcf800000, v3, |v1|
	v_cvt_u32_f32_e32 v1, v3
	v_cvt_u32_f32_e32 v3, v5
	s_delay_alu instid0(VALU_DEP_2) | instskip(NEXT) | instid1(VALU_DEP_2)
	v_xor_b32_e32 v19, v1, v14
	v_xor_b32_e32 v18, v3, v14
	s_delay_alu instid0(VALU_DEP_1)
	v_sub_nc_u64_e32 v[14:15], v[18:19], v[14:15]
	s_branch .LBB62_4609
.LBB62_4600:
	s_mov_b32 s0, -1
	s_mov_b32 s3, 0
                                        ; implicit-def: $vgpr14_vgpr15
	s_branch .LBB62_4671
.LBB62_4601:
	s_mov_b32 s18, -1
	s_mov_b32 s3, 0
	s_mov_b32 s1, 0
                                        ; implicit-def: $vgpr14_vgpr15
	s_branch .LBB62_4636
.LBB62_4602:
	s_mov_b32 s18, -1
	s_mov_b32 s3, 0
	s_mov_b32 s1, 0
                                        ; implicit-def: $vgpr14_vgpr15
	s_branch .LBB62_4619
.LBB62_4603:
	s_mov_b32 s18, -1
	s_mov_b32 s3, 0
	s_mov_b32 s1, 0
                                        ; implicit-def: $vgpr14_vgpr15
	s_branch .LBB62_4614
.LBB62_4604:
	s_or_b32 s68, s68, exec_lo
	s_trap 2
	s_cbranch_execz .LBB62_4541
	s_branch .LBB62_4542
.LBB62_4605:
	s_mov_b32 s18, -1
	s_mov_b32 s3, 0
	s_mov_b32 s1, 0
	s_branch .LBB62_4608
.LBB62_4606:
	s_or_b32 s62, s17, exec_lo
	s_trap 2
                                        ; implicit-def: $vgpr0
                                        ; implicit-def: $vgpr2
                                        ; implicit-def: $vgpr4
                                        ; implicit-def: $vgpr14_vgpr15
                                        ; implicit-def: $vgpr6
                                        ; implicit-def: $vgpr16_vgpr17
                                        ; implicit-def: $vgpr8
                                        ; implicit-def: $vgpr20_vgpr21
                                        ; implicit-def: $vgpr23
                                        ; implicit-def: $vgpr22
	s_or_saveexec_b32 s63, s0
                                        ; implicit-def: $sgpr0
                                        ; implicit-def: $vgpr10_vgpr11
	s_delay_alu instid0(SALU_CYCLE_1)
	s_xor_b32 exec_lo, exec_lo, s63
	s_cbranch_execz .LBB62_4988
	s_branch .LBB62_4314
.LBB62_4607:
	s_mov_b32 s1, -1
	s_mov_b32 s3, 0
.LBB62_4608:
                                        ; implicit-def: $vgpr14_vgpr15
.LBB62_4609:
	s_and_b32 vcc_lo, exec_lo, s18
	s_cbranch_vccz .LBB62_4613
; %bb.4610:
	s_cmp_eq_u32 s0, 44
	s_cbranch_scc0 .LBB62_4612
; %bb.4611:
	global_load_u8 v1, v[16:17], off
	s_mov_b32 s1, 0
	s_mov_b32 s3, -1
	s_wait_loadcnt 0x0
	v_lshlrev_b32_e32 v3, 23, v1
	v_cmp_ne_u32_e32 vcc_lo, 0, v1
	s_delay_alu instid0(VALU_DEP_2) | instskip(NEXT) | instid1(VALU_DEP_1)
	v_trunc_f32_e32 v3, v3
	v_mul_f32_e64 v5, 0x2f800000, |v3|
	s_wait_xcnt 0x1
	v_ashrrev_i32_e32 v14, 31, v3
	s_delay_alu instid0(VALU_DEP_2) | instskip(NEXT) | instid1(VALU_DEP_2)
	v_floor_f32_e32 v5, v5
	v_mov_b32_e32 v15, v14
	s_delay_alu instid0(VALU_DEP_2) | instskip(SKIP_1) | instid1(VALU_DEP_2)
	v_fma_f32 v7, 0xcf800000, v5, |v3|
	v_cvt_u32_f32_e32 v3, v5
	v_cvt_u32_f32_e32 v5, v7
	s_delay_alu instid0(VALU_DEP_2) | instskip(NEXT) | instid1(VALU_DEP_2)
	v_xor_b32_e32 v19, v3, v14
	v_xor_b32_e32 v18, v5, v14
	s_delay_alu instid0(VALU_DEP_1) | instskip(NEXT) | instid1(VALU_DEP_1)
	v_sub_nc_u64_e32 v[14:15], v[18:19], v[14:15]
	v_dual_cndmask_b32 v15, 0, v15 :: v_dual_cndmask_b32 v14, 0, v14
	s_branch .LBB62_4613
.LBB62_4612:
	s_mov_b32 s1, -1
                                        ; implicit-def: $vgpr14_vgpr15
.LBB62_4613:
	s_mov_b32 s18, 0
.LBB62_4614:
	s_delay_alu instid0(SALU_CYCLE_1)
	s_and_b32 vcc_lo, exec_lo, s18
	s_cbranch_vccz .LBB62_4618
; %bb.4615:
	s_cmp_eq_u32 s0, 29
	s_cbranch_scc0 .LBB62_4617
; %bb.4616:
	global_load_b64 v[14:15], v[16:17], off
	s_mov_b32 s1, 0
	s_mov_b32 s3, -1
	s_branch .LBB62_4618
.LBB62_4617:
	s_mov_b32 s1, -1
                                        ; implicit-def: $vgpr14_vgpr15
.LBB62_4618:
	s_mov_b32 s18, 0
.LBB62_4619:
	s_delay_alu instid0(SALU_CYCLE_1)
	s_and_b32 vcc_lo, exec_lo, s18
	s_cbranch_vccz .LBB62_4635
; %bb.4620:
	s_cmp_lt_i32 s0, 27
	s_cbranch_scc1 .LBB62_4623
; %bb.4621:
	s_cmp_gt_i32 s0, 27
	s_cbranch_scc0 .LBB62_4624
; %bb.4622:
	s_wait_loadcnt 0x0
	global_load_b32 v14, v[16:17], off
	v_mov_b32_e32 v15, 0
	s_mov_b32 s3, 0
	s_branch .LBB62_4625
.LBB62_4623:
	s_mov_b32 s3, -1
                                        ; implicit-def: $vgpr14_vgpr15
	s_branch .LBB62_4628
.LBB62_4624:
	s_mov_b32 s3, -1
                                        ; implicit-def: $vgpr14_vgpr15
.LBB62_4625:
	s_delay_alu instid0(SALU_CYCLE_1)
	s_and_not1_b32 vcc_lo, exec_lo, s3
	s_cbranch_vccnz .LBB62_4627
; %bb.4626:
	global_load_u16 v1, v[16:17], off
	s_mov_b32 s3, 0
	s_wait_loadcnt 0x1
	s_wait_xcnt 0x1
	v_mov_b32_e32 v15, s3
	s_wait_loadcnt 0x0
	v_and_b32_e32 v14, 0xffff, v1
.LBB62_4627:
	s_mov_b32 s3, 0
.LBB62_4628:
	s_delay_alu instid0(SALU_CYCLE_1)
	s_and_not1_b32 vcc_lo, exec_lo, s3
	s_cbranch_vccnz .LBB62_4634
; %bb.4629:
	global_load_u8 v1, v[16:17], off
	s_mov_b32 s18, 0
	s_mov_b32 s3, exec_lo
	s_wait_loadcnt 0x0
	v_cmpx_lt_i16_e32 0x7f, v1
	s_xor_b32 s3, exec_lo, s3
	s_cbranch_execz .LBB62_4646
; %bb.4630:
	v_cmp_ne_u16_e32 vcc_lo, 0x80, v1
	s_and_b32 s18, vcc_lo, exec_lo
	s_and_not1_saveexec_b32 s3, s3
	s_cbranch_execnz .LBB62_4647
.LBB62_4631:
	s_or_b32 exec_lo, exec_lo, s3
	v_mov_b64_e32 v[14:15], 0
	s_and_saveexec_b32 s3, s18
	s_cbranch_execz .LBB62_4633
.LBB62_4632:
	v_and_b32_e32 v3, 0xffff, v1
	s_delay_alu instid0(VALU_DEP_1) | instskip(SKIP_1) | instid1(VALU_DEP_2)
	v_dual_lshlrev_b32 v1, 24, v1 :: v_dual_bitop2_b32 v5, 7, v3 bitop3:0x40
	v_bfe_u32 v14, v3, 3, 4
	v_and_b32_e32 v1, 0x80000000, v1
	s_delay_alu instid0(VALU_DEP_3) | instskip(NEXT) | instid1(VALU_DEP_3)
	v_clz_i32_u32_e32 v7, v5
	v_cmp_eq_u32_e32 vcc_lo, 0, v14
	s_delay_alu instid0(VALU_DEP_2) | instskip(NEXT) | instid1(VALU_DEP_1)
	v_min_u32_e32 v7, 32, v7
	v_subrev_nc_u32_e32 v9, 28, v7
	v_sub_nc_u32_e32 v7, 29, v7
	s_delay_alu instid0(VALU_DEP_2) | instskip(NEXT) | instid1(VALU_DEP_2)
	v_lshlrev_b32_e32 v3, v9, v3
	v_cndmask_b32_e32 v7, v14, v7, vcc_lo
	s_delay_alu instid0(VALU_DEP_2) | instskip(NEXT) | instid1(VALU_DEP_1)
	v_and_b32_e32 v3, 7, v3
	v_cndmask_b32_e32 v3, v5, v3, vcc_lo
	s_delay_alu instid0(VALU_DEP_3) | instskip(NEXT) | instid1(VALU_DEP_2)
	v_lshl_add_u32 v5, v7, 23, 0x3b800000
	v_lshlrev_b32_e32 v3, 20, v3
	s_delay_alu instid0(VALU_DEP_1) | instskip(NEXT) | instid1(VALU_DEP_1)
	v_or3_b32 v1, v1, v5, v3
	v_trunc_f32_e32 v1, v1
	s_delay_alu instid0(VALU_DEP_1) | instskip(SKIP_1) | instid1(VALU_DEP_2)
	v_mul_f32_e64 v3, 0x2f800000, |v1|
	v_ashrrev_i32_e32 v14, 31, v1
	v_floor_f32_e32 v3, v3
	s_delay_alu instid0(VALU_DEP_2) | instskip(NEXT) | instid1(VALU_DEP_2)
	v_mov_b32_e32 v15, v14
	v_fma_f32 v5, 0xcf800000, v3, |v1|
	v_cvt_u32_f32_e32 v1, v3
	s_delay_alu instid0(VALU_DEP_2) | instskip(NEXT) | instid1(VALU_DEP_2)
	v_cvt_u32_f32_e32 v3, v5
	v_xor_b32_e32 v19, v1, v14
	s_delay_alu instid0(VALU_DEP_2) | instskip(NEXT) | instid1(VALU_DEP_1)
	v_xor_b32_e32 v18, v3, v14
	v_sub_nc_u64_e32 v[14:15], v[18:19], v[14:15]
.LBB62_4633:
	s_or_b32 exec_lo, exec_lo, s3
.LBB62_4634:
	s_mov_b32 s3, -1
.LBB62_4635:
	s_mov_b32 s18, 0
.LBB62_4636:
	s_delay_alu instid0(SALU_CYCLE_1)
	s_and_b32 vcc_lo, exec_lo, s18
	s_cbranch_vccz .LBB62_4667
; %bb.4637:
	s_cmp_gt_i32 s0, 22
	s_cbranch_scc0 .LBB62_4645
; %bb.4638:
	s_cmp_lt_i32 s0, 24
	s_cbranch_scc1 .LBB62_4648
; %bb.4639:
	s_cmp_gt_i32 s0, 24
	s_cbranch_scc0 .LBB62_4649
; %bb.4640:
	global_load_u8 v1, v[16:17], off
	s_mov_b32 s3, 0
	s_mov_b32 s2, exec_lo
	s_wait_loadcnt 0x0
	v_cmpx_lt_i16_e32 0x7f, v1
	s_xor_b32 s2, exec_lo, s2
	s_cbranch_execz .LBB62_4661
; %bb.4641:
	v_cmp_ne_u16_e32 vcc_lo, 0x80, v1
	s_and_b32 s3, vcc_lo, exec_lo
	s_and_not1_saveexec_b32 s2, s2
	s_cbranch_execnz .LBB62_4662
.LBB62_4642:
	s_or_b32 exec_lo, exec_lo, s2
	v_mov_b64_e32 v[14:15], 0
	s_and_saveexec_b32 s2, s3
	s_cbranch_execz .LBB62_4644
.LBB62_4643:
	v_and_b32_e32 v3, 0xffff, v1
	s_delay_alu instid0(VALU_DEP_1) | instskip(SKIP_1) | instid1(VALU_DEP_2)
	v_dual_lshlrev_b32 v1, 24, v1 :: v_dual_bitop2_b32 v5, 3, v3 bitop3:0x40
	v_bfe_u32 v14, v3, 2, 5
	v_and_b32_e32 v1, 0x80000000, v1
	s_delay_alu instid0(VALU_DEP_3) | instskip(NEXT) | instid1(VALU_DEP_3)
	v_clz_i32_u32_e32 v7, v5
	v_cmp_eq_u32_e32 vcc_lo, 0, v14
	s_delay_alu instid0(VALU_DEP_2) | instskip(NEXT) | instid1(VALU_DEP_1)
	v_min_u32_e32 v7, 32, v7
	v_subrev_nc_u32_e32 v9, 29, v7
	v_sub_nc_u32_e32 v7, 30, v7
	s_delay_alu instid0(VALU_DEP_2) | instskip(NEXT) | instid1(VALU_DEP_2)
	v_lshlrev_b32_e32 v3, v9, v3
	v_cndmask_b32_e32 v7, v14, v7, vcc_lo
	s_delay_alu instid0(VALU_DEP_2) | instskip(NEXT) | instid1(VALU_DEP_1)
	v_and_b32_e32 v3, 3, v3
	v_cndmask_b32_e32 v3, v5, v3, vcc_lo
	s_delay_alu instid0(VALU_DEP_3) | instskip(NEXT) | instid1(VALU_DEP_2)
	v_lshl_add_u32 v5, v7, 23, 0x37800000
	v_lshlrev_b32_e32 v3, 21, v3
	s_delay_alu instid0(VALU_DEP_1) | instskip(NEXT) | instid1(VALU_DEP_1)
	v_or3_b32 v1, v1, v5, v3
	v_trunc_f32_e32 v1, v1
	s_delay_alu instid0(VALU_DEP_1) | instskip(SKIP_1) | instid1(VALU_DEP_2)
	v_mul_f32_e64 v3, 0x2f800000, |v1|
	v_ashrrev_i32_e32 v14, 31, v1
	v_floor_f32_e32 v3, v3
	s_delay_alu instid0(VALU_DEP_2) | instskip(NEXT) | instid1(VALU_DEP_2)
	v_mov_b32_e32 v15, v14
	v_fma_f32 v5, 0xcf800000, v3, |v1|
	v_cvt_u32_f32_e32 v1, v3
	s_delay_alu instid0(VALU_DEP_2) | instskip(NEXT) | instid1(VALU_DEP_2)
	v_cvt_u32_f32_e32 v3, v5
	v_xor_b32_e32 v19, v1, v14
	s_delay_alu instid0(VALU_DEP_2) | instskip(NEXT) | instid1(VALU_DEP_1)
	v_xor_b32_e32 v18, v3, v14
	v_sub_nc_u64_e32 v[14:15], v[18:19], v[14:15]
.LBB62_4644:
	s_or_b32 exec_lo, exec_lo, s2
	s_mov_b32 s2, 0
	s_branch .LBB62_4650
.LBB62_4645:
	s_mov_b32 s2, -1
                                        ; implicit-def: $vgpr14_vgpr15
	s_branch .LBB62_4656
.LBB62_4646:
	s_and_not1_saveexec_b32 s3, s3
	s_cbranch_execz .LBB62_4631
.LBB62_4647:
	v_cmp_ne_u16_e32 vcc_lo, 0, v1
	s_and_not1_b32 s18, s18, exec_lo
	s_and_b32 s19, vcc_lo, exec_lo
	s_delay_alu instid0(SALU_CYCLE_1)
	s_or_b32 s18, s18, s19
	s_or_b32 exec_lo, exec_lo, s3
	v_mov_b64_e32 v[14:15], 0
	s_and_saveexec_b32 s3, s18
	s_cbranch_execnz .LBB62_4632
	s_branch .LBB62_4633
.LBB62_4648:
	s_mov_b32 s2, -1
                                        ; implicit-def: $vgpr14_vgpr15
	s_branch .LBB62_4653
.LBB62_4649:
	s_mov_b32 s2, -1
                                        ; implicit-def: $vgpr14_vgpr15
.LBB62_4650:
	s_delay_alu instid0(SALU_CYCLE_1)
	s_and_b32 vcc_lo, exec_lo, s2
	s_cbranch_vccz .LBB62_4652
; %bb.4651:
	global_load_u8 v1, v[16:17], off
	s_wait_loadcnt 0x0
	v_lshlrev_b32_e32 v1, 24, v1
	s_delay_alu instid0(VALU_DEP_1) | instskip(NEXT) | instid1(VALU_DEP_1)
	v_and_b32_e32 v3, 0x7f000000, v1
	v_clz_i32_u32_e32 v5, v3
	v_add_nc_u32_e32 v9, 0x1000000, v3
	v_cmp_ne_u32_e32 vcc_lo, 0, v3
	s_delay_alu instid0(VALU_DEP_3) | instskip(NEXT) | instid1(VALU_DEP_1)
	v_min_u32_e32 v5, 32, v5
	v_sub_nc_u32_e64 v5, v5, 4 clamp
	s_delay_alu instid0(VALU_DEP_1) | instskip(NEXT) | instid1(VALU_DEP_1)
	v_dual_lshlrev_b32 v7, v5, v3 :: v_dual_lshlrev_b32 v5, 23, v5
	v_lshrrev_b32_e32 v7, 4, v7
	s_delay_alu instid0(VALU_DEP_1) | instskip(SKIP_1) | instid1(VALU_DEP_2)
	v_sub_nc_u32_e32 v5, v7, v5
	v_ashrrev_i32_e32 v7, 8, v9
	v_add_nc_u32_e32 v5, 0x3c000000, v5
	s_delay_alu instid0(VALU_DEP_1) | instskip(NEXT) | instid1(VALU_DEP_1)
	v_and_or_b32 v5, 0x7f800000, v7, v5
	v_cndmask_b32_e32 v3, 0, v5, vcc_lo
	s_delay_alu instid0(VALU_DEP_1) | instskip(NEXT) | instid1(VALU_DEP_1)
	v_and_or_b32 v1, 0x80000000, v1, v3
	v_trunc_f32_e32 v1, v1
	s_delay_alu instid0(VALU_DEP_1) | instskip(SKIP_2) | instid1(VALU_DEP_2)
	v_mul_f32_e64 v3, 0x2f800000, |v1|
	s_wait_xcnt 0x1
	v_ashrrev_i32_e32 v14, 31, v1
	v_floor_f32_e32 v3, v3
	s_delay_alu instid0(VALU_DEP_2) | instskip(NEXT) | instid1(VALU_DEP_2)
	v_mov_b32_e32 v15, v14
	v_fma_f32 v5, 0xcf800000, v3, |v1|
	v_cvt_u32_f32_e32 v1, v3
	s_delay_alu instid0(VALU_DEP_2) | instskip(NEXT) | instid1(VALU_DEP_2)
	v_cvt_u32_f32_e32 v3, v5
	v_xor_b32_e32 v19, v1, v14
	s_delay_alu instid0(VALU_DEP_2) | instskip(NEXT) | instid1(VALU_DEP_1)
	v_xor_b32_e32 v18, v3, v14
	v_sub_nc_u64_e32 v[14:15], v[18:19], v[14:15]
.LBB62_4652:
	s_mov_b32 s2, 0
.LBB62_4653:
	s_delay_alu instid0(SALU_CYCLE_1)
	s_and_not1_b32 vcc_lo, exec_lo, s2
	s_cbranch_vccnz .LBB62_4655
; %bb.4654:
	global_load_u8 v1, v[16:17], off
	s_wait_loadcnt 0x0
	v_lshlrev_b32_e32 v3, 25, v1
	v_lshlrev_b16 v1, 8, v1
	s_delay_alu instid0(VALU_DEP_1) | instskip(SKIP_1) | instid1(VALU_DEP_2)
	v_and_or_b32 v7, 0x7f00, v1, 0.5
	v_bfe_i32 v1, v1, 0, 16
	v_add_f32_e32 v7, -0.5, v7
	v_lshrrev_b32_e32 v5, 4, v3
	v_cmp_gt_u32_e32 vcc_lo, 0x8000000, v3
	s_delay_alu instid0(VALU_DEP_2) | instskip(NEXT) | instid1(VALU_DEP_1)
	v_or_b32_e32 v5, 0x70000000, v5
	v_mul_f32_e32 v5, 0x7800000, v5
	s_delay_alu instid0(VALU_DEP_1) | instskip(NEXT) | instid1(VALU_DEP_1)
	v_cndmask_b32_e32 v3, v5, v7, vcc_lo
	v_and_or_b32 v1, 0x80000000, v1, v3
	s_delay_alu instid0(VALU_DEP_1) | instskip(NEXT) | instid1(VALU_DEP_1)
	v_trunc_f32_e32 v1, v1
	v_mul_f32_e64 v3, 0x2f800000, |v1|
	s_wait_xcnt 0x1
	v_ashrrev_i32_e32 v14, 31, v1
	s_delay_alu instid0(VALU_DEP_2) | instskip(NEXT) | instid1(VALU_DEP_2)
	v_floor_f32_e32 v3, v3
	v_mov_b32_e32 v15, v14
	s_delay_alu instid0(VALU_DEP_2) | instskip(SKIP_1) | instid1(VALU_DEP_2)
	v_fma_f32 v5, 0xcf800000, v3, |v1|
	v_cvt_u32_f32_e32 v1, v3
	v_cvt_u32_f32_e32 v3, v5
	s_delay_alu instid0(VALU_DEP_2) | instskip(NEXT) | instid1(VALU_DEP_2)
	v_xor_b32_e32 v19, v1, v14
	v_xor_b32_e32 v18, v3, v14
	s_delay_alu instid0(VALU_DEP_1)
	v_sub_nc_u64_e32 v[14:15], v[18:19], v[14:15]
.LBB62_4655:
	s_mov_b32 s2, 0
	s_mov_b32 s3, -1
.LBB62_4656:
	s_and_not1_b32 vcc_lo, exec_lo, s2
	s_mov_b32 s2, 0
	s_cbranch_vccnz .LBB62_4667
; %bb.4657:
	s_cmp_gt_i32 s0, 14
	s_cbranch_scc0 .LBB62_4660
; %bb.4658:
	s_cmp_eq_u32 s0, 15
	s_cbranch_scc0 .LBB62_4663
; %bb.4659:
	global_load_u16 v1, v[16:17], off
	s_mov_b32 s1, 0
	s_mov_b32 s3, -1
	s_wait_loadcnt 0x0
	v_lshlrev_b32_e32 v1, 16, v1
	s_delay_alu instid0(VALU_DEP_1) | instskip(NEXT) | instid1(VALU_DEP_1)
	v_trunc_f32_e32 v1, v1
	v_mul_f32_e64 v3, 0x2f800000, |v1|
	s_wait_xcnt 0x1
	v_ashrrev_i32_e32 v14, 31, v1
	s_delay_alu instid0(VALU_DEP_2) | instskip(NEXT) | instid1(VALU_DEP_2)
	v_floor_f32_e32 v3, v3
	v_mov_b32_e32 v15, v14
	s_delay_alu instid0(VALU_DEP_2) | instskip(SKIP_1) | instid1(VALU_DEP_2)
	v_fma_f32 v5, 0xcf800000, v3, |v1|
	v_cvt_u32_f32_e32 v1, v3
	v_cvt_u32_f32_e32 v3, v5
	s_delay_alu instid0(VALU_DEP_2) | instskip(NEXT) | instid1(VALU_DEP_2)
	v_xor_b32_e32 v19, v1, v14
	v_xor_b32_e32 v18, v3, v14
	s_delay_alu instid0(VALU_DEP_1)
	v_sub_nc_u64_e32 v[14:15], v[18:19], v[14:15]
	s_branch .LBB62_4665
.LBB62_4660:
	s_mov_b32 s2, -1
	s_branch .LBB62_4664
.LBB62_4661:
	s_and_not1_saveexec_b32 s2, s2
	s_cbranch_execz .LBB62_4642
.LBB62_4662:
	v_cmp_ne_u16_e32 vcc_lo, 0, v1
	s_and_not1_b32 s3, s3, exec_lo
	s_and_b32 s18, vcc_lo, exec_lo
	s_delay_alu instid0(SALU_CYCLE_1)
	s_or_b32 s3, s3, s18
	s_or_b32 exec_lo, exec_lo, s2
	v_mov_b64_e32 v[14:15], 0
	s_and_saveexec_b32 s2, s3
	s_cbranch_execnz .LBB62_4643
	s_branch .LBB62_4644
.LBB62_4663:
	s_mov_b32 s1, -1
.LBB62_4664:
                                        ; implicit-def: $vgpr14_vgpr15
.LBB62_4665:
	s_and_b32 vcc_lo, exec_lo, s2
	s_mov_b32 s2, 0
	s_cbranch_vccz .LBB62_4667
; %bb.4666:
	s_cmp_lg_u32 s0, 11
	s_mov_b32 s2, -1
	s_cselect_b32 s1, -1, 0
.LBB62_4667:
	s_delay_alu instid0(SALU_CYCLE_1)
	s_and_b32 vcc_lo, exec_lo, s1
	s_cbranch_vccnz .LBB62_4732
; %bb.4668:
	s_and_not1_b32 vcc_lo, exec_lo, s2
	s_cbranch_vccnz .LBB62_4670
.LBB62_4669:
	global_load_u8 v1, v[16:17], off
	s_mov_b32 s0, 0
	s_mov_b32 s3, -1
	s_wait_loadcnt 0x1
	s_wait_xcnt 0x1
	v_mov_b32_e32 v15, s0
	s_wait_loadcnt 0x0
	v_cmp_ne_u16_e32 vcc_lo, 0, v1
	v_cndmask_b32_e64 v14, 0, 1, vcc_lo
.LBB62_4670:
	s_mov_b32 s0, 0
.LBB62_4671:
	s_delay_alu instid0(SALU_CYCLE_1)
	s_and_b32 vcc_lo, exec_lo, s0
	s_cbranch_vccz .LBB62_4720
; %bb.4672:
	s_and_b32 s0, 0xffff, s59
	s_delay_alu instid0(SALU_CYCLE_1)
	s_cmp_lt_i32 s0, 5
	s_cbranch_scc1 .LBB62_4677
; %bb.4673:
	s_cmp_lt_i32 s0, 8
	s_cbranch_scc1 .LBB62_4678
; %bb.4674:
	;; [unrolled: 3-line block ×3, first 2 shown]
	s_cmp_gt_i32 s0, 9
	s_cbranch_scc0 .LBB62_4680
; %bb.4676:
	s_wait_loadcnt 0x0
	global_load_b64 v[14:15], v[16:17], off
	s_mov_b32 s1, 0
	s_wait_loadcnt 0x0
	v_trunc_f64_e32 v[14:15], v[14:15]
	s_delay_alu instid0(VALU_DEP_1) | instskip(NEXT) | instid1(VALU_DEP_1)
	v_ldexp_f64 v[18:19], v[14:15], 0xffffffe0
	v_floor_f64_e32 v[18:19], v[18:19]
	s_delay_alu instid0(VALU_DEP_1) | instskip(SKIP_1) | instid1(VALU_DEP_2)
	v_fmamk_f64 v[20:21], v[18:19], 0xc1f00000, v[14:15]
	v_cvt_i32_f64_e32 v15, v[18:19]
	v_cvt_u32_f64_e32 v14, v[20:21]
	s_branch .LBB62_4681
.LBB62_4677:
	s_mov_b32 s1, -1
                                        ; implicit-def: $vgpr14_vgpr15
	s_branch .LBB62_4699
.LBB62_4678:
	s_mov_b32 s1, -1
                                        ; implicit-def: $vgpr14_vgpr15
	s_branch .LBB62_4687
.LBB62_4679:
	s_mov_b32 s1, -1
                                        ; implicit-def: $vgpr14_vgpr15
	s_branch .LBB62_4684
.LBB62_4680:
	s_mov_b32 s1, -1
                                        ; implicit-def: $vgpr14_vgpr15
.LBB62_4681:
	s_delay_alu instid0(SALU_CYCLE_1)
	s_and_not1_b32 vcc_lo, exec_lo, s1
	s_cbranch_vccnz .LBB62_4683
; %bb.4682:
	global_load_b32 v1, v[16:17], off
	s_wait_loadcnt 0x0
	v_trunc_f32_e32 v1, v1
	s_delay_alu instid0(VALU_DEP_1) | instskip(SKIP_2) | instid1(VALU_DEP_2)
	v_mul_f32_e64 v3, 0x2f800000, |v1|
	s_wait_xcnt 0x1
	v_ashrrev_i32_e32 v14, 31, v1
	v_floor_f32_e32 v3, v3
	s_delay_alu instid0(VALU_DEP_1) | instskip(SKIP_1) | instid1(VALU_DEP_4)
	v_fma_f32 v5, 0xcf800000, v3, |v1|
	v_cvt_u32_f32_e32 v1, v3
	v_mov_b32_e32 v15, v14
	s_delay_alu instid0(VALU_DEP_3) | instskip(NEXT) | instid1(VALU_DEP_3)
	v_cvt_u32_f32_e32 v3, v5
	v_xor_b32_e32 v19, v1, v14
	s_delay_alu instid0(VALU_DEP_2) | instskip(NEXT) | instid1(VALU_DEP_1)
	v_xor_b32_e32 v18, v3, v14
	v_sub_nc_u64_e32 v[14:15], v[18:19], v[14:15]
.LBB62_4683:
	s_mov_b32 s1, 0
.LBB62_4684:
	s_delay_alu instid0(SALU_CYCLE_1)
	s_and_not1_b32 vcc_lo, exec_lo, s1
	s_cbranch_vccnz .LBB62_4686
; %bb.4685:
	global_load_b32 v1, v[16:17], off
	s_wait_loadcnt 0x0
	v_cvt_f32_f16_e32 v1, v1
	s_wait_xcnt 0x1
	s_delay_alu instid0(VALU_DEP_1) | instskip(NEXT) | instid1(VALU_DEP_1)
	v_cvt_i32_f32_e32 v14, v1
	v_ashrrev_i32_e32 v15, 31, v14
.LBB62_4686:
	s_mov_b32 s1, 0
.LBB62_4687:
	s_delay_alu instid0(SALU_CYCLE_1)
	s_and_not1_b32 vcc_lo, exec_lo, s1
	s_cbranch_vccnz .LBB62_4698
; %bb.4688:
	s_cmp_lt_i32 s0, 6
	s_cbranch_scc1 .LBB62_4691
; %bb.4689:
	s_cmp_gt_i32 s0, 6
	s_cbranch_scc0 .LBB62_4692
; %bb.4690:
	s_wait_loadcnt 0x0
	global_load_b64 v[14:15], v[16:17], off
	s_mov_b32 s1, 0
	s_wait_loadcnt 0x0
	v_trunc_f64_e32 v[14:15], v[14:15]
	s_delay_alu instid0(VALU_DEP_1) | instskip(NEXT) | instid1(VALU_DEP_1)
	v_ldexp_f64 v[18:19], v[14:15], 0xffffffe0
	v_floor_f64_e32 v[18:19], v[18:19]
	s_delay_alu instid0(VALU_DEP_1) | instskip(SKIP_1) | instid1(VALU_DEP_2)
	v_fmamk_f64 v[20:21], v[18:19], 0xc1f00000, v[14:15]
	v_cvt_i32_f64_e32 v15, v[18:19]
	v_cvt_u32_f64_e32 v14, v[20:21]
	s_branch .LBB62_4693
.LBB62_4691:
	s_mov_b32 s1, -1
                                        ; implicit-def: $vgpr14_vgpr15
	s_branch .LBB62_4696
.LBB62_4692:
	s_mov_b32 s1, -1
                                        ; implicit-def: $vgpr14_vgpr15
.LBB62_4693:
	s_delay_alu instid0(SALU_CYCLE_1)
	s_and_not1_b32 vcc_lo, exec_lo, s1
	s_cbranch_vccnz .LBB62_4695
; %bb.4694:
	global_load_b32 v1, v[16:17], off
	s_wait_loadcnt 0x0
	v_trunc_f32_e32 v1, v1
	s_delay_alu instid0(VALU_DEP_1) | instskip(SKIP_2) | instid1(VALU_DEP_2)
	v_mul_f32_e64 v3, 0x2f800000, |v1|
	s_wait_xcnt 0x1
	v_ashrrev_i32_e32 v14, 31, v1
	v_floor_f32_e32 v3, v3
	s_delay_alu instid0(VALU_DEP_1) | instskip(SKIP_1) | instid1(VALU_DEP_4)
	v_fma_f32 v5, 0xcf800000, v3, |v1|
	v_cvt_u32_f32_e32 v1, v3
	v_mov_b32_e32 v15, v14
	s_delay_alu instid0(VALU_DEP_3) | instskip(NEXT) | instid1(VALU_DEP_3)
	v_cvt_u32_f32_e32 v3, v5
	v_xor_b32_e32 v19, v1, v14
	s_delay_alu instid0(VALU_DEP_2) | instskip(NEXT) | instid1(VALU_DEP_1)
	v_xor_b32_e32 v18, v3, v14
	v_sub_nc_u64_e32 v[14:15], v[18:19], v[14:15]
.LBB62_4695:
	s_mov_b32 s1, 0
.LBB62_4696:
	s_delay_alu instid0(SALU_CYCLE_1)
	s_and_not1_b32 vcc_lo, exec_lo, s1
	s_cbranch_vccnz .LBB62_4698
; %bb.4697:
	global_load_u16 v1, v[16:17], off
	s_wait_loadcnt 0x0
	v_cvt_f32_f16_e32 v1, v1
	s_wait_xcnt 0x1
	s_delay_alu instid0(VALU_DEP_1) | instskip(NEXT) | instid1(VALU_DEP_1)
	v_cvt_i32_f32_e32 v14, v1
	v_ashrrev_i32_e32 v15, 31, v14
.LBB62_4698:
	s_mov_b32 s1, 0
.LBB62_4699:
	s_delay_alu instid0(SALU_CYCLE_1)
	s_and_not1_b32 vcc_lo, exec_lo, s1
	s_cbranch_vccnz .LBB62_4719
; %bb.4700:
	s_cmp_lt_i32 s0, 2
	s_cbranch_scc1 .LBB62_4704
; %bb.4701:
	s_cmp_lt_i32 s0, 3
	s_cbranch_scc1 .LBB62_4705
; %bb.4702:
	s_cmp_gt_i32 s0, 3
	s_cbranch_scc0 .LBB62_4706
; %bb.4703:
	s_wait_loadcnt 0x0
	global_load_b64 v[14:15], v[16:17], off
	s_mov_b32 s1, 0
	s_branch .LBB62_4707
.LBB62_4704:
	s_mov_b32 s1, -1
                                        ; implicit-def: $vgpr14_vgpr15
	s_branch .LBB62_4713
.LBB62_4705:
	s_mov_b32 s1, -1
                                        ; implicit-def: $vgpr14_vgpr15
	s_branch .LBB62_4710
.LBB62_4706:
	s_mov_b32 s1, -1
                                        ; implicit-def: $vgpr14_vgpr15
.LBB62_4707:
	s_delay_alu instid0(SALU_CYCLE_1)
	s_and_not1_b32 vcc_lo, exec_lo, s1
	s_cbranch_vccnz .LBB62_4709
; %bb.4708:
	s_wait_loadcnt 0x0
	global_load_b32 v14, v[16:17], off
	s_wait_loadcnt 0x0
	v_ashrrev_i32_e32 v15, 31, v14
.LBB62_4709:
	s_mov_b32 s1, 0
.LBB62_4710:
	s_delay_alu instid0(SALU_CYCLE_1)
	s_and_not1_b32 vcc_lo, exec_lo, s1
	s_cbranch_vccnz .LBB62_4712
; %bb.4711:
	global_load_u16 v1, v[16:17], off
	s_wait_loadcnt 0x0
	s_wait_xcnt 0x1
	v_bfe_i32 v14, v1, 0, 16
	s_delay_alu instid0(VALU_DEP_1)
	v_ashrrev_i32_e32 v15, 31, v14
.LBB62_4712:
	s_mov_b32 s1, 0
.LBB62_4713:
	s_delay_alu instid0(SALU_CYCLE_1)
	s_and_not1_b32 vcc_lo, exec_lo, s1
	s_cbranch_vccnz .LBB62_4719
; %bb.4714:
	s_cmp_gt_i32 s0, 0
	s_mov_b32 s0, 0
	s_cbranch_scc0 .LBB62_4716
; %bb.4715:
	global_load_i8 v1, v[16:17], off
	s_wait_loadcnt 0x0
	s_wait_xcnt 0x1
	v_bfe_i32 v14, v1, 0, 16
	s_delay_alu instid0(VALU_DEP_1)
	v_ashrrev_i32_e32 v15, 31, v14
	s_branch .LBB62_4717
.LBB62_4716:
	s_mov_b32 s0, -1
                                        ; implicit-def: $vgpr14_vgpr15
.LBB62_4717:
	s_delay_alu instid0(SALU_CYCLE_1)
	s_and_not1_b32 vcc_lo, exec_lo, s0
	s_cbranch_vccnz .LBB62_4719
; %bb.4718:
	global_load_u8 v1, v[16:17], off
	s_mov_b32 s0, 0
	s_wait_loadcnt 0x1
	s_wait_xcnt 0x1
	v_mov_b32_e32 v15, s0
	s_wait_loadcnt 0x0
	v_and_b32_e32 v14, 0xffff, v1
.LBB62_4719:
	s_mov_b32 s3, -1
.LBB62_4720:
	s_delay_alu instid0(SALU_CYCLE_1)
	s_and_not1_b32 vcc_lo, exec_lo, s3
	s_cbranch_vccnz .LBB62_4984
; %bb.4721:
	v_add_nc_u32_e32 v6, s72, v6
	s_cmp_lt_i32 s60, 11
	s_delay_alu instid0(VALU_DEP_1) | instskip(NEXT) | instid1(VALU_DEP_1)
	v_ashrrev_i32_e32 v7, 31, v6
	v_add_nc_u64_e32 v[18:19], s[12:13], v[6:7]
	s_cbranch_scc1 .LBB62_4728
; %bb.4722:
	s_and_b32 s0, 0xffff, s60
	s_mov_b32 s2, 0
	s_cmp_gt_i32 s0, 25
	s_cbranch_scc0 .LBB62_4729
; %bb.4723:
	s_cmp_gt_i32 s0, 28
	s_cbranch_scc0 .LBB62_4730
; %bb.4724:
	;; [unrolled: 3-line block ×4, first 2 shown]
	s_cmp_eq_u32 s0, 46
	s_mov_b32 s18, 0
	s_cbranch_scc0 .LBB62_4735
; %bb.4727:
	global_load_b32 v1, v[18:19], off
	s_mov_b32 s1, 0
	s_mov_b32 s3, -1
	s_wait_loadcnt 0x0
	v_lshlrev_b32_e32 v1, 16, v1
	s_delay_alu instid0(VALU_DEP_1) | instskip(NEXT) | instid1(VALU_DEP_1)
	v_trunc_f32_e32 v1, v1
	v_mul_f32_e64 v3, 0x2f800000, |v1|
	s_wait_xcnt 0x1
	v_ashrrev_i32_e32 v16, 31, v1
	s_delay_alu instid0(VALU_DEP_2) | instskip(NEXT) | instid1(VALU_DEP_2)
	v_floor_f32_e32 v3, v3
	v_mov_b32_e32 v17, v16
	s_delay_alu instid0(VALU_DEP_2) | instskip(SKIP_1) | instid1(VALU_DEP_2)
	v_fma_f32 v5, 0xcf800000, v3, |v1|
	v_cvt_u32_f32_e32 v1, v3
	v_cvt_u32_f32_e32 v3, v5
	s_delay_alu instid0(VALU_DEP_2) | instskip(NEXT) | instid1(VALU_DEP_2)
	v_xor_b32_e32 v21, v1, v16
	v_xor_b32_e32 v20, v3, v16
	s_delay_alu instid0(VALU_DEP_1)
	v_sub_nc_u64_e32 v[16:17], v[20:21], v[16:17]
	s_branch .LBB62_4737
.LBB62_4728:
	s_mov_b32 s0, -1
	s_mov_b32 s3, 0
                                        ; implicit-def: $vgpr16_vgpr17
	s_branch .LBB62_4799
.LBB62_4729:
	s_mov_b32 s18, -1
	s_mov_b32 s3, 0
	s_mov_b32 s1, 0
                                        ; implicit-def: $vgpr16_vgpr17
	s_branch .LBB62_4764
.LBB62_4730:
	s_mov_b32 s18, -1
	s_mov_b32 s3, 0
	s_mov_b32 s1, 0
                                        ; implicit-def: $vgpr16_vgpr17
	s_branch .LBB62_4747
.LBB62_4731:
	s_mov_b32 s18, -1
	s_mov_b32 s3, 0
	s_mov_b32 s1, 0
                                        ; implicit-def: $vgpr16_vgpr17
	s_branch .LBB62_4742
.LBB62_4732:
	s_or_b32 s68, s68, exec_lo
	s_trap 2
	s_cbranch_execz .LBB62_4669
	s_branch .LBB62_4670
.LBB62_4733:
	s_mov_b32 s18, -1
	s_mov_b32 s3, 0
	s_mov_b32 s1, 0
	s_branch .LBB62_4736
.LBB62_4734:
	s_or_b32 s64, s62, exec_lo
	s_trap 2
                                        ; implicit-def: $vgpr0
                                        ; implicit-def: $vgpr2
                                        ; implicit-def: $vgpr4
                                        ; implicit-def: $vgpr14_vgpr15
                                        ; implicit-def: $vgpr6
                                        ; implicit-def: $vgpr16_vgpr17
                                        ; implicit-def: $vgpr8
                                        ; implicit-def: $vgpr20_vgpr21
                                        ; implicit-def: $vgpr23
                                        ; implicit-def: $vgpr22
	s_or_saveexec_b32 s65, s0
	s_mov_b32 s1, 0
                                        ; implicit-def: $sgpr0
                                        ; implicit-def: $vgpr10_vgpr11
	s_xor_b32 exec_lo, exec_lo, s65
	s_cbranch_execz .LBB62_4987
	s_branch .LBB62_4316
.LBB62_4735:
	s_mov_b32 s1, -1
	s_mov_b32 s3, 0
.LBB62_4736:
                                        ; implicit-def: $vgpr16_vgpr17
.LBB62_4737:
	s_and_b32 vcc_lo, exec_lo, s18
	s_cbranch_vccz .LBB62_4741
; %bb.4738:
	s_cmp_eq_u32 s0, 44
	s_cbranch_scc0 .LBB62_4740
; %bb.4739:
	global_load_u8 v1, v[18:19], off
	s_mov_b32 s1, 0
	s_mov_b32 s3, -1
	s_wait_loadcnt 0x0
	v_lshlrev_b32_e32 v3, 23, v1
	v_cmp_ne_u32_e32 vcc_lo, 0, v1
	s_delay_alu instid0(VALU_DEP_2) | instskip(NEXT) | instid1(VALU_DEP_1)
	v_trunc_f32_e32 v3, v3
	v_mul_f32_e64 v5, 0x2f800000, |v3|
	s_wait_xcnt 0x1
	v_ashrrev_i32_e32 v16, 31, v3
	s_delay_alu instid0(VALU_DEP_2) | instskip(NEXT) | instid1(VALU_DEP_2)
	v_floor_f32_e32 v5, v5
	v_mov_b32_e32 v17, v16
	s_delay_alu instid0(VALU_DEP_2) | instskip(SKIP_1) | instid1(VALU_DEP_2)
	v_fma_f32 v7, 0xcf800000, v5, |v3|
	v_cvt_u32_f32_e32 v3, v5
	v_cvt_u32_f32_e32 v5, v7
	s_delay_alu instid0(VALU_DEP_2) | instskip(NEXT) | instid1(VALU_DEP_2)
	v_xor_b32_e32 v21, v3, v16
	v_xor_b32_e32 v20, v5, v16
	s_delay_alu instid0(VALU_DEP_1) | instskip(NEXT) | instid1(VALU_DEP_1)
	v_sub_nc_u64_e32 v[16:17], v[20:21], v[16:17]
	v_dual_cndmask_b32 v17, 0, v17 :: v_dual_cndmask_b32 v16, 0, v16
	s_branch .LBB62_4741
.LBB62_4740:
	s_mov_b32 s1, -1
                                        ; implicit-def: $vgpr16_vgpr17
.LBB62_4741:
	s_mov_b32 s18, 0
.LBB62_4742:
	s_delay_alu instid0(SALU_CYCLE_1)
	s_and_b32 vcc_lo, exec_lo, s18
	s_cbranch_vccz .LBB62_4746
; %bb.4743:
	s_cmp_eq_u32 s0, 29
	s_cbranch_scc0 .LBB62_4745
; %bb.4744:
	global_load_b64 v[16:17], v[18:19], off
	s_mov_b32 s1, 0
	s_mov_b32 s3, -1
	s_branch .LBB62_4746
.LBB62_4745:
	s_mov_b32 s1, -1
                                        ; implicit-def: $vgpr16_vgpr17
.LBB62_4746:
	s_mov_b32 s18, 0
.LBB62_4747:
	s_delay_alu instid0(SALU_CYCLE_1)
	s_and_b32 vcc_lo, exec_lo, s18
	s_cbranch_vccz .LBB62_4763
; %bb.4748:
	s_cmp_lt_i32 s0, 27
	s_cbranch_scc1 .LBB62_4751
; %bb.4749:
	s_cmp_gt_i32 s0, 27
	s_cbranch_scc0 .LBB62_4752
; %bb.4750:
	s_wait_loadcnt 0x0
	global_load_b32 v16, v[18:19], off
	v_mov_b32_e32 v17, 0
	s_mov_b32 s3, 0
	s_branch .LBB62_4753
.LBB62_4751:
	s_mov_b32 s3, -1
                                        ; implicit-def: $vgpr16_vgpr17
	s_branch .LBB62_4756
.LBB62_4752:
	s_mov_b32 s3, -1
                                        ; implicit-def: $vgpr16_vgpr17
.LBB62_4753:
	s_delay_alu instid0(SALU_CYCLE_1)
	s_and_not1_b32 vcc_lo, exec_lo, s3
	s_cbranch_vccnz .LBB62_4755
; %bb.4754:
	global_load_u16 v1, v[18:19], off
	s_mov_b32 s3, 0
	s_wait_loadcnt 0x1
	s_wait_xcnt 0x1
	v_mov_b32_e32 v17, s3
	s_wait_loadcnt 0x0
	v_and_b32_e32 v16, 0xffff, v1
.LBB62_4755:
	s_mov_b32 s3, 0
.LBB62_4756:
	s_delay_alu instid0(SALU_CYCLE_1)
	s_and_not1_b32 vcc_lo, exec_lo, s3
	s_cbranch_vccnz .LBB62_4762
; %bb.4757:
	global_load_u8 v1, v[18:19], off
	s_mov_b32 s18, 0
	s_mov_b32 s3, exec_lo
	s_wait_loadcnt 0x0
	v_cmpx_lt_i16_e32 0x7f, v1
	s_xor_b32 s3, exec_lo, s3
	s_cbranch_execz .LBB62_4774
; %bb.4758:
	v_cmp_ne_u16_e32 vcc_lo, 0x80, v1
	s_and_b32 s18, vcc_lo, exec_lo
	s_and_not1_saveexec_b32 s3, s3
	s_cbranch_execnz .LBB62_4775
.LBB62_4759:
	s_or_b32 exec_lo, exec_lo, s3
	v_mov_b64_e32 v[16:17], 0
	s_and_saveexec_b32 s3, s18
	s_cbranch_execz .LBB62_4761
.LBB62_4760:
	v_and_b32_e32 v3, 0xffff, v1
	s_delay_alu instid0(VALU_DEP_1) | instskip(SKIP_1) | instid1(VALU_DEP_2)
	v_dual_lshlrev_b32 v1, 24, v1 :: v_dual_bitop2_b32 v5, 7, v3 bitop3:0x40
	v_bfe_u32 v16, v3, 3, 4
	v_and_b32_e32 v1, 0x80000000, v1
	s_delay_alu instid0(VALU_DEP_3) | instskip(NEXT) | instid1(VALU_DEP_3)
	v_clz_i32_u32_e32 v7, v5
	v_cmp_eq_u32_e32 vcc_lo, 0, v16
	s_delay_alu instid0(VALU_DEP_2) | instskip(NEXT) | instid1(VALU_DEP_1)
	v_min_u32_e32 v7, 32, v7
	v_subrev_nc_u32_e32 v9, 28, v7
	v_sub_nc_u32_e32 v7, 29, v7
	s_delay_alu instid0(VALU_DEP_2) | instskip(NEXT) | instid1(VALU_DEP_2)
	v_lshlrev_b32_e32 v3, v9, v3
	v_cndmask_b32_e32 v7, v16, v7, vcc_lo
	s_delay_alu instid0(VALU_DEP_2) | instskip(NEXT) | instid1(VALU_DEP_1)
	v_and_b32_e32 v3, 7, v3
	v_cndmask_b32_e32 v3, v5, v3, vcc_lo
	s_delay_alu instid0(VALU_DEP_3) | instskip(NEXT) | instid1(VALU_DEP_2)
	v_lshl_add_u32 v5, v7, 23, 0x3b800000
	v_lshlrev_b32_e32 v3, 20, v3
	s_delay_alu instid0(VALU_DEP_1) | instskip(NEXT) | instid1(VALU_DEP_1)
	v_or3_b32 v1, v1, v5, v3
	v_trunc_f32_e32 v1, v1
	s_delay_alu instid0(VALU_DEP_1) | instskip(SKIP_1) | instid1(VALU_DEP_2)
	v_mul_f32_e64 v3, 0x2f800000, |v1|
	v_ashrrev_i32_e32 v16, 31, v1
	v_floor_f32_e32 v3, v3
	s_delay_alu instid0(VALU_DEP_2) | instskip(NEXT) | instid1(VALU_DEP_2)
	v_mov_b32_e32 v17, v16
	v_fma_f32 v5, 0xcf800000, v3, |v1|
	v_cvt_u32_f32_e32 v1, v3
	s_delay_alu instid0(VALU_DEP_2) | instskip(NEXT) | instid1(VALU_DEP_2)
	v_cvt_u32_f32_e32 v3, v5
	v_xor_b32_e32 v21, v1, v16
	s_delay_alu instid0(VALU_DEP_2) | instskip(NEXT) | instid1(VALU_DEP_1)
	v_xor_b32_e32 v20, v3, v16
	v_sub_nc_u64_e32 v[16:17], v[20:21], v[16:17]
.LBB62_4761:
	s_or_b32 exec_lo, exec_lo, s3
.LBB62_4762:
	s_mov_b32 s3, -1
.LBB62_4763:
	s_mov_b32 s18, 0
.LBB62_4764:
	s_delay_alu instid0(SALU_CYCLE_1)
	s_and_b32 vcc_lo, exec_lo, s18
	s_cbranch_vccz .LBB62_4795
; %bb.4765:
	s_cmp_gt_i32 s0, 22
	s_cbranch_scc0 .LBB62_4773
; %bb.4766:
	s_cmp_lt_i32 s0, 24
	s_cbranch_scc1 .LBB62_4776
; %bb.4767:
	s_cmp_gt_i32 s0, 24
	s_cbranch_scc0 .LBB62_4777
; %bb.4768:
	global_load_u8 v1, v[18:19], off
	s_mov_b32 s3, 0
	s_mov_b32 s2, exec_lo
	s_wait_loadcnt 0x0
	v_cmpx_lt_i16_e32 0x7f, v1
	s_xor_b32 s2, exec_lo, s2
	s_cbranch_execz .LBB62_4789
; %bb.4769:
	v_cmp_ne_u16_e32 vcc_lo, 0x80, v1
	s_and_b32 s3, vcc_lo, exec_lo
	s_and_not1_saveexec_b32 s2, s2
	s_cbranch_execnz .LBB62_4790
.LBB62_4770:
	s_or_b32 exec_lo, exec_lo, s2
	v_mov_b64_e32 v[16:17], 0
	s_and_saveexec_b32 s2, s3
	s_cbranch_execz .LBB62_4772
.LBB62_4771:
	v_and_b32_e32 v3, 0xffff, v1
	s_delay_alu instid0(VALU_DEP_1) | instskip(SKIP_1) | instid1(VALU_DEP_2)
	v_dual_lshlrev_b32 v1, 24, v1 :: v_dual_bitop2_b32 v5, 3, v3 bitop3:0x40
	v_bfe_u32 v16, v3, 2, 5
	v_and_b32_e32 v1, 0x80000000, v1
	s_delay_alu instid0(VALU_DEP_3) | instskip(NEXT) | instid1(VALU_DEP_3)
	v_clz_i32_u32_e32 v7, v5
	v_cmp_eq_u32_e32 vcc_lo, 0, v16
	s_delay_alu instid0(VALU_DEP_2) | instskip(NEXT) | instid1(VALU_DEP_1)
	v_min_u32_e32 v7, 32, v7
	v_subrev_nc_u32_e32 v9, 29, v7
	v_sub_nc_u32_e32 v7, 30, v7
	s_delay_alu instid0(VALU_DEP_2) | instskip(NEXT) | instid1(VALU_DEP_2)
	v_lshlrev_b32_e32 v3, v9, v3
	v_cndmask_b32_e32 v7, v16, v7, vcc_lo
	s_delay_alu instid0(VALU_DEP_2) | instskip(NEXT) | instid1(VALU_DEP_1)
	v_and_b32_e32 v3, 3, v3
	v_cndmask_b32_e32 v3, v5, v3, vcc_lo
	s_delay_alu instid0(VALU_DEP_3) | instskip(NEXT) | instid1(VALU_DEP_2)
	v_lshl_add_u32 v5, v7, 23, 0x37800000
	v_lshlrev_b32_e32 v3, 21, v3
	s_delay_alu instid0(VALU_DEP_1) | instskip(NEXT) | instid1(VALU_DEP_1)
	v_or3_b32 v1, v1, v5, v3
	v_trunc_f32_e32 v1, v1
	s_delay_alu instid0(VALU_DEP_1) | instskip(SKIP_1) | instid1(VALU_DEP_2)
	v_mul_f32_e64 v3, 0x2f800000, |v1|
	v_ashrrev_i32_e32 v16, 31, v1
	v_floor_f32_e32 v3, v3
	s_delay_alu instid0(VALU_DEP_2) | instskip(NEXT) | instid1(VALU_DEP_2)
	v_mov_b32_e32 v17, v16
	v_fma_f32 v5, 0xcf800000, v3, |v1|
	v_cvt_u32_f32_e32 v1, v3
	s_delay_alu instid0(VALU_DEP_2) | instskip(NEXT) | instid1(VALU_DEP_2)
	v_cvt_u32_f32_e32 v3, v5
	v_xor_b32_e32 v21, v1, v16
	s_delay_alu instid0(VALU_DEP_2) | instskip(NEXT) | instid1(VALU_DEP_1)
	v_xor_b32_e32 v20, v3, v16
	v_sub_nc_u64_e32 v[16:17], v[20:21], v[16:17]
.LBB62_4772:
	s_or_b32 exec_lo, exec_lo, s2
	s_mov_b32 s2, 0
	s_branch .LBB62_4778
.LBB62_4773:
	s_mov_b32 s2, -1
                                        ; implicit-def: $vgpr16_vgpr17
	s_branch .LBB62_4784
.LBB62_4774:
	s_and_not1_saveexec_b32 s3, s3
	s_cbranch_execz .LBB62_4759
.LBB62_4775:
	v_cmp_ne_u16_e32 vcc_lo, 0, v1
	s_and_not1_b32 s18, s18, exec_lo
	s_and_b32 s19, vcc_lo, exec_lo
	s_delay_alu instid0(SALU_CYCLE_1)
	s_or_b32 s18, s18, s19
	s_or_b32 exec_lo, exec_lo, s3
	v_mov_b64_e32 v[16:17], 0
	s_and_saveexec_b32 s3, s18
	s_cbranch_execnz .LBB62_4760
	s_branch .LBB62_4761
.LBB62_4776:
	s_mov_b32 s2, -1
                                        ; implicit-def: $vgpr16_vgpr17
	s_branch .LBB62_4781
.LBB62_4777:
	s_mov_b32 s2, -1
                                        ; implicit-def: $vgpr16_vgpr17
.LBB62_4778:
	s_delay_alu instid0(SALU_CYCLE_1)
	s_and_b32 vcc_lo, exec_lo, s2
	s_cbranch_vccz .LBB62_4780
; %bb.4779:
	global_load_u8 v1, v[18:19], off
	s_wait_loadcnt 0x0
	v_lshlrev_b32_e32 v1, 24, v1
	s_delay_alu instid0(VALU_DEP_1) | instskip(NEXT) | instid1(VALU_DEP_1)
	v_and_b32_e32 v3, 0x7f000000, v1
	v_clz_i32_u32_e32 v5, v3
	v_add_nc_u32_e32 v9, 0x1000000, v3
	v_cmp_ne_u32_e32 vcc_lo, 0, v3
	s_delay_alu instid0(VALU_DEP_3) | instskip(NEXT) | instid1(VALU_DEP_1)
	v_min_u32_e32 v5, 32, v5
	v_sub_nc_u32_e64 v5, v5, 4 clamp
	s_delay_alu instid0(VALU_DEP_1) | instskip(NEXT) | instid1(VALU_DEP_1)
	v_dual_lshlrev_b32 v7, v5, v3 :: v_dual_lshlrev_b32 v5, 23, v5
	v_lshrrev_b32_e32 v7, 4, v7
	s_delay_alu instid0(VALU_DEP_1) | instskip(SKIP_1) | instid1(VALU_DEP_2)
	v_sub_nc_u32_e32 v5, v7, v5
	v_ashrrev_i32_e32 v7, 8, v9
	v_add_nc_u32_e32 v5, 0x3c000000, v5
	s_delay_alu instid0(VALU_DEP_1) | instskip(NEXT) | instid1(VALU_DEP_1)
	v_and_or_b32 v5, 0x7f800000, v7, v5
	v_cndmask_b32_e32 v3, 0, v5, vcc_lo
	s_delay_alu instid0(VALU_DEP_1) | instskip(NEXT) | instid1(VALU_DEP_1)
	v_and_or_b32 v1, 0x80000000, v1, v3
	v_trunc_f32_e32 v1, v1
	s_delay_alu instid0(VALU_DEP_1) | instskip(SKIP_2) | instid1(VALU_DEP_2)
	v_mul_f32_e64 v3, 0x2f800000, |v1|
	s_wait_xcnt 0x1
	v_ashrrev_i32_e32 v16, 31, v1
	v_floor_f32_e32 v3, v3
	s_delay_alu instid0(VALU_DEP_2) | instskip(NEXT) | instid1(VALU_DEP_2)
	v_mov_b32_e32 v17, v16
	v_fma_f32 v5, 0xcf800000, v3, |v1|
	v_cvt_u32_f32_e32 v1, v3
	s_delay_alu instid0(VALU_DEP_2) | instskip(NEXT) | instid1(VALU_DEP_2)
	v_cvt_u32_f32_e32 v3, v5
	v_xor_b32_e32 v21, v1, v16
	s_delay_alu instid0(VALU_DEP_2) | instskip(NEXT) | instid1(VALU_DEP_1)
	v_xor_b32_e32 v20, v3, v16
	v_sub_nc_u64_e32 v[16:17], v[20:21], v[16:17]
.LBB62_4780:
	s_mov_b32 s2, 0
.LBB62_4781:
	s_delay_alu instid0(SALU_CYCLE_1)
	s_and_not1_b32 vcc_lo, exec_lo, s2
	s_cbranch_vccnz .LBB62_4783
; %bb.4782:
	global_load_u8 v1, v[18:19], off
	s_wait_loadcnt 0x0
	v_lshlrev_b32_e32 v3, 25, v1
	v_lshlrev_b16 v1, 8, v1
	s_delay_alu instid0(VALU_DEP_1) | instskip(SKIP_1) | instid1(VALU_DEP_2)
	v_and_or_b32 v7, 0x7f00, v1, 0.5
	v_bfe_i32 v1, v1, 0, 16
	v_add_f32_e32 v7, -0.5, v7
	v_lshrrev_b32_e32 v5, 4, v3
	v_cmp_gt_u32_e32 vcc_lo, 0x8000000, v3
	s_delay_alu instid0(VALU_DEP_2) | instskip(NEXT) | instid1(VALU_DEP_1)
	v_or_b32_e32 v5, 0x70000000, v5
	v_mul_f32_e32 v5, 0x7800000, v5
	s_delay_alu instid0(VALU_DEP_1) | instskip(NEXT) | instid1(VALU_DEP_1)
	v_cndmask_b32_e32 v3, v5, v7, vcc_lo
	v_and_or_b32 v1, 0x80000000, v1, v3
	s_delay_alu instid0(VALU_DEP_1) | instskip(NEXT) | instid1(VALU_DEP_1)
	v_trunc_f32_e32 v1, v1
	v_mul_f32_e64 v3, 0x2f800000, |v1|
	s_wait_xcnt 0x1
	v_ashrrev_i32_e32 v16, 31, v1
	s_delay_alu instid0(VALU_DEP_2) | instskip(NEXT) | instid1(VALU_DEP_2)
	v_floor_f32_e32 v3, v3
	v_mov_b32_e32 v17, v16
	s_delay_alu instid0(VALU_DEP_2) | instskip(SKIP_1) | instid1(VALU_DEP_2)
	v_fma_f32 v5, 0xcf800000, v3, |v1|
	v_cvt_u32_f32_e32 v1, v3
	v_cvt_u32_f32_e32 v3, v5
	s_delay_alu instid0(VALU_DEP_2) | instskip(NEXT) | instid1(VALU_DEP_2)
	v_xor_b32_e32 v21, v1, v16
	v_xor_b32_e32 v20, v3, v16
	s_delay_alu instid0(VALU_DEP_1)
	v_sub_nc_u64_e32 v[16:17], v[20:21], v[16:17]
.LBB62_4783:
	s_mov_b32 s2, 0
	s_mov_b32 s3, -1
.LBB62_4784:
	s_and_not1_b32 vcc_lo, exec_lo, s2
	s_mov_b32 s2, 0
	s_cbranch_vccnz .LBB62_4795
; %bb.4785:
	s_cmp_gt_i32 s0, 14
	s_cbranch_scc0 .LBB62_4788
; %bb.4786:
	s_cmp_eq_u32 s0, 15
	s_cbranch_scc0 .LBB62_4791
; %bb.4787:
	global_load_u16 v1, v[18:19], off
	s_mov_b32 s1, 0
	s_mov_b32 s3, -1
	s_wait_loadcnt 0x0
	v_lshlrev_b32_e32 v1, 16, v1
	s_delay_alu instid0(VALU_DEP_1) | instskip(NEXT) | instid1(VALU_DEP_1)
	v_trunc_f32_e32 v1, v1
	v_mul_f32_e64 v3, 0x2f800000, |v1|
	s_wait_xcnt 0x1
	v_ashrrev_i32_e32 v16, 31, v1
	s_delay_alu instid0(VALU_DEP_2) | instskip(NEXT) | instid1(VALU_DEP_2)
	v_floor_f32_e32 v3, v3
	v_mov_b32_e32 v17, v16
	s_delay_alu instid0(VALU_DEP_2) | instskip(SKIP_1) | instid1(VALU_DEP_2)
	v_fma_f32 v5, 0xcf800000, v3, |v1|
	v_cvt_u32_f32_e32 v1, v3
	v_cvt_u32_f32_e32 v3, v5
	s_delay_alu instid0(VALU_DEP_2) | instskip(NEXT) | instid1(VALU_DEP_2)
	v_xor_b32_e32 v21, v1, v16
	v_xor_b32_e32 v20, v3, v16
	s_delay_alu instid0(VALU_DEP_1)
	v_sub_nc_u64_e32 v[16:17], v[20:21], v[16:17]
	s_branch .LBB62_4793
.LBB62_4788:
	s_mov_b32 s2, -1
	s_branch .LBB62_4792
.LBB62_4789:
	s_and_not1_saveexec_b32 s2, s2
	s_cbranch_execz .LBB62_4770
.LBB62_4790:
	v_cmp_ne_u16_e32 vcc_lo, 0, v1
	s_and_not1_b32 s3, s3, exec_lo
	s_and_b32 s18, vcc_lo, exec_lo
	s_delay_alu instid0(SALU_CYCLE_1)
	s_or_b32 s3, s3, s18
	s_or_b32 exec_lo, exec_lo, s2
	v_mov_b64_e32 v[16:17], 0
	s_and_saveexec_b32 s2, s3
	s_cbranch_execnz .LBB62_4771
	s_branch .LBB62_4772
.LBB62_4791:
	s_mov_b32 s1, -1
.LBB62_4792:
                                        ; implicit-def: $vgpr16_vgpr17
.LBB62_4793:
	s_and_b32 vcc_lo, exec_lo, s2
	s_mov_b32 s2, 0
	s_cbranch_vccz .LBB62_4795
; %bb.4794:
	s_cmp_lg_u32 s0, 11
	s_mov_b32 s2, -1
	s_cselect_b32 s1, -1, 0
.LBB62_4795:
	s_delay_alu instid0(SALU_CYCLE_1)
	s_and_b32 vcc_lo, exec_lo, s1
	s_cbranch_vccnz .LBB62_4860
; %bb.4796:
	s_and_not1_b32 vcc_lo, exec_lo, s2
	s_cbranch_vccnz .LBB62_4798
.LBB62_4797:
	global_load_u8 v1, v[18:19], off
	s_mov_b32 s0, 0
	s_mov_b32 s3, -1
	s_wait_loadcnt 0x1
	s_wait_xcnt 0x1
	v_mov_b32_e32 v17, s0
	s_wait_loadcnt 0x0
	v_cmp_ne_u16_e32 vcc_lo, 0, v1
	v_cndmask_b32_e64 v16, 0, 1, vcc_lo
.LBB62_4798:
	s_mov_b32 s0, 0
.LBB62_4799:
	s_delay_alu instid0(SALU_CYCLE_1)
	s_and_b32 vcc_lo, exec_lo, s0
	s_cbranch_vccz .LBB62_4848
; %bb.4800:
	s_and_b32 s0, 0xffff, s60
	s_delay_alu instid0(SALU_CYCLE_1)
	s_cmp_lt_i32 s0, 5
	s_cbranch_scc1 .LBB62_4805
; %bb.4801:
	s_cmp_lt_i32 s0, 8
	s_cbranch_scc1 .LBB62_4806
; %bb.4802:
	;; [unrolled: 3-line block ×3, first 2 shown]
	s_cmp_gt_i32 s0, 9
	s_cbranch_scc0 .LBB62_4808
; %bb.4804:
	s_wait_loadcnt 0x0
	global_load_b64 v[16:17], v[18:19], off
	s_mov_b32 s1, 0
	s_wait_loadcnt 0x0
	v_trunc_f64_e32 v[16:17], v[16:17]
	s_delay_alu instid0(VALU_DEP_1) | instskip(NEXT) | instid1(VALU_DEP_1)
	v_ldexp_f64 v[20:21], v[16:17], 0xffffffe0
	v_floor_f64_e32 v[20:21], v[20:21]
	s_delay_alu instid0(VALU_DEP_1) | instskip(SKIP_1) | instid1(VALU_DEP_2)
	v_fmamk_f64 v[24:25], v[20:21], 0xc1f00000, v[16:17]
	v_cvt_i32_f64_e32 v17, v[20:21]
	v_cvt_u32_f64_e32 v16, v[24:25]
	s_branch .LBB62_4809
.LBB62_4805:
	s_mov_b32 s1, -1
                                        ; implicit-def: $vgpr16_vgpr17
	s_branch .LBB62_4827
.LBB62_4806:
	s_mov_b32 s1, -1
                                        ; implicit-def: $vgpr16_vgpr17
	s_branch .LBB62_4815
.LBB62_4807:
	s_mov_b32 s1, -1
                                        ; implicit-def: $vgpr16_vgpr17
	s_branch .LBB62_4812
.LBB62_4808:
	s_mov_b32 s1, -1
                                        ; implicit-def: $vgpr16_vgpr17
.LBB62_4809:
	s_delay_alu instid0(SALU_CYCLE_1)
	s_and_not1_b32 vcc_lo, exec_lo, s1
	s_cbranch_vccnz .LBB62_4811
; %bb.4810:
	global_load_b32 v1, v[18:19], off
	s_wait_loadcnt 0x0
	v_trunc_f32_e32 v1, v1
	s_delay_alu instid0(VALU_DEP_1) | instskip(SKIP_2) | instid1(VALU_DEP_2)
	v_mul_f32_e64 v3, 0x2f800000, |v1|
	s_wait_xcnt 0x1
	v_ashrrev_i32_e32 v16, 31, v1
	v_floor_f32_e32 v3, v3
	s_delay_alu instid0(VALU_DEP_1) | instskip(SKIP_1) | instid1(VALU_DEP_4)
	v_fma_f32 v5, 0xcf800000, v3, |v1|
	v_cvt_u32_f32_e32 v1, v3
	v_mov_b32_e32 v17, v16
	s_delay_alu instid0(VALU_DEP_3) | instskip(NEXT) | instid1(VALU_DEP_3)
	v_cvt_u32_f32_e32 v3, v5
	v_xor_b32_e32 v21, v1, v16
	s_delay_alu instid0(VALU_DEP_2) | instskip(NEXT) | instid1(VALU_DEP_1)
	v_xor_b32_e32 v20, v3, v16
	v_sub_nc_u64_e32 v[16:17], v[20:21], v[16:17]
.LBB62_4811:
	s_mov_b32 s1, 0
.LBB62_4812:
	s_delay_alu instid0(SALU_CYCLE_1)
	s_and_not1_b32 vcc_lo, exec_lo, s1
	s_cbranch_vccnz .LBB62_4814
; %bb.4813:
	global_load_b32 v1, v[18:19], off
	s_wait_loadcnt 0x0
	v_cvt_f32_f16_e32 v1, v1
	s_wait_xcnt 0x1
	s_delay_alu instid0(VALU_DEP_1) | instskip(NEXT) | instid1(VALU_DEP_1)
	v_cvt_i32_f32_e32 v16, v1
	v_ashrrev_i32_e32 v17, 31, v16
.LBB62_4814:
	s_mov_b32 s1, 0
.LBB62_4815:
	s_delay_alu instid0(SALU_CYCLE_1)
	s_and_not1_b32 vcc_lo, exec_lo, s1
	s_cbranch_vccnz .LBB62_4826
; %bb.4816:
	s_cmp_lt_i32 s0, 6
	s_cbranch_scc1 .LBB62_4819
; %bb.4817:
	s_cmp_gt_i32 s0, 6
	s_cbranch_scc0 .LBB62_4820
; %bb.4818:
	s_wait_loadcnt 0x0
	global_load_b64 v[16:17], v[18:19], off
	s_mov_b32 s1, 0
	s_wait_loadcnt 0x0
	v_trunc_f64_e32 v[16:17], v[16:17]
	s_delay_alu instid0(VALU_DEP_1) | instskip(NEXT) | instid1(VALU_DEP_1)
	v_ldexp_f64 v[20:21], v[16:17], 0xffffffe0
	v_floor_f64_e32 v[20:21], v[20:21]
	s_delay_alu instid0(VALU_DEP_1) | instskip(SKIP_1) | instid1(VALU_DEP_2)
	v_fmamk_f64 v[24:25], v[20:21], 0xc1f00000, v[16:17]
	v_cvt_i32_f64_e32 v17, v[20:21]
	v_cvt_u32_f64_e32 v16, v[24:25]
	s_branch .LBB62_4821
.LBB62_4819:
	s_mov_b32 s1, -1
                                        ; implicit-def: $vgpr16_vgpr17
	s_branch .LBB62_4824
.LBB62_4820:
	s_mov_b32 s1, -1
                                        ; implicit-def: $vgpr16_vgpr17
.LBB62_4821:
	s_delay_alu instid0(SALU_CYCLE_1)
	s_and_not1_b32 vcc_lo, exec_lo, s1
	s_cbranch_vccnz .LBB62_4823
; %bb.4822:
	global_load_b32 v1, v[18:19], off
	s_wait_loadcnt 0x0
	v_trunc_f32_e32 v1, v1
	s_delay_alu instid0(VALU_DEP_1) | instskip(SKIP_2) | instid1(VALU_DEP_2)
	v_mul_f32_e64 v3, 0x2f800000, |v1|
	s_wait_xcnt 0x1
	v_ashrrev_i32_e32 v16, 31, v1
	v_floor_f32_e32 v3, v3
	s_delay_alu instid0(VALU_DEP_1) | instskip(SKIP_1) | instid1(VALU_DEP_4)
	v_fma_f32 v5, 0xcf800000, v3, |v1|
	v_cvt_u32_f32_e32 v1, v3
	v_mov_b32_e32 v17, v16
	s_delay_alu instid0(VALU_DEP_3) | instskip(NEXT) | instid1(VALU_DEP_3)
	v_cvt_u32_f32_e32 v3, v5
	v_xor_b32_e32 v21, v1, v16
	s_delay_alu instid0(VALU_DEP_2) | instskip(NEXT) | instid1(VALU_DEP_1)
	v_xor_b32_e32 v20, v3, v16
	v_sub_nc_u64_e32 v[16:17], v[20:21], v[16:17]
.LBB62_4823:
	s_mov_b32 s1, 0
.LBB62_4824:
	s_delay_alu instid0(SALU_CYCLE_1)
	s_and_not1_b32 vcc_lo, exec_lo, s1
	s_cbranch_vccnz .LBB62_4826
; %bb.4825:
	global_load_u16 v1, v[18:19], off
	s_wait_loadcnt 0x0
	v_cvt_f32_f16_e32 v1, v1
	s_wait_xcnt 0x1
	s_delay_alu instid0(VALU_DEP_1) | instskip(NEXT) | instid1(VALU_DEP_1)
	v_cvt_i32_f32_e32 v16, v1
	v_ashrrev_i32_e32 v17, 31, v16
.LBB62_4826:
	s_mov_b32 s1, 0
.LBB62_4827:
	s_delay_alu instid0(SALU_CYCLE_1)
	s_and_not1_b32 vcc_lo, exec_lo, s1
	s_cbranch_vccnz .LBB62_4847
; %bb.4828:
	s_cmp_lt_i32 s0, 2
	s_cbranch_scc1 .LBB62_4832
; %bb.4829:
	s_cmp_lt_i32 s0, 3
	s_cbranch_scc1 .LBB62_4833
; %bb.4830:
	s_cmp_gt_i32 s0, 3
	s_cbranch_scc0 .LBB62_4834
; %bb.4831:
	s_wait_loadcnt 0x0
	global_load_b64 v[16:17], v[18:19], off
	s_mov_b32 s1, 0
	s_branch .LBB62_4835
.LBB62_4832:
	s_mov_b32 s1, -1
                                        ; implicit-def: $vgpr16_vgpr17
	s_branch .LBB62_4841
.LBB62_4833:
	s_mov_b32 s1, -1
                                        ; implicit-def: $vgpr16_vgpr17
	s_branch .LBB62_4838
.LBB62_4834:
	s_mov_b32 s1, -1
                                        ; implicit-def: $vgpr16_vgpr17
.LBB62_4835:
	s_delay_alu instid0(SALU_CYCLE_1)
	s_and_not1_b32 vcc_lo, exec_lo, s1
	s_cbranch_vccnz .LBB62_4837
; %bb.4836:
	s_wait_loadcnt 0x0
	global_load_b32 v16, v[18:19], off
	s_wait_loadcnt 0x0
	v_ashrrev_i32_e32 v17, 31, v16
.LBB62_4837:
	s_mov_b32 s1, 0
.LBB62_4838:
	s_delay_alu instid0(SALU_CYCLE_1)
	s_and_not1_b32 vcc_lo, exec_lo, s1
	s_cbranch_vccnz .LBB62_4840
; %bb.4839:
	global_load_u16 v1, v[18:19], off
	s_wait_loadcnt 0x0
	s_wait_xcnt 0x1
	v_bfe_i32 v16, v1, 0, 16
	s_delay_alu instid0(VALU_DEP_1)
	v_ashrrev_i32_e32 v17, 31, v16
.LBB62_4840:
	s_mov_b32 s1, 0
.LBB62_4841:
	s_delay_alu instid0(SALU_CYCLE_1)
	s_and_not1_b32 vcc_lo, exec_lo, s1
	s_cbranch_vccnz .LBB62_4847
; %bb.4842:
	s_cmp_gt_i32 s0, 0
	s_mov_b32 s0, 0
	s_cbranch_scc0 .LBB62_4844
; %bb.4843:
	global_load_i8 v1, v[18:19], off
	s_wait_loadcnt 0x0
	s_wait_xcnt 0x1
	v_bfe_i32 v16, v1, 0, 16
	s_delay_alu instid0(VALU_DEP_1)
	v_ashrrev_i32_e32 v17, 31, v16
	s_branch .LBB62_4845
.LBB62_4844:
	s_mov_b32 s0, -1
                                        ; implicit-def: $vgpr16_vgpr17
.LBB62_4845:
	s_delay_alu instid0(SALU_CYCLE_1)
	s_and_not1_b32 vcc_lo, exec_lo, s0
	s_cbranch_vccnz .LBB62_4847
; %bb.4846:
	global_load_u8 v1, v[18:19], off
	s_mov_b32 s0, 0
	s_wait_loadcnt 0x1
	s_wait_xcnt 0x1
	v_mov_b32_e32 v17, s0
	s_wait_loadcnt 0x0
	v_and_b32_e32 v16, 0xffff, v1
.LBB62_4847:
	s_mov_b32 s3, -1
.LBB62_4848:
	s_delay_alu instid0(SALU_CYCLE_1)
	s_and_not1_b32 vcc_lo, exec_lo, s3
	s_cbranch_vccnz .LBB62_4984
; %bb.4849:
	v_add_nc_u32_e32 v8, s73, v8
	s_cmp_lt_i32 s61, 11
	s_delay_alu instid0(VALU_DEP_1) | instskip(SKIP_1) | instid1(VALU_DEP_1)
	v_ashrrev_i32_e32 v9, 31, v8
	s_wait_xcnt 0x0
	v_add_nc_u64_e32 v[18:19], s[14:15], v[8:9]
	s_cbranch_scc1 .LBB62_4856
; %bb.4850:
	s_and_b32 s0, 0xffff, s61
	s_mov_b32 s2, 0
	s_cmp_gt_i32 s0, 25
	s_cbranch_scc0 .LBB62_4857
; %bb.4851:
	s_cmp_gt_i32 s0, 28
	s_cbranch_scc0 .LBB62_4858
; %bb.4852:
	;; [unrolled: 3-line block ×4, first 2 shown]
	s_cmp_eq_u32 s0, 46
	s_mov_b32 s18, 0
	s_cbranch_scc0 .LBB62_4862
; %bb.4855:
	global_load_b32 v1, v[18:19], off
	s_mov_b32 s1, 0
	s_mov_b32 s3, -1
	s_wait_loadcnt 0x0
	v_lshlrev_b32_e32 v1, 16, v1
	s_delay_alu instid0(VALU_DEP_1) | instskip(NEXT) | instid1(VALU_DEP_1)
	v_trunc_f32_e32 v1, v1
	v_mul_f32_e64 v3, 0x2f800000, |v1|
	v_ashrrev_i32_e32 v20, 31, v1
	s_delay_alu instid0(VALU_DEP_2) | instskip(NEXT) | instid1(VALU_DEP_2)
	v_floor_f32_e32 v3, v3
	v_mov_b32_e32 v21, v20
	s_delay_alu instid0(VALU_DEP_2) | instskip(SKIP_1) | instid1(VALU_DEP_2)
	v_fma_f32 v5, 0xcf800000, v3, |v1|
	v_cvt_u32_f32_e32 v1, v3
	v_cvt_u32_f32_e32 v3, v5
	s_delay_alu instid0(VALU_DEP_2) | instskip(NEXT) | instid1(VALU_DEP_2)
	v_xor_b32_e32 v25, v1, v20
	v_xor_b32_e32 v24, v3, v20
	s_delay_alu instid0(VALU_DEP_1)
	v_sub_nc_u64_e32 v[20:21], v[24:25], v[20:21]
	s_branch .LBB62_4864
.LBB62_4856:
	s_mov_b32 s0, -1
	s_mov_b32 s3, 0
                                        ; implicit-def: $vgpr20_vgpr21
	s_branch .LBB62_4926
.LBB62_4857:
	s_mov_b32 s18, -1
	s_mov_b32 s3, 0
	s_mov_b32 s1, 0
                                        ; implicit-def: $vgpr20_vgpr21
	s_branch .LBB62_4891
.LBB62_4858:
	s_mov_b32 s18, -1
	s_mov_b32 s3, 0
	s_mov_b32 s1, 0
                                        ; implicit-def: $vgpr20_vgpr21
	s_branch .LBB62_4874
.LBB62_4859:
	s_mov_b32 s18, -1
	s_mov_b32 s3, 0
	s_mov_b32 s1, 0
                                        ; implicit-def: $vgpr20_vgpr21
	s_branch .LBB62_4869
.LBB62_4860:
	s_or_b32 s68, s68, exec_lo
	s_trap 2
	s_cbranch_execz .LBB62_4797
	s_branch .LBB62_4798
.LBB62_4861:
	s_mov_b32 s18, -1
	s_mov_b32 s3, 0
	s_mov_b32 s1, 0
	s_branch .LBB62_4863
.LBB62_4862:
	s_mov_b32 s1, -1
	s_mov_b32 s3, 0
.LBB62_4863:
                                        ; implicit-def: $vgpr20_vgpr21
.LBB62_4864:
	s_and_b32 vcc_lo, exec_lo, s18
	s_cbranch_vccz .LBB62_4868
; %bb.4865:
	s_cmp_eq_u32 s0, 44
	s_cbranch_scc0 .LBB62_4867
; %bb.4866:
	global_load_u8 v1, v[18:19], off
	s_mov_b32 s1, 0
	s_mov_b32 s3, -1
	s_wait_loadcnt 0x0
	v_lshlrev_b32_e32 v3, 23, v1
	v_cmp_ne_u32_e32 vcc_lo, 0, v1
	s_delay_alu instid0(VALU_DEP_2) | instskip(NEXT) | instid1(VALU_DEP_1)
	v_trunc_f32_e32 v3, v3
	v_mul_f32_e64 v5, 0x2f800000, |v3|
	v_ashrrev_i32_e32 v20, 31, v3
	s_delay_alu instid0(VALU_DEP_2) | instskip(NEXT) | instid1(VALU_DEP_2)
	v_floor_f32_e32 v5, v5
	v_mov_b32_e32 v21, v20
	s_delay_alu instid0(VALU_DEP_2) | instskip(SKIP_1) | instid1(VALU_DEP_2)
	v_fma_f32 v7, 0xcf800000, v5, |v3|
	v_cvt_u32_f32_e32 v3, v5
	v_cvt_u32_f32_e32 v5, v7
	s_delay_alu instid0(VALU_DEP_2) | instskip(NEXT) | instid1(VALU_DEP_2)
	v_xor_b32_e32 v25, v3, v20
	v_xor_b32_e32 v24, v5, v20
	s_delay_alu instid0(VALU_DEP_1) | instskip(NEXT) | instid1(VALU_DEP_1)
	v_sub_nc_u64_e32 v[20:21], v[24:25], v[20:21]
	v_dual_cndmask_b32 v21, 0, v21 :: v_dual_cndmask_b32 v20, 0, v20
	s_branch .LBB62_4868
.LBB62_4867:
	s_mov_b32 s1, -1
                                        ; implicit-def: $vgpr20_vgpr21
.LBB62_4868:
	s_mov_b32 s18, 0
.LBB62_4869:
	s_delay_alu instid0(SALU_CYCLE_1)
	s_and_b32 vcc_lo, exec_lo, s18
	s_cbranch_vccz .LBB62_4873
; %bb.4870:
	s_cmp_eq_u32 s0, 29
	s_cbranch_scc0 .LBB62_4872
; %bb.4871:
	global_load_b64 v[20:21], v[18:19], off
	s_mov_b32 s1, 0
	s_mov_b32 s3, -1
	s_branch .LBB62_4873
.LBB62_4872:
	s_mov_b32 s1, -1
                                        ; implicit-def: $vgpr20_vgpr21
.LBB62_4873:
	s_mov_b32 s18, 0
.LBB62_4874:
	s_delay_alu instid0(SALU_CYCLE_1)
	s_and_b32 vcc_lo, exec_lo, s18
	s_cbranch_vccz .LBB62_4890
; %bb.4875:
	s_cmp_lt_i32 s0, 27
	s_cbranch_scc1 .LBB62_4878
; %bb.4876:
	s_cmp_gt_i32 s0, 27
	s_cbranch_scc0 .LBB62_4879
; %bb.4877:
	s_wait_loadcnt 0x0
	global_load_b32 v20, v[18:19], off
	v_mov_b32_e32 v21, 0
	s_mov_b32 s3, 0
	s_branch .LBB62_4880
.LBB62_4878:
	s_mov_b32 s3, -1
                                        ; implicit-def: $vgpr20_vgpr21
	s_branch .LBB62_4883
.LBB62_4879:
	s_mov_b32 s3, -1
                                        ; implicit-def: $vgpr20_vgpr21
.LBB62_4880:
	s_delay_alu instid0(SALU_CYCLE_1)
	s_and_not1_b32 vcc_lo, exec_lo, s3
	s_cbranch_vccnz .LBB62_4882
; %bb.4881:
	global_load_u16 v1, v[18:19], off
	s_mov_b32 s3, 0
	s_wait_loadcnt 0x1
	v_mov_b32_e32 v21, s3
	s_wait_loadcnt 0x0
	v_and_b32_e32 v20, 0xffff, v1
.LBB62_4882:
	s_mov_b32 s3, 0
.LBB62_4883:
	s_delay_alu instid0(SALU_CYCLE_1)
	s_and_not1_b32 vcc_lo, exec_lo, s3
	s_cbranch_vccnz .LBB62_4889
; %bb.4884:
	global_load_u8 v1, v[18:19], off
	s_mov_b32 s18, 0
	s_mov_b32 s3, exec_lo
	s_wait_loadcnt 0x0
	v_cmpx_lt_i16_e32 0x7f, v1
	s_xor_b32 s3, exec_lo, s3
	s_cbranch_execz .LBB62_4901
; %bb.4885:
	v_cmp_ne_u16_e32 vcc_lo, 0x80, v1
	s_and_b32 s18, vcc_lo, exec_lo
	s_and_not1_saveexec_b32 s3, s3
	s_cbranch_execnz .LBB62_4902
.LBB62_4886:
	s_or_b32 exec_lo, exec_lo, s3
	v_mov_b64_e32 v[20:21], 0
	s_and_saveexec_b32 s3, s18
	s_cbranch_execz .LBB62_4888
.LBB62_4887:
	v_and_b32_e32 v3, 0xffff, v1
	s_delay_alu instid0(VALU_DEP_1) | instskip(SKIP_1) | instid1(VALU_DEP_2)
	v_dual_lshlrev_b32 v1, 24, v1 :: v_dual_bitop2_b32 v5, 7, v3 bitop3:0x40
	v_bfe_u32 v20, v3, 3, 4
	v_and_b32_e32 v1, 0x80000000, v1
	s_delay_alu instid0(VALU_DEP_3) | instskip(NEXT) | instid1(VALU_DEP_3)
	v_clz_i32_u32_e32 v7, v5
	v_cmp_eq_u32_e32 vcc_lo, 0, v20
	s_delay_alu instid0(VALU_DEP_2) | instskip(NEXT) | instid1(VALU_DEP_1)
	v_min_u32_e32 v7, 32, v7
	v_subrev_nc_u32_e32 v9, 28, v7
	v_sub_nc_u32_e32 v7, 29, v7
	s_delay_alu instid0(VALU_DEP_2) | instskip(NEXT) | instid1(VALU_DEP_2)
	v_lshlrev_b32_e32 v3, v9, v3
	v_cndmask_b32_e32 v7, v20, v7, vcc_lo
	s_delay_alu instid0(VALU_DEP_2) | instskip(NEXT) | instid1(VALU_DEP_1)
	v_and_b32_e32 v3, 7, v3
	v_cndmask_b32_e32 v3, v5, v3, vcc_lo
	s_delay_alu instid0(VALU_DEP_3) | instskip(NEXT) | instid1(VALU_DEP_2)
	v_lshl_add_u32 v5, v7, 23, 0x3b800000
	v_lshlrev_b32_e32 v3, 20, v3
	s_delay_alu instid0(VALU_DEP_1) | instskip(NEXT) | instid1(VALU_DEP_1)
	v_or3_b32 v1, v1, v5, v3
	v_trunc_f32_e32 v1, v1
	s_delay_alu instid0(VALU_DEP_1) | instskip(SKIP_1) | instid1(VALU_DEP_2)
	v_mul_f32_e64 v3, 0x2f800000, |v1|
	v_ashrrev_i32_e32 v20, 31, v1
	v_floor_f32_e32 v3, v3
	s_delay_alu instid0(VALU_DEP_2) | instskip(NEXT) | instid1(VALU_DEP_2)
	v_mov_b32_e32 v21, v20
	v_fma_f32 v5, 0xcf800000, v3, |v1|
	v_cvt_u32_f32_e32 v1, v3
	s_delay_alu instid0(VALU_DEP_2) | instskip(NEXT) | instid1(VALU_DEP_2)
	v_cvt_u32_f32_e32 v3, v5
	v_xor_b32_e32 v25, v1, v20
	s_delay_alu instid0(VALU_DEP_2) | instskip(NEXT) | instid1(VALU_DEP_1)
	v_xor_b32_e32 v24, v3, v20
	v_sub_nc_u64_e32 v[20:21], v[24:25], v[20:21]
.LBB62_4888:
	s_or_b32 exec_lo, exec_lo, s3
.LBB62_4889:
	s_mov_b32 s3, -1
.LBB62_4890:
	s_mov_b32 s18, 0
.LBB62_4891:
	s_delay_alu instid0(SALU_CYCLE_1)
	s_and_b32 vcc_lo, exec_lo, s18
	s_cbranch_vccz .LBB62_4922
; %bb.4892:
	s_cmp_gt_i32 s0, 22
	s_cbranch_scc0 .LBB62_4900
; %bb.4893:
	s_cmp_lt_i32 s0, 24
	s_cbranch_scc1 .LBB62_4903
; %bb.4894:
	s_cmp_gt_i32 s0, 24
	s_cbranch_scc0 .LBB62_4904
; %bb.4895:
	global_load_u8 v1, v[18:19], off
	s_mov_b32 s3, 0
	s_mov_b32 s2, exec_lo
	s_wait_loadcnt 0x0
	v_cmpx_lt_i16_e32 0x7f, v1
	s_xor_b32 s2, exec_lo, s2
	s_cbranch_execz .LBB62_4916
; %bb.4896:
	v_cmp_ne_u16_e32 vcc_lo, 0x80, v1
	s_and_b32 s3, vcc_lo, exec_lo
	s_and_not1_saveexec_b32 s2, s2
	s_cbranch_execnz .LBB62_4917
.LBB62_4897:
	s_or_b32 exec_lo, exec_lo, s2
	v_mov_b64_e32 v[20:21], 0
	s_and_saveexec_b32 s2, s3
	s_cbranch_execz .LBB62_4899
.LBB62_4898:
	v_and_b32_e32 v3, 0xffff, v1
	s_delay_alu instid0(VALU_DEP_1) | instskip(SKIP_1) | instid1(VALU_DEP_2)
	v_dual_lshlrev_b32 v1, 24, v1 :: v_dual_bitop2_b32 v5, 3, v3 bitop3:0x40
	v_bfe_u32 v20, v3, 2, 5
	v_and_b32_e32 v1, 0x80000000, v1
	s_delay_alu instid0(VALU_DEP_3) | instskip(NEXT) | instid1(VALU_DEP_3)
	v_clz_i32_u32_e32 v7, v5
	v_cmp_eq_u32_e32 vcc_lo, 0, v20
	s_delay_alu instid0(VALU_DEP_2) | instskip(NEXT) | instid1(VALU_DEP_1)
	v_min_u32_e32 v7, 32, v7
	v_subrev_nc_u32_e32 v9, 29, v7
	v_sub_nc_u32_e32 v7, 30, v7
	s_delay_alu instid0(VALU_DEP_2) | instskip(NEXT) | instid1(VALU_DEP_2)
	v_lshlrev_b32_e32 v3, v9, v3
	v_cndmask_b32_e32 v7, v20, v7, vcc_lo
	s_delay_alu instid0(VALU_DEP_2) | instskip(NEXT) | instid1(VALU_DEP_1)
	v_and_b32_e32 v3, 3, v3
	v_cndmask_b32_e32 v3, v5, v3, vcc_lo
	s_delay_alu instid0(VALU_DEP_3) | instskip(NEXT) | instid1(VALU_DEP_2)
	v_lshl_add_u32 v5, v7, 23, 0x37800000
	v_lshlrev_b32_e32 v3, 21, v3
	s_delay_alu instid0(VALU_DEP_1) | instskip(NEXT) | instid1(VALU_DEP_1)
	v_or3_b32 v1, v1, v5, v3
	v_trunc_f32_e32 v1, v1
	s_delay_alu instid0(VALU_DEP_1) | instskip(SKIP_1) | instid1(VALU_DEP_2)
	v_mul_f32_e64 v3, 0x2f800000, |v1|
	v_ashrrev_i32_e32 v20, 31, v1
	v_floor_f32_e32 v3, v3
	s_delay_alu instid0(VALU_DEP_2) | instskip(NEXT) | instid1(VALU_DEP_2)
	v_mov_b32_e32 v21, v20
	v_fma_f32 v5, 0xcf800000, v3, |v1|
	v_cvt_u32_f32_e32 v1, v3
	s_delay_alu instid0(VALU_DEP_2) | instskip(NEXT) | instid1(VALU_DEP_2)
	v_cvt_u32_f32_e32 v3, v5
	v_xor_b32_e32 v25, v1, v20
	s_delay_alu instid0(VALU_DEP_2) | instskip(NEXT) | instid1(VALU_DEP_1)
	v_xor_b32_e32 v24, v3, v20
	v_sub_nc_u64_e32 v[20:21], v[24:25], v[20:21]
.LBB62_4899:
	s_or_b32 exec_lo, exec_lo, s2
	s_mov_b32 s2, 0
	s_branch .LBB62_4905
.LBB62_4900:
	s_mov_b32 s2, -1
                                        ; implicit-def: $vgpr20_vgpr21
	s_branch .LBB62_4911
.LBB62_4901:
	s_and_not1_saveexec_b32 s3, s3
	s_cbranch_execz .LBB62_4886
.LBB62_4902:
	v_cmp_ne_u16_e32 vcc_lo, 0, v1
	s_and_not1_b32 s18, s18, exec_lo
	s_and_b32 s19, vcc_lo, exec_lo
	s_delay_alu instid0(SALU_CYCLE_1)
	s_or_b32 s18, s18, s19
	s_or_b32 exec_lo, exec_lo, s3
	v_mov_b64_e32 v[20:21], 0
	s_and_saveexec_b32 s3, s18
	s_cbranch_execnz .LBB62_4887
	s_branch .LBB62_4888
.LBB62_4903:
	s_mov_b32 s2, -1
                                        ; implicit-def: $vgpr20_vgpr21
	s_branch .LBB62_4908
.LBB62_4904:
	s_mov_b32 s2, -1
                                        ; implicit-def: $vgpr20_vgpr21
.LBB62_4905:
	s_delay_alu instid0(SALU_CYCLE_1)
	s_and_b32 vcc_lo, exec_lo, s2
	s_cbranch_vccz .LBB62_4907
; %bb.4906:
	global_load_u8 v1, v[18:19], off
	s_wait_loadcnt 0x0
	v_lshlrev_b32_e32 v1, 24, v1
	s_delay_alu instid0(VALU_DEP_1) | instskip(NEXT) | instid1(VALU_DEP_1)
	v_and_b32_e32 v3, 0x7f000000, v1
	v_clz_i32_u32_e32 v5, v3
	v_add_nc_u32_e32 v9, 0x1000000, v3
	v_cmp_ne_u32_e32 vcc_lo, 0, v3
	s_delay_alu instid0(VALU_DEP_3) | instskip(NEXT) | instid1(VALU_DEP_1)
	v_min_u32_e32 v5, 32, v5
	v_sub_nc_u32_e64 v5, v5, 4 clamp
	s_delay_alu instid0(VALU_DEP_1) | instskip(NEXT) | instid1(VALU_DEP_1)
	v_dual_lshlrev_b32 v7, v5, v3 :: v_dual_lshlrev_b32 v5, 23, v5
	v_lshrrev_b32_e32 v7, 4, v7
	s_delay_alu instid0(VALU_DEP_1) | instskip(SKIP_1) | instid1(VALU_DEP_2)
	v_sub_nc_u32_e32 v5, v7, v5
	v_ashrrev_i32_e32 v7, 8, v9
	v_add_nc_u32_e32 v5, 0x3c000000, v5
	s_delay_alu instid0(VALU_DEP_1) | instskip(NEXT) | instid1(VALU_DEP_1)
	v_and_or_b32 v5, 0x7f800000, v7, v5
	v_cndmask_b32_e32 v3, 0, v5, vcc_lo
	s_delay_alu instid0(VALU_DEP_1) | instskip(NEXT) | instid1(VALU_DEP_1)
	v_and_or_b32 v1, 0x80000000, v1, v3
	v_trunc_f32_e32 v1, v1
	s_delay_alu instid0(VALU_DEP_1) | instskip(SKIP_1) | instid1(VALU_DEP_2)
	v_mul_f32_e64 v3, 0x2f800000, |v1|
	v_ashrrev_i32_e32 v20, 31, v1
	v_floor_f32_e32 v3, v3
	s_delay_alu instid0(VALU_DEP_2) | instskip(NEXT) | instid1(VALU_DEP_2)
	v_mov_b32_e32 v21, v20
	v_fma_f32 v5, 0xcf800000, v3, |v1|
	v_cvt_u32_f32_e32 v1, v3
	s_delay_alu instid0(VALU_DEP_2) | instskip(NEXT) | instid1(VALU_DEP_2)
	v_cvt_u32_f32_e32 v3, v5
	v_xor_b32_e32 v25, v1, v20
	s_delay_alu instid0(VALU_DEP_2) | instskip(NEXT) | instid1(VALU_DEP_1)
	v_xor_b32_e32 v24, v3, v20
	v_sub_nc_u64_e32 v[20:21], v[24:25], v[20:21]
.LBB62_4907:
	s_mov_b32 s2, 0
.LBB62_4908:
	s_delay_alu instid0(SALU_CYCLE_1)
	s_and_not1_b32 vcc_lo, exec_lo, s2
	s_cbranch_vccnz .LBB62_4910
; %bb.4909:
	global_load_u8 v1, v[18:19], off
	s_wait_loadcnt 0x0
	v_lshlrev_b32_e32 v3, 25, v1
	v_lshlrev_b16 v1, 8, v1
	s_delay_alu instid0(VALU_DEP_1) | instskip(SKIP_1) | instid1(VALU_DEP_2)
	v_and_or_b32 v7, 0x7f00, v1, 0.5
	v_bfe_i32 v1, v1, 0, 16
	v_add_f32_e32 v7, -0.5, v7
	v_lshrrev_b32_e32 v5, 4, v3
	v_cmp_gt_u32_e32 vcc_lo, 0x8000000, v3
	s_delay_alu instid0(VALU_DEP_2) | instskip(NEXT) | instid1(VALU_DEP_1)
	v_or_b32_e32 v5, 0x70000000, v5
	v_mul_f32_e32 v5, 0x7800000, v5
	s_delay_alu instid0(VALU_DEP_1) | instskip(NEXT) | instid1(VALU_DEP_1)
	v_cndmask_b32_e32 v3, v5, v7, vcc_lo
	v_and_or_b32 v1, 0x80000000, v1, v3
	s_delay_alu instid0(VALU_DEP_1) | instskip(NEXT) | instid1(VALU_DEP_1)
	v_trunc_f32_e32 v1, v1
	v_mul_f32_e64 v3, 0x2f800000, |v1|
	v_ashrrev_i32_e32 v20, 31, v1
	s_delay_alu instid0(VALU_DEP_2) | instskip(NEXT) | instid1(VALU_DEP_2)
	v_floor_f32_e32 v3, v3
	v_mov_b32_e32 v21, v20
	s_delay_alu instid0(VALU_DEP_2) | instskip(SKIP_1) | instid1(VALU_DEP_2)
	v_fma_f32 v5, 0xcf800000, v3, |v1|
	v_cvt_u32_f32_e32 v1, v3
	v_cvt_u32_f32_e32 v3, v5
	s_delay_alu instid0(VALU_DEP_2) | instskip(NEXT) | instid1(VALU_DEP_2)
	v_xor_b32_e32 v25, v1, v20
	v_xor_b32_e32 v24, v3, v20
	s_delay_alu instid0(VALU_DEP_1)
	v_sub_nc_u64_e32 v[20:21], v[24:25], v[20:21]
.LBB62_4910:
	s_mov_b32 s2, 0
	s_mov_b32 s3, -1
.LBB62_4911:
	s_and_not1_b32 vcc_lo, exec_lo, s2
	s_mov_b32 s2, 0
	s_cbranch_vccnz .LBB62_4922
; %bb.4912:
	s_cmp_gt_i32 s0, 14
	s_cbranch_scc0 .LBB62_4915
; %bb.4913:
	s_cmp_eq_u32 s0, 15
	s_cbranch_scc0 .LBB62_4918
; %bb.4914:
	global_load_u16 v1, v[18:19], off
	s_mov_b32 s1, 0
	s_mov_b32 s3, -1
	s_wait_loadcnt 0x0
	v_lshlrev_b32_e32 v1, 16, v1
	s_delay_alu instid0(VALU_DEP_1) | instskip(NEXT) | instid1(VALU_DEP_1)
	v_trunc_f32_e32 v1, v1
	v_mul_f32_e64 v3, 0x2f800000, |v1|
	v_ashrrev_i32_e32 v20, 31, v1
	s_delay_alu instid0(VALU_DEP_2) | instskip(NEXT) | instid1(VALU_DEP_2)
	v_floor_f32_e32 v3, v3
	v_mov_b32_e32 v21, v20
	s_delay_alu instid0(VALU_DEP_2) | instskip(SKIP_1) | instid1(VALU_DEP_2)
	v_fma_f32 v5, 0xcf800000, v3, |v1|
	v_cvt_u32_f32_e32 v1, v3
	v_cvt_u32_f32_e32 v3, v5
	s_delay_alu instid0(VALU_DEP_2) | instskip(NEXT) | instid1(VALU_DEP_2)
	v_xor_b32_e32 v25, v1, v20
	v_xor_b32_e32 v24, v3, v20
	s_delay_alu instid0(VALU_DEP_1)
	v_sub_nc_u64_e32 v[20:21], v[24:25], v[20:21]
	s_branch .LBB62_4920
.LBB62_4915:
	s_mov_b32 s2, -1
	s_branch .LBB62_4919
.LBB62_4916:
	s_and_not1_saveexec_b32 s2, s2
	s_cbranch_execz .LBB62_4897
.LBB62_4917:
	v_cmp_ne_u16_e32 vcc_lo, 0, v1
	s_and_not1_b32 s3, s3, exec_lo
	s_and_b32 s18, vcc_lo, exec_lo
	s_delay_alu instid0(SALU_CYCLE_1)
	s_or_b32 s3, s3, s18
	s_or_b32 exec_lo, exec_lo, s2
	v_mov_b64_e32 v[20:21], 0
	s_and_saveexec_b32 s2, s3
	s_cbranch_execnz .LBB62_4898
	s_branch .LBB62_4899
.LBB62_4918:
	s_mov_b32 s1, -1
.LBB62_4919:
                                        ; implicit-def: $vgpr20_vgpr21
.LBB62_4920:
	s_and_b32 vcc_lo, exec_lo, s2
	s_mov_b32 s2, 0
	s_cbranch_vccz .LBB62_4922
; %bb.4921:
	s_cmp_lg_u32 s0, 11
	s_mov_b32 s2, -1
	s_cselect_b32 s1, -1, 0
.LBB62_4922:
	s_delay_alu instid0(SALU_CYCLE_1)
	s_and_b32 vcc_lo, exec_lo, s1
	s_cbranch_vccnz .LBB62_5010
; %bb.4923:
	s_and_not1_b32 vcc_lo, exec_lo, s2
	s_cbranch_vccnz .LBB62_4925
.LBB62_4924:
	global_load_u8 v1, v[18:19], off
	s_mov_b32 s0, 0
	s_mov_b32 s3, -1
	s_wait_loadcnt 0x1
	v_mov_b32_e32 v21, s0
	s_wait_loadcnt 0x0
	v_cmp_ne_u16_e32 vcc_lo, 0, v1
	v_cndmask_b32_e64 v20, 0, 1, vcc_lo
.LBB62_4925:
	s_mov_b32 s0, 0
.LBB62_4926:
	s_delay_alu instid0(SALU_CYCLE_1)
	s_and_b32 vcc_lo, exec_lo, s0
	s_cbranch_vccz .LBB62_4975
; %bb.4927:
	s_and_b32 s0, 0xffff, s61
	s_delay_alu instid0(SALU_CYCLE_1)
	s_cmp_lt_i32 s0, 5
	s_cbranch_scc1 .LBB62_4932
; %bb.4928:
	s_cmp_lt_i32 s0, 8
	s_cbranch_scc1 .LBB62_4933
; %bb.4929:
	;; [unrolled: 3-line block ×3, first 2 shown]
	s_cmp_gt_i32 s0, 9
	s_cbranch_scc0 .LBB62_4935
; %bb.4931:
	s_wait_loadcnt 0x0
	global_load_b64 v[20:21], v[18:19], off
	s_mov_b32 s1, 0
	s_wait_loadcnt 0x0
	v_trunc_f64_e32 v[20:21], v[20:21]
	s_delay_alu instid0(VALU_DEP_1) | instskip(NEXT) | instid1(VALU_DEP_1)
	v_ldexp_f64 v[24:25], v[20:21], 0xffffffe0
	v_floor_f64_e32 v[24:25], v[24:25]
	s_delay_alu instid0(VALU_DEP_1) | instskip(SKIP_1) | instid1(VALU_DEP_2)
	v_fmamk_f64 v[26:27], v[24:25], 0xc1f00000, v[20:21]
	v_cvt_i32_f64_e32 v21, v[24:25]
	v_cvt_u32_f64_e32 v20, v[26:27]
	s_branch .LBB62_4936
.LBB62_4932:
	s_mov_b32 s1, -1
                                        ; implicit-def: $vgpr20_vgpr21
	s_branch .LBB62_4954
.LBB62_4933:
	s_mov_b32 s1, -1
                                        ; implicit-def: $vgpr20_vgpr21
	s_branch .LBB62_4942
.LBB62_4934:
	s_mov_b32 s1, -1
                                        ; implicit-def: $vgpr20_vgpr21
	s_branch .LBB62_4939
.LBB62_4935:
	s_mov_b32 s1, -1
                                        ; implicit-def: $vgpr20_vgpr21
.LBB62_4936:
	s_delay_alu instid0(SALU_CYCLE_1)
	s_and_not1_b32 vcc_lo, exec_lo, s1
	s_cbranch_vccnz .LBB62_4938
; %bb.4937:
	global_load_b32 v1, v[18:19], off
	s_wait_loadcnt 0x0
	v_trunc_f32_e32 v1, v1
	s_delay_alu instid0(VALU_DEP_1) | instskip(SKIP_1) | instid1(VALU_DEP_2)
	v_mul_f32_e64 v3, 0x2f800000, |v1|
	v_ashrrev_i32_e32 v20, 31, v1
	v_floor_f32_e32 v3, v3
	s_delay_alu instid0(VALU_DEP_1) | instskip(SKIP_1) | instid1(VALU_DEP_4)
	v_fma_f32 v5, 0xcf800000, v3, |v1|
	v_cvt_u32_f32_e32 v1, v3
	v_mov_b32_e32 v21, v20
	s_delay_alu instid0(VALU_DEP_3) | instskip(NEXT) | instid1(VALU_DEP_3)
	v_cvt_u32_f32_e32 v3, v5
	v_xor_b32_e32 v25, v1, v20
	s_delay_alu instid0(VALU_DEP_2) | instskip(NEXT) | instid1(VALU_DEP_1)
	v_xor_b32_e32 v24, v3, v20
	v_sub_nc_u64_e32 v[20:21], v[24:25], v[20:21]
.LBB62_4938:
	s_mov_b32 s1, 0
.LBB62_4939:
	s_delay_alu instid0(SALU_CYCLE_1)
	s_and_not1_b32 vcc_lo, exec_lo, s1
	s_cbranch_vccnz .LBB62_4941
; %bb.4940:
	global_load_b32 v1, v[18:19], off
	s_wait_loadcnt 0x0
	v_cvt_f32_f16_e32 v1, v1
	s_delay_alu instid0(VALU_DEP_1) | instskip(NEXT) | instid1(VALU_DEP_1)
	v_cvt_i32_f32_e32 v20, v1
	v_ashrrev_i32_e32 v21, 31, v20
.LBB62_4941:
	s_mov_b32 s1, 0
.LBB62_4942:
	s_delay_alu instid0(SALU_CYCLE_1)
	s_and_not1_b32 vcc_lo, exec_lo, s1
	s_cbranch_vccnz .LBB62_4953
; %bb.4943:
	s_cmp_lt_i32 s0, 6
	s_cbranch_scc1 .LBB62_4946
; %bb.4944:
	s_cmp_gt_i32 s0, 6
	s_cbranch_scc0 .LBB62_4947
; %bb.4945:
	s_wait_loadcnt 0x0
	global_load_b64 v[20:21], v[18:19], off
	s_mov_b32 s1, 0
	s_wait_loadcnt 0x0
	v_trunc_f64_e32 v[20:21], v[20:21]
	s_delay_alu instid0(VALU_DEP_1) | instskip(NEXT) | instid1(VALU_DEP_1)
	v_ldexp_f64 v[24:25], v[20:21], 0xffffffe0
	v_floor_f64_e32 v[24:25], v[24:25]
	s_delay_alu instid0(VALU_DEP_1) | instskip(SKIP_1) | instid1(VALU_DEP_2)
	v_fmamk_f64 v[26:27], v[24:25], 0xc1f00000, v[20:21]
	v_cvt_i32_f64_e32 v21, v[24:25]
	v_cvt_u32_f64_e32 v20, v[26:27]
	s_branch .LBB62_4948
.LBB62_4946:
	s_mov_b32 s1, -1
                                        ; implicit-def: $vgpr20_vgpr21
	s_branch .LBB62_4951
.LBB62_4947:
	s_mov_b32 s1, -1
                                        ; implicit-def: $vgpr20_vgpr21
.LBB62_4948:
	s_delay_alu instid0(SALU_CYCLE_1)
	s_and_not1_b32 vcc_lo, exec_lo, s1
	s_cbranch_vccnz .LBB62_4950
; %bb.4949:
	global_load_b32 v1, v[18:19], off
	s_wait_loadcnt 0x0
	v_trunc_f32_e32 v1, v1
	s_delay_alu instid0(VALU_DEP_1) | instskip(SKIP_1) | instid1(VALU_DEP_2)
	v_mul_f32_e64 v3, 0x2f800000, |v1|
	v_ashrrev_i32_e32 v20, 31, v1
	v_floor_f32_e32 v3, v3
	s_delay_alu instid0(VALU_DEP_1) | instskip(SKIP_1) | instid1(VALU_DEP_4)
	v_fma_f32 v5, 0xcf800000, v3, |v1|
	v_cvt_u32_f32_e32 v1, v3
	v_mov_b32_e32 v21, v20
	s_delay_alu instid0(VALU_DEP_3) | instskip(NEXT) | instid1(VALU_DEP_3)
	v_cvt_u32_f32_e32 v3, v5
	v_xor_b32_e32 v25, v1, v20
	s_delay_alu instid0(VALU_DEP_2) | instskip(NEXT) | instid1(VALU_DEP_1)
	v_xor_b32_e32 v24, v3, v20
	v_sub_nc_u64_e32 v[20:21], v[24:25], v[20:21]
.LBB62_4950:
	s_mov_b32 s1, 0
.LBB62_4951:
	s_delay_alu instid0(SALU_CYCLE_1)
	s_and_not1_b32 vcc_lo, exec_lo, s1
	s_cbranch_vccnz .LBB62_4953
; %bb.4952:
	global_load_u16 v1, v[18:19], off
	s_wait_loadcnt 0x0
	v_cvt_f32_f16_e32 v1, v1
	s_delay_alu instid0(VALU_DEP_1) | instskip(NEXT) | instid1(VALU_DEP_1)
	v_cvt_i32_f32_e32 v20, v1
	v_ashrrev_i32_e32 v21, 31, v20
.LBB62_4953:
	s_mov_b32 s1, 0
.LBB62_4954:
	s_delay_alu instid0(SALU_CYCLE_1)
	s_and_not1_b32 vcc_lo, exec_lo, s1
	s_cbranch_vccnz .LBB62_4974
; %bb.4955:
	s_cmp_lt_i32 s0, 2
	s_cbranch_scc1 .LBB62_4959
; %bb.4956:
	s_cmp_lt_i32 s0, 3
	s_cbranch_scc1 .LBB62_4960
; %bb.4957:
	s_cmp_gt_i32 s0, 3
	s_cbranch_scc0 .LBB62_4961
; %bb.4958:
	s_wait_loadcnt 0x0
	global_load_b64 v[20:21], v[18:19], off
	s_mov_b32 s1, 0
	s_branch .LBB62_4962
.LBB62_4959:
	s_mov_b32 s1, -1
                                        ; implicit-def: $vgpr20_vgpr21
	s_branch .LBB62_4968
.LBB62_4960:
	s_mov_b32 s1, -1
                                        ; implicit-def: $vgpr20_vgpr21
	s_branch .LBB62_4965
.LBB62_4961:
	s_mov_b32 s1, -1
                                        ; implicit-def: $vgpr20_vgpr21
.LBB62_4962:
	s_delay_alu instid0(SALU_CYCLE_1)
	s_and_not1_b32 vcc_lo, exec_lo, s1
	s_cbranch_vccnz .LBB62_4964
; %bb.4963:
	s_wait_loadcnt 0x0
	global_load_b32 v20, v[18:19], off
	s_wait_loadcnt 0x0
	v_ashrrev_i32_e32 v21, 31, v20
.LBB62_4964:
	s_mov_b32 s1, 0
.LBB62_4965:
	s_delay_alu instid0(SALU_CYCLE_1)
	s_and_not1_b32 vcc_lo, exec_lo, s1
	s_cbranch_vccnz .LBB62_4967
; %bb.4966:
	global_load_u16 v1, v[18:19], off
	s_wait_loadcnt 0x0
	v_bfe_i32 v20, v1, 0, 16
	s_delay_alu instid0(VALU_DEP_1)
	v_ashrrev_i32_e32 v21, 31, v20
.LBB62_4967:
	s_mov_b32 s1, 0
.LBB62_4968:
	s_delay_alu instid0(SALU_CYCLE_1)
	s_and_not1_b32 vcc_lo, exec_lo, s1
	s_cbranch_vccnz .LBB62_4974
; %bb.4969:
	s_cmp_gt_i32 s0, 0
	s_mov_b32 s0, 0
	s_cbranch_scc0 .LBB62_4971
; %bb.4970:
	global_load_i8 v1, v[18:19], off
	s_wait_loadcnt 0x0
	v_bfe_i32 v20, v1, 0, 16
	s_delay_alu instid0(VALU_DEP_1)
	v_ashrrev_i32_e32 v21, 31, v20
	s_branch .LBB62_4972
.LBB62_4971:
	s_mov_b32 s0, -1
                                        ; implicit-def: $vgpr20_vgpr21
.LBB62_4972:
	s_delay_alu instid0(SALU_CYCLE_1)
	s_and_not1_b32 vcc_lo, exec_lo, s0
	s_cbranch_vccnz .LBB62_4974
; %bb.4973:
	global_load_u8 v1, v[18:19], off
	s_mov_b32 s0, 0
	s_wait_loadcnt 0x1
	v_mov_b32_e32 v21, s0
	s_wait_loadcnt 0x0
	v_and_b32_e32 v20, 0xffff, v1
.LBB62_4974:
	s_mov_b32 s3, -1
.LBB62_4975:
	s_delay_alu instid0(SALU_CYCLE_1)
	s_and_not1_b32 vcc_lo, exec_lo, s3
	s_cbranch_vccnz .LBB62_4984
; %bb.4976:
	s_mov_b32 s0, exec_lo
	s_wait_loadcnt 0x0
	v_cmpx_ne_u64_e64 s[36:37], v[10:11]
	s_xor_b32 s0, exec_lo, s0
	s_cbranch_execnz .LBB62_5144
.LBB62_4977:
	s_or_saveexec_b32 s74, s0
	s_mov_b32 s1, 0
	s_mov_b32 s2, 0
                                        ; implicit-def: $sgpr0
                                        ; implicit-def: $vgpr10_vgpr11
	s_xor_b32 exec_lo, exec_lo, s74
	s_cbranch_execz .LBB62_5655
; %bb.4978:
	s_mov_b32 s75, s68
	s_mov_b32 s0, exec_lo
	v_cmpx_ne_u64_e64 s[40:41], v[12:13]
	s_xor_b32 s0, exec_lo, s0
	s_cbranch_execnz .LBB62_5272
; %bb.4979:
	s_or_saveexec_b32 s76, s0
                                        ; implicit-def: $sgpr0
                                        ; implicit-def: $vgpr10_vgpr11
	s_delay_alu instid0(SALU_CYCLE_1)
	s_xor_b32 exec_lo, exec_lo, s76
	s_cbranch_execz .LBB62_5654
.LBB62_4980:
	v_sub_nc_u64_e32 v[10:11], v[16:17], v[14:15]
	s_mov_b32 s77, s75
	s_delay_alu instid0(VALU_DEP_1) | instskip(SKIP_2) | instid1(SALU_CYCLE_1)
	v_cmp_gt_i64_e32 vcc_lo, s[36:37], v[10:11]
	v_cmp_lt_i64_e64 s0, s[38:39], v[10:11]
	s_or_b32 s0, vcc_lo, s0
	s_and_saveexec_b32 s1, s0
	s_delay_alu instid0(SALU_CYCLE_1)
	s_xor_b32 s0, exec_lo, s1
	s_cbranch_execnz .LBB62_5400
.LBB62_4981:
	s_or_saveexec_b32 s78, s0
	s_mov_b32 s1, 0
	s_mov_b32 s3, 0
                                        ; implicit-def: $sgpr0
                                        ; implicit-def: $vgpr10_vgpr11
	s_xor_b32 exec_lo, exec_lo, s78
	s_cbranch_execz .LBB62_5653
; %bb.4982:
	v_cmp_ne_u32_e32 vcc_lo, 1, v23
	v_mov_b64_e32 v[10:11], 0
	s_cbranch_vccnz .LBB62_4995
; %bb.4983:
	v_mul_u64_e32 v[18:19], s[40:41], v[20:21]
	v_mov_b64_e32 v[10:11], 0
	s_mov_b32 s29, s1
	v_mov_b32_e32 v12, 0
	s_lshl_b64 s[30:31], s[28:29], 3
	s_mov_b64 s[2:3], 0xffffffff
	s_add_nc_u64 s[18:19], s[20:21], s[30:31]
	s_add_nc_u64 s[30:31], s[22:23], s[30:31]
	s_mov_b32 s29, s42
	s_branch .LBB62_4991
.LBB62_4984:
	s_mov_b32 s1, 0
	s_mov_b32 s2, 0
                                        ; implicit-def: $sgpr0
                                        ; implicit-def: $vgpr10_vgpr11
.LBB62_4985:
	s_and_not1_b32 s3, s66, exec_lo
	s_and_b32 s4, s68, exec_lo
	s_and_b32 s2, s2, exec_lo
	;; [unrolled: 1-line block ×3, first 2 shown]
	s_or_b32 s66, s3, s4
.LBB62_4986:
	s_wait_xcnt 0x0
	s_or_b32 exec_lo, exec_lo, s67
	s_delay_alu instid0(SALU_CYCLE_1)
	s_and_not1_b32 s3, s64, exec_lo
	s_and_b32 s4, s66, exec_lo
	s_and_b32 s2, s2, exec_lo
	;; [unrolled: 1-line block ×3, first 2 shown]
	s_or_b32 s64, s3, s4
.LBB62_4987:
	s_or_b32 exec_lo, exec_lo, s65
	s_delay_alu instid0(SALU_CYCLE_1)
	s_and_not1_b32 s3, s62, exec_lo
	s_and_b32 s4, s64, exec_lo
	s_and_b32 s2, s2, exec_lo
	;; [unrolled: 1-line block ×3, first 2 shown]
	s_or_b32 s62, s3, s4
.LBB62_4988:
	s_or_b32 exec_lo, exec_lo, s63
	s_delay_alu instid0(SALU_CYCLE_1)
	s_and_not1_b32 s3, s17, exec_lo
	s_and_b32 s4, s62, exec_lo
	s_and_b32 s2, s2, exec_lo
	;; [unrolled: 1-line block ×3, first 2 shown]
	s_or_b32 s17, s3, s4
.LBB62_4989:
	s_or_b32 exec_lo, exec_lo, s51
	s_branch .LBB62_4319
.LBB62_4990:                            ;   in Loop: Header=BB62_4991 Depth=1
	s_or_b32 exec_lo, exec_lo, s0
	global_load_b64 v[24:25], v12, s[30:31]
	v_mul_u64_e32 v[26:27], s[34:35], v[20:21]
	s_add_co_i32 s29, s29, -1
	s_add_nc_u64 s[18:19], s[18:19], -8
	s_cmp_eq_u32 s29, 0
	s_wait_xcnt 0x0
	s_add_nc_u64 s[30:31], s[30:31], -8
	s_delay_alu instid0(VALU_DEP_1) | instskip(SKIP_1) | instid1(VALU_DEP_1)
	v_sub_nc_u64_e32 v[18:19], v[18:19], v[26:27]
	s_wait_loadcnt 0x0
	v_mad_nc_u64_u32 v[10:11], v18, v24, v[10:11]
	s_delay_alu instid0(VALU_DEP_1) | instskip(NEXT) | instid1(VALU_DEP_1)
	v_mad_u32 v1, v19, v24, v11
	v_mad_u32 v11, v18, v25, v1
	v_mov_b64_e32 v[18:19], v[20:21]
	s_cbranch_scc1 .LBB62_4995
.LBB62_4991:                            ; =>This Inner Loop Header: Depth=1
	global_load_b64 v[20:21], v12, s[18:19]
	s_mov_b32 s0, exec_lo
	s_wait_loadcnt 0x0
	v_or_b32_e32 v13, v19, v21
	v_readfirstlane_b32 s34, v20
	v_readfirstlane_b32 s35, v21
                                        ; implicit-def: $vgpr20_vgpr21
	s_wait_xcnt 0x0
	s_delay_alu instid0(VALU_DEP_3)
	v_cmpx_ne_u64_e32 0, v[12:13]
	s_xor_b32 s79, exec_lo, s0
	s_cbranch_execz .LBB62_4993
; %bb.4992:                             ;   in Loop: Header=BB62_4991 Depth=1
	s_ashr_i32 s44, s35, 31
	v_dual_mov_b32 v27, v12 :: v_dual_ashrrev_i32 v20, 31, v19
	s_mov_b32 s45, s44
	v_mov_b32_e32 v31, v12
	s_add_nc_u64 s[46:47], s[34:35], s[44:45]
	s_delay_alu instid0(VALU_DEP_2)
	v_mov_b32_e32 v21, v20
	s_xor_b64 s[46:47], s[46:47], s[44:45]
	v_mov_b32_e32 v35, v12
	s_cvt_f32_u32 s0, s46
	s_cvt_f32_u32 s45, s47
	s_sub_nc_u64 s[82:83], 0, s[46:47]
	v_add_nc_u64_e32 v[24:25], v[18:19], v[20:21]
	s_delay_alu instid0(SALU_CYCLE_1) | instskip(NEXT) | instid1(SALU_CYCLE_3)
	s_fmamk_f32 s0, s45, 0x4f800000, s0
	v_s_rcp_f32 s0, s0
	s_delay_alu instid0(VALU_DEP_1) | instskip(NEXT) | instid1(VALU_DEP_2)
	v_xor_b32_e32 v30, v25, v20
	v_xor_b32_e32 v26, v24, v20
	v_xor_b32_e32 v20, s44, v20
	s_delay_alu instid0(TRANS32_DEP_1) | instskip(NEXT) | instid1(VALU_DEP_1)
	s_mul_f32 s0, s0, 0x5f7ffffc
	v_mov_b32_e32 v21, v20
	s_delay_alu instid0(SALU_CYCLE_2) | instskip(NEXT) | instid1(SALU_CYCLE_3)
	s_mul_f32 s45, s0, 0x2f800000
	s_trunc_f32 s45, s45
	s_delay_alu instid0(SALU_CYCLE_3) | instskip(SKIP_1) | instid1(SALU_CYCLE_2)
	s_fmamk_f32 s0, s45, 0xcf800000, s0
	s_cvt_u32_f32 s81, s45
	s_cvt_u32_f32 s80, s0
	s_delay_alu instid0(SALU_CYCLE_3) | instskip(NEXT) | instid1(SALU_CYCLE_1)
	s_mul_u64 s[84:85], s[82:83], s[80:81]
	s_mul_hi_u32 s87, s80, s85
	s_mul_i32 s86, s80, s85
	s_mul_hi_u32 s0, s80, s84
	s_mul_i32 s88, s81, s84
	s_add_nc_u64 s[86:87], s[0:1], s[86:87]
	s_mul_hi_u32 s45, s81, s84
	s_mul_hi_u32 s89, s81, s85
	s_add_co_u32 s0, s86, s88
	s_add_co_ci_u32 s0, s87, s45
	s_mul_i32 s84, s81, s85
	s_add_co_ci_u32 s85, s89, 0
	s_delay_alu instid0(SALU_CYCLE_1) | instskip(NEXT) | instid1(SALU_CYCLE_1)
	s_add_nc_u64 s[84:85], s[0:1], s[84:85]
	s_add_co_u32 s80, s80, s84
	s_cselect_b32 s0, -1, 0
	s_delay_alu instid0(SALU_CYCLE_1) | instskip(SKIP_1) | instid1(SALU_CYCLE_1)
	s_cmp_lg_u32 s0, 0
	s_add_co_ci_u32 s81, s81, s85
	s_mul_u64 s[82:83], s[82:83], s[80:81]
	s_delay_alu instid0(SALU_CYCLE_1)
	s_mul_hi_u32 s85, s80, s83
	s_mul_i32 s84, s80, s83
	s_mul_hi_u32 s0, s80, s82
	s_mul_i32 s86, s81, s82
	s_add_nc_u64 s[84:85], s[0:1], s[84:85]
	s_mul_hi_u32 s45, s81, s82
	s_mul_hi_u32 s87, s81, s83
	s_add_co_u32 s0, s84, s86
	s_add_co_ci_u32 s0, s85, s45
	s_mul_i32 s82, s81, s83
	s_add_co_ci_u32 s83, s87, 0
	s_delay_alu instid0(SALU_CYCLE_1) | instskip(NEXT) | instid1(SALU_CYCLE_1)
	s_add_nc_u64 s[82:83], s[0:1], s[82:83]
	s_add_co_u32 s80, s80, s82
	s_cselect_b32 s0, -1, 0
	v_mul_hi_u32 v34, v26, s80
	s_cmp_lg_u32 s0, 0
	s_add_co_ci_u32 s0, s81, s83
	s_and_b64 s[82:83], s[80:81], s[2:3]
	v_mul_u64_e32 v[28:29], s[0:1], v[26:27]
	v_mul_u64_e32 v[24:25], s[82:83], v[30:31]
	;; [unrolled: 1-line block ×3, first 2 shown]
	s_delay_alu instid0(VALU_DEP_3) | instskip(NEXT) | instid1(VALU_DEP_1)
	v_add_nc_u64_e32 v[28:29], v[34:35], v[28:29]
	v_add_co_u32 v1, vcc_lo, v28, v24
	s_delay_alu instid0(VALU_DEP_2) | instskip(NEXT) | instid1(VALU_DEP_4)
	v_add_co_ci_u32_e32 v34, vcc_lo, v29, v25, vcc_lo
	v_add_co_ci_u32_e32 v33, vcc_lo, 0, v33, vcc_lo
	s_delay_alu instid0(VALU_DEP_1) | instskip(NEXT) | instid1(VALU_DEP_1)
	v_add_nc_u64_e32 v[24:25], v[34:35], v[32:33]
	v_mul_u64_e32 v[28:29], s[46:47], v[24:25]
	s_delay_alu instid0(VALU_DEP_1) | instskip(NEXT) | instid1(VALU_DEP_2)
	v_sub_nc_u32_e32 v1, v30, v29
	v_sub_co_u32 v3, vcc_lo, v26, v28
	s_delay_alu instid0(VALU_DEP_1) | instskip(NEXT) | instid1(VALU_DEP_3)
	v_sub_co_ci_u32_e64 v7, null, v30, v29, vcc_lo
	v_subrev_co_ci_u32_e64 v1, null, s47, v1, vcc_lo
	s_delay_alu instid0(VALU_DEP_3) | instskip(SKIP_1) | instid1(VALU_DEP_3)
	v_sub_co_u32 v5, s0, v3, s46
	v_add_nc_u64_e32 v[26:27], 2, v[24:25]
	v_subrev_co_ci_u32_e64 v1, null, 0, v1, s0
	s_delay_alu instid0(VALU_DEP_3) | instskip(SKIP_2) | instid1(VALU_DEP_4)
	v_cmp_le_u32_e32 vcc_lo, s46, v5
	v_add_nc_u64_e32 v[28:29], 1, v[24:25]
	v_cndmask_b32_e64 v5, 0, -1, vcc_lo
	v_cmp_le_u32_e32 vcc_lo, s47, v1
	v_cndmask_b32_e64 v9, 0, -1, vcc_lo
	v_cmp_le_u32_e32 vcc_lo, s46, v3
	;; [unrolled: 2-line block ×3, first 2 shown]
	v_cndmask_b32_e64 v13, 0, -1, vcc_lo
	v_cmp_eq_u32_e32 vcc_lo, s47, v1
	v_cndmask_b32_e32 v1, v9, v5, vcc_lo
	v_cmp_eq_u32_e32 vcc_lo, s47, v7
	s_delay_alu instid0(VALU_DEP_4) | instskip(NEXT) | instid1(VALU_DEP_3)
	v_cndmask_b32_e32 v3, v13, v3, vcc_lo
	v_cmp_ne_u32_e32 vcc_lo, 0, v1
	s_delay_alu instid0(VALU_DEP_2) | instskip(SKIP_1) | instid1(VALU_DEP_1)
	v_cmp_ne_u32_e64 s0, 0, v3
	v_dual_cndmask_b32 v1, v29, v27, vcc_lo :: v_dual_cndmask_b32 v3, v28, v26, vcc_lo
	v_dual_cndmask_b32 v1, v25, v1, s0 :: v_dual_cndmask_b32 v3, v24, v3, s0
	s_delay_alu instid0(VALU_DEP_1) | instskip(NEXT) | instid1(VALU_DEP_2)
	v_xor_b32_e32 v25, v1, v20
	v_xor_b32_e32 v24, v3, v20
	s_delay_alu instid0(VALU_DEP_1)
	v_sub_nc_u64_e32 v[20:21], v[24:25], v[20:21]
.LBB62_4993:                            ;   in Loop: Header=BB62_4991 Depth=1
	s_and_not1_saveexec_b32 s0, s79
	s_cbranch_execz .LBB62_4990
; %bb.4994:                             ;   in Loop: Header=BB62_4991 Depth=1
	v_cvt_f32_u32_e32 v1, s34
	s_sub_co_i32 s44, 0, s34
	v_mov_b32_e32 v21, v12
	s_delay_alu instid0(VALU_DEP_2) | instskip(SKIP_1) | instid1(TRANS32_DEP_1)
	v_rcp_iflag_f32_e32 v1, v1
	v_nop
	v_mul_f32_e32 v1, 0x4f7ffffe, v1
	s_delay_alu instid0(VALU_DEP_1) | instskip(NEXT) | instid1(VALU_DEP_1)
	v_cvt_u32_f32_e32 v1, v1
	v_mul_lo_u32 v3, s44, v1
	s_delay_alu instid0(VALU_DEP_1) | instskip(NEXT) | instid1(VALU_DEP_1)
	v_mul_hi_u32 v3, v1, v3
	v_add_nc_u32_e32 v1, v1, v3
	s_delay_alu instid0(VALU_DEP_1) | instskip(NEXT) | instid1(VALU_DEP_1)
	v_mul_hi_u32 v1, v18, v1
	v_mul_lo_u32 v3, v1, s34
	s_delay_alu instid0(VALU_DEP_1) | instskip(NEXT) | instid1(VALU_DEP_1)
	v_sub_nc_u32_e32 v3, v18, v3
	v_subrev_nc_u32_e32 v7, s34, v3
	v_cmp_le_u32_e32 vcc_lo, s34, v3
	s_delay_alu instid0(VALU_DEP_2) | instskip(NEXT) | instid1(VALU_DEP_1)
	v_dual_add_nc_u32 v5, 1, v1 :: v_dual_cndmask_b32 v3, v3, v7, vcc_lo
	v_cndmask_b32_e32 v1, v1, v5, vcc_lo
	s_delay_alu instid0(VALU_DEP_2) | instskip(NEXT) | instid1(VALU_DEP_2)
	v_cmp_le_u32_e32 vcc_lo, s34, v3
	v_add_nc_u32_e32 v5, 1, v1
	s_delay_alu instid0(VALU_DEP_1)
	v_cndmask_b32_e32 v20, v1, v5, vcc_lo
	s_branch .LBB62_4990
.LBB62_4995:
	s_mov_b32 s19, -1
	s_mov_b32 s1, s77
	s_mov_b32 s0, exec_lo
	v_cmpx_gt_i64_e64 v[16:17], v[14:15]
	s_cbranch_execz .LBB62_5002
; %bb.4996:
	s_delay_alu instid0(VALU_DEP_2) | instskip(SKIP_2) | instid1(VALU_DEP_1)
	v_lshlrev_b64_e32 v[10:11], 3, v[10:11]
	s_mov_b32 s2, 0
	s_xor_b32 s3, s50, -1
                                        ; implicit-def: $sgpr1
                                        ; implicit-def: $sgpr19
                                        ; implicit-def: $sgpr18
	v_lshl_add_u64 v[12:13], v[14:15], 3, v[10:11]
	v_add_nc_u64_e32 v[14:15], s[24:25], v[10:11]
	s_delay_alu instid0(VALU_DEP_2) | instskip(NEXT) | instid1(VALU_DEP_1)
	v_add_nc_u64_e32 v[12:13], s[24:25], v[12:13]
	v_add_nc_u64_e32 v[10:11], 8, v[12:13]
	s_delay_alu instid0(VALU_DEP_3)
	v_lshl_add_u64 v[12:13], v[16:17], 3, v[14:15]
	s_branch .LBB62_4998
.LBB62_4997:                            ;   in Loop: Header=BB62_4998 Depth=1
	s_or_b32 exec_lo, exec_lo, s29
	s_xor_b32 s29, s18, -1
	s_and_b32 s30, exec_lo, s19
	s_delay_alu instid0(SALU_CYCLE_1) | instskip(SKIP_2) | instid1(SALU_CYCLE_1)
	s_or_b32 s2, s30, s2
	s_and_not1_b32 s1, s1, exec_lo
	s_and_b32 s29, s29, exec_lo
	s_or_b32 s1, s1, s29
	s_and_not1_b32 exec_lo, exec_lo, s2
	s_cbranch_execz .LBB62_5000
.LBB62_4998:                            ; =>This Inner Loop Header: Depth=1
	s_or_b32 s18, s18, exec_lo
	s_or_b32 s19, s19, exec_lo
	s_mov_b32 s29, exec_lo
	s_delay_alu instid0(VALU_DEP_2)
	v_cmpx_lt_u64_e64 v[10:11], v[12:13]
	s_cbranch_execz .LBB62_4997
; %bb.4999:                             ;   in Loop: Header=BB62_4998 Depth=1
	global_load_b128 v[14:17], v[10:11], off offset:-8
	s_wait_xcnt 0x0
	v_add_nc_u64_e32 v[10:11], 8, v[10:11]
	s_and_not1_b32 s19, s19, exec_lo
	s_and_not1_b32 s18, s18, exec_lo
	s_wait_loadcnt 0x0
	v_cmp_ge_i64_e32 vcc_lo, v[14:15], v[16:17]
	s_or_b32 s30, s3, vcc_lo
	s_delay_alu instid0(SALU_CYCLE_1) | instskip(NEXT) | instid1(SALU_CYCLE_1)
	s_and_b32 s30, s30, exec_lo
	s_or_b32 s19, s19, s30
	s_branch .LBB62_4997
.LBB62_5000:
	s_or_b32 exec_lo, exec_lo, s2
	s_mov_b32 s2, -1
	s_mov_b32 s3, s77
	s_and_saveexec_b32 s18, s1
	s_delay_alu instid0(SALU_CYCLE_1)
	s_xor_b32 s1, exec_lo, s18
	s_cbranch_execnz .LBB62_5015
.LBB62_5001:
	s_or_b32 exec_lo, exec_lo, s1
	s_delay_alu instid0(SALU_CYCLE_1)
	s_and_not1_b32 s1, s77, exec_lo
	s_and_b32 s3, s3, exec_lo
	s_or_not1_b32 s19, s2, exec_lo
	s_or_b32 s1, s1, s3
.LBB62_5002:
	s_or_b32 exec_lo, exec_lo, s0
	s_mov_b32 s2, 0
	s_mov_b32 s3, 0
                                        ; implicit-def: $sgpr0
                                        ; implicit-def: $vgpr10_vgpr11
	s_and_saveexec_b32 s18, s19
	s_cbranch_execz .LBB62_5652
; %bb.5003:
	v_add_nc_u32_e32 v0, s69, v0
	s_cmp_lt_i32 s57, 11
	s_delay_alu instid0(VALU_DEP_1) | instskip(NEXT) | instid1(VALU_DEP_1)
	v_ashrrev_i32_e32 v1, 31, v0
	v_add_nc_u64_e32 v[10:11], s[6:7], v[0:1]
	s_cbranch_scc1 .LBB62_5011
; %bb.5004:
	s_and_b32 s0, 0xffff, s57
	s_delay_alu instid0(SALU_CYCLE_1)
	s_cmp_gt_i32 s0, 25
	s_cbranch_scc0 .LBB62_5012
; %bb.5005:
	s_cmp_gt_i32 s0, 28
	s_cbranch_scc0 .LBB62_5013
; %bb.5006:
	;; [unrolled: 3-line block ×4, first 2 shown]
	s_cmp_eq_u32 s0, 46
	s_mov_b32 s7, 0
	s_cbranch_scc0 .LBB62_5017
; %bb.5009:
	global_load_b32 v0, v[10:11], off
	s_mov_b32 s6, -1
	s_wait_loadcnt 0x0
	v_lshlrev_b32_e32 v0, 16, v0
	s_delay_alu instid0(VALU_DEP_1) | instskip(NEXT) | instid1(VALU_DEP_1)
	v_trunc_f32_e32 v0, v0
	v_mul_f32_e64 v1, 0x2f800000, |v0|
	s_delay_alu instid0(VALU_DEP_1) | instskip(NEXT) | instid1(VALU_DEP_1)
	v_floor_f32_e32 v1, v1
	v_fma_f32 v3, 0xcf800000, v1, |v0|
	v_ashrrev_i32_e32 v0, 31, v0
	v_cvt_u32_f32_e32 v5, v1
	s_delay_alu instid0(VALU_DEP_3) | instskip(NEXT) | instid1(VALU_DEP_2)
	v_cvt_u32_f32_e32 v3, v3
	v_dual_mov_b32 v1, v0 :: v_dual_bitop2_b32 v13, v5, v0 bitop3:0x14
	s_delay_alu instid0(VALU_DEP_2) | instskip(NEXT) | instid1(VALU_DEP_1)
	v_xor_b32_e32 v12, v3, v0
	v_sub_nc_u64_e32 v[0:1], v[12:13], v[0:1]
	s_branch .LBB62_5019
.LBB62_5010:
	s_or_b32 s68, s68, exec_lo
	s_trap 2
	s_cbranch_execz .LBB62_4924
	s_branch .LBB62_4925
.LBB62_5011:
	s_mov_b32 s0, -1
	s_mov_b32 s6, 0
	s_mov_b32 s19, s1
                                        ; implicit-def: $vgpr0_vgpr1
	s_branch .LBB62_5081
.LBB62_5012:
	s_mov_b32 s7, -1
	s_mov_b32 s6, 0
                                        ; implicit-def: $vgpr0_vgpr1
	s_branch .LBB62_5046
.LBB62_5013:
	s_mov_b32 s7, -1
	s_mov_b32 s6, 0
                                        ; implicit-def: $vgpr0_vgpr1
	s_branch .LBB62_5029
.LBB62_5014:
	s_mov_b32 s7, -1
	s_mov_b32 s6, 0
                                        ; implicit-def: $vgpr0_vgpr1
	s_branch .LBB62_5024
.LBB62_5015:
	s_or_b32 s3, s77, exec_lo
	s_xor_b32 s2, exec_lo, -1
	s_trap 2
	s_branch .LBB62_5001
.LBB62_5016:
	s_mov_b32 s7, -1
	s_branch .LBB62_5018
.LBB62_5017:
	s_mov_b32 s2, -1
.LBB62_5018:
	s_mov_b32 s6, 0
                                        ; implicit-def: $vgpr0_vgpr1
.LBB62_5019:
	s_and_b32 vcc_lo, exec_lo, s7
	s_cbranch_vccz .LBB62_5023
; %bb.5020:
	s_cmp_eq_u32 s0, 44
	s_cbranch_scc0 .LBB62_5022
; %bb.5021:
	global_load_u8 v3, v[10:11], off
	s_mov_b32 s2, 0
	s_mov_b32 s6, -1
	s_wait_loadcnt 0x0
	v_cmp_ne_u32_e32 vcc_lo, 0, v3
	v_lshlrev_b32_e32 v0, 23, v3
	s_delay_alu instid0(VALU_DEP_1) | instskip(NEXT) | instid1(VALU_DEP_1)
	v_trunc_f32_e32 v0, v0
	v_mul_f32_e64 v1, 0x2f800000, |v0|
	s_delay_alu instid0(VALU_DEP_1) | instskip(NEXT) | instid1(VALU_DEP_1)
	v_floor_f32_e32 v1, v1
	v_fma_f32 v5, 0xcf800000, v1, |v0|
	v_ashrrev_i32_e32 v0, 31, v0
	v_cvt_u32_f32_e32 v7, v1
	s_delay_alu instid0(VALU_DEP_3) | instskip(NEXT) | instid1(VALU_DEP_2)
	v_cvt_u32_f32_e32 v5, v5
	v_dual_mov_b32 v1, v0 :: v_dual_bitop2_b32 v13, v7, v0 bitop3:0x14
	s_delay_alu instid0(VALU_DEP_2) | instskip(NEXT) | instid1(VALU_DEP_1)
	v_xor_b32_e32 v12, v5, v0
	v_sub_nc_u64_e32 v[0:1], v[12:13], v[0:1]
	s_delay_alu instid0(VALU_DEP_1)
	v_dual_cndmask_b32 v1, 0, v1 :: v_dual_cndmask_b32 v0, 0, v0
	s_branch .LBB62_5023
.LBB62_5022:
	s_mov_b32 s2, -1
                                        ; implicit-def: $vgpr0_vgpr1
.LBB62_5023:
	s_mov_b32 s7, 0
.LBB62_5024:
	s_delay_alu instid0(SALU_CYCLE_1)
	s_and_b32 vcc_lo, exec_lo, s7
	s_cbranch_vccz .LBB62_5028
; %bb.5025:
	s_cmp_eq_u32 s0, 29
	s_cbranch_scc0 .LBB62_5027
; %bb.5026:
	global_load_b64 v[0:1], v[10:11], off
	s_mov_b32 s2, 0
	s_mov_b32 s6, -1
	s_branch .LBB62_5028
.LBB62_5027:
	s_mov_b32 s2, -1
                                        ; implicit-def: $vgpr0_vgpr1
.LBB62_5028:
	s_mov_b32 s7, 0
.LBB62_5029:
	s_delay_alu instid0(SALU_CYCLE_1)
	s_and_b32 vcc_lo, exec_lo, s7
	s_cbranch_vccz .LBB62_5045
; %bb.5030:
	s_cmp_lt_i32 s0, 27
	s_cbranch_scc1 .LBB62_5033
; %bb.5031:
	s_cmp_gt_i32 s0, 27
	s_cbranch_scc0 .LBB62_5034
; %bb.5032:
	s_wait_loadcnt 0x0
	global_load_b32 v0, v[10:11], off
	v_mov_b32_e32 v1, 0
	s_mov_b32 s6, 0
	s_branch .LBB62_5035
.LBB62_5033:
	s_mov_b32 s6, -1
                                        ; implicit-def: $vgpr0_vgpr1
	s_branch .LBB62_5038
.LBB62_5034:
	s_mov_b32 s6, -1
                                        ; implicit-def: $vgpr0_vgpr1
.LBB62_5035:
	s_delay_alu instid0(SALU_CYCLE_1)
	s_and_not1_b32 vcc_lo, exec_lo, s6
	s_cbranch_vccnz .LBB62_5037
; %bb.5036:
	s_wait_loadcnt 0x0
	global_load_u16 v0, v[10:11], off
	s_mov_b32 s6, 0
	s_delay_alu instid0(SALU_CYCLE_1)
	v_mov_b32_e32 v1, s6
	s_wait_loadcnt 0x0
	v_and_b32_e32 v0, 0xffff, v0
.LBB62_5037:
	s_mov_b32 s6, 0
.LBB62_5038:
	s_delay_alu instid0(SALU_CYCLE_1)
	s_and_not1_b32 vcc_lo, exec_lo, s6
	s_cbranch_vccnz .LBB62_5044
; %bb.5039:
	global_load_u8 v3, v[10:11], off
	s_mov_b32 s7, 0
	s_mov_b32 s6, exec_lo
	s_wait_loadcnt 0x0
	v_cmpx_lt_i16_e32 0x7f, v3
	s_xor_b32 s6, exec_lo, s6
	s_cbranch_execz .LBB62_5056
; %bb.5040:
	v_cmp_ne_u16_e32 vcc_lo, 0x80, v3
	s_and_b32 s7, vcc_lo, exec_lo
	s_and_not1_saveexec_b32 s6, s6
	s_cbranch_execnz .LBB62_5057
.LBB62_5041:
	s_or_b32 exec_lo, exec_lo, s6
	v_mov_b64_e32 v[0:1], 0
	s_and_saveexec_b32 s6, s7
	s_cbranch_execz .LBB62_5043
.LBB62_5042:
	v_and_b32_e32 v0, 0xffff, v3
	s_delay_alu instid0(VALU_DEP_1) | instskip(SKIP_1) | instid1(VALU_DEP_2)
	v_and_b32_e32 v1, 7, v0
	v_bfe_u32 v9, v0, 3, 4
	v_clz_i32_u32_e32 v5, v1
	s_delay_alu instid0(VALU_DEP_2) | instskip(NEXT) | instid1(VALU_DEP_2)
	v_cmp_eq_u32_e32 vcc_lo, 0, v9
	v_min_u32_e32 v5, 32, v5
	s_delay_alu instid0(VALU_DEP_1) | instskip(NEXT) | instid1(VALU_DEP_1)
	v_subrev_nc_u32_e32 v7, 28, v5
	v_dual_lshlrev_b32 v0, v7, v0 :: v_dual_sub_nc_u32 v5, 29, v5
	s_delay_alu instid0(VALU_DEP_1) | instskip(NEXT) | instid1(VALU_DEP_2)
	v_dual_lshlrev_b32 v3, 24, v3 :: v_dual_bitop2_b32 v0, 7, v0 bitop3:0x40
	v_cndmask_b32_e32 v5, v9, v5, vcc_lo
	s_delay_alu instid0(VALU_DEP_2) | instskip(NEXT) | instid1(VALU_DEP_3)
	v_cndmask_b32_e32 v0, v1, v0, vcc_lo
	v_and_b32_e32 v1, 0x80000000, v3
	s_delay_alu instid0(VALU_DEP_3) | instskip(NEXT) | instid1(VALU_DEP_3)
	v_lshl_add_u32 v3, v5, 23, 0x3b800000
	v_lshlrev_b32_e32 v0, 20, v0
	s_delay_alu instid0(VALU_DEP_1) | instskip(NEXT) | instid1(VALU_DEP_1)
	v_or3_b32 v0, v1, v3, v0
	v_trunc_f32_e32 v0, v0
	s_delay_alu instid0(VALU_DEP_1) | instskip(NEXT) | instid1(VALU_DEP_1)
	v_mul_f32_e64 v1, 0x2f800000, |v0|
	v_floor_f32_e32 v1, v1
	s_delay_alu instid0(VALU_DEP_1) | instskip(SKIP_2) | instid1(VALU_DEP_3)
	v_fma_f32 v3, 0xcf800000, v1, |v0|
	v_ashrrev_i32_e32 v0, 31, v0
	v_cvt_u32_f32_e32 v5, v1
	v_cvt_u32_f32_e32 v3, v3
	s_delay_alu instid0(VALU_DEP_2) | instskip(NEXT) | instid1(VALU_DEP_2)
	v_dual_mov_b32 v1, v0 :: v_dual_bitop2_b32 v13, v5, v0 bitop3:0x14
	v_xor_b32_e32 v12, v3, v0
	s_delay_alu instid0(VALU_DEP_1)
	v_sub_nc_u64_e32 v[0:1], v[12:13], v[0:1]
.LBB62_5043:
	s_or_b32 exec_lo, exec_lo, s6
.LBB62_5044:
	s_mov_b32 s6, -1
.LBB62_5045:
	s_mov_b32 s7, 0
.LBB62_5046:
	s_delay_alu instid0(SALU_CYCLE_1)
	s_and_b32 vcc_lo, exec_lo, s7
	s_cbranch_vccz .LBB62_5077
; %bb.5047:
	s_cmp_gt_i32 s0, 22
	s_cbranch_scc0 .LBB62_5055
; %bb.5048:
	s_cmp_lt_i32 s0, 24
	s_cbranch_scc1 .LBB62_5058
; %bb.5049:
	s_cmp_gt_i32 s0, 24
	s_cbranch_scc0 .LBB62_5059
; %bb.5050:
	global_load_u8 v3, v[10:11], off
	s_mov_b32 s6, 0
	s_mov_b32 s3, exec_lo
	s_wait_loadcnt 0x0
	v_cmpx_lt_i16_e32 0x7f, v3
	s_xor_b32 s3, exec_lo, s3
	s_cbranch_execz .LBB62_5071
; %bb.5051:
	v_cmp_ne_u16_e32 vcc_lo, 0x80, v3
	s_and_b32 s6, vcc_lo, exec_lo
	s_and_not1_saveexec_b32 s3, s3
	s_cbranch_execnz .LBB62_5072
.LBB62_5052:
	s_or_b32 exec_lo, exec_lo, s3
	v_mov_b64_e32 v[0:1], 0
	s_and_saveexec_b32 s3, s6
	s_cbranch_execz .LBB62_5054
.LBB62_5053:
	v_and_b32_e32 v0, 0xffff, v3
	s_delay_alu instid0(VALU_DEP_1) | instskip(SKIP_1) | instid1(VALU_DEP_2)
	v_and_b32_e32 v1, 3, v0
	v_bfe_u32 v9, v0, 2, 5
	v_clz_i32_u32_e32 v5, v1
	s_delay_alu instid0(VALU_DEP_2) | instskip(NEXT) | instid1(VALU_DEP_2)
	v_cmp_eq_u32_e32 vcc_lo, 0, v9
	v_min_u32_e32 v5, 32, v5
	s_delay_alu instid0(VALU_DEP_1) | instskip(NEXT) | instid1(VALU_DEP_1)
	v_subrev_nc_u32_e32 v7, 29, v5
	v_dual_lshlrev_b32 v0, v7, v0 :: v_dual_sub_nc_u32 v5, 30, v5
	s_delay_alu instid0(VALU_DEP_1) | instskip(NEXT) | instid1(VALU_DEP_2)
	v_dual_lshlrev_b32 v3, 24, v3 :: v_dual_bitop2_b32 v0, 3, v0 bitop3:0x40
	v_cndmask_b32_e32 v5, v9, v5, vcc_lo
	s_delay_alu instid0(VALU_DEP_2) | instskip(NEXT) | instid1(VALU_DEP_3)
	v_cndmask_b32_e32 v0, v1, v0, vcc_lo
	v_and_b32_e32 v1, 0x80000000, v3
	s_delay_alu instid0(VALU_DEP_3) | instskip(NEXT) | instid1(VALU_DEP_3)
	v_lshl_add_u32 v3, v5, 23, 0x37800000
	v_lshlrev_b32_e32 v0, 21, v0
	s_delay_alu instid0(VALU_DEP_1) | instskip(NEXT) | instid1(VALU_DEP_1)
	v_or3_b32 v0, v1, v3, v0
	v_trunc_f32_e32 v0, v0
	s_delay_alu instid0(VALU_DEP_1) | instskip(NEXT) | instid1(VALU_DEP_1)
	v_mul_f32_e64 v1, 0x2f800000, |v0|
	v_floor_f32_e32 v1, v1
	s_delay_alu instid0(VALU_DEP_1) | instskip(SKIP_2) | instid1(VALU_DEP_3)
	v_fma_f32 v3, 0xcf800000, v1, |v0|
	v_ashrrev_i32_e32 v0, 31, v0
	v_cvt_u32_f32_e32 v5, v1
	v_cvt_u32_f32_e32 v3, v3
	s_delay_alu instid0(VALU_DEP_2) | instskip(NEXT) | instid1(VALU_DEP_2)
	v_dual_mov_b32 v1, v0 :: v_dual_bitop2_b32 v13, v5, v0 bitop3:0x14
	v_xor_b32_e32 v12, v3, v0
	s_delay_alu instid0(VALU_DEP_1)
	v_sub_nc_u64_e32 v[0:1], v[12:13], v[0:1]
.LBB62_5054:
	s_or_b32 exec_lo, exec_lo, s3
	s_mov_b32 s3, 0
	s_branch .LBB62_5060
.LBB62_5055:
	s_mov_b32 s3, -1
                                        ; implicit-def: $vgpr0_vgpr1
	s_branch .LBB62_5066
.LBB62_5056:
	s_and_not1_saveexec_b32 s6, s6
	s_cbranch_execz .LBB62_5041
.LBB62_5057:
	v_cmp_ne_u16_e32 vcc_lo, 0, v3
	s_and_not1_b32 s7, s7, exec_lo
	s_and_b32 s19, vcc_lo, exec_lo
	s_delay_alu instid0(SALU_CYCLE_1)
	s_or_b32 s7, s7, s19
	s_or_b32 exec_lo, exec_lo, s6
	v_mov_b64_e32 v[0:1], 0
	s_and_saveexec_b32 s6, s7
	s_cbranch_execnz .LBB62_5042
	s_branch .LBB62_5043
.LBB62_5058:
	s_mov_b32 s3, -1
                                        ; implicit-def: $vgpr0_vgpr1
	s_branch .LBB62_5063
.LBB62_5059:
	s_mov_b32 s3, -1
                                        ; implicit-def: $vgpr0_vgpr1
.LBB62_5060:
	s_delay_alu instid0(SALU_CYCLE_1)
	s_and_b32 vcc_lo, exec_lo, s3
	s_cbranch_vccz .LBB62_5062
; %bb.5061:
	s_wait_loadcnt 0x0
	global_load_u8 v0, v[10:11], off
	s_wait_loadcnt 0x0
	v_lshlrev_b32_e32 v0, 24, v0
	s_delay_alu instid0(VALU_DEP_1) | instskip(NEXT) | instid1(VALU_DEP_1)
	v_and_b32_e32 v1, 0x7f000000, v0
	v_clz_i32_u32_e32 v3, v1
	v_add_nc_u32_e32 v7, 0x1000000, v1
	v_cmp_ne_u32_e32 vcc_lo, 0, v1
	s_delay_alu instid0(VALU_DEP_3) | instskip(NEXT) | instid1(VALU_DEP_1)
	v_min_u32_e32 v3, 32, v3
	v_sub_nc_u32_e64 v3, v3, 4 clamp
	s_delay_alu instid0(VALU_DEP_1) | instskip(NEXT) | instid1(VALU_DEP_1)
	v_dual_lshlrev_b32 v5, v3, v1 :: v_dual_lshlrev_b32 v3, 23, v3
	v_lshrrev_b32_e32 v5, 4, v5
	s_delay_alu instid0(VALU_DEP_1) | instskip(SKIP_1) | instid1(VALU_DEP_2)
	v_sub_nc_u32_e32 v3, v5, v3
	v_ashrrev_i32_e32 v5, 8, v7
	v_add_nc_u32_e32 v3, 0x3c000000, v3
	s_delay_alu instid0(VALU_DEP_1) | instskip(NEXT) | instid1(VALU_DEP_1)
	v_and_or_b32 v3, 0x7f800000, v5, v3
	v_cndmask_b32_e32 v1, 0, v3, vcc_lo
	s_delay_alu instid0(VALU_DEP_1) | instskip(NEXT) | instid1(VALU_DEP_1)
	v_and_or_b32 v0, 0x80000000, v0, v1
	v_trunc_f32_e32 v0, v0
	s_delay_alu instid0(VALU_DEP_1) | instskip(NEXT) | instid1(VALU_DEP_1)
	v_mul_f32_e64 v1, 0x2f800000, |v0|
	v_floor_f32_e32 v1, v1
	s_delay_alu instid0(VALU_DEP_1) | instskip(SKIP_2) | instid1(VALU_DEP_3)
	v_fma_f32 v3, 0xcf800000, v1, |v0|
	v_ashrrev_i32_e32 v0, 31, v0
	v_cvt_u32_f32_e32 v5, v1
	v_cvt_u32_f32_e32 v3, v3
	s_delay_alu instid0(VALU_DEP_2) | instskip(NEXT) | instid1(VALU_DEP_2)
	v_dual_mov_b32 v1, v0 :: v_dual_bitop2_b32 v13, v5, v0 bitop3:0x14
	v_xor_b32_e32 v12, v3, v0
	s_delay_alu instid0(VALU_DEP_1)
	v_sub_nc_u64_e32 v[0:1], v[12:13], v[0:1]
.LBB62_5062:
	s_mov_b32 s3, 0
.LBB62_5063:
	s_delay_alu instid0(SALU_CYCLE_1)
	s_and_not1_b32 vcc_lo, exec_lo, s3
	s_cbranch_vccnz .LBB62_5065
; %bb.5064:
	s_wait_loadcnt 0x0
	global_load_u8 v0, v[10:11], off
	s_wait_loadcnt 0x0
	v_lshlrev_b32_e32 v1, 25, v0
	v_lshlrev_b16 v0, 8, v0
	s_delay_alu instid0(VALU_DEP_1) | instskip(SKIP_1) | instid1(VALU_DEP_2)
	v_and_or_b32 v5, 0x7f00, v0, 0.5
	v_bfe_i32 v0, v0, 0, 16
	v_add_f32_e32 v5, -0.5, v5
	v_lshrrev_b32_e32 v3, 4, v1
	v_cmp_gt_u32_e32 vcc_lo, 0x8000000, v1
	s_delay_alu instid0(VALU_DEP_2) | instskip(NEXT) | instid1(VALU_DEP_1)
	v_or_b32_e32 v3, 0x70000000, v3
	v_mul_f32_e32 v3, 0x7800000, v3
	s_delay_alu instid0(VALU_DEP_1) | instskip(NEXT) | instid1(VALU_DEP_1)
	v_cndmask_b32_e32 v1, v3, v5, vcc_lo
	v_and_or_b32 v0, 0x80000000, v0, v1
	s_delay_alu instid0(VALU_DEP_1) | instskip(NEXT) | instid1(VALU_DEP_1)
	v_trunc_f32_e32 v0, v0
	v_mul_f32_e64 v1, 0x2f800000, |v0|
	s_delay_alu instid0(VALU_DEP_1) | instskip(NEXT) | instid1(VALU_DEP_1)
	v_floor_f32_e32 v1, v1
	v_fma_f32 v3, 0xcf800000, v1, |v0|
	v_ashrrev_i32_e32 v0, 31, v0
	v_cvt_u32_f32_e32 v5, v1
	s_delay_alu instid0(VALU_DEP_3) | instskip(NEXT) | instid1(VALU_DEP_2)
	v_cvt_u32_f32_e32 v3, v3
	v_dual_mov_b32 v1, v0 :: v_dual_bitop2_b32 v13, v5, v0 bitop3:0x14
	s_delay_alu instid0(VALU_DEP_2) | instskip(NEXT) | instid1(VALU_DEP_1)
	v_xor_b32_e32 v12, v3, v0
	v_sub_nc_u64_e32 v[0:1], v[12:13], v[0:1]
.LBB62_5065:
	s_mov_b32 s3, 0
	s_mov_b32 s6, -1
.LBB62_5066:
	s_and_not1_b32 vcc_lo, exec_lo, s3
	s_mov_b32 s3, 0
	s_cbranch_vccnz .LBB62_5077
; %bb.5067:
	s_cmp_gt_i32 s0, 14
	s_cbranch_scc0 .LBB62_5070
; %bb.5068:
	s_cmp_eq_u32 s0, 15
	s_cbranch_scc0 .LBB62_5073
; %bb.5069:
	s_wait_loadcnt 0x0
	global_load_u16 v0, v[10:11], off
	s_mov_b32 s2, 0
	s_mov_b32 s6, -1
	s_wait_loadcnt 0x0
	v_lshlrev_b32_e32 v0, 16, v0
	s_delay_alu instid0(VALU_DEP_1) | instskip(NEXT) | instid1(VALU_DEP_1)
	v_trunc_f32_e32 v0, v0
	v_mul_f32_e64 v1, 0x2f800000, |v0|
	s_delay_alu instid0(VALU_DEP_1) | instskip(NEXT) | instid1(VALU_DEP_1)
	v_floor_f32_e32 v1, v1
	v_fma_f32 v3, 0xcf800000, v1, |v0|
	v_ashrrev_i32_e32 v0, 31, v0
	v_cvt_u32_f32_e32 v5, v1
	s_delay_alu instid0(VALU_DEP_3) | instskip(NEXT) | instid1(VALU_DEP_2)
	v_cvt_u32_f32_e32 v3, v3
	v_dual_mov_b32 v1, v0 :: v_dual_bitop2_b32 v13, v5, v0 bitop3:0x14
	s_delay_alu instid0(VALU_DEP_2) | instskip(NEXT) | instid1(VALU_DEP_1)
	v_xor_b32_e32 v12, v3, v0
	v_sub_nc_u64_e32 v[0:1], v[12:13], v[0:1]
	s_branch .LBB62_5075
.LBB62_5070:
	s_mov_b32 s3, -1
	s_branch .LBB62_5074
.LBB62_5071:
	s_and_not1_saveexec_b32 s3, s3
	s_cbranch_execz .LBB62_5052
.LBB62_5072:
	v_cmp_ne_u16_e32 vcc_lo, 0, v3
	s_and_not1_b32 s6, s6, exec_lo
	s_and_b32 s7, vcc_lo, exec_lo
	s_delay_alu instid0(SALU_CYCLE_1)
	s_or_b32 s6, s6, s7
	s_or_b32 exec_lo, exec_lo, s3
	v_mov_b64_e32 v[0:1], 0
	s_and_saveexec_b32 s3, s6
	s_cbranch_execnz .LBB62_5053
	s_branch .LBB62_5054
.LBB62_5073:
	s_mov_b32 s2, -1
.LBB62_5074:
                                        ; implicit-def: $vgpr0_vgpr1
.LBB62_5075:
	s_and_b32 vcc_lo, exec_lo, s3
	s_mov_b32 s3, 0
	s_cbranch_vccz .LBB62_5077
; %bb.5076:
	s_cmp_lg_u32 s0, 11
	s_mov_b32 s3, -1
	s_cselect_b32 s2, -1, 0
.LBB62_5077:
	s_delay_alu instid0(SALU_CYCLE_1)
	s_and_b32 vcc_lo, exec_lo, s2
	s_mov_b32 s19, s1
	s_cbranch_vccnz .LBB62_5142
; %bb.5078:
	s_and_not1_b32 vcc_lo, exec_lo, s3
	s_cbranch_vccnz .LBB62_5080
.LBB62_5079:
	s_wait_loadcnt 0x0
	global_load_u8 v0, v[10:11], off
	s_mov_b32 s0, 0
	s_mov_b32 s6, -1
	v_mov_b32_e32 v1, s0
	s_wait_loadcnt 0x0
	v_cmp_ne_u16_e32 vcc_lo, 0, v0
	v_cndmask_b32_e64 v0, 0, 1, vcc_lo
.LBB62_5080:
	s_mov_b32 s0, 0
.LBB62_5081:
	s_delay_alu instid0(SALU_CYCLE_1)
	s_and_b32 vcc_lo, exec_lo, s0
	s_cbranch_vccz .LBB62_5130
; %bb.5082:
	s_and_b32 s0, 0xffff, s57
	s_delay_alu instid0(SALU_CYCLE_1)
	s_cmp_lt_i32 s0, 5
	s_cbranch_scc1 .LBB62_5087
; %bb.5083:
	s_cmp_lt_i32 s0, 8
	s_cbranch_scc1 .LBB62_5088
; %bb.5084:
	;; [unrolled: 3-line block ×3, first 2 shown]
	s_cmp_gt_i32 s0, 9
	s_cbranch_scc0 .LBB62_5090
; %bb.5086:
	s_wait_loadcnt 0x0
	global_load_b64 v[0:1], v[10:11], off
	s_mov_b32 s2, 0
	s_wait_loadcnt 0x0
	v_trunc_f64_e32 v[0:1], v[0:1]
	s_delay_alu instid0(VALU_DEP_1) | instskip(NEXT) | instid1(VALU_DEP_1)
	v_ldexp_f64 v[12:13], v[0:1], 0xffffffe0
	v_floor_f64_e32 v[12:13], v[12:13]
	s_delay_alu instid0(VALU_DEP_1) | instskip(SKIP_1) | instid1(VALU_DEP_2)
	v_fmamk_f64 v[14:15], v[12:13], 0xc1f00000, v[0:1]
	v_cvt_i32_f64_e32 v1, v[12:13]
	v_cvt_u32_f64_e32 v0, v[14:15]
	s_branch .LBB62_5091
.LBB62_5087:
	s_mov_b32 s2, -1
                                        ; implicit-def: $vgpr0_vgpr1
	s_branch .LBB62_5109
.LBB62_5088:
	s_mov_b32 s2, -1
                                        ; implicit-def: $vgpr0_vgpr1
	s_branch .LBB62_5097
.LBB62_5089:
	s_mov_b32 s2, -1
                                        ; implicit-def: $vgpr0_vgpr1
	s_branch .LBB62_5094
.LBB62_5090:
	s_mov_b32 s2, -1
                                        ; implicit-def: $vgpr0_vgpr1
.LBB62_5091:
	s_delay_alu instid0(SALU_CYCLE_1)
	s_and_not1_b32 vcc_lo, exec_lo, s2
	s_cbranch_vccnz .LBB62_5093
; %bb.5092:
	s_wait_loadcnt 0x0
	global_load_b32 v0, v[10:11], off
	s_wait_loadcnt 0x0
	v_trunc_f32_e32 v0, v0
	s_delay_alu instid0(VALU_DEP_1) | instskip(NEXT) | instid1(VALU_DEP_1)
	v_mul_f32_e64 v1, 0x2f800000, |v0|
	v_floor_f32_e32 v1, v1
	s_delay_alu instid0(VALU_DEP_1) | instskip(SKIP_2) | instid1(VALU_DEP_3)
	v_fma_f32 v3, 0xcf800000, v1, |v0|
	v_ashrrev_i32_e32 v0, 31, v0
	v_cvt_u32_f32_e32 v5, v1
	v_cvt_u32_f32_e32 v3, v3
	s_delay_alu instid0(VALU_DEP_2) | instskip(NEXT) | instid1(VALU_DEP_2)
	v_dual_mov_b32 v1, v0 :: v_dual_bitop2_b32 v13, v5, v0 bitop3:0x14
	v_xor_b32_e32 v12, v3, v0
	s_delay_alu instid0(VALU_DEP_1)
	v_sub_nc_u64_e32 v[0:1], v[12:13], v[0:1]
.LBB62_5093:
	s_mov_b32 s2, 0
.LBB62_5094:
	s_delay_alu instid0(SALU_CYCLE_1)
	s_and_not1_b32 vcc_lo, exec_lo, s2
	s_cbranch_vccnz .LBB62_5096
; %bb.5095:
	s_wait_loadcnt 0x0
	global_load_b32 v0, v[10:11], off
	s_wait_loadcnt 0x0
	v_cvt_f32_f16_e32 v0, v0
	s_delay_alu instid0(VALU_DEP_1) | instskip(NEXT) | instid1(VALU_DEP_1)
	v_cvt_i32_f32_e32 v0, v0
	v_ashrrev_i32_e32 v1, 31, v0
.LBB62_5096:
	s_mov_b32 s2, 0
.LBB62_5097:
	s_delay_alu instid0(SALU_CYCLE_1)
	s_and_not1_b32 vcc_lo, exec_lo, s2
	s_cbranch_vccnz .LBB62_5108
; %bb.5098:
	s_cmp_lt_i32 s0, 6
	s_cbranch_scc1 .LBB62_5101
; %bb.5099:
	s_cmp_gt_i32 s0, 6
	s_cbranch_scc0 .LBB62_5102
; %bb.5100:
	s_wait_loadcnt 0x0
	global_load_b64 v[0:1], v[10:11], off
	s_mov_b32 s2, 0
	s_wait_loadcnt 0x0
	v_trunc_f64_e32 v[0:1], v[0:1]
	s_delay_alu instid0(VALU_DEP_1) | instskip(NEXT) | instid1(VALU_DEP_1)
	v_ldexp_f64 v[12:13], v[0:1], 0xffffffe0
	v_floor_f64_e32 v[12:13], v[12:13]
	s_delay_alu instid0(VALU_DEP_1) | instskip(SKIP_1) | instid1(VALU_DEP_2)
	v_fmamk_f64 v[14:15], v[12:13], 0xc1f00000, v[0:1]
	v_cvt_i32_f64_e32 v1, v[12:13]
	v_cvt_u32_f64_e32 v0, v[14:15]
	s_branch .LBB62_5103
.LBB62_5101:
	s_mov_b32 s2, -1
                                        ; implicit-def: $vgpr0_vgpr1
	s_branch .LBB62_5106
.LBB62_5102:
	s_mov_b32 s2, -1
                                        ; implicit-def: $vgpr0_vgpr1
.LBB62_5103:
	s_delay_alu instid0(SALU_CYCLE_1)
	s_and_not1_b32 vcc_lo, exec_lo, s2
	s_cbranch_vccnz .LBB62_5105
; %bb.5104:
	s_wait_loadcnt 0x0
	global_load_b32 v0, v[10:11], off
	s_wait_loadcnt 0x0
	v_trunc_f32_e32 v0, v0
	s_delay_alu instid0(VALU_DEP_1) | instskip(NEXT) | instid1(VALU_DEP_1)
	v_mul_f32_e64 v1, 0x2f800000, |v0|
	v_floor_f32_e32 v1, v1
	s_delay_alu instid0(VALU_DEP_1) | instskip(SKIP_2) | instid1(VALU_DEP_3)
	v_fma_f32 v3, 0xcf800000, v1, |v0|
	v_ashrrev_i32_e32 v0, 31, v0
	v_cvt_u32_f32_e32 v5, v1
	v_cvt_u32_f32_e32 v3, v3
	s_delay_alu instid0(VALU_DEP_2) | instskip(NEXT) | instid1(VALU_DEP_2)
	v_dual_mov_b32 v1, v0 :: v_dual_bitop2_b32 v13, v5, v0 bitop3:0x14
	v_xor_b32_e32 v12, v3, v0
	s_delay_alu instid0(VALU_DEP_1)
	v_sub_nc_u64_e32 v[0:1], v[12:13], v[0:1]
.LBB62_5105:
	s_mov_b32 s2, 0
.LBB62_5106:
	s_delay_alu instid0(SALU_CYCLE_1)
	s_and_not1_b32 vcc_lo, exec_lo, s2
	s_cbranch_vccnz .LBB62_5108
; %bb.5107:
	s_wait_loadcnt 0x0
	global_load_u16 v0, v[10:11], off
	s_wait_loadcnt 0x0
	v_cvt_f32_f16_e32 v0, v0
	s_delay_alu instid0(VALU_DEP_1) | instskip(NEXT) | instid1(VALU_DEP_1)
	v_cvt_i32_f32_e32 v0, v0
	v_ashrrev_i32_e32 v1, 31, v0
.LBB62_5108:
	s_mov_b32 s2, 0
.LBB62_5109:
	s_delay_alu instid0(SALU_CYCLE_1)
	s_and_not1_b32 vcc_lo, exec_lo, s2
	s_cbranch_vccnz .LBB62_5129
; %bb.5110:
	s_cmp_lt_i32 s0, 2
	s_cbranch_scc1 .LBB62_5114
; %bb.5111:
	s_cmp_lt_i32 s0, 3
	s_cbranch_scc1 .LBB62_5115
; %bb.5112:
	s_cmp_gt_i32 s0, 3
	s_cbranch_scc0 .LBB62_5116
; %bb.5113:
	s_wait_loadcnt 0x0
	global_load_b64 v[0:1], v[10:11], off
	s_mov_b32 s2, 0
	s_branch .LBB62_5117
.LBB62_5114:
	s_mov_b32 s2, -1
                                        ; implicit-def: $vgpr0_vgpr1
	s_branch .LBB62_5123
.LBB62_5115:
	s_mov_b32 s2, -1
                                        ; implicit-def: $vgpr0_vgpr1
	s_branch .LBB62_5120
.LBB62_5116:
	s_mov_b32 s2, -1
                                        ; implicit-def: $vgpr0_vgpr1
.LBB62_5117:
	s_delay_alu instid0(SALU_CYCLE_1)
	s_and_not1_b32 vcc_lo, exec_lo, s2
	s_cbranch_vccnz .LBB62_5119
; %bb.5118:
	s_wait_loadcnt 0x0
	global_load_b32 v0, v[10:11], off
	s_wait_loadcnt 0x0
	v_ashrrev_i32_e32 v1, 31, v0
.LBB62_5119:
	s_mov_b32 s2, 0
.LBB62_5120:
	s_delay_alu instid0(SALU_CYCLE_1)
	s_and_not1_b32 vcc_lo, exec_lo, s2
	s_cbranch_vccnz .LBB62_5122
; %bb.5121:
	s_wait_loadcnt 0x0
	global_load_u16 v0, v[10:11], off
	s_wait_loadcnt 0x0
	v_bfe_i32 v0, v0, 0, 16
	s_delay_alu instid0(VALU_DEP_1)
	v_ashrrev_i32_e32 v1, 31, v0
.LBB62_5122:
	s_mov_b32 s2, 0
.LBB62_5123:
	s_delay_alu instid0(SALU_CYCLE_1)
	s_and_not1_b32 vcc_lo, exec_lo, s2
	s_cbranch_vccnz .LBB62_5129
; %bb.5124:
	s_cmp_gt_i32 s0, 0
	s_mov_b32 s0, 0
	s_cbranch_scc0 .LBB62_5126
; %bb.5125:
	s_wait_loadcnt 0x0
	global_load_i8 v0, v[10:11], off
	s_wait_loadcnt 0x0
	v_bfe_i32 v0, v0, 0, 16
	s_delay_alu instid0(VALU_DEP_1)
	v_ashrrev_i32_e32 v1, 31, v0
	s_branch .LBB62_5127
.LBB62_5126:
	s_mov_b32 s0, -1
                                        ; implicit-def: $vgpr0_vgpr1
.LBB62_5127:
	s_delay_alu instid0(SALU_CYCLE_1)
	s_and_not1_b32 vcc_lo, exec_lo, s0
	s_cbranch_vccnz .LBB62_5129
; %bb.5128:
	s_wait_loadcnt 0x0
	global_load_u8 v0, v[10:11], off
	s_mov_b32 s0, 0
	s_delay_alu instid0(SALU_CYCLE_1)
	v_mov_b32_e32 v1, s0
	s_wait_loadcnt 0x0
	v_and_b32_e32 v0, 0xffff, v0
.LBB62_5129:
	s_mov_b32 s6, -1
.LBB62_5130:
	s_delay_alu instid0(SALU_CYCLE_1)
	s_and_not1_b32 vcc_lo, exec_lo, s6
	s_cbranch_vccnz .LBB62_5650
; %bb.5131:
	v_add_nc_u32_e32 v2, s70, v2
	s_cmp_lt_i32 s58, 11
	s_delay_alu instid0(VALU_DEP_1) | instskip(SKIP_1) | instid1(VALU_DEP_1)
	v_ashrrev_i32_e32 v3, 31, v2
	s_wait_xcnt 0x0
	v_add_nc_u64_e32 v[10:11], s[8:9], v[2:3]
	s_cbranch_scc1 .LBB62_5138
; %bb.5132:
	s_and_b32 s0, 0xffff, s58
	s_mov_b32 s3, 0
	s_cmp_gt_i32 s0, 25
	s_cbranch_scc0 .LBB62_5139
; %bb.5133:
	s_cmp_gt_i32 s0, 28
	s_cbranch_scc0 .LBB62_5140
; %bb.5134:
	;; [unrolled: 3-line block ×4, first 2 shown]
	s_cmp_eq_u32 s0, 46
	s_mov_b32 s7, 0
	s_cbranch_scc0 .LBB62_5145
; %bb.5137:
	global_load_b32 v2, v[10:11], off
	s_mov_b32 s2, 0
	s_mov_b32 s6, -1
	s_wait_loadcnt 0x0
	v_lshlrev_b32_e32 v2, 16, v2
	s_delay_alu instid0(VALU_DEP_1) | instskip(NEXT) | instid1(VALU_DEP_1)
	v_trunc_f32_e32 v2, v2
	v_mul_f32_e64 v3, 0x2f800000, |v2|
	s_delay_alu instid0(VALU_DEP_1) | instskip(NEXT) | instid1(VALU_DEP_1)
	v_floor_f32_e32 v3, v3
	v_fma_f32 v5, 0xcf800000, v3, |v2|
	v_ashrrev_i32_e32 v2, 31, v2
	v_cvt_u32_f32_e32 v7, v3
	s_delay_alu instid0(VALU_DEP_3) | instskip(NEXT) | instid1(VALU_DEP_2)
	v_cvt_u32_f32_e32 v5, v5
	v_dual_mov_b32 v3, v2 :: v_dual_bitop2_b32 v13, v7, v2 bitop3:0x14
	s_delay_alu instid0(VALU_DEP_2) | instskip(NEXT) | instid1(VALU_DEP_1)
	v_xor_b32_e32 v12, v5, v2
	v_sub_nc_u64_e32 v[2:3], v[12:13], v[2:3]
	s_branch .LBB62_5147
.LBB62_5138:
	s_mov_b32 s0, -1
	s_mov_b32 s6, 0
                                        ; implicit-def: $vgpr2_vgpr3
	s_branch .LBB62_5209
.LBB62_5139:
	s_mov_b32 s7, -1
	s_mov_b32 s6, 0
	s_mov_b32 s2, 0
                                        ; implicit-def: $vgpr2_vgpr3
	s_branch .LBB62_5174
.LBB62_5140:
	s_mov_b32 s7, -1
	s_mov_b32 s6, 0
	s_mov_b32 s2, 0
                                        ; implicit-def: $vgpr2_vgpr3
	s_branch .LBB62_5157
.LBB62_5141:
	s_mov_b32 s7, -1
	s_mov_b32 s6, 0
	s_mov_b32 s2, 0
                                        ; implicit-def: $vgpr2_vgpr3
	s_branch .LBB62_5152
.LBB62_5142:
	s_or_b32 s19, s1, exec_lo
	s_trap 2
	s_cbranch_execz .LBB62_5079
	s_branch .LBB62_5080
.LBB62_5143:
	s_mov_b32 s7, -1
	s_mov_b32 s6, 0
	s_mov_b32 s2, 0
	s_branch .LBB62_5146
.LBB62_5144:
	s_or_b32 s68, s68, exec_lo
	s_trap 2
                                        ; implicit-def: $vgpr0
                                        ; implicit-def: $vgpr2
                                        ; implicit-def: $vgpr12_vgpr13
                                        ; implicit-def: $vgpr4
                                        ; implicit-def: $vgpr14_vgpr15
                                        ; implicit-def: $vgpr6
                                        ; implicit-def: $vgpr16_vgpr17
                                        ; implicit-def: $vgpr8
                                        ; implicit-def: $vgpr20_vgpr21
                                        ; implicit-def: $vgpr23
                                        ; implicit-def: $vgpr22
	s_branch .LBB62_4977
.LBB62_5145:
	s_mov_b32 s2, -1
	s_mov_b32 s6, 0
.LBB62_5146:
                                        ; implicit-def: $vgpr2_vgpr3
.LBB62_5147:
	s_and_b32 vcc_lo, exec_lo, s7
	s_cbranch_vccz .LBB62_5151
; %bb.5148:
	s_cmp_eq_u32 s0, 44
	s_cbranch_scc0 .LBB62_5150
; %bb.5149:
	global_load_u8 v5, v[10:11], off
	s_mov_b32 s2, 0
	s_mov_b32 s6, -1
	s_wait_loadcnt 0x0
	v_cmp_ne_u32_e32 vcc_lo, 0, v5
	v_lshlrev_b32_e32 v2, 23, v5
	s_delay_alu instid0(VALU_DEP_1) | instskip(NEXT) | instid1(VALU_DEP_1)
	v_trunc_f32_e32 v2, v2
	v_mul_f32_e64 v3, 0x2f800000, |v2|
	s_delay_alu instid0(VALU_DEP_1) | instskip(NEXT) | instid1(VALU_DEP_1)
	v_floor_f32_e32 v3, v3
	v_fma_f32 v7, 0xcf800000, v3, |v2|
	v_ashrrev_i32_e32 v2, 31, v2
	v_cvt_u32_f32_e32 v9, v3
	s_delay_alu instid0(VALU_DEP_3) | instskip(NEXT) | instid1(VALU_DEP_2)
	v_cvt_u32_f32_e32 v7, v7
	v_dual_mov_b32 v3, v2 :: v_dual_bitop2_b32 v13, v9, v2 bitop3:0x14
	s_delay_alu instid0(VALU_DEP_2) | instskip(NEXT) | instid1(VALU_DEP_1)
	v_xor_b32_e32 v12, v7, v2
	v_sub_nc_u64_e32 v[2:3], v[12:13], v[2:3]
	s_delay_alu instid0(VALU_DEP_1)
	v_dual_cndmask_b32 v3, 0, v3 :: v_dual_cndmask_b32 v2, 0, v2
	s_branch .LBB62_5151
.LBB62_5150:
	s_mov_b32 s2, -1
                                        ; implicit-def: $vgpr2_vgpr3
.LBB62_5151:
	s_mov_b32 s7, 0
.LBB62_5152:
	s_delay_alu instid0(SALU_CYCLE_1)
	s_and_b32 vcc_lo, exec_lo, s7
	s_cbranch_vccz .LBB62_5156
; %bb.5153:
	s_cmp_eq_u32 s0, 29
	s_cbranch_scc0 .LBB62_5155
; %bb.5154:
	global_load_b64 v[2:3], v[10:11], off
	s_mov_b32 s2, 0
	s_mov_b32 s6, -1
	s_branch .LBB62_5156
.LBB62_5155:
	s_mov_b32 s2, -1
                                        ; implicit-def: $vgpr2_vgpr3
.LBB62_5156:
	s_mov_b32 s7, 0
.LBB62_5157:
	s_delay_alu instid0(SALU_CYCLE_1)
	s_and_b32 vcc_lo, exec_lo, s7
	s_cbranch_vccz .LBB62_5173
; %bb.5158:
	s_cmp_lt_i32 s0, 27
	s_cbranch_scc1 .LBB62_5161
; %bb.5159:
	s_cmp_gt_i32 s0, 27
	s_cbranch_scc0 .LBB62_5162
; %bb.5160:
	s_wait_loadcnt 0x0
	global_load_b32 v2, v[10:11], off
	v_mov_b32_e32 v3, 0
	s_mov_b32 s6, 0
	s_branch .LBB62_5163
.LBB62_5161:
	s_mov_b32 s6, -1
                                        ; implicit-def: $vgpr2_vgpr3
	s_branch .LBB62_5166
.LBB62_5162:
	s_mov_b32 s6, -1
                                        ; implicit-def: $vgpr2_vgpr3
.LBB62_5163:
	s_delay_alu instid0(SALU_CYCLE_1)
	s_and_not1_b32 vcc_lo, exec_lo, s6
	s_cbranch_vccnz .LBB62_5165
; %bb.5164:
	s_wait_loadcnt 0x0
	global_load_u16 v2, v[10:11], off
	s_mov_b32 s6, 0
	s_delay_alu instid0(SALU_CYCLE_1)
	v_mov_b32_e32 v3, s6
	s_wait_loadcnt 0x0
	v_and_b32_e32 v2, 0xffff, v2
.LBB62_5165:
	s_mov_b32 s6, 0
.LBB62_5166:
	s_delay_alu instid0(SALU_CYCLE_1)
	s_and_not1_b32 vcc_lo, exec_lo, s6
	s_cbranch_vccnz .LBB62_5172
; %bb.5167:
	global_load_u8 v5, v[10:11], off
	s_mov_b32 s7, 0
	s_mov_b32 s6, exec_lo
	s_wait_loadcnt 0x0
	v_cmpx_lt_i16_e32 0x7f, v5
	s_xor_b32 s6, exec_lo, s6
	s_cbranch_execz .LBB62_5184
; %bb.5168:
	v_cmp_ne_u16_e32 vcc_lo, 0x80, v5
	s_and_b32 s7, vcc_lo, exec_lo
	s_and_not1_saveexec_b32 s6, s6
	s_cbranch_execnz .LBB62_5185
.LBB62_5169:
	s_or_b32 exec_lo, exec_lo, s6
	v_mov_b64_e32 v[2:3], 0
	s_and_saveexec_b32 s6, s7
	s_cbranch_execz .LBB62_5171
.LBB62_5170:
	v_and_b32_e32 v2, 0xffff, v5
	s_delay_alu instid0(VALU_DEP_1) | instskip(SKIP_1) | instid1(VALU_DEP_2)
	v_and_b32_e32 v3, 7, v2
	v_bfe_u32 v12, v2, 3, 4
	v_clz_i32_u32_e32 v7, v3
	s_delay_alu instid0(VALU_DEP_2) | instskip(NEXT) | instid1(VALU_DEP_2)
	v_cmp_eq_u32_e32 vcc_lo, 0, v12
	v_min_u32_e32 v7, 32, v7
	s_delay_alu instid0(VALU_DEP_1) | instskip(NEXT) | instid1(VALU_DEP_1)
	v_subrev_nc_u32_e32 v9, 28, v7
	v_dual_lshlrev_b32 v2, v9, v2 :: v_dual_sub_nc_u32 v7, 29, v7
	s_delay_alu instid0(VALU_DEP_1) | instskip(NEXT) | instid1(VALU_DEP_1)
	v_dual_lshlrev_b32 v5, 24, v5 :: v_dual_bitop2_b32 v2, 7, v2 bitop3:0x40
	v_dual_cndmask_b32 v7, v12, v7 :: v_dual_cndmask_b32 v2, v3, v2
	s_delay_alu instid0(VALU_DEP_2) | instskip(NEXT) | instid1(VALU_DEP_2)
	v_and_b32_e32 v3, 0x80000000, v5
	v_lshl_add_u32 v5, v7, 23, 0x3b800000
	s_delay_alu instid0(VALU_DEP_3) | instskip(NEXT) | instid1(VALU_DEP_1)
	v_lshlrev_b32_e32 v2, 20, v2
	v_or3_b32 v2, v3, v5, v2
	s_delay_alu instid0(VALU_DEP_1) | instskip(NEXT) | instid1(VALU_DEP_1)
	v_trunc_f32_e32 v2, v2
	v_mul_f32_e64 v3, 0x2f800000, |v2|
	s_delay_alu instid0(VALU_DEP_1) | instskip(NEXT) | instid1(VALU_DEP_1)
	v_floor_f32_e32 v3, v3
	v_fma_f32 v5, 0xcf800000, v3, |v2|
	v_ashrrev_i32_e32 v2, 31, v2
	v_cvt_u32_f32_e32 v7, v3
	s_delay_alu instid0(VALU_DEP_3) | instskip(NEXT) | instid1(VALU_DEP_2)
	v_cvt_u32_f32_e32 v5, v5
	v_dual_mov_b32 v3, v2 :: v_dual_bitop2_b32 v13, v7, v2 bitop3:0x14
	s_delay_alu instid0(VALU_DEP_2) | instskip(NEXT) | instid1(VALU_DEP_1)
	v_xor_b32_e32 v12, v5, v2
	v_sub_nc_u64_e32 v[2:3], v[12:13], v[2:3]
.LBB62_5171:
	s_or_b32 exec_lo, exec_lo, s6
.LBB62_5172:
	s_mov_b32 s6, -1
.LBB62_5173:
	s_mov_b32 s7, 0
.LBB62_5174:
	s_delay_alu instid0(SALU_CYCLE_1)
	s_and_b32 vcc_lo, exec_lo, s7
	s_cbranch_vccz .LBB62_5205
; %bb.5175:
	s_cmp_gt_i32 s0, 22
	s_cbranch_scc0 .LBB62_5183
; %bb.5176:
	s_cmp_lt_i32 s0, 24
	s_cbranch_scc1 .LBB62_5186
; %bb.5177:
	s_cmp_gt_i32 s0, 24
	s_cbranch_scc0 .LBB62_5187
; %bb.5178:
	global_load_u8 v5, v[10:11], off
	s_mov_b32 s6, 0
	s_mov_b32 s3, exec_lo
	s_wait_loadcnt 0x0
	v_cmpx_lt_i16_e32 0x7f, v5
	s_xor_b32 s3, exec_lo, s3
	s_cbranch_execz .LBB62_5199
; %bb.5179:
	v_cmp_ne_u16_e32 vcc_lo, 0x80, v5
	s_and_b32 s6, vcc_lo, exec_lo
	s_and_not1_saveexec_b32 s3, s3
	s_cbranch_execnz .LBB62_5200
.LBB62_5180:
	s_or_b32 exec_lo, exec_lo, s3
	v_mov_b64_e32 v[2:3], 0
	s_and_saveexec_b32 s3, s6
	s_cbranch_execz .LBB62_5182
.LBB62_5181:
	v_and_b32_e32 v2, 0xffff, v5
	s_delay_alu instid0(VALU_DEP_1) | instskip(SKIP_1) | instid1(VALU_DEP_2)
	v_and_b32_e32 v3, 3, v2
	v_bfe_u32 v12, v2, 2, 5
	v_clz_i32_u32_e32 v7, v3
	s_delay_alu instid0(VALU_DEP_2) | instskip(NEXT) | instid1(VALU_DEP_2)
	v_cmp_eq_u32_e32 vcc_lo, 0, v12
	v_min_u32_e32 v7, 32, v7
	s_delay_alu instid0(VALU_DEP_1) | instskip(NEXT) | instid1(VALU_DEP_1)
	v_subrev_nc_u32_e32 v9, 29, v7
	v_dual_lshlrev_b32 v2, v9, v2 :: v_dual_sub_nc_u32 v7, 30, v7
	s_delay_alu instid0(VALU_DEP_1) | instskip(NEXT) | instid1(VALU_DEP_1)
	v_dual_lshlrev_b32 v5, 24, v5 :: v_dual_bitop2_b32 v2, 3, v2 bitop3:0x40
	v_dual_cndmask_b32 v7, v12, v7 :: v_dual_cndmask_b32 v2, v3, v2
	s_delay_alu instid0(VALU_DEP_2) | instskip(NEXT) | instid1(VALU_DEP_2)
	v_and_b32_e32 v3, 0x80000000, v5
	v_lshl_add_u32 v5, v7, 23, 0x37800000
	s_delay_alu instid0(VALU_DEP_3) | instskip(NEXT) | instid1(VALU_DEP_1)
	v_lshlrev_b32_e32 v2, 21, v2
	v_or3_b32 v2, v3, v5, v2
	s_delay_alu instid0(VALU_DEP_1) | instskip(NEXT) | instid1(VALU_DEP_1)
	v_trunc_f32_e32 v2, v2
	v_mul_f32_e64 v3, 0x2f800000, |v2|
	s_delay_alu instid0(VALU_DEP_1) | instskip(NEXT) | instid1(VALU_DEP_1)
	v_floor_f32_e32 v3, v3
	v_fma_f32 v5, 0xcf800000, v3, |v2|
	v_ashrrev_i32_e32 v2, 31, v2
	v_cvt_u32_f32_e32 v7, v3
	s_delay_alu instid0(VALU_DEP_3) | instskip(NEXT) | instid1(VALU_DEP_2)
	v_cvt_u32_f32_e32 v5, v5
	v_dual_mov_b32 v3, v2 :: v_dual_bitop2_b32 v13, v7, v2 bitop3:0x14
	s_delay_alu instid0(VALU_DEP_2) | instskip(NEXT) | instid1(VALU_DEP_1)
	v_xor_b32_e32 v12, v5, v2
	v_sub_nc_u64_e32 v[2:3], v[12:13], v[2:3]
.LBB62_5182:
	s_or_b32 exec_lo, exec_lo, s3
	s_mov_b32 s3, 0
	s_branch .LBB62_5188
.LBB62_5183:
	s_mov_b32 s3, -1
                                        ; implicit-def: $vgpr2_vgpr3
	s_branch .LBB62_5194
.LBB62_5184:
	s_and_not1_saveexec_b32 s6, s6
	s_cbranch_execz .LBB62_5169
.LBB62_5185:
	v_cmp_ne_u16_e32 vcc_lo, 0, v5
	s_and_not1_b32 s7, s7, exec_lo
	s_and_b32 s8, vcc_lo, exec_lo
	s_delay_alu instid0(SALU_CYCLE_1)
	s_or_b32 s7, s7, s8
	s_or_b32 exec_lo, exec_lo, s6
	v_mov_b64_e32 v[2:3], 0
	s_and_saveexec_b32 s6, s7
	s_cbranch_execnz .LBB62_5170
	s_branch .LBB62_5171
.LBB62_5186:
	s_mov_b32 s3, -1
                                        ; implicit-def: $vgpr2_vgpr3
	s_branch .LBB62_5191
.LBB62_5187:
	s_mov_b32 s3, -1
                                        ; implicit-def: $vgpr2_vgpr3
.LBB62_5188:
	s_delay_alu instid0(SALU_CYCLE_1)
	s_and_b32 vcc_lo, exec_lo, s3
	s_cbranch_vccz .LBB62_5190
; %bb.5189:
	s_wait_loadcnt 0x0
	global_load_u8 v2, v[10:11], off
	s_wait_loadcnt 0x0
	v_lshlrev_b32_e32 v2, 24, v2
	s_delay_alu instid0(VALU_DEP_1) | instskip(NEXT) | instid1(VALU_DEP_1)
	v_and_b32_e32 v3, 0x7f000000, v2
	v_clz_i32_u32_e32 v5, v3
	v_add_nc_u32_e32 v9, 0x1000000, v3
	v_cmp_ne_u32_e32 vcc_lo, 0, v3
	s_delay_alu instid0(VALU_DEP_3) | instskip(NEXT) | instid1(VALU_DEP_1)
	v_min_u32_e32 v5, 32, v5
	v_sub_nc_u32_e64 v5, v5, 4 clamp
	s_delay_alu instid0(VALU_DEP_1) | instskip(NEXT) | instid1(VALU_DEP_1)
	v_dual_lshlrev_b32 v7, v5, v3 :: v_dual_lshlrev_b32 v5, 23, v5
	v_lshrrev_b32_e32 v7, 4, v7
	s_delay_alu instid0(VALU_DEP_1) | instskip(SKIP_1) | instid1(VALU_DEP_2)
	v_sub_nc_u32_e32 v5, v7, v5
	v_ashrrev_i32_e32 v7, 8, v9
	v_add_nc_u32_e32 v5, 0x3c000000, v5
	s_delay_alu instid0(VALU_DEP_1) | instskip(NEXT) | instid1(VALU_DEP_1)
	v_and_or_b32 v5, 0x7f800000, v7, v5
	v_cndmask_b32_e32 v3, 0, v5, vcc_lo
	s_delay_alu instid0(VALU_DEP_1) | instskip(NEXT) | instid1(VALU_DEP_1)
	v_and_or_b32 v2, 0x80000000, v2, v3
	v_trunc_f32_e32 v2, v2
	s_delay_alu instid0(VALU_DEP_1) | instskip(NEXT) | instid1(VALU_DEP_1)
	v_mul_f32_e64 v3, 0x2f800000, |v2|
	v_floor_f32_e32 v3, v3
	s_delay_alu instid0(VALU_DEP_1) | instskip(SKIP_2) | instid1(VALU_DEP_3)
	v_fma_f32 v5, 0xcf800000, v3, |v2|
	v_ashrrev_i32_e32 v2, 31, v2
	v_cvt_u32_f32_e32 v7, v3
	v_cvt_u32_f32_e32 v5, v5
	s_delay_alu instid0(VALU_DEP_2) | instskip(NEXT) | instid1(VALU_DEP_2)
	v_dual_mov_b32 v3, v2 :: v_dual_bitop2_b32 v13, v7, v2 bitop3:0x14
	v_xor_b32_e32 v12, v5, v2
	s_delay_alu instid0(VALU_DEP_1)
	v_sub_nc_u64_e32 v[2:3], v[12:13], v[2:3]
.LBB62_5190:
	s_mov_b32 s3, 0
.LBB62_5191:
	s_delay_alu instid0(SALU_CYCLE_1)
	s_and_not1_b32 vcc_lo, exec_lo, s3
	s_cbranch_vccnz .LBB62_5193
; %bb.5192:
	s_wait_loadcnt 0x0
	global_load_u8 v2, v[10:11], off
	s_wait_loadcnt 0x0
	v_lshlrev_b32_e32 v3, 25, v2
	v_lshlrev_b16 v2, 8, v2
	s_delay_alu instid0(VALU_DEP_1) | instskip(SKIP_1) | instid1(VALU_DEP_2)
	v_and_or_b32 v7, 0x7f00, v2, 0.5
	v_bfe_i32 v2, v2, 0, 16
	v_add_f32_e32 v7, -0.5, v7
	v_lshrrev_b32_e32 v5, 4, v3
	v_cmp_gt_u32_e32 vcc_lo, 0x8000000, v3
	s_delay_alu instid0(VALU_DEP_2) | instskip(NEXT) | instid1(VALU_DEP_1)
	v_or_b32_e32 v5, 0x70000000, v5
	v_mul_f32_e32 v5, 0x7800000, v5
	s_delay_alu instid0(VALU_DEP_1) | instskip(NEXT) | instid1(VALU_DEP_1)
	v_cndmask_b32_e32 v3, v5, v7, vcc_lo
	v_and_or_b32 v2, 0x80000000, v2, v3
	s_delay_alu instid0(VALU_DEP_1) | instskip(NEXT) | instid1(VALU_DEP_1)
	v_trunc_f32_e32 v2, v2
	v_mul_f32_e64 v3, 0x2f800000, |v2|
	s_delay_alu instid0(VALU_DEP_1) | instskip(NEXT) | instid1(VALU_DEP_1)
	v_floor_f32_e32 v3, v3
	v_fma_f32 v5, 0xcf800000, v3, |v2|
	v_ashrrev_i32_e32 v2, 31, v2
	v_cvt_u32_f32_e32 v7, v3
	s_delay_alu instid0(VALU_DEP_3) | instskip(NEXT) | instid1(VALU_DEP_2)
	v_cvt_u32_f32_e32 v5, v5
	v_dual_mov_b32 v3, v2 :: v_dual_bitop2_b32 v13, v7, v2 bitop3:0x14
	s_delay_alu instid0(VALU_DEP_2) | instskip(NEXT) | instid1(VALU_DEP_1)
	v_xor_b32_e32 v12, v5, v2
	v_sub_nc_u64_e32 v[2:3], v[12:13], v[2:3]
.LBB62_5193:
	s_mov_b32 s3, 0
	s_mov_b32 s6, -1
.LBB62_5194:
	s_and_not1_b32 vcc_lo, exec_lo, s3
	s_mov_b32 s3, 0
	s_cbranch_vccnz .LBB62_5205
; %bb.5195:
	s_cmp_gt_i32 s0, 14
	s_cbranch_scc0 .LBB62_5198
; %bb.5196:
	s_cmp_eq_u32 s0, 15
	s_cbranch_scc0 .LBB62_5201
; %bb.5197:
	s_wait_loadcnt 0x0
	global_load_u16 v2, v[10:11], off
	s_mov_b32 s2, 0
	s_mov_b32 s6, -1
	s_wait_loadcnt 0x0
	v_lshlrev_b32_e32 v2, 16, v2
	s_delay_alu instid0(VALU_DEP_1) | instskip(NEXT) | instid1(VALU_DEP_1)
	v_trunc_f32_e32 v2, v2
	v_mul_f32_e64 v3, 0x2f800000, |v2|
	s_delay_alu instid0(VALU_DEP_1) | instskip(NEXT) | instid1(VALU_DEP_1)
	v_floor_f32_e32 v3, v3
	v_fma_f32 v5, 0xcf800000, v3, |v2|
	v_ashrrev_i32_e32 v2, 31, v2
	v_cvt_u32_f32_e32 v7, v3
	s_delay_alu instid0(VALU_DEP_3) | instskip(NEXT) | instid1(VALU_DEP_2)
	v_cvt_u32_f32_e32 v5, v5
	v_dual_mov_b32 v3, v2 :: v_dual_bitop2_b32 v13, v7, v2 bitop3:0x14
	s_delay_alu instid0(VALU_DEP_2) | instskip(NEXT) | instid1(VALU_DEP_1)
	v_xor_b32_e32 v12, v5, v2
	v_sub_nc_u64_e32 v[2:3], v[12:13], v[2:3]
	s_branch .LBB62_5203
.LBB62_5198:
	s_mov_b32 s3, -1
	s_branch .LBB62_5202
.LBB62_5199:
	s_and_not1_saveexec_b32 s3, s3
	s_cbranch_execz .LBB62_5180
.LBB62_5200:
	v_cmp_ne_u16_e32 vcc_lo, 0, v5
	s_and_not1_b32 s6, s6, exec_lo
	s_and_b32 s7, vcc_lo, exec_lo
	s_delay_alu instid0(SALU_CYCLE_1)
	s_or_b32 s6, s6, s7
	s_or_b32 exec_lo, exec_lo, s3
	v_mov_b64_e32 v[2:3], 0
	s_and_saveexec_b32 s3, s6
	s_cbranch_execnz .LBB62_5181
	s_branch .LBB62_5182
.LBB62_5201:
	s_mov_b32 s2, -1
.LBB62_5202:
                                        ; implicit-def: $vgpr2_vgpr3
.LBB62_5203:
	s_and_b32 vcc_lo, exec_lo, s3
	s_mov_b32 s3, 0
	s_cbranch_vccz .LBB62_5205
; %bb.5204:
	s_cmp_lg_u32 s0, 11
	s_mov_b32 s3, -1
	s_cselect_b32 s2, -1, 0
.LBB62_5205:
	s_delay_alu instid0(SALU_CYCLE_1)
	s_and_b32 vcc_lo, exec_lo, s2
	s_cbranch_vccnz .LBB62_5270
; %bb.5206:
	s_and_not1_b32 vcc_lo, exec_lo, s3
	s_cbranch_vccnz .LBB62_5208
.LBB62_5207:
	s_wait_loadcnt 0x0
	global_load_u8 v2, v[10:11], off
	s_mov_b32 s0, 0
	s_mov_b32 s6, -1
	v_mov_b32_e32 v3, s0
	s_wait_loadcnt 0x0
	v_cmp_ne_u16_e32 vcc_lo, 0, v2
	v_cndmask_b32_e64 v2, 0, 1, vcc_lo
.LBB62_5208:
	s_mov_b32 s0, 0
.LBB62_5209:
	s_delay_alu instid0(SALU_CYCLE_1)
	s_and_b32 vcc_lo, exec_lo, s0
	s_cbranch_vccz .LBB62_5258
; %bb.5210:
	s_and_b32 s0, 0xffff, s58
	s_delay_alu instid0(SALU_CYCLE_1)
	s_cmp_lt_i32 s0, 5
	s_cbranch_scc1 .LBB62_5215
; %bb.5211:
	s_cmp_lt_i32 s0, 8
	s_cbranch_scc1 .LBB62_5216
; %bb.5212:
	;; [unrolled: 3-line block ×3, first 2 shown]
	s_cmp_gt_i32 s0, 9
	s_cbranch_scc0 .LBB62_5218
; %bb.5214:
	s_wait_loadcnt 0x0
	global_load_b64 v[2:3], v[10:11], off
	s_mov_b32 s2, 0
	s_wait_loadcnt 0x0
	v_trunc_f64_e32 v[2:3], v[2:3]
	s_delay_alu instid0(VALU_DEP_1) | instskip(NEXT) | instid1(VALU_DEP_1)
	v_ldexp_f64 v[12:13], v[2:3], 0xffffffe0
	v_floor_f64_e32 v[12:13], v[12:13]
	s_delay_alu instid0(VALU_DEP_1) | instskip(SKIP_1) | instid1(VALU_DEP_2)
	v_fmamk_f64 v[14:15], v[12:13], 0xc1f00000, v[2:3]
	v_cvt_i32_f64_e32 v3, v[12:13]
	v_cvt_u32_f64_e32 v2, v[14:15]
	s_branch .LBB62_5219
.LBB62_5215:
	s_mov_b32 s2, -1
                                        ; implicit-def: $vgpr2_vgpr3
	s_branch .LBB62_5237
.LBB62_5216:
	s_mov_b32 s2, -1
                                        ; implicit-def: $vgpr2_vgpr3
	s_branch .LBB62_5225
.LBB62_5217:
	s_mov_b32 s2, -1
                                        ; implicit-def: $vgpr2_vgpr3
	s_branch .LBB62_5222
.LBB62_5218:
	s_mov_b32 s2, -1
                                        ; implicit-def: $vgpr2_vgpr3
.LBB62_5219:
	s_delay_alu instid0(SALU_CYCLE_1)
	s_and_not1_b32 vcc_lo, exec_lo, s2
	s_cbranch_vccnz .LBB62_5221
; %bb.5220:
	s_wait_loadcnt 0x0
	global_load_b32 v2, v[10:11], off
	s_wait_loadcnt 0x0
	v_trunc_f32_e32 v2, v2
	s_delay_alu instid0(VALU_DEP_1) | instskip(NEXT) | instid1(VALU_DEP_1)
	v_mul_f32_e64 v3, 0x2f800000, |v2|
	v_floor_f32_e32 v3, v3
	s_delay_alu instid0(VALU_DEP_1) | instskip(SKIP_2) | instid1(VALU_DEP_3)
	v_fma_f32 v5, 0xcf800000, v3, |v2|
	v_ashrrev_i32_e32 v2, 31, v2
	v_cvt_u32_f32_e32 v7, v3
	v_cvt_u32_f32_e32 v5, v5
	s_delay_alu instid0(VALU_DEP_2) | instskip(NEXT) | instid1(VALU_DEP_2)
	v_dual_mov_b32 v3, v2 :: v_dual_bitop2_b32 v13, v7, v2 bitop3:0x14
	v_xor_b32_e32 v12, v5, v2
	s_delay_alu instid0(VALU_DEP_1)
	v_sub_nc_u64_e32 v[2:3], v[12:13], v[2:3]
.LBB62_5221:
	s_mov_b32 s2, 0
.LBB62_5222:
	s_delay_alu instid0(SALU_CYCLE_1)
	s_and_not1_b32 vcc_lo, exec_lo, s2
	s_cbranch_vccnz .LBB62_5224
; %bb.5223:
	s_wait_loadcnt 0x0
	global_load_b32 v2, v[10:11], off
	s_wait_loadcnt 0x0
	v_cvt_f32_f16_e32 v2, v2
	s_delay_alu instid0(VALU_DEP_1) | instskip(NEXT) | instid1(VALU_DEP_1)
	v_cvt_i32_f32_e32 v2, v2
	v_ashrrev_i32_e32 v3, 31, v2
.LBB62_5224:
	s_mov_b32 s2, 0
.LBB62_5225:
	s_delay_alu instid0(SALU_CYCLE_1)
	s_and_not1_b32 vcc_lo, exec_lo, s2
	s_cbranch_vccnz .LBB62_5236
; %bb.5226:
	s_cmp_lt_i32 s0, 6
	s_cbranch_scc1 .LBB62_5229
; %bb.5227:
	s_cmp_gt_i32 s0, 6
	s_cbranch_scc0 .LBB62_5230
; %bb.5228:
	s_wait_loadcnt 0x0
	global_load_b64 v[2:3], v[10:11], off
	s_mov_b32 s2, 0
	s_wait_loadcnt 0x0
	v_trunc_f64_e32 v[2:3], v[2:3]
	s_delay_alu instid0(VALU_DEP_1) | instskip(NEXT) | instid1(VALU_DEP_1)
	v_ldexp_f64 v[12:13], v[2:3], 0xffffffe0
	v_floor_f64_e32 v[12:13], v[12:13]
	s_delay_alu instid0(VALU_DEP_1) | instskip(SKIP_1) | instid1(VALU_DEP_2)
	v_fmamk_f64 v[14:15], v[12:13], 0xc1f00000, v[2:3]
	v_cvt_i32_f64_e32 v3, v[12:13]
	v_cvt_u32_f64_e32 v2, v[14:15]
	s_branch .LBB62_5231
.LBB62_5229:
	s_mov_b32 s2, -1
                                        ; implicit-def: $vgpr2_vgpr3
	s_branch .LBB62_5234
.LBB62_5230:
	s_mov_b32 s2, -1
                                        ; implicit-def: $vgpr2_vgpr3
.LBB62_5231:
	s_delay_alu instid0(SALU_CYCLE_1)
	s_and_not1_b32 vcc_lo, exec_lo, s2
	s_cbranch_vccnz .LBB62_5233
; %bb.5232:
	s_wait_loadcnt 0x0
	global_load_b32 v2, v[10:11], off
	s_wait_loadcnt 0x0
	v_trunc_f32_e32 v2, v2
	s_delay_alu instid0(VALU_DEP_1) | instskip(NEXT) | instid1(VALU_DEP_1)
	v_mul_f32_e64 v3, 0x2f800000, |v2|
	v_floor_f32_e32 v3, v3
	s_delay_alu instid0(VALU_DEP_1) | instskip(SKIP_2) | instid1(VALU_DEP_3)
	v_fma_f32 v5, 0xcf800000, v3, |v2|
	v_ashrrev_i32_e32 v2, 31, v2
	v_cvt_u32_f32_e32 v7, v3
	v_cvt_u32_f32_e32 v5, v5
	s_delay_alu instid0(VALU_DEP_2) | instskip(NEXT) | instid1(VALU_DEP_2)
	v_dual_mov_b32 v3, v2 :: v_dual_bitop2_b32 v13, v7, v2 bitop3:0x14
	v_xor_b32_e32 v12, v5, v2
	s_delay_alu instid0(VALU_DEP_1)
	v_sub_nc_u64_e32 v[2:3], v[12:13], v[2:3]
.LBB62_5233:
	s_mov_b32 s2, 0
.LBB62_5234:
	s_delay_alu instid0(SALU_CYCLE_1)
	s_and_not1_b32 vcc_lo, exec_lo, s2
	s_cbranch_vccnz .LBB62_5236
; %bb.5235:
	s_wait_loadcnt 0x0
	global_load_u16 v2, v[10:11], off
	s_wait_loadcnt 0x0
	v_cvt_f32_f16_e32 v2, v2
	s_delay_alu instid0(VALU_DEP_1) | instskip(NEXT) | instid1(VALU_DEP_1)
	v_cvt_i32_f32_e32 v2, v2
	v_ashrrev_i32_e32 v3, 31, v2
.LBB62_5236:
	s_mov_b32 s2, 0
.LBB62_5237:
	s_delay_alu instid0(SALU_CYCLE_1)
	s_and_not1_b32 vcc_lo, exec_lo, s2
	s_cbranch_vccnz .LBB62_5257
; %bb.5238:
	s_cmp_lt_i32 s0, 2
	s_cbranch_scc1 .LBB62_5242
; %bb.5239:
	s_cmp_lt_i32 s0, 3
	s_cbranch_scc1 .LBB62_5243
; %bb.5240:
	s_cmp_gt_i32 s0, 3
	s_cbranch_scc0 .LBB62_5244
; %bb.5241:
	s_wait_loadcnt 0x0
	global_load_b64 v[2:3], v[10:11], off
	s_mov_b32 s2, 0
	s_branch .LBB62_5245
.LBB62_5242:
	s_mov_b32 s2, -1
                                        ; implicit-def: $vgpr2_vgpr3
	s_branch .LBB62_5251
.LBB62_5243:
	s_mov_b32 s2, -1
                                        ; implicit-def: $vgpr2_vgpr3
	s_branch .LBB62_5248
.LBB62_5244:
	s_mov_b32 s2, -1
                                        ; implicit-def: $vgpr2_vgpr3
.LBB62_5245:
	s_delay_alu instid0(SALU_CYCLE_1)
	s_and_not1_b32 vcc_lo, exec_lo, s2
	s_cbranch_vccnz .LBB62_5247
; %bb.5246:
	s_wait_loadcnt 0x0
	global_load_b32 v2, v[10:11], off
	s_wait_loadcnt 0x0
	v_ashrrev_i32_e32 v3, 31, v2
.LBB62_5247:
	s_mov_b32 s2, 0
.LBB62_5248:
	s_delay_alu instid0(SALU_CYCLE_1)
	s_and_not1_b32 vcc_lo, exec_lo, s2
	s_cbranch_vccnz .LBB62_5250
; %bb.5249:
	s_wait_loadcnt 0x0
	global_load_u16 v2, v[10:11], off
	s_wait_loadcnt 0x0
	v_bfe_i32 v2, v2, 0, 16
	s_delay_alu instid0(VALU_DEP_1)
	v_ashrrev_i32_e32 v3, 31, v2
.LBB62_5250:
	s_mov_b32 s2, 0
.LBB62_5251:
	s_delay_alu instid0(SALU_CYCLE_1)
	s_and_not1_b32 vcc_lo, exec_lo, s2
	s_cbranch_vccnz .LBB62_5257
; %bb.5252:
	s_cmp_gt_i32 s0, 0
	s_mov_b32 s0, 0
	s_cbranch_scc0 .LBB62_5254
; %bb.5253:
	s_wait_loadcnt 0x0
	global_load_i8 v2, v[10:11], off
	s_wait_loadcnt 0x0
	v_bfe_i32 v2, v2, 0, 16
	s_delay_alu instid0(VALU_DEP_1)
	v_ashrrev_i32_e32 v3, 31, v2
	s_branch .LBB62_5255
.LBB62_5254:
	s_mov_b32 s0, -1
                                        ; implicit-def: $vgpr2_vgpr3
.LBB62_5255:
	s_delay_alu instid0(SALU_CYCLE_1)
	s_and_not1_b32 vcc_lo, exec_lo, s0
	s_cbranch_vccnz .LBB62_5257
; %bb.5256:
	s_wait_loadcnt 0x0
	global_load_u8 v2, v[10:11], off
	s_mov_b32 s0, 0
	s_delay_alu instid0(SALU_CYCLE_1)
	v_mov_b32_e32 v3, s0
	s_wait_loadcnt 0x0
	v_and_b32_e32 v2, 0xffff, v2
.LBB62_5257:
	s_mov_b32 s6, -1
.LBB62_5258:
	s_delay_alu instid0(SALU_CYCLE_1)
	s_and_not1_b32 vcc_lo, exec_lo, s6
	s_cbranch_vccnz .LBB62_5650
; %bb.5259:
	v_add_nc_u32_e32 v4, s71, v4
	s_cmp_lt_i32 s59, 11
	s_delay_alu instid0(VALU_DEP_1) | instskip(SKIP_1) | instid1(VALU_DEP_1)
	v_ashrrev_i32_e32 v5, 31, v4
	s_wait_xcnt 0x0
	v_add_nc_u64_e32 v[10:11], s[10:11], v[4:5]
	s_cbranch_scc1 .LBB62_5266
; %bb.5260:
	s_and_b32 s0, 0xffff, s59
	s_mov_b32 s3, 0
	s_cmp_gt_i32 s0, 25
	s_cbranch_scc0 .LBB62_5267
; %bb.5261:
	s_cmp_gt_i32 s0, 28
	s_cbranch_scc0 .LBB62_5268
; %bb.5262:
	;; [unrolled: 3-line block ×4, first 2 shown]
	s_cmp_eq_u32 s0, 46
	s_mov_b32 s7, 0
	s_cbranch_scc0 .LBB62_5273
; %bb.5265:
	global_load_b32 v4, v[10:11], off
	s_mov_b32 s2, 0
	s_mov_b32 s6, -1
	s_wait_loadcnt 0x0
	v_lshlrev_b32_e32 v4, 16, v4
	s_delay_alu instid0(VALU_DEP_1) | instskip(NEXT) | instid1(VALU_DEP_1)
	v_trunc_f32_e32 v4, v4
	v_mul_f32_e64 v5, 0x2f800000, |v4|
	s_delay_alu instid0(VALU_DEP_1) | instskip(NEXT) | instid1(VALU_DEP_1)
	v_floor_f32_e32 v5, v5
	v_fma_f32 v7, 0xcf800000, v5, |v4|
	v_ashrrev_i32_e32 v4, 31, v4
	v_cvt_u32_f32_e32 v9, v5
	s_delay_alu instid0(VALU_DEP_3) | instskip(NEXT) | instid1(VALU_DEP_2)
	v_cvt_u32_f32_e32 v7, v7
	v_dual_mov_b32 v5, v4 :: v_dual_bitop2_b32 v13, v9, v4 bitop3:0x14
	s_delay_alu instid0(VALU_DEP_2) | instskip(NEXT) | instid1(VALU_DEP_1)
	v_xor_b32_e32 v12, v7, v4
	v_sub_nc_u64_e32 v[4:5], v[12:13], v[4:5]
	s_branch .LBB62_5275
.LBB62_5266:
	s_mov_b32 s0, -1
	s_mov_b32 s6, 0
                                        ; implicit-def: $vgpr4_vgpr5
	s_branch .LBB62_5337
.LBB62_5267:
	s_mov_b32 s7, -1
	s_mov_b32 s6, 0
	s_mov_b32 s2, 0
                                        ; implicit-def: $vgpr4_vgpr5
	s_branch .LBB62_5302
.LBB62_5268:
	s_mov_b32 s7, -1
	s_mov_b32 s6, 0
	s_mov_b32 s2, 0
                                        ; implicit-def: $vgpr4_vgpr5
	s_branch .LBB62_5285
.LBB62_5269:
	s_mov_b32 s7, -1
	s_mov_b32 s6, 0
	s_mov_b32 s2, 0
                                        ; implicit-def: $vgpr4_vgpr5
	s_branch .LBB62_5280
.LBB62_5270:
	s_or_b32 s19, s19, exec_lo
	s_trap 2
	s_cbranch_execz .LBB62_5207
	s_branch .LBB62_5208
.LBB62_5271:
	s_mov_b32 s7, -1
	s_mov_b32 s6, 0
	s_mov_b32 s2, 0
	s_branch .LBB62_5274
.LBB62_5272:
	s_or_b32 s75, s68, exec_lo
	s_trap 2
                                        ; implicit-def: $vgpr0
                                        ; implicit-def: $vgpr2
                                        ; implicit-def: $vgpr4
                                        ; implicit-def: $vgpr14_vgpr15
                                        ; implicit-def: $vgpr6
                                        ; implicit-def: $vgpr16_vgpr17
                                        ; implicit-def: $vgpr8
                                        ; implicit-def: $vgpr20_vgpr21
                                        ; implicit-def: $vgpr23
                                        ; implicit-def: $vgpr22
	s_or_saveexec_b32 s76, s0
                                        ; implicit-def: $sgpr0
                                        ; implicit-def: $vgpr10_vgpr11
	s_delay_alu instid0(SALU_CYCLE_1)
	s_xor_b32 exec_lo, exec_lo, s76
	s_cbranch_execz .LBB62_5654
	s_branch .LBB62_4980
.LBB62_5273:
	s_mov_b32 s2, -1
	s_mov_b32 s6, 0
.LBB62_5274:
                                        ; implicit-def: $vgpr4_vgpr5
.LBB62_5275:
	s_and_b32 vcc_lo, exec_lo, s7
	s_cbranch_vccz .LBB62_5279
; %bb.5276:
	s_cmp_eq_u32 s0, 44
	s_cbranch_scc0 .LBB62_5278
; %bb.5277:
	global_load_u8 v7, v[10:11], off
	s_mov_b32 s2, 0
	s_mov_b32 s6, -1
	s_wait_loadcnt 0x0
	v_cmp_ne_u32_e32 vcc_lo, 0, v7
	v_lshlrev_b32_e32 v4, 23, v7
	s_delay_alu instid0(VALU_DEP_1) | instskip(NEXT) | instid1(VALU_DEP_1)
	v_trunc_f32_e32 v4, v4
	v_mul_f32_e64 v5, 0x2f800000, |v4|
	s_delay_alu instid0(VALU_DEP_1) | instskip(NEXT) | instid1(VALU_DEP_1)
	v_floor_f32_e32 v5, v5
	v_fma_f32 v9, 0xcf800000, v5, |v4|
	v_ashrrev_i32_e32 v4, 31, v4
	v_cvt_u32_f32_e32 v12, v5
	s_delay_alu instid0(VALU_DEP_3) | instskip(NEXT) | instid1(VALU_DEP_3)
	v_cvt_u32_f32_e32 v9, v9
	v_mov_b32_e32 v5, v4
	s_delay_alu instid0(VALU_DEP_3) | instskip(NEXT) | instid1(VALU_DEP_3)
	v_xor_b32_e32 v13, v12, v4
	v_xor_b32_e32 v12, v9, v4
	s_delay_alu instid0(VALU_DEP_1) | instskip(NEXT) | instid1(VALU_DEP_1)
	v_sub_nc_u64_e32 v[4:5], v[12:13], v[4:5]
	v_dual_cndmask_b32 v5, 0, v5 :: v_dual_cndmask_b32 v4, 0, v4
	s_branch .LBB62_5279
.LBB62_5278:
	s_mov_b32 s2, -1
                                        ; implicit-def: $vgpr4_vgpr5
.LBB62_5279:
	s_mov_b32 s7, 0
.LBB62_5280:
	s_delay_alu instid0(SALU_CYCLE_1)
	s_and_b32 vcc_lo, exec_lo, s7
	s_cbranch_vccz .LBB62_5284
; %bb.5281:
	s_cmp_eq_u32 s0, 29
	s_cbranch_scc0 .LBB62_5283
; %bb.5282:
	global_load_b64 v[4:5], v[10:11], off
	s_mov_b32 s2, 0
	s_mov_b32 s6, -1
	s_branch .LBB62_5284
.LBB62_5283:
	s_mov_b32 s2, -1
                                        ; implicit-def: $vgpr4_vgpr5
.LBB62_5284:
	s_mov_b32 s7, 0
.LBB62_5285:
	s_delay_alu instid0(SALU_CYCLE_1)
	s_and_b32 vcc_lo, exec_lo, s7
	s_cbranch_vccz .LBB62_5301
; %bb.5286:
	s_cmp_lt_i32 s0, 27
	s_cbranch_scc1 .LBB62_5289
; %bb.5287:
	s_cmp_gt_i32 s0, 27
	s_cbranch_scc0 .LBB62_5290
; %bb.5288:
	s_wait_loadcnt 0x0
	global_load_b32 v4, v[10:11], off
	v_mov_b32_e32 v5, 0
	s_mov_b32 s6, 0
	s_branch .LBB62_5291
.LBB62_5289:
	s_mov_b32 s6, -1
                                        ; implicit-def: $vgpr4_vgpr5
	s_branch .LBB62_5294
.LBB62_5290:
	s_mov_b32 s6, -1
                                        ; implicit-def: $vgpr4_vgpr5
.LBB62_5291:
	s_delay_alu instid0(SALU_CYCLE_1)
	s_and_not1_b32 vcc_lo, exec_lo, s6
	s_cbranch_vccnz .LBB62_5293
; %bb.5292:
	s_wait_loadcnt 0x0
	global_load_u16 v4, v[10:11], off
	s_mov_b32 s6, 0
	s_delay_alu instid0(SALU_CYCLE_1)
	v_mov_b32_e32 v5, s6
	s_wait_loadcnt 0x0
	v_and_b32_e32 v4, 0xffff, v4
.LBB62_5293:
	s_mov_b32 s6, 0
.LBB62_5294:
	s_delay_alu instid0(SALU_CYCLE_1)
	s_and_not1_b32 vcc_lo, exec_lo, s6
	s_cbranch_vccnz .LBB62_5300
; %bb.5295:
	global_load_u8 v7, v[10:11], off
	s_mov_b32 s7, 0
	s_mov_b32 s6, exec_lo
	s_wait_loadcnt 0x0
	v_cmpx_lt_i16_e32 0x7f, v7
	s_xor_b32 s6, exec_lo, s6
	s_cbranch_execz .LBB62_5312
; %bb.5296:
	v_cmp_ne_u16_e32 vcc_lo, 0x80, v7
	s_and_b32 s7, vcc_lo, exec_lo
	s_and_not1_saveexec_b32 s6, s6
	s_cbranch_execnz .LBB62_5313
.LBB62_5297:
	s_or_b32 exec_lo, exec_lo, s6
	v_mov_b64_e32 v[4:5], 0
	s_and_saveexec_b32 s6, s7
	s_cbranch_execz .LBB62_5299
.LBB62_5298:
	v_and_b32_e32 v4, 0xffff, v7
	s_delay_alu instid0(VALU_DEP_1) | instskip(SKIP_1) | instid1(VALU_DEP_2)
	v_and_b32_e32 v5, 7, v4
	v_bfe_u32 v13, v4, 3, 4
	v_clz_i32_u32_e32 v9, v5
	s_delay_alu instid0(VALU_DEP_2) | instskip(NEXT) | instid1(VALU_DEP_2)
	v_cmp_eq_u32_e32 vcc_lo, 0, v13
	v_min_u32_e32 v9, 32, v9
	s_delay_alu instid0(VALU_DEP_1) | instskip(NEXT) | instid1(VALU_DEP_1)
	v_subrev_nc_u32_e32 v12, 28, v9
	v_dual_lshlrev_b32 v4, v12, v4 :: v_dual_sub_nc_u32 v9, 29, v9
	s_delay_alu instid0(VALU_DEP_1) | instskip(NEXT) | instid1(VALU_DEP_2)
	v_dual_lshlrev_b32 v7, 24, v7 :: v_dual_bitop2_b32 v4, 7, v4 bitop3:0x40
	v_cndmask_b32_e32 v9, v13, v9, vcc_lo
	s_delay_alu instid0(VALU_DEP_2) | instskip(NEXT) | instid1(VALU_DEP_3)
	v_cndmask_b32_e32 v4, v5, v4, vcc_lo
	v_and_b32_e32 v5, 0x80000000, v7
	s_delay_alu instid0(VALU_DEP_3) | instskip(NEXT) | instid1(VALU_DEP_3)
	v_lshl_add_u32 v7, v9, 23, 0x3b800000
	v_lshlrev_b32_e32 v4, 20, v4
	s_delay_alu instid0(VALU_DEP_1) | instskip(NEXT) | instid1(VALU_DEP_1)
	v_or3_b32 v4, v5, v7, v4
	v_trunc_f32_e32 v4, v4
	s_delay_alu instid0(VALU_DEP_1) | instskip(NEXT) | instid1(VALU_DEP_1)
	v_mul_f32_e64 v5, 0x2f800000, |v4|
	v_floor_f32_e32 v5, v5
	s_delay_alu instid0(VALU_DEP_1) | instskip(SKIP_2) | instid1(VALU_DEP_3)
	v_fma_f32 v7, 0xcf800000, v5, |v4|
	v_ashrrev_i32_e32 v4, 31, v4
	v_cvt_u32_f32_e32 v9, v5
	v_cvt_u32_f32_e32 v7, v7
	s_delay_alu instid0(VALU_DEP_2) | instskip(NEXT) | instid1(VALU_DEP_2)
	v_dual_mov_b32 v5, v4 :: v_dual_bitop2_b32 v13, v9, v4 bitop3:0x14
	v_xor_b32_e32 v12, v7, v4
	s_delay_alu instid0(VALU_DEP_1)
	v_sub_nc_u64_e32 v[4:5], v[12:13], v[4:5]
.LBB62_5299:
	s_or_b32 exec_lo, exec_lo, s6
.LBB62_5300:
	s_mov_b32 s6, -1
.LBB62_5301:
	s_mov_b32 s7, 0
.LBB62_5302:
	s_delay_alu instid0(SALU_CYCLE_1)
	s_and_b32 vcc_lo, exec_lo, s7
	s_cbranch_vccz .LBB62_5333
; %bb.5303:
	s_cmp_gt_i32 s0, 22
	s_cbranch_scc0 .LBB62_5311
; %bb.5304:
	s_cmp_lt_i32 s0, 24
	s_cbranch_scc1 .LBB62_5314
; %bb.5305:
	s_cmp_gt_i32 s0, 24
	s_cbranch_scc0 .LBB62_5315
; %bb.5306:
	global_load_u8 v7, v[10:11], off
	s_mov_b32 s6, 0
	s_mov_b32 s3, exec_lo
	s_wait_loadcnt 0x0
	v_cmpx_lt_i16_e32 0x7f, v7
	s_xor_b32 s3, exec_lo, s3
	s_cbranch_execz .LBB62_5327
; %bb.5307:
	v_cmp_ne_u16_e32 vcc_lo, 0x80, v7
	s_and_b32 s6, vcc_lo, exec_lo
	s_and_not1_saveexec_b32 s3, s3
	s_cbranch_execnz .LBB62_5328
.LBB62_5308:
	s_or_b32 exec_lo, exec_lo, s3
	v_mov_b64_e32 v[4:5], 0
	s_and_saveexec_b32 s3, s6
	s_cbranch_execz .LBB62_5310
.LBB62_5309:
	v_and_b32_e32 v4, 0xffff, v7
	s_delay_alu instid0(VALU_DEP_1) | instskip(SKIP_1) | instid1(VALU_DEP_2)
	v_and_b32_e32 v5, 3, v4
	v_bfe_u32 v13, v4, 2, 5
	v_clz_i32_u32_e32 v9, v5
	s_delay_alu instid0(VALU_DEP_2) | instskip(NEXT) | instid1(VALU_DEP_2)
	v_cmp_eq_u32_e32 vcc_lo, 0, v13
	v_min_u32_e32 v9, 32, v9
	s_delay_alu instid0(VALU_DEP_1) | instskip(NEXT) | instid1(VALU_DEP_1)
	v_subrev_nc_u32_e32 v12, 29, v9
	v_dual_lshlrev_b32 v4, v12, v4 :: v_dual_sub_nc_u32 v9, 30, v9
	s_delay_alu instid0(VALU_DEP_1) | instskip(NEXT) | instid1(VALU_DEP_2)
	v_dual_lshlrev_b32 v7, 24, v7 :: v_dual_bitop2_b32 v4, 3, v4 bitop3:0x40
	v_cndmask_b32_e32 v9, v13, v9, vcc_lo
	s_delay_alu instid0(VALU_DEP_2) | instskip(NEXT) | instid1(VALU_DEP_3)
	v_cndmask_b32_e32 v4, v5, v4, vcc_lo
	v_and_b32_e32 v5, 0x80000000, v7
	s_delay_alu instid0(VALU_DEP_3) | instskip(NEXT) | instid1(VALU_DEP_3)
	v_lshl_add_u32 v7, v9, 23, 0x37800000
	v_lshlrev_b32_e32 v4, 21, v4
	s_delay_alu instid0(VALU_DEP_1) | instskip(NEXT) | instid1(VALU_DEP_1)
	v_or3_b32 v4, v5, v7, v4
	v_trunc_f32_e32 v4, v4
	s_delay_alu instid0(VALU_DEP_1) | instskip(NEXT) | instid1(VALU_DEP_1)
	v_mul_f32_e64 v5, 0x2f800000, |v4|
	v_floor_f32_e32 v5, v5
	s_delay_alu instid0(VALU_DEP_1) | instskip(SKIP_2) | instid1(VALU_DEP_3)
	v_fma_f32 v7, 0xcf800000, v5, |v4|
	v_ashrrev_i32_e32 v4, 31, v4
	v_cvt_u32_f32_e32 v9, v5
	v_cvt_u32_f32_e32 v7, v7
	s_delay_alu instid0(VALU_DEP_2) | instskip(NEXT) | instid1(VALU_DEP_2)
	v_dual_mov_b32 v5, v4 :: v_dual_bitop2_b32 v13, v9, v4 bitop3:0x14
	v_xor_b32_e32 v12, v7, v4
	s_delay_alu instid0(VALU_DEP_1)
	v_sub_nc_u64_e32 v[4:5], v[12:13], v[4:5]
.LBB62_5310:
	s_or_b32 exec_lo, exec_lo, s3
	s_mov_b32 s3, 0
	s_branch .LBB62_5316
.LBB62_5311:
	s_mov_b32 s3, -1
                                        ; implicit-def: $vgpr4_vgpr5
	s_branch .LBB62_5322
.LBB62_5312:
	s_and_not1_saveexec_b32 s6, s6
	s_cbranch_execz .LBB62_5297
.LBB62_5313:
	v_cmp_ne_u16_e32 vcc_lo, 0, v7
	s_and_not1_b32 s7, s7, exec_lo
	s_and_b32 s8, vcc_lo, exec_lo
	s_delay_alu instid0(SALU_CYCLE_1)
	s_or_b32 s7, s7, s8
	s_or_b32 exec_lo, exec_lo, s6
	v_mov_b64_e32 v[4:5], 0
	s_and_saveexec_b32 s6, s7
	s_cbranch_execnz .LBB62_5298
	s_branch .LBB62_5299
.LBB62_5314:
	s_mov_b32 s3, -1
                                        ; implicit-def: $vgpr4_vgpr5
	s_branch .LBB62_5319
.LBB62_5315:
	s_mov_b32 s3, -1
                                        ; implicit-def: $vgpr4_vgpr5
.LBB62_5316:
	s_delay_alu instid0(SALU_CYCLE_1)
	s_and_b32 vcc_lo, exec_lo, s3
	s_cbranch_vccz .LBB62_5318
; %bb.5317:
	s_wait_loadcnt 0x0
	global_load_u8 v4, v[10:11], off
	s_wait_loadcnt 0x0
	v_lshlrev_b32_e32 v4, 24, v4
	s_delay_alu instid0(VALU_DEP_1) | instskip(NEXT) | instid1(VALU_DEP_1)
	v_and_b32_e32 v5, 0x7f000000, v4
	v_clz_i32_u32_e32 v7, v5
	v_cmp_ne_u32_e32 vcc_lo, 0, v5
	v_add_nc_u32_e32 v12, 0x1000000, v5
	s_delay_alu instid0(VALU_DEP_3) | instskip(NEXT) | instid1(VALU_DEP_1)
	v_min_u32_e32 v7, 32, v7
	v_sub_nc_u32_e64 v7, v7, 4 clamp
	s_delay_alu instid0(VALU_DEP_1) | instskip(NEXT) | instid1(VALU_DEP_1)
	v_dual_lshlrev_b32 v9, v7, v5 :: v_dual_lshlrev_b32 v7, 23, v7
	v_lshrrev_b32_e32 v9, 4, v9
	s_delay_alu instid0(VALU_DEP_1) | instskip(NEXT) | instid1(VALU_DEP_1)
	v_dual_sub_nc_u32 v7, v9, v7 :: v_dual_ashrrev_i32 v9, 8, v12
	v_add_nc_u32_e32 v7, 0x3c000000, v7
	s_delay_alu instid0(VALU_DEP_1) | instskip(NEXT) | instid1(VALU_DEP_1)
	v_and_or_b32 v7, 0x7f800000, v9, v7
	v_cndmask_b32_e32 v5, 0, v7, vcc_lo
	s_delay_alu instid0(VALU_DEP_1) | instskip(NEXT) | instid1(VALU_DEP_1)
	v_and_or_b32 v4, 0x80000000, v4, v5
	v_trunc_f32_e32 v4, v4
	s_delay_alu instid0(VALU_DEP_1) | instskip(NEXT) | instid1(VALU_DEP_1)
	v_mul_f32_e64 v5, 0x2f800000, |v4|
	v_floor_f32_e32 v5, v5
	s_delay_alu instid0(VALU_DEP_1) | instskip(SKIP_2) | instid1(VALU_DEP_3)
	v_fma_f32 v7, 0xcf800000, v5, |v4|
	v_ashrrev_i32_e32 v4, 31, v4
	v_cvt_u32_f32_e32 v9, v5
	v_cvt_u32_f32_e32 v7, v7
	s_delay_alu instid0(VALU_DEP_2) | instskip(NEXT) | instid1(VALU_DEP_2)
	v_dual_mov_b32 v5, v4 :: v_dual_bitop2_b32 v13, v9, v4 bitop3:0x14
	v_xor_b32_e32 v12, v7, v4
	s_delay_alu instid0(VALU_DEP_1)
	v_sub_nc_u64_e32 v[4:5], v[12:13], v[4:5]
.LBB62_5318:
	s_mov_b32 s3, 0
.LBB62_5319:
	s_delay_alu instid0(SALU_CYCLE_1)
	s_and_not1_b32 vcc_lo, exec_lo, s3
	s_cbranch_vccnz .LBB62_5321
; %bb.5320:
	s_wait_loadcnt 0x0
	global_load_u8 v4, v[10:11], off
	s_wait_loadcnt 0x0
	v_lshlrev_b32_e32 v5, 25, v4
	v_lshlrev_b16 v4, 8, v4
	s_delay_alu instid0(VALU_DEP_1) | instskip(SKIP_1) | instid1(VALU_DEP_2)
	v_and_or_b32 v9, 0x7f00, v4, 0.5
	v_bfe_i32 v4, v4, 0, 16
	v_add_f32_e32 v9, -0.5, v9
	v_lshrrev_b32_e32 v7, 4, v5
	v_cmp_gt_u32_e32 vcc_lo, 0x8000000, v5
	s_delay_alu instid0(VALU_DEP_2) | instskip(NEXT) | instid1(VALU_DEP_1)
	v_or_b32_e32 v7, 0x70000000, v7
	v_mul_f32_e32 v7, 0x7800000, v7
	s_delay_alu instid0(VALU_DEP_1) | instskip(NEXT) | instid1(VALU_DEP_1)
	v_cndmask_b32_e32 v5, v7, v9, vcc_lo
	v_and_or_b32 v4, 0x80000000, v4, v5
	s_delay_alu instid0(VALU_DEP_1) | instskip(NEXT) | instid1(VALU_DEP_1)
	v_trunc_f32_e32 v4, v4
	v_mul_f32_e64 v5, 0x2f800000, |v4|
	s_delay_alu instid0(VALU_DEP_1) | instskip(NEXT) | instid1(VALU_DEP_1)
	v_floor_f32_e32 v5, v5
	v_fma_f32 v7, 0xcf800000, v5, |v4|
	v_ashrrev_i32_e32 v4, 31, v4
	v_cvt_u32_f32_e32 v9, v5
	s_delay_alu instid0(VALU_DEP_3) | instskip(NEXT) | instid1(VALU_DEP_2)
	v_cvt_u32_f32_e32 v7, v7
	v_dual_mov_b32 v5, v4 :: v_dual_bitop2_b32 v13, v9, v4 bitop3:0x14
	s_delay_alu instid0(VALU_DEP_2) | instskip(NEXT) | instid1(VALU_DEP_1)
	v_xor_b32_e32 v12, v7, v4
	v_sub_nc_u64_e32 v[4:5], v[12:13], v[4:5]
.LBB62_5321:
	s_mov_b32 s3, 0
	s_mov_b32 s6, -1
.LBB62_5322:
	s_and_not1_b32 vcc_lo, exec_lo, s3
	s_mov_b32 s3, 0
	s_cbranch_vccnz .LBB62_5333
; %bb.5323:
	s_cmp_gt_i32 s0, 14
	s_cbranch_scc0 .LBB62_5326
; %bb.5324:
	s_cmp_eq_u32 s0, 15
	s_cbranch_scc0 .LBB62_5329
; %bb.5325:
	s_wait_loadcnt 0x0
	global_load_u16 v4, v[10:11], off
	s_mov_b32 s2, 0
	s_mov_b32 s6, -1
	s_wait_loadcnt 0x0
	v_lshlrev_b32_e32 v4, 16, v4
	s_delay_alu instid0(VALU_DEP_1) | instskip(NEXT) | instid1(VALU_DEP_1)
	v_trunc_f32_e32 v4, v4
	v_mul_f32_e64 v5, 0x2f800000, |v4|
	s_delay_alu instid0(VALU_DEP_1) | instskip(NEXT) | instid1(VALU_DEP_1)
	v_floor_f32_e32 v5, v5
	v_fma_f32 v7, 0xcf800000, v5, |v4|
	v_ashrrev_i32_e32 v4, 31, v4
	v_cvt_u32_f32_e32 v9, v5
	s_delay_alu instid0(VALU_DEP_3) | instskip(NEXT) | instid1(VALU_DEP_2)
	v_cvt_u32_f32_e32 v7, v7
	v_dual_mov_b32 v5, v4 :: v_dual_bitop2_b32 v13, v9, v4 bitop3:0x14
	s_delay_alu instid0(VALU_DEP_2) | instskip(NEXT) | instid1(VALU_DEP_1)
	v_xor_b32_e32 v12, v7, v4
	v_sub_nc_u64_e32 v[4:5], v[12:13], v[4:5]
	s_branch .LBB62_5331
.LBB62_5326:
	s_mov_b32 s3, -1
	s_branch .LBB62_5330
.LBB62_5327:
	s_and_not1_saveexec_b32 s3, s3
	s_cbranch_execz .LBB62_5308
.LBB62_5328:
	v_cmp_ne_u16_e32 vcc_lo, 0, v7
	s_and_not1_b32 s6, s6, exec_lo
	s_and_b32 s7, vcc_lo, exec_lo
	s_delay_alu instid0(SALU_CYCLE_1)
	s_or_b32 s6, s6, s7
	s_or_b32 exec_lo, exec_lo, s3
	v_mov_b64_e32 v[4:5], 0
	s_and_saveexec_b32 s3, s6
	s_cbranch_execnz .LBB62_5309
	s_branch .LBB62_5310
.LBB62_5329:
	s_mov_b32 s2, -1
.LBB62_5330:
                                        ; implicit-def: $vgpr4_vgpr5
.LBB62_5331:
	s_and_b32 vcc_lo, exec_lo, s3
	s_mov_b32 s3, 0
	s_cbranch_vccz .LBB62_5333
; %bb.5332:
	s_cmp_lg_u32 s0, 11
	s_mov_b32 s3, -1
	s_cselect_b32 s2, -1, 0
.LBB62_5333:
	s_delay_alu instid0(SALU_CYCLE_1)
	s_and_b32 vcc_lo, exec_lo, s2
	s_cbranch_vccnz .LBB62_5398
; %bb.5334:
	s_and_not1_b32 vcc_lo, exec_lo, s3
	s_cbranch_vccnz .LBB62_5336
.LBB62_5335:
	s_wait_loadcnt 0x0
	global_load_u8 v4, v[10:11], off
	s_mov_b32 s0, 0
	s_mov_b32 s6, -1
	v_mov_b32_e32 v5, s0
	s_wait_loadcnt 0x0
	v_cmp_ne_u16_e32 vcc_lo, 0, v4
	v_cndmask_b32_e64 v4, 0, 1, vcc_lo
.LBB62_5336:
	s_mov_b32 s0, 0
.LBB62_5337:
	s_delay_alu instid0(SALU_CYCLE_1)
	s_and_b32 vcc_lo, exec_lo, s0
	s_cbranch_vccz .LBB62_5386
; %bb.5338:
	s_and_b32 s0, 0xffff, s59
	s_delay_alu instid0(SALU_CYCLE_1)
	s_cmp_lt_i32 s0, 5
	s_cbranch_scc1 .LBB62_5343
; %bb.5339:
	s_cmp_lt_i32 s0, 8
	s_cbranch_scc1 .LBB62_5344
; %bb.5340:
	s_cmp_lt_i32 s0, 9
	s_cbranch_scc1 .LBB62_5345
; %bb.5341:
	s_cmp_gt_i32 s0, 9
	s_cbranch_scc0 .LBB62_5346
; %bb.5342:
	s_wait_loadcnt 0x0
	global_load_b64 v[4:5], v[10:11], off
	s_mov_b32 s2, 0
	s_wait_loadcnt 0x0
	v_trunc_f64_e32 v[4:5], v[4:5]
	s_delay_alu instid0(VALU_DEP_1) | instskip(NEXT) | instid1(VALU_DEP_1)
	v_ldexp_f64 v[12:13], v[4:5], 0xffffffe0
	v_floor_f64_e32 v[12:13], v[12:13]
	s_delay_alu instid0(VALU_DEP_1) | instskip(SKIP_1) | instid1(VALU_DEP_2)
	v_fmamk_f64 v[14:15], v[12:13], 0xc1f00000, v[4:5]
	v_cvt_i32_f64_e32 v5, v[12:13]
	v_cvt_u32_f64_e32 v4, v[14:15]
	s_branch .LBB62_5347
.LBB62_5343:
	s_mov_b32 s2, -1
                                        ; implicit-def: $vgpr4_vgpr5
	s_branch .LBB62_5365
.LBB62_5344:
	s_mov_b32 s2, -1
                                        ; implicit-def: $vgpr4_vgpr5
	s_branch .LBB62_5353
.LBB62_5345:
	s_mov_b32 s2, -1
                                        ; implicit-def: $vgpr4_vgpr5
	s_branch .LBB62_5350
.LBB62_5346:
	s_mov_b32 s2, -1
                                        ; implicit-def: $vgpr4_vgpr5
.LBB62_5347:
	s_delay_alu instid0(SALU_CYCLE_1)
	s_and_not1_b32 vcc_lo, exec_lo, s2
	s_cbranch_vccnz .LBB62_5349
; %bb.5348:
	s_wait_loadcnt 0x0
	global_load_b32 v4, v[10:11], off
	s_wait_loadcnt 0x0
	v_trunc_f32_e32 v4, v4
	s_delay_alu instid0(VALU_DEP_1) | instskip(NEXT) | instid1(VALU_DEP_1)
	v_mul_f32_e64 v5, 0x2f800000, |v4|
	v_floor_f32_e32 v5, v5
	s_delay_alu instid0(VALU_DEP_1) | instskip(SKIP_2) | instid1(VALU_DEP_3)
	v_fma_f32 v7, 0xcf800000, v5, |v4|
	v_ashrrev_i32_e32 v4, 31, v4
	v_cvt_u32_f32_e32 v9, v5
	v_cvt_u32_f32_e32 v7, v7
	s_delay_alu instid0(VALU_DEP_2) | instskip(NEXT) | instid1(VALU_DEP_2)
	v_dual_mov_b32 v5, v4 :: v_dual_bitop2_b32 v13, v9, v4 bitop3:0x14
	v_xor_b32_e32 v12, v7, v4
	s_delay_alu instid0(VALU_DEP_1)
	v_sub_nc_u64_e32 v[4:5], v[12:13], v[4:5]
.LBB62_5349:
	s_mov_b32 s2, 0
.LBB62_5350:
	s_delay_alu instid0(SALU_CYCLE_1)
	s_and_not1_b32 vcc_lo, exec_lo, s2
	s_cbranch_vccnz .LBB62_5352
; %bb.5351:
	s_wait_loadcnt 0x0
	global_load_b32 v4, v[10:11], off
	s_wait_loadcnt 0x0
	v_cvt_f32_f16_e32 v4, v4
	s_delay_alu instid0(VALU_DEP_1) | instskip(NEXT) | instid1(VALU_DEP_1)
	v_cvt_i32_f32_e32 v4, v4
	v_ashrrev_i32_e32 v5, 31, v4
.LBB62_5352:
	s_mov_b32 s2, 0
.LBB62_5353:
	s_delay_alu instid0(SALU_CYCLE_1)
	s_and_not1_b32 vcc_lo, exec_lo, s2
	s_cbranch_vccnz .LBB62_5364
; %bb.5354:
	s_cmp_lt_i32 s0, 6
	s_cbranch_scc1 .LBB62_5357
; %bb.5355:
	s_cmp_gt_i32 s0, 6
	s_cbranch_scc0 .LBB62_5358
; %bb.5356:
	s_wait_loadcnt 0x0
	global_load_b64 v[4:5], v[10:11], off
	s_mov_b32 s2, 0
	s_wait_loadcnt 0x0
	v_trunc_f64_e32 v[4:5], v[4:5]
	s_delay_alu instid0(VALU_DEP_1) | instskip(NEXT) | instid1(VALU_DEP_1)
	v_ldexp_f64 v[12:13], v[4:5], 0xffffffe0
	v_floor_f64_e32 v[12:13], v[12:13]
	s_delay_alu instid0(VALU_DEP_1) | instskip(SKIP_1) | instid1(VALU_DEP_2)
	v_fmamk_f64 v[14:15], v[12:13], 0xc1f00000, v[4:5]
	v_cvt_i32_f64_e32 v5, v[12:13]
	v_cvt_u32_f64_e32 v4, v[14:15]
	s_branch .LBB62_5359
.LBB62_5357:
	s_mov_b32 s2, -1
                                        ; implicit-def: $vgpr4_vgpr5
	s_branch .LBB62_5362
.LBB62_5358:
	s_mov_b32 s2, -1
                                        ; implicit-def: $vgpr4_vgpr5
.LBB62_5359:
	s_delay_alu instid0(SALU_CYCLE_1)
	s_and_not1_b32 vcc_lo, exec_lo, s2
	s_cbranch_vccnz .LBB62_5361
; %bb.5360:
	s_wait_loadcnt 0x0
	global_load_b32 v4, v[10:11], off
	s_wait_loadcnt 0x0
	v_trunc_f32_e32 v4, v4
	s_delay_alu instid0(VALU_DEP_1) | instskip(NEXT) | instid1(VALU_DEP_1)
	v_mul_f32_e64 v5, 0x2f800000, |v4|
	v_floor_f32_e32 v5, v5
	s_delay_alu instid0(VALU_DEP_1) | instskip(SKIP_2) | instid1(VALU_DEP_3)
	v_fma_f32 v7, 0xcf800000, v5, |v4|
	v_ashrrev_i32_e32 v4, 31, v4
	v_cvt_u32_f32_e32 v9, v5
	v_cvt_u32_f32_e32 v7, v7
	s_delay_alu instid0(VALU_DEP_2) | instskip(NEXT) | instid1(VALU_DEP_2)
	v_dual_mov_b32 v5, v4 :: v_dual_bitop2_b32 v13, v9, v4 bitop3:0x14
	v_xor_b32_e32 v12, v7, v4
	s_delay_alu instid0(VALU_DEP_1)
	v_sub_nc_u64_e32 v[4:5], v[12:13], v[4:5]
.LBB62_5361:
	s_mov_b32 s2, 0
.LBB62_5362:
	s_delay_alu instid0(SALU_CYCLE_1)
	s_and_not1_b32 vcc_lo, exec_lo, s2
	s_cbranch_vccnz .LBB62_5364
; %bb.5363:
	s_wait_loadcnt 0x0
	global_load_u16 v4, v[10:11], off
	s_wait_loadcnt 0x0
	v_cvt_f32_f16_e32 v4, v4
	s_delay_alu instid0(VALU_DEP_1) | instskip(NEXT) | instid1(VALU_DEP_1)
	v_cvt_i32_f32_e32 v4, v4
	v_ashrrev_i32_e32 v5, 31, v4
.LBB62_5364:
	s_mov_b32 s2, 0
.LBB62_5365:
	s_delay_alu instid0(SALU_CYCLE_1)
	s_and_not1_b32 vcc_lo, exec_lo, s2
	s_cbranch_vccnz .LBB62_5385
; %bb.5366:
	s_cmp_lt_i32 s0, 2
	s_cbranch_scc1 .LBB62_5370
; %bb.5367:
	s_cmp_lt_i32 s0, 3
	s_cbranch_scc1 .LBB62_5371
; %bb.5368:
	s_cmp_gt_i32 s0, 3
	s_cbranch_scc0 .LBB62_5372
; %bb.5369:
	s_wait_loadcnt 0x0
	global_load_b64 v[4:5], v[10:11], off
	s_mov_b32 s2, 0
	s_branch .LBB62_5373
.LBB62_5370:
	s_mov_b32 s2, -1
                                        ; implicit-def: $vgpr4_vgpr5
	s_branch .LBB62_5379
.LBB62_5371:
	s_mov_b32 s2, -1
                                        ; implicit-def: $vgpr4_vgpr5
	s_branch .LBB62_5376
.LBB62_5372:
	s_mov_b32 s2, -1
                                        ; implicit-def: $vgpr4_vgpr5
.LBB62_5373:
	s_delay_alu instid0(SALU_CYCLE_1)
	s_and_not1_b32 vcc_lo, exec_lo, s2
	s_cbranch_vccnz .LBB62_5375
; %bb.5374:
	s_wait_loadcnt 0x0
	global_load_b32 v4, v[10:11], off
	s_wait_loadcnt 0x0
	v_ashrrev_i32_e32 v5, 31, v4
.LBB62_5375:
	s_mov_b32 s2, 0
.LBB62_5376:
	s_delay_alu instid0(SALU_CYCLE_1)
	s_and_not1_b32 vcc_lo, exec_lo, s2
	s_cbranch_vccnz .LBB62_5378
; %bb.5377:
	s_wait_loadcnt 0x0
	global_load_u16 v4, v[10:11], off
	s_wait_loadcnt 0x0
	v_bfe_i32 v4, v4, 0, 16
	s_delay_alu instid0(VALU_DEP_1)
	v_ashrrev_i32_e32 v5, 31, v4
.LBB62_5378:
	s_mov_b32 s2, 0
.LBB62_5379:
	s_delay_alu instid0(SALU_CYCLE_1)
	s_and_not1_b32 vcc_lo, exec_lo, s2
	s_cbranch_vccnz .LBB62_5385
; %bb.5380:
	s_cmp_gt_i32 s0, 0
	s_mov_b32 s0, 0
	s_cbranch_scc0 .LBB62_5382
; %bb.5381:
	s_wait_loadcnt 0x0
	global_load_i8 v4, v[10:11], off
	s_wait_loadcnt 0x0
	v_bfe_i32 v4, v4, 0, 16
	s_delay_alu instid0(VALU_DEP_1)
	v_ashrrev_i32_e32 v5, 31, v4
	s_branch .LBB62_5383
.LBB62_5382:
	s_mov_b32 s0, -1
                                        ; implicit-def: $vgpr4_vgpr5
.LBB62_5383:
	s_delay_alu instid0(SALU_CYCLE_1)
	s_and_not1_b32 vcc_lo, exec_lo, s0
	s_cbranch_vccnz .LBB62_5385
; %bb.5384:
	s_wait_loadcnt 0x0
	global_load_u8 v4, v[10:11], off
	s_mov_b32 s0, 0
	s_delay_alu instid0(SALU_CYCLE_1)
	v_mov_b32_e32 v5, s0
	s_wait_loadcnt 0x0
	v_and_b32_e32 v4, 0xffff, v4
.LBB62_5385:
	s_mov_b32 s6, -1
.LBB62_5386:
	s_delay_alu instid0(SALU_CYCLE_1)
	s_and_not1_b32 vcc_lo, exec_lo, s6
	s_cbranch_vccnz .LBB62_5650
; %bb.5387:
	v_add_nc_u32_e32 v6, s72, v6
	s_cmp_lt_i32 s60, 11
	s_delay_alu instid0(VALU_DEP_1) | instskip(SKIP_1) | instid1(VALU_DEP_1)
	v_ashrrev_i32_e32 v7, 31, v6
	s_wait_xcnt 0x0
	v_add_nc_u64_e32 v[10:11], s[12:13], v[6:7]
	s_cbranch_scc1 .LBB62_5394
; %bb.5388:
	s_and_b32 s0, 0xffff, s60
	s_mov_b32 s3, 0
	s_cmp_gt_i32 s0, 25
	s_cbranch_scc0 .LBB62_5395
; %bb.5389:
	s_cmp_gt_i32 s0, 28
	s_cbranch_scc0 .LBB62_5396
; %bb.5390:
	;; [unrolled: 3-line block ×4, first 2 shown]
	s_cmp_eq_u32 s0, 46
	s_mov_b32 s7, 0
	s_cbranch_scc0 .LBB62_5401
; %bb.5393:
	global_load_b32 v6, v[10:11], off
	s_mov_b32 s2, 0
	s_mov_b32 s6, -1
	s_wait_loadcnt 0x0
	v_lshlrev_b32_e32 v6, 16, v6
	s_delay_alu instid0(VALU_DEP_1) | instskip(NEXT) | instid1(VALU_DEP_1)
	v_trunc_f32_e32 v6, v6
	v_mul_f32_e64 v7, 0x2f800000, |v6|
	s_delay_alu instid0(VALU_DEP_1) | instskip(NEXT) | instid1(VALU_DEP_1)
	v_floor_f32_e32 v7, v7
	v_fma_f32 v9, 0xcf800000, v7, |v6|
	v_ashrrev_i32_e32 v6, 31, v6
	v_cvt_u32_f32_e32 v12, v7
	s_delay_alu instid0(VALU_DEP_3) | instskip(NEXT) | instid1(VALU_DEP_2)
	v_cvt_u32_f32_e32 v9, v9
	v_dual_mov_b32 v7, v6 :: v_dual_bitop2_b32 v13, v12, v6 bitop3:0x14
	s_delay_alu instid0(VALU_DEP_2) | instskip(NEXT) | instid1(VALU_DEP_1)
	v_xor_b32_e32 v12, v9, v6
	v_sub_nc_u64_e32 v[6:7], v[12:13], v[6:7]
	s_branch .LBB62_5403
.LBB62_5394:
	s_mov_b32 s0, -1
	s_mov_b32 s6, 0
                                        ; implicit-def: $vgpr6_vgpr7
	s_branch .LBB62_5465
.LBB62_5395:
	s_mov_b32 s7, -1
	s_mov_b32 s6, 0
	s_mov_b32 s2, 0
                                        ; implicit-def: $vgpr6_vgpr7
	s_branch .LBB62_5430
.LBB62_5396:
	s_mov_b32 s7, -1
	s_mov_b32 s6, 0
	s_mov_b32 s2, 0
                                        ; implicit-def: $vgpr6_vgpr7
	s_branch .LBB62_5413
.LBB62_5397:
	s_mov_b32 s7, -1
	s_mov_b32 s6, 0
	s_mov_b32 s2, 0
                                        ; implicit-def: $vgpr6_vgpr7
	s_branch .LBB62_5408
.LBB62_5398:
	s_or_b32 s19, s19, exec_lo
	s_trap 2
	s_cbranch_execz .LBB62_5335
	s_branch .LBB62_5336
.LBB62_5399:
	s_mov_b32 s7, -1
	s_mov_b32 s6, 0
	s_mov_b32 s2, 0
	s_branch .LBB62_5402
.LBB62_5400:
	s_or_b32 s77, s75, exec_lo
	s_trap 2
                                        ; implicit-def: $vgpr0
                                        ; implicit-def: $vgpr2
                                        ; implicit-def: $vgpr4
                                        ; implicit-def: $vgpr14_vgpr15
                                        ; implicit-def: $vgpr6
                                        ; implicit-def: $vgpr16_vgpr17
                                        ; implicit-def: $vgpr8
                                        ; implicit-def: $vgpr20_vgpr21
                                        ; implicit-def: $vgpr23
                                        ; implicit-def: $vgpr22
	s_branch .LBB62_4981
.LBB62_5401:
	s_mov_b32 s2, -1
	s_mov_b32 s6, 0
.LBB62_5402:
                                        ; implicit-def: $vgpr6_vgpr7
.LBB62_5403:
	s_and_b32 vcc_lo, exec_lo, s7
	s_cbranch_vccz .LBB62_5407
; %bb.5404:
	s_cmp_eq_u32 s0, 44
	s_cbranch_scc0 .LBB62_5406
; %bb.5405:
	global_load_u8 v9, v[10:11], off
	s_mov_b32 s2, 0
	s_mov_b32 s6, -1
	s_wait_loadcnt 0x0
	v_cmp_ne_u32_e32 vcc_lo, 0, v9
	v_lshlrev_b32_e32 v6, 23, v9
	s_delay_alu instid0(VALU_DEP_1) | instskip(NEXT) | instid1(VALU_DEP_1)
	v_trunc_f32_e32 v6, v6
	v_mul_f32_e64 v7, 0x2f800000, |v6|
	s_delay_alu instid0(VALU_DEP_1) | instskip(NEXT) | instid1(VALU_DEP_1)
	v_floor_f32_e32 v7, v7
	v_fma_f32 v12, 0xcf800000, v7, |v6|
	v_ashrrev_i32_e32 v6, 31, v6
	v_cvt_u32_f32_e32 v13, v7
	s_delay_alu instid0(VALU_DEP_3) | instskip(NEXT) | instid1(VALU_DEP_2)
	v_cvt_u32_f32_e32 v12, v12
	v_dual_mov_b32 v7, v6 :: v_dual_bitop2_b32 v13, v13, v6 bitop3:0x14
	s_delay_alu instid0(VALU_DEP_2) | instskip(NEXT) | instid1(VALU_DEP_1)
	v_xor_b32_e32 v12, v12, v6
	v_sub_nc_u64_e32 v[6:7], v[12:13], v[6:7]
	s_delay_alu instid0(VALU_DEP_1)
	v_dual_cndmask_b32 v7, 0, v7 :: v_dual_cndmask_b32 v6, 0, v6
	s_branch .LBB62_5407
.LBB62_5406:
	s_mov_b32 s2, -1
                                        ; implicit-def: $vgpr6_vgpr7
.LBB62_5407:
	s_mov_b32 s7, 0
.LBB62_5408:
	s_delay_alu instid0(SALU_CYCLE_1)
	s_and_b32 vcc_lo, exec_lo, s7
	s_cbranch_vccz .LBB62_5412
; %bb.5409:
	s_cmp_eq_u32 s0, 29
	s_cbranch_scc0 .LBB62_5411
; %bb.5410:
	global_load_b64 v[6:7], v[10:11], off
	s_mov_b32 s2, 0
	s_mov_b32 s6, -1
	s_branch .LBB62_5412
.LBB62_5411:
	s_mov_b32 s2, -1
                                        ; implicit-def: $vgpr6_vgpr7
.LBB62_5412:
	s_mov_b32 s7, 0
.LBB62_5413:
	s_delay_alu instid0(SALU_CYCLE_1)
	s_and_b32 vcc_lo, exec_lo, s7
	s_cbranch_vccz .LBB62_5429
; %bb.5414:
	s_cmp_lt_i32 s0, 27
	s_cbranch_scc1 .LBB62_5417
; %bb.5415:
	s_cmp_gt_i32 s0, 27
	s_cbranch_scc0 .LBB62_5418
; %bb.5416:
	s_wait_loadcnt 0x0
	global_load_b32 v6, v[10:11], off
	v_mov_b32_e32 v7, 0
	s_mov_b32 s6, 0
	s_branch .LBB62_5419
.LBB62_5417:
	s_mov_b32 s6, -1
                                        ; implicit-def: $vgpr6_vgpr7
	s_branch .LBB62_5422
.LBB62_5418:
	s_mov_b32 s6, -1
                                        ; implicit-def: $vgpr6_vgpr7
.LBB62_5419:
	s_delay_alu instid0(SALU_CYCLE_1)
	s_and_not1_b32 vcc_lo, exec_lo, s6
	s_cbranch_vccnz .LBB62_5421
; %bb.5420:
	s_wait_loadcnt 0x0
	global_load_u16 v6, v[10:11], off
	s_mov_b32 s6, 0
	s_delay_alu instid0(SALU_CYCLE_1)
	v_mov_b32_e32 v7, s6
	s_wait_loadcnt 0x0
	v_and_b32_e32 v6, 0xffff, v6
.LBB62_5421:
	s_mov_b32 s6, 0
.LBB62_5422:
	s_delay_alu instid0(SALU_CYCLE_1)
	s_and_not1_b32 vcc_lo, exec_lo, s6
	s_cbranch_vccnz .LBB62_5428
; %bb.5423:
	global_load_u8 v9, v[10:11], off
	s_mov_b32 s7, 0
	s_mov_b32 s6, exec_lo
	s_wait_loadcnt 0x0
	v_cmpx_lt_i16_e32 0x7f, v9
	s_xor_b32 s6, exec_lo, s6
	s_cbranch_execz .LBB62_5440
; %bb.5424:
	v_cmp_ne_u16_e32 vcc_lo, 0x80, v9
	s_and_b32 s7, vcc_lo, exec_lo
	s_and_not1_saveexec_b32 s6, s6
	s_cbranch_execnz .LBB62_5441
.LBB62_5425:
	s_or_b32 exec_lo, exec_lo, s6
	v_mov_b64_e32 v[6:7], 0
	s_and_saveexec_b32 s6, s7
	s_cbranch_execz .LBB62_5427
.LBB62_5426:
	v_and_b32_e32 v6, 0xffff, v9
	s_delay_alu instid0(VALU_DEP_1) | instskip(SKIP_1) | instid1(VALU_DEP_2)
	v_and_b32_e32 v7, 7, v6
	v_bfe_u32 v14, v6, 3, 4
	v_clz_i32_u32_e32 v12, v7
	s_delay_alu instid0(VALU_DEP_2) | instskip(NEXT) | instid1(VALU_DEP_2)
	v_cmp_eq_u32_e32 vcc_lo, 0, v14
	v_min_u32_e32 v12, 32, v12
	s_delay_alu instid0(VALU_DEP_1) | instskip(NEXT) | instid1(VALU_DEP_1)
	v_subrev_nc_u32_e32 v13, 28, v12
	v_dual_lshlrev_b32 v6, v13, v6 :: v_dual_sub_nc_u32 v12, 29, v12
	s_delay_alu instid0(VALU_DEP_1) | instskip(NEXT) | instid1(VALU_DEP_1)
	v_dual_lshlrev_b32 v9, 24, v9 :: v_dual_bitop2_b32 v6, 7, v6 bitop3:0x40
	v_dual_cndmask_b32 v12, v14, v12, vcc_lo :: v_dual_cndmask_b32 v6, v7, v6, vcc_lo
	s_delay_alu instid0(VALU_DEP_2) | instskip(NEXT) | instid1(VALU_DEP_2)
	v_and_b32_e32 v7, 0x80000000, v9
	v_lshl_add_u32 v9, v12, 23, 0x3b800000
	s_delay_alu instid0(VALU_DEP_3) | instskip(NEXT) | instid1(VALU_DEP_1)
	v_lshlrev_b32_e32 v6, 20, v6
	v_or3_b32 v6, v7, v9, v6
	s_delay_alu instid0(VALU_DEP_1) | instskip(NEXT) | instid1(VALU_DEP_1)
	v_trunc_f32_e32 v6, v6
	v_mul_f32_e64 v7, 0x2f800000, |v6|
	s_delay_alu instid0(VALU_DEP_1) | instskip(NEXT) | instid1(VALU_DEP_1)
	v_floor_f32_e32 v7, v7
	v_fma_f32 v9, 0xcf800000, v7, |v6|
	v_ashrrev_i32_e32 v6, 31, v6
	v_cvt_u32_f32_e32 v12, v7
	s_delay_alu instid0(VALU_DEP_3) | instskip(NEXT) | instid1(VALU_DEP_2)
	v_cvt_u32_f32_e32 v9, v9
	v_dual_mov_b32 v7, v6 :: v_dual_bitop2_b32 v13, v12, v6 bitop3:0x14
	s_delay_alu instid0(VALU_DEP_2) | instskip(NEXT) | instid1(VALU_DEP_1)
	v_xor_b32_e32 v12, v9, v6
	v_sub_nc_u64_e32 v[6:7], v[12:13], v[6:7]
.LBB62_5427:
	s_or_b32 exec_lo, exec_lo, s6
.LBB62_5428:
	s_mov_b32 s6, -1
.LBB62_5429:
	s_mov_b32 s7, 0
.LBB62_5430:
	s_delay_alu instid0(SALU_CYCLE_1)
	s_and_b32 vcc_lo, exec_lo, s7
	s_cbranch_vccz .LBB62_5461
; %bb.5431:
	s_cmp_gt_i32 s0, 22
	s_cbranch_scc0 .LBB62_5439
; %bb.5432:
	s_cmp_lt_i32 s0, 24
	s_cbranch_scc1 .LBB62_5442
; %bb.5433:
	s_cmp_gt_i32 s0, 24
	s_cbranch_scc0 .LBB62_5443
; %bb.5434:
	global_load_u8 v9, v[10:11], off
	s_mov_b32 s6, 0
	s_mov_b32 s3, exec_lo
	s_wait_loadcnt 0x0
	v_cmpx_lt_i16_e32 0x7f, v9
	s_xor_b32 s3, exec_lo, s3
	s_cbranch_execz .LBB62_5455
; %bb.5435:
	v_cmp_ne_u16_e32 vcc_lo, 0x80, v9
	s_and_b32 s6, vcc_lo, exec_lo
	s_and_not1_saveexec_b32 s3, s3
	s_cbranch_execnz .LBB62_5456
.LBB62_5436:
	s_or_b32 exec_lo, exec_lo, s3
	v_mov_b64_e32 v[6:7], 0
	s_and_saveexec_b32 s3, s6
	s_cbranch_execz .LBB62_5438
.LBB62_5437:
	v_and_b32_e32 v6, 0xffff, v9
	s_delay_alu instid0(VALU_DEP_1) | instskip(SKIP_1) | instid1(VALU_DEP_2)
	v_and_b32_e32 v7, 3, v6
	v_bfe_u32 v14, v6, 2, 5
	v_clz_i32_u32_e32 v12, v7
	s_delay_alu instid0(VALU_DEP_2) | instskip(NEXT) | instid1(VALU_DEP_2)
	v_cmp_eq_u32_e32 vcc_lo, 0, v14
	v_min_u32_e32 v12, 32, v12
	s_delay_alu instid0(VALU_DEP_1) | instskip(NEXT) | instid1(VALU_DEP_1)
	v_subrev_nc_u32_e32 v13, 29, v12
	v_dual_lshlrev_b32 v6, v13, v6 :: v_dual_sub_nc_u32 v12, 30, v12
	s_delay_alu instid0(VALU_DEP_1) | instskip(NEXT) | instid1(VALU_DEP_1)
	v_dual_lshlrev_b32 v9, 24, v9 :: v_dual_bitop2_b32 v6, 3, v6 bitop3:0x40
	v_dual_cndmask_b32 v12, v14, v12, vcc_lo :: v_dual_cndmask_b32 v6, v7, v6, vcc_lo
	s_delay_alu instid0(VALU_DEP_2) | instskip(NEXT) | instid1(VALU_DEP_2)
	v_and_b32_e32 v7, 0x80000000, v9
	v_lshl_add_u32 v9, v12, 23, 0x37800000
	s_delay_alu instid0(VALU_DEP_3) | instskip(NEXT) | instid1(VALU_DEP_1)
	v_lshlrev_b32_e32 v6, 21, v6
	v_or3_b32 v6, v7, v9, v6
	s_delay_alu instid0(VALU_DEP_1) | instskip(NEXT) | instid1(VALU_DEP_1)
	v_trunc_f32_e32 v6, v6
	v_mul_f32_e64 v7, 0x2f800000, |v6|
	s_delay_alu instid0(VALU_DEP_1) | instskip(NEXT) | instid1(VALU_DEP_1)
	v_floor_f32_e32 v7, v7
	v_fma_f32 v9, 0xcf800000, v7, |v6|
	v_ashrrev_i32_e32 v6, 31, v6
	v_cvt_u32_f32_e32 v12, v7
	s_delay_alu instid0(VALU_DEP_3) | instskip(NEXT) | instid1(VALU_DEP_2)
	v_cvt_u32_f32_e32 v9, v9
	v_dual_mov_b32 v7, v6 :: v_dual_bitop2_b32 v13, v12, v6 bitop3:0x14
	s_delay_alu instid0(VALU_DEP_2) | instskip(NEXT) | instid1(VALU_DEP_1)
	v_xor_b32_e32 v12, v9, v6
	v_sub_nc_u64_e32 v[6:7], v[12:13], v[6:7]
.LBB62_5438:
	s_or_b32 exec_lo, exec_lo, s3
	s_mov_b32 s3, 0
	s_branch .LBB62_5444
.LBB62_5439:
	s_mov_b32 s3, -1
                                        ; implicit-def: $vgpr6_vgpr7
	s_branch .LBB62_5450
.LBB62_5440:
	s_and_not1_saveexec_b32 s6, s6
	s_cbranch_execz .LBB62_5425
.LBB62_5441:
	v_cmp_ne_u16_e32 vcc_lo, 0, v9
	s_and_not1_b32 s7, s7, exec_lo
	s_and_b32 s8, vcc_lo, exec_lo
	s_delay_alu instid0(SALU_CYCLE_1)
	s_or_b32 s7, s7, s8
	s_or_b32 exec_lo, exec_lo, s6
	v_mov_b64_e32 v[6:7], 0
	s_and_saveexec_b32 s6, s7
	s_cbranch_execnz .LBB62_5426
	s_branch .LBB62_5427
.LBB62_5442:
	s_mov_b32 s3, -1
                                        ; implicit-def: $vgpr6_vgpr7
	s_branch .LBB62_5447
.LBB62_5443:
	s_mov_b32 s3, -1
                                        ; implicit-def: $vgpr6_vgpr7
.LBB62_5444:
	s_delay_alu instid0(SALU_CYCLE_1)
	s_and_b32 vcc_lo, exec_lo, s3
	s_cbranch_vccz .LBB62_5446
; %bb.5445:
	s_wait_loadcnt 0x0
	global_load_u8 v6, v[10:11], off
	s_wait_loadcnt 0x0
	v_lshlrev_b32_e32 v6, 24, v6
	s_delay_alu instid0(VALU_DEP_1) | instskip(NEXT) | instid1(VALU_DEP_1)
	v_and_b32_e32 v7, 0x7f000000, v6
	v_clz_i32_u32_e32 v9, v7
	v_add_nc_u32_e32 v13, 0x1000000, v7
	v_cmp_ne_u32_e32 vcc_lo, 0, v7
	s_delay_alu instid0(VALU_DEP_3) | instskip(NEXT) | instid1(VALU_DEP_1)
	v_min_u32_e32 v9, 32, v9
	v_sub_nc_u32_e64 v9, v9, 4 clamp
	s_delay_alu instid0(VALU_DEP_1) | instskip(NEXT) | instid1(VALU_DEP_1)
	v_dual_lshlrev_b32 v12, v9, v7 :: v_dual_lshlrev_b32 v9, 23, v9
	v_lshrrev_b32_e32 v12, 4, v12
	s_delay_alu instid0(VALU_DEP_1) | instskip(SKIP_1) | instid1(VALU_DEP_2)
	v_sub_nc_u32_e32 v9, v12, v9
	v_ashrrev_i32_e32 v12, 8, v13
	v_add_nc_u32_e32 v9, 0x3c000000, v9
	s_delay_alu instid0(VALU_DEP_1) | instskip(NEXT) | instid1(VALU_DEP_1)
	v_and_or_b32 v9, 0x7f800000, v12, v9
	v_cndmask_b32_e32 v7, 0, v9, vcc_lo
	s_delay_alu instid0(VALU_DEP_1) | instskip(NEXT) | instid1(VALU_DEP_1)
	v_and_or_b32 v6, 0x80000000, v6, v7
	v_trunc_f32_e32 v6, v6
	s_delay_alu instid0(VALU_DEP_1) | instskip(NEXT) | instid1(VALU_DEP_1)
	v_mul_f32_e64 v7, 0x2f800000, |v6|
	v_floor_f32_e32 v7, v7
	s_delay_alu instid0(VALU_DEP_1) | instskip(SKIP_2) | instid1(VALU_DEP_3)
	v_fma_f32 v9, 0xcf800000, v7, |v6|
	v_ashrrev_i32_e32 v6, 31, v6
	v_cvt_u32_f32_e32 v12, v7
	v_cvt_u32_f32_e32 v9, v9
	s_delay_alu instid0(VALU_DEP_2) | instskip(NEXT) | instid1(VALU_DEP_2)
	v_dual_mov_b32 v7, v6 :: v_dual_bitop2_b32 v13, v12, v6 bitop3:0x14
	v_xor_b32_e32 v12, v9, v6
	s_delay_alu instid0(VALU_DEP_1)
	v_sub_nc_u64_e32 v[6:7], v[12:13], v[6:7]
.LBB62_5446:
	s_mov_b32 s3, 0
.LBB62_5447:
	s_delay_alu instid0(SALU_CYCLE_1)
	s_and_not1_b32 vcc_lo, exec_lo, s3
	s_cbranch_vccnz .LBB62_5449
; %bb.5448:
	s_wait_loadcnt 0x0
	global_load_u8 v6, v[10:11], off
	s_wait_loadcnt 0x0
	v_lshlrev_b32_e32 v7, 25, v6
	v_lshlrev_b16 v6, 8, v6
	s_delay_alu instid0(VALU_DEP_1) | instskip(SKIP_1) | instid1(VALU_DEP_2)
	v_and_or_b32 v12, 0x7f00, v6, 0.5
	v_bfe_i32 v6, v6, 0, 16
	v_dual_add_f32 v12, -0.5, v12 :: v_dual_lshrrev_b32 v9, 4, v7
	v_cmp_gt_u32_e32 vcc_lo, 0x8000000, v7
	s_delay_alu instid0(VALU_DEP_2) | instskip(NEXT) | instid1(VALU_DEP_1)
	v_or_b32_e32 v9, 0x70000000, v9
	v_mul_f32_e32 v9, 0x7800000, v9
	s_delay_alu instid0(VALU_DEP_1) | instskip(NEXT) | instid1(VALU_DEP_1)
	v_cndmask_b32_e32 v7, v9, v12, vcc_lo
	v_and_or_b32 v6, 0x80000000, v6, v7
	s_delay_alu instid0(VALU_DEP_1) | instskip(NEXT) | instid1(VALU_DEP_1)
	v_trunc_f32_e32 v6, v6
	v_mul_f32_e64 v7, 0x2f800000, |v6|
	s_delay_alu instid0(VALU_DEP_1) | instskip(NEXT) | instid1(VALU_DEP_1)
	v_floor_f32_e32 v7, v7
	v_fma_f32 v9, 0xcf800000, v7, |v6|
	v_ashrrev_i32_e32 v6, 31, v6
	v_cvt_u32_f32_e32 v12, v7
	s_delay_alu instid0(VALU_DEP_3) | instskip(NEXT) | instid1(VALU_DEP_2)
	v_cvt_u32_f32_e32 v9, v9
	v_dual_mov_b32 v7, v6 :: v_dual_bitop2_b32 v13, v12, v6 bitop3:0x14
	s_delay_alu instid0(VALU_DEP_2) | instskip(NEXT) | instid1(VALU_DEP_1)
	v_xor_b32_e32 v12, v9, v6
	v_sub_nc_u64_e32 v[6:7], v[12:13], v[6:7]
.LBB62_5449:
	s_mov_b32 s3, 0
	s_mov_b32 s6, -1
.LBB62_5450:
	s_and_not1_b32 vcc_lo, exec_lo, s3
	s_mov_b32 s3, 0
	s_cbranch_vccnz .LBB62_5461
; %bb.5451:
	s_cmp_gt_i32 s0, 14
	s_cbranch_scc0 .LBB62_5454
; %bb.5452:
	s_cmp_eq_u32 s0, 15
	s_cbranch_scc0 .LBB62_5457
; %bb.5453:
	s_wait_loadcnt 0x0
	global_load_u16 v6, v[10:11], off
	s_mov_b32 s2, 0
	s_mov_b32 s6, -1
	s_wait_loadcnt 0x0
	v_lshlrev_b32_e32 v6, 16, v6
	s_delay_alu instid0(VALU_DEP_1) | instskip(NEXT) | instid1(VALU_DEP_1)
	v_trunc_f32_e32 v6, v6
	v_mul_f32_e64 v7, 0x2f800000, |v6|
	s_delay_alu instid0(VALU_DEP_1) | instskip(NEXT) | instid1(VALU_DEP_1)
	v_floor_f32_e32 v7, v7
	v_fma_f32 v9, 0xcf800000, v7, |v6|
	v_ashrrev_i32_e32 v6, 31, v6
	v_cvt_u32_f32_e32 v12, v7
	s_delay_alu instid0(VALU_DEP_3) | instskip(NEXT) | instid1(VALU_DEP_2)
	v_cvt_u32_f32_e32 v9, v9
	v_dual_mov_b32 v7, v6 :: v_dual_bitop2_b32 v13, v12, v6 bitop3:0x14
	s_delay_alu instid0(VALU_DEP_2) | instskip(NEXT) | instid1(VALU_DEP_1)
	v_xor_b32_e32 v12, v9, v6
	v_sub_nc_u64_e32 v[6:7], v[12:13], v[6:7]
	s_branch .LBB62_5459
.LBB62_5454:
	s_mov_b32 s3, -1
	s_branch .LBB62_5458
.LBB62_5455:
	s_and_not1_saveexec_b32 s3, s3
	s_cbranch_execz .LBB62_5436
.LBB62_5456:
	v_cmp_ne_u16_e32 vcc_lo, 0, v9
	s_and_not1_b32 s6, s6, exec_lo
	s_and_b32 s7, vcc_lo, exec_lo
	s_delay_alu instid0(SALU_CYCLE_1)
	s_or_b32 s6, s6, s7
	s_or_b32 exec_lo, exec_lo, s3
	v_mov_b64_e32 v[6:7], 0
	s_and_saveexec_b32 s3, s6
	s_cbranch_execnz .LBB62_5437
	s_branch .LBB62_5438
.LBB62_5457:
	s_mov_b32 s2, -1
.LBB62_5458:
                                        ; implicit-def: $vgpr6_vgpr7
.LBB62_5459:
	s_and_b32 vcc_lo, exec_lo, s3
	s_mov_b32 s3, 0
	s_cbranch_vccz .LBB62_5461
; %bb.5460:
	s_cmp_lg_u32 s0, 11
	s_mov_b32 s3, -1
	s_cselect_b32 s2, -1, 0
.LBB62_5461:
	s_delay_alu instid0(SALU_CYCLE_1)
	s_and_b32 vcc_lo, exec_lo, s2
	s_cbranch_vccnz .LBB62_5526
; %bb.5462:
	s_and_not1_b32 vcc_lo, exec_lo, s3
	s_cbranch_vccnz .LBB62_5464
.LBB62_5463:
	s_wait_loadcnt 0x0
	global_load_u8 v6, v[10:11], off
	s_mov_b32 s0, 0
	s_mov_b32 s6, -1
	v_mov_b32_e32 v7, s0
	s_wait_loadcnt 0x0
	v_cmp_ne_u16_e32 vcc_lo, 0, v6
	v_cndmask_b32_e64 v6, 0, 1, vcc_lo
.LBB62_5464:
	s_mov_b32 s0, 0
.LBB62_5465:
	s_delay_alu instid0(SALU_CYCLE_1)
	s_and_b32 vcc_lo, exec_lo, s0
	s_cbranch_vccz .LBB62_5514
; %bb.5466:
	s_and_b32 s0, 0xffff, s60
	s_delay_alu instid0(SALU_CYCLE_1)
	s_cmp_lt_i32 s0, 5
	s_cbranch_scc1 .LBB62_5471
; %bb.5467:
	s_cmp_lt_i32 s0, 8
	s_cbranch_scc1 .LBB62_5472
; %bb.5468:
	;; [unrolled: 3-line block ×3, first 2 shown]
	s_cmp_gt_i32 s0, 9
	s_cbranch_scc0 .LBB62_5474
; %bb.5470:
	s_wait_loadcnt 0x0
	global_load_b64 v[6:7], v[10:11], off
	s_mov_b32 s2, 0
	s_wait_loadcnt 0x0
	v_trunc_f64_e32 v[6:7], v[6:7]
	s_delay_alu instid0(VALU_DEP_1) | instskip(NEXT) | instid1(VALU_DEP_1)
	v_ldexp_f64 v[12:13], v[6:7], 0xffffffe0
	v_floor_f64_e32 v[12:13], v[12:13]
	s_delay_alu instid0(VALU_DEP_1) | instskip(SKIP_1) | instid1(VALU_DEP_2)
	v_fmamk_f64 v[14:15], v[12:13], 0xc1f00000, v[6:7]
	v_cvt_i32_f64_e32 v7, v[12:13]
	v_cvt_u32_f64_e32 v6, v[14:15]
	s_branch .LBB62_5475
.LBB62_5471:
	s_mov_b32 s2, -1
                                        ; implicit-def: $vgpr6_vgpr7
	s_branch .LBB62_5493
.LBB62_5472:
	s_mov_b32 s2, -1
                                        ; implicit-def: $vgpr6_vgpr7
	s_branch .LBB62_5481
.LBB62_5473:
	s_mov_b32 s2, -1
                                        ; implicit-def: $vgpr6_vgpr7
	s_branch .LBB62_5478
.LBB62_5474:
	s_mov_b32 s2, -1
                                        ; implicit-def: $vgpr6_vgpr7
.LBB62_5475:
	s_delay_alu instid0(SALU_CYCLE_1)
	s_and_not1_b32 vcc_lo, exec_lo, s2
	s_cbranch_vccnz .LBB62_5477
; %bb.5476:
	s_wait_loadcnt 0x0
	global_load_b32 v6, v[10:11], off
	s_wait_loadcnt 0x0
	v_trunc_f32_e32 v6, v6
	s_delay_alu instid0(VALU_DEP_1) | instskip(NEXT) | instid1(VALU_DEP_1)
	v_mul_f32_e64 v7, 0x2f800000, |v6|
	v_floor_f32_e32 v7, v7
	s_delay_alu instid0(VALU_DEP_1) | instskip(SKIP_2) | instid1(VALU_DEP_3)
	v_fma_f32 v9, 0xcf800000, v7, |v6|
	v_ashrrev_i32_e32 v6, 31, v6
	v_cvt_u32_f32_e32 v12, v7
	v_cvt_u32_f32_e32 v9, v9
	s_delay_alu instid0(VALU_DEP_2) | instskip(NEXT) | instid1(VALU_DEP_2)
	v_dual_mov_b32 v7, v6 :: v_dual_bitop2_b32 v13, v12, v6 bitop3:0x14
	v_xor_b32_e32 v12, v9, v6
	s_delay_alu instid0(VALU_DEP_1)
	v_sub_nc_u64_e32 v[6:7], v[12:13], v[6:7]
.LBB62_5477:
	s_mov_b32 s2, 0
.LBB62_5478:
	s_delay_alu instid0(SALU_CYCLE_1)
	s_and_not1_b32 vcc_lo, exec_lo, s2
	s_cbranch_vccnz .LBB62_5480
; %bb.5479:
	s_wait_loadcnt 0x0
	global_load_b32 v6, v[10:11], off
	s_wait_loadcnt 0x0
	v_cvt_f32_f16_e32 v6, v6
	s_delay_alu instid0(VALU_DEP_1) | instskip(NEXT) | instid1(VALU_DEP_1)
	v_cvt_i32_f32_e32 v6, v6
	v_ashrrev_i32_e32 v7, 31, v6
.LBB62_5480:
	s_mov_b32 s2, 0
.LBB62_5481:
	s_delay_alu instid0(SALU_CYCLE_1)
	s_and_not1_b32 vcc_lo, exec_lo, s2
	s_cbranch_vccnz .LBB62_5492
; %bb.5482:
	s_cmp_lt_i32 s0, 6
	s_cbranch_scc1 .LBB62_5485
; %bb.5483:
	s_cmp_gt_i32 s0, 6
	s_cbranch_scc0 .LBB62_5486
; %bb.5484:
	s_wait_loadcnt 0x0
	global_load_b64 v[6:7], v[10:11], off
	s_mov_b32 s2, 0
	s_wait_loadcnt 0x0
	v_trunc_f64_e32 v[6:7], v[6:7]
	s_delay_alu instid0(VALU_DEP_1) | instskip(NEXT) | instid1(VALU_DEP_1)
	v_ldexp_f64 v[12:13], v[6:7], 0xffffffe0
	v_floor_f64_e32 v[12:13], v[12:13]
	s_delay_alu instid0(VALU_DEP_1) | instskip(SKIP_1) | instid1(VALU_DEP_2)
	v_fmamk_f64 v[14:15], v[12:13], 0xc1f00000, v[6:7]
	v_cvt_i32_f64_e32 v7, v[12:13]
	v_cvt_u32_f64_e32 v6, v[14:15]
	s_branch .LBB62_5487
.LBB62_5485:
	s_mov_b32 s2, -1
                                        ; implicit-def: $vgpr6_vgpr7
	s_branch .LBB62_5490
.LBB62_5486:
	s_mov_b32 s2, -1
                                        ; implicit-def: $vgpr6_vgpr7
.LBB62_5487:
	s_delay_alu instid0(SALU_CYCLE_1)
	s_and_not1_b32 vcc_lo, exec_lo, s2
	s_cbranch_vccnz .LBB62_5489
; %bb.5488:
	s_wait_loadcnt 0x0
	global_load_b32 v6, v[10:11], off
	s_wait_loadcnt 0x0
	v_trunc_f32_e32 v6, v6
	s_delay_alu instid0(VALU_DEP_1) | instskip(NEXT) | instid1(VALU_DEP_1)
	v_mul_f32_e64 v7, 0x2f800000, |v6|
	v_floor_f32_e32 v7, v7
	s_delay_alu instid0(VALU_DEP_1) | instskip(SKIP_2) | instid1(VALU_DEP_3)
	v_fma_f32 v9, 0xcf800000, v7, |v6|
	v_ashrrev_i32_e32 v6, 31, v6
	v_cvt_u32_f32_e32 v12, v7
	v_cvt_u32_f32_e32 v9, v9
	s_delay_alu instid0(VALU_DEP_2) | instskip(NEXT) | instid1(VALU_DEP_2)
	v_dual_mov_b32 v7, v6 :: v_dual_bitop2_b32 v13, v12, v6 bitop3:0x14
	v_xor_b32_e32 v12, v9, v6
	s_delay_alu instid0(VALU_DEP_1)
	v_sub_nc_u64_e32 v[6:7], v[12:13], v[6:7]
.LBB62_5489:
	s_mov_b32 s2, 0
.LBB62_5490:
	s_delay_alu instid0(SALU_CYCLE_1)
	s_and_not1_b32 vcc_lo, exec_lo, s2
	s_cbranch_vccnz .LBB62_5492
; %bb.5491:
	s_wait_loadcnt 0x0
	global_load_u16 v6, v[10:11], off
	s_wait_loadcnt 0x0
	v_cvt_f32_f16_e32 v6, v6
	s_delay_alu instid0(VALU_DEP_1) | instskip(NEXT) | instid1(VALU_DEP_1)
	v_cvt_i32_f32_e32 v6, v6
	v_ashrrev_i32_e32 v7, 31, v6
.LBB62_5492:
	s_mov_b32 s2, 0
.LBB62_5493:
	s_delay_alu instid0(SALU_CYCLE_1)
	s_and_not1_b32 vcc_lo, exec_lo, s2
	s_cbranch_vccnz .LBB62_5513
; %bb.5494:
	s_cmp_lt_i32 s0, 2
	s_cbranch_scc1 .LBB62_5498
; %bb.5495:
	s_cmp_lt_i32 s0, 3
	s_cbranch_scc1 .LBB62_5499
; %bb.5496:
	s_cmp_gt_i32 s0, 3
	s_cbranch_scc0 .LBB62_5500
; %bb.5497:
	s_wait_loadcnt 0x0
	global_load_b64 v[6:7], v[10:11], off
	s_mov_b32 s2, 0
	s_branch .LBB62_5501
.LBB62_5498:
	s_mov_b32 s2, -1
                                        ; implicit-def: $vgpr6_vgpr7
	s_branch .LBB62_5507
.LBB62_5499:
	s_mov_b32 s2, -1
                                        ; implicit-def: $vgpr6_vgpr7
	s_branch .LBB62_5504
.LBB62_5500:
	s_mov_b32 s2, -1
                                        ; implicit-def: $vgpr6_vgpr7
.LBB62_5501:
	s_delay_alu instid0(SALU_CYCLE_1)
	s_and_not1_b32 vcc_lo, exec_lo, s2
	s_cbranch_vccnz .LBB62_5503
; %bb.5502:
	s_wait_loadcnt 0x0
	global_load_b32 v6, v[10:11], off
	s_wait_loadcnt 0x0
	v_ashrrev_i32_e32 v7, 31, v6
.LBB62_5503:
	s_mov_b32 s2, 0
.LBB62_5504:
	s_delay_alu instid0(SALU_CYCLE_1)
	s_and_not1_b32 vcc_lo, exec_lo, s2
	s_cbranch_vccnz .LBB62_5506
; %bb.5505:
	s_wait_loadcnt 0x0
	global_load_u16 v6, v[10:11], off
	s_wait_loadcnt 0x0
	v_bfe_i32 v6, v6, 0, 16
	s_delay_alu instid0(VALU_DEP_1)
	v_ashrrev_i32_e32 v7, 31, v6
.LBB62_5506:
	s_mov_b32 s2, 0
.LBB62_5507:
	s_delay_alu instid0(SALU_CYCLE_1)
	s_and_not1_b32 vcc_lo, exec_lo, s2
	s_cbranch_vccnz .LBB62_5513
; %bb.5508:
	s_cmp_gt_i32 s0, 0
	s_mov_b32 s0, 0
	s_cbranch_scc0 .LBB62_5510
; %bb.5509:
	s_wait_loadcnt 0x0
	global_load_i8 v6, v[10:11], off
	s_wait_loadcnt 0x0
	v_bfe_i32 v6, v6, 0, 16
	s_delay_alu instid0(VALU_DEP_1)
	v_ashrrev_i32_e32 v7, 31, v6
	s_branch .LBB62_5511
.LBB62_5510:
	s_mov_b32 s0, -1
                                        ; implicit-def: $vgpr6_vgpr7
.LBB62_5511:
	s_delay_alu instid0(SALU_CYCLE_1)
	s_and_not1_b32 vcc_lo, exec_lo, s0
	s_cbranch_vccnz .LBB62_5513
; %bb.5512:
	s_wait_loadcnt 0x0
	global_load_u8 v6, v[10:11], off
	s_mov_b32 s0, 0
	s_delay_alu instid0(SALU_CYCLE_1)
	v_mov_b32_e32 v7, s0
	s_wait_loadcnt 0x0
	v_and_b32_e32 v6, 0xffff, v6
.LBB62_5513:
	s_mov_b32 s6, -1
.LBB62_5514:
	s_delay_alu instid0(SALU_CYCLE_1)
	s_and_not1_b32 vcc_lo, exec_lo, s6
	s_cbranch_vccnz .LBB62_5650
; %bb.5515:
	v_add_nc_u32_e32 v8, s73, v8
	s_cmp_lt_i32 s61, 11
	s_delay_alu instid0(VALU_DEP_1) | instskip(NEXT) | instid1(VALU_DEP_1)
	v_ashrrev_i32_e32 v9, 31, v8
	v_add_nc_u64_e32 v[8:9], s[14:15], v[8:9]
	s_cbranch_scc1 .LBB62_5522
; %bb.5516:
	s_and_b32 s0, 0xffff, s61
	s_mov_b32 s3, 0
	s_cmp_gt_i32 s0, 25
	s_cbranch_scc0 .LBB62_5523
; %bb.5517:
	s_cmp_gt_i32 s0, 28
	s_cbranch_scc0 .LBB62_5524
; %bb.5518:
	;; [unrolled: 3-line block ×4, first 2 shown]
	s_cmp_eq_u32 s0, 46
	s_mov_b32 s7, 0
	s_cbranch_scc0 .LBB62_5528
; %bb.5521:
	global_load_b32 v10, v[8:9], off
	s_mov_b32 s2, 0
	s_mov_b32 s6, -1
	s_wait_loadcnt 0x0
	v_lshlrev_b32_e32 v10, 16, v10
	s_delay_alu instid0(VALU_DEP_1) | instskip(NEXT) | instid1(VALU_DEP_1)
	v_trunc_f32_e32 v10, v10
	v_mul_f32_e64 v11, 0x2f800000, |v10|
	s_delay_alu instid0(VALU_DEP_1) | instskip(NEXT) | instid1(VALU_DEP_1)
	v_floor_f32_e32 v11, v11
	v_fma_f32 v12, 0xcf800000, v11, |v10|
	v_ashrrev_i32_e32 v10, 31, v10
	v_cvt_u32_f32_e32 v13, v11
	s_delay_alu instid0(VALU_DEP_3) | instskip(NEXT) | instid1(VALU_DEP_2)
	v_cvt_u32_f32_e32 v12, v12
	v_dual_mov_b32 v11, v10 :: v_dual_bitop2_b32 v13, v13, v10 bitop3:0x14
	s_delay_alu instid0(VALU_DEP_2) | instskip(NEXT) | instid1(VALU_DEP_1)
	v_xor_b32_e32 v12, v12, v10
	v_sub_nc_u64_e32 v[12:13], v[12:13], v[10:11]
	s_branch .LBB62_5530
.LBB62_5522:
	s_mov_b32 s0, -1
	s_mov_b32 s6, 0
                                        ; implicit-def: $vgpr12_vgpr13
	s_branch .LBB62_5592
.LBB62_5523:
	s_mov_b32 s7, -1
	s_mov_b32 s6, 0
	s_mov_b32 s2, 0
                                        ; implicit-def: $vgpr12_vgpr13
	s_branch .LBB62_5557
.LBB62_5524:
	s_mov_b32 s7, -1
	s_mov_b32 s6, 0
	s_mov_b32 s2, 0
                                        ; implicit-def: $vgpr12_vgpr13
	s_branch .LBB62_5540
.LBB62_5525:
	s_mov_b32 s7, -1
	s_mov_b32 s6, 0
	s_mov_b32 s2, 0
                                        ; implicit-def: $vgpr12_vgpr13
	s_branch .LBB62_5535
.LBB62_5526:
	s_or_b32 s19, s19, exec_lo
	s_trap 2
	s_cbranch_execz .LBB62_5463
	s_branch .LBB62_5464
.LBB62_5527:
	s_mov_b32 s7, -1
	s_mov_b32 s6, 0
	s_mov_b32 s2, 0
	s_branch .LBB62_5529
.LBB62_5528:
	s_mov_b32 s2, -1
	s_mov_b32 s6, 0
.LBB62_5529:
                                        ; implicit-def: $vgpr12_vgpr13
.LBB62_5530:
	s_and_b32 vcc_lo, exec_lo, s7
	s_cbranch_vccz .LBB62_5534
; %bb.5531:
	s_cmp_eq_u32 s0, 44
	s_cbranch_scc0 .LBB62_5533
; %bb.5532:
	global_load_u8 v14, v[8:9], off
	s_mov_b32 s2, 0
	s_mov_b32 s6, -1
	s_wait_loadcnt 0x0
	v_cmp_ne_u32_e32 vcc_lo, 0, v14
	s_wait_xcnt 0x1
	v_lshlrev_b32_e32 v10, 23, v14
	s_delay_alu instid0(VALU_DEP_1) | instskip(NEXT) | instid1(VALU_DEP_1)
	v_trunc_f32_e32 v10, v10
	v_mul_f32_e64 v11, 0x2f800000, |v10|
	s_delay_alu instid0(VALU_DEP_1) | instskip(NEXT) | instid1(VALU_DEP_1)
	v_floor_f32_e32 v11, v11
	v_fma_f32 v12, 0xcf800000, v11, |v10|
	v_ashrrev_i32_e32 v10, 31, v10
	v_cvt_u32_f32_e32 v13, v11
	s_delay_alu instid0(VALU_DEP_3) | instskip(NEXT) | instid1(VALU_DEP_2)
	v_cvt_u32_f32_e32 v12, v12
	v_dual_mov_b32 v11, v10 :: v_dual_bitop2_b32 v13, v13, v10 bitop3:0x14
	s_delay_alu instid0(VALU_DEP_2) | instskip(NEXT) | instid1(VALU_DEP_1)
	v_xor_b32_e32 v12, v12, v10
	v_sub_nc_u64_e32 v[10:11], v[12:13], v[10:11]
	s_delay_alu instid0(VALU_DEP_1)
	v_dual_cndmask_b32 v13, 0, v11 :: v_dual_cndmask_b32 v12, 0, v10
	s_branch .LBB62_5534
.LBB62_5533:
	s_mov_b32 s2, -1
                                        ; implicit-def: $vgpr12_vgpr13
.LBB62_5534:
	s_mov_b32 s7, 0
.LBB62_5535:
	s_delay_alu instid0(SALU_CYCLE_1)
	s_and_b32 vcc_lo, exec_lo, s7
	s_cbranch_vccz .LBB62_5539
; %bb.5536:
	s_cmp_eq_u32 s0, 29
	s_cbranch_scc0 .LBB62_5538
; %bb.5537:
	global_load_b64 v[12:13], v[8:9], off
	s_mov_b32 s2, 0
	s_mov_b32 s6, -1
	s_branch .LBB62_5539
.LBB62_5538:
	s_mov_b32 s2, -1
                                        ; implicit-def: $vgpr12_vgpr13
.LBB62_5539:
	s_mov_b32 s7, 0
.LBB62_5540:
	s_delay_alu instid0(SALU_CYCLE_1)
	s_and_b32 vcc_lo, exec_lo, s7
	s_cbranch_vccz .LBB62_5556
; %bb.5541:
	s_cmp_lt_i32 s0, 27
	s_cbranch_scc1 .LBB62_5544
; %bb.5542:
	s_cmp_gt_i32 s0, 27
	s_cbranch_scc0 .LBB62_5545
; %bb.5543:
	s_wait_loadcnt 0x0
	global_load_b32 v12, v[8:9], off
	v_mov_b32_e32 v13, 0
	s_mov_b32 s6, 0
	s_branch .LBB62_5546
.LBB62_5544:
	s_mov_b32 s6, -1
                                        ; implicit-def: $vgpr12_vgpr13
	s_branch .LBB62_5549
.LBB62_5545:
	s_mov_b32 s6, -1
                                        ; implicit-def: $vgpr12_vgpr13
.LBB62_5546:
	s_delay_alu instid0(SALU_CYCLE_1)
	s_and_not1_b32 vcc_lo, exec_lo, s6
	s_cbranch_vccnz .LBB62_5548
; %bb.5547:
	global_load_u16 v10, v[8:9], off
	s_mov_b32 s6, 0
	s_wait_loadcnt 0x1
	v_mov_b32_e32 v13, s6
	s_wait_loadcnt 0x0
	v_and_b32_e32 v12, 0xffff, v10
.LBB62_5548:
	s_mov_b32 s6, 0
.LBB62_5549:
	s_delay_alu instid0(SALU_CYCLE_1)
	s_and_not1_b32 vcc_lo, exec_lo, s6
	s_cbranch_vccnz .LBB62_5555
; %bb.5550:
	global_load_u8 v10, v[8:9], off
	s_mov_b32 s7, 0
	s_mov_b32 s6, exec_lo
	s_wait_loadcnt 0x0
	v_cmpx_lt_i16_e32 0x7f, v10
	s_xor_b32 s6, exec_lo, s6
	s_cbranch_execz .LBB62_5567
; %bb.5551:
	v_cmp_ne_u16_e32 vcc_lo, 0x80, v10
	s_and_b32 s7, vcc_lo, exec_lo
	s_and_not1_saveexec_b32 s6, s6
	s_cbranch_execnz .LBB62_5568
.LBB62_5552:
	s_or_b32 exec_lo, exec_lo, s6
	v_mov_b64_e32 v[12:13], 0
	s_and_saveexec_b32 s6, s7
	s_cbranch_execz .LBB62_5554
.LBB62_5553:
	v_and_b32_e32 v11, 0xffff, v10
	s_delay_alu instid0(VALU_DEP_1) | instskip(SKIP_1) | instid1(VALU_DEP_2)
	v_and_b32_e32 v12, 7, v11
	v_bfe_u32 v15, v11, 3, 4
	v_clz_i32_u32_e32 v13, v12
	s_delay_alu instid0(VALU_DEP_2) | instskip(NEXT) | instid1(VALU_DEP_2)
	v_cmp_eq_u32_e32 vcc_lo, 0, v15
	v_min_u32_e32 v13, 32, v13
	s_delay_alu instid0(VALU_DEP_1) | instskip(NEXT) | instid1(VALU_DEP_1)
	v_subrev_nc_u32_e32 v14, 28, v13
	v_dual_lshlrev_b32 v11, v14, v11 :: v_dual_sub_nc_u32 v13, 29, v13
	s_delay_alu instid0(VALU_DEP_1) | instskip(NEXT) | instid1(VALU_DEP_1)
	v_dual_lshlrev_b32 v10, 24, v10 :: v_dual_bitop2_b32 v11, 7, v11 bitop3:0x40
	v_dual_cndmask_b32 v13, v15, v13, vcc_lo :: v_dual_cndmask_b32 v11, v12, v11, vcc_lo
	s_delay_alu instid0(VALU_DEP_2) | instskip(NEXT) | instid1(VALU_DEP_2)
	v_and_b32_e32 v10, 0x80000000, v10
	v_lshl_add_u32 v12, v13, 23, 0x3b800000
	s_delay_alu instid0(VALU_DEP_3) | instskip(NEXT) | instid1(VALU_DEP_1)
	v_lshlrev_b32_e32 v11, 20, v11
	v_or3_b32 v10, v10, v12, v11
	s_delay_alu instid0(VALU_DEP_1) | instskip(NEXT) | instid1(VALU_DEP_1)
	v_trunc_f32_e32 v10, v10
	v_mul_f32_e64 v11, 0x2f800000, |v10|
	s_delay_alu instid0(VALU_DEP_1) | instskip(NEXT) | instid1(VALU_DEP_1)
	v_floor_f32_e32 v11, v11
	v_fma_f32 v12, 0xcf800000, v11, |v10|
	v_ashrrev_i32_e32 v10, 31, v10
	v_cvt_u32_f32_e32 v13, v11
	s_delay_alu instid0(VALU_DEP_3) | instskip(NEXT) | instid1(VALU_DEP_2)
	v_cvt_u32_f32_e32 v12, v12
	v_dual_mov_b32 v11, v10 :: v_dual_bitop2_b32 v13, v13, v10 bitop3:0x14
	s_delay_alu instid0(VALU_DEP_2) | instskip(NEXT) | instid1(VALU_DEP_1)
	v_xor_b32_e32 v12, v12, v10
	v_sub_nc_u64_e32 v[12:13], v[12:13], v[10:11]
.LBB62_5554:
	s_or_b32 exec_lo, exec_lo, s6
.LBB62_5555:
	s_mov_b32 s6, -1
.LBB62_5556:
	s_mov_b32 s7, 0
.LBB62_5557:
	s_delay_alu instid0(SALU_CYCLE_1)
	s_and_b32 vcc_lo, exec_lo, s7
	s_cbranch_vccz .LBB62_5588
; %bb.5558:
	s_cmp_gt_i32 s0, 22
	s_cbranch_scc0 .LBB62_5566
; %bb.5559:
	s_cmp_lt_i32 s0, 24
	s_cbranch_scc1 .LBB62_5569
; %bb.5560:
	s_cmp_gt_i32 s0, 24
	s_cbranch_scc0 .LBB62_5570
; %bb.5561:
	global_load_u8 v10, v[8:9], off
	s_mov_b32 s6, 0
	s_mov_b32 s3, exec_lo
	s_wait_loadcnt 0x0
	v_cmpx_lt_i16_e32 0x7f, v10
	s_xor_b32 s3, exec_lo, s3
	s_cbranch_execz .LBB62_5582
; %bb.5562:
	v_cmp_ne_u16_e32 vcc_lo, 0x80, v10
	s_and_b32 s6, vcc_lo, exec_lo
	s_and_not1_saveexec_b32 s3, s3
	s_cbranch_execnz .LBB62_5583
.LBB62_5563:
	s_or_b32 exec_lo, exec_lo, s3
	v_mov_b64_e32 v[12:13], 0
	s_and_saveexec_b32 s3, s6
	s_cbranch_execz .LBB62_5565
.LBB62_5564:
	v_and_b32_e32 v11, 0xffff, v10
	s_delay_alu instid0(VALU_DEP_1) | instskip(SKIP_1) | instid1(VALU_DEP_2)
	v_and_b32_e32 v12, 3, v11
	v_bfe_u32 v15, v11, 2, 5
	v_clz_i32_u32_e32 v13, v12
	s_delay_alu instid0(VALU_DEP_2) | instskip(NEXT) | instid1(VALU_DEP_2)
	v_cmp_eq_u32_e32 vcc_lo, 0, v15
	v_min_u32_e32 v13, 32, v13
	s_delay_alu instid0(VALU_DEP_1) | instskip(NEXT) | instid1(VALU_DEP_1)
	v_subrev_nc_u32_e32 v14, 29, v13
	v_dual_lshlrev_b32 v11, v14, v11 :: v_dual_sub_nc_u32 v13, 30, v13
	s_delay_alu instid0(VALU_DEP_1) | instskip(NEXT) | instid1(VALU_DEP_1)
	v_dual_lshlrev_b32 v10, 24, v10 :: v_dual_bitop2_b32 v11, 3, v11 bitop3:0x40
	v_dual_cndmask_b32 v13, v15, v13, vcc_lo :: v_dual_cndmask_b32 v11, v12, v11, vcc_lo
	s_delay_alu instid0(VALU_DEP_2) | instskip(NEXT) | instid1(VALU_DEP_2)
	v_and_b32_e32 v10, 0x80000000, v10
	v_lshl_add_u32 v12, v13, 23, 0x37800000
	s_delay_alu instid0(VALU_DEP_3) | instskip(NEXT) | instid1(VALU_DEP_1)
	v_lshlrev_b32_e32 v11, 21, v11
	v_or3_b32 v10, v10, v12, v11
	s_delay_alu instid0(VALU_DEP_1) | instskip(NEXT) | instid1(VALU_DEP_1)
	v_trunc_f32_e32 v10, v10
	v_mul_f32_e64 v11, 0x2f800000, |v10|
	s_delay_alu instid0(VALU_DEP_1) | instskip(NEXT) | instid1(VALU_DEP_1)
	v_floor_f32_e32 v11, v11
	v_fma_f32 v12, 0xcf800000, v11, |v10|
	v_ashrrev_i32_e32 v10, 31, v10
	v_cvt_u32_f32_e32 v13, v11
	s_delay_alu instid0(VALU_DEP_3) | instskip(NEXT) | instid1(VALU_DEP_2)
	v_cvt_u32_f32_e32 v12, v12
	v_dual_mov_b32 v11, v10 :: v_dual_bitop2_b32 v13, v13, v10 bitop3:0x14
	s_delay_alu instid0(VALU_DEP_2) | instskip(NEXT) | instid1(VALU_DEP_1)
	v_xor_b32_e32 v12, v12, v10
	v_sub_nc_u64_e32 v[12:13], v[12:13], v[10:11]
.LBB62_5565:
	s_or_b32 exec_lo, exec_lo, s3
	s_mov_b32 s3, 0
	s_branch .LBB62_5571
.LBB62_5566:
	s_mov_b32 s3, -1
                                        ; implicit-def: $vgpr12_vgpr13
	s_branch .LBB62_5577
.LBB62_5567:
	s_and_not1_saveexec_b32 s6, s6
	s_cbranch_execz .LBB62_5552
.LBB62_5568:
	v_cmp_ne_u16_e32 vcc_lo, 0, v10
	s_and_not1_b32 s7, s7, exec_lo
	s_and_b32 s8, vcc_lo, exec_lo
	s_delay_alu instid0(SALU_CYCLE_1)
	s_or_b32 s7, s7, s8
	s_or_b32 exec_lo, exec_lo, s6
	v_mov_b64_e32 v[12:13], 0
	s_and_saveexec_b32 s6, s7
	s_cbranch_execnz .LBB62_5553
	s_branch .LBB62_5554
.LBB62_5569:
	s_mov_b32 s3, -1
                                        ; implicit-def: $vgpr12_vgpr13
	s_branch .LBB62_5574
.LBB62_5570:
	s_mov_b32 s3, -1
                                        ; implicit-def: $vgpr12_vgpr13
.LBB62_5571:
	s_delay_alu instid0(SALU_CYCLE_1)
	s_and_b32 vcc_lo, exec_lo, s3
	s_cbranch_vccz .LBB62_5573
; %bb.5572:
	global_load_u8 v10, v[8:9], off
	s_wait_loadcnt 0x0
	v_lshlrev_b32_e32 v10, 24, v10
	s_delay_alu instid0(VALU_DEP_1) | instskip(NEXT) | instid1(VALU_DEP_1)
	v_and_b32_e32 v11, 0x7f000000, v10
	v_clz_i32_u32_e32 v12, v11
	v_cmp_ne_u32_e32 vcc_lo, 0, v11
	v_add_nc_u32_e32 v14, 0x1000000, v11
	s_delay_alu instid0(VALU_DEP_3) | instskip(NEXT) | instid1(VALU_DEP_1)
	v_min_u32_e32 v12, 32, v12
	v_sub_nc_u32_e64 v12, v12, 4 clamp
	s_delay_alu instid0(VALU_DEP_1) | instskip(NEXT) | instid1(VALU_DEP_1)
	v_dual_lshlrev_b32 v13, v12, v11 :: v_dual_lshlrev_b32 v12, 23, v12
	v_lshrrev_b32_e32 v13, 4, v13
	s_delay_alu instid0(VALU_DEP_1) | instskip(NEXT) | instid1(VALU_DEP_1)
	v_dual_sub_nc_u32 v12, v13, v12 :: v_dual_ashrrev_i32 v13, 8, v14
	v_add_nc_u32_e32 v12, 0x3c000000, v12
	s_delay_alu instid0(VALU_DEP_1) | instskip(NEXT) | instid1(VALU_DEP_1)
	v_and_or_b32 v12, 0x7f800000, v13, v12
	v_cndmask_b32_e32 v11, 0, v12, vcc_lo
	s_delay_alu instid0(VALU_DEP_1) | instskip(NEXT) | instid1(VALU_DEP_1)
	v_and_or_b32 v10, 0x80000000, v10, v11
	v_trunc_f32_e32 v10, v10
	s_delay_alu instid0(VALU_DEP_1) | instskip(NEXT) | instid1(VALU_DEP_1)
	v_mul_f32_e64 v11, 0x2f800000, |v10|
	v_floor_f32_e32 v11, v11
	s_delay_alu instid0(VALU_DEP_1) | instskip(SKIP_2) | instid1(VALU_DEP_3)
	v_fma_f32 v12, 0xcf800000, v11, |v10|
	v_ashrrev_i32_e32 v10, 31, v10
	v_cvt_u32_f32_e32 v13, v11
	v_cvt_u32_f32_e32 v12, v12
	s_delay_alu instid0(VALU_DEP_2) | instskip(NEXT) | instid1(VALU_DEP_2)
	v_dual_mov_b32 v11, v10 :: v_dual_bitop2_b32 v13, v13, v10 bitop3:0x14
	v_xor_b32_e32 v12, v12, v10
	s_delay_alu instid0(VALU_DEP_1)
	v_sub_nc_u64_e32 v[12:13], v[12:13], v[10:11]
.LBB62_5573:
	s_mov_b32 s3, 0
.LBB62_5574:
	s_delay_alu instid0(SALU_CYCLE_1)
	s_and_not1_b32 vcc_lo, exec_lo, s3
	s_cbranch_vccnz .LBB62_5576
; %bb.5575:
	global_load_u8 v10, v[8:9], off
	s_wait_loadcnt 0x0
	v_lshlrev_b32_e32 v11, 25, v10
	v_lshlrev_b16 v10, 8, v10
	s_delay_alu instid0(VALU_DEP_1) | instskip(SKIP_1) | instid1(VALU_DEP_2)
	v_and_or_b32 v13, 0x7f00, v10, 0.5
	v_bfe_i32 v10, v10, 0, 16
	v_dual_add_f32 v13, -0.5, v13 :: v_dual_lshrrev_b32 v12, 4, v11
	v_cmp_gt_u32_e32 vcc_lo, 0x8000000, v11
	s_delay_alu instid0(VALU_DEP_2) | instskip(NEXT) | instid1(VALU_DEP_1)
	v_or_b32_e32 v12, 0x70000000, v12
	v_mul_f32_e32 v12, 0x7800000, v12
	s_delay_alu instid0(VALU_DEP_1) | instskip(NEXT) | instid1(VALU_DEP_1)
	v_cndmask_b32_e32 v11, v12, v13, vcc_lo
	v_and_or_b32 v10, 0x80000000, v10, v11
	s_delay_alu instid0(VALU_DEP_1) | instskip(NEXT) | instid1(VALU_DEP_1)
	v_trunc_f32_e32 v10, v10
	v_mul_f32_e64 v11, 0x2f800000, |v10|
	s_delay_alu instid0(VALU_DEP_1) | instskip(NEXT) | instid1(VALU_DEP_1)
	v_floor_f32_e32 v11, v11
	v_fma_f32 v12, 0xcf800000, v11, |v10|
	v_ashrrev_i32_e32 v10, 31, v10
	v_cvt_u32_f32_e32 v13, v11
	s_delay_alu instid0(VALU_DEP_3) | instskip(NEXT) | instid1(VALU_DEP_2)
	v_cvt_u32_f32_e32 v12, v12
	v_dual_mov_b32 v11, v10 :: v_dual_bitop2_b32 v13, v13, v10 bitop3:0x14
	s_delay_alu instid0(VALU_DEP_2) | instskip(NEXT) | instid1(VALU_DEP_1)
	v_xor_b32_e32 v12, v12, v10
	v_sub_nc_u64_e32 v[12:13], v[12:13], v[10:11]
.LBB62_5576:
	s_mov_b32 s3, 0
	s_mov_b32 s6, -1
.LBB62_5577:
	s_and_not1_b32 vcc_lo, exec_lo, s3
	s_mov_b32 s3, 0
	s_cbranch_vccnz .LBB62_5588
; %bb.5578:
	s_cmp_gt_i32 s0, 14
	s_cbranch_scc0 .LBB62_5581
; %bb.5579:
	s_cmp_eq_u32 s0, 15
	s_cbranch_scc0 .LBB62_5584
; %bb.5580:
	global_load_u16 v10, v[8:9], off
	s_mov_b32 s2, 0
	s_mov_b32 s6, -1
	s_wait_loadcnt 0x0
	v_lshlrev_b32_e32 v10, 16, v10
	s_delay_alu instid0(VALU_DEP_1) | instskip(NEXT) | instid1(VALU_DEP_1)
	v_trunc_f32_e32 v10, v10
	v_mul_f32_e64 v11, 0x2f800000, |v10|
	s_delay_alu instid0(VALU_DEP_1) | instskip(NEXT) | instid1(VALU_DEP_1)
	v_floor_f32_e32 v11, v11
	v_fma_f32 v12, 0xcf800000, v11, |v10|
	v_ashrrev_i32_e32 v10, 31, v10
	v_cvt_u32_f32_e32 v13, v11
	s_delay_alu instid0(VALU_DEP_3) | instskip(NEXT) | instid1(VALU_DEP_2)
	v_cvt_u32_f32_e32 v12, v12
	v_dual_mov_b32 v11, v10 :: v_dual_bitop2_b32 v13, v13, v10 bitop3:0x14
	s_delay_alu instid0(VALU_DEP_2) | instskip(NEXT) | instid1(VALU_DEP_1)
	v_xor_b32_e32 v12, v12, v10
	v_sub_nc_u64_e32 v[12:13], v[12:13], v[10:11]
	s_branch .LBB62_5586
.LBB62_5581:
	s_mov_b32 s3, -1
	s_branch .LBB62_5585
.LBB62_5582:
	s_and_not1_saveexec_b32 s3, s3
	s_cbranch_execz .LBB62_5563
.LBB62_5583:
	v_cmp_ne_u16_e32 vcc_lo, 0, v10
	s_and_not1_b32 s6, s6, exec_lo
	s_and_b32 s7, vcc_lo, exec_lo
	s_delay_alu instid0(SALU_CYCLE_1)
	s_or_b32 s6, s6, s7
	s_or_b32 exec_lo, exec_lo, s3
	v_mov_b64_e32 v[12:13], 0
	s_and_saveexec_b32 s3, s6
	s_cbranch_execnz .LBB62_5564
	s_branch .LBB62_5565
.LBB62_5584:
	s_mov_b32 s2, -1
.LBB62_5585:
                                        ; implicit-def: $vgpr12_vgpr13
.LBB62_5586:
	s_and_b32 vcc_lo, exec_lo, s3
	s_mov_b32 s3, 0
	s_cbranch_vccz .LBB62_5588
; %bb.5587:
	s_cmp_lg_u32 s0, 11
	s_mov_b32 s3, -1
	s_cselect_b32 s2, -1, 0
.LBB62_5588:
	s_delay_alu instid0(SALU_CYCLE_1)
	s_and_b32 vcc_lo, exec_lo, s2
	s_cbranch_vccnz .LBB62_5717
; %bb.5589:
	s_and_not1_b32 vcc_lo, exec_lo, s3
	s_cbranch_vccnz .LBB62_5591
.LBB62_5590:
	global_load_u8 v10, v[8:9], off
	s_mov_b32 s0, 0
	s_mov_b32 s6, -1
	s_wait_loadcnt 0x1
	v_mov_b32_e32 v13, s0
	s_wait_loadcnt 0x0
	v_cmp_ne_u16_e32 vcc_lo, 0, v10
	v_cndmask_b32_e64 v12, 0, 1, vcc_lo
.LBB62_5591:
	s_mov_b32 s0, 0
.LBB62_5592:
	s_delay_alu instid0(SALU_CYCLE_1)
	s_and_b32 vcc_lo, exec_lo, s0
	s_cbranch_vccz .LBB62_5641
; %bb.5593:
	s_and_b32 s0, 0xffff, s61
	s_delay_alu instid0(SALU_CYCLE_1)
	s_cmp_lt_i32 s0, 5
	s_cbranch_scc1 .LBB62_5598
; %bb.5594:
	s_cmp_lt_i32 s0, 8
	s_cbranch_scc1 .LBB62_5599
; %bb.5595:
	;; [unrolled: 3-line block ×3, first 2 shown]
	s_cmp_gt_i32 s0, 9
	s_cbranch_scc0 .LBB62_5601
; %bb.5597:
	global_load_b64 v[10:11], v[8:9], off
	s_mov_b32 s2, 0
	s_wait_loadcnt 0x0
	v_trunc_f64_e32 v[10:11], v[10:11]
	s_delay_alu instid0(VALU_DEP_1) | instskip(NEXT) | instid1(VALU_DEP_1)
	v_ldexp_f64 v[12:13], v[10:11], 0xffffffe0
	v_floor_f64_e32 v[12:13], v[12:13]
	s_delay_alu instid0(VALU_DEP_1) | instskip(SKIP_1) | instid1(VALU_DEP_2)
	v_fmamk_f64 v[10:11], v[12:13], 0xc1f00000, v[10:11]
	v_cvt_i32_f64_e32 v13, v[12:13]
	v_cvt_u32_f64_e32 v12, v[10:11]
	s_branch .LBB62_5602
.LBB62_5598:
	s_mov_b32 s2, -1
                                        ; implicit-def: $vgpr12_vgpr13
	s_branch .LBB62_5620
.LBB62_5599:
	s_mov_b32 s2, -1
                                        ; implicit-def: $vgpr12_vgpr13
	s_branch .LBB62_5608
.LBB62_5600:
	s_mov_b32 s2, -1
                                        ; implicit-def: $vgpr12_vgpr13
	s_branch .LBB62_5605
.LBB62_5601:
	s_mov_b32 s2, -1
                                        ; implicit-def: $vgpr12_vgpr13
.LBB62_5602:
	s_delay_alu instid0(SALU_CYCLE_1)
	s_and_not1_b32 vcc_lo, exec_lo, s2
	s_cbranch_vccnz .LBB62_5604
; %bb.5603:
	global_load_b32 v10, v[8:9], off
	s_wait_loadcnt 0x0
	v_trunc_f32_e32 v10, v10
	s_delay_alu instid0(VALU_DEP_1) | instskip(NEXT) | instid1(VALU_DEP_1)
	v_mul_f32_e64 v11, 0x2f800000, |v10|
	v_floor_f32_e32 v11, v11
	s_delay_alu instid0(VALU_DEP_1) | instskip(SKIP_2) | instid1(VALU_DEP_3)
	v_fma_f32 v12, 0xcf800000, v11, |v10|
	v_ashrrev_i32_e32 v10, 31, v10
	v_cvt_u32_f32_e32 v13, v11
	v_cvt_u32_f32_e32 v12, v12
	s_delay_alu instid0(VALU_DEP_2) | instskip(NEXT) | instid1(VALU_DEP_2)
	v_dual_mov_b32 v11, v10 :: v_dual_bitop2_b32 v13, v13, v10 bitop3:0x14
	v_xor_b32_e32 v12, v12, v10
	s_delay_alu instid0(VALU_DEP_1)
	v_sub_nc_u64_e32 v[12:13], v[12:13], v[10:11]
.LBB62_5604:
	s_mov_b32 s2, 0
.LBB62_5605:
	s_delay_alu instid0(SALU_CYCLE_1)
	s_and_not1_b32 vcc_lo, exec_lo, s2
	s_cbranch_vccnz .LBB62_5607
; %bb.5606:
	global_load_b32 v10, v[8:9], off
	s_wait_loadcnt 0x0
	v_cvt_f32_f16_e32 v10, v10
	s_delay_alu instid0(VALU_DEP_1) | instskip(NEXT) | instid1(VALU_DEP_1)
	v_cvt_i32_f32_e32 v12, v10
	v_ashrrev_i32_e32 v13, 31, v12
.LBB62_5607:
	s_mov_b32 s2, 0
.LBB62_5608:
	s_delay_alu instid0(SALU_CYCLE_1)
	s_and_not1_b32 vcc_lo, exec_lo, s2
	s_cbranch_vccnz .LBB62_5619
; %bb.5609:
	s_cmp_lt_i32 s0, 6
	s_cbranch_scc1 .LBB62_5612
; %bb.5610:
	s_cmp_gt_i32 s0, 6
	s_cbranch_scc0 .LBB62_5613
; %bb.5611:
	global_load_b64 v[10:11], v[8:9], off
	s_mov_b32 s2, 0
	s_wait_loadcnt 0x0
	v_trunc_f64_e32 v[10:11], v[10:11]
	s_delay_alu instid0(VALU_DEP_1) | instskip(NEXT) | instid1(VALU_DEP_1)
	v_ldexp_f64 v[12:13], v[10:11], 0xffffffe0
	v_floor_f64_e32 v[12:13], v[12:13]
	s_delay_alu instid0(VALU_DEP_1) | instskip(SKIP_1) | instid1(VALU_DEP_2)
	v_fmamk_f64 v[10:11], v[12:13], 0xc1f00000, v[10:11]
	v_cvt_i32_f64_e32 v13, v[12:13]
	v_cvt_u32_f64_e32 v12, v[10:11]
	s_branch .LBB62_5614
.LBB62_5612:
	s_mov_b32 s2, -1
                                        ; implicit-def: $vgpr12_vgpr13
	s_branch .LBB62_5617
.LBB62_5613:
	s_mov_b32 s2, -1
                                        ; implicit-def: $vgpr12_vgpr13
.LBB62_5614:
	s_delay_alu instid0(SALU_CYCLE_1)
	s_and_not1_b32 vcc_lo, exec_lo, s2
	s_cbranch_vccnz .LBB62_5616
; %bb.5615:
	global_load_b32 v10, v[8:9], off
	s_wait_loadcnt 0x0
	v_trunc_f32_e32 v10, v10
	s_delay_alu instid0(VALU_DEP_1) | instskip(NEXT) | instid1(VALU_DEP_1)
	v_mul_f32_e64 v11, 0x2f800000, |v10|
	v_floor_f32_e32 v11, v11
	s_delay_alu instid0(VALU_DEP_1) | instskip(SKIP_2) | instid1(VALU_DEP_3)
	v_fma_f32 v12, 0xcf800000, v11, |v10|
	v_ashrrev_i32_e32 v10, 31, v10
	v_cvt_u32_f32_e32 v13, v11
	v_cvt_u32_f32_e32 v12, v12
	s_delay_alu instid0(VALU_DEP_2) | instskip(NEXT) | instid1(VALU_DEP_2)
	v_dual_mov_b32 v11, v10 :: v_dual_bitop2_b32 v13, v13, v10 bitop3:0x14
	v_xor_b32_e32 v12, v12, v10
	s_delay_alu instid0(VALU_DEP_1)
	v_sub_nc_u64_e32 v[12:13], v[12:13], v[10:11]
.LBB62_5616:
	s_mov_b32 s2, 0
.LBB62_5617:
	s_delay_alu instid0(SALU_CYCLE_1)
	s_and_not1_b32 vcc_lo, exec_lo, s2
	s_cbranch_vccnz .LBB62_5619
; %bb.5618:
	global_load_u16 v10, v[8:9], off
	s_wait_loadcnt 0x0
	v_cvt_f32_f16_e32 v10, v10
	s_delay_alu instid0(VALU_DEP_1) | instskip(NEXT) | instid1(VALU_DEP_1)
	v_cvt_i32_f32_e32 v12, v10
	v_ashrrev_i32_e32 v13, 31, v12
.LBB62_5619:
	s_mov_b32 s2, 0
.LBB62_5620:
	s_delay_alu instid0(SALU_CYCLE_1)
	s_and_not1_b32 vcc_lo, exec_lo, s2
	s_cbranch_vccnz .LBB62_5640
; %bb.5621:
	s_cmp_lt_i32 s0, 2
	s_cbranch_scc1 .LBB62_5625
; %bb.5622:
	s_cmp_lt_i32 s0, 3
	s_cbranch_scc1 .LBB62_5626
; %bb.5623:
	s_cmp_gt_i32 s0, 3
	s_cbranch_scc0 .LBB62_5627
; %bb.5624:
	s_wait_loadcnt 0x0
	global_load_b64 v[12:13], v[8:9], off
	s_mov_b32 s2, 0
	s_branch .LBB62_5628
.LBB62_5625:
	s_mov_b32 s2, -1
                                        ; implicit-def: $vgpr12_vgpr13
	s_branch .LBB62_5634
.LBB62_5626:
	s_mov_b32 s2, -1
                                        ; implicit-def: $vgpr12_vgpr13
	s_branch .LBB62_5631
.LBB62_5627:
	s_mov_b32 s2, -1
                                        ; implicit-def: $vgpr12_vgpr13
.LBB62_5628:
	s_delay_alu instid0(SALU_CYCLE_1)
	s_and_not1_b32 vcc_lo, exec_lo, s2
	s_cbranch_vccnz .LBB62_5630
; %bb.5629:
	s_wait_loadcnt 0x0
	global_load_b32 v12, v[8:9], off
	s_wait_loadcnt 0x0
	v_ashrrev_i32_e32 v13, 31, v12
.LBB62_5630:
	s_mov_b32 s2, 0
.LBB62_5631:
	s_delay_alu instid0(SALU_CYCLE_1)
	s_and_not1_b32 vcc_lo, exec_lo, s2
	s_cbranch_vccnz .LBB62_5633
; %bb.5632:
	global_load_u16 v10, v[8:9], off
	s_wait_loadcnt 0x0
	v_bfe_i32 v12, v10, 0, 16
	s_delay_alu instid0(VALU_DEP_1)
	v_ashrrev_i32_e32 v13, 31, v12
.LBB62_5633:
	s_mov_b32 s2, 0
.LBB62_5634:
	s_delay_alu instid0(SALU_CYCLE_1)
	s_and_not1_b32 vcc_lo, exec_lo, s2
	s_cbranch_vccnz .LBB62_5640
; %bb.5635:
	s_cmp_gt_i32 s0, 0
	s_mov_b32 s0, 0
	s_cbranch_scc0 .LBB62_5637
; %bb.5636:
	global_load_i8 v10, v[8:9], off
	s_wait_loadcnt 0x0
	v_bfe_i32 v12, v10, 0, 16
	s_delay_alu instid0(VALU_DEP_1)
	v_ashrrev_i32_e32 v13, 31, v12
	s_branch .LBB62_5638
.LBB62_5637:
	s_mov_b32 s0, -1
                                        ; implicit-def: $vgpr12_vgpr13
.LBB62_5638:
	s_delay_alu instid0(SALU_CYCLE_1)
	s_and_not1_b32 vcc_lo, exec_lo, s0
	s_cbranch_vccnz .LBB62_5640
; %bb.5639:
	global_load_u8 v8, v[8:9], off
	s_mov_b32 s0, 0
	s_wait_loadcnt 0x1
	v_mov_b32_e32 v13, s0
	s_wait_loadcnt 0x0
	v_and_b32_e32 v12, 0xffff, v8
.LBB62_5640:
	s_mov_b32 s6, -1
.LBB62_5641:
	s_delay_alu instid0(SALU_CYCLE_1)
	s_and_not1_b32 vcc_lo, exec_lo, s6
	s_cbranch_vccnz .LBB62_5650
; %bb.5642:
	s_mov_b32 s0, exec_lo
	s_wait_loadcnt 0x0
	v_cmpx_ne_u64_e64 s[36:37], v[0:1]
	s_xor_b32 s0, exec_lo, s0
	s_cbranch_execnz .LBB62_5993
.LBB62_5643:
	s_or_saveexec_b32 s30, s0
	s_mov_b32 s2, 0
	s_mov_b32 s3, 0
                                        ; implicit-def: $sgpr0
                                        ; implicit-def: $vgpr10_vgpr11
	s_xor_b32 exec_lo, exec_lo, s30
	s_cbranch_execz .LBB62_5988
; %bb.5644:
	s_mov_b32 s31, s19
	s_mov_b32 s0, exec_lo
	v_cmpx_ne_u64_e64 s[40:41], v[2:3]
	s_xor_b32 s0, exec_lo, s0
	s_cbranch_execnz .LBB62_5995
; %bb.5645:
	s_or_saveexec_b32 s34, s0
                                        ; implicit-def: $sgpr0
                                        ; implicit-def: $vgpr10_vgpr11
	s_delay_alu instid0(SALU_CYCLE_1)
	s_xor_b32 exec_lo, exec_lo, s34
	s_cbranch_execz .LBB62_5987
.LBB62_5646:
	v_sub_nc_u64_e32 v[0:1], v[6:7], v[4:5]
	s_mov_b32 s35, s31
	s_delay_alu instid0(VALU_DEP_1) | instskip(SKIP_2) | instid1(SALU_CYCLE_1)
	v_cmp_gt_i64_e32 vcc_lo, s[36:37], v[0:1]
	v_cmp_lt_i64_e64 s0, s[38:39], v[0:1]
	s_or_b32 s0, vcc_lo, s0
	s_and_saveexec_b32 s2, s0
	s_delay_alu instid0(SALU_CYCLE_1)
	s_xor_b32 s0, exec_lo, s2
	s_cbranch_execnz .LBB62_5997
; %bb.5647:
	s_or_saveexec_b32 s36, s0
	s_mov_b32 s2, 0
                                        ; implicit-def: $sgpr0
                                        ; implicit-def: $vgpr10_vgpr11
	s_xor_b32 exec_lo, exec_lo, s36
	s_cbranch_execz .LBB62_5986
.LBB62_5648:
	v_cmp_ne_u32_e32 vcc_lo, 1, v23
	v_mov_b64_e32 v[0:1], 0
	s_cbranch_vccnz .LBB62_5661
; %bb.5649:
	v_mul_u64_e32 v[8:9], s[40:41], v[12:13]
	v_mov_b64_e32 v[0:1], 0
	s_mov_b32 s29, 0
	v_mov_b32_e32 v2, 0
	s_lshl_b64 s[8:9], s[28:29], 3
	s_mov_b64 s[2:3], 0xffffffff
	s_add_nc_u64 s[6:7], s[20:21], s[8:9]
	s_add_nc_u64 s[8:9], s[22:23], s[8:9]
	s_branch .LBB62_5657
.LBB62_5650:
	s_mov_b32 s2, 0
	s_mov_b32 s3, 0
                                        ; implicit-def: $sgpr0
                                        ; implicit-def: $vgpr10_vgpr11
.LBB62_5651:
	s_and_not1_b32 s1, s1, exec_lo
	s_and_b32 s4, s19, exec_lo
	s_and_b32 s3, s3, exec_lo
	;; [unrolled: 1-line block ×3, first 2 shown]
	s_or_b32 s1, s1, s4
.LBB62_5652:
	s_wait_xcnt 0x0
	s_or_b32 exec_lo, exec_lo, s18
	s_delay_alu instid0(SALU_CYCLE_1)
	s_and_not1_b32 s4, s77, exec_lo
	s_and_b32 s5, s1, exec_lo
	s_and_b32 s3, s3, exec_lo
	;; [unrolled: 1-line block ×3, first 2 shown]
	s_or_b32 s77, s4, s5
.LBB62_5653:
	s_or_b32 exec_lo, exec_lo, s78
	s_delay_alu instid0(SALU_CYCLE_1)
	s_and_b32 s2, s3, exec_lo
	s_and_not1_b32 s3, s75, exec_lo
	s_and_b32 s4, s77, exec_lo
	s_and_b32 s1, s1, exec_lo
	s_or_b32 s75, s3, s4
.LBB62_5654:
	s_or_b32 exec_lo, exec_lo, s76
	s_delay_alu instid0(SALU_CYCLE_1)
	s_and_not1_b32 s3, s68, exec_lo
	s_and_b32 s4, s75, exec_lo
	s_and_b32 s2, s2, exec_lo
	;; [unrolled: 1-line block ×3, first 2 shown]
	s_or_b32 s68, s3, s4
.LBB62_5655:
	s_or_b32 exec_lo, exec_lo, s74
	s_branch .LBB62_4985
.LBB62_5656:                            ;   in Loop: Header=BB62_5657 Depth=1
	s_or_b32 exec_lo, exec_lo, s0
	global_load_b64 v[12:13], v2, s[8:9]
	v_mul_u64_e32 v[14:15], s[10:11], v[10:11]
	s_add_co_i32 s42, s42, -1
	s_add_nc_u64 s[6:7], s[6:7], -8
	s_cmp_eq_u32 s42, 0
	s_wait_xcnt 0x0
	s_add_nc_u64 s[8:9], s[8:9], -8
	s_delay_alu instid0(VALU_DEP_1) | instskip(SKIP_1) | instid1(VALU_DEP_1)
	v_sub_nc_u64_e32 v[8:9], v[8:9], v[14:15]
	s_wait_loadcnt 0x0
	v_mad_nc_u64_u32 v[0:1], v8, v12, v[0:1]
	s_delay_alu instid0(VALU_DEP_1) | instskip(NEXT) | instid1(VALU_DEP_1)
	v_mad_u32 v1, v9, v12, v1
	v_mad_u32 v1, v8, v13, v1
	v_mov_b64_e32 v[8:9], v[10:11]
	s_cbranch_scc1 .LBB62_5661
.LBB62_5657:                            ; =>This Inner Loop Header: Depth=1
	global_load_b64 v[10:11], v2, s[6:7]
	s_mov_b32 s0, exec_lo
	s_wait_loadcnt 0x0
	v_or_b32_e32 v3, v9, v11
	v_readfirstlane_b32 s10, v10
	v_readfirstlane_b32 s11, v11
                                        ; implicit-def: $vgpr10_vgpr11
	s_wait_xcnt 0x0
	s_delay_alu instid0(VALU_DEP_3)
	v_cmpx_ne_u64_e32 0, v[2:3]
	s_xor_b32 s20, exec_lo, s0
	s_cbranch_execz .LBB62_5659
; %bb.5658:                             ;   in Loop: Header=BB62_5657 Depth=1
	s_ashr_i32 s12, s11, 31
	v_dual_mov_b32 v15, v2 :: v_dual_ashrrev_i32 v10, 31, v9
	s_mov_b32 s13, s12
	v_mov_b32_e32 v25, v2
	s_add_nc_u64 s[14:15], s[10:11], s[12:13]
	s_delay_alu instid0(VALU_DEP_2) | instskip(SKIP_1) | instid1(SALU_CYCLE_1)
	v_mov_b32_e32 v11, v10
	s_xor_b64 s[14:15], s[14:15], s[12:13]
	s_cvt_f32_u32 s0, s14
	s_cvt_f32_u32 s13, s15
	s_sub_nc_u64 s[38:39], 0, s[14:15]
	v_add_nc_u64_e32 v[12:13], v[8:9], v[10:11]
	v_mov_b32_e32 v19, v2
	s_fmamk_f32 s0, s13, 0x4f800000, s0
	s_delay_alu instid0(SALU_CYCLE_3) | instskip(NEXT) | instid1(VALU_DEP_2)
	v_s_rcp_f32 s0, s0
	v_xor_b32_e32 v14, v12, v10
	s_delay_alu instid0(VALU_DEP_3) | instskip(NEXT) | instid1(TRANS32_DEP_1)
	v_xor_b32_e32 v18, v13, v10
	s_mul_f32 s0, s0, 0x5f7ffffc
	s_delay_alu instid0(SALU_CYCLE_3) | instskip(NEXT) | instid1(SALU_CYCLE_3)
	s_mul_f32 s13, s0, 0x2f800000
	s_trunc_f32 s13, s13
	s_delay_alu instid0(SALU_CYCLE_3) | instskip(SKIP_1) | instid1(SALU_CYCLE_2)
	s_fmamk_f32 s0, s13, 0xcf800000, s0
	s_cvt_u32_f32 s23, s13
	s_cvt_u32_f32 s22, s0
	s_delay_alu instid0(SALU_CYCLE_3) | instskip(NEXT) | instid1(SALU_CYCLE_1)
	s_mul_u64 s[40:41], s[38:39], s[22:23]
	s_mul_hi_u32 s45, s22, s41
	s_mul_i32 s44, s22, s41
	s_mul_hi_u32 s28, s22, s40
	s_mul_i32 s13, s23, s40
	s_add_nc_u64 s[44:45], s[28:29], s[44:45]
	s_mul_hi_u32 s0, s23, s40
	s_mul_hi_u32 s21, s23, s41
	s_add_co_u32 s13, s44, s13
	s_add_co_ci_u32 s28, s45, s0
	s_mul_i32 s40, s23, s41
	s_add_co_ci_u32 s41, s21, 0
	s_delay_alu instid0(SALU_CYCLE_1) | instskip(NEXT) | instid1(SALU_CYCLE_1)
	s_add_nc_u64 s[40:41], s[28:29], s[40:41]
	s_add_co_u32 s22, s22, s40
	s_cselect_b32 s0, -1, 0
	s_delay_alu instid0(SALU_CYCLE_1) | instskip(SKIP_1) | instid1(SALU_CYCLE_1)
	s_cmp_lg_u32 s0, 0
	s_add_co_ci_u32 s23, s23, s41
	s_mul_u64 s[38:39], s[38:39], s[22:23]
	s_delay_alu instid0(SALU_CYCLE_1)
	s_mul_hi_u32 s41, s22, s39
	s_mul_i32 s40, s22, s39
	s_mul_hi_u32 s28, s22, s38
	s_mul_i32 s13, s23, s38
	s_add_nc_u64 s[40:41], s[28:29], s[40:41]
	s_mul_hi_u32 s0, s23, s38
	s_mul_hi_u32 s21, s23, s39
	s_add_co_u32 s13, s40, s13
	s_add_co_ci_u32 s28, s41, s0
	s_mul_i32 s38, s23, s39
	s_add_co_ci_u32 s39, s21, 0
	s_delay_alu instid0(SALU_CYCLE_1) | instskip(NEXT) | instid1(SALU_CYCLE_1)
	s_add_nc_u64 s[38:39], s[28:29], s[38:39]
	s_add_co_u32 s0, s22, s38
	s_cselect_b32 s13, -1, 0
	v_mul_hi_u32 v24, v14, s0
	s_cmp_lg_u32 s13, 0
	s_add_co_ci_u32 s28, s23, s39
	s_and_b64 s[22:23], s[0:1], s[2:3]
	v_mul_u64_e32 v[16:17], s[28:29], v[14:15]
	v_mul_u64_e32 v[12:13], s[22:23], v[18:19]
	;; [unrolled: 1-line block ×3, first 2 shown]
	s_delay_alu instid0(VALU_DEP_3) | instskip(NEXT) | instid1(VALU_DEP_1)
	v_add_nc_u64_e32 v[16:17], v[24:25], v[16:17]
	v_add_co_u32 v3, vcc_lo, v16, v12
	s_delay_alu instid0(VALU_DEP_2) | instskip(NEXT) | instid1(VALU_DEP_4)
	v_add_co_ci_u32_e32 v24, vcc_lo, v17, v13, vcc_lo
	v_add_co_ci_u32_e32 v21, vcc_lo, 0, v21, vcc_lo
	s_delay_alu instid0(VALU_DEP_1) | instskip(NEXT) | instid1(VALU_DEP_1)
	v_add_nc_u64_e32 v[12:13], v[24:25], v[20:21]
	v_mul_u64_e32 v[16:17], s[14:15], v[12:13]
	s_delay_alu instid0(VALU_DEP_1) | instskip(NEXT) | instid1(VALU_DEP_2)
	v_sub_nc_u32_e32 v3, v18, v17
	v_sub_co_u32 v11, vcc_lo, v14, v16
	s_delay_alu instid0(VALU_DEP_1) | instskip(NEXT) | instid1(VALU_DEP_3)
	v_sub_co_ci_u32_e64 v18, null, v18, v17, vcc_lo
	v_subrev_co_ci_u32_e64 v3, null, s15, v3, vcc_lo
	s_delay_alu instid0(VALU_DEP_3) | instskip(SKIP_1) | instid1(VALU_DEP_3)
	v_sub_co_u32 v14, s0, v11, s14
	v_add_nc_u64_e32 v[16:17], 1, v[12:13]
	v_subrev_co_ci_u32_e64 v3, null, 0, v3, s0
	s_delay_alu instid0(VALU_DEP_3) | instskip(SKIP_1) | instid1(VALU_DEP_3)
	v_cmp_le_u32_e32 vcc_lo, s14, v14
	v_cndmask_b32_e64 v14, 0, -1, vcc_lo
	v_cmp_le_u32_e32 vcc_lo, s15, v3
	v_cndmask_b32_e64 v15, 0, -1, vcc_lo
	;; [unrolled: 2-line block ×4, first 2 shown]
	v_cmp_eq_u32_e32 vcc_lo, s15, v3
	v_cndmask_b32_e32 v3, v15, v14, vcc_lo
	v_cmp_eq_u32_e32 vcc_lo, s15, v18
	v_add_nc_u64_e32 v[14:15], 2, v[12:13]
	v_cndmask_b32_e32 v11, v19, v11, vcc_lo
	s_delay_alu instid0(VALU_DEP_4) | instskip(NEXT) | instid1(VALU_DEP_2)
	v_cmp_ne_u32_e32 vcc_lo, 0, v3
	v_cmp_ne_u32_e64 s0, 0, v11
	s_delay_alu instid0(VALU_DEP_4) | instskip(NEXT) | instid1(VALU_DEP_1)
	v_dual_cndmask_b32 v3, v17, v15, vcc_lo :: v_dual_cndmask_b32 v11, v16, v14, vcc_lo
	v_dual_cndmask_b32 v3, v13, v3, s0 :: v_dual_bitop2_b32 v10, s12, v10 bitop3:0x14
	s_delay_alu instid0(VALU_DEP_1) | instskip(NEXT) | instid1(VALU_DEP_2)
	v_dual_cndmask_b32 v12, v12, v11, s0 :: v_dual_mov_b32 v11, v10
	v_xor_b32_e32 v13, v3, v10
	s_delay_alu instid0(VALU_DEP_2) | instskip(NEXT) | instid1(VALU_DEP_1)
	v_xor_b32_e32 v12, v12, v10
	v_sub_nc_u64_e32 v[10:11], v[12:13], v[10:11]
.LBB62_5659:                            ;   in Loop: Header=BB62_5657 Depth=1
	s_and_not1_saveexec_b32 s0, s20
	s_cbranch_execz .LBB62_5656
; %bb.5660:                             ;   in Loop: Header=BB62_5657 Depth=1
	v_cvt_f32_u32_e32 v3, s10
	s_sub_co_i32 s12, 0, s10
	s_delay_alu instid0(VALU_DEP_1) | instskip(SKIP_1) | instid1(TRANS32_DEP_1)
	v_rcp_iflag_f32_e32 v3, v3
	v_nop
	v_mul_f32_e32 v3, 0x4f7ffffe, v3
	s_delay_alu instid0(VALU_DEP_1) | instskip(NEXT) | instid1(VALU_DEP_1)
	v_cvt_u32_f32_e32 v3, v3
	v_mul_lo_u32 v10, s12, v3
	s_delay_alu instid0(VALU_DEP_1) | instskip(NEXT) | instid1(VALU_DEP_1)
	v_mul_hi_u32 v10, v3, v10
	v_add_nc_u32_e32 v3, v3, v10
	s_delay_alu instid0(VALU_DEP_1) | instskip(NEXT) | instid1(VALU_DEP_1)
	v_mul_hi_u32 v3, v8, v3
	v_mul_lo_u32 v10, v3, s10
	s_delay_alu instid0(VALU_DEP_1) | instskip(NEXT) | instid1(VALU_DEP_1)
	v_dual_add_nc_u32 v11, 1, v3 :: v_dual_sub_nc_u32 v10, v8, v10
	v_subrev_nc_u32_e32 v12, s10, v10
	v_cmp_le_u32_e32 vcc_lo, s10, v10
	s_delay_alu instid0(VALU_DEP_2) | instskip(NEXT) | instid1(VALU_DEP_1)
	v_dual_cndmask_b32 v10, v10, v12 :: v_dual_cndmask_b32 v3, v3, v11
	v_cmp_le_u32_e32 vcc_lo, s10, v10
	s_delay_alu instid0(VALU_DEP_2) | instskip(NEXT) | instid1(VALU_DEP_1)
	v_add_nc_u32_e32 v11, 1, v3
	v_dual_cndmask_b32 v10, v3, v11 :: v_dual_mov_b32 v11, v2
	s_branch .LBB62_5656
.LBB62_5661:
	s_mov_b32 s8, -1
	s_mov_b32 s2, s35
	s_mov_b32 s0, exec_lo
	v_cmpx_gt_i64_e64 v[6:7], v[4:5]
	s_cbranch_execz .LBB62_5668
; %bb.5662:
	s_delay_alu instid0(VALU_DEP_2) | instskip(SKIP_2) | instid1(VALU_DEP_1)
	v_lshlrev_b64_e32 v[0:1], 3, v[0:1]
	s_mov_b32 s3, 0
	s_xor_b32 s6, s50, -1
                                        ; implicit-def: $sgpr2
                                        ; implicit-def: $sgpr8
                                        ; implicit-def: $sgpr7
	v_lshl_add_u64 v[2:3], v[4:5], 3, v[0:1]
	v_add_nc_u64_e32 v[4:5], s[24:25], v[0:1]
	s_delay_alu instid0(VALU_DEP_2) | instskip(NEXT) | instid1(VALU_DEP_1)
	v_add_nc_u64_e32 v[2:3], s[24:25], v[2:3]
	v_add_nc_u64_e32 v[0:1], 8, v[2:3]
	s_delay_alu instid0(VALU_DEP_3)
	v_lshl_add_u64 v[2:3], v[6:7], 3, v[4:5]
	s_branch .LBB62_5664
.LBB62_5663:                            ;   in Loop: Header=BB62_5664 Depth=1
	s_or_b32 exec_lo, exec_lo, s9
	s_xor_b32 s9, s7, -1
	s_and_b32 s10, exec_lo, s8
	s_delay_alu instid0(SALU_CYCLE_1) | instskip(SKIP_2) | instid1(SALU_CYCLE_1)
	s_or_b32 s3, s10, s3
	s_and_not1_b32 s2, s2, exec_lo
	s_and_b32 s9, s9, exec_lo
	s_or_b32 s2, s2, s9
	s_and_not1_b32 exec_lo, exec_lo, s3
	s_cbranch_execz .LBB62_5666
.LBB62_5664:                            ; =>This Inner Loop Header: Depth=1
	s_or_b32 s7, s7, exec_lo
	s_or_b32 s8, s8, exec_lo
	s_mov_b32 s9, exec_lo
	s_delay_alu instid0(VALU_DEP_2)
	v_cmpx_lt_u64_e64 v[0:1], v[2:3]
	s_cbranch_execz .LBB62_5663
; %bb.5665:                             ;   in Loop: Header=BB62_5664 Depth=1
	global_load_b128 v[4:7], v[0:1], off offset:-8
	s_wait_xcnt 0x0
	v_add_nc_u64_e32 v[0:1], 8, v[0:1]
	s_and_not1_b32 s8, s8, exec_lo
	s_and_not1_b32 s7, s7, exec_lo
	s_wait_loadcnt 0x0
	v_cmp_ge_i64_e32 vcc_lo, v[4:5], v[6:7]
	s_or_b32 s10, s6, vcc_lo
	s_delay_alu instid0(SALU_CYCLE_1) | instskip(NEXT) | instid1(SALU_CYCLE_1)
	s_and_b32 s10, s10, exec_lo
	s_or_b32 s8, s8, s10
	s_branch .LBB62_5663
.LBB62_5666:
	s_or_b32 exec_lo, exec_lo, s3
	s_mov_b32 s3, -1
	s_mov_b32 s6, s35
	s_and_saveexec_b32 s7, s2
	s_delay_alu instid0(SALU_CYCLE_1)
	s_xor_b32 s2, exec_lo, s7
	s_cbranch_execnz .LBB62_5990
.LBB62_5667:
	s_or_b32 exec_lo, exec_lo, s2
	s_delay_alu instid0(SALU_CYCLE_1)
	s_and_not1_b32 s2, s35, exec_lo
	s_and_b32 s6, s6, exec_lo
	s_or_not1_b32 s8, s3, exec_lo
	s_or_b32 s2, s2, s6
.LBB62_5668:
	s_or_b32 exec_lo, exec_lo, s0
	s_mov_b32 s6, 0
	s_mov_b32 s7, 0
                                        ; implicit-def: $sgpr0
                                        ; implicit-def: $vgpr10_vgpr11
	s_and_saveexec_b32 s3, s8
	s_cbranch_execz .LBB62_5985
; %bb.5669:
	v_mul_lo_u32 v0, s16, v22
	s_and_b32 s0, s26, 0xff
	s_delay_alu instid0(SALU_CYCLE_1) | instskip(NEXT) | instid1(VALU_DEP_1)
	s_cmp_lt_i32 s0, 11
	v_ashrrev_i32_e32 v1, 31, v0
	s_delay_alu instid0(VALU_DEP_1)
	v_add_nc_u64_e32 v[2:3], s[4:5], v[0:1]
	s_cbranch_scc1 .LBB62_5718
; %bb.5670:
	s_and_b32 s6, 0xffff, s0
	s_mov_b32 s10, -1
	s_mov_b32 s9, 0
	s_cmp_gt_i32 s6, 25
	s_mov_b32 s8, 0
	s_cbranch_scc0 .LBB62_5695
; %bb.5671:
	s_cmp_gt_i32 s6, 28
	s_cbranch_scc0 .LBB62_5684
; %bb.5672:
	s_cmp_gt_i32 s6, 43
	;; [unrolled: 3-line block ×3, first 2 shown]
	s_cbranch_scc0 .LBB62_5676
; %bb.5674:
	s_mov_b32 s7, -1
	s_mov_b32 s10, 0
	s_cmp_eq_u32 s6, 46
	s_cbranch_scc0 .LBB62_5676
; %bb.5675:
	v_mov_b32_e32 v1, 0
	s_mov_b32 s7, 0
	s_mov_b32 s8, -1
	global_store_b32 v[2:3], v1, off
.LBB62_5676:
	s_and_b32 vcc_lo, exec_lo, s10
	s_cbranch_vccz .LBB62_5679
; %bb.5677:
	s_cmp_eq_u32 s6, 44
	s_mov_b32 s7, -1
	s_cbranch_scc0 .LBB62_5679
; %bb.5678:
	s_wait_xcnt 0x0
	v_mov_b32_e32 v1, 0
	s_mov_b32 s7, 0
	s_mov_b32 s8, -1
	global_store_b8 v[2:3], v1, off
.LBB62_5679:
	s_mov_b32 s10, 0
.LBB62_5680:
	s_delay_alu instid0(SALU_CYCLE_1)
	s_and_b32 vcc_lo, exec_lo, s10
	s_cbranch_vccz .LBB62_5683
; %bb.5681:
	s_cmp_eq_u32 s6, 29
	s_mov_b32 s7, -1
	s_cbranch_scc0 .LBB62_5683
; %bb.5682:
	v_mov_b64_e32 v[4:5], 0
	s_mov_b32 s7, 0
	s_mov_b32 s8, -1
	global_store_b64 v[2:3], v[4:5], off
.LBB62_5683:
	s_mov_b32 s10, 0
.LBB62_5684:
	s_delay_alu instid0(SALU_CYCLE_1)
	s_and_b32 vcc_lo, exec_lo, s10
	s_cbranch_vccz .LBB62_5694
; %bb.5685:
	s_cmp_lt_i32 s6, 27
	s_mov_b32 s8, -1
	s_cbranch_scc1 .LBB62_5691
; %bb.5686:
	s_cmp_gt_i32 s6, 27
	s_cbranch_scc0 .LBB62_5688
; %bb.5687:
	s_wait_xcnt 0x0
	v_mov_b32_e32 v1, 0
	s_mov_b32 s8, 0
	global_store_b32 v[2:3], v1, off
.LBB62_5688:
	s_and_not1_b32 vcc_lo, exec_lo, s8
	s_cbranch_vccnz .LBB62_5690
; %bb.5689:
	s_wait_xcnt 0x0
	v_mov_b32_e32 v1, 0
	global_store_b16 v[2:3], v1, off
.LBB62_5690:
	s_mov_b32 s8, 0
.LBB62_5691:
	s_delay_alu instid0(SALU_CYCLE_1)
	s_and_not1_b32 vcc_lo, exec_lo, s8
	s_cbranch_vccnz .LBB62_5693
; %bb.5692:
	s_wait_xcnt 0x0
	v_mov_b32_e32 v1, 0
	global_store_b8 v[2:3], v1, off
.LBB62_5693:
	s_mov_b32 s8, -1
.LBB62_5694:
	s_mov_b32 s10, 0
.LBB62_5695:
	s_delay_alu instid0(SALU_CYCLE_1)
	s_and_b32 vcc_lo, exec_lo, s10
	s_cbranch_vccz .LBB62_5713
; %bb.5696:
	s_cmp_gt_i32 s6, 22
	s_mov_b32 s9, -1
	s_cbranch_scc0 .LBB62_5706
; %bb.5697:
	s_cmp_lt_i32 s6, 24
	s_mov_b32 s8, -1
	s_cbranch_scc1 .LBB62_5703
; %bb.5698:
	s_cmp_gt_i32 s6, 24
	s_cbranch_scc0 .LBB62_5700
; %bb.5699:
	s_wait_xcnt 0x0
	v_mov_b32_e32 v1, 0
	s_mov_b32 s8, 0
	global_store_b8 v[2:3], v1, off
.LBB62_5700:
	s_and_not1_b32 vcc_lo, exec_lo, s8
	s_cbranch_vccnz .LBB62_5702
; %bb.5701:
	s_wait_xcnt 0x0
	v_mov_b32_e32 v1, 0
	global_store_b8 v[2:3], v1, off
.LBB62_5702:
	s_mov_b32 s8, 0
.LBB62_5703:
	s_delay_alu instid0(SALU_CYCLE_1)
	s_and_not1_b32 vcc_lo, exec_lo, s8
	s_cbranch_vccnz .LBB62_5705
; %bb.5704:
	s_wait_xcnt 0x0
	v_mov_b32_e32 v1, 0
	global_store_b8 v[2:3], v1, off
.LBB62_5705:
	s_mov_b32 s9, 0
	s_mov_b32 s8, -1
.LBB62_5706:
	s_and_not1_b32 vcc_lo, exec_lo, s9
	s_mov_b32 s9, 0
	s_cbranch_vccnz .LBB62_5713
; %bb.5707:
	s_cmp_gt_i32 s6, 14
	s_mov_b32 s9, -1
	s_cbranch_scc0 .LBB62_5711
; %bb.5708:
	s_cmp_eq_u32 s6, 15
	s_mov_b32 s7, -1
	s_cbranch_scc0 .LBB62_5710
; %bb.5709:
	s_wait_xcnt 0x0
	v_mov_b32_e32 v1, 0
	s_mov_b32 s7, 0
	s_mov_b32 s8, -1
	global_store_b16 v[2:3], v1, off
.LBB62_5710:
	s_mov_b32 s9, 0
.LBB62_5711:
	s_delay_alu instid0(SALU_CYCLE_1)
	s_and_b32 vcc_lo, exec_lo, s9
	s_mov_b32 s9, 0
	s_cbranch_vccz .LBB62_5713
; %bb.5712:
	s_cmp_lg_u32 s6, 11
	s_mov_b32 s9, -1
	s_cselect_b32 s7, -1, 0
.LBB62_5713:
	s_delay_alu instid0(SALU_CYCLE_1)
	s_and_b32 vcc_lo, exec_lo, s7
	s_mov_b32 s6, s2
	s_cbranch_vccnz .LBB62_5991
; %bb.5714:
	s_and_not1_b32 vcc_lo, exec_lo, s9
	s_cbranch_vccnz .LBB62_5716
.LBB62_5715:
	s_wait_xcnt 0x0
	v_mov_b32_e32 v1, 0
	s_mov_b32 s8, -1
	global_store_b8 v[2:3], v1, off
.LBB62_5716:
	s_mov_b32 s7, 0
	s_branch .LBB62_5719
.LBB62_5717:
	s_or_b32 s19, s19, exec_lo
	s_trap 2
	s_cbranch_execz .LBB62_5590
	s_branch .LBB62_5591
.LBB62_5718:
	s_mov_b32 s7, -1
	s_mov_b32 s8, 0
	s_mov_b32 s6, s2
.LBB62_5719:
	s_and_b32 vcc_lo, exec_lo, s7
	s_cbranch_vccz .LBB62_5758
; %bb.5720:
	s_and_b32 s7, 0xffff, s0
	s_mov_b32 s8, -1
	s_cmp_lt_i32 s7, 5
	s_cbranch_scc1 .LBB62_5741
; %bb.5721:
	s_cmp_lt_i32 s7, 8
	s_cbranch_scc1 .LBB62_5731
; %bb.5722:
	;; [unrolled: 3-line block ×3, first 2 shown]
	s_cmp_gt_i32 s7, 9
	s_cbranch_scc0 .LBB62_5725
; %bb.5724:
	s_wait_xcnt 0x0
	v_mov_b32_e32 v4, 0
	s_mov_b32 s8, 0
	s_delay_alu instid0(VALU_DEP_1)
	v_dual_mov_b32 v5, v4 :: v_dual_mov_b32 v6, v4
	v_mov_b32_e32 v7, v4
	global_store_b128 v[2:3], v[4:7], off
.LBB62_5725:
	s_and_not1_b32 vcc_lo, exec_lo, s8
	s_cbranch_vccnz .LBB62_5727
; %bb.5726:
	s_wait_xcnt 0x0
	v_mov_b64_e32 v[4:5], 0
	global_store_b64 v[2:3], v[4:5], off
.LBB62_5727:
	s_mov_b32 s8, 0
.LBB62_5728:
	s_delay_alu instid0(SALU_CYCLE_1)
	s_and_not1_b32 vcc_lo, exec_lo, s8
	s_cbranch_vccnz .LBB62_5730
; %bb.5729:
	s_wait_xcnt 0x0
	v_mov_b32_e32 v1, 0
	global_store_b32 v[2:3], v1, off
.LBB62_5730:
	s_mov_b32 s8, 0
.LBB62_5731:
	s_delay_alu instid0(SALU_CYCLE_1)
	s_and_not1_b32 vcc_lo, exec_lo, s8
	s_cbranch_vccnz .LBB62_5740
; %bb.5732:
	s_cmp_lt_i32 s7, 6
	s_mov_b32 s8, -1
	s_cbranch_scc1 .LBB62_5738
; %bb.5733:
	s_cmp_gt_i32 s7, 6
	s_cbranch_scc0 .LBB62_5735
; %bb.5734:
	s_wait_xcnt 0x0
	v_mov_b64_e32 v[4:5], 0
	s_mov_b32 s8, 0
	global_store_b64 v[2:3], v[4:5], off
.LBB62_5735:
	s_and_not1_b32 vcc_lo, exec_lo, s8
	s_cbranch_vccnz .LBB62_5737
; %bb.5736:
	s_wait_xcnt 0x0
	v_mov_b32_e32 v1, 0
	global_store_b32 v[2:3], v1, off
.LBB62_5737:
	s_mov_b32 s8, 0
.LBB62_5738:
	s_delay_alu instid0(SALU_CYCLE_1)
	s_and_not1_b32 vcc_lo, exec_lo, s8
	s_cbranch_vccnz .LBB62_5740
; %bb.5739:
	s_wait_xcnt 0x0
	v_mov_b32_e32 v1, 0
	global_store_b16 v[2:3], v1, off
.LBB62_5740:
	s_mov_b32 s8, 0
.LBB62_5741:
	s_delay_alu instid0(SALU_CYCLE_1)
	s_and_not1_b32 vcc_lo, exec_lo, s8
	s_cbranch_vccnz .LBB62_5757
; %bb.5742:
	s_cmp_lt_i32 s7, 2
	s_mov_b32 s8, -1
	s_cbranch_scc1 .LBB62_5752
; %bb.5743:
	s_cmp_lt_i32 s7, 3
	s_cbranch_scc1 .LBB62_5749
; %bb.5744:
	s_cmp_gt_i32 s7, 3
	s_cbranch_scc0 .LBB62_5746
; %bb.5745:
	s_wait_xcnt 0x0
	v_mov_b64_e32 v[4:5], 0
	s_mov_b32 s8, 0
	global_store_b64 v[2:3], v[4:5], off
.LBB62_5746:
	s_and_not1_b32 vcc_lo, exec_lo, s8
	s_cbranch_vccnz .LBB62_5748
; %bb.5747:
	s_wait_xcnt 0x0
	v_mov_b32_e32 v1, 0
	global_store_b32 v[2:3], v1, off
.LBB62_5748:
	s_mov_b32 s8, 0
.LBB62_5749:
	s_delay_alu instid0(SALU_CYCLE_1)
	s_and_not1_b32 vcc_lo, exec_lo, s8
	s_cbranch_vccnz .LBB62_5751
; %bb.5750:
	s_wait_xcnt 0x0
	v_mov_b32_e32 v1, 0
	global_store_b16 v[2:3], v1, off
.LBB62_5751:
	s_mov_b32 s8, 0
.LBB62_5752:
	s_delay_alu instid0(SALU_CYCLE_1)
	s_and_not1_b32 vcc_lo, exec_lo, s8
	s_cbranch_vccnz .LBB62_5757
; %bb.5753:
	s_cmp_gt_i32 s7, 0
	s_mov_b32 s7, -1
	s_cbranch_scc0 .LBB62_5755
; %bb.5754:
	s_wait_xcnt 0x0
	v_mov_b32_e32 v1, 0
	s_mov_b32 s7, 0
	global_store_b8 v[2:3], v1, off
.LBB62_5755:
	s_and_not1_b32 vcc_lo, exec_lo, s7
	s_cbranch_vccnz .LBB62_5757
; %bb.5756:
	s_wait_xcnt 0x0
	v_mov_b32_e32 v1, 0
	global_store_b8 v[2:3], v1, off
.LBB62_5757:
	s_mov_b32 s8, -1
.LBB62_5758:
	s_delay_alu instid0(SALU_CYCLE_1)
	s_and_not1_b32 vcc_lo, exec_lo, s8
	s_cbranch_vccnz .LBB62_5983
; %bb.5759:
	s_lshl_b32 s7, s16, 7
	s_cmp_lt_i32 s0, 11
	v_add_nc_u32_e32 v0, s7, v0
	s_wait_xcnt 0x0
	s_delay_alu instid0(VALU_DEP_1) | instskip(NEXT) | instid1(VALU_DEP_1)
	v_ashrrev_i32_e32 v1, 31, v0
	v_add_nc_u64_e32 v[2:3], s[4:5], v[0:1]
	s_cbranch_scc1 .LBB62_5807
; %bb.5760:
	s_and_b32 s8, 0xffff, s0
	s_mov_b32 s12, -1
	s_mov_b32 s11, 0
	s_cmp_gt_i32 s8, 25
	s_mov_b32 s10, 0
	s_mov_b32 s9, 0
	s_cbranch_scc0 .LBB62_5785
; %bb.5761:
	s_cmp_gt_i32 s8, 28
	s_cbranch_scc0 .LBB62_5774
; %bb.5762:
	s_cmp_gt_i32 s8, 43
	;; [unrolled: 3-line block ×3, first 2 shown]
	s_cbranch_scc0 .LBB62_5766
; %bb.5764:
	s_mov_b32 s9, -1
	s_mov_b32 s12, 0
	s_cmp_eq_u32 s8, 46
	s_cbranch_scc0 .LBB62_5766
; %bb.5765:
	v_mov_b32_e32 v1, 0
	s_mov_b32 s9, 0
	s_mov_b32 s10, -1
	global_store_b32 v[2:3], v1, off
.LBB62_5766:
	s_and_b32 vcc_lo, exec_lo, s12
	s_cbranch_vccz .LBB62_5769
; %bb.5767:
	s_cmp_eq_u32 s8, 44
	s_mov_b32 s9, -1
	s_cbranch_scc0 .LBB62_5769
; %bb.5768:
	s_wait_xcnt 0x0
	v_mov_b32_e32 v1, 0
	s_mov_b32 s9, 0
	s_mov_b32 s10, -1
	global_store_b8 v[2:3], v1, off
.LBB62_5769:
	s_mov_b32 s12, 0
.LBB62_5770:
	s_delay_alu instid0(SALU_CYCLE_1)
	s_and_b32 vcc_lo, exec_lo, s12
	s_cbranch_vccz .LBB62_5773
; %bb.5771:
	s_cmp_eq_u32 s8, 29
	s_mov_b32 s9, -1
	s_cbranch_scc0 .LBB62_5773
; %bb.5772:
	v_mov_b64_e32 v[4:5], 0
	s_mov_b32 s9, 0
	s_mov_b32 s10, -1
	global_store_b64 v[2:3], v[4:5], off
.LBB62_5773:
	s_mov_b32 s12, 0
.LBB62_5774:
	s_delay_alu instid0(SALU_CYCLE_1)
	s_and_b32 vcc_lo, exec_lo, s12
	s_cbranch_vccz .LBB62_5784
; %bb.5775:
	s_cmp_lt_i32 s8, 27
	s_mov_b32 s10, -1
	s_cbranch_scc1 .LBB62_5781
; %bb.5776:
	s_cmp_gt_i32 s8, 27
	s_cbranch_scc0 .LBB62_5778
; %bb.5777:
	s_wait_xcnt 0x0
	v_mov_b32_e32 v1, 0
	s_mov_b32 s10, 0
	global_store_b32 v[2:3], v1, off
.LBB62_5778:
	s_and_not1_b32 vcc_lo, exec_lo, s10
	s_cbranch_vccnz .LBB62_5780
; %bb.5779:
	s_wait_xcnt 0x0
	v_mov_b32_e32 v1, 0
	global_store_b16 v[2:3], v1, off
.LBB62_5780:
	s_mov_b32 s10, 0
.LBB62_5781:
	s_delay_alu instid0(SALU_CYCLE_1)
	s_and_not1_b32 vcc_lo, exec_lo, s10
	s_cbranch_vccnz .LBB62_5783
; %bb.5782:
	s_wait_xcnt 0x0
	v_mov_b32_e32 v1, 0
	global_store_b8 v[2:3], v1, off
.LBB62_5783:
	s_mov_b32 s10, -1
.LBB62_5784:
	s_mov_b32 s12, 0
.LBB62_5785:
	s_delay_alu instid0(SALU_CYCLE_1)
	s_and_b32 vcc_lo, exec_lo, s12
	s_cbranch_vccz .LBB62_5803
; %bb.5786:
	s_cmp_gt_i32 s8, 22
	s_mov_b32 s11, -1
	s_cbranch_scc0 .LBB62_5796
; %bb.5787:
	s_cmp_lt_i32 s8, 24
	s_mov_b32 s10, -1
	s_cbranch_scc1 .LBB62_5793
; %bb.5788:
	s_cmp_gt_i32 s8, 24
	s_cbranch_scc0 .LBB62_5790
; %bb.5789:
	s_wait_xcnt 0x0
	v_mov_b32_e32 v1, 0
	s_mov_b32 s10, 0
	global_store_b8 v[2:3], v1, off
.LBB62_5790:
	s_and_not1_b32 vcc_lo, exec_lo, s10
	s_cbranch_vccnz .LBB62_5792
; %bb.5791:
	s_wait_xcnt 0x0
	v_mov_b32_e32 v1, 0
	global_store_b8 v[2:3], v1, off
.LBB62_5792:
	s_mov_b32 s10, 0
.LBB62_5793:
	s_delay_alu instid0(SALU_CYCLE_1)
	s_and_not1_b32 vcc_lo, exec_lo, s10
	s_cbranch_vccnz .LBB62_5795
; %bb.5794:
	s_wait_xcnt 0x0
	v_mov_b32_e32 v1, 0
	global_store_b8 v[2:3], v1, off
.LBB62_5795:
	s_mov_b32 s11, 0
	s_mov_b32 s10, -1
.LBB62_5796:
	s_and_not1_b32 vcc_lo, exec_lo, s11
	s_mov_b32 s11, 0
	s_cbranch_vccnz .LBB62_5803
; %bb.5797:
	s_cmp_gt_i32 s8, 14
	s_mov_b32 s11, -1
	s_cbranch_scc0 .LBB62_5801
; %bb.5798:
	s_cmp_eq_u32 s8, 15
	s_mov_b32 s9, -1
	s_cbranch_scc0 .LBB62_5800
; %bb.5799:
	s_wait_xcnt 0x0
	v_mov_b32_e32 v1, 0
	s_mov_b32 s9, 0
	s_mov_b32 s10, -1
	global_store_b16 v[2:3], v1, off
.LBB62_5800:
	s_mov_b32 s11, 0
.LBB62_5801:
	s_delay_alu instid0(SALU_CYCLE_1)
	s_and_b32 vcc_lo, exec_lo, s11
	s_mov_b32 s11, 0
	s_cbranch_vccz .LBB62_5803
; %bb.5802:
	s_cmp_lg_u32 s8, 11
	s_mov_b32 s11, -1
	s_cselect_b32 s9, -1, 0
.LBB62_5803:
	s_delay_alu instid0(SALU_CYCLE_1)
	s_and_b32 vcc_lo, exec_lo, s9
	s_cbranch_vccnz .LBB62_5992
; %bb.5804:
	s_and_not1_b32 vcc_lo, exec_lo, s11
	s_cbranch_vccnz .LBB62_5806
.LBB62_5805:
	s_wait_xcnt 0x0
	v_mov_b32_e32 v1, 0
	s_mov_b32 s10, -1
	global_store_b8 v[2:3], v1, off
.LBB62_5806:
	s_mov_b32 s8, 0
	s_branch .LBB62_5808
.LBB62_5807:
	s_mov_b32 s8, -1
	s_mov_b32 s10, 0
.LBB62_5808:
	s_and_b32 vcc_lo, exec_lo, s8
	s_cbranch_vccz .LBB62_5847
; %bb.5809:
	s_and_b32 s8, 0xffff, s0
	s_mov_b32 s9, -1
	s_cmp_lt_i32 s8, 5
	s_cbranch_scc1 .LBB62_5830
; %bb.5810:
	s_cmp_lt_i32 s8, 8
	s_cbranch_scc1 .LBB62_5820
; %bb.5811:
	;; [unrolled: 3-line block ×3, first 2 shown]
	s_cmp_gt_i32 s8, 9
	s_cbranch_scc0 .LBB62_5814
; %bb.5813:
	s_wait_xcnt 0x0
	v_mov_b32_e32 v4, 0
	s_mov_b32 s9, 0
	s_delay_alu instid0(VALU_DEP_1)
	v_dual_mov_b32 v5, v4 :: v_dual_mov_b32 v6, v4
	v_mov_b32_e32 v7, v4
	global_store_b128 v[2:3], v[4:7], off
.LBB62_5814:
	s_and_not1_b32 vcc_lo, exec_lo, s9
	s_cbranch_vccnz .LBB62_5816
; %bb.5815:
	s_wait_xcnt 0x0
	v_mov_b64_e32 v[4:5], 0
	global_store_b64 v[2:3], v[4:5], off
.LBB62_5816:
	s_mov_b32 s9, 0
.LBB62_5817:
	s_delay_alu instid0(SALU_CYCLE_1)
	s_and_not1_b32 vcc_lo, exec_lo, s9
	s_cbranch_vccnz .LBB62_5819
; %bb.5818:
	s_wait_xcnt 0x0
	v_mov_b32_e32 v1, 0
	global_store_b32 v[2:3], v1, off
.LBB62_5819:
	s_mov_b32 s9, 0
.LBB62_5820:
	s_delay_alu instid0(SALU_CYCLE_1)
	s_and_not1_b32 vcc_lo, exec_lo, s9
	s_cbranch_vccnz .LBB62_5829
; %bb.5821:
	s_cmp_lt_i32 s8, 6
	s_mov_b32 s9, -1
	s_cbranch_scc1 .LBB62_5827
; %bb.5822:
	s_cmp_gt_i32 s8, 6
	s_cbranch_scc0 .LBB62_5824
; %bb.5823:
	s_wait_xcnt 0x0
	v_mov_b64_e32 v[4:5], 0
	s_mov_b32 s9, 0
	global_store_b64 v[2:3], v[4:5], off
.LBB62_5824:
	s_and_not1_b32 vcc_lo, exec_lo, s9
	s_cbranch_vccnz .LBB62_5826
; %bb.5825:
	s_wait_xcnt 0x0
	v_mov_b32_e32 v1, 0
	global_store_b32 v[2:3], v1, off
.LBB62_5826:
	s_mov_b32 s9, 0
.LBB62_5827:
	s_delay_alu instid0(SALU_CYCLE_1)
	s_and_not1_b32 vcc_lo, exec_lo, s9
	s_cbranch_vccnz .LBB62_5829
; %bb.5828:
	s_wait_xcnt 0x0
	v_mov_b32_e32 v1, 0
	global_store_b16 v[2:3], v1, off
.LBB62_5829:
	s_mov_b32 s9, 0
.LBB62_5830:
	s_delay_alu instid0(SALU_CYCLE_1)
	s_and_not1_b32 vcc_lo, exec_lo, s9
	s_cbranch_vccnz .LBB62_5846
; %bb.5831:
	s_cmp_lt_i32 s8, 2
	s_mov_b32 s9, -1
	s_cbranch_scc1 .LBB62_5841
; %bb.5832:
	s_cmp_lt_i32 s8, 3
	s_cbranch_scc1 .LBB62_5838
; %bb.5833:
	s_cmp_gt_i32 s8, 3
	s_cbranch_scc0 .LBB62_5835
; %bb.5834:
	s_wait_xcnt 0x0
	v_mov_b64_e32 v[4:5], 0
	s_mov_b32 s9, 0
	global_store_b64 v[2:3], v[4:5], off
.LBB62_5835:
	s_and_not1_b32 vcc_lo, exec_lo, s9
	s_cbranch_vccnz .LBB62_5837
; %bb.5836:
	s_wait_xcnt 0x0
	v_mov_b32_e32 v1, 0
	global_store_b32 v[2:3], v1, off
.LBB62_5837:
	s_mov_b32 s9, 0
.LBB62_5838:
	s_delay_alu instid0(SALU_CYCLE_1)
	s_and_not1_b32 vcc_lo, exec_lo, s9
	s_cbranch_vccnz .LBB62_5840
; %bb.5839:
	s_wait_xcnt 0x0
	v_mov_b32_e32 v1, 0
	global_store_b16 v[2:3], v1, off
.LBB62_5840:
	s_mov_b32 s9, 0
.LBB62_5841:
	s_delay_alu instid0(SALU_CYCLE_1)
	s_and_not1_b32 vcc_lo, exec_lo, s9
	s_cbranch_vccnz .LBB62_5846
; %bb.5842:
	s_cmp_gt_i32 s8, 0
	s_mov_b32 s8, -1
	s_cbranch_scc0 .LBB62_5844
; %bb.5843:
	s_wait_xcnt 0x0
	v_mov_b32_e32 v1, 0
	s_mov_b32 s8, 0
	global_store_b8 v[2:3], v1, off
.LBB62_5844:
	s_and_not1_b32 vcc_lo, exec_lo, s8
	s_cbranch_vccnz .LBB62_5846
; %bb.5845:
	s_wait_xcnt 0x0
	v_mov_b32_e32 v1, 0
	global_store_b8 v[2:3], v1, off
.LBB62_5846:
	s_mov_b32 s10, -1
.LBB62_5847:
	s_delay_alu instid0(SALU_CYCLE_1)
	s_and_not1_b32 vcc_lo, exec_lo, s10
	s_cbranch_vccnz .LBB62_5983
; %bb.5848:
	v_add_nc_u32_e32 v0, s7, v0
	s_cmp_lt_i32 s0, 11
	s_wait_xcnt 0x0
	s_delay_alu instid0(VALU_DEP_1) | instskip(NEXT) | instid1(VALU_DEP_1)
	v_ashrrev_i32_e32 v1, 31, v0
	v_add_nc_u64_e32 v[2:3], s[4:5], v[0:1]
	s_cbranch_scc1 .LBB62_5896
; %bb.5849:
	s_and_b32 s8, 0xffff, s0
	s_mov_b32 s12, -1
	s_mov_b32 s11, 0
	s_cmp_gt_i32 s8, 25
	s_mov_b32 s10, 0
	s_mov_b32 s9, 0
	s_cbranch_scc0 .LBB62_5874
; %bb.5850:
	s_cmp_gt_i32 s8, 28
	s_cbranch_scc0 .LBB62_5863
; %bb.5851:
	s_cmp_gt_i32 s8, 43
	s_cbranch_scc0 .LBB62_5859
; %bb.5852:
	s_cmp_gt_i32 s8, 45
	s_cbranch_scc0 .LBB62_5855
; %bb.5853:
	s_mov_b32 s9, -1
	s_mov_b32 s12, 0
	s_cmp_eq_u32 s8, 46
	s_cbranch_scc0 .LBB62_5855
; %bb.5854:
	v_mov_b32_e32 v1, 0
	s_mov_b32 s9, 0
	s_mov_b32 s10, -1
	global_store_b32 v[2:3], v1, off
.LBB62_5855:
	s_and_b32 vcc_lo, exec_lo, s12
	s_cbranch_vccz .LBB62_5858
; %bb.5856:
	s_cmp_eq_u32 s8, 44
	s_mov_b32 s9, -1
	s_cbranch_scc0 .LBB62_5858
; %bb.5857:
	s_wait_xcnt 0x0
	v_mov_b32_e32 v1, 0
	s_mov_b32 s9, 0
	s_mov_b32 s10, -1
	global_store_b8 v[2:3], v1, off
.LBB62_5858:
	s_mov_b32 s12, 0
.LBB62_5859:
	s_delay_alu instid0(SALU_CYCLE_1)
	s_and_b32 vcc_lo, exec_lo, s12
	s_cbranch_vccz .LBB62_5862
; %bb.5860:
	s_cmp_eq_u32 s8, 29
	s_mov_b32 s9, -1
	s_cbranch_scc0 .LBB62_5862
; %bb.5861:
	v_mov_b64_e32 v[4:5], 0
	s_mov_b32 s9, 0
	s_mov_b32 s10, -1
	global_store_b64 v[2:3], v[4:5], off
.LBB62_5862:
	s_mov_b32 s12, 0
.LBB62_5863:
	s_delay_alu instid0(SALU_CYCLE_1)
	s_and_b32 vcc_lo, exec_lo, s12
	s_cbranch_vccz .LBB62_5873
; %bb.5864:
	s_cmp_lt_i32 s8, 27
	s_mov_b32 s10, -1
	s_cbranch_scc1 .LBB62_5870
; %bb.5865:
	s_cmp_gt_i32 s8, 27
	s_cbranch_scc0 .LBB62_5867
; %bb.5866:
	s_wait_xcnt 0x0
	v_mov_b32_e32 v1, 0
	s_mov_b32 s10, 0
	global_store_b32 v[2:3], v1, off
.LBB62_5867:
	s_and_not1_b32 vcc_lo, exec_lo, s10
	s_cbranch_vccnz .LBB62_5869
; %bb.5868:
	s_wait_xcnt 0x0
	v_mov_b32_e32 v1, 0
	global_store_b16 v[2:3], v1, off
.LBB62_5869:
	s_mov_b32 s10, 0
.LBB62_5870:
	s_delay_alu instid0(SALU_CYCLE_1)
	s_and_not1_b32 vcc_lo, exec_lo, s10
	s_cbranch_vccnz .LBB62_5872
; %bb.5871:
	s_wait_xcnt 0x0
	v_mov_b32_e32 v1, 0
	global_store_b8 v[2:3], v1, off
.LBB62_5872:
	s_mov_b32 s10, -1
.LBB62_5873:
	s_mov_b32 s12, 0
.LBB62_5874:
	s_delay_alu instid0(SALU_CYCLE_1)
	s_and_b32 vcc_lo, exec_lo, s12
	s_cbranch_vccz .LBB62_5892
; %bb.5875:
	s_cmp_gt_i32 s8, 22
	s_mov_b32 s11, -1
	s_cbranch_scc0 .LBB62_5885
; %bb.5876:
	s_cmp_lt_i32 s8, 24
	s_mov_b32 s10, -1
	s_cbranch_scc1 .LBB62_5882
; %bb.5877:
	s_cmp_gt_i32 s8, 24
	s_cbranch_scc0 .LBB62_5879
; %bb.5878:
	s_wait_xcnt 0x0
	v_mov_b32_e32 v1, 0
	s_mov_b32 s10, 0
	global_store_b8 v[2:3], v1, off
.LBB62_5879:
	s_and_not1_b32 vcc_lo, exec_lo, s10
	s_cbranch_vccnz .LBB62_5881
; %bb.5880:
	s_wait_xcnt 0x0
	v_mov_b32_e32 v1, 0
	global_store_b8 v[2:3], v1, off
.LBB62_5881:
	s_mov_b32 s10, 0
.LBB62_5882:
	s_delay_alu instid0(SALU_CYCLE_1)
	s_and_not1_b32 vcc_lo, exec_lo, s10
	s_cbranch_vccnz .LBB62_5884
; %bb.5883:
	s_wait_xcnt 0x0
	v_mov_b32_e32 v1, 0
	global_store_b8 v[2:3], v1, off
.LBB62_5884:
	s_mov_b32 s11, 0
	s_mov_b32 s10, -1
.LBB62_5885:
	s_and_not1_b32 vcc_lo, exec_lo, s11
	s_mov_b32 s11, 0
	s_cbranch_vccnz .LBB62_5892
; %bb.5886:
	s_cmp_gt_i32 s8, 14
	s_mov_b32 s11, -1
	s_cbranch_scc0 .LBB62_5890
; %bb.5887:
	s_cmp_eq_u32 s8, 15
	s_mov_b32 s9, -1
	s_cbranch_scc0 .LBB62_5889
; %bb.5888:
	s_wait_xcnt 0x0
	v_mov_b32_e32 v1, 0
	s_mov_b32 s9, 0
	s_mov_b32 s10, -1
	global_store_b16 v[2:3], v1, off
.LBB62_5889:
	s_mov_b32 s11, 0
.LBB62_5890:
	s_delay_alu instid0(SALU_CYCLE_1)
	s_and_b32 vcc_lo, exec_lo, s11
	s_mov_b32 s11, 0
	s_cbranch_vccz .LBB62_5892
; %bb.5891:
	s_cmp_lg_u32 s8, 11
	s_mov_b32 s11, -1
	s_cselect_b32 s9, -1, 0
.LBB62_5892:
	s_delay_alu instid0(SALU_CYCLE_1)
	s_and_b32 vcc_lo, exec_lo, s9
	s_cbranch_vccnz .LBB62_5994
; %bb.5893:
	s_and_not1_b32 vcc_lo, exec_lo, s11
	s_cbranch_vccnz .LBB62_5895
.LBB62_5894:
	s_wait_xcnt 0x0
	v_mov_b32_e32 v1, 0
	s_mov_b32 s10, -1
	global_store_b8 v[2:3], v1, off
.LBB62_5895:
	s_mov_b32 s8, 0
	s_branch .LBB62_5897
.LBB62_5896:
	s_mov_b32 s8, -1
	s_mov_b32 s10, 0
.LBB62_5897:
	s_and_b32 vcc_lo, exec_lo, s8
	s_cbranch_vccz .LBB62_5936
; %bb.5898:
	s_and_b32 s8, 0xffff, s0
	s_mov_b32 s9, -1
	s_cmp_lt_i32 s8, 5
	s_cbranch_scc1 .LBB62_5919
; %bb.5899:
	s_cmp_lt_i32 s8, 8
	s_cbranch_scc1 .LBB62_5909
; %bb.5900:
	s_cmp_lt_i32 s8, 9
	s_cbranch_scc1 .LBB62_5906
; %bb.5901:
	s_cmp_gt_i32 s8, 9
	s_cbranch_scc0 .LBB62_5903
; %bb.5902:
	s_wait_xcnt 0x0
	v_mov_b32_e32 v4, 0
	s_mov_b32 s9, 0
	s_delay_alu instid0(VALU_DEP_1)
	v_dual_mov_b32 v5, v4 :: v_dual_mov_b32 v6, v4
	v_mov_b32_e32 v7, v4
	global_store_b128 v[2:3], v[4:7], off
.LBB62_5903:
	s_and_not1_b32 vcc_lo, exec_lo, s9
	s_cbranch_vccnz .LBB62_5905
; %bb.5904:
	s_wait_xcnt 0x0
	v_mov_b64_e32 v[4:5], 0
	global_store_b64 v[2:3], v[4:5], off
.LBB62_5905:
	s_mov_b32 s9, 0
.LBB62_5906:
	s_delay_alu instid0(SALU_CYCLE_1)
	s_and_not1_b32 vcc_lo, exec_lo, s9
	s_cbranch_vccnz .LBB62_5908
; %bb.5907:
	s_wait_xcnt 0x0
	v_mov_b32_e32 v1, 0
	global_store_b32 v[2:3], v1, off
.LBB62_5908:
	s_mov_b32 s9, 0
.LBB62_5909:
	s_delay_alu instid0(SALU_CYCLE_1)
	s_and_not1_b32 vcc_lo, exec_lo, s9
	s_cbranch_vccnz .LBB62_5918
; %bb.5910:
	s_cmp_lt_i32 s8, 6
	s_mov_b32 s9, -1
	s_cbranch_scc1 .LBB62_5916
; %bb.5911:
	s_cmp_gt_i32 s8, 6
	s_cbranch_scc0 .LBB62_5913
; %bb.5912:
	s_wait_xcnt 0x0
	v_mov_b64_e32 v[4:5], 0
	s_mov_b32 s9, 0
	global_store_b64 v[2:3], v[4:5], off
.LBB62_5913:
	s_and_not1_b32 vcc_lo, exec_lo, s9
	s_cbranch_vccnz .LBB62_5915
; %bb.5914:
	s_wait_xcnt 0x0
	v_mov_b32_e32 v1, 0
	global_store_b32 v[2:3], v1, off
.LBB62_5915:
	s_mov_b32 s9, 0
.LBB62_5916:
	s_delay_alu instid0(SALU_CYCLE_1)
	s_and_not1_b32 vcc_lo, exec_lo, s9
	s_cbranch_vccnz .LBB62_5918
; %bb.5917:
	s_wait_xcnt 0x0
	v_mov_b32_e32 v1, 0
	global_store_b16 v[2:3], v1, off
.LBB62_5918:
	s_mov_b32 s9, 0
.LBB62_5919:
	s_delay_alu instid0(SALU_CYCLE_1)
	s_and_not1_b32 vcc_lo, exec_lo, s9
	s_cbranch_vccnz .LBB62_5935
; %bb.5920:
	s_cmp_lt_i32 s8, 2
	s_mov_b32 s9, -1
	s_cbranch_scc1 .LBB62_5930
; %bb.5921:
	s_cmp_lt_i32 s8, 3
	s_cbranch_scc1 .LBB62_5927
; %bb.5922:
	s_cmp_gt_i32 s8, 3
	s_cbranch_scc0 .LBB62_5924
; %bb.5923:
	s_wait_xcnt 0x0
	v_mov_b64_e32 v[4:5], 0
	s_mov_b32 s9, 0
	global_store_b64 v[2:3], v[4:5], off
.LBB62_5924:
	s_and_not1_b32 vcc_lo, exec_lo, s9
	s_cbranch_vccnz .LBB62_5926
; %bb.5925:
	s_wait_xcnt 0x0
	v_mov_b32_e32 v1, 0
	global_store_b32 v[2:3], v1, off
.LBB62_5926:
	s_mov_b32 s9, 0
.LBB62_5927:
	s_delay_alu instid0(SALU_CYCLE_1)
	s_and_not1_b32 vcc_lo, exec_lo, s9
	s_cbranch_vccnz .LBB62_5929
; %bb.5928:
	s_wait_xcnt 0x0
	v_mov_b32_e32 v1, 0
	global_store_b16 v[2:3], v1, off
.LBB62_5929:
	s_mov_b32 s9, 0
.LBB62_5930:
	s_delay_alu instid0(SALU_CYCLE_1)
	s_and_not1_b32 vcc_lo, exec_lo, s9
	s_cbranch_vccnz .LBB62_5935
; %bb.5931:
	s_cmp_gt_i32 s8, 0
	s_mov_b32 s8, -1
	s_cbranch_scc0 .LBB62_5933
; %bb.5932:
	s_wait_xcnt 0x0
	v_mov_b32_e32 v1, 0
	s_mov_b32 s8, 0
	global_store_b8 v[2:3], v1, off
.LBB62_5933:
	s_and_not1_b32 vcc_lo, exec_lo, s8
	s_cbranch_vccnz .LBB62_5935
; %bb.5934:
	s_wait_xcnt 0x0
	v_mov_b32_e32 v1, 0
	global_store_b8 v[2:3], v1, off
.LBB62_5935:
	s_mov_b32 s10, -1
.LBB62_5936:
	s_delay_alu instid0(SALU_CYCLE_1)
	s_and_not1_b32 vcc_lo, exec_lo, s10
	s_cbranch_vccnz .LBB62_5983
; %bb.5937:
	v_add_nc_u32_e32 v0, s7, v0
	s_cmp_lt_i32 s0, 11
	s_wait_xcnt 0x0
	s_delay_alu instid0(VALU_DEP_1) | instskip(NEXT) | instid1(VALU_DEP_1)
	v_ashrrev_i32_e32 v1, 31, v0
	v_add_nc_u64_e32 v[10:11], s[4:5], v[0:1]
	s_cbranch_scc1 .LBB62_5989
; %bb.5938:
	s_and_b32 s5, 0xffff, s0
	s_mov_b32 s8, -1
	s_mov_b32 s4, 0
	s_cmp_gt_i32 s5, 25
	s_mov_b32 s7, 0
	s_cbranch_scc0 .LBB62_5963
; %bb.5939:
	s_cmp_gt_i32 s5, 28
	s_cbranch_scc0 .LBB62_5953
; %bb.5940:
	s_cmp_gt_i32 s5, 43
	;; [unrolled: 3-line block ×3, first 2 shown]
	s_cbranch_scc0 .LBB62_5945
; %bb.5942:
	s_cmp_eq_u32 s5, 46
	s_mov_b32 s7, -1
	s_cbranch_scc0 .LBB62_5944
; %bb.5943:
	v_mov_b32_e32 v0, 0
	s_mov_b32 s7, 0
	global_store_b32 v[10:11], v0, off
.LBB62_5944:
	s_mov_b32 s8, 0
.LBB62_5945:
	s_delay_alu instid0(SALU_CYCLE_1)
	s_and_b32 vcc_lo, exec_lo, s8
	s_cbranch_vccz .LBB62_5948
; %bb.5946:
	s_cmp_eq_u32 s5, 44
	s_mov_b32 s7, -1
	s_cbranch_scc0 .LBB62_5948
; %bb.5947:
	s_wait_xcnt 0x0
	v_mov_b32_e32 v0, 0
	s_mov_b32 s7, 0
	global_store_b8 v[10:11], v0, off
.LBB62_5948:
	s_mov_b32 s8, 0
.LBB62_5949:
	s_delay_alu instid0(SALU_CYCLE_1)
	s_and_b32 vcc_lo, exec_lo, s8
	s_cbranch_vccz .LBB62_5952
; %bb.5950:
	s_cmp_eq_u32 s5, 29
	s_mov_b32 s7, -1
	s_cbranch_scc0 .LBB62_5952
; %bb.5951:
	s_wait_xcnt 0x0
	v_mov_b64_e32 v[0:1], 0
	s_mov_b32 s7, 0
	global_store_b64 v[10:11], v[0:1], off
.LBB62_5952:
	s_mov_b32 s8, 0
.LBB62_5953:
	s_delay_alu instid0(SALU_CYCLE_1)
	s_and_b32 vcc_lo, exec_lo, s8
	s_cbranch_vccz .LBB62_5962
; %bb.5954:
	s_cmp_lt_i32 s5, 27
	s_mov_b32 s8, -1
	s_cbranch_scc1 .LBB62_5960
; %bb.5955:
	s_cmp_gt_i32 s5, 27
	s_cbranch_scc0 .LBB62_5957
; %bb.5956:
	s_wait_xcnt 0x0
	v_mov_b32_e32 v0, 0
	s_mov_b32 s8, 0
	global_store_b32 v[10:11], v0, off
.LBB62_5957:
	s_and_not1_b32 vcc_lo, exec_lo, s8
	s_cbranch_vccnz .LBB62_5959
; %bb.5958:
	s_wait_xcnt 0x0
	v_mov_b32_e32 v0, 0
	global_store_b16 v[10:11], v0, off
.LBB62_5959:
	s_mov_b32 s8, 0
.LBB62_5960:
	s_delay_alu instid0(SALU_CYCLE_1)
	s_and_not1_b32 vcc_lo, exec_lo, s8
	s_cbranch_vccnz .LBB62_5962
; %bb.5961:
	s_wait_xcnt 0x0
	v_mov_b32_e32 v0, 0
	global_store_b8 v[10:11], v0, off
.LBB62_5962:
	s_mov_b32 s8, 0
.LBB62_5963:
	s_delay_alu instid0(SALU_CYCLE_1)
	s_and_b32 vcc_lo, exec_lo, s8
	s_cbranch_vccz .LBB62_5981
; %bb.5964:
	s_cmp_gt_i32 s5, 22
	s_mov_b32 s4, -1
	s_cbranch_scc0 .LBB62_5974
; %bb.5965:
	s_cmp_lt_i32 s5, 24
	s_cbranch_scc1 .LBB62_5971
; %bb.5966:
	s_cmp_gt_i32 s5, 24
	s_cbranch_scc0 .LBB62_5968
; %bb.5967:
	s_wait_xcnt 0x0
	v_mov_b32_e32 v0, 0
	s_mov_b32 s4, 0
	global_store_b8 v[10:11], v0, off
.LBB62_5968:
	s_and_not1_b32 vcc_lo, exec_lo, s4
	s_cbranch_vccnz .LBB62_5970
; %bb.5969:
	s_wait_xcnt 0x0
	v_mov_b32_e32 v0, 0
	global_store_b8 v[10:11], v0, off
.LBB62_5970:
	s_mov_b32 s4, 0
.LBB62_5971:
	s_delay_alu instid0(SALU_CYCLE_1)
	s_and_not1_b32 vcc_lo, exec_lo, s4
	s_cbranch_vccnz .LBB62_5973
; %bb.5972:
	s_wait_xcnt 0x0
	v_mov_b32_e32 v0, 0
	global_store_b8 v[10:11], v0, off
.LBB62_5973:
	s_mov_b32 s4, 0
.LBB62_5974:
	s_delay_alu instid0(SALU_CYCLE_1)
	s_and_not1_b32 vcc_lo, exec_lo, s4
	s_mov_b32 s4, 0
	s_cbranch_vccnz .LBB62_5981
; %bb.5975:
	s_cmp_gt_i32 s5, 14
	s_mov_b32 s4, -1
	s_cbranch_scc0 .LBB62_5979
; %bb.5976:
	s_cmp_eq_u32 s5, 15
	s_mov_b32 s7, -1
	s_cbranch_scc0 .LBB62_5978
; %bb.5977:
	s_wait_xcnt 0x0
	v_mov_b32_e32 v0, 0
	s_mov_b32 s7, 0
	global_store_b16 v[10:11], v0, off
.LBB62_5978:
	s_mov_b32 s4, 0
.LBB62_5979:
	s_delay_alu instid0(SALU_CYCLE_1)
	s_and_b32 vcc_lo, exec_lo, s4
	s_mov_b32 s4, 0
	s_cbranch_vccz .LBB62_5981
; %bb.5980:
	s_cmp_lg_u32 s5, 11
	s_mov_b32 s4, -1
	s_cselect_b32 s7, -1, 0
.LBB62_5981:
	s_delay_alu instid0(SALU_CYCLE_1)
	s_and_b32 vcc_lo, exec_lo, s7
	s_cbranch_vccnz .LBB62_5996
.LBB62_5982:
	s_mov_b32 s5, 0
	s_branch .LBB62_5984
.LBB62_5983:
	s_mov_b32 s5, 0
	s_mov_b32 s4, 0
                                        ; implicit-def: $sgpr0
                                        ; implicit-def: $vgpr10_vgpr11
.LBB62_5984:
	s_and_b32 s7, s5, exec_lo
	s_and_not1_b32 s2, s2, exec_lo
	s_and_b32 s5, s6, exec_lo
	s_and_b32 s6, s4, exec_lo
	s_or_b32 s2, s2, s5
.LBB62_5985:
	s_wait_xcnt 0x0
	s_or_b32 exec_lo, exec_lo, s3
	s_delay_alu instid0(SALU_CYCLE_1)
	s_and_not1_b32 s4, s35, exec_lo
	s_and_b32 s5, s2, exec_lo
	s_and_b32 s3, s7, exec_lo
	;; [unrolled: 1-line block ×3, first 2 shown]
	s_or_b32 s35, s4, s5
.LBB62_5986:
	s_or_b32 exec_lo, exec_lo, s36
	s_delay_alu instid0(SALU_CYCLE_1)
	s_and_not1_b32 s4, s31, exec_lo
	s_and_b32 s5, s35, exec_lo
	s_and_b32 s3, s3, exec_lo
	;; [unrolled: 1-line block ×3, first 2 shown]
	s_or_b32 s31, s4, s5
.LBB62_5987:
	s_or_b32 exec_lo, exec_lo, s34
	s_delay_alu instid0(SALU_CYCLE_1)
	s_and_not1_b32 s4, s19, exec_lo
	s_and_b32 s5, s31, exec_lo
	s_and_b32 s3, s3, exec_lo
	;; [unrolled: 1-line block ×3, first 2 shown]
	s_or_b32 s19, s4, s5
.LBB62_5988:
	s_or_b32 exec_lo, exec_lo, s30
	s_branch .LBB62_5651
.LBB62_5989:
	s_mov_b32 s4, 0
	s_mov_b32 s5, -1
	s_branch .LBB62_5984
.LBB62_5990:
	s_or_b32 s6, s35, exec_lo
	s_xor_b32 s3, exec_lo, -1
	s_trap 2
	s_branch .LBB62_5667
.LBB62_5991:
	s_or_b32 s6, s2, exec_lo
	s_trap 2
	s_cbranch_execz .LBB62_5715
	s_branch .LBB62_5716
.LBB62_5992:
	s_or_b32 s6, s6, exec_lo
	s_trap 2
	s_cbranch_execz .LBB62_5805
	s_branch .LBB62_5806
.LBB62_5993:
	s_or_b32 s19, s19, exec_lo
	s_trap 2
                                        ; implicit-def: $vgpr2_vgpr3
                                        ; implicit-def: $vgpr6_vgpr7
                                        ; implicit-def: $vgpr4_vgpr5
                                        ; implicit-def: $vgpr23
                                        ; implicit-def: $vgpr22
                                        ; implicit-def: $vgpr12_vgpr13
	s_branch .LBB62_5643
.LBB62_5994:
	s_or_b32 s6, s6, exec_lo
	s_trap 2
	s_cbranch_execz .LBB62_5894
	s_branch .LBB62_5895
.LBB62_5995:
	s_or_b32 s31, s19, exec_lo
	s_trap 2
                                        ; implicit-def: $vgpr6_vgpr7
                                        ; implicit-def: $vgpr4_vgpr5
                                        ; implicit-def: $vgpr23
                                        ; implicit-def: $vgpr22
                                        ; implicit-def: $vgpr12_vgpr13
	s_or_saveexec_b32 s34, s0
                                        ; implicit-def: $sgpr0
                                        ; implicit-def: $vgpr10_vgpr11
	s_delay_alu instid0(SALU_CYCLE_1)
	s_xor_b32 exec_lo, exec_lo, s34
	s_cbranch_execz .LBB62_5987
	s_branch .LBB62_5646
.LBB62_5996:
	s_mov_b32 s4, 0
	s_or_b32 s6, s6, exec_lo
	s_trap 2
	s_branch .LBB62_5982
.LBB62_5997:
	s_or_b32 s35, s31, exec_lo
	s_trap 2
                                        ; implicit-def: $vgpr6_vgpr7
                                        ; implicit-def: $vgpr4_vgpr5
                                        ; implicit-def: $vgpr23
                                        ; implicit-def: $vgpr22
                                        ; implicit-def: $vgpr12_vgpr13
	s_or_saveexec_b32 s36, s0
	s_mov_b32 s2, 0
                                        ; implicit-def: $sgpr0
                                        ; implicit-def: $vgpr10_vgpr11
	s_xor_b32 exec_lo, exec_lo, s36
	s_cbranch_execz .LBB62_5986
	s_branch .LBB62_5648
	.section	.rodata,"a",@progbits
	.p2align	6, 0x0
	.amdhsa_kernel _ZN2at6native32elementwise_kernel_manual_unrollILi128ELi4EZNS0_15gpu_kernel_implIZZZNS0_12_GLOBAL__N_142_validate_compressed_sparse_indices_kernelILNS3_8CDimNameE0ENS3_18CUDAKernelLauncherENS3_14EmptyVecKernelENS3_8DummyVecELm0EEEvRKNS_6TensorESB_lllENKUlvE1_clEvENKUlvE0_clEvEUllllllE_EEvRNS_18TensorIteratorBaseERKT_EUlibE_EEviT1_
		.amdhsa_group_segment_fixed_size 0
		.amdhsa_private_segment_fixed_size 0
		.amdhsa_kernarg_size 144
		.amdhsa_user_sgpr_count 2
		.amdhsa_user_sgpr_dispatch_ptr 0
		.amdhsa_user_sgpr_queue_ptr 0
		.amdhsa_user_sgpr_kernarg_segment_ptr 1
		.amdhsa_user_sgpr_dispatch_id 0
		.amdhsa_user_sgpr_kernarg_preload_length 0
		.amdhsa_user_sgpr_kernarg_preload_offset 0
		.amdhsa_user_sgpr_private_segment_size 0
		.amdhsa_wavefront_size32 1
		.amdhsa_uses_dynamic_stack 0
		.amdhsa_enable_private_segment 0
		.amdhsa_system_sgpr_workgroup_id_x 1
		.amdhsa_system_sgpr_workgroup_id_y 0
		.amdhsa_system_sgpr_workgroup_id_z 0
		.amdhsa_system_sgpr_workgroup_info 0
		.amdhsa_system_vgpr_workitem_id 0
		.amdhsa_next_free_vgpr 36
		.amdhsa_next_free_sgpr 105
		.amdhsa_named_barrier_count 0
		.amdhsa_reserve_vcc 1
		.amdhsa_float_round_mode_32 0
		.amdhsa_float_round_mode_16_64 0
		.amdhsa_float_denorm_mode_32 3
		.amdhsa_float_denorm_mode_16_64 3
		.amdhsa_fp16_overflow 0
		.amdhsa_memory_ordered 1
		.amdhsa_forward_progress 1
		.amdhsa_inst_pref_size 255
		.amdhsa_round_robin_scheduling 0
		.amdhsa_exception_fp_ieee_invalid_op 0
		.amdhsa_exception_fp_denorm_src 0
		.amdhsa_exception_fp_ieee_div_zero 0
		.amdhsa_exception_fp_ieee_overflow 0
		.amdhsa_exception_fp_ieee_underflow 0
		.amdhsa_exception_fp_ieee_inexact 0
		.amdhsa_exception_int_div_zero 0
	.end_amdhsa_kernel
	.section	.text._ZN2at6native32elementwise_kernel_manual_unrollILi128ELi4EZNS0_15gpu_kernel_implIZZZNS0_12_GLOBAL__N_142_validate_compressed_sparse_indices_kernelILNS3_8CDimNameE0ENS3_18CUDAKernelLauncherENS3_14EmptyVecKernelENS3_8DummyVecELm0EEEvRKNS_6TensorESB_lllENKUlvE1_clEvENKUlvE0_clEvEUllllllE_EEvRNS_18TensorIteratorBaseERKT_EUlibE_EEviT1_,"axG",@progbits,_ZN2at6native32elementwise_kernel_manual_unrollILi128ELi4EZNS0_15gpu_kernel_implIZZZNS0_12_GLOBAL__N_142_validate_compressed_sparse_indices_kernelILNS3_8CDimNameE0ENS3_18CUDAKernelLauncherENS3_14EmptyVecKernelENS3_8DummyVecELm0EEEvRKNS_6TensorESB_lllENKUlvE1_clEvENKUlvE0_clEvEUllllllE_EEvRNS_18TensorIteratorBaseERKT_EUlibE_EEviT1_,comdat
.Lfunc_end62:
	.size	_ZN2at6native32elementwise_kernel_manual_unrollILi128ELi4EZNS0_15gpu_kernel_implIZZZNS0_12_GLOBAL__N_142_validate_compressed_sparse_indices_kernelILNS3_8CDimNameE0ENS3_18CUDAKernelLauncherENS3_14EmptyVecKernelENS3_8DummyVecELm0EEEvRKNS_6TensorESB_lllENKUlvE1_clEvENKUlvE0_clEvEUllllllE_EEvRNS_18TensorIteratorBaseERKT_EUlibE_EEviT1_, .Lfunc_end62-_ZN2at6native32elementwise_kernel_manual_unrollILi128ELi4EZNS0_15gpu_kernel_implIZZZNS0_12_GLOBAL__N_142_validate_compressed_sparse_indices_kernelILNS3_8CDimNameE0ENS3_18CUDAKernelLauncherENS3_14EmptyVecKernelENS3_8DummyVecELm0EEEvRKNS_6TensorESB_lllENKUlvE1_clEvENKUlvE0_clEvEUllllllE_EEvRNS_18TensorIteratorBaseERKT_EUlibE_EEviT1_
                                        ; -- End function
	.set _ZN2at6native32elementwise_kernel_manual_unrollILi128ELi4EZNS0_15gpu_kernel_implIZZZNS0_12_GLOBAL__N_142_validate_compressed_sparse_indices_kernelILNS3_8CDimNameE0ENS3_18CUDAKernelLauncherENS3_14EmptyVecKernelENS3_8DummyVecELm0EEEvRKNS_6TensorESB_lllENKUlvE1_clEvENKUlvE0_clEvEUllllllE_EEvRNS_18TensorIteratorBaseERKT_EUlibE_EEviT1_.num_vgpr, 36
	.set _ZN2at6native32elementwise_kernel_manual_unrollILi128ELi4EZNS0_15gpu_kernel_implIZZZNS0_12_GLOBAL__N_142_validate_compressed_sparse_indices_kernelILNS3_8CDimNameE0ENS3_18CUDAKernelLauncherENS3_14EmptyVecKernelENS3_8DummyVecELm0EEEvRKNS_6TensorESB_lllENKUlvE1_clEvENKUlvE0_clEvEUllllllE_EEvRNS_18TensorIteratorBaseERKT_EUlibE_EEviT1_.num_agpr, 0
	.set _ZN2at6native32elementwise_kernel_manual_unrollILi128ELi4EZNS0_15gpu_kernel_implIZZZNS0_12_GLOBAL__N_142_validate_compressed_sparse_indices_kernelILNS3_8CDimNameE0ENS3_18CUDAKernelLauncherENS3_14EmptyVecKernelENS3_8DummyVecELm0EEEvRKNS_6TensorESB_lllENKUlvE1_clEvENKUlvE0_clEvEUllllllE_EEvRNS_18TensorIteratorBaseERKT_EUlibE_EEviT1_.numbered_sgpr, 105
	.set _ZN2at6native32elementwise_kernel_manual_unrollILi128ELi4EZNS0_15gpu_kernel_implIZZZNS0_12_GLOBAL__N_142_validate_compressed_sparse_indices_kernelILNS3_8CDimNameE0ENS3_18CUDAKernelLauncherENS3_14EmptyVecKernelENS3_8DummyVecELm0EEEvRKNS_6TensorESB_lllENKUlvE1_clEvENKUlvE0_clEvEUllllllE_EEvRNS_18TensorIteratorBaseERKT_EUlibE_EEviT1_.num_named_barrier, 0
	.set _ZN2at6native32elementwise_kernel_manual_unrollILi128ELi4EZNS0_15gpu_kernel_implIZZZNS0_12_GLOBAL__N_142_validate_compressed_sparse_indices_kernelILNS3_8CDimNameE0ENS3_18CUDAKernelLauncherENS3_14EmptyVecKernelENS3_8DummyVecELm0EEEvRKNS_6TensorESB_lllENKUlvE1_clEvENKUlvE0_clEvEUllllllE_EEvRNS_18TensorIteratorBaseERKT_EUlibE_EEviT1_.private_seg_size, 0
	.set _ZN2at6native32elementwise_kernel_manual_unrollILi128ELi4EZNS0_15gpu_kernel_implIZZZNS0_12_GLOBAL__N_142_validate_compressed_sparse_indices_kernelILNS3_8CDimNameE0ENS3_18CUDAKernelLauncherENS3_14EmptyVecKernelENS3_8DummyVecELm0EEEvRKNS_6TensorESB_lllENKUlvE1_clEvENKUlvE0_clEvEUllllllE_EEvRNS_18TensorIteratorBaseERKT_EUlibE_EEviT1_.uses_vcc, 1
	.set _ZN2at6native32elementwise_kernel_manual_unrollILi128ELi4EZNS0_15gpu_kernel_implIZZZNS0_12_GLOBAL__N_142_validate_compressed_sparse_indices_kernelILNS3_8CDimNameE0ENS3_18CUDAKernelLauncherENS3_14EmptyVecKernelENS3_8DummyVecELm0EEEvRKNS_6TensorESB_lllENKUlvE1_clEvENKUlvE0_clEvEUllllllE_EEvRNS_18TensorIteratorBaseERKT_EUlibE_EEviT1_.uses_flat_scratch, 0
	.set _ZN2at6native32elementwise_kernel_manual_unrollILi128ELi4EZNS0_15gpu_kernel_implIZZZNS0_12_GLOBAL__N_142_validate_compressed_sparse_indices_kernelILNS3_8CDimNameE0ENS3_18CUDAKernelLauncherENS3_14EmptyVecKernelENS3_8DummyVecELm0EEEvRKNS_6TensorESB_lllENKUlvE1_clEvENKUlvE0_clEvEUllllllE_EEvRNS_18TensorIteratorBaseERKT_EUlibE_EEviT1_.has_dyn_sized_stack, 0
	.set _ZN2at6native32elementwise_kernel_manual_unrollILi128ELi4EZNS0_15gpu_kernel_implIZZZNS0_12_GLOBAL__N_142_validate_compressed_sparse_indices_kernelILNS3_8CDimNameE0ENS3_18CUDAKernelLauncherENS3_14EmptyVecKernelENS3_8DummyVecELm0EEEvRKNS_6TensorESB_lllENKUlvE1_clEvENKUlvE0_clEvEUllllllE_EEvRNS_18TensorIteratorBaseERKT_EUlibE_EEviT1_.has_recursion, 0
	.set _ZN2at6native32elementwise_kernel_manual_unrollILi128ELi4EZNS0_15gpu_kernel_implIZZZNS0_12_GLOBAL__N_142_validate_compressed_sparse_indices_kernelILNS3_8CDimNameE0ENS3_18CUDAKernelLauncherENS3_14EmptyVecKernelENS3_8DummyVecELm0EEEvRKNS_6TensorESB_lllENKUlvE1_clEvENKUlvE0_clEvEUllllllE_EEvRNS_18TensorIteratorBaseERKT_EUlibE_EEviT1_.has_indirect_call, 0
	.section	.AMDGPU.csdata,"",@progbits
; Kernel info:
; codeLenInByte = 142600
; TotalNumSgprs: 107
; NumVgprs: 36
; ScratchSize: 0
; MemoryBound: 1
; FloatMode: 240
; IeeeMode: 1
; LDSByteSize: 0 bytes/workgroup (compile time only)
; SGPRBlocks: 0
; VGPRBlocks: 2
; NumSGPRsForWavesPerEU: 107
; NumVGPRsForWavesPerEU: 36
; NamedBarCnt: 0
; Occupancy: 16
; WaveLimiterHint : 0
; COMPUTE_PGM_RSRC2:SCRATCH_EN: 0
; COMPUTE_PGM_RSRC2:USER_SGPR: 2
; COMPUTE_PGM_RSRC2:TRAP_HANDLER: 0
; COMPUTE_PGM_RSRC2:TGID_X_EN: 1
; COMPUTE_PGM_RSRC2:TGID_Y_EN: 0
; COMPUTE_PGM_RSRC2:TGID_Z_EN: 0
; COMPUTE_PGM_RSRC2:TIDIG_COMP_CNT: 0
	.section	.text._ZN2at6native32elementwise_kernel_manual_unrollILi128ELi4EZNS0_15gpu_kernel_implIZZZNS0_12_GLOBAL__N_142_validate_compressed_sparse_indices_kernelILNS3_8CDimNameE0ENS3_18CUDAKernelLauncherENS3_14EmptyVecKernelENS3_8DummyVecELm0EEEvRKNS_6TensorESB_lllENKUlvE1_clEvENKUlvE0_clEvEUllllllE_EEvRNS_18TensorIteratorBaseERKT_EUlibE0_EEviT1_,"axG",@progbits,_ZN2at6native32elementwise_kernel_manual_unrollILi128ELi4EZNS0_15gpu_kernel_implIZZZNS0_12_GLOBAL__N_142_validate_compressed_sparse_indices_kernelILNS3_8CDimNameE0ENS3_18CUDAKernelLauncherENS3_14EmptyVecKernelENS3_8DummyVecELm0EEEvRKNS_6TensorESB_lllENKUlvE1_clEvENKUlvE0_clEvEUllllllE_EEvRNS_18TensorIteratorBaseERKT_EUlibE0_EEviT1_,comdat
	.globl	_ZN2at6native32elementwise_kernel_manual_unrollILi128ELi4EZNS0_15gpu_kernel_implIZZZNS0_12_GLOBAL__N_142_validate_compressed_sparse_indices_kernelILNS3_8CDimNameE0ENS3_18CUDAKernelLauncherENS3_14EmptyVecKernelENS3_8DummyVecELm0EEEvRKNS_6TensorESB_lllENKUlvE1_clEvENKUlvE0_clEvEUllllllE_EEvRNS_18TensorIteratorBaseERKT_EUlibE0_EEviT1_ ; -- Begin function _ZN2at6native32elementwise_kernel_manual_unrollILi128ELi4EZNS0_15gpu_kernel_implIZZZNS0_12_GLOBAL__N_142_validate_compressed_sparse_indices_kernelILNS3_8CDimNameE0ENS3_18CUDAKernelLauncherENS3_14EmptyVecKernelENS3_8DummyVecELm0EEEvRKNS_6TensorESB_lllENKUlvE1_clEvENKUlvE0_clEvEUllllllE_EEvRNS_18TensorIteratorBaseERKT_EUlibE0_EEviT1_
	.p2align	8
	.type	_ZN2at6native32elementwise_kernel_manual_unrollILi128ELi4EZNS0_15gpu_kernel_implIZZZNS0_12_GLOBAL__N_142_validate_compressed_sparse_indices_kernelILNS3_8CDimNameE0ENS3_18CUDAKernelLauncherENS3_14EmptyVecKernelENS3_8DummyVecELm0EEEvRKNS_6TensorESB_lllENKUlvE1_clEvENKUlvE0_clEvEUllllllE_EEvRNS_18TensorIteratorBaseERKT_EUlibE0_EEviT1_,@function
_ZN2at6native32elementwise_kernel_manual_unrollILi128ELi4EZNS0_15gpu_kernel_implIZZZNS0_12_GLOBAL__N_142_validate_compressed_sparse_indices_kernelILNS3_8CDimNameE0ENS3_18CUDAKernelLauncherENS3_14EmptyVecKernelENS3_8DummyVecELm0EEEvRKNS_6TensorESB_lllENKUlvE1_clEvENKUlvE0_clEvEUllllllE_EEvRNS_18TensorIteratorBaseERKT_EUlibE0_EEviT1_: ; @_ZN2at6native32elementwise_kernel_manual_unrollILi128ELi4EZNS0_15gpu_kernel_implIZZZNS0_12_GLOBAL__N_142_validate_compressed_sparse_indices_kernelILNS3_8CDimNameE0ENS3_18CUDAKernelLauncherENS3_14EmptyVecKernelENS3_8DummyVecELm0EEEvRKNS_6TensorESB_lllENKUlvE1_clEvENKUlvE0_clEvEUllllllE_EEvRNS_18TensorIteratorBaseERKT_EUlibE0_EEviT1_
; %bb.0:
	s_clause 0x1
	s_load_b32 s33, s[0:1], 0x8
	s_load_b32 s83, s[0:1], 0x0
	s_bfe_u32 s2, ttmp6, 0x4000c
	s_and_b32 s3, ttmp6, 15
	s_add_co_i32 s2, s2, 1
	s_getreg_b32 s4, hwreg(HW_REG_IB_STS2, 6, 4)
	s_mul_i32 s2, ttmp9, s2
	s_mov_b32 s73, 0
	s_add_co_i32 s3, s3, s2
	s_cmp_eq_u32 s4, 0
	s_mov_b32 s35, -1
	s_cselect_b32 s2, ttmp9, s3
	s_mov_b32 s36, 0
	v_lshl_or_b32 v0, s2, 9, v0
	s_add_nc_u64 s[2:3], s[0:1], 8
	s_wait_xcnt 0x0
	s_mov_b32 s0, exec_lo
	s_delay_alu instid0(VALU_DEP_1) | instskip(SKIP_2) | instid1(SALU_CYCLE_1)
	v_or_b32_e32 v1, 0x180, v0
	s_wait_kmcnt 0x0
	s_add_co_i32 s72, s33, -1
	s_cmp_gt_u32 s72, 1
	s_cselect_b32 s74, -1, 0
	v_cmpx_le_i32_e64 s83, v1
	s_xor_b32 s75, exec_lo, s0
	s_cbranch_execz .LBB63_1974
; %bb.1:
	s_clause 0x4
	s_load_b128 s[28:31], s[2:3], 0x2a8
	s_load_b128 s[12:15], s[2:3], 0x4
	s_load_b64 s[78:79], s[2:3], 0x14
	s_load_b128 s[40:43], s[2:3], 0xe4
	s_load_b256 s[20:27], s[2:3], 0x288
	s_cmp_lg_u32 s33, 0
	s_get_pc_i64 s[0:1]
	s_add_nc_u64 s[0:1], s[0:1], .str.1@rel64+4
	s_cselect_b32 s84, -1, 0
	s_min_u32 s68, s72, 15
	s_cmp_gt_u32 s33, 1
	s_get_pc_i64 s[4:5]
	s_add_nc_u64 s[4:5], s[4:5], .str.2@rel64+4
	s_cselect_b32 s48, -1, 0
	s_mov_b32 s55, 0
	s_wait_kmcnt 0x0
	s_mov_b32 s23, exec_lo
	s_mov_b32 s57, s55
	s_mov_b32 s92, s55
	;; [unrolled: 1-line block ×9, first 2 shown]
	s_lshr_b32 s50, s30, 8
	s_lshr_b32 s82, s30, 16
	s_lshr_b64 s[80:81], s[30:31], 24
	s_lshr_b32 s53, s31, 8
	s_cmp_lg_u64 s[0:1], 0
	s_get_pc_i64 s[0:1]
	s_add_nc_u64 s[0:1], s[0:1], .str.3@rel64+4
	s_cselect_b32 s81, -1, 0
	s_cmp_lg_u64 s[4:5], 0
	s_mov_b32 s86, s55
	s_cselect_b32 s52, -1, 0
	s_cmp_lg_u64 s[0:1], 0
	s_get_pc_i64 s[0:1]
	s_add_nc_u64 s[0:1], s[0:1], .str.4@rel64+4
	s_cselect_b32 s77, -1, 0
	s_add_co_i32 s34, s22, -1
	s_mov_b32 s85, s55
	s_cmp_gt_i32 s34, -1
	s_mov_b32 s71, s55
	s_cselect_b32 s76, -1, 0
	s_cmp_lg_u64 s[0:1], 0
	s_mov_b32 s70, s55
	s_cselect_b32 s69, -1, 0
	v_cmpx_gt_i32_e64 s83, v0
	s_cbranch_execz .LBB63_523
; %bb.2:
	s_and_not1_b32 vcc_lo, exec_lo, s74
	s_cbranch_vccnz .LBB63_9
; %bb.3:
	s_and_not1_b32 vcc_lo, exec_lo, s84
	s_cbranch_vccnz .LBB63_10
; %bb.4:
	v_dual_mov_b32 v10, 0 :: v_dual_mov_b32 v1, v0
	v_dual_mov_b32 v6, 0 :: v_dual_mov_b32 v8, 0
	;; [unrolled: 1-line block ×3, first 2 shown]
	v_mov_b32_e32 v4, 0
	s_add_co_i32 s0, s68, 1
	s_mov_b64 s[36:37], 0xffffffffffffffd0
	s_mov_b64 s[4:5], s[40:41]
	s_mov_b32 s8, s69
	s_mov_b64 s[6:7], s[42:43]
	s_mov_b32 s1, s68
	s_and_b32 s0, s0, 30
	s_add_nc_u64 s[58:59], s[2:3], s[36:37]
	s_mov_b64 s[60:61], s[2:3]
.LBB63_5:                               ; =>This Inner Loop Header: Depth=1
	s_clause 0x1
	s_load_b128 s[36:39], s[60:61], 0x4
	s_load_b64 s[44:45], s[60:61], 0x14
	s_clause 0x1
	s_load_b256 s[64:71], s[58:59], 0xf4
	s_load_b128 s[40:43], s[58:59], 0x114
	s_add_co_i32 s0, s0, -2
	s_wait_xcnt 0x0
	s_add_nc_u64 s[60:61], s[60:61], 24
	s_cmp_lg_u32 s0, 0
	s_add_nc_u64 s[58:59], s[58:59], 48
	s_wait_kmcnt 0x0
	v_mul_hi_u32 v3, s37, v1
	s_delay_alu instid0(VALU_DEP_1) | instskip(NEXT) | instid1(VALU_DEP_1)
	v_add_nc_u32_e32 v3, v1, v3
	v_lshrrev_b32_e32 v3, s38, v3
	s_delay_alu instid0(VALU_DEP_1) | instskip(SKIP_1) | instid1(VALU_DEP_1)
	v_mul_hi_u32 v5, s44, v3
	v_mul_lo_u32 v7, v3, s36
	v_dual_add_nc_u32 v5, v3, v5 :: v_dual_sub_nc_u32 v7, v1, v7
	s_delay_alu instid0(VALU_DEP_1) | instskip(NEXT) | instid1(VALU_DEP_2)
	v_lshrrev_b32_e32 v1, s45, v5
	v_mad_u32 v4, v7, s65, v4
	v_mad_u32 v2, v7, s64, v2
	;; [unrolled: 1-line block ×4, first 2 shown]
	v_mul_lo_u32 v5, v1, s39
	v_mad_u32 v6, s69, v7, v6
	v_mad_u32 v7, s68, v7, v10
	s_delay_alu instid0(VALU_DEP_3) | instskip(NEXT) | instid1(VALU_DEP_1)
	v_sub_nc_u32_e32 v3, v3, v5
	v_mad_u32 v4, v3, s71, v4
	v_mad_u32 v2, v3, s70, v2
	;; [unrolled: 1-line block ×6, first 2 shown]
	s_cbranch_scc1 .LBB63_5
; %bb.6:
	s_load_b256 s[88:95], s[2:3], 0xc4
	s_bitcmp1_b32 s1, 0
	s_mov_b32 s68, s1
	s_cselect_b32 s0, -1, 0
	s_delay_alu instid0(SALU_CYCLE_1)
	s_and_b32 vcc_lo, exec_lo, s0
	s_cbranch_vccnz .LBB63_8
; %bb.7:
	s_load_b96 s[40:42], s[60:61], 0x4
	s_clause 0x1
	s_load_b128 s[36:39], s[58:59], 0xf4
	s_load_b64 s[0:1], s[58:59], 0x104
	s_wait_kmcnt 0x0
	v_mul_hi_u32 v3, s41, v1
	s_delay_alu instid0(VALU_DEP_1) | instskip(NEXT) | instid1(VALU_DEP_1)
	v_add_nc_u32_e32 v3, v1, v3
	v_lshrrev_b32_e32 v3, s42, v3
	s_delay_alu instid0(VALU_DEP_1) | instskip(NEXT) | instid1(VALU_DEP_1)
	v_mul_lo_u32 v3, v3, s40
	v_sub_nc_u32_e32 v1, v1, v3
	s_delay_alu instid0(VALU_DEP_1)
	v_mad_u32 v2, v1, s36, v2
	v_mad_u32 v4, v1, s37, v4
	;; [unrolled: 1-line block ×6, first 2 shown]
.LBB63_8:
	s_mov_b64 s[42:43], s[6:7]
	s_mov_b64 s[40:41], s[4:5]
	s_mov_b32 s69, s8
	s_cbranch_execz .LBB63_11
	s_branch .LBB63_13
.LBB63_9:
	s_load_b256 s[88:95], s[2:3], 0xc4
                                        ; implicit-def: $vgpr4
                                        ; implicit-def: $vgpr2
                                        ; implicit-def: $vgpr12
                                        ; implicit-def: $vgpr8
                                        ; implicit-def: $vgpr6
                                        ; implicit-def: $vgpr10
	s_branch .LBB63_11
.LBB63_10:
	s_load_b256 s[88:95], s[2:3], 0xc4
	v_dual_mov_b32 v4, 0 :: v_dual_mov_b32 v2, 0
	v_dual_mov_b32 v12, 0 :: v_dual_mov_b32 v8, 0
	;; [unrolled: 1-line block ×3, first 2 shown]
	s_cbranch_execnz .LBB63_13
.LBB63_11:
	v_mov_b32_e32 v1, 0
	s_and_not1_b32 vcc_lo, exec_lo, s48
	s_delay_alu instid0(VALU_DEP_1) | instskip(NEXT) | instid1(VALU_DEP_1)
	v_mul_u64_e32 v[2:3], s[54:55], v[0:1]
	v_add_nc_u32_e32 v2, v0, v3
	s_delay_alu instid0(VALU_DEP_1) | instskip(NEXT) | instid1(VALU_DEP_1)
	v_lshrrev_b32_e32 v14, s14, v2
	v_mul_lo_u32 v2, v14, s12
	s_delay_alu instid0(VALU_DEP_1) | instskip(SKIP_1) | instid1(VALU_DEP_1)
	v_sub_nc_u32_e32 v3, v0, v2
	s_wait_kmcnt 0x0
	v_mul_lo_u32 v4, v3, s89
	v_mul_lo_u32 v2, v3, s88
	;; [unrolled: 1-line block ×6, first 2 shown]
	s_cbranch_vccnz .LBB63_13
; %bb.12:
	v_mov_b32_e32 v15, v1
	s_delay_alu instid0(VALU_DEP_1) | instskip(NEXT) | instid1(VALU_DEP_1)
	v_mul_u64_e32 v[16:17], s[56:57], v[14:15]
	v_add_nc_u32_e32 v1, v14, v17
	s_delay_alu instid0(VALU_DEP_1) | instskip(NEXT) | instid1(VALU_DEP_1)
	v_lshrrev_b32_e32 v1, s79, v1
	v_mul_lo_u32 v1, v1, s15
	s_delay_alu instid0(VALU_DEP_1) | instskip(NEXT) | instid1(VALU_DEP_1)
	v_sub_nc_u32_e32 v1, v14, v1
	v_mad_u32 v2, v1, s94, v2
	v_mad_u32 v4, v1, s95, v4
	;; [unrolled: 1-line block ×6, first 2 shown]
.LBB63_13:
	s_wait_kmcnt 0x0
	s_mov_b64 s[94:95], s[14:15]
	s_mov_b32 s92, s12
	s_load_b512 s[4:19], s[2:3], 0x248
	v_mov_b32_e32 v5, 0
	s_and_b32 s0, s50, 0xff
	s_delay_alu instid0(SALU_CYCLE_1) | instskip(SKIP_1) | instid1(VALU_DEP_1)
	s_cmp_lt_i32 s0, 11
	s_wait_kmcnt 0x0
	v_add_nc_u64_e32 v[14:15], s[6:7], v[4:5]
	s_cbranch_scc1 .LBB63_20
; %bb.14:
	s_and_b32 s35, 0xffff, s0
	s_delay_alu instid0(SALU_CYCLE_1)
	s_cmp_gt_i32 s35, 25
	s_cbranch_scc0 .LBB63_29
; %bb.15:
	s_cmp_gt_i32 s35, 28
	s_cbranch_scc0 .LBB63_39
; %bb.16:
	s_cmp_gt_i32 s35, 43
	s_cbranch_scc0 .LBB63_42
; %bb.17:
	s_cmp_gt_i32 s35, 45
	s_cbranch_scc0 .LBB63_45
; %bb.18:
	s_cmp_eq_u32 s35, 46
	s_mov_b32 s1, 0
	s_cbranch_scc0 .LBB63_48
; %bb.19:
	global_load_b32 v1, v[14:15], off
	s_mov_b32 s45, -1
	s_mov_b32 s44, 0
	s_wait_loadcnt 0x0
	v_lshlrev_b32_e32 v1, 16, v1
	s_delay_alu instid0(VALU_DEP_1) | instskip(NEXT) | instid1(VALU_DEP_1)
	v_trunc_f32_e32 v1, v1
	v_mul_f32_e64 v3, 0x2f800000, |v1|
	v_ashrrev_i32_e32 v4, 31, v1
	s_delay_alu instid0(VALU_DEP_2) | instskip(NEXT) | instid1(VALU_DEP_1)
	v_floor_f32_e32 v3, v3
	v_fma_f32 v5, 0xcf800000, v3, |v1|
	v_cvt_u32_f32_e32 v1, v3
	s_delay_alu instid0(VALU_DEP_2) | instskip(NEXT) | instid1(VALU_DEP_2)
	v_cvt_u32_f32_e32 v3, v5
	v_dual_mov_b32 v5, v4 :: v_dual_bitop2_b32 v17, v1, v4 bitop3:0x14
	s_delay_alu instid0(VALU_DEP_2) | instskip(NEXT) | instid1(VALU_DEP_1)
	v_xor_b32_e32 v16, v3, v4
	v_sub_nc_u64_e32 v[4:5], v[16:17], v[4:5]
	s_branch .LBB63_50
.LBB63_20:
	s_mov_b32 s44, 0
	s_mov_b32 s45, 0
                                        ; implicit-def: $vgpr4_vgpr5
	s_cbranch_execnz .LBB63_112
.LBB63_21:
	s_and_not1_b32 vcc_lo, exec_lo, s45
	s_cbranch_vccnz .LBB63_159
.LBB63_22:
	s_load_b512 s[4:19], s[2:3], 0x248
	v_mov_b32_e32 v9, 0
	s_and_b32 s0, s82, 0xff
	s_delay_alu instid0(SALU_CYCLE_1) | instskip(SKIP_1) | instid1(VALU_DEP_1)
	s_cmp_lt_i32 s0, 11
	s_wait_kmcnt 0x0
	v_add_nc_u64_e32 v[14:15], s[8:9], v[8:9]
	s_cbranch_scc1 .LBB63_30
; %bb.23:
	s_and_b32 s35, 0xffff, s0
	s_delay_alu instid0(SALU_CYCLE_1)
	s_cmp_gt_i32 s35, 25
	s_cbranch_scc0 .LBB63_40
; %bb.24:
	s_cmp_gt_i32 s35, 28
	s_cbranch_scc0 .LBB63_43
; %bb.25:
	;; [unrolled: 3-line block ×4, first 2 shown]
	s_cmp_eq_u32 s35, 46
	s_mov_b32 s1, 0
	s_cbranch_scc0 .LBB63_160
; %bb.28:
	global_load_b32 v1, v[14:15], off
	s_mov_b32 s46, -1
	s_mov_b32 s45, 0
	s_wait_loadcnt 0x0
	v_lshlrev_b32_e32 v1, 16, v1
	s_delay_alu instid0(VALU_DEP_1) | instskip(NEXT) | instid1(VALU_DEP_1)
	v_trunc_f32_e32 v1, v1
	v_mul_f32_e64 v3, 0x2f800000, |v1|
	v_ashrrev_i32_e32 v8, 31, v1
	s_delay_alu instid0(VALU_DEP_2) | instskip(NEXT) | instid1(VALU_DEP_2)
	v_floor_f32_e32 v3, v3
	v_mov_b32_e32 v9, v8
	s_delay_alu instid0(VALU_DEP_2) | instskip(SKIP_1) | instid1(VALU_DEP_2)
	v_fma_f32 v7, 0xcf800000, v3, |v1|
	v_cvt_u32_f32_e32 v1, v3
	v_cvt_u32_f32_e32 v3, v7
	s_delay_alu instid0(VALU_DEP_2) | instskip(NEXT) | instid1(VALU_DEP_2)
	v_xor_b32_e32 v17, v1, v8
	v_xor_b32_e32 v16, v3, v8
	s_delay_alu instid0(VALU_DEP_1)
	v_sub_nc_u64_e32 v[8:9], v[16:17], v[8:9]
	s_branch .LBB63_162
.LBB63_29:
	s_mov_b32 s44, 0
	s_mov_b32 s45, 0
                                        ; implicit-def: $vgpr4_vgpr5
	s_cbranch_execnz .LBB63_79
	s_branch .LBB63_111
.LBB63_30:
	s_mov_b32 s45, 0
	s_mov_b32 s46, 0
                                        ; implicit-def: $vgpr8_vgpr9
	s_cbranch_execnz .LBB63_224
.LBB63_31:
	s_and_not1_b32 vcc_lo, exec_lo, s46
	s_cbranch_vccnz .LBB63_272
.LBB63_32:
	s_load_b512 s[4:19], s[2:3], 0x248
	v_mov_b32_e32 v13, 0
	s_and_b32 s0, s80, 0xff
	s_delay_alu instid0(SALU_CYCLE_1) | instskip(SKIP_1) | instid1(VALU_DEP_1)
	s_cmp_lt_i32 s0, 11
	s_wait_kmcnt 0x0
	v_add_nc_u64_e32 v[14:15], s[10:11], v[12:13]
	s_cbranch_scc1 .LBB63_41
; %bb.33:
	s_and_b32 s35, 0xffff, s0
	s_delay_alu instid0(SALU_CYCLE_1)
	s_cmp_gt_i32 s35, 25
	s_cbranch_scc0 .LBB63_44
; %bb.34:
	s_cmp_gt_i32 s35, 28
	s_cbranch_scc0 .LBB63_47
; %bb.35:
	;; [unrolled: 3-line block ×4, first 2 shown]
	s_cmp_eq_u32 s35, 46
	s_mov_b32 s1, 0
	s_cbranch_scc0 .LBB63_273
; %bb.38:
	global_load_b32 v1, v[14:15], off
	s_mov_b32 s47, -1
	s_mov_b32 s46, 0
	s_wait_loadcnt 0x0
	v_lshlrev_b32_e32 v1, 16, v1
	s_delay_alu instid0(VALU_DEP_1) | instskip(NEXT) | instid1(VALU_DEP_1)
	v_trunc_f32_e32 v1, v1
	v_mul_f32_e64 v3, 0x2f800000, |v1|
	v_ashrrev_i32_e32 v12, 31, v1
	s_delay_alu instid0(VALU_DEP_2) | instskip(NEXT) | instid1(VALU_DEP_2)
	v_floor_f32_e32 v3, v3
	v_mov_b32_e32 v13, v12
	s_delay_alu instid0(VALU_DEP_2) | instskip(SKIP_1) | instid1(VALU_DEP_2)
	v_fma_f32 v7, 0xcf800000, v3, |v1|
	v_cvt_u32_f32_e32 v1, v3
	v_cvt_u32_f32_e32 v3, v7
	s_delay_alu instid0(VALU_DEP_2) | instskip(NEXT) | instid1(VALU_DEP_2)
	v_xor_b32_e32 v17, v1, v12
	v_xor_b32_e32 v16, v3, v12
	s_delay_alu instid0(VALU_DEP_1)
	v_sub_nc_u64_e32 v[12:13], v[16:17], v[12:13]
	s_branch .LBB63_275
.LBB63_39:
	s_mov_b32 s1, -1
	s_mov_b32 s44, 0
	s_mov_b32 s45, 0
                                        ; implicit-def: $vgpr4_vgpr5
	s_branch .LBB63_62
.LBB63_40:
	s_mov_b32 s1, -1
	s_mov_b32 s45, 0
	s_mov_b32 s46, 0
                                        ; implicit-def: $vgpr8_vgpr9
	s_branch .LBB63_190
.LBB63_41:
	s_mov_b32 s1, -1
	s_mov_b32 s46, 0
	s_mov_b32 s47, 0
                                        ; implicit-def: $vgpr12_vgpr13
	s_branch .LBB63_336
.LBB63_42:
	s_mov_b32 s1, -1
	s_mov_b32 s44, 0
	s_mov_b32 s45, 0
                                        ; implicit-def: $vgpr4_vgpr5
	s_branch .LBB63_57
.LBB63_43:
	s_mov_b32 s1, -1
	s_mov_b32 s45, 0
	s_mov_b32 s46, 0
                                        ; implicit-def: $vgpr8_vgpr9
	s_branch .LBB63_173
.LBB63_44:
	s_mov_b32 s1, -1
	s_mov_b32 s46, 0
	s_mov_b32 s47, 0
                                        ; implicit-def: $vgpr12_vgpr13
	s_branch .LBB63_302
.LBB63_45:
	s_mov_b32 s1, -1
	s_mov_b32 s44, 0
	s_branch .LBB63_49
.LBB63_46:
	s_mov_b32 s1, -1
	s_mov_b32 s45, 0
	s_mov_b32 s46, 0
                                        ; implicit-def: $vgpr8_vgpr9
	s_branch .LBB63_168
.LBB63_47:
	s_mov_b32 s1, -1
	s_mov_b32 s46, 0
	s_mov_b32 s47, 0
                                        ; implicit-def: $vgpr12_vgpr13
	s_branch .LBB63_285
.LBB63_48:
	s_mov_b32 s44, -1
.LBB63_49:
	s_mov_b32 s45, 0
                                        ; implicit-def: $vgpr4_vgpr5
.LBB63_50:
	s_and_b32 vcc_lo, exec_lo, s1
	s_cbranch_vccz .LBB63_56
; %bb.51:
	s_cmp_eq_u32 s35, 44
	s_cbranch_scc0 .LBB63_55
; %bb.52:
	global_load_u8 v1, v[14:15], off
	s_mov_b32 s44, 0
	s_mov_b32 s45, -1
	s_wait_loadcnt 0x0
	v_lshlrev_b32_e32 v3, 23, v1
	v_cmp_ne_u32_e32 vcc_lo, 0, v1
	s_delay_alu instid0(VALU_DEP_2) | instskip(NEXT) | instid1(VALU_DEP_1)
	v_trunc_f32_e32 v3, v3
	v_mul_f32_e64 v4, 0x2f800000, |v3|
	s_delay_alu instid0(VALU_DEP_1) | instskip(SKIP_1) | instid1(VALU_DEP_2)
	v_floor_f32_e32 v5, v4
	v_ashrrev_i32_e32 v4, 31, v3
	v_fma_f32 v7, 0xcf800000, v5, |v3|
	v_cvt_u32_f32_e32 v3, v5
	s_delay_alu instid0(VALU_DEP_3) | instskip(NEXT) | instid1(VALU_DEP_3)
	v_mov_b32_e32 v5, v4
	v_cvt_u32_f32_e32 v7, v7
	s_delay_alu instid0(VALU_DEP_3) | instskip(NEXT) | instid1(VALU_DEP_2)
	v_xor_b32_e32 v17, v3, v4
	v_xor_b32_e32 v16, v7, v4
	s_delay_alu instid0(VALU_DEP_1) | instskip(NEXT) | instid1(VALU_DEP_1)
	v_sub_nc_u64_e32 v[4:5], v[16:17], v[4:5]
	v_dual_cndmask_b32 v5, 0, v5 :: v_dual_cndmask_b32 v4, 0, v4
	s_branch .LBB63_56
.LBB63_53:
	s_mov_b32 s1, -1
	s_mov_b32 s45, 0
	s_branch .LBB63_161
.LBB63_54:
	s_mov_b32 s1, -1
	s_mov_b32 s46, 0
	s_mov_b32 s47, 0
                                        ; implicit-def: $vgpr12_vgpr13
	s_branch .LBB63_280
.LBB63_55:
	s_mov_b32 s44, -1
                                        ; implicit-def: $vgpr4_vgpr5
.LBB63_56:
	s_mov_b32 s1, 0
.LBB63_57:
	s_delay_alu instid0(SALU_CYCLE_1)
	s_and_b32 vcc_lo, exec_lo, s1
	s_cbranch_vccz .LBB63_61
; %bb.58:
	s_cmp_eq_u32 s35, 29
	s_cbranch_scc0 .LBB63_60
; %bb.59:
	global_load_b64 v[4:5], v[14:15], off
	s_mov_b32 s45, -1
	s_mov_b32 s44, 0
	s_branch .LBB63_61
.LBB63_60:
	s_mov_b32 s44, -1
                                        ; implicit-def: $vgpr4_vgpr5
.LBB63_61:
	s_mov_b32 s1, 0
.LBB63_62:
	s_delay_alu instid0(SALU_CYCLE_1)
	s_and_b32 vcc_lo, exec_lo, s1
	s_cbranch_vccz .LBB63_78
; %bb.63:
	s_cmp_lt_i32 s35, 27
	s_cbranch_scc1 .LBB63_66
; %bb.64:
	s_cmp_gt_i32 s35, 27
	s_cbranch_scc0 .LBB63_67
; %bb.65:
	s_wait_loadcnt 0x0
	global_load_b32 v4, v[14:15], off
	v_mov_b32_e32 v5, 0
	s_mov_b32 s1, 0
	s_branch .LBB63_68
.LBB63_66:
	s_mov_b32 s1, -1
                                        ; implicit-def: $vgpr4_vgpr5
	s_branch .LBB63_71
.LBB63_67:
	s_mov_b32 s1, -1
                                        ; implicit-def: $vgpr4_vgpr5
.LBB63_68:
	s_delay_alu instid0(SALU_CYCLE_1)
	s_and_not1_b32 vcc_lo, exec_lo, s1
	s_cbranch_vccnz .LBB63_70
; %bb.69:
	global_load_u16 v1, v[14:15], off
	s_mov_b32 s1, 0
	s_wait_loadcnt 0x1
	v_mov_b32_e32 v5, s1
	s_wait_loadcnt 0x0
	v_and_b32_e32 v4, 0xffff, v1
.LBB63_70:
	s_mov_b32 s1, 0
.LBB63_71:
	s_delay_alu instid0(SALU_CYCLE_1)
	s_and_not1_b32 vcc_lo, exec_lo, s1
	s_cbranch_vccnz .LBB63_77
; %bb.72:
	global_load_u8 v1, v[14:15], off
	s_mov_b32 s45, 0
	s_mov_b32 s1, exec_lo
	s_wait_loadcnt 0x0
	v_cmpx_lt_i16_e32 0x7f, v1
	s_xor_b32 s1, exec_lo, s1
	s_cbranch_execz .LBB63_88
; %bb.73:
	v_cmp_ne_u16_e32 vcc_lo, 0x80, v1
	s_and_b32 s45, vcc_lo, exec_lo
	s_and_not1_saveexec_b32 s1, s1
	s_cbranch_execnz .LBB63_89
.LBB63_74:
	s_or_b32 exec_lo, exec_lo, s1
	v_mov_b64_e32 v[4:5], 0
	s_and_saveexec_b32 s1, s45
	s_cbranch_execz .LBB63_76
.LBB63_75:
	v_and_b32_e32 v3, 0xffff, v1
	s_delay_alu instid0(VALU_DEP_1) | instskip(SKIP_1) | instid1(VALU_DEP_2)
	v_and_b32_e32 v4, 7, v3
	v_bfe_u32 v9, v3, 3, 4
	v_clz_i32_u32_e32 v5, v4
	s_delay_alu instid0(VALU_DEP_2) | instskip(NEXT) | instid1(VALU_DEP_2)
	v_cmp_eq_u32_e32 vcc_lo, 0, v9
	v_min_u32_e32 v5, 32, v5
	s_delay_alu instid0(VALU_DEP_1) | instskip(NEXT) | instid1(VALU_DEP_1)
	v_subrev_nc_u32_e32 v7, 28, v5
	v_dual_lshlrev_b32 v3, v7, v3 :: v_dual_sub_nc_u32 v5, 29, v5
	s_delay_alu instid0(VALU_DEP_1) | instskip(NEXT) | instid1(VALU_DEP_1)
	v_dual_lshlrev_b32 v1, 24, v1 :: v_dual_bitop2_b32 v3, 7, v3 bitop3:0x40
	v_dual_cndmask_b32 v3, v4, v3, vcc_lo :: v_dual_cndmask_b32 v5, v9, v5, vcc_lo
	s_delay_alu instid0(VALU_DEP_2) | instskip(NEXT) | instid1(VALU_DEP_2)
	v_and_b32_e32 v1, 0x80000000, v1
	v_lshlrev_b32_e32 v3, 20, v3
	s_delay_alu instid0(VALU_DEP_3) | instskip(NEXT) | instid1(VALU_DEP_1)
	v_lshl_add_u32 v4, v5, 23, 0x3b800000
	v_or3_b32 v1, v1, v4, v3
	s_delay_alu instid0(VALU_DEP_1) | instskip(NEXT) | instid1(VALU_DEP_1)
	v_trunc_f32_e32 v1, v1
	v_mul_f32_e64 v3, 0x2f800000, |v1|
	v_ashrrev_i32_e32 v4, 31, v1
	s_delay_alu instid0(VALU_DEP_2) | instskip(NEXT) | instid1(VALU_DEP_1)
	v_floor_f32_e32 v3, v3
	v_fma_f32 v5, 0xcf800000, v3, |v1|
	v_cvt_u32_f32_e32 v1, v3
	s_delay_alu instid0(VALU_DEP_2) | instskip(NEXT) | instid1(VALU_DEP_2)
	v_cvt_u32_f32_e32 v3, v5
	v_dual_mov_b32 v5, v4 :: v_dual_bitop2_b32 v17, v1, v4 bitop3:0x14
	s_delay_alu instid0(VALU_DEP_2) | instskip(NEXT) | instid1(VALU_DEP_1)
	v_xor_b32_e32 v16, v3, v4
	v_sub_nc_u64_e32 v[4:5], v[16:17], v[4:5]
.LBB63_76:
	s_or_b32 exec_lo, exec_lo, s1
.LBB63_77:
	s_mov_b32 s45, -1
.LBB63_78:
	s_branch .LBB63_111
.LBB63_79:
	s_cmp_gt_i32 s35, 22
	s_cbranch_scc0 .LBB63_87
; %bb.80:
	s_cmp_lt_i32 s35, 24
	s_cbranch_scc1 .LBB63_90
; %bb.81:
	s_cmp_gt_i32 s35, 24
	s_cbranch_scc0 .LBB63_91
; %bb.82:
	global_load_u8 v1, v[14:15], off
	s_mov_b32 s45, 0
	s_mov_b32 s1, exec_lo
	s_wait_loadcnt 0x0
	v_cmpx_lt_i16_e32 0x7f, v1
	s_xor_b32 s1, exec_lo, s1
	s_cbranch_execz .LBB63_103
; %bb.83:
	v_cmp_ne_u16_e32 vcc_lo, 0x80, v1
	s_and_b32 s45, vcc_lo, exec_lo
	s_and_not1_saveexec_b32 s1, s1
	s_cbranch_execnz .LBB63_104
.LBB63_84:
	s_or_b32 exec_lo, exec_lo, s1
	v_mov_b64_e32 v[4:5], 0
	s_and_saveexec_b32 s1, s45
	s_cbranch_execz .LBB63_86
.LBB63_85:
	v_and_b32_e32 v3, 0xffff, v1
	s_delay_alu instid0(VALU_DEP_1) | instskip(SKIP_1) | instid1(VALU_DEP_2)
	v_and_b32_e32 v4, 3, v3
	v_bfe_u32 v9, v3, 2, 5
	v_clz_i32_u32_e32 v5, v4
	s_delay_alu instid0(VALU_DEP_2) | instskip(NEXT) | instid1(VALU_DEP_2)
	v_cmp_eq_u32_e32 vcc_lo, 0, v9
	v_min_u32_e32 v5, 32, v5
	s_delay_alu instid0(VALU_DEP_1) | instskip(NEXT) | instid1(VALU_DEP_1)
	v_subrev_nc_u32_e32 v7, 29, v5
	v_dual_lshlrev_b32 v3, v7, v3 :: v_dual_sub_nc_u32 v5, 30, v5
	s_delay_alu instid0(VALU_DEP_1) | instskip(NEXT) | instid1(VALU_DEP_1)
	v_dual_lshlrev_b32 v1, 24, v1 :: v_dual_bitop2_b32 v3, 3, v3 bitop3:0x40
	v_dual_cndmask_b32 v3, v4, v3, vcc_lo :: v_dual_cndmask_b32 v5, v9, v5, vcc_lo
	s_delay_alu instid0(VALU_DEP_2) | instskip(NEXT) | instid1(VALU_DEP_2)
	v_and_b32_e32 v1, 0x80000000, v1
	v_lshlrev_b32_e32 v3, 21, v3
	s_delay_alu instid0(VALU_DEP_3) | instskip(NEXT) | instid1(VALU_DEP_1)
	v_lshl_add_u32 v4, v5, 23, 0x37800000
	v_or3_b32 v1, v1, v4, v3
	s_delay_alu instid0(VALU_DEP_1) | instskip(NEXT) | instid1(VALU_DEP_1)
	v_trunc_f32_e32 v1, v1
	v_mul_f32_e64 v3, 0x2f800000, |v1|
	v_ashrrev_i32_e32 v4, 31, v1
	s_delay_alu instid0(VALU_DEP_2) | instskip(NEXT) | instid1(VALU_DEP_1)
	v_floor_f32_e32 v3, v3
	v_fma_f32 v5, 0xcf800000, v3, |v1|
	v_cvt_u32_f32_e32 v1, v3
	s_delay_alu instid0(VALU_DEP_2) | instskip(NEXT) | instid1(VALU_DEP_2)
	v_cvt_u32_f32_e32 v3, v5
	v_dual_mov_b32 v5, v4 :: v_dual_bitop2_b32 v17, v1, v4 bitop3:0x14
	s_delay_alu instid0(VALU_DEP_2) | instskip(NEXT) | instid1(VALU_DEP_1)
	v_xor_b32_e32 v16, v3, v4
	v_sub_nc_u64_e32 v[4:5], v[16:17], v[4:5]
.LBB63_86:
	s_or_b32 exec_lo, exec_lo, s1
	s_mov_b32 s1, 0
	s_branch .LBB63_92
.LBB63_87:
	s_mov_b32 s1, -1
                                        ; implicit-def: $vgpr4_vgpr5
	s_branch .LBB63_98
.LBB63_88:
	s_and_not1_saveexec_b32 s1, s1
	s_cbranch_execz .LBB63_74
.LBB63_89:
	v_cmp_ne_u16_e32 vcc_lo, 0, v1
	s_and_not1_b32 s36, s45, exec_lo
	s_and_b32 s37, vcc_lo, exec_lo
	s_delay_alu instid0(SALU_CYCLE_1)
	s_or_b32 s45, s36, s37
	s_or_b32 exec_lo, exec_lo, s1
	v_mov_b64_e32 v[4:5], 0
	s_and_saveexec_b32 s1, s45
	s_cbranch_execnz .LBB63_75
	s_branch .LBB63_76
.LBB63_90:
	s_mov_b32 s1, -1
                                        ; implicit-def: $vgpr4_vgpr5
	s_branch .LBB63_95
.LBB63_91:
	s_mov_b32 s1, -1
                                        ; implicit-def: $vgpr4_vgpr5
.LBB63_92:
	s_delay_alu instid0(SALU_CYCLE_1)
	s_and_b32 vcc_lo, exec_lo, s1
	s_cbranch_vccz .LBB63_94
; %bb.93:
	global_load_u8 v1, v[14:15], off
	s_wait_loadcnt 0x0
	v_lshlrev_b32_e32 v1, 24, v1
	s_delay_alu instid0(VALU_DEP_1) | instskip(NEXT) | instid1(VALU_DEP_1)
	v_and_b32_e32 v3, 0x7f000000, v1
	v_clz_i32_u32_e32 v4, v3
	v_add_nc_u32_e32 v7, 0x1000000, v3
	v_cmp_ne_u32_e32 vcc_lo, 0, v3
	s_delay_alu instid0(VALU_DEP_3) | instskip(NEXT) | instid1(VALU_DEP_1)
	v_min_u32_e32 v4, 32, v4
	v_sub_nc_u32_e64 v4, v4, 4 clamp
	s_delay_alu instid0(VALU_DEP_1) | instskip(NEXT) | instid1(VALU_DEP_1)
	v_dual_lshlrev_b32 v5, v4, v3 :: v_dual_lshlrev_b32 v4, 23, v4
	v_lshrrev_b32_e32 v5, 4, v5
	s_delay_alu instid0(VALU_DEP_1) | instskip(NEXT) | instid1(VALU_DEP_1)
	v_dual_sub_nc_u32 v4, v5, v4 :: v_dual_ashrrev_i32 v5, 8, v7
	v_add_nc_u32_e32 v4, 0x3c000000, v4
	s_delay_alu instid0(VALU_DEP_1) | instskip(NEXT) | instid1(VALU_DEP_1)
	v_and_or_b32 v4, 0x7f800000, v5, v4
	v_cndmask_b32_e32 v3, 0, v4, vcc_lo
	s_delay_alu instid0(VALU_DEP_1) | instskip(NEXT) | instid1(VALU_DEP_1)
	v_and_or_b32 v1, 0x80000000, v1, v3
	v_trunc_f32_e32 v1, v1
	s_delay_alu instid0(VALU_DEP_1) | instskip(SKIP_1) | instid1(VALU_DEP_2)
	v_mul_f32_e64 v3, 0x2f800000, |v1|
	v_ashrrev_i32_e32 v4, 31, v1
	v_floor_f32_e32 v3, v3
	s_delay_alu instid0(VALU_DEP_1) | instskip(SKIP_1) | instid1(VALU_DEP_2)
	v_fma_f32 v5, 0xcf800000, v3, |v1|
	v_cvt_u32_f32_e32 v1, v3
	v_cvt_u32_f32_e32 v3, v5
	s_delay_alu instid0(VALU_DEP_2) | instskip(NEXT) | instid1(VALU_DEP_2)
	v_dual_mov_b32 v5, v4 :: v_dual_bitop2_b32 v17, v1, v4 bitop3:0x14
	v_xor_b32_e32 v16, v3, v4
	s_delay_alu instid0(VALU_DEP_1)
	v_sub_nc_u64_e32 v[4:5], v[16:17], v[4:5]
.LBB63_94:
	s_mov_b32 s1, 0
.LBB63_95:
	s_delay_alu instid0(SALU_CYCLE_1)
	s_and_not1_b32 vcc_lo, exec_lo, s1
	s_cbranch_vccnz .LBB63_97
; %bb.96:
	global_load_u8 v1, v[14:15], off
	s_wait_loadcnt 0x0
	v_lshlrev_b32_e32 v3, 25, v1
	v_lshlrev_b16 v1, 8, v1
	s_delay_alu instid0(VALU_DEP_1) | instskip(NEXT) | instid1(VALU_DEP_3)
	v_and_or_b32 v5, 0x7f00, v1, 0.5
	v_lshrrev_b32_e32 v4, 4, v3
	v_bfe_i32 v1, v1, 0, 16
	s_delay_alu instid0(VALU_DEP_3) | instskip(NEXT) | instid1(VALU_DEP_3)
	v_add_f32_e32 v5, -0.5, v5
	v_or_b32_e32 v4, 0x70000000, v4
	s_delay_alu instid0(VALU_DEP_1) | instskip(SKIP_1) | instid1(VALU_DEP_2)
	v_mul_f32_e32 v4, 0x7800000, v4
	v_cmp_gt_u32_e32 vcc_lo, 0x8000000, v3
	v_cndmask_b32_e32 v3, v4, v5, vcc_lo
	s_delay_alu instid0(VALU_DEP_1) | instskip(NEXT) | instid1(VALU_DEP_1)
	v_and_or_b32 v1, 0x80000000, v1, v3
	v_trunc_f32_e32 v1, v1
	s_delay_alu instid0(VALU_DEP_1) | instskip(SKIP_1) | instid1(VALU_DEP_2)
	v_mul_f32_e64 v3, 0x2f800000, |v1|
	v_ashrrev_i32_e32 v4, 31, v1
	v_floor_f32_e32 v3, v3
	s_delay_alu instid0(VALU_DEP_1) | instskip(SKIP_1) | instid1(VALU_DEP_2)
	v_fma_f32 v5, 0xcf800000, v3, |v1|
	v_cvt_u32_f32_e32 v1, v3
	v_cvt_u32_f32_e32 v3, v5
	s_delay_alu instid0(VALU_DEP_2) | instskip(NEXT) | instid1(VALU_DEP_2)
	v_dual_mov_b32 v5, v4 :: v_dual_bitop2_b32 v17, v1, v4 bitop3:0x14
	v_xor_b32_e32 v16, v3, v4
	s_delay_alu instid0(VALU_DEP_1)
	v_sub_nc_u64_e32 v[4:5], v[16:17], v[4:5]
.LBB63_97:
	s_mov_b32 s1, 0
	s_mov_b32 s45, -1
.LBB63_98:
	s_and_not1_b32 vcc_lo, exec_lo, s1
	s_cbranch_vccnz .LBB63_111
; %bb.99:
	s_cmp_gt_i32 s35, 14
	s_cbranch_scc0 .LBB63_102
; %bb.100:
	s_cmp_eq_u32 s35, 15
	s_cbranch_scc0 .LBB63_105
; %bb.101:
	global_load_u16 v1, v[14:15], off
	s_mov_b32 s45, -1
	s_mov_b32 s44, 0
	s_wait_loadcnt 0x0
	v_lshlrev_b32_e32 v1, 16, v1
	s_delay_alu instid0(VALU_DEP_1) | instskip(NEXT) | instid1(VALU_DEP_1)
	v_trunc_f32_e32 v1, v1
	v_mul_f32_e64 v3, 0x2f800000, |v1|
	v_ashrrev_i32_e32 v4, 31, v1
	s_delay_alu instid0(VALU_DEP_2) | instskip(NEXT) | instid1(VALU_DEP_1)
	v_floor_f32_e32 v3, v3
	v_fma_f32 v5, 0xcf800000, v3, |v1|
	v_cvt_u32_f32_e32 v1, v3
	s_delay_alu instid0(VALU_DEP_2) | instskip(NEXT) | instid1(VALU_DEP_2)
	v_cvt_u32_f32_e32 v3, v5
	v_dual_mov_b32 v5, v4 :: v_dual_bitop2_b32 v17, v1, v4 bitop3:0x14
	s_delay_alu instid0(VALU_DEP_2) | instskip(NEXT) | instid1(VALU_DEP_1)
	v_xor_b32_e32 v16, v3, v4
	v_sub_nc_u64_e32 v[4:5], v[16:17], v[4:5]
	s_branch .LBB63_106
.LBB63_102:
	s_mov_b32 s1, -1
                                        ; implicit-def: $vgpr4_vgpr5
	s_branch .LBB63_107
.LBB63_103:
	s_and_not1_saveexec_b32 s1, s1
	s_cbranch_execz .LBB63_84
.LBB63_104:
	v_cmp_ne_u16_e32 vcc_lo, 0, v1
	s_and_not1_b32 s36, s45, exec_lo
	s_and_b32 s37, vcc_lo, exec_lo
	s_delay_alu instid0(SALU_CYCLE_1)
	s_or_b32 s45, s36, s37
	s_or_b32 exec_lo, exec_lo, s1
	v_mov_b64_e32 v[4:5], 0
	s_and_saveexec_b32 s1, s45
	s_cbranch_execnz .LBB63_85
	s_branch .LBB63_86
.LBB63_105:
	s_mov_b32 s44, -1
                                        ; implicit-def: $vgpr4_vgpr5
.LBB63_106:
	s_mov_b32 s1, 0
.LBB63_107:
	s_delay_alu instid0(SALU_CYCLE_1)
	s_and_b32 vcc_lo, exec_lo, s1
	s_cbranch_vccz .LBB63_111
; %bb.108:
	s_cmp_eq_u32 s35, 11
	s_cbranch_scc0 .LBB63_110
; %bb.109:
	global_load_u8 v1, v[14:15], off
	s_mov_b32 s44, 0
	s_mov_b32 s45, -1
	s_wait_loadcnt 0x1
	v_mov_b32_e32 v5, s44
	s_wait_loadcnt 0x0
	v_cmp_ne_u16_e32 vcc_lo, 0, v1
	v_cndmask_b32_e64 v4, 0, 1, vcc_lo
	s_branch .LBB63_111
.LBB63_110:
	s_mov_b32 s44, -1
                                        ; implicit-def: $vgpr4_vgpr5
.LBB63_111:
	s_branch .LBB63_21
.LBB63_112:
	s_and_b32 s0, 0xffff, s0
	s_delay_alu instid0(SALU_CYCLE_1)
	s_cmp_lt_i32 s0, 5
	s_cbranch_scc1 .LBB63_117
; %bb.113:
	s_cmp_lt_i32 s0, 8
	s_cbranch_scc1 .LBB63_118
; %bb.114:
	;; [unrolled: 3-line block ×3, first 2 shown]
	s_cmp_gt_i32 s0, 9
	s_cbranch_scc0 .LBB63_120
; %bb.116:
	s_wait_loadcnt 0x0
	global_load_b64 v[4:5], v[14:15], off
	s_mov_b32 s1, 0
	s_wait_loadcnt 0x0
	v_trunc_f64_e32 v[4:5], v[4:5]
	s_delay_alu instid0(VALU_DEP_1) | instskip(NEXT) | instid1(VALU_DEP_1)
	v_ldexp_f64 v[16:17], v[4:5], 0xffffffe0
	v_floor_f64_e32 v[16:17], v[16:17]
	s_delay_alu instid0(VALU_DEP_1) | instskip(SKIP_1) | instid1(VALU_DEP_2)
	v_fmamk_f64 v[18:19], v[16:17], 0xc1f00000, v[4:5]
	v_cvt_i32_f64_e32 v5, v[16:17]
	v_cvt_u32_f64_e32 v4, v[18:19]
	s_branch .LBB63_121
.LBB63_117:
                                        ; implicit-def: $vgpr4_vgpr5
	s_branch .LBB63_139
.LBB63_118:
	s_mov_b32 s1, -1
                                        ; implicit-def: $vgpr4_vgpr5
	s_branch .LBB63_127
.LBB63_119:
	s_mov_b32 s1, -1
                                        ; implicit-def: $vgpr4_vgpr5
	s_branch .LBB63_124
.LBB63_120:
	s_mov_b32 s1, -1
                                        ; implicit-def: $vgpr4_vgpr5
.LBB63_121:
	s_delay_alu instid0(SALU_CYCLE_1)
	s_and_not1_b32 vcc_lo, exec_lo, s1
	s_cbranch_vccnz .LBB63_123
; %bb.122:
	global_load_b32 v1, v[14:15], off
	s_wait_loadcnt 0x0
	v_trunc_f32_e32 v1, v1
	s_delay_alu instid0(VALU_DEP_1) | instskip(SKIP_1) | instid1(VALU_DEP_2)
	v_mul_f32_e64 v3, 0x2f800000, |v1|
	v_ashrrev_i32_e32 v4, 31, v1
	v_floor_f32_e32 v3, v3
	s_delay_alu instid0(VALU_DEP_1) | instskip(SKIP_1) | instid1(VALU_DEP_2)
	v_fma_f32 v5, 0xcf800000, v3, |v1|
	v_cvt_u32_f32_e32 v1, v3
	v_cvt_u32_f32_e32 v3, v5
	s_delay_alu instid0(VALU_DEP_2) | instskip(NEXT) | instid1(VALU_DEP_2)
	v_dual_mov_b32 v5, v4 :: v_dual_bitop2_b32 v17, v1, v4 bitop3:0x14
	v_xor_b32_e32 v16, v3, v4
	s_delay_alu instid0(VALU_DEP_1)
	v_sub_nc_u64_e32 v[4:5], v[16:17], v[4:5]
.LBB63_123:
	s_mov_b32 s1, 0
.LBB63_124:
	s_delay_alu instid0(SALU_CYCLE_1)
	s_and_not1_b32 vcc_lo, exec_lo, s1
	s_cbranch_vccnz .LBB63_126
; %bb.125:
	global_load_b32 v1, v[14:15], off
	s_wait_loadcnt 0x0
	v_cvt_f32_f16_e32 v1, v1
	s_delay_alu instid0(VALU_DEP_1) | instskip(NEXT) | instid1(VALU_DEP_1)
	v_cvt_i32_f32_e32 v4, v1
	v_ashrrev_i32_e32 v5, 31, v4
.LBB63_126:
	s_mov_b32 s1, 0
.LBB63_127:
	s_delay_alu instid0(SALU_CYCLE_1)
	s_and_not1_b32 vcc_lo, exec_lo, s1
	s_cbranch_vccnz .LBB63_138
; %bb.128:
	s_cmp_lt_i32 s0, 6
	s_cbranch_scc1 .LBB63_131
; %bb.129:
	s_cmp_gt_i32 s0, 6
	s_cbranch_scc0 .LBB63_132
; %bb.130:
	s_wait_loadcnt 0x0
	global_load_b64 v[4:5], v[14:15], off
	s_mov_b32 s1, 0
	s_wait_loadcnt 0x0
	v_trunc_f64_e32 v[4:5], v[4:5]
	s_delay_alu instid0(VALU_DEP_1) | instskip(NEXT) | instid1(VALU_DEP_1)
	v_ldexp_f64 v[16:17], v[4:5], 0xffffffe0
	v_floor_f64_e32 v[16:17], v[16:17]
	s_delay_alu instid0(VALU_DEP_1) | instskip(SKIP_1) | instid1(VALU_DEP_2)
	v_fmamk_f64 v[18:19], v[16:17], 0xc1f00000, v[4:5]
	v_cvt_i32_f64_e32 v5, v[16:17]
	v_cvt_u32_f64_e32 v4, v[18:19]
	s_branch .LBB63_133
.LBB63_131:
	s_mov_b32 s1, -1
                                        ; implicit-def: $vgpr4_vgpr5
	s_branch .LBB63_136
.LBB63_132:
	s_mov_b32 s1, -1
                                        ; implicit-def: $vgpr4_vgpr5
.LBB63_133:
	s_delay_alu instid0(SALU_CYCLE_1)
	s_and_not1_b32 vcc_lo, exec_lo, s1
	s_cbranch_vccnz .LBB63_135
; %bb.134:
	global_load_b32 v1, v[14:15], off
	s_wait_loadcnt 0x0
	v_trunc_f32_e32 v1, v1
	s_delay_alu instid0(VALU_DEP_1) | instskip(SKIP_1) | instid1(VALU_DEP_2)
	v_mul_f32_e64 v3, 0x2f800000, |v1|
	v_ashrrev_i32_e32 v4, 31, v1
	v_floor_f32_e32 v3, v3
	s_delay_alu instid0(VALU_DEP_1) | instskip(SKIP_1) | instid1(VALU_DEP_2)
	v_fma_f32 v5, 0xcf800000, v3, |v1|
	v_cvt_u32_f32_e32 v1, v3
	v_cvt_u32_f32_e32 v3, v5
	s_delay_alu instid0(VALU_DEP_2) | instskip(NEXT) | instid1(VALU_DEP_2)
	v_dual_mov_b32 v5, v4 :: v_dual_bitop2_b32 v17, v1, v4 bitop3:0x14
	v_xor_b32_e32 v16, v3, v4
	s_delay_alu instid0(VALU_DEP_1)
	v_sub_nc_u64_e32 v[4:5], v[16:17], v[4:5]
.LBB63_135:
	s_mov_b32 s1, 0
.LBB63_136:
	s_delay_alu instid0(SALU_CYCLE_1)
	s_and_not1_b32 vcc_lo, exec_lo, s1
	s_cbranch_vccnz .LBB63_138
; %bb.137:
	global_load_u16 v1, v[14:15], off
	s_wait_loadcnt 0x0
	v_cvt_f32_f16_e32 v1, v1
	s_delay_alu instid0(VALU_DEP_1) | instskip(NEXT) | instid1(VALU_DEP_1)
	v_cvt_i32_f32_e32 v4, v1
	v_ashrrev_i32_e32 v5, 31, v4
.LBB63_138:
	s_cbranch_execnz .LBB63_158
.LBB63_139:
	s_cmp_lt_i32 s0, 2
	s_cbranch_scc1 .LBB63_143
; %bb.140:
	s_cmp_lt_i32 s0, 3
	s_cbranch_scc1 .LBB63_144
; %bb.141:
	s_cmp_gt_i32 s0, 3
	s_cbranch_scc0 .LBB63_145
; %bb.142:
	s_wait_loadcnt 0x0
	global_load_b64 v[4:5], v[14:15], off
	s_mov_b32 s1, 0
	s_branch .LBB63_146
.LBB63_143:
	s_mov_b32 s1, -1
                                        ; implicit-def: $vgpr4_vgpr5
	s_branch .LBB63_152
.LBB63_144:
	s_mov_b32 s1, -1
                                        ; implicit-def: $vgpr4_vgpr5
	s_branch .LBB63_149
.LBB63_145:
	s_mov_b32 s1, -1
                                        ; implicit-def: $vgpr4_vgpr5
.LBB63_146:
	s_delay_alu instid0(SALU_CYCLE_1)
	s_and_not1_b32 vcc_lo, exec_lo, s1
	s_cbranch_vccnz .LBB63_148
; %bb.147:
	s_wait_loadcnt 0x0
	global_load_b32 v4, v[14:15], off
	s_wait_loadcnt 0x0
	v_ashrrev_i32_e32 v5, 31, v4
.LBB63_148:
	s_mov_b32 s1, 0
.LBB63_149:
	s_delay_alu instid0(SALU_CYCLE_1)
	s_and_not1_b32 vcc_lo, exec_lo, s1
	s_cbranch_vccnz .LBB63_151
; %bb.150:
	global_load_u16 v1, v[14:15], off
	s_wait_loadcnt 0x0
	v_bfe_i32 v4, v1, 0, 16
	s_delay_alu instid0(VALU_DEP_1)
	v_ashrrev_i32_e32 v5, 31, v4
.LBB63_151:
	s_mov_b32 s1, 0
.LBB63_152:
	s_delay_alu instid0(SALU_CYCLE_1)
	s_and_not1_b32 vcc_lo, exec_lo, s1
	s_cbranch_vccnz .LBB63_158
; %bb.153:
	s_cmp_gt_i32 s0, 0
	s_mov_b32 s0, 0
	s_cbranch_scc0 .LBB63_155
; %bb.154:
	global_load_i8 v1, v[14:15], off
	s_wait_loadcnt 0x0
	v_bfe_i32 v4, v1, 0, 16
	s_delay_alu instid0(VALU_DEP_1)
	v_ashrrev_i32_e32 v5, 31, v4
	s_branch .LBB63_156
.LBB63_155:
	s_mov_b32 s0, -1
                                        ; implicit-def: $vgpr4_vgpr5
.LBB63_156:
	s_delay_alu instid0(SALU_CYCLE_1)
	s_and_not1_b32 vcc_lo, exec_lo, s0
	s_cbranch_vccnz .LBB63_158
; %bb.157:
	global_load_u8 v1, v[14:15], off
	s_mov_b32 s0, 0
	s_wait_loadcnt 0x1
	v_mov_b32_e32 v5, s0
	s_wait_loadcnt 0x0
	v_and_b32_e32 v4, 0xffff, v1
.LBB63_158:
	s_branch .LBB63_22
.LBB63_159:
	s_mov_b32 s0, 0
	s_mov_b32 s1, 0
	;; [unrolled: 1-line block ×10, first 2 shown]
	s_branch .LBB63_520
.LBB63_160:
	s_mov_b32 s45, -1
.LBB63_161:
	s_mov_b32 s46, 0
                                        ; implicit-def: $vgpr8_vgpr9
.LBB63_162:
	s_and_b32 vcc_lo, exec_lo, s1
	s_cbranch_vccz .LBB63_167
; %bb.163:
	s_cmp_eq_u32 s35, 44
	s_cbranch_scc0 .LBB63_166
; %bb.164:
	global_load_u8 v1, v[14:15], off
	s_mov_b32 s45, 0
	s_mov_b32 s46, -1
	s_wait_loadcnt 0x0
	v_lshlrev_b32_e32 v3, 23, v1
	v_cmp_ne_u32_e32 vcc_lo, 0, v1
	s_delay_alu instid0(VALU_DEP_2) | instskip(NEXT) | instid1(VALU_DEP_1)
	v_trunc_f32_e32 v3, v3
	v_mul_f32_e64 v7, 0x2f800000, |v3|
	v_ashrrev_i32_e32 v8, 31, v3
	s_delay_alu instid0(VALU_DEP_2) | instskip(NEXT) | instid1(VALU_DEP_1)
	v_floor_f32_e32 v7, v7
	v_fma_f32 v9, 0xcf800000, v7, |v3|
	v_cvt_u32_f32_e32 v3, v7
	s_delay_alu instid0(VALU_DEP_2) | instskip(NEXT) | instid1(VALU_DEP_2)
	v_cvt_u32_f32_e32 v7, v9
	v_dual_mov_b32 v9, v8 :: v_dual_bitop2_b32 v17, v3, v8 bitop3:0x14
	s_delay_alu instid0(VALU_DEP_2) | instskip(NEXT) | instid1(VALU_DEP_1)
	v_xor_b32_e32 v16, v7, v8
	v_sub_nc_u64_e32 v[8:9], v[16:17], v[8:9]
	s_delay_alu instid0(VALU_DEP_1)
	v_dual_cndmask_b32 v9, 0, v9 :: v_dual_cndmask_b32 v8, 0, v8
	s_branch .LBB63_167
.LBB63_165:
	s_mov_b32 s1, -1
	s_mov_b32 s46, 0
	s_branch .LBB63_274
.LBB63_166:
	s_mov_b32 s45, -1
                                        ; implicit-def: $vgpr8_vgpr9
.LBB63_167:
	s_mov_b32 s1, 0
.LBB63_168:
	s_delay_alu instid0(SALU_CYCLE_1)
	s_and_b32 vcc_lo, exec_lo, s1
	s_cbranch_vccz .LBB63_172
; %bb.169:
	s_cmp_eq_u32 s35, 29
	s_cbranch_scc0 .LBB63_171
; %bb.170:
	global_load_b64 v[8:9], v[14:15], off
	s_mov_b32 s46, -1
	s_mov_b32 s45, 0
	s_branch .LBB63_172
.LBB63_171:
	s_mov_b32 s45, -1
                                        ; implicit-def: $vgpr8_vgpr9
.LBB63_172:
	s_mov_b32 s1, 0
.LBB63_173:
	s_delay_alu instid0(SALU_CYCLE_1)
	s_and_b32 vcc_lo, exec_lo, s1
	s_cbranch_vccz .LBB63_189
; %bb.174:
	s_cmp_lt_i32 s35, 27
	s_cbranch_scc1 .LBB63_177
; %bb.175:
	s_cmp_gt_i32 s35, 27
	s_cbranch_scc0 .LBB63_178
; %bb.176:
	s_wait_loadcnt 0x0
	global_load_b32 v8, v[14:15], off
	v_mov_b32_e32 v9, 0
	s_mov_b32 s1, 0
	s_branch .LBB63_179
.LBB63_177:
	s_mov_b32 s1, -1
                                        ; implicit-def: $vgpr8_vgpr9
	s_branch .LBB63_182
.LBB63_178:
	s_mov_b32 s1, -1
                                        ; implicit-def: $vgpr8_vgpr9
.LBB63_179:
	s_delay_alu instid0(SALU_CYCLE_1)
	s_and_not1_b32 vcc_lo, exec_lo, s1
	s_cbranch_vccnz .LBB63_181
; %bb.180:
	global_load_u16 v1, v[14:15], off
	s_mov_b32 s1, 0
	s_wait_loadcnt 0x1
	v_mov_b32_e32 v9, s1
	s_wait_loadcnt 0x0
	v_and_b32_e32 v8, 0xffff, v1
.LBB63_181:
	s_mov_b32 s1, 0
.LBB63_182:
	s_delay_alu instid0(SALU_CYCLE_1)
	s_and_not1_b32 vcc_lo, exec_lo, s1
	s_cbranch_vccnz .LBB63_188
; %bb.183:
	global_load_u8 v1, v[14:15], off
	s_mov_b32 s46, 0
	s_mov_b32 s1, exec_lo
	s_wait_loadcnt 0x0
	v_cmpx_lt_i16_e32 0x7f, v1
	s_xor_b32 s1, exec_lo, s1
	s_cbranch_execz .LBB63_200
; %bb.184:
	v_cmp_ne_u16_e32 vcc_lo, 0x80, v1
	s_and_b32 s46, vcc_lo, exec_lo
	s_and_not1_saveexec_b32 s1, s1
	s_cbranch_execnz .LBB63_201
.LBB63_185:
	s_or_b32 exec_lo, exec_lo, s1
	v_mov_b64_e32 v[8:9], 0
	s_and_saveexec_b32 s1, s46
	s_cbranch_execz .LBB63_187
.LBB63_186:
	v_and_b32_e32 v3, 0xffff, v1
	s_delay_alu instid0(VALU_DEP_1) | instskip(SKIP_1) | instid1(VALU_DEP_2)
	v_and_b32_e32 v7, 7, v3
	v_bfe_u32 v11, v3, 3, 4
	v_clz_i32_u32_e32 v8, v7
	s_delay_alu instid0(VALU_DEP_2) | instskip(NEXT) | instid1(VALU_DEP_2)
	v_cmp_eq_u32_e32 vcc_lo, 0, v11
	v_min_u32_e32 v8, 32, v8
	s_delay_alu instid0(VALU_DEP_1) | instskip(NEXT) | instid1(VALU_DEP_1)
	v_subrev_nc_u32_e32 v9, 28, v8
	v_dual_lshlrev_b32 v3, v9, v3 :: v_dual_sub_nc_u32 v8, 29, v8
	s_delay_alu instid0(VALU_DEP_1) | instskip(NEXT) | instid1(VALU_DEP_2)
	v_dual_lshlrev_b32 v1, 24, v1 :: v_dual_bitop2_b32 v3, 7, v3 bitop3:0x40
	v_cndmask_b32_e32 v8, v11, v8, vcc_lo
	s_delay_alu instid0(VALU_DEP_2) | instskip(NEXT) | instid1(VALU_DEP_3)
	v_cndmask_b32_e32 v3, v7, v3, vcc_lo
	v_and_b32_e32 v1, 0x80000000, v1
	s_delay_alu instid0(VALU_DEP_3) | instskip(NEXT) | instid1(VALU_DEP_3)
	v_lshl_add_u32 v7, v8, 23, 0x3b800000
	v_lshlrev_b32_e32 v3, 20, v3
	s_delay_alu instid0(VALU_DEP_1) | instskip(NEXT) | instid1(VALU_DEP_1)
	v_or3_b32 v1, v1, v7, v3
	v_trunc_f32_e32 v1, v1
	s_delay_alu instid0(VALU_DEP_1) | instskip(SKIP_1) | instid1(VALU_DEP_2)
	v_mul_f32_e64 v3, 0x2f800000, |v1|
	v_ashrrev_i32_e32 v8, 31, v1
	v_floor_f32_e32 v3, v3
	s_delay_alu instid0(VALU_DEP_2) | instskip(NEXT) | instid1(VALU_DEP_2)
	v_mov_b32_e32 v9, v8
	v_fma_f32 v7, 0xcf800000, v3, |v1|
	v_cvt_u32_f32_e32 v1, v3
	s_delay_alu instid0(VALU_DEP_2) | instskip(NEXT) | instid1(VALU_DEP_2)
	v_cvt_u32_f32_e32 v3, v7
	v_xor_b32_e32 v17, v1, v8
	s_delay_alu instid0(VALU_DEP_2) | instskip(NEXT) | instid1(VALU_DEP_1)
	v_xor_b32_e32 v16, v3, v8
	v_sub_nc_u64_e32 v[8:9], v[16:17], v[8:9]
.LBB63_187:
	s_or_b32 exec_lo, exec_lo, s1
.LBB63_188:
	s_mov_b32 s46, -1
.LBB63_189:
	s_mov_b32 s1, 0
.LBB63_190:
	s_delay_alu instid0(SALU_CYCLE_1)
	s_and_b32 vcc_lo, exec_lo, s1
	s_cbranch_vccz .LBB63_223
; %bb.191:
	s_cmp_gt_i32 s35, 22
	s_cbranch_scc0 .LBB63_199
; %bb.192:
	s_cmp_lt_i32 s35, 24
	s_cbranch_scc1 .LBB63_202
; %bb.193:
	s_cmp_gt_i32 s35, 24
	s_cbranch_scc0 .LBB63_203
; %bb.194:
	global_load_u8 v1, v[14:15], off
	s_mov_b32 s46, 0
	s_mov_b32 s1, exec_lo
	s_wait_loadcnt 0x0
	v_cmpx_lt_i16_e32 0x7f, v1
	s_xor_b32 s1, exec_lo, s1
	s_cbranch_execz .LBB63_215
; %bb.195:
	v_cmp_ne_u16_e32 vcc_lo, 0x80, v1
	s_and_b32 s46, vcc_lo, exec_lo
	s_and_not1_saveexec_b32 s1, s1
	s_cbranch_execnz .LBB63_216
.LBB63_196:
	s_or_b32 exec_lo, exec_lo, s1
	v_mov_b64_e32 v[8:9], 0
	s_and_saveexec_b32 s1, s46
	s_cbranch_execz .LBB63_198
.LBB63_197:
	v_and_b32_e32 v3, 0xffff, v1
	s_delay_alu instid0(VALU_DEP_1) | instskip(SKIP_1) | instid1(VALU_DEP_2)
	v_and_b32_e32 v7, 3, v3
	v_bfe_u32 v11, v3, 2, 5
	v_clz_i32_u32_e32 v8, v7
	s_delay_alu instid0(VALU_DEP_2) | instskip(NEXT) | instid1(VALU_DEP_2)
	v_cmp_eq_u32_e32 vcc_lo, 0, v11
	v_min_u32_e32 v8, 32, v8
	s_delay_alu instid0(VALU_DEP_1) | instskip(NEXT) | instid1(VALU_DEP_1)
	v_subrev_nc_u32_e32 v9, 29, v8
	v_dual_lshlrev_b32 v3, v9, v3 :: v_dual_sub_nc_u32 v8, 30, v8
	s_delay_alu instid0(VALU_DEP_1) | instskip(NEXT) | instid1(VALU_DEP_2)
	v_dual_lshlrev_b32 v1, 24, v1 :: v_dual_bitop2_b32 v3, 3, v3 bitop3:0x40
	v_cndmask_b32_e32 v8, v11, v8, vcc_lo
	s_delay_alu instid0(VALU_DEP_2) | instskip(NEXT) | instid1(VALU_DEP_3)
	v_cndmask_b32_e32 v3, v7, v3, vcc_lo
	v_and_b32_e32 v1, 0x80000000, v1
	s_delay_alu instid0(VALU_DEP_3) | instskip(NEXT) | instid1(VALU_DEP_3)
	v_lshl_add_u32 v7, v8, 23, 0x37800000
	v_lshlrev_b32_e32 v3, 21, v3
	s_delay_alu instid0(VALU_DEP_1) | instskip(NEXT) | instid1(VALU_DEP_1)
	v_or3_b32 v1, v1, v7, v3
	v_trunc_f32_e32 v1, v1
	s_delay_alu instid0(VALU_DEP_1) | instskip(SKIP_1) | instid1(VALU_DEP_2)
	v_mul_f32_e64 v3, 0x2f800000, |v1|
	v_ashrrev_i32_e32 v8, 31, v1
	v_floor_f32_e32 v3, v3
	s_delay_alu instid0(VALU_DEP_2) | instskip(NEXT) | instid1(VALU_DEP_2)
	v_mov_b32_e32 v9, v8
	v_fma_f32 v7, 0xcf800000, v3, |v1|
	v_cvt_u32_f32_e32 v1, v3
	s_delay_alu instid0(VALU_DEP_2) | instskip(NEXT) | instid1(VALU_DEP_2)
	v_cvt_u32_f32_e32 v3, v7
	v_xor_b32_e32 v17, v1, v8
	s_delay_alu instid0(VALU_DEP_2) | instskip(NEXT) | instid1(VALU_DEP_1)
	v_xor_b32_e32 v16, v3, v8
	v_sub_nc_u64_e32 v[8:9], v[16:17], v[8:9]
.LBB63_198:
	s_or_b32 exec_lo, exec_lo, s1
	s_mov_b32 s1, 0
	s_branch .LBB63_204
.LBB63_199:
	s_mov_b32 s1, -1
                                        ; implicit-def: $vgpr8_vgpr9
	s_branch .LBB63_210
.LBB63_200:
	s_and_not1_saveexec_b32 s1, s1
	s_cbranch_execz .LBB63_185
.LBB63_201:
	v_cmp_ne_u16_e32 vcc_lo, 0, v1
	s_and_not1_b32 s36, s46, exec_lo
	s_and_b32 s37, vcc_lo, exec_lo
	s_delay_alu instid0(SALU_CYCLE_1)
	s_or_b32 s46, s36, s37
	s_or_b32 exec_lo, exec_lo, s1
	v_mov_b64_e32 v[8:9], 0
	s_and_saveexec_b32 s1, s46
	s_cbranch_execnz .LBB63_186
	s_branch .LBB63_187
.LBB63_202:
	s_mov_b32 s1, -1
                                        ; implicit-def: $vgpr8_vgpr9
	s_branch .LBB63_207
.LBB63_203:
	s_mov_b32 s1, -1
                                        ; implicit-def: $vgpr8_vgpr9
.LBB63_204:
	s_delay_alu instid0(SALU_CYCLE_1)
	s_and_b32 vcc_lo, exec_lo, s1
	s_cbranch_vccz .LBB63_206
; %bb.205:
	global_load_u8 v1, v[14:15], off
	s_wait_loadcnt 0x0
	v_lshlrev_b32_e32 v1, 24, v1
	s_delay_alu instid0(VALU_DEP_1) | instskip(NEXT) | instid1(VALU_DEP_1)
	v_and_b32_e32 v3, 0x7f000000, v1
	v_clz_i32_u32_e32 v7, v3
	v_add_nc_u32_e32 v9, 0x1000000, v3
	v_cmp_ne_u32_e32 vcc_lo, 0, v3
	s_delay_alu instid0(VALU_DEP_3) | instskip(NEXT) | instid1(VALU_DEP_1)
	v_min_u32_e32 v7, 32, v7
	v_sub_nc_u32_e64 v7, v7, 4 clamp
	s_delay_alu instid0(VALU_DEP_1) | instskip(NEXT) | instid1(VALU_DEP_1)
	v_lshlrev_b32_e32 v8, v7, v3
	v_dual_lshlrev_b32 v7, 23, v7 :: v_dual_lshrrev_b32 v8, 4, v8
	s_delay_alu instid0(VALU_DEP_1) | instskip(NEXT) | instid1(VALU_DEP_1)
	v_dual_sub_nc_u32 v7, v8, v7 :: v_dual_ashrrev_i32 v8, 8, v9
	v_add_nc_u32_e32 v7, 0x3c000000, v7
	s_delay_alu instid0(VALU_DEP_1) | instskip(NEXT) | instid1(VALU_DEP_1)
	v_and_or_b32 v7, 0x7f800000, v8, v7
	v_cndmask_b32_e32 v3, 0, v7, vcc_lo
	s_delay_alu instid0(VALU_DEP_1) | instskip(NEXT) | instid1(VALU_DEP_1)
	v_and_or_b32 v1, 0x80000000, v1, v3
	v_trunc_f32_e32 v1, v1
	s_delay_alu instid0(VALU_DEP_1) | instskip(SKIP_1) | instid1(VALU_DEP_2)
	v_mul_f32_e64 v3, 0x2f800000, |v1|
	v_ashrrev_i32_e32 v8, 31, v1
	v_floor_f32_e32 v3, v3
	s_delay_alu instid0(VALU_DEP_1) | instskip(SKIP_1) | instid1(VALU_DEP_4)
	v_fma_f32 v7, 0xcf800000, v3, |v1|
	v_cvt_u32_f32_e32 v1, v3
	v_mov_b32_e32 v9, v8
	s_delay_alu instid0(VALU_DEP_3) | instskip(NEXT) | instid1(VALU_DEP_3)
	v_cvt_u32_f32_e32 v3, v7
	v_xor_b32_e32 v17, v1, v8
	s_delay_alu instid0(VALU_DEP_2) | instskip(NEXT) | instid1(VALU_DEP_1)
	v_xor_b32_e32 v16, v3, v8
	v_sub_nc_u64_e32 v[8:9], v[16:17], v[8:9]
.LBB63_206:
	s_mov_b32 s1, 0
.LBB63_207:
	s_delay_alu instid0(SALU_CYCLE_1)
	s_and_not1_b32 vcc_lo, exec_lo, s1
	s_cbranch_vccnz .LBB63_209
; %bb.208:
	global_load_u8 v1, v[14:15], off
	s_wait_loadcnt 0x0
	v_lshlrev_b32_e32 v3, 25, v1
	v_lshlrev_b16 v1, 8, v1
	s_delay_alu instid0(VALU_DEP_1) | instskip(SKIP_1) | instid1(VALU_DEP_2)
	v_and_or_b32 v8, 0x7f00, v1, 0.5
	v_bfe_i32 v1, v1, 0, 16
	v_dual_add_f32 v8, -0.5, v8 :: v_dual_lshrrev_b32 v7, 4, v3
	v_cmp_gt_u32_e32 vcc_lo, 0x8000000, v3
	s_delay_alu instid0(VALU_DEP_2) | instskip(NEXT) | instid1(VALU_DEP_1)
	v_or_b32_e32 v7, 0x70000000, v7
	v_mul_f32_e32 v7, 0x7800000, v7
	s_delay_alu instid0(VALU_DEP_1) | instskip(NEXT) | instid1(VALU_DEP_1)
	v_cndmask_b32_e32 v3, v7, v8, vcc_lo
	v_and_or_b32 v1, 0x80000000, v1, v3
	s_delay_alu instid0(VALU_DEP_1) | instskip(NEXT) | instid1(VALU_DEP_1)
	v_trunc_f32_e32 v1, v1
	v_mul_f32_e64 v3, 0x2f800000, |v1|
	v_ashrrev_i32_e32 v8, 31, v1
	s_delay_alu instid0(VALU_DEP_2) | instskip(NEXT) | instid1(VALU_DEP_2)
	v_floor_f32_e32 v3, v3
	v_mov_b32_e32 v9, v8
	s_delay_alu instid0(VALU_DEP_2) | instskip(SKIP_1) | instid1(VALU_DEP_2)
	v_fma_f32 v7, 0xcf800000, v3, |v1|
	v_cvt_u32_f32_e32 v1, v3
	v_cvt_u32_f32_e32 v3, v7
	s_delay_alu instid0(VALU_DEP_2) | instskip(NEXT) | instid1(VALU_DEP_2)
	v_xor_b32_e32 v17, v1, v8
	v_xor_b32_e32 v16, v3, v8
	s_delay_alu instid0(VALU_DEP_1)
	v_sub_nc_u64_e32 v[8:9], v[16:17], v[8:9]
.LBB63_209:
	s_mov_b32 s1, 0
	s_mov_b32 s46, -1
.LBB63_210:
	s_and_not1_b32 vcc_lo, exec_lo, s1
	s_cbranch_vccnz .LBB63_223
; %bb.211:
	s_cmp_gt_i32 s35, 14
	s_cbranch_scc0 .LBB63_214
; %bb.212:
	s_cmp_eq_u32 s35, 15
	s_cbranch_scc0 .LBB63_217
; %bb.213:
	global_load_u16 v1, v[14:15], off
	s_mov_b32 s46, -1
	s_mov_b32 s45, 0
	s_wait_loadcnt 0x0
	v_lshlrev_b32_e32 v1, 16, v1
	s_delay_alu instid0(VALU_DEP_1) | instskip(NEXT) | instid1(VALU_DEP_1)
	v_trunc_f32_e32 v1, v1
	v_mul_f32_e64 v3, 0x2f800000, |v1|
	v_ashrrev_i32_e32 v8, 31, v1
	s_delay_alu instid0(VALU_DEP_2) | instskip(NEXT) | instid1(VALU_DEP_2)
	v_floor_f32_e32 v3, v3
	v_mov_b32_e32 v9, v8
	s_delay_alu instid0(VALU_DEP_2) | instskip(SKIP_1) | instid1(VALU_DEP_2)
	v_fma_f32 v7, 0xcf800000, v3, |v1|
	v_cvt_u32_f32_e32 v1, v3
	v_cvt_u32_f32_e32 v3, v7
	s_delay_alu instid0(VALU_DEP_2) | instskip(NEXT) | instid1(VALU_DEP_2)
	v_xor_b32_e32 v17, v1, v8
	v_xor_b32_e32 v16, v3, v8
	s_delay_alu instid0(VALU_DEP_1)
	v_sub_nc_u64_e32 v[8:9], v[16:17], v[8:9]
	s_branch .LBB63_218
.LBB63_214:
	s_mov_b32 s1, -1
                                        ; implicit-def: $vgpr8_vgpr9
	s_branch .LBB63_219
.LBB63_215:
	s_and_not1_saveexec_b32 s1, s1
	s_cbranch_execz .LBB63_196
.LBB63_216:
	v_cmp_ne_u16_e32 vcc_lo, 0, v1
	s_and_not1_b32 s36, s46, exec_lo
	s_and_b32 s37, vcc_lo, exec_lo
	s_delay_alu instid0(SALU_CYCLE_1)
	s_or_b32 s46, s36, s37
	s_or_b32 exec_lo, exec_lo, s1
	v_mov_b64_e32 v[8:9], 0
	s_and_saveexec_b32 s1, s46
	s_cbranch_execnz .LBB63_197
	s_branch .LBB63_198
.LBB63_217:
	s_mov_b32 s45, -1
                                        ; implicit-def: $vgpr8_vgpr9
.LBB63_218:
	s_mov_b32 s1, 0
.LBB63_219:
	s_delay_alu instid0(SALU_CYCLE_1)
	s_and_b32 vcc_lo, exec_lo, s1
	s_cbranch_vccz .LBB63_223
; %bb.220:
	s_cmp_eq_u32 s35, 11
	s_cbranch_scc0 .LBB63_222
; %bb.221:
	global_load_u8 v1, v[14:15], off
	s_mov_b32 s45, 0
	s_mov_b32 s46, -1
	s_wait_loadcnt 0x1
	v_mov_b32_e32 v9, s45
	s_wait_loadcnt 0x0
	v_cmp_ne_u16_e32 vcc_lo, 0, v1
	v_cndmask_b32_e64 v8, 0, 1, vcc_lo
	s_branch .LBB63_223
.LBB63_222:
	s_mov_b32 s45, -1
                                        ; implicit-def: $vgpr8_vgpr9
.LBB63_223:
	s_branch .LBB63_31
.LBB63_224:
	s_and_b32 s0, 0xffff, s0
	s_delay_alu instid0(SALU_CYCLE_1)
	s_cmp_lt_i32 s0, 5
	s_cbranch_scc1 .LBB63_229
; %bb.225:
	s_cmp_lt_i32 s0, 8
	s_cbranch_scc1 .LBB63_230
; %bb.226:
	;; [unrolled: 3-line block ×3, first 2 shown]
	s_cmp_gt_i32 s0, 9
	s_cbranch_scc0 .LBB63_232
; %bb.228:
	s_wait_loadcnt 0x0
	global_load_b64 v[8:9], v[14:15], off
	s_mov_b32 s1, 0
	s_wait_loadcnt 0x0
	v_trunc_f64_e32 v[8:9], v[8:9]
	s_delay_alu instid0(VALU_DEP_1) | instskip(NEXT) | instid1(VALU_DEP_1)
	v_ldexp_f64 v[16:17], v[8:9], 0xffffffe0
	v_floor_f64_e32 v[16:17], v[16:17]
	s_delay_alu instid0(VALU_DEP_1) | instskip(SKIP_1) | instid1(VALU_DEP_2)
	v_fmamk_f64 v[18:19], v[16:17], 0xc1f00000, v[8:9]
	v_cvt_i32_f64_e32 v9, v[16:17]
	v_cvt_u32_f64_e32 v8, v[18:19]
	s_branch .LBB63_233
.LBB63_229:
	s_mov_b32 s1, -1
                                        ; implicit-def: $vgpr8_vgpr9
	s_branch .LBB63_251
.LBB63_230:
	s_mov_b32 s1, -1
                                        ; implicit-def: $vgpr8_vgpr9
	s_branch .LBB63_239
.LBB63_231:
	s_mov_b32 s1, -1
                                        ; implicit-def: $vgpr8_vgpr9
	s_branch .LBB63_236
.LBB63_232:
	s_mov_b32 s1, -1
                                        ; implicit-def: $vgpr8_vgpr9
.LBB63_233:
	s_delay_alu instid0(SALU_CYCLE_1)
	s_and_not1_b32 vcc_lo, exec_lo, s1
	s_cbranch_vccnz .LBB63_235
; %bb.234:
	global_load_b32 v1, v[14:15], off
	s_wait_loadcnt 0x0
	v_trunc_f32_e32 v1, v1
	s_delay_alu instid0(VALU_DEP_1) | instskip(SKIP_1) | instid1(VALU_DEP_2)
	v_mul_f32_e64 v3, 0x2f800000, |v1|
	v_ashrrev_i32_e32 v8, 31, v1
	v_floor_f32_e32 v3, v3
	s_delay_alu instid0(VALU_DEP_1) | instskip(SKIP_1) | instid1(VALU_DEP_4)
	v_fma_f32 v7, 0xcf800000, v3, |v1|
	v_cvt_u32_f32_e32 v1, v3
	v_mov_b32_e32 v9, v8
	s_delay_alu instid0(VALU_DEP_3) | instskip(NEXT) | instid1(VALU_DEP_3)
	v_cvt_u32_f32_e32 v3, v7
	v_xor_b32_e32 v17, v1, v8
	s_delay_alu instid0(VALU_DEP_2) | instskip(NEXT) | instid1(VALU_DEP_1)
	v_xor_b32_e32 v16, v3, v8
	v_sub_nc_u64_e32 v[8:9], v[16:17], v[8:9]
.LBB63_235:
	s_mov_b32 s1, 0
.LBB63_236:
	s_delay_alu instid0(SALU_CYCLE_1)
	s_and_not1_b32 vcc_lo, exec_lo, s1
	s_cbranch_vccnz .LBB63_238
; %bb.237:
	global_load_b32 v1, v[14:15], off
	s_wait_loadcnt 0x0
	v_cvt_f32_f16_e32 v1, v1
	s_delay_alu instid0(VALU_DEP_1) | instskip(NEXT) | instid1(VALU_DEP_1)
	v_cvt_i32_f32_e32 v8, v1
	v_ashrrev_i32_e32 v9, 31, v8
.LBB63_238:
	s_mov_b32 s1, 0
.LBB63_239:
	s_delay_alu instid0(SALU_CYCLE_1)
	s_and_not1_b32 vcc_lo, exec_lo, s1
	s_cbranch_vccnz .LBB63_250
; %bb.240:
	s_cmp_lt_i32 s0, 6
	s_cbranch_scc1 .LBB63_243
; %bb.241:
	s_cmp_gt_i32 s0, 6
	s_cbranch_scc0 .LBB63_244
; %bb.242:
	s_wait_loadcnt 0x0
	global_load_b64 v[8:9], v[14:15], off
	s_mov_b32 s1, 0
	s_wait_loadcnt 0x0
	v_trunc_f64_e32 v[8:9], v[8:9]
	s_delay_alu instid0(VALU_DEP_1) | instskip(NEXT) | instid1(VALU_DEP_1)
	v_ldexp_f64 v[16:17], v[8:9], 0xffffffe0
	v_floor_f64_e32 v[16:17], v[16:17]
	s_delay_alu instid0(VALU_DEP_1) | instskip(SKIP_1) | instid1(VALU_DEP_2)
	v_fmamk_f64 v[18:19], v[16:17], 0xc1f00000, v[8:9]
	v_cvt_i32_f64_e32 v9, v[16:17]
	v_cvt_u32_f64_e32 v8, v[18:19]
	s_branch .LBB63_245
.LBB63_243:
	s_mov_b32 s1, -1
                                        ; implicit-def: $vgpr8_vgpr9
	s_branch .LBB63_248
.LBB63_244:
	s_mov_b32 s1, -1
                                        ; implicit-def: $vgpr8_vgpr9
.LBB63_245:
	s_delay_alu instid0(SALU_CYCLE_1)
	s_and_not1_b32 vcc_lo, exec_lo, s1
	s_cbranch_vccnz .LBB63_247
; %bb.246:
	global_load_b32 v1, v[14:15], off
	s_wait_loadcnt 0x0
	v_trunc_f32_e32 v1, v1
	s_delay_alu instid0(VALU_DEP_1) | instskip(SKIP_1) | instid1(VALU_DEP_2)
	v_mul_f32_e64 v3, 0x2f800000, |v1|
	v_ashrrev_i32_e32 v8, 31, v1
	v_floor_f32_e32 v3, v3
	s_delay_alu instid0(VALU_DEP_1) | instskip(SKIP_1) | instid1(VALU_DEP_4)
	v_fma_f32 v7, 0xcf800000, v3, |v1|
	v_cvt_u32_f32_e32 v1, v3
	v_mov_b32_e32 v9, v8
	s_delay_alu instid0(VALU_DEP_3) | instskip(NEXT) | instid1(VALU_DEP_3)
	v_cvt_u32_f32_e32 v3, v7
	v_xor_b32_e32 v17, v1, v8
	s_delay_alu instid0(VALU_DEP_2) | instskip(NEXT) | instid1(VALU_DEP_1)
	v_xor_b32_e32 v16, v3, v8
	v_sub_nc_u64_e32 v[8:9], v[16:17], v[8:9]
.LBB63_247:
	s_mov_b32 s1, 0
.LBB63_248:
	s_delay_alu instid0(SALU_CYCLE_1)
	s_and_not1_b32 vcc_lo, exec_lo, s1
	s_cbranch_vccnz .LBB63_250
; %bb.249:
	global_load_u16 v1, v[14:15], off
	s_wait_loadcnt 0x0
	v_cvt_f32_f16_e32 v1, v1
	s_delay_alu instid0(VALU_DEP_1) | instskip(NEXT) | instid1(VALU_DEP_1)
	v_cvt_i32_f32_e32 v8, v1
	v_ashrrev_i32_e32 v9, 31, v8
.LBB63_250:
	s_mov_b32 s1, 0
.LBB63_251:
	s_delay_alu instid0(SALU_CYCLE_1)
	s_and_not1_b32 vcc_lo, exec_lo, s1
	s_cbranch_vccnz .LBB63_271
; %bb.252:
	s_cmp_lt_i32 s0, 2
	s_cbranch_scc1 .LBB63_256
; %bb.253:
	s_cmp_lt_i32 s0, 3
	s_cbranch_scc1 .LBB63_257
; %bb.254:
	s_cmp_gt_i32 s0, 3
	s_cbranch_scc0 .LBB63_258
; %bb.255:
	s_wait_loadcnt 0x0
	global_load_b64 v[8:9], v[14:15], off
	s_mov_b32 s1, 0
	s_branch .LBB63_259
.LBB63_256:
	s_mov_b32 s1, -1
                                        ; implicit-def: $vgpr8_vgpr9
	s_branch .LBB63_265
.LBB63_257:
	s_mov_b32 s1, -1
                                        ; implicit-def: $vgpr8_vgpr9
	s_branch .LBB63_262
.LBB63_258:
	s_mov_b32 s1, -1
                                        ; implicit-def: $vgpr8_vgpr9
.LBB63_259:
	s_delay_alu instid0(SALU_CYCLE_1)
	s_and_not1_b32 vcc_lo, exec_lo, s1
	s_cbranch_vccnz .LBB63_261
; %bb.260:
	s_wait_loadcnt 0x0
	global_load_b32 v8, v[14:15], off
	s_wait_loadcnt 0x0
	v_ashrrev_i32_e32 v9, 31, v8
.LBB63_261:
	s_mov_b32 s1, 0
.LBB63_262:
	s_delay_alu instid0(SALU_CYCLE_1)
	s_and_not1_b32 vcc_lo, exec_lo, s1
	s_cbranch_vccnz .LBB63_264
; %bb.263:
	global_load_u16 v1, v[14:15], off
	s_wait_loadcnt 0x0
	v_bfe_i32 v8, v1, 0, 16
	s_delay_alu instid0(VALU_DEP_1)
	v_ashrrev_i32_e32 v9, 31, v8
.LBB63_264:
	s_mov_b32 s1, 0
.LBB63_265:
	s_delay_alu instid0(SALU_CYCLE_1)
	s_and_not1_b32 vcc_lo, exec_lo, s1
	s_cbranch_vccnz .LBB63_271
; %bb.266:
	s_cmp_gt_i32 s0, 0
	s_mov_b32 s0, 0
	s_cbranch_scc0 .LBB63_268
; %bb.267:
	global_load_i8 v1, v[14:15], off
	s_wait_loadcnt 0x0
	v_bfe_i32 v8, v1, 0, 16
	s_delay_alu instid0(VALU_DEP_1)
	v_ashrrev_i32_e32 v9, 31, v8
	s_branch .LBB63_269
.LBB63_268:
	s_mov_b32 s0, -1
                                        ; implicit-def: $vgpr8_vgpr9
.LBB63_269:
	s_delay_alu instid0(SALU_CYCLE_1)
	s_and_not1_b32 vcc_lo, exec_lo, s0
	s_cbranch_vccnz .LBB63_271
; %bb.270:
	global_load_u8 v1, v[14:15], off
	s_mov_b32 s0, 0
	s_wait_loadcnt 0x1
	v_mov_b32_e32 v9, s0
	s_wait_loadcnt 0x0
	v_and_b32_e32 v8, 0xffff, v1
.LBB63_271:
	s_branch .LBB63_32
.LBB63_272:
	s_mov_b32 s0, 0
	s_mov_b32 s1, 0
	;; [unrolled: 1-line block ×9, first 2 shown]
	s_branch .LBB63_520
.LBB63_273:
	s_mov_b32 s46, -1
.LBB63_274:
	s_mov_b32 s47, 0
                                        ; implicit-def: $vgpr12_vgpr13
.LBB63_275:
	s_and_b32 vcc_lo, exec_lo, s1
	s_cbranch_vccz .LBB63_279
; %bb.276:
	s_cmp_eq_u32 s35, 44
	s_cbranch_scc0 .LBB63_278
; %bb.277:
	global_load_u8 v1, v[14:15], off
	s_mov_b32 s46, 0
	s_mov_b32 s47, -1
	s_wait_loadcnt 0x0
	v_lshlrev_b32_e32 v3, 23, v1
	v_cmp_ne_u32_e32 vcc_lo, 0, v1
	s_delay_alu instid0(VALU_DEP_2) | instskip(NEXT) | instid1(VALU_DEP_1)
	v_trunc_f32_e32 v3, v3
	v_mul_f32_e64 v7, 0x2f800000, |v3|
	v_ashrrev_i32_e32 v12, 31, v3
	s_delay_alu instid0(VALU_DEP_2) | instskip(NEXT) | instid1(VALU_DEP_2)
	v_floor_f32_e32 v7, v7
	v_mov_b32_e32 v13, v12
	s_delay_alu instid0(VALU_DEP_2) | instskip(SKIP_1) | instid1(VALU_DEP_2)
	v_fma_f32 v11, 0xcf800000, v7, |v3|
	v_cvt_u32_f32_e32 v3, v7
	v_cvt_u32_f32_e32 v7, v11
	s_delay_alu instid0(VALU_DEP_2) | instskip(NEXT) | instid1(VALU_DEP_2)
	v_xor_b32_e32 v17, v3, v12
	v_xor_b32_e32 v16, v7, v12
	s_delay_alu instid0(VALU_DEP_1) | instskip(NEXT) | instid1(VALU_DEP_1)
	v_sub_nc_u64_e32 v[12:13], v[16:17], v[12:13]
	v_dual_cndmask_b32 v13, 0, v13 :: v_dual_cndmask_b32 v12, 0, v12
	s_branch .LBB63_279
.LBB63_278:
	s_mov_b32 s46, -1
                                        ; implicit-def: $vgpr12_vgpr13
.LBB63_279:
	s_mov_b32 s1, 0
.LBB63_280:
	s_delay_alu instid0(SALU_CYCLE_1)
	s_and_b32 vcc_lo, exec_lo, s1
	s_cbranch_vccz .LBB63_284
; %bb.281:
	s_cmp_eq_u32 s35, 29
	s_cbranch_scc0 .LBB63_283
; %bb.282:
	global_load_b64 v[12:13], v[14:15], off
	s_mov_b32 s47, -1
	s_mov_b32 s46, 0
	s_branch .LBB63_284
.LBB63_283:
	s_mov_b32 s46, -1
                                        ; implicit-def: $vgpr12_vgpr13
.LBB63_284:
	s_mov_b32 s1, 0
.LBB63_285:
	s_delay_alu instid0(SALU_CYCLE_1)
	s_and_b32 vcc_lo, exec_lo, s1
	s_cbranch_vccz .LBB63_301
; %bb.286:
	s_cmp_lt_i32 s35, 27
	s_cbranch_scc1 .LBB63_289
; %bb.287:
	s_cmp_gt_i32 s35, 27
	s_cbranch_scc0 .LBB63_290
; %bb.288:
	s_wait_loadcnt 0x0
	global_load_b32 v12, v[14:15], off
	v_mov_b32_e32 v13, 0
	s_mov_b32 s1, 0
	s_branch .LBB63_291
.LBB63_289:
	s_mov_b32 s1, -1
                                        ; implicit-def: $vgpr12_vgpr13
	s_branch .LBB63_294
.LBB63_290:
	s_mov_b32 s1, -1
                                        ; implicit-def: $vgpr12_vgpr13
.LBB63_291:
	s_delay_alu instid0(SALU_CYCLE_1)
	s_and_not1_b32 vcc_lo, exec_lo, s1
	s_cbranch_vccnz .LBB63_293
; %bb.292:
	global_load_u16 v1, v[14:15], off
	s_mov_b32 s1, 0
	s_wait_loadcnt 0x1
	v_mov_b32_e32 v13, s1
	s_wait_loadcnt 0x0
	v_and_b32_e32 v12, 0xffff, v1
.LBB63_293:
	s_mov_b32 s1, 0
.LBB63_294:
	s_delay_alu instid0(SALU_CYCLE_1)
	s_and_not1_b32 vcc_lo, exec_lo, s1
	s_cbranch_vccnz .LBB63_300
; %bb.295:
	global_load_u8 v1, v[14:15], off
	s_mov_b32 s47, 0
	s_mov_b32 s1, exec_lo
	s_wait_loadcnt 0x0
	v_cmpx_lt_i16_e32 0x7f, v1
	s_xor_b32 s1, exec_lo, s1
	s_cbranch_execz .LBB63_312
; %bb.296:
	v_cmp_ne_u16_e32 vcc_lo, 0x80, v1
	s_and_b32 s47, vcc_lo, exec_lo
	s_and_not1_saveexec_b32 s1, s1
	s_cbranch_execnz .LBB63_313
.LBB63_297:
	s_or_b32 exec_lo, exec_lo, s1
	v_mov_b64_e32 v[12:13], 0
	s_and_saveexec_b32 s1, s47
	s_cbranch_execz .LBB63_299
.LBB63_298:
	v_and_b32_e32 v3, 0xffff, v1
	s_delay_alu instid0(VALU_DEP_1) | instskip(SKIP_1) | instid1(VALU_DEP_2)
	v_dual_lshlrev_b32 v1, 24, v1 :: v_dual_bitop2_b32 v7, 7, v3 bitop3:0x40
	v_bfe_u32 v13, v3, 3, 4
	v_and_b32_e32 v1, 0x80000000, v1
	s_delay_alu instid0(VALU_DEP_3) | instskip(NEXT) | instid1(VALU_DEP_3)
	v_clz_i32_u32_e32 v11, v7
	v_cmp_eq_u32_e32 vcc_lo, 0, v13
	s_delay_alu instid0(VALU_DEP_2) | instskip(NEXT) | instid1(VALU_DEP_1)
	v_min_u32_e32 v11, 32, v11
	v_subrev_nc_u32_e32 v12, 28, v11
	v_sub_nc_u32_e32 v11, 29, v11
	s_delay_alu instid0(VALU_DEP_2) | instskip(NEXT) | instid1(VALU_DEP_2)
	v_lshlrev_b32_e32 v3, v12, v3
	v_cndmask_b32_e32 v11, v13, v11, vcc_lo
	s_delay_alu instid0(VALU_DEP_2) | instskip(NEXT) | instid1(VALU_DEP_1)
	v_and_b32_e32 v3, 7, v3
	v_cndmask_b32_e32 v3, v7, v3, vcc_lo
	s_delay_alu instid0(VALU_DEP_3) | instskip(NEXT) | instid1(VALU_DEP_2)
	v_lshl_add_u32 v7, v11, 23, 0x3b800000
	v_lshlrev_b32_e32 v3, 20, v3
	s_delay_alu instid0(VALU_DEP_1) | instskip(NEXT) | instid1(VALU_DEP_1)
	v_or3_b32 v1, v1, v7, v3
	v_trunc_f32_e32 v1, v1
	s_delay_alu instid0(VALU_DEP_1) | instskip(SKIP_1) | instid1(VALU_DEP_2)
	v_mul_f32_e64 v3, 0x2f800000, |v1|
	v_ashrrev_i32_e32 v12, 31, v1
	v_floor_f32_e32 v3, v3
	s_delay_alu instid0(VALU_DEP_2) | instskip(NEXT) | instid1(VALU_DEP_2)
	v_mov_b32_e32 v13, v12
	v_fma_f32 v7, 0xcf800000, v3, |v1|
	v_cvt_u32_f32_e32 v1, v3
	s_delay_alu instid0(VALU_DEP_2) | instskip(NEXT) | instid1(VALU_DEP_2)
	v_cvt_u32_f32_e32 v3, v7
	v_xor_b32_e32 v17, v1, v12
	s_delay_alu instid0(VALU_DEP_2) | instskip(NEXT) | instid1(VALU_DEP_1)
	v_xor_b32_e32 v16, v3, v12
	v_sub_nc_u64_e32 v[12:13], v[16:17], v[12:13]
.LBB63_299:
	s_or_b32 exec_lo, exec_lo, s1
.LBB63_300:
	s_mov_b32 s47, -1
.LBB63_301:
	s_mov_b32 s1, 0
.LBB63_302:
	s_delay_alu instid0(SALU_CYCLE_1)
	s_and_b32 vcc_lo, exec_lo, s1
	s_cbranch_vccz .LBB63_335
; %bb.303:
	s_cmp_gt_i32 s35, 22
	s_cbranch_scc0 .LBB63_311
; %bb.304:
	s_cmp_lt_i32 s35, 24
	s_cbranch_scc1 .LBB63_314
; %bb.305:
	s_cmp_gt_i32 s35, 24
	s_cbranch_scc0 .LBB63_315
; %bb.306:
	global_load_u8 v1, v[14:15], off
	s_mov_b32 s47, 0
	s_mov_b32 s1, exec_lo
	s_wait_loadcnt 0x0
	v_cmpx_lt_i16_e32 0x7f, v1
	s_xor_b32 s1, exec_lo, s1
	s_cbranch_execz .LBB63_327
; %bb.307:
	v_cmp_ne_u16_e32 vcc_lo, 0x80, v1
	s_and_b32 s47, vcc_lo, exec_lo
	s_and_not1_saveexec_b32 s1, s1
	s_cbranch_execnz .LBB63_328
.LBB63_308:
	s_or_b32 exec_lo, exec_lo, s1
	v_mov_b64_e32 v[12:13], 0
	s_and_saveexec_b32 s1, s47
	s_cbranch_execz .LBB63_310
.LBB63_309:
	v_and_b32_e32 v3, 0xffff, v1
	s_delay_alu instid0(VALU_DEP_1) | instskip(SKIP_1) | instid1(VALU_DEP_2)
	v_dual_lshlrev_b32 v1, 24, v1 :: v_dual_bitop2_b32 v7, 3, v3 bitop3:0x40
	v_bfe_u32 v13, v3, 2, 5
	v_and_b32_e32 v1, 0x80000000, v1
	s_delay_alu instid0(VALU_DEP_3) | instskip(NEXT) | instid1(VALU_DEP_3)
	v_clz_i32_u32_e32 v11, v7
	v_cmp_eq_u32_e32 vcc_lo, 0, v13
	s_delay_alu instid0(VALU_DEP_2) | instskip(NEXT) | instid1(VALU_DEP_1)
	v_min_u32_e32 v11, 32, v11
	v_subrev_nc_u32_e32 v12, 29, v11
	v_sub_nc_u32_e32 v11, 30, v11
	s_delay_alu instid0(VALU_DEP_2) | instskip(NEXT) | instid1(VALU_DEP_2)
	v_lshlrev_b32_e32 v3, v12, v3
	v_cndmask_b32_e32 v11, v13, v11, vcc_lo
	s_delay_alu instid0(VALU_DEP_2) | instskip(NEXT) | instid1(VALU_DEP_1)
	v_and_b32_e32 v3, 3, v3
	v_cndmask_b32_e32 v3, v7, v3, vcc_lo
	s_delay_alu instid0(VALU_DEP_3) | instskip(NEXT) | instid1(VALU_DEP_2)
	v_lshl_add_u32 v7, v11, 23, 0x37800000
	v_lshlrev_b32_e32 v3, 21, v3
	s_delay_alu instid0(VALU_DEP_1) | instskip(NEXT) | instid1(VALU_DEP_1)
	v_or3_b32 v1, v1, v7, v3
	v_trunc_f32_e32 v1, v1
	s_delay_alu instid0(VALU_DEP_1) | instskip(SKIP_1) | instid1(VALU_DEP_2)
	v_mul_f32_e64 v3, 0x2f800000, |v1|
	v_ashrrev_i32_e32 v12, 31, v1
	v_floor_f32_e32 v3, v3
	s_delay_alu instid0(VALU_DEP_2) | instskip(NEXT) | instid1(VALU_DEP_2)
	v_mov_b32_e32 v13, v12
	v_fma_f32 v7, 0xcf800000, v3, |v1|
	v_cvt_u32_f32_e32 v1, v3
	s_delay_alu instid0(VALU_DEP_2) | instskip(NEXT) | instid1(VALU_DEP_2)
	v_cvt_u32_f32_e32 v3, v7
	v_xor_b32_e32 v17, v1, v12
	s_delay_alu instid0(VALU_DEP_2) | instskip(NEXT) | instid1(VALU_DEP_1)
	v_xor_b32_e32 v16, v3, v12
	v_sub_nc_u64_e32 v[12:13], v[16:17], v[12:13]
.LBB63_310:
	s_or_b32 exec_lo, exec_lo, s1
	s_mov_b32 s1, 0
	s_branch .LBB63_316
.LBB63_311:
	s_mov_b32 s1, -1
                                        ; implicit-def: $vgpr12_vgpr13
	s_branch .LBB63_322
.LBB63_312:
	s_and_not1_saveexec_b32 s1, s1
	s_cbranch_execz .LBB63_297
.LBB63_313:
	v_cmp_ne_u16_e32 vcc_lo, 0, v1
	s_and_not1_b32 s36, s47, exec_lo
	s_and_b32 s37, vcc_lo, exec_lo
	s_delay_alu instid0(SALU_CYCLE_1)
	s_or_b32 s47, s36, s37
	s_or_b32 exec_lo, exec_lo, s1
	v_mov_b64_e32 v[12:13], 0
	s_and_saveexec_b32 s1, s47
	s_cbranch_execnz .LBB63_298
	s_branch .LBB63_299
.LBB63_314:
	s_mov_b32 s1, -1
                                        ; implicit-def: $vgpr12_vgpr13
	s_branch .LBB63_319
.LBB63_315:
	s_mov_b32 s1, -1
                                        ; implicit-def: $vgpr12_vgpr13
.LBB63_316:
	s_delay_alu instid0(SALU_CYCLE_1)
	s_and_b32 vcc_lo, exec_lo, s1
	s_cbranch_vccz .LBB63_318
; %bb.317:
	global_load_u8 v1, v[14:15], off
	s_wait_loadcnt 0x0
	v_lshlrev_b32_e32 v1, 24, v1
	s_delay_alu instid0(VALU_DEP_1) | instskip(NEXT) | instid1(VALU_DEP_1)
	v_and_b32_e32 v3, 0x7f000000, v1
	v_clz_i32_u32_e32 v7, v3
	v_add_nc_u32_e32 v12, 0x1000000, v3
	v_cmp_ne_u32_e32 vcc_lo, 0, v3
	s_delay_alu instid0(VALU_DEP_3) | instskip(NEXT) | instid1(VALU_DEP_1)
	v_min_u32_e32 v7, 32, v7
	v_sub_nc_u32_e64 v7, v7, 4 clamp
	s_delay_alu instid0(VALU_DEP_1) | instskip(SKIP_1) | instid1(VALU_DEP_2)
	v_lshlrev_b32_e32 v11, v7, v3
	v_lshlrev_b32_e32 v7, 23, v7
	v_lshrrev_b32_e32 v11, 4, v11
	s_delay_alu instid0(VALU_DEP_1) | instskip(NEXT) | instid1(VALU_DEP_1)
	v_dual_sub_nc_u32 v7, v11, v7 :: v_dual_ashrrev_i32 v11, 8, v12
	v_add_nc_u32_e32 v7, 0x3c000000, v7
	s_delay_alu instid0(VALU_DEP_1) | instskip(NEXT) | instid1(VALU_DEP_1)
	v_and_or_b32 v7, 0x7f800000, v11, v7
	v_cndmask_b32_e32 v3, 0, v7, vcc_lo
	s_delay_alu instid0(VALU_DEP_1) | instskip(NEXT) | instid1(VALU_DEP_1)
	v_and_or_b32 v1, 0x80000000, v1, v3
	v_trunc_f32_e32 v1, v1
	s_delay_alu instid0(VALU_DEP_1) | instskip(SKIP_1) | instid1(VALU_DEP_2)
	v_mul_f32_e64 v3, 0x2f800000, |v1|
	v_ashrrev_i32_e32 v12, 31, v1
	v_floor_f32_e32 v3, v3
	s_delay_alu instid0(VALU_DEP_2) | instskip(NEXT) | instid1(VALU_DEP_2)
	v_mov_b32_e32 v13, v12
	v_fma_f32 v7, 0xcf800000, v3, |v1|
	v_cvt_u32_f32_e32 v1, v3
	s_delay_alu instid0(VALU_DEP_2) | instskip(NEXT) | instid1(VALU_DEP_2)
	v_cvt_u32_f32_e32 v3, v7
	v_xor_b32_e32 v17, v1, v12
	s_delay_alu instid0(VALU_DEP_2) | instskip(NEXT) | instid1(VALU_DEP_1)
	v_xor_b32_e32 v16, v3, v12
	v_sub_nc_u64_e32 v[12:13], v[16:17], v[12:13]
.LBB63_318:
	s_mov_b32 s1, 0
.LBB63_319:
	s_delay_alu instid0(SALU_CYCLE_1)
	s_and_not1_b32 vcc_lo, exec_lo, s1
	s_cbranch_vccnz .LBB63_321
; %bb.320:
	global_load_u8 v1, v[14:15], off
	s_wait_loadcnt 0x0
	v_lshlrev_b32_e32 v3, 25, v1
	v_lshlrev_b16 v1, 8, v1
	s_delay_alu instid0(VALU_DEP_1) | instskip(SKIP_1) | instid1(VALU_DEP_2)
	v_and_or_b32 v11, 0x7f00, v1, 0.5
	v_bfe_i32 v1, v1, 0, 16
	v_add_f32_e32 v11, -0.5, v11
	v_lshrrev_b32_e32 v7, 4, v3
	v_cmp_gt_u32_e32 vcc_lo, 0x8000000, v3
	s_delay_alu instid0(VALU_DEP_2) | instskip(NEXT) | instid1(VALU_DEP_1)
	v_or_b32_e32 v7, 0x70000000, v7
	v_mul_f32_e32 v7, 0x7800000, v7
	s_delay_alu instid0(VALU_DEP_1) | instskip(NEXT) | instid1(VALU_DEP_1)
	v_cndmask_b32_e32 v3, v7, v11, vcc_lo
	v_and_or_b32 v1, 0x80000000, v1, v3
	s_delay_alu instid0(VALU_DEP_1) | instskip(NEXT) | instid1(VALU_DEP_1)
	v_trunc_f32_e32 v1, v1
	v_mul_f32_e64 v3, 0x2f800000, |v1|
	v_ashrrev_i32_e32 v12, 31, v1
	s_delay_alu instid0(VALU_DEP_2) | instskip(NEXT) | instid1(VALU_DEP_2)
	v_floor_f32_e32 v3, v3
	v_mov_b32_e32 v13, v12
	s_delay_alu instid0(VALU_DEP_2) | instskip(SKIP_1) | instid1(VALU_DEP_2)
	v_fma_f32 v7, 0xcf800000, v3, |v1|
	v_cvt_u32_f32_e32 v1, v3
	v_cvt_u32_f32_e32 v3, v7
	s_delay_alu instid0(VALU_DEP_2) | instskip(NEXT) | instid1(VALU_DEP_2)
	v_xor_b32_e32 v17, v1, v12
	v_xor_b32_e32 v16, v3, v12
	s_delay_alu instid0(VALU_DEP_1)
	v_sub_nc_u64_e32 v[12:13], v[16:17], v[12:13]
.LBB63_321:
	s_mov_b32 s1, 0
	s_mov_b32 s47, -1
.LBB63_322:
	s_and_not1_b32 vcc_lo, exec_lo, s1
	s_cbranch_vccnz .LBB63_335
; %bb.323:
	s_cmp_gt_i32 s35, 14
	s_cbranch_scc0 .LBB63_326
; %bb.324:
	s_cmp_eq_u32 s35, 15
	s_cbranch_scc0 .LBB63_329
; %bb.325:
	global_load_u16 v1, v[14:15], off
	s_mov_b32 s47, -1
	s_mov_b32 s46, 0
	s_wait_loadcnt 0x0
	v_lshlrev_b32_e32 v1, 16, v1
	s_delay_alu instid0(VALU_DEP_1) | instskip(NEXT) | instid1(VALU_DEP_1)
	v_trunc_f32_e32 v1, v1
	v_mul_f32_e64 v3, 0x2f800000, |v1|
	v_ashrrev_i32_e32 v12, 31, v1
	s_delay_alu instid0(VALU_DEP_2) | instskip(NEXT) | instid1(VALU_DEP_2)
	v_floor_f32_e32 v3, v3
	v_mov_b32_e32 v13, v12
	s_delay_alu instid0(VALU_DEP_2) | instskip(SKIP_1) | instid1(VALU_DEP_2)
	v_fma_f32 v7, 0xcf800000, v3, |v1|
	v_cvt_u32_f32_e32 v1, v3
	v_cvt_u32_f32_e32 v3, v7
	s_delay_alu instid0(VALU_DEP_2) | instskip(NEXT) | instid1(VALU_DEP_2)
	v_xor_b32_e32 v17, v1, v12
	v_xor_b32_e32 v16, v3, v12
	s_delay_alu instid0(VALU_DEP_1)
	v_sub_nc_u64_e32 v[12:13], v[16:17], v[12:13]
	s_branch .LBB63_330
.LBB63_326:
	s_mov_b32 s1, -1
                                        ; implicit-def: $vgpr12_vgpr13
	s_branch .LBB63_331
.LBB63_327:
	s_and_not1_saveexec_b32 s1, s1
	s_cbranch_execz .LBB63_308
.LBB63_328:
	v_cmp_ne_u16_e32 vcc_lo, 0, v1
	s_and_not1_b32 s36, s47, exec_lo
	s_and_b32 s37, vcc_lo, exec_lo
	s_delay_alu instid0(SALU_CYCLE_1)
	s_or_b32 s47, s36, s37
	s_or_b32 exec_lo, exec_lo, s1
	v_mov_b64_e32 v[12:13], 0
	s_and_saveexec_b32 s1, s47
	s_cbranch_execnz .LBB63_309
	s_branch .LBB63_310
.LBB63_329:
	s_mov_b32 s46, -1
                                        ; implicit-def: $vgpr12_vgpr13
.LBB63_330:
	s_mov_b32 s1, 0
.LBB63_331:
	s_delay_alu instid0(SALU_CYCLE_1)
	s_and_b32 vcc_lo, exec_lo, s1
	s_cbranch_vccz .LBB63_335
; %bb.332:
	s_cmp_eq_u32 s35, 11
	s_cbranch_scc0 .LBB63_334
; %bb.333:
	global_load_u8 v1, v[14:15], off
	s_mov_b32 s46, 0
	s_mov_b32 s47, -1
	s_wait_loadcnt 0x1
	v_mov_b32_e32 v13, s46
	s_wait_loadcnt 0x0
	v_cmp_ne_u16_e32 vcc_lo, 0, v1
	v_cndmask_b32_e64 v12, 0, 1, vcc_lo
	s_branch .LBB63_335
.LBB63_334:
	s_mov_b32 s46, -1
                                        ; implicit-def: $vgpr12_vgpr13
.LBB63_335:
	s_mov_b32 s1, 0
.LBB63_336:
	s_delay_alu instid0(SALU_CYCLE_1)
	s_and_b32 vcc_lo, exec_lo, s1
	s_cbranch_vccz .LBB63_385
; %bb.337:
	s_and_b32 s0, 0xffff, s0
	s_delay_alu instid0(SALU_CYCLE_1)
	s_cmp_lt_i32 s0, 5
	s_cbranch_scc1 .LBB63_342
; %bb.338:
	s_cmp_lt_i32 s0, 8
	s_cbranch_scc1 .LBB63_343
; %bb.339:
	;; [unrolled: 3-line block ×3, first 2 shown]
	s_cmp_gt_i32 s0, 9
	s_cbranch_scc0 .LBB63_345
; %bb.341:
	s_wait_loadcnt 0x0
	global_load_b64 v[12:13], v[14:15], off
	s_mov_b32 s1, 0
	s_wait_loadcnt 0x0
	v_trunc_f64_e32 v[12:13], v[12:13]
	s_delay_alu instid0(VALU_DEP_1) | instskip(NEXT) | instid1(VALU_DEP_1)
	v_ldexp_f64 v[16:17], v[12:13], 0xffffffe0
	v_floor_f64_e32 v[16:17], v[16:17]
	s_delay_alu instid0(VALU_DEP_1) | instskip(SKIP_1) | instid1(VALU_DEP_2)
	v_fmamk_f64 v[18:19], v[16:17], 0xc1f00000, v[12:13]
	v_cvt_i32_f64_e32 v13, v[16:17]
	v_cvt_u32_f64_e32 v12, v[18:19]
	s_branch .LBB63_346
.LBB63_342:
	s_mov_b32 s1, -1
                                        ; implicit-def: $vgpr12_vgpr13
	s_branch .LBB63_364
.LBB63_343:
	s_mov_b32 s1, -1
                                        ; implicit-def: $vgpr12_vgpr13
	s_branch .LBB63_352
.LBB63_344:
	s_mov_b32 s1, -1
                                        ; implicit-def: $vgpr12_vgpr13
	s_branch .LBB63_349
.LBB63_345:
	s_mov_b32 s1, -1
                                        ; implicit-def: $vgpr12_vgpr13
.LBB63_346:
	s_delay_alu instid0(SALU_CYCLE_1)
	s_and_not1_b32 vcc_lo, exec_lo, s1
	s_cbranch_vccnz .LBB63_348
; %bb.347:
	global_load_b32 v1, v[14:15], off
	s_wait_loadcnt 0x0
	v_trunc_f32_e32 v1, v1
	s_delay_alu instid0(VALU_DEP_1) | instskip(SKIP_1) | instid1(VALU_DEP_2)
	v_mul_f32_e64 v3, 0x2f800000, |v1|
	v_ashrrev_i32_e32 v12, 31, v1
	v_floor_f32_e32 v3, v3
	s_delay_alu instid0(VALU_DEP_1) | instskip(SKIP_1) | instid1(VALU_DEP_4)
	v_fma_f32 v7, 0xcf800000, v3, |v1|
	v_cvt_u32_f32_e32 v1, v3
	v_mov_b32_e32 v13, v12
	s_delay_alu instid0(VALU_DEP_3) | instskip(NEXT) | instid1(VALU_DEP_3)
	v_cvt_u32_f32_e32 v3, v7
	v_xor_b32_e32 v17, v1, v12
	s_delay_alu instid0(VALU_DEP_2) | instskip(NEXT) | instid1(VALU_DEP_1)
	v_xor_b32_e32 v16, v3, v12
	v_sub_nc_u64_e32 v[12:13], v[16:17], v[12:13]
.LBB63_348:
	s_mov_b32 s1, 0
.LBB63_349:
	s_delay_alu instid0(SALU_CYCLE_1)
	s_and_not1_b32 vcc_lo, exec_lo, s1
	s_cbranch_vccnz .LBB63_351
; %bb.350:
	global_load_b32 v1, v[14:15], off
	s_wait_loadcnt 0x0
	v_cvt_f32_f16_e32 v1, v1
	s_delay_alu instid0(VALU_DEP_1) | instskip(NEXT) | instid1(VALU_DEP_1)
	v_cvt_i32_f32_e32 v12, v1
	v_ashrrev_i32_e32 v13, 31, v12
.LBB63_351:
	s_mov_b32 s1, 0
.LBB63_352:
	s_delay_alu instid0(SALU_CYCLE_1)
	s_and_not1_b32 vcc_lo, exec_lo, s1
	s_cbranch_vccnz .LBB63_363
; %bb.353:
	s_cmp_lt_i32 s0, 6
	s_cbranch_scc1 .LBB63_356
; %bb.354:
	s_cmp_gt_i32 s0, 6
	s_cbranch_scc0 .LBB63_357
; %bb.355:
	s_wait_loadcnt 0x0
	global_load_b64 v[12:13], v[14:15], off
	s_mov_b32 s1, 0
	s_wait_loadcnt 0x0
	v_trunc_f64_e32 v[12:13], v[12:13]
	s_delay_alu instid0(VALU_DEP_1) | instskip(NEXT) | instid1(VALU_DEP_1)
	v_ldexp_f64 v[16:17], v[12:13], 0xffffffe0
	v_floor_f64_e32 v[16:17], v[16:17]
	s_delay_alu instid0(VALU_DEP_1) | instskip(SKIP_1) | instid1(VALU_DEP_2)
	v_fmamk_f64 v[18:19], v[16:17], 0xc1f00000, v[12:13]
	v_cvt_i32_f64_e32 v13, v[16:17]
	v_cvt_u32_f64_e32 v12, v[18:19]
	s_branch .LBB63_358
.LBB63_356:
	s_mov_b32 s1, -1
                                        ; implicit-def: $vgpr12_vgpr13
	s_branch .LBB63_361
.LBB63_357:
	s_mov_b32 s1, -1
                                        ; implicit-def: $vgpr12_vgpr13
.LBB63_358:
	s_delay_alu instid0(SALU_CYCLE_1)
	s_and_not1_b32 vcc_lo, exec_lo, s1
	s_cbranch_vccnz .LBB63_360
; %bb.359:
	global_load_b32 v1, v[14:15], off
	s_wait_loadcnt 0x0
	v_trunc_f32_e32 v1, v1
	s_delay_alu instid0(VALU_DEP_1) | instskip(SKIP_1) | instid1(VALU_DEP_2)
	v_mul_f32_e64 v3, 0x2f800000, |v1|
	v_ashrrev_i32_e32 v12, 31, v1
	v_floor_f32_e32 v3, v3
	s_delay_alu instid0(VALU_DEP_1) | instskip(SKIP_1) | instid1(VALU_DEP_4)
	v_fma_f32 v7, 0xcf800000, v3, |v1|
	v_cvt_u32_f32_e32 v1, v3
	v_mov_b32_e32 v13, v12
	s_delay_alu instid0(VALU_DEP_3) | instskip(NEXT) | instid1(VALU_DEP_3)
	v_cvt_u32_f32_e32 v3, v7
	v_xor_b32_e32 v17, v1, v12
	s_delay_alu instid0(VALU_DEP_2) | instskip(NEXT) | instid1(VALU_DEP_1)
	v_xor_b32_e32 v16, v3, v12
	v_sub_nc_u64_e32 v[12:13], v[16:17], v[12:13]
.LBB63_360:
	s_mov_b32 s1, 0
.LBB63_361:
	s_delay_alu instid0(SALU_CYCLE_1)
	s_and_not1_b32 vcc_lo, exec_lo, s1
	s_cbranch_vccnz .LBB63_363
; %bb.362:
	global_load_u16 v1, v[14:15], off
	s_wait_loadcnt 0x0
	v_cvt_f32_f16_e32 v1, v1
	s_delay_alu instid0(VALU_DEP_1) | instskip(NEXT) | instid1(VALU_DEP_1)
	v_cvt_i32_f32_e32 v12, v1
	v_ashrrev_i32_e32 v13, 31, v12
.LBB63_363:
	s_mov_b32 s1, 0
.LBB63_364:
	s_delay_alu instid0(SALU_CYCLE_1)
	s_and_not1_b32 vcc_lo, exec_lo, s1
	s_cbranch_vccnz .LBB63_384
; %bb.365:
	s_cmp_lt_i32 s0, 2
	s_cbranch_scc1 .LBB63_369
; %bb.366:
	s_cmp_lt_i32 s0, 3
	s_cbranch_scc1 .LBB63_370
; %bb.367:
	s_cmp_gt_i32 s0, 3
	s_cbranch_scc0 .LBB63_371
; %bb.368:
	s_wait_loadcnt 0x0
	global_load_b64 v[12:13], v[14:15], off
	s_mov_b32 s1, 0
	s_branch .LBB63_372
.LBB63_369:
	s_mov_b32 s1, -1
                                        ; implicit-def: $vgpr12_vgpr13
	s_branch .LBB63_378
.LBB63_370:
	s_mov_b32 s1, -1
                                        ; implicit-def: $vgpr12_vgpr13
	s_branch .LBB63_375
.LBB63_371:
	s_mov_b32 s1, -1
                                        ; implicit-def: $vgpr12_vgpr13
.LBB63_372:
	s_delay_alu instid0(SALU_CYCLE_1)
	s_and_not1_b32 vcc_lo, exec_lo, s1
	s_cbranch_vccnz .LBB63_374
; %bb.373:
	s_wait_loadcnt 0x0
	global_load_b32 v12, v[14:15], off
	s_wait_loadcnt 0x0
	v_ashrrev_i32_e32 v13, 31, v12
.LBB63_374:
	s_mov_b32 s1, 0
.LBB63_375:
	s_delay_alu instid0(SALU_CYCLE_1)
	s_and_not1_b32 vcc_lo, exec_lo, s1
	s_cbranch_vccnz .LBB63_377
; %bb.376:
	global_load_u16 v1, v[14:15], off
	s_wait_loadcnt 0x0
	v_bfe_i32 v12, v1, 0, 16
	s_delay_alu instid0(VALU_DEP_1)
	v_ashrrev_i32_e32 v13, 31, v12
.LBB63_377:
	s_mov_b32 s1, 0
.LBB63_378:
	s_delay_alu instid0(SALU_CYCLE_1)
	s_and_not1_b32 vcc_lo, exec_lo, s1
	s_cbranch_vccnz .LBB63_384
; %bb.379:
	s_cmp_gt_i32 s0, 0
	s_mov_b32 s0, 0
	s_cbranch_scc0 .LBB63_381
; %bb.380:
	global_load_i8 v1, v[14:15], off
	s_wait_loadcnt 0x0
	v_bfe_i32 v12, v1, 0, 16
	s_delay_alu instid0(VALU_DEP_1)
	v_ashrrev_i32_e32 v13, 31, v12
	s_branch .LBB63_382
.LBB63_381:
	s_mov_b32 s0, -1
                                        ; implicit-def: $vgpr12_vgpr13
.LBB63_382:
	s_delay_alu instid0(SALU_CYCLE_1)
	s_and_not1_b32 vcc_lo, exec_lo, s0
	s_cbranch_vccnz .LBB63_384
; %bb.383:
	global_load_u8 v1, v[14:15], off
	s_mov_b32 s0, 0
	s_wait_loadcnt 0x1
	v_mov_b32_e32 v13, s0
	s_wait_loadcnt 0x0
	v_and_b32_e32 v12, 0xffff, v1
.LBB63_384:
	s_mov_b32 s47, -1
.LBB63_385:
	s_delay_alu instid0(SALU_CYCLE_1)
	s_and_not1_b32 vcc_lo, exec_lo, s47
	s_cbranch_vccnz .LBB63_393
; %bb.386:
	s_load_b512 s[4:19], s[2:3], 0x248
	v_mov_b32_e32 v11, 0
	s_and_b32 s0, s31, 0xff
	s_delay_alu instid0(SALU_CYCLE_1) | instskip(SKIP_1) | instid1(VALU_DEP_1)
	s_cmp_lt_i32 s0, 11
	s_wait_kmcnt 0x0
	v_add_nc_u64_e32 v[14:15], s[12:13], v[10:11]
	s_cbranch_scc1 .LBB63_394
; %bb.387:
	s_and_b32 s35, 0xffff, s0
	s_delay_alu instid0(SALU_CYCLE_1)
	s_cmp_gt_i32 s35, 25
	s_cbranch_scc0 .LBB63_395
; %bb.388:
	s_cmp_gt_i32 s35, 28
	s_cbranch_scc0 .LBB63_396
; %bb.389:
	;; [unrolled: 3-line block ×4, first 2 shown]
	s_cmp_eq_u32 s35, 46
	s_mov_b32 s1, 0
	s_cbranch_scc0 .LBB63_399
; %bb.392:
	global_load_b32 v1, v[14:15], off
	s_mov_b32 s58, -1
	s_mov_b32 s47, 0
	s_wait_loadcnt 0x0
	v_lshlrev_b32_e32 v1, 16, v1
	s_delay_alu instid0(VALU_DEP_1) | instskip(NEXT) | instid1(VALU_DEP_1)
	v_trunc_f32_e32 v1, v1
	v_mul_f32_e64 v3, 0x2f800000, |v1|
	v_ashrrev_i32_e32 v10, 31, v1
	s_delay_alu instid0(VALU_DEP_2) | instskip(NEXT) | instid1(VALU_DEP_2)
	v_floor_f32_e32 v3, v3
	v_mov_b32_e32 v11, v10
	s_delay_alu instid0(VALU_DEP_2) | instskip(SKIP_1) | instid1(VALU_DEP_2)
	v_fma_f32 v7, 0xcf800000, v3, |v1|
	v_cvt_u32_f32_e32 v1, v3
	v_cvt_u32_f32_e32 v3, v7
	s_delay_alu instid0(VALU_DEP_2) | instskip(NEXT) | instid1(VALU_DEP_2)
	v_xor_b32_e32 v17, v1, v10
	v_xor_b32_e32 v16, v3, v10
	s_delay_alu instid0(VALU_DEP_1)
	v_sub_nc_u64_e32 v[10:11], v[16:17], v[10:11]
	s_branch .LBB63_401
.LBB63_393:
	s_mov_b32 s0, 0
	s_mov_b32 s1, 0
	;; [unrolled: 1-line block ×8, first 2 shown]
	s_branch .LBB63_520
.LBB63_394:
	s_mov_b32 s1, -1
	s_mov_b32 s47, 0
	s_mov_b32 s58, 0
                                        ; implicit-def: $vgpr10_vgpr11
	s_branch .LBB63_462
.LBB63_395:
	s_mov_b32 s1, -1
	s_mov_b32 s47, 0
	s_mov_b32 s58, 0
                                        ; implicit-def: $vgpr10_vgpr11
	s_branch .LBB63_428
.LBB63_396:
	s_mov_b32 s1, -1
	s_mov_b32 s47, 0
	s_mov_b32 s58, 0
                                        ; implicit-def: $vgpr10_vgpr11
	s_branch .LBB63_411
.LBB63_397:
	s_mov_b32 s1, -1
	s_mov_b32 s47, 0
	s_mov_b32 s58, 0
                                        ; implicit-def: $vgpr10_vgpr11
	s_branch .LBB63_406
.LBB63_398:
	s_mov_b32 s1, -1
	s_mov_b32 s47, 0
	s_branch .LBB63_400
.LBB63_399:
	s_mov_b32 s47, -1
.LBB63_400:
	s_mov_b32 s58, 0
                                        ; implicit-def: $vgpr10_vgpr11
.LBB63_401:
	s_and_b32 vcc_lo, exec_lo, s1
	s_cbranch_vccz .LBB63_405
; %bb.402:
	s_cmp_eq_u32 s35, 44
	s_cbranch_scc0 .LBB63_404
; %bb.403:
	global_load_u8 v1, v[14:15], off
	s_mov_b32 s47, 0
	s_mov_b32 s58, -1
	s_wait_loadcnt 0x0
	v_lshlrev_b32_e32 v3, 23, v1
	v_cmp_ne_u32_e32 vcc_lo, 0, v1
	s_delay_alu instid0(VALU_DEP_2) | instskip(NEXT) | instid1(VALU_DEP_1)
	v_trunc_f32_e32 v3, v3
	v_mul_f32_e64 v7, 0x2f800000, |v3|
	v_ashrrev_i32_e32 v10, 31, v3
	s_delay_alu instid0(VALU_DEP_2) | instskip(NEXT) | instid1(VALU_DEP_1)
	v_floor_f32_e32 v7, v7
	v_fma_f32 v11, 0xcf800000, v7, |v3|
	v_cvt_u32_f32_e32 v3, v7
	s_delay_alu instid0(VALU_DEP_2) | instskip(NEXT) | instid1(VALU_DEP_2)
	v_cvt_u32_f32_e32 v7, v11
	v_dual_mov_b32 v11, v10 :: v_dual_bitop2_b32 v17, v3, v10 bitop3:0x14
	s_delay_alu instid0(VALU_DEP_2) | instskip(NEXT) | instid1(VALU_DEP_1)
	v_xor_b32_e32 v16, v7, v10
	v_sub_nc_u64_e32 v[10:11], v[16:17], v[10:11]
	s_delay_alu instid0(VALU_DEP_1)
	v_dual_cndmask_b32 v11, 0, v11 :: v_dual_cndmask_b32 v10, 0, v10
	s_branch .LBB63_405
.LBB63_404:
	s_mov_b32 s47, -1
                                        ; implicit-def: $vgpr10_vgpr11
.LBB63_405:
	s_mov_b32 s1, 0
.LBB63_406:
	s_delay_alu instid0(SALU_CYCLE_1)
	s_and_b32 vcc_lo, exec_lo, s1
	s_cbranch_vccz .LBB63_410
; %bb.407:
	s_cmp_eq_u32 s35, 29
	s_cbranch_scc0 .LBB63_409
; %bb.408:
	global_load_b64 v[10:11], v[14:15], off
	s_mov_b32 s58, -1
	s_mov_b32 s47, 0
	s_branch .LBB63_410
.LBB63_409:
	s_mov_b32 s47, -1
                                        ; implicit-def: $vgpr10_vgpr11
.LBB63_410:
	s_mov_b32 s1, 0
.LBB63_411:
	s_delay_alu instid0(SALU_CYCLE_1)
	s_and_b32 vcc_lo, exec_lo, s1
	s_cbranch_vccz .LBB63_427
; %bb.412:
	s_cmp_lt_i32 s35, 27
	s_cbranch_scc1 .LBB63_415
; %bb.413:
	s_cmp_gt_i32 s35, 27
	s_cbranch_scc0 .LBB63_416
; %bb.414:
	s_wait_loadcnt 0x0
	global_load_b32 v10, v[14:15], off
	v_mov_b32_e32 v11, 0
	s_mov_b32 s1, 0
	s_branch .LBB63_417
.LBB63_415:
	s_mov_b32 s1, -1
                                        ; implicit-def: $vgpr10_vgpr11
	s_branch .LBB63_420
.LBB63_416:
	s_mov_b32 s1, -1
                                        ; implicit-def: $vgpr10_vgpr11
.LBB63_417:
	s_delay_alu instid0(SALU_CYCLE_1)
	s_and_not1_b32 vcc_lo, exec_lo, s1
	s_cbranch_vccnz .LBB63_419
; %bb.418:
	global_load_u16 v1, v[14:15], off
	s_mov_b32 s1, 0
	s_wait_loadcnt 0x1
	v_mov_b32_e32 v11, s1
	s_wait_loadcnt 0x0
	v_and_b32_e32 v10, 0xffff, v1
.LBB63_419:
	s_mov_b32 s1, 0
.LBB63_420:
	s_delay_alu instid0(SALU_CYCLE_1)
	s_and_not1_b32 vcc_lo, exec_lo, s1
	s_cbranch_vccnz .LBB63_426
; %bb.421:
	global_load_u8 v1, v[14:15], off
	s_mov_b32 s58, 0
	s_mov_b32 s1, exec_lo
	s_wait_loadcnt 0x0
	v_cmpx_lt_i16_e32 0x7f, v1
	s_xor_b32 s1, exec_lo, s1
	s_cbranch_execz .LBB63_438
; %bb.422:
	v_cmp_ne_u16_e32 vcc_lo, 0x80, v1
	s_and_b32 s58, vcc_lo, exec_lo
	s_and_not1_saveexec_b32 s1, s1
	s_cbranch_execnz .LBB63_439
.LBB63_423:
	s_or_b32 exec_lo, exec_lo, s1
	v_mov_b64_e32 v[10:11], 0
	s_and_saveexec_b32 s1, s58
	s_cbranch_execz .LBB63_425
.LBB63_424:
	v_and_b32_e32 v3, 0xffff, v1
	s_delay_alu instid0(VALU_DEP_1) | instskip(SKIP_1) | instid1(VALU_DEP_2)
	v_and_b32_e32 v7, 7, v3
	v_bfe_u32 v16, v3, 3, 4
	v_clz_i32_u32_e32 v10, v7
	s_delay_alu instid0(VALU_DEP_2) | instskip(NEXT) | instid1(VALU_DEP_2)
	v_cmp_eq_u32_e32 vcc_lo, 0, v16
	v_min_u32_e32 v10, 32, v10
	s_delay_alu instid0(VALU_DEP_1) | instskip(NEXT) | instid1(VALU_DEP_1)
	v_subrev_nc_u32_e32 v11, 28, v10
	v_dual_lshlrev_b32 v3, v11, v3 :: v_dual_sub_nc_u32 v10, 29, v10
	s_delay_alu instid0(VALU_DEP_1) | instskip(NEXT) | instid1(VALU_DEP_1)
	v_dual_lshlrev_b32 v1, 24, v1 :: v_dual_bitop2_b32 v3, 7, v3 bitop3:0x40
	v_dual_cndmask_b32 v10, v16, v10 :: v_dual_cndmask_b32 v3, v7, v3
	s_delay_alu instid0(VALU_DEP_2) | instskip(NEXT) | instid1(VALU_DEP_2)
	v_and_b32_e32 v1, 0x80000000, v1
	v_lshl_add_u32 v7, v10, 23, 0x3b800000
	s_delay_alu instid0(VALU_DEP_3) | instskip(NEXT) | instid1(VALU_DEP_1)
	v_lshlrev_b32_e32 v3, 20, v3
	v_or3_b32 v1, v1, v7, v3
	s_delay_alu instid0(VALU_DEP_1) | instskip(NEXT) | instid1(VALU_DEP_1)
	v_trunc_f32_e32 v1, v1
	v_mul_f32_e64 v3, 0x2f800000, |v1|
	v_ashrrev_i32_e32 v10, 31, v1
	s_delay_alu instid0(VALU_DEP_2) | instskip(NEXT) | instid1(VALU_DEP_2)
	v_floor_f32_e32 v3, v3
	v_mov_b32_e32 v11, v10
	s_delay_alu instid0(VALU_DEP_2) | instskip(SKIP_1) | instid1(VALU_DEP_2)
	v_fma_f32 v7, 0xcf800000, v3, |v1|
	v_cvt_u32_f32_e32 v1, v3
	v_cvt_u32_f32_e32 v3, v7
	s_delay_alu instid0(VALU_DEP_2) | instskip(NEXT) | instid1(VALU_DEP_2)
	v_xor_b32_e32 v17, v1, v10
	v_xor_b32_e32 v16, v3, v10
	s_delay_alu instid0(VALU_DEP_1)
	v_sub_nc_u64_e32 v[10:11], v[16:17], v[10:11]
.LBB63_425:
	s_or_b32 exec_lo, exec_lo, s1
.LBB63_426:
	s_mov_b32 s58, -1
.LBB63_427:
	s_mov_b32 s1, 0
.LBB63_428:
	s_delay_alu instid0(SALU_CYCLE_1)
	s_and_b32 vcc_lo, exec_lo, s1
	s_cbranch_vccz .LBB63_461
; %bb.429:
	s_cmp_gt_i32 s35, 22
	s_cbranch_scc0 .LBB63_437
; %bb.430:
	s_cmp_lt_i32 s35, 24
	s_cbranch_scc1 .LBB63_440
; %bb.431:
	s_cmp_gt_i32 s35, 24
	s_cbranch_scc0 .LBB63_441
; %bb.432:
	global_load_u8 v1, v[14:15], off
	s_mov_b32 s58, 0
	s_mov_b32 s1, exec_lo
	s_wait_loadcnt 0x0
	v_cmpx_lt_i16_e32 0x7f, v1
	s_xor_b32 s1, exec_lo, s1
	s_cbranch_execz .LBB63_453
; %bb.433:
	v_cmp_ne_u16_e32 vcc_lo, 0x80, v1
	s_and_b32 s58, vcc_lo, exec_lo
	s_and_not1_saveexec_b32 s1, s1
	s_cbranch_execnz .LBB63_454
.LBB63_434:
	s_or_b32 exec_lo, exec_lo, s1
	v_mov_b64_e32 v[10:11], 0
	s_and_saveexec_b32 s1, s58
	s_cbranch_execz .LBB63_436
.LBB63_435:
	v_and_b32_e32 v3, 0xffff, v1
	s_delay_alu instid0(VALU_DEP_1) | instskip(SKIP_1) | instid1(VALU_DEP_2)
	v_and_b32_e32 v7, 3, v3
	v_bfe_u32 v16, v3, 2, 5
	v_clz_i32_u32_e32 v10, v7
	s_delay_alu instid0(VALU_DEP_2) | instskip(NEXT) | instid1(VALU_DEP_2)
	v_cmp_eq_u32_e32 vcc_lo, 0, v16
	v_min_u32_e32 v10, 32, v10
	s_delay_alu instid0(VALU_DEP_1) | instskip(NEXT) | instid1(VALU_DEP_1)
	v_subrev_nc_u32_e32 v11, 29, v10
	v_dual_lshlrev_b32 v3, v11, v3 :: v_dual_sub_nc_u32 v10, 30, v10
	s_delay_alu instid0(VALU_DEP_1) | instskip(NEXT) | instid1(VALU_DEP_1)
	v_dual_lshlrev_b32 v1, 24, v1 :: v_dual_bitop2_b32 v3, 3, v3 bitop3:0x40
	v_dual_cndmask_b32 v10, v16, v10 :: v_dual_cndmask_b32 v3, v7, v3
	s_delay_alu instid0(VALU_DEP_2) | instskip(NEXT) | instid1(VALU_DEP_2)
	v_and_b32_e32 v1, 0x80000000, v1
	v_lshl_add_u32 v7, v10, 23, 0x37800000
	s_delay_alu instid0(VALU_DEP_3) | instskip(NEXT) | instid1(VALU_DEP_1)
	v_lshlrev_b32_e32 v3, 21, v3
	v_or3_b32 v1, v1, v7, v3
	s_delay_alu instid0(VALU_DEP_1) | instskip(NEXT) | instid1(VALU_DEP_1)
	v_trunc_f32_e32 v1, v1
	v_mul_f32_e64 v3, 0x2f800000, |v1|
	v_ashrrev_i32_e32 v10, 31, v1
	s_delay_alu instid0(VALU_DEP_2) | instskip(NEXT) | instid1(VALU_DEP_2)
	v_floor_f32_e32 v3, v3
	v_mov_b32_e32 v11, v10
	s_delay_alu instid0(VALU_DEP_2) | instskip(SKIP_1) | instid1(VALU_DEP_2)
	v_fma_f32 v7, 0xcf800000, v3, |v1|
	v_cvt_u32_f32_e32 v1, v3
	v_cvt_u32_f32_e32 v3, v7
	s_delay_alu instid0(VALU_DEP_2) | instskip(NEXT) | instid1(VALU_DEP_2)
	v_xor_b32_e32 v17, v1, v10
	v_xor_b32_e32 v16, v3, v10
	s_delay_alu instid0(VALU_DEP_1)
	v_sub_nc_u64_e32 v[10:11], v[16:17], v[10:11]
.LBB63_436:
	s_or_b32 exec_lo, exec_lo, s1
	s_mov_b32 s1, 0
	s_branch .LBB63_442
.LBB63_437:
	s_mov_b32 s1, -1
                                        ; implicit-def: $vgpr10_vgpr11
	s_branch .LBB63_448
.LBB63_438:
	s_and_not1_saveexec_b32 s1, s1
	s_cbranch_execz .LBB63_423
.LBB63_439:
	v_cmp_ne_u16_e32 vcc_lo, 0, v1
	s_and_not1_b32 s36, s58, exec_lo
	s_and_b32 s37, vcc_lo, exec_lo
	s_delay_alu instid0(SALU_CYCLE_1)
	s_or_b32 s58, s36, s37
	s_or_b32 exec_lo, exec_lo, s1
	v_mov_b64_e32 v[10:11], 0
	s_and_saveexec_b32 s1, s58
	s_cbranch_execnz .LBB63_424
	s_branch .LBB63_425
.LBB63_440:
	s_mov_b32 s1, -1
                                        ; implicit-def: $vgpr10_vgpr11
	s_branch .LBB63_445
.LBB63_441:
	s_mov_b32 s1, -1
                                        ; implicit-def: $vgpr10_vgpr11
.LBB63_442:
	s_delay_alu instid0(SALU_CYCLE_1)
	s_and_b32 vcc_lo, exec_lo, s1
	s_cbranch_vccz .LBB63_444
; %bb.443:
	global_load_u8 v1, v[14:15], off
	s_wait_loadcnt 0x0
	v_lshlrev_b32_e32 v1, 24, v1
	s_delay_alu instid0(VALU_DEP_1) | instskip(NEXT) | instid1(VALU_DEP_1)
	v_and_b32_e32 v3, 0x7f000000, v1
	v_clz_i32_u32_e32 v7, v3
	v_add_nc_u32_e32 v11, 0x1000000, v3
	v_cmp_ne_u32_e32 vcc_lo, 0, v3
	s_delay_alu instid0(VALU_DEP_3) | instskip(NEXT) | instid1(VALU_DEP_1)
	v_min_u32_e32 v7, 32, v7
	v_sub_nc_u32_e64 v7, v7, 4 clamp
	s_delay_alu instid0(VALU_DEP_1) | instskip(NEXT) | instid1(VALU_DEP_1)
	v_lshlrev_b32_e32 v10, v7, v3
	v_dual_lshlrev_b32 v7, 23, v7 :: v_dual_lshrrev_b32 v10, 4, v10
	s_delay_alu instid0(VALU_DEP_1) | instskip(SKIP_1) | instid1(VALU_DEP_2)
	v_sub_nc_u32_e32 v7, v10, v7
	v_ashrrev_i32_e32 v10, 8, v11
	v_add_nc_u32_e32 v7, 0x3c000000, v7
	s_delay_alu instid0(VALU_DEP_1) | instskip(NEXT) | instid1(VALU_DEP_1)
	v_and_or_b32 v7, 0x7f800000, v10, v7
	v_cndmask_b32_e32 v3, 0, v7, vcc_lo
	s_delay_alu instid0(VALU_DEP_1) | instskip(NEXT) | instid1(VALU_DEP_1)
	v_and_or_b32 v1, 0x80000000, v1, v3
	v_trunc_f32_e32 v1, v1
	s_delay_alu instid0(VALU_DEP_1) | instskip(SKIP_1) | instid1(VALU_DEP_2)
	v_mul_f32_e64 v3, 0x2f800000, |v1|
	v_ashrrev_i32_e32 v10, 31, v1
	v_floor_f32_e32 v3, v3
	s_delay_alu instid0(VALU_DEP_2) | instskip(NEXT) | instid1(VALU_DEP_2)
	v_mov_b32_e32 v11, v10
	v_fma_f32 v7, 0xcf800000, v3, |v1|
	v_cvt_u32_f32_e32 v1, v3
	s_delay_alu instid0(VALU_DEP_2) | instskip(NEXT) | instid1(VALU_DEP_2)
	v_cvt_u32_f32_e32 v3, v7
	v_xor_b32_e32 v17, v1, v10
	s_delay_alu instid0(VALU_DEP_2) | instskip(NEXT) | instid1(VALU_DEP_1)
	v_xor_b32_e32 v16, v3, v10
	v_sub_nc_u64_e32 v[10:11], v[16:17], v[10:11]
.LBB63_444:
	s_mov_b32 s1, 0
.LBB63_445:
	s_delay_alu instid0(SALU_CYCLE_1)
	s_and_not1_b32 vcc_lo, exec_lo, s1
	s_cbranch_vccnz .LBB63_447
; %bb.446:
	global_load_u8 v1, v[14:15], off
	s_wait_loadcnt 0x0
	v_lshlrev_b32_e32 v3, 25, v1
	v_lshlrev_b16 v1, 8, v1
	s_delay_alu instid0(VALU_DEP_1) | instskip(SKIP_1) | instid1(VALU_DEP_2)
	v_and_or_b32 v10, 0x7f00, v1, 0.5
	v_bfe_i32 v1, v1, 0, 16
	v_dual_add_f32 v10, -0.5, v10 :: v_dual_lshrrev_b32 v7, 4, v3
	v_cmp_gt_u32_e32 vcc_lo, 0x8000000, v3
	s_delay_alu instid0(VALU_DEP_2) | instskip(NEXT) | instid1(VALU_DEP_1)
	v_or_b32_e32 v7, 0x70000000, v7
	v_mul_f32_e32 v7, 0x7800000, v7
	s_delay_alu instid0(VALU_DEP_1) | instskip(NEXT) | instid1(VALU_DEP_1)
	v_cndmask_b32_e32 v3, v7, v10, vcc_lo
	v_and_or_b32 v1, 0x80000000, v1, v3
	s_delay_alu instid0(VALU_DEP_1) | instskip(NEXT) | instid1(VALU_DEP_1)
	v_trunc_f32_e32 v1, v1
	v_mul_f32_e64 v3, 0x2f800000, |v1|
	v_ashrrev_i32_e32 v10, 31, v1
	s_delay_alu instid0(VALU_DEP_2) | instskip(NEXT) | instid1(VALU_DEP_2)
	v_floor_f32_e32 v3, v3
	v_mov_b32_e32 v11, v10
	s_delay_alu instid0(VALU_DEP_2) | instskip(SKIP_1) | instid1(VALU_DEP_2)
	v_fma_f32 v7, 0xcf800000, v3, |v1|
	v_cvt_u32_f32_e32 v1, v3
	v_cvt_u32_f32_e32 v3, v7
	s_delay_alu instid0(VALU_DEP_2) | instskip(NEXT) | instid1(VALU_DEP_2)
	v_xor_b32_e32 v17, v1, v10
	v_xor_b32_e32 v16, v3, v10
	s_delay_alu instid0(VALU_DEP_1)
	v_sub_nc_u64_e32 v[10:11], v[16:17], v[10:11]
.LBB63_447:
	s_mov_b32 s1, 0
	s_mov_b32 s58, -1
.LBB63_448:
	s_and_not1_b32 vcc_lo, exec_lo, s1
	s_cbranch_vccnz .LBB63_461
; %bb.449:
	s_cmp_gt_i32 s35, 14
	s_cbranch_scc0 .LBB63_452
; %bb.450:
	s_cmp_eq_u32 s35, 15
	s_cbranch_scc0 .LBB63_455
; %bb.451:
	global_load_u16 v1, v[14:15], off
	s_mov_b32 s58, -1
	s_mov_b32 s47, 0
	s_wait_loadcnt 0x0
	v_lshlrev_b32_e32 v1, 16, v1
	s_delay_alu instid0(VALU_DEP_1) | instskip(NEXT) | instid1(VALU_DEP_1)
	v_trunc_f32_e32 v1, v1
	v_mul_f32_e64 v3, 0x2f800000, |v1|
	v_ashrrev_i32_e32 v10, 31, v1
	s_delay_alu instid0(VALU_DEP_2) | instskip(NEXT) | instid1(VALU_DEP_2)
	v_floor_f32_e32 v3, v3
	v_mov_b32_e32 v11, v10
	s_delay_alu instid0(VALU_DEP_2) | instskip(SKIP_1) | instid1(VALU_DEP_2)
	v_fma_f32 v7, 0xcf800000, v3, |v1|
	v_cvt_u32_f32_e32 v1, v3
	v_cvt_u32_f32_e32 v3, v7
	s_delay_alu instid0(VALU_DEP_2) | instskip(NEXT) | instid1(VALU_DEP_2)
	v_xor_b32_e32 v17, v1, v10
	v_xor_b32_e32 v16, v3, v10
	s_delay_alu instid0(VALU_DEP_1)
	v_sub_nc_u64_e32 v[10:11], v[16:17], v[10:11]
	s_branch .LBB63_456
.LBB63_452:
	s_mov_b32 s1, -1
                                        ; implicit-def: $vgpr10_vgpr11
	s_branch .LBB63_457
.LBB63_453:
	s_and_not1_saveexec_b32 s1, s1
	s_cbranch_execz .LBB63_434
.LBB63_454:
	v_cmp_ne_u16_e32 vcc_lo, 0, v1
	s_and_not1_b32 s36, s58, exec_lo
	s_and_b32 s37, vcc_lo, exec_lo
	s_delay_alu instid0(SALU_CYCLE_1)
	s_or_b32 s58, s36, s37
	s_or_b32 exec_lo, exec_lo, s1
	v_mov_b64_e32 v[10:11], 0
	s_and_saveexec_b32 s1, s58
	s_cbranch_execnz .LBB63_435
	s_branch .LBB63_436
.LBB63_455:
	s_mov_b32 s47, -1
                                        ; implicit-def: $vgpr10_vgpr11
.LBB63_456:
	s_mov_b32 s1, 0
.LBB63_457:
	s_delay_alu instid0(SALU_CYCLE_1)
	s_and_b32 vcc_lo, exec_lo, s1
	s_cbranch_vccz .LBB63_461
; %bb.458:
	s_cmp_eq_u32 s35, 11
	s_cbranch_scc0 .LBB63_460
; %bb.459:
	global_load_u8 v1, v[14:15], off
	s_mov_b32 s47, 0
	s_mov_b32 s58, -1
	s_wait_loadcnt 0x1
	v_mov_b32_e32 v11, s47
	s_wait_loadcnt 0x0
	v_cmp_ne_u16_e32 vcc_lo, 0, v1
	v_cndmask_b32_e64 v10, 0, 1, vcc_lo
	s_branch .LBB63_461
.LBB63_460:
	s_mov_b32 s47, -1
                                        ; implicit-def: $vgpr10_vgpr11
.LBB63_461:
	s_mov_b32 s1, 0
.LBB63_462:
	s_delay_alu instid0(SALU_CYCLE_1)
	s_and_b32 vcc_lo, exec_lo, s1
	s_cbranch_vccz .LBB63_511
; %bb.463:
	s_and_b32 s0, 0xffff, s0
	s_delay_alu instid0(SALU_CYCLE_1)
	s_cmp_lt_i32 s0, 5
	s_cbranch_scc1 .LBB63_468
; %bb.464:
	s_cmp_lt_i32 s0, 8
	s_cbranch_scc1 .LBB63_469
; %bb.465:
	;; [unrolled: 3-line block ×3, first 2 shown]
	s_cmp_gt_i32 s0, 9
	s_cbranch_scc0 .LBB63_471
; %bb.467:
	s_wait_loadcnt 0x0
	global_load_b64 v[10:11], v[14:15], off
	s_mov_b32 s1, 0
	s_wait_loadcnt 0x0
	v_trunc_f64_e32 v[10:11], v[10:11]
	s_delay_alu instid0(VALU_DEP_1) | instskip(NEXT) | instid1(VALU_DEP_1)
	v_ldexp_f64 v[16:17], v[10:11], 0xffffffe0
	v_floor_f64_e32 v[16:17], v[16:17]
	s_delay_alu instid0(VALU_DEP_1) | instskip(SKIP_1) | instid1(VALU_DEP_2)
	v_fmamk_f64 v[18:19], v[16:17], 0xc1f00000, v[10:11]
	v_cvt_i32_f64_e32 v11, v[16:17]
	v_cvt_u32_f64_e32 v10, v[18:19]
	s_branch .LBB63_472
.LBB63_468:
	s_mov_b32 s1, -1
                                        ; implicit-def: $vgpr10_vgpr11
	s_branch .LBB63_490
.LBB63_469:
	s_mov_b32 s1, -1
                                        ; implicit-def: $vgpr10_vgpr11
	s_branch .LBB63_478
.LBB63_470:
	s_mov_b32 s1, -1
                                        ; implicit-def: $vgpr10_vgpr11
	s_branch .LBB63_475
.LBB63_471:
	s_mov_b32 s1, -1
                                        ; implicit-def: $vgpr10_vgpr11
.LBB63_472:
	s_delay_alu instid0(SALU_CYCLE_1)
	s_and_not1_b32 vcc_lo, exec_lo, s1
	s_cbranch_vccnz .LBB63_474
; %bb.473:
	global_load_b32 v1, v[14:15], off
	s_wait_loadcnt 0x0
	v_trunc_f32_e32 v1, v1
	s_delay_alu instid0(VALU_DEP_1) | instskip(SKIP_1) | instid1(VALU_DEP_2)
	v_mul_f32_e64 v3, 0x2f800000, |v1|
	v_ashrrev_i32_e32 v10, 31, v1
	v_floor_f32_e32 v3, v3
	s_delay_alu instid0(VALU_DEP_1) | instskip(SKIP_1) | instid1(VALU_DEP_4)
	v_fma_f32 v7, 0xcf800000, v3, |v1|
	v_cvt_u32_f32_e32 v1, v3
	v_mov_b32_e32 v11, v10
	s_delay_alu instid0(VALU_DEP_3) | instskip(NEXT) | instid1(VALU_DEP_3)
	v_cvt_u32_f32_e32 v3, v7
	v_xor_b32_e32 v17, v1, v10
	s_delay_alu instid0(VALU_DEP_2) | instskip(NEXT) | instid1(VALU_DEP_1)
	v_xor_b32_e32 v16, v3, v10
	v_sub_nc_u64_e32 v[10:11], v[16:17], v[10:11]
.LBB63_474:
	s_mov_b32 s1, 0
.LBB63_475:
	s_delay_alu instid0(SALU_CYCLE_1)
	s_and_not1_b32 vcc_lo, exec_lo, s1
	s_cbranch_vccnz .LBB63_477
; %bb.476:
	global_load_b32 v1, v[14:15], off
	s_wait_loadcnt 0x0
	v_cvt_f32_f16_e32 v1, v1
	s_delay_alu instid0(VALU_DEP_1) | instskip(NEXT) | instid1(VALU_DEP_1)
	v_cvt_i32_f32_e32 v10, v1
	v_ashrrev_i32_e32 v11, 31, v10
.LBB63_477:
	s_mov_b32 s1, 0
.LBB63_478:
	s_delay_alu instid0(SALU_CYCLE_1)
	s_and_not1_b32 vcc_lo, exec_lo, s1
	s_cbranch_vccnz .LBB63_489
; %bb.479:
	s_cmp_lt_i32 s0, 6
	s_cbranch_scc1 .LBB63_482
; %bb.480:
	s_cmp_gt_i32 s0, 6
	s_cbranch_scc0 .LBB63_483
; %bb.481:
	s_wait_loadcnt 0x0
	global_load_b64 v[10:11], v[14:15], off
	s_mov_b32 s1, 0
	s_wait_loadcnt 0x0
	v_trunc_f64_e32 v[10:11], v[10:11]
	s_delay_alu instid0(VALU_DEP_1) | instskip(NEXT) | instid1(VALU_DEP_1)
	v_ldexp_f64 v[16:17], v[10:11], 0xffffffe0
	v_floor_f64_e32 v[16:17], v[16:17]
	s_delay_alu instid0(VALU_DEP_1) | instskip(SKIP_1) | instid1(VALU_DEP_2)
	v_fmamk_f64 v[18:19], v[16:17], 0xc1f00000, v[10:11]
	v_cvt_i32_f64_e32 v11, v[16:17]
	v_cvt_u32_f64_e32 v10, v[18:19]
	s_branch .LBB63_484
.LBB63_482:
	s_mov_b32 s1, -1
                                        ; implicit-def: $vgpr10_vgpr11
	s_branch .LBB63_487
.LBB63_483:
	s_mov_b32 s1, -1
                                        ; implicit-def: $vgpr10_vgpr11
.LBB63_484:
	s_delay_alu instid0(SALU_CYCLE_1)
	s_and_not1_b32 vcc_lo, exec_lo, s1
	s_cbranch_vccnz .LBB63_486
; %bb.485:
	global_load_b32 v1, v[14:15], off
	s_wait_loadcnt 0x0
	v_trunc_f32_e32 v1, v1
	s_delay_alu instid0(VALU_DEP_1) | instskip(SKIP_1) | instid1(VALU_DEP_2)
	v_mul_f32_e64 v3, 0x2f800000, |v1|
	v_ashrrev_i32_e32 v10, 31, v1
	v_floor_f32_e32 v3, v3
	s_delay_alu instid0(VALU_DEP_1) | instskip(SKIP_1) | instid1(VALU_DEP_4)
	v_fma_f32 v7, 0xcf800000, v3, |v1|
	v_cvt_u32_f32_e32 v1, v3
	v_mov_b32_e32 v11, v10
	s_delay_alu instid0(VALU_DEP_3) | instskip(NEXT) | instid1(VALU_DEP_3)
	v_cvt_u32_f32_e32 v3, v7
	v_xor_b32_e32 v17, v1, v10
	s_delay_alu instid0(VALU_DEP_2) | instskip(NEXT) | instid1(VALU_DEP_1)
	v_xor_b32_e32 v16, v3, v10
	v_sub_nc_u64_e32 v[10:11], v[16:17], v[10:11]
.LBB63_486:
	s_mov_b32 s1, 0
.LBB63_487:
	s_delay_alu instid0(SALU_CYCLE_1)
	s_and_not1_b32 vcc_lo, exec_lo, s1
	s_cbranch_vccnz .LBB63_489
; %bb.488:
	global_load_u16 v1, v[14:15], off
	s_wait_loadcnt 0x0
	v_cvt_f32_f16_e32 v1, v1
	s_delay_alu instid0(VALU_DEP_1) | instskip(NEXT) | instid1(VALU_DEP_1)
	v_cvt_i32_f32_e32 v10, v1
	v_ashrrev_i32_e32 v11, 31, v10
.LBB63_489:
	s_mov_b32 s1, 0
.LBB63_490:
	s_delay_alu instid0(SALU_CYCLE_1)
	s_and_not1_b32 vcc_lo, exec_lo, s1
	s_cbranch_vccnz .LBB63_510
; %bb.491:
	s_cmp_lt_i32 s0, 2
	s_cbranch_scc1 .LBB63_495
; %bb.492:
	s_cmp_lt_i32 s0, 3
	s_cbranch_scc1 .LBB63_496
; %bb.493:
	s_cmp_gt_i32 s0, 3
	s_cbranch_scc0 .LBB63_497
; %bb.494:
	s_wait_loadcnt 0x0
	global_load_b64 v[10:11], v[14:15], off
	s_mov_b32 s1, 0
	s_branch .LBB63_498
.LBB63_495:
	s_mov_b32 s1, -1
                                        ; implicit-def: $vgpr10_vgpr11
	s_branch .LBB63_504
.LBB63_496:
	s_mov_b32 s1, -1
                                        ; implicit-def: $vgpr10_vgpr11
	s_branch .LBB63_501
.LBB63_497:
	s_mov_b32 s1, -1
                                        ; implicit-def: $vgpr10_vgpr11
.LBB63_498:
	s_delay_alu instid0(SALU_CYCLE_1)
	s_and_not1_b32 vcc_lo, exec_lo, s1
	s_cbranch_vccnz .LBB63_500
; %bb.499:
	s_wait_loadcnt 0x0
	global_load_b32 v10, v[14:15], off
	s_wait_loadcnt 0x0
	v_ashrrev_i32_e32 v11, 31, v10
.LBB63_500:
	s_mov_b32 s1, 0
.LBB63_501:
	s_delay_alu instid0(SALU_CYCLE_1)
	s_and_not1_b32 vcc_lo, exec_lo, s1
	s_cbranch_vccnz .LBB63_503
; %bb.502:
	global_load_u16 v1, v[14:15], off
	s_wait_loadcnt 0x0
	v_bfe_i32 v10, v1, 0, 16
	s_delay_alu instid0(VALU_DEP_1)
	v_ashrrev_i32_e32 v11, 31, v10
.LBB63_503:
	s_mov_b32 s1, 0
.LBB63_504:
	s_delay_alu instid0(SALU_CYCLE_1)
	s_and_not1_b32 vcc_lo, exec_lo, s1
	s_cbranch_vccnz .LBB63_510
; %bb.505:
	s_cmp_gt_i32 s0, 0
	s_mov_b32 s0, 0
	s_cbranch_scc0 .LBB63_507
; %bb.506:
	global_load_i8 v1, v[14:15], off
	s_wait_loadcnt 0x0
	v_bfe_i32 v10, v1, 0, 16
	s_delay_alu instid0(VALU_DEP_1)
	v_ashrrev_i32_e32 v11, 31, v10
	s_branch .LBB63_508
.LBB63_507:
	s_mov_b32 s0, -1
                                        ; implicit-def: $vgpr10_vgpr11
.LBB63_508:
	s_delay_alu instid0(SALU_CYCLE_1)
	s_and_not1_b32 vcc_lo, exec_lo, s0
	s_cbranch_vccnz .LBB63_510
; %bb.509:
	global_load_u8 v1, v[14:15], off
	s_mov_b32 s0, 0
	s_wait_loadcnt 0x1
	v_mov_b32_e32 v11, s0
	s_wait_loadcnt 0x0
	v_and_b32_e32 v10, 0xffff, v1
.LBB63_510:
	s_mov_b32 s58, -1
.LBB63_511:
	s_delay_alu instid0(SALU_CYCLE_1)
	s_and_not1_b32 vcc_lo, exec_lo, s58
	s_cbranch_vccnz .LBB63_519
; %bb.512:
	s_load_b512 s[4:19], s[2:3], 0x248
	v_mov_b32_e32 v7, 0
	s_and_b32 s0, s53, 0xff
	s_delay_alu instid0(SALU_CYCLE_1) | instskip(SKIP_1) | instid1(VALU_DEP_1)
	s_cmp_lt_i32 s0, 11
	s_wait_kmcnt 0x0
	v_add_nc_u64_e32 v[6:7], s[14:15], v[6:7]
	s_cbranch_scc1 .LBB63_559
; %bb.513:
	s_and_b32 s35, 0xffff, s0
	s_delay_alu instid0(SALU_CYCLE_1)
	s_cmp_gt_i32 s35, 25
	s_cbranch_scc0 .LBB63_562
; %bb.514:
	s_cmp_gt_i32 s35, 28
	s_mov_b64 s[14:15], s[94:95]
	s_mov_b32 s12, s92
	s_cbranch_scc0 .LBB63_565
; %bb.515:
	s_cmp_gt_i32 s35, 43
	s_cbranch_scc0 .LBB63_680
; %bb.516:
	s_cmp_gt_i32 s35, 45
	s_cbranch_scc0 .LBB63_963
; %bb.517:
	s_cmp_eq_u32 s35, 46
	s_mov_b32 s1, 0
	s_cbranch_scc0 .LBB63_2716
; %bb.518:
	global_load_b32 v1, v[6:7], off
	s_mov_b32 s58, -1
	s_mov_b32 s88, 0
	s_wait_loadcnt 0x0
	v_lshlrev_b32_e32 v1, 16, v1
	s_delay_alu instid0(VALU_DEP_1) | instskip(NEXT) | instid1(VALU_DEP_1)
	v_trunc_f32_e32 v1, v1
	v_mul_f32_e64 v3, 0x2f800000, |v1|
	v_ashrrev_i32_e32 v14, 31, v1
	s_delay_alu instid0(VALU_DEP_2) | instskip(NEXT) | instid1(VALU_DEP_1)
	v_floor_f32_e32 v3, v3
	v_fma_f32 v15, 0xcf800000, v3, |v1|
	v_cvt_u32_f32_e32 v1, v3
	s_delay_alu instid0(VALU_DEP_2) | instskip(NEXT) | instid1(VALU_DEP_2)
	v_cvt_u32_f32_e32 v3, v15
	v_dual_mov_b32 v15, v14 :: v_dual_bitop2_b32 v17, v1, v14 bitop3:0x14
	s_delay_alu instid0(VALU_DEP_2) | instskip(NEXT) | instid1(VALU_DEP_1)
	v_xor_b32_e32 v16, v3, v14
	v_sub_nc_u64_e32 v[14:15], v[16:17], v[14:15]
	s_branch .LBB63_2718
.LBB63_519:
	s_mov_b32 s0, 0
	s_mov_b32 s1, 0
	;; [unrolled: 1-line block ×7, first 2 shown]
.LBB63_520:
	s_mov_b64 s[14:15], s[94:95]
	s_mov_b32 s12, s92
.LBB63_521:
                                        ; implicit-def: $vgpr0
.LBB63_522:
	s_and_b32 s70, s60, exec_lo
	s_and_b32 s71, s59, exec_lo
	;; [unrolled: 1-line block ×10, first 2 shown]
	s_or_not1_b32 s35, s0, exec_lo
.LBB63_523:
	s_wait_xcnt 0x0
	s_or_b32 exec_lo, exec_lo, s23
	s_mov_b32 s44, 0
	s_mov_b32 s23, 0
                                        ; implicit-def: $sgpr0
                                        ; implicit-def: $vgpr14_vgpr15
                                        ; implicit-def: $vgpr2
                                        ; implicit-def: $vgpr12
                                        ; implicit-def: $vgpr10
                                        ; implicit-def: $vgpr6
                                        ; implicit-def: $vgpr8
                                        ; implicit-def: $vgpr4_vgpr5
	s_and_saveexec_b32 s93, s35
	s_cbranch_execz .LBB63_532
; %bb.524:
	s_mov_b32 s35, -1
	s_mov_b32 s94, s92
	s_mov_b32 s96, s91
	;; [unrolled: 1-line block ×7, first 2 shown]
	s_mov_b32 vcc_hi, s85
	s_mov_b32 s104, s71
	s_mov_b32 s101, s70
	s_mov_b32 s23, exec_lo
	v_cmpx_gt_i32_e64 s83, v0
	s_cbranch_execz .LBB63_804
; %bb.525:
	s_and_not1_b32 vcc_lo, exec_lo, s74
	s_cbranch_vccnz .LBB63_535
; %bb.526:
	s_and_not1_b32 vcc_lo, exec_lo, s84
	s_cbranch_vccnz .LBB63_536
; %bb.527:
	s_wait_loadcnt 0x0
	v_dual_mov_b32 v10, 0 :: v_dual_mov_b32 v1, v0
	v_dual_mov_b32 v6, 0 :: v_dual_mov_b32 v8, 0
	;; [unrolled: 1-line block ×3, first 2 shown]
	v_mov_b32_e32 v4, 0
	s_add_co_i32 s0, s68, 1
	s_mov_b64 s[36:37], 0xffffffffffffffd0
	s_mov_b64 s[8:9], s[40:41]
	s_mov_b32 s5, s48
	s_mov_b64 s[10:11], s[42:43]
	s_mov_b32 s4, s50
	s_and_b32 s0, s0, 30
	s_add_nc_u64 s[58:59], s[2:3], s[36:37]
	s_mov_b64 s[60:61], s[2:3]
.LBB63_528:                             ; =>This Inner Loop Header: Depth=1
	s_clause 0x1
	s_load_b128 s[36:39], s[60:61], 0x4
	s_load_b64 s[62:63], s[60:61], 0x14
	s_clause 0x1
	s_load_b256 s[44:51], s[58:59], 0xf4
	s_load_b128 s[40:43], s[58:59], 0x114
	s_add_co_i32 s0, s0, -2
	s_wait_xcnt 0x0
	s_add_nc_u64 s[60:61], s[60:61], 24
	s_cmp_eq_u32 s0, 0
	s_add_nc_u64 s[58:59], s[58:59], 48
	s_wait_kmcnt 0x0
	v_mul_hi_u32 v3, s37, v1
	s_delay_alu instid0(VALU_DEP_1) | instskip(NEXT) | instid1(VALU_DEP_1)
	v_add_nc_u32_e32 v3, v1, v3
	v_lshrrev_b32_e32 v3, s38, v3
	s_delay_alu instid0(VALU_DEP_1) | instskip(SKIP_1) | instid1(VALU_DEP_1)
	v_mul_hi_u32 v5, s62, v3
	v_mul_lo_u32 v7, v3, s36
	v_dual_add_nc_u32 v5, v3, v5 :: v_dual_sub_nc_u32 v7, v1, v7
	s_delay_alu instid0(VALU_DEP_1) | instskip(NEXT) | instid1(VALU_DEP_2)
	v_lshrrev_b32_e32 v1, s63, v5
	v_mad_u32 v4, v7, s45, v4
	v_mad_u32 v2, v7, s44, v2
	;; [unrolled: 1-line block ×4, first 2 shown]
	v_mul_lo_u32 v5, v1, s39
	v_mad_u32 v6, s49, v7, v6
	v_mad_u32 v7, s48, v7, v10
	s_delay_alu instid0(VALU_DEP_3) | instskip(NEXT) | instid1(VALU_DEP_1)
	v_sub_nc_u32_e32 v3, v3, v5
	v_mad_u32 v4, v3, s51, v4
	v_mad_u32 v2, v3, s50, v2
	;; [unrolled: 1-line block ×6, first 2 shown]
	s_cbranch_scc0 .LBB63_528
; %bb.529:
	s_bitcmp1_b32 s68, 0
	s_cselect_b32 s0, -1, 0
	s_delay_alu instid0(SALU_CYCLE_1)
	s_and_b32 vcc_lo, exec_lo, s0
	s_cbranch_vccnz .LBB63_531
; %bb.530:
	s_load_b96 s[40:42], s[60:61], 0x4
	s_clause 0x1
	s_load_b128 s[36:39], s[58:59], 0xf4
	s_load_b64 s[0:1], s[58:59], 0x104
	s_wait_kmcnt 0x0
	v_mul_hi_u32 v3, s41, v1
	s_delay_alu instid0(VALU_DEP_1) | instskip(NEXT) | instid1(VALU_DEP_1)
	v_add_nc_u32_e32 v3, v1, v3
	v_lshrrev_b32_e32 v3, s42, v3
	s_delay_alu instid0(VALU_DEP_1) | instskip(NEXT) | instid1(VALU_DEP_1)
	v_mul_lo_u32 v3, v3, s40
	v_sub_nc_u32_e32 v1, v1, v3
	s_delay_alu instid0(VALU_DEP_1)
	v_mad_u32 v2, v1, s36, v2
	v_mad_u32 v4, v1, s37, v4
	;; [unrolled: 1-line block ×6, first 2 shown]
.LBB63_531:
	s_mov_b64 s[42:43], s[10:11]
	s_mov_b32 s50, s4
	s_mov_b32 s48, s5
	s_mov_b64 s[40:41], s[8:9]
	s_cbranch_execnz .LBB63_539
	s_branch .LBB63_537
.LBB63_532:
	s_or_b32 exec_lo, exec_lo, s93
	s_mov_b32 s1, 0
	s_and_saveexec_b32 s6, s92
	s_cbranch_execnz .LBB63_1311
.LBB63_533:
	s_or_b32 exec_lo, exec_lo, s6
	s_and_saveexec_b32 s6, s55
	s_delay_alu instid0(SALU_CYCLE_1)
	s_xor_b32 s6, exec_lo, s6
	s_cbranch_execz .LBB63_1312
.LBB63_534:
	s_wait_loadcnt 0x0
	global_load_u8 v0, v[14:15], off
	s_mov_b32 s7, 0
	s_or_b32 s23, s23, exec_lo
	v_mov_b32_e32 v5, s7
	s_wait_loadcnt 0x0
	v_cmp_ne_u16_e32 vcc_lo, 0, v0
	v_cndmask_b32_e64 v4, 0, 1, vcc_lo
	s_wait_xcnt 0x0
	s_or_b32 exec_lo, exec_lo, s6
	s_and_saveexec_b32 s6, s44
	s_cbranch_execz .LBB63_1358
	s_branch .LBB63_1313
.LBB63_535:
                                        ; implicit-def: $vgpr4
                                        ; implicit-def: $vgpr2
                                        ; implicit-def: $vgpr12
                                        ; implicit-def: $vgpr8
                                        ; implicit-def: $vgpr6
                                        ; implicit-def: $vgpr10
	s_branch .LBB63_537
.LBB63_536:
	s_wait_loadcnt 0x0
	v_dual_mov_b32 v4, 0 :: v_dual_mov_b32 v2, 0
	v_dual_mov_b32 v12, 0 :: v_dual_mov_b32 v8, 0
	;; [unrolled: 1-line block ×3, first 2 shown]
	s_cbranch_execnz .LBB63_539
.LBB63_537:
	v_mov_b32_e32 v1, 0
	s_load_b256 s[4:11], s[2:3], 0xc4
	s_and_not1_b32 vcc_lo, exec_lo, s48
	s_delay_alu instid0(VALU_DEP_1) | instskip(NEXT) | instid1(VALU_DEP_1)
	v_mul_u64_e32 v[2:3], s[54:55], v[0:1]
	v_add_nc_u32_e32 v2, v0, v3
	s_wait_loadcnt 0x0
	s_delay_alu instid0(VALU_DEP_1) | instskip(NEXT) | instid1(VALU_DEP_1)
	v_lshrrev_b32_e32 v14, s14, v2
	v_mul_lo_u32 v2, v14, s12
	s_delay_alu instid0(VALU_DEP_1) | instskip(SKIP_1) | instid1(VALU_DEP_1)
	v_sub_nc_u32_e32 v3, v0, v2
	s_wait_kmcnt 0x0
	v_mul_lo_u32 v4, v3, s5
	v_mul_lo_u32 v2, v3, s4
	;; [unrolled: 1-line block ×6, first 2 shown]
	s_cbranch_vccnz .LBB63_539
; %bb.538:
	v_mov_b32_e32 v15, v1
	s_delay_alu instid0(VALU_DEP_1) | instskip(NEXT) | instid1(VALU_DEP_1)
	v_mul_u64_e32 v[16:17], s[56:57], v[14:15]
	v_add_nc_u32_e32 v1, v14, v17
	s_delay_alu instid0(VALU_DEP_1) | instskip(NEXT) | instid1(VALU_DEP_1)
	v_lshrrev_b32_e32 v1, s79, v1
	v_mul_lo_u32 v1, v1, s15
	s_delay_alu instid0(VALU_DEP_1) | instskip(NEXT) | instid1(VALU_DEP_1)
	v_sub_nc_u32_e32 v1, v14, v1
	v_mad_u32 v2, v1, s10, v2
	v_mad_u32 v4, v1, s11, v4
	;; [unrolled: 1-line block ×6, first 2 shown]
.LBB63_539:
	s_mov_b32 s51, s79
	s_mov_b32 s49, s76
	s_mov_b64 s[78:79], s[14:15]
	s_mov_b32 s76, s12
	s_load_b512 s[4:19], s[2:3], 0x248
	s_wait_loadcnt 0x0
	v_mov_b32_e32 v5, 0
	s_and_b32 s0, s50, 0xff
	s_delay_alu instid0(SALU_CYCLE_1) | instskip(SKIP_1) | instid1(VALU_DEP_1)
	s_cmp_lt_i32 s0, 11
	s_wait_kmcnt 0x0
	v_add_nc_u64_e32 v[14:15], s[6:7], v[4:5]
	s_cbranch_scc1 .LBB63_546
; %bb.540:
	s_and_b32 s35, 0xffff, s0
	s_delay_alu instid0(SALU_CYCLE_1)
	s_cmp_gt_i32 s35, 25
	s_cbranch_scc0 .LBB63_555
; %bb.541:
	s_cmp_gt_i32 s35, 28
	s_cbranch_scc0 .LBB63_557
; %bb.542:
	;; [unrolled: 3-line block ×4, first 2 shown]
	s_cmp_eq_u32 s35, 46
	s_mov_b32 s1, 0
	s_cbranch_scc0 .LBB63_566
; %bb.545:
	global_load_b32 v1, v[14:15], off
	s_mov_b32 s45, -1
	s_mov_b32 s44, 0
	s_wait_loadcnt 0x0
	v_lshlrev_b32_e32 v1, 16, v1
	s_delay_alu instid0(VALU_DEP_1) | instskip(NEXT) | instid1(VALU_DEP_1)
	v_trunc_f32_e32 v1, v1
	v_mul_f32_e64 v3, 0x2f800000, |v1|
	v_ashrrev_i32_e32 v4, 31, v1
	s_delay_alu instid0(VALU_DEP_2) | instskip(NEXT) | instid1(VALU_DEP_1)
	v_floor_f32_e32 v3, v3
	v_fma_f32 v5, 0xcf800000, v3, |v1|
	v_cvt_u32_f32_e32 v1, v3
	s_delay_alu instid0(VALU_DEP_2) | instskip(NEXT) | instid1(VALU_DEP_2)
	v_cvt_u32_f32_e32 v3, v5
	v_dual_mov_b32 v5, v4 :: v_dual_bitop2_b32 v17, v1, v4 bitop3:0x14
	s_delay_alu instid0(VALU_DEP_2) | instskip(NEXT) | instid1(VALU_DEP_1)
	v_xor_b32_e32 v16, v3, v4
	v_sub_nc_u64_e32 v[4:5], v[16:17], v[4:5]
	s_branch .LBB63_568
.LBB63_546:
	s_mov_b32 s45, 0
	s_mov_b32 s44, s92
                                        ; implicit-def: $vgpr4_vgpr5
	s_cbranch_execnz .LBB63_630
.LBB63_547:
	s_and_not1_b32 vcc_lo, exec_lo, s45
	s_cbranch_vccnz .LBB63_678
.LBB63_548:
	s_load_b512 s[4:19], s[2:3], 0x248
	v_mov_b32_e32 v9, 0
	s_and_b32 s0, s82, 0xff
	s_delay_alu instid0(SALU_CYCLE_1) | instskip(SKIP_1) | instid1(VALU_DEP_1)
	s_cmp_lt_i32 s0, 11
	s_wait_kmcnt 0x0
	v_add_nc_u64_e32 v[14:15], s[8:9], v[8:9]
	s_cbranch_scc1 .LBB63_556
; %bb.549:
	s_and_b32 s35, 0xffff, s0
	s_delay_alu instid0(SALU_CYCLE_1)
	s_cmp_gt_i32 s35, 25
	s_cbranch_scc0 .LBB63_558
; %bb.550:
	s_cmp_gt_i32 s35, 28
	s_mov_b64 s[14:15], s[78:79]
	s_mov_b32 s12, s76
	s_cbranch_scc0 .LBB63_561
; %bb.551:
	s_cmp_gt_i32 s35, 43
	s_cbranch_scc0 .LBB63_564
; %bb.552:
	s_cmp_gt_i32 s35, 45
	s_cbranch_scc0 .LBB63_571
; %bb.553:
	s_cmp_eq_u32 s35, 46
	s_mov_b32 s1, 0
	s_cbranch_scc0 .LBB63_681
; %bb.554:
	global_load_b32 v1, v[14:15], off
	s_mov_b32 s46, -1
	s_mov_b32 s45, 0
	s_wait_loadcnt 0x0
	v_lshlrev_b32_e32 v1, 16, v1
	s_delay_alu instid0(VALU_DEP_1) | instskip(NEXT) | instid1(VALU_DEP_1)
	v_trunc_f32_e32 v1, v1
	v_mul_f32_e64 v3, 0x2f800000, |v1|
	v_ashrrev_i32_e32 v8, 31, v1
	s_delay_alu instid0(VALU_DEP_2) | instskip(NEXT) | instid1(VALU_DEP_2)
	v_floor_f32_e32 v3, v3
	v_mov_b32_e32 v9, v8
	s_delay_alu instid0(VALU_DEP_2) | instskip(SKIP_1) | instid1(VALU_DEP_2)
	v_fma_f32 v7, 0xcf800000, v3, |v1|
	v_cvt_u32_f32_e32 v1, v3
	v_cvt_u32_f32_e32 v3, v7
	s_delay_alu instid0(VALU_DEP_2) | instskip(NEXT) | instid1(VALU_DEP_2)
	v_xor_b32_e32 v17, v1, v8
	v_xor_b32_e32 v16, v3, v8
	s_delay_alu instid0(VALU_DEP_1)
	v_sub_nc_u64_e32 v[8:9], v[16:17], v[8:9]
	s_branch .LBB63_683
.LBB63_555:
	s_mov_b32 s1, -1
	s_mov_b32 s45, 0
	s_mov_b32 s44, s92
                                        ; implicit-def: $vgpr4_vgpr5
	s_branch .LBB63_596
.LBB63_556:
	s_mov_b32 s1, -1
	s_mov_b32 s46, 0
	s_mov_b32 s45, s91
                                        ; implicit-def: $vgpr8_vgpr9
	s_mov_b64 s[14:15], s[78:79]
	s_mov_b32 s12, s76
	s_branch .LBB63_744
.LBB63_557:
	s_mov_b32 s1, -1
	s_mov_b32 s45, 0
	s_mov_b32 s44, s92
                                        ; implicit-def: $vgpr4_vgpr5
	s_branch .LBB63_579
.LBB63_558:
	s_mov_b32 s1, -1
	s_mov_b32 s46, 0
	s_mov_b32 s45, s91
	s_mov_b64 s[14:15], s[78:79]
	s_mov_b32 s12, s76
                                        ; implicit-def: $vgpr8_vgpr9
	s_branch .LBB63_710
.LBB63_559:
	s_mov_b32 s1, -1
	s_mov_b32 s88, 0
	s_mov_b32 s58, 0
                                        ; implicit-def: $vgpr14_vgpr15
	s_mov_b64 s[14:15], s[94:95]
	s_mov_b32 s12, s92
	s_branch .LBB63_2790
.LBB63_560:
	s_mov_b32 s1, -1
	s_mov_b32 s45, 0
	s_mov_b32 s44, s92
                                        ; implicit-def: $vgpr4_vgpr5
	s_branch .LBB63_574
.LBB63_561:
	s_mov_b32 s1, -1
	s_mov_b32 s46, 0
	s_mov_b32 s45, s91
                                        ; implicit-def: $vgpr8_vgpr9
	s_branch .LBB63_693
.LBB63_562:
	s_mov_b32 s1, -1
	s_mov_b32 s88, 0
	s_mov_b32 s58, 0
	s_mov_b64 s[14:15], s[94:95]
	s_mov_b32 s12, s92
                                        ; implicit-def: $vgpr14_vgpr15
	s_branch .LBB63_2756
.LBB63_563:
	s_mov_b32 s1, -1
	s_mov_b32 s45, 0
	s_mov_b32 s44, s92
	s_branch .LBB63_567
.LBB63_564:
	s_mov_b32 s1, -1
	s_mov_b32 s46, 0
	s_mov_b32 s45, s91
                                        ; implicit-def: $vgpr8_vgpr9
	s_branch .LBB63_688
.LBB63_565:
	s_mov_b32 s1, -1
	s_mov_b32 s88, 0
	s_mov_b32 s58, 0
                                        ; implicit-def: $vgpr14_vgpr15
	s_branch .LBB63_2739
.LBB63_566:
	s_mov_b32 s44, -1
	s_mov_b32 s45, 0
.LBB63_567:
                                        ; implicit-def: $vgpr4_vgpr5
.LBB63_568:
	s_and_b32 vcc_lo, exec_lo, s1
	s_cbranch_vccz .LBB63_573
; %bb.569:
	s_cmp_eq_u32 s35, 44
	s_cbranch_scc0 .LBB63_572
; %bb.570:
	global_load_u8 v1, v[14:15], off
	s_mov_b32 s44, 0
	s_mov_b32 s45, -1
	s_wait_loadcnt 0x0
	v_lshlrev_b32_e32 v3, 23, v1
	v_cmp_ne_u32_e32 vcc_lo, 0, v1
	s_delay_alu instid0(VALU_DEP_2) | instskip(NEXT) | instid1(VALU_DEP_1)
	v_trunc_f32_e32 v3, v3
	v_mul_f32_e64 v4, 0x2f800000, |v3|
	s_delay_alu instid0(VALU_DEP_1) | instskip(SKIP_1) | instid1(VALU_DEP_2)
	v_floor_f32_e32 v5, v4
	v_ashrrev_i32_e32 v4, 31, v3
	v_fma_f32 v7, 0xcf800000, v5, |v3|
	v_cvt_u32_f32_e32 v3, v5
	s_delay_alu instid0(VALU_DEP_3) | instskip(NEXT) | instid1(VALU_DEP_3)
	v_mov_b32_e32 v5, v4
	v_cvt_u32_f32_e32 v7, v7
	s_delay_alu instid0(VALU_DEP_3) | instskip(NEXT) | instid1(VALU_DEP_2)
	v_xor_b32_e32 v17, v3, v4
	v_xor_b32_e32 v16, v7, v4
	s_delay_alu instid0(VALU_DEP_1) | instskip(NEXT) | instid1(VALU_DEP_1)
	v_sub_nc_u64_e32 v[4:5], v[16:17], v[4:5]
	v_dual_cndmask_b32 v5, 0, v5 :: v_dual_cndmask_b32 v4, 0, v4
	s_branch .LBB63_573
.LBB63_571:
	s_mov_b32 s1, -1
	s_mov_b32 s46, 0
	s_mov_b32 s45, s91
	s_branch .LBB63_682
.LBB63_572:
	s_mov_b32 s44, -1
                                        ; implicit-def: $vgpr4_vgpr5
.LBB63_573:
	s_mov_b32 s1, 0
.LBB63_574:
	s_delay_alu instid0(SALU_CYCLE_1)
	s_and_b32 vcc_lo, exec_lo, s1
	s_cbranch_vccz .LBB63_578
; %bb.575:
	s_cmp_eq_u32 s35, 29
	s_cbranch_scc0 .LBB63_577
; %bb.576:
	global_load_b64 v[4:5], v[14:15], off
	s_mov_b32 s45, -1
	s_mov_b32 s44, 0
	s_branch .LBB63_578
.LBB63_577:
	s_mov_b32 s44, -1
                                        ; implicit-def: $vgpr4_vgpr5
.LBB63_578:
	s_mov_b32 s1, 0
.LBB63_579:
	s_delay_alu instid0(SALU_CYCLE_1)
	s_and_b32 vcc_lo, exec_lo, s1
	s_cbranch_vccz .LBB63_595
; %bb.580:
	s_cmp_lt_i32 s35, 27
	s_cbranch_scc1 .LBB63_583
; %bb.581:
	s_cmp_gt_i32 s35, 27
	s_cbranch_scc0 .LBB63_584
; %bb.582:
	s_wait_loadcnt 0x0
	global_load_b32 v4, v[14:15], off
	v_mov_b32_e32 v5, 0
	s_mov_b32 s1, 0
	s_branch .LBB63_585
.LBB63_583:
	s_mov_b32 s1, -1
                                        ; implicit-def: $vgpr4_vgpr5
	s_branch .LBB63_588
.LBB63_584:
	s_mov_b32 s1, -1
                                        ; implicit-def: $vgpr4_vgpr5
.LBB63_585:
	s_delay_alu instid0(SALU_CYCLE_1)
	s_and_not1_b32 vcc_lo, exec_lo, s1
	s_cbranch_vccnz .LBB63_587
; %bb.586:
	global_load_u16 v1, v[14:15], off
	s_mov_b32 s1, 0
	s_wait_loadcnt 0x1
	v_mov_b32_e32 v5, s1
	s_wait_loadcnt 0x0
	v_and_b32_e32 v4, 0xffff, v1
.LBB63_587:
	s_mov_b32 s1, 0
.LBB63_588:
	s_delay_alu instid0(SALU_CYCLE_1)
	s_and_not1_b32 vcc_lo, exec_lo, s1
	s_cbranch_vccnz .LBB63_594
; %bb.589:
	global_load_u8 v1, v[14:15], off
	s_mov_b32 s45, 0
	s_mov_b32 s1, exec_lo
	s_wait_loadcnt 0x0
	v_cmpx_lt_i16_e32 0x7f, v1
	s_xor_b32 s1, exec_lo, s1
	s_cbranch_execz .LBB63_606
; %bb.590:
	v_cmp_ne_u16_e32 vcc_lo, 0x80, v1
	s_and_b32 s45, vcc_lo, exec_lo
	s_and_not1_saveexec_b32 s1, s1
	s_cbranch_execnz .LBB63_607
.LBB63_591:
	s_or_b32 exec_lo, exec_lo, s1
	v_mov_b64_e32 v[4:5], 0
	s_and_saveexec_b32 s1, s45
	s_cbranch_execz .LBB63_593
.LBB63_592:
	v_and_b32_e32 v3, 0xffff, v1
	s_delay_alu instid0(VALU_DEP_1) | instskip(SKIP_1) | instid1(VALU_DEP_2)
	v_and_b32_e32 v4, 7, v3
	v_bfe_u32 v9, v3, 3, 4
	v_clz_i32_u32_e32 v5, v4
	s_delay_alu instid0(VALU_DEP_2) | instskip(NEXT) | instid1(VALU_DEP_2)
	v_cmp_eq_u32_e32 vcc_lo, 0, v9
	v_min_u32_e32 v5, 32, v5
	s_delay_alu instid0(VALU_DEP_1) | instskip(NEXT) | instid1(VALU_DEP_1)
	v_subrev_nc_u32_e32 v7, 28, v5
	v_dual_lshlrev_b32 v3, v7, v3 :: v_dual_sub_nc_u32 v5, 29, v5
	s_delay_alu instid0(VALU_DEP_1) | instskip(NEXT) | instid1(VALU_DEP_1)
	v_dual_lshlrev_b32 v1, 24, v1 :: v_dual_bitop2_b32 v3, 7, v3 bitop3:0x40
	v_dual_cndmask_b32 v3, v4, v3, vcc_lo :: v_dual_cndmask_b32 v5, v9, v5, vcc_lo
	s_delay_alu instid0(VALU_DEP_2) | instskip(NEXT) | instid1(VALU_DEP_2)
	v_and_b32_e32 v1, 0x80000000, v1
	v_lshlrev_b32_e32 v3, 20, v3
	s_delay_alu instid0(VALU_DEP_3) | instskip(NEXT) | instid1(VALU_DEP_1)
	v_lshl_add_u32 v4, v5, 23, 0x3b800000
	v_or3_b32 v1, v1, v4, v3
	s_delay_alu instid0(VALU_DEP_1) | instskip(NEXT) | instid1(VALU_DEP_1)
	v_trunc_f32_e32 v1, v1
	v_mul_f32_e64 v3, 0x2f800000, |v1|
	v_ashrrev_i32_e32 v4, 31, v1
	s_delay_alu instid0(VALU_DEP_2) | instskip(NEXT) | instid1(VALU_DEP_1)
	v_floor_f32_e32 v3, v3
	v_fma_f32 v5, 0xcf800000, v3, |v1|
	v_cvt_u32_f32_e32 v1, v3
	s_delay_alu instid0(VALU_DEP_2) | instskip(NEXT) | instid1(VALU_DEP_2)
	v_cvt_u32_f32_e32 v3, v5
	v_dual_mov_b32 v5, v4 :: v_dual_bitop2_b32 v17, v1, v4 bitop3:0x14
	s_delay_alu instid0(VALU_DEP_2) | instskip(NEXT) | instid1(VALU_DEP_1)
	v_xor_b32_e32 v16, v3, v4
	v_sub_nc_u64_e32 v[4:5], v[16:17], v[4:5]
.LBB63_593:
	s_or_b32 exec_lo, exec_lo, s1
.LBB63_594:
	s_mov_b32 s45, -1
.LBB63_595:
	s_mov_b32 s1, 0
.LBB63_596:
	s_delay_alu instid0(SALU_CYCLE_1)
	s_and_b32 vcc_lo, exec_lo, s1
	s_cbranch_vccz .LBB63_629
; %bb.597:
	s_cmp_gt_i32 s35, 22
	s_cbranch_scc0 .LBB63_605
; %bb.598:
	s_cmp_lt_i32 s35, 24
	s_cbranch_scc1 .LBB63_608
; %bb.599:
	s_cmp_gt_i32 s35, 24
	s_cbranch_scc0 .LBB63_609
; %bb.600:
	global_load_u8 v1, v[14:15], off
	s_mov_b32 s45, 0
	s_mov_b32 s1, exec_lo
	s_wait_loadcnt 0x0
	v_cmpx_lt_i16_e32 0x7f, v1
	s_xor_b32 s1, exec_lo, s1
	s_cbranch_execz .LBB63_621
; %bb.601:
	v_cmp_ne_u16_e32 vcc_lo, 0x80, v1
	s_and_b32 s45, vcc_lo, exec_lo
	s_and_not1_saveexec_b32 s1, s1
	s_cbranch_execnz .LBB63_622
.LBB63_602:
	s_or_b32 exec_lo, exec_lo, s1
	v_mov_b64_e32 v[4:5], 0
	s_and_saveexec_b32 s1, s45
	s_cbranch_execz .LBB63_604
.LBB63_603:
	v_and_b32_e32 v3, 0xffff, v1
	s_delay_alu instid0(VALU_DEP_1) | instskip(SKIP_1) | instid1(VALU_DEP_2)
	v_and_b32_e32 v4, 3, v3
	v_bfe_u32 v9, v3, 2, 5
	v_clz_i32_u32_e32 v5, v4
	s_delay_alu instid0(VALU_DEP_2) | instskip(NEXT) | instid1(VALU_DEP_2)
	v_cmp_eq_u32_e32 vcc_lo, 0, v9
	v_min_u32_e32 v5, 32, v5
	s_delay_alu instid0(VALU_DEP_1) | instskip(NEXT) | instid1(VALU_DEP_1)
	v_subrev_nc_u32_e32 v7, 29, v5
	v_dual_lshlrev_b32 v3, v7, v3 :: v_dual_sub_nc_u32 v5, 30, v5
	s_delay_alu instid0(VALU_DEP_1) | instskip(NEXT) | instid1(VALU_DEP_1)
	v_dual_lshlrev_b32 v1, 24, v1 :: v_dual_bitop2_b32 v3, 3, v3 bitop3:0x40
	v_dual_cndmask_b32 v3, v4, v3, vcc_lo :: v_dual_cndmask_b32 v5, v9, v5, vcc_lo
	s_delay_alu instid0(VALU_DEP_2) | instskip(NEXT) | instid1(VALU_DEP_2)
	v_and_b32_e32 v1, 0x80000000, v1
	v_lshlrev_b32_e32 v3, 21, v3
	s_delay_alu instid0(VALU_DEP_3) | instskip(NEXT) | instid1(VALU_DEP_1)
	v_lshl_add_u32 v4, v5, 23, 0x37800000
	v_or3_b32 v1, v1, v4, v3
	s_delay_alu instid0(VALU_DEP_1) | instskip(NEXT) | instid1(VALU_DEP_1)
	v_trunc_f32_e32 v1, v1
	v_mul_f32_e64 v3, 0x2f800000, |v1|
	v_ashrrev_i32_e32 v4, 31, v1
	s_delay_alu instid0(VALU_DEP_2) | instskip(NEXT) | instid1(VALU_DEP_1)
	v_floor_f32_e32 v3, v3
	v_fma_f32 v5, 0xcf800000, v3, |v1|
	v_cvt_u32_f32_e32 v1, v3
	s_delay_alu instid0(VALU_DEP_2) | instskip(NEXT) | instid1(VALU_DEP_2)
	v_cvt_u32_f32_e32 v3, v5
	v_dual_mov_b32 v5, v4 :: v_dual_bitop2_b32 v17, v1, v4 bitop3:0x14
	s_delay_alu instid0(VALU_DEP_2) | instskip(NEXT) | instid1(VALU_DEP_1)
	v_xor_b32_e32 v16, v3, v4
	v_sub_nc_u64_e32 v[4:5], v[16:17], v[4:5]
.LBB63_604:
	s_or_b32 exec_lo, exec_lo, s1
	s_mov_b32 s1, 0
	s_branch .LBB63_610
.LBB63_605:
	s_mov_b32 s1, -1
                                        ; implicit-def: $vgpr4_vgpr5
	s_branch .LBB63_616
.LBB63_606:
	s_and_not1_saveexec_b32 s1, s1
	s_cbranch_execz .LBB63_591
.LBB63_607:
	v_cmp_ne_u16_e32 vcc_lo, 0, v1
	s_and_not1_b32 s36, s45, exec_lo
	s_and_b32 s37, vcc_lo, exec_lo
	s_delay_alu instid0(SALU_CYCLE_1)
	s_or_b32 s45, s36, s37
	s_or_b32 exec_lo, exec_lo, s1
	v_mov_b64_e32 v[4:5], 0
	s_and_saveexec_b32 s1, s45
	s_cbranch_execnz .LBB63_592
	s_branch .LBB63_593
.LBB63_608:
	s_mov_b32 s1, -1
                                        ; implicit-def: $vgpr4_vgpr5
	s_branch .LBB63_613
.LBB63_609:
	s_mov_b32 s1, -1
                                        ; implicit-def: $vgpr4_vgpr5
.LBB63_610:
	s_delay_alu instid0(SALU_CYCLE_1)
	s_and_b32 vcc_lo, exec_lo, s1
	s_cbranch_vccz .LBB63_612
; %bb.611:
	global_load_u8 v1, v[14:15], off
	s_wait_loadcnt 0x0
	v_lshlrev_b32_e32 v1, 24, v1
	s_delay_alu instid0(VALU_DEP_1) | instskip(NEXT) | instid1(VALU_DEP_1)
	v_and_b32_e32 v3, 0x7f000000, v1
	v_clz_i32_u32_e32 v4, v3
	v_add_nc_u32_e32 v7, 0x1000000, v3
	v_cmp_ne_u32_e32 vcc_lo, 0, v3
	s_delay_alu instid0(VALU_DEP_3) | instskip(NEXT) | instid1(VALU_DEP_1)
	v_min_u32_e32 v4, 32, v4
	v_sub_nc_u32_e64 v4, v4, 4 clamp
	s_delay_alu instid0(VALU_DEP_1) | instskip(NEXT) | instid1(VALU_DEP_1)
	v_dual_lshlrev_b32 v5, v4, v3 :: v_dual_lshlrev_b32 v4, 23, v4
	v_lshrrev_b32_e32 v5, 4, v5
	s_delay_alu instid0(VALU_DEP_1) | instskip(NEXT) | instid1(VALU_DEP_1)
	v_dual_sub_nc_u32 v4, v5, v4 :: v_dual_ashrrev_i32 v5, 8, v7
	v_add_nc_u32_e32 v4, 0x3c000000, v4
	s_delay_alu instid0(VALU_DEP_1) | instskip(NEXT) | instid1(VALU_DEP_1)
	v_and_or_b32 v4, 0x7f800000, v5, v4
	v_cndmask_b32_e32 v3, 0, v4, vcc_lo
	s_delay_alu instid0(VALU_DEP_1) | instskip(NEXT) | instid1(VALU_DEP_1)
	v_and_or_b32 v1, 0x80000000, v1, v3
	v_trunc_f32_e32 v1, v1
	s_delay_alu instid0(VALU_DEP_1) | instskip(SKIP_1) | instid1(VALU_DEP_2)
	v_mul_f32_e64 v3, 0x2f800000, |v1|
	v_ashrrev_i32_e32 v4, 31, v1
	v_floor_f32_e32 v3, v3
	s_delay_alu instid0(VALU_DEP_1) | instskip(SKIP_1) | instid1(VALU_DEP_2)
	v_fma_f32 v5, 0xcf800000, v3, |v1|
	v_cvt_u32_f32_e32 v1, v3
	v_cvt_u32_f32_e32 v3, v5
	s_delay_alu instid0(VALU_DEP_2) | instskip(NEXT) | instid1(VALU_DEP_2)
	v_dual_mov_b32 v5, v4 :: v_dual_bitop2_b32 v17, v1, v4 bitop3:0x14
	v_xor_b32_e32 v16, v3, v4
	s_delay_alu instid0(VALU_DEP_1)
	v_sub_nc_u64_e32 v[4:5], v[16:17], v[4:5]
.LBB63_612:
	s_mov_b32 s1, 0
.LBB63_613:
	s_delay_alu instid0(SALU_CYCLE_1)
	s_and_not1_b32 vcc_lo, exec_lo, s1
	s_cbranch_vccnz .LBB63_615
; %bb.614:
	global_load_u8 v1, v[14:15], off
	s_wait_loadcnt 0x0
	v_lshlrev_b32_e32 v3, 25, v1
	v_lshlrev_b16 v1, 8, v1
	s_delay_alu instid0(VALU_DEP_1) | instskip(NEXT) | instid1(VALU_DEP_3)
	v_and_or_b32 v5, 0x7f00, v1, 0.5
	v_lshrrev_b32_e32 v4, 4, v3
	v_bfe_i32 v1, v1, 0, 16
	s_delay_alu instid0(VALU_DEP_3) | instskip(NEXT) | instid1(VALU_DEP_3)
	v_add_f32_e32 v5, -0.5, v5
	v_or_b32_e32 v4, 0x70000000, v4
	s_delay_alu instid0(VALU_DEP_1) | instskip(SKIP_1) | instid1(VALU_DEP_2)
	v_mul_f32_e32 v4, 0x7800000, v4
	v_cmp_gt_u32_e32 vcc_lo, 0x8000000, v3
	v_cndmask_b32_e32 v3, v4, v5, vcc_lo
	s_delay_alu instid0(VALU_DEP_1) | instskip(NEXT) | instid1(VALU_DEP_1)
	v_and_or_b32 v1, 0x80000000, v1, v3
	v_trunc_f32_e32 v1, v1
	s_delay_alu instid0(VALU_DEP_1) | instskip(SKIP_1) | instid1(VALU_DEP_2)
	v_mul_f32_e64 v3, 0x2f800000, |v1|
	v_ashrrev_i32_e32 v4, 31, v1
	v_floor_f32_e32 v3, v3
	s_delay_alu instid0(VALU_DEP_1) | instskip(SKIP_1) | instid1(VALU_DEP_2)
	v_fma_f32 v5, 0xcf800000, v3, |v1|
	v_cvt_u32_f32_e32 v1, v3
	v_cvt_u32_f32_e32 v3, v5
	s_delay_alu instid0(VALU_DEP_2) | instskip(NEXT) | instid1(VALU_DEP_2)
	v_dual_mov_b32 v5, v4 :: v_dual_bitop2_b32 v17, v1, v4 bitop3:0x14
	v_xor_b32_e32 v16, v3, v4
	s_delay_alu instid0(VALU_DEP_1)
	v_sub_nc_u64_e32 v[4:5], v[16:17], v[4:5]
.LBB63_615:
	s_mov_b32 s1, 0
	s_mov_b32 s45, -1
.LBB63_616:
	s_and_not1_b32 vcc_lo, exec_lo, s1
	s_cbranch_vccnz .LBB63_629
; %bb.617:
	s_cmp_gt_i32 s35, 14
	s_cbranch_scc0 .LBB63_620
; %bb.618:
	s_cmp_eq_u32 s35, 15
	s_cbranch_scc0 .LBB63_623
; %bb.619:
	global_load_u16 v1, v[14:15], off
	s_mov_b32 s45, -1
	s_mov_b32 s44, 0
	s_wait_loadcnt 0x0
	v_lshlrev_b32_e32 v1, 16, v1
	s_delay_alu instid0(VALU_DEP_1) | instskip(NEXT) | instid1(VALU_DEP_1)
	v_trunc_f32_e32 v1, v1
	v_mul_f32_e64 v3, 0x2f800000, |v1|
	v_ashrrev_i32_e32 v4, 31, v1
	s_delay_alu instid0(VALU_DEP_2) | instskip(NEXT) | instid1(VALU_DEP_1)
	v_floor_f32_e32 v3, v3
	v_fma_f32 v5, 0xcf800000, v3, |v1|
	v_cvt_u32_f32_e32 v1, v3
	s_delay_alu instid0(VALU_DEP_2) | instskip(NEXT) | instid1(VALU_DEP_2)
	v_cvt_u32_f32_e32 v3, v5
	v_dual_mov_b32 v5, v4 :: v_dual_bitop2_b32 v17, v1, v4 bitop3:0x14
	s_delay_alu instid0(VALU_DEP_2) | instskip(NEXT) | instid1(VALU_DEP_1)
	v_xor_b32_e32 v16, v3, v4
	v_sub_nc_u64_e32 v[4:5], v[16:17], v[4:5]
	s_branch .LBB63_624
.LBB63_620:
	s_mov_b32 s1, -1
                                        ; implicit-def: $vgpr4_vgpr5
	s_branch .LBB63_625
.LBB63_621:
	s_and_not1_saveexec_b32 s1, s1
	s_cbranch_execz .LBB63_602
.LBB63_622:
	v_cmp_ne_u16_e32 vcc_lo, 0, v1
	s_and_not1_b32 s36, s45, exec_lo
	s_and_b32 s37, vcc_lo, exec_lo
	s_delay_alu instid0(SALU_CYCLE_1)
	s_or_b32 s45, s36, s37
	s_or_b32 exec_lo, exec_lo, s1
	v_mov_b64_e32 v[4:5], 0
	s_and_saveexec_b32 s1, s45
	s_cbranch_execnz .LBB63_603
	s_branch .LBB63_604
.LBB63_623:
	s_mov_b32 s44, -1
                                        ; implicit-def: $vgpr4_vgpr5
.LBB63_624:
	s_mov_b32 s1, 0
.LBB63_625:
	s_delay_alu instid0(SALU_CYCLE_1)
	s_and_b32 vcc_lo, exec_lo, s1
	s_cbranch_vccz .LBB63_629
; %bb.626:
	s_cmp_eq_u32 s35, 11
	s_cbranch_scc0 .LBB63_628
; %bb.627:
	global_load_u8 v1, v[14:15], off
	s_mov_b32 s44, 0
	s_mov_b32 s45, -1
	s_wait_loadcnt 0x1
	v_mov_b32_e32 v5, s44
	s_wait_loadcnt 0x0
	v_cmp_ne_u16_e32 vcc_lo, 0, v1
	v_cndmask_b32_e64 v4, 0, 1, vcc_lo
	s_branch .LBB63_629
.LBB63_628:
	s_mov_b32 s44, -1
                                        ; implicit-def: $vgpr4_vgpr5
.LBB63_629:
	s_branch .LBB63_547
.LBB63_630:
	s_and_b32 s0, 0xffff, s0
	s_delay_alu instid0(SALU_CYCLE_1)
	s_cmp_lt_i32 s0, 5
	s_cbranch_scc1 .LBB63_635
; %bb.631:
	s_cmp_lt_i32 s0, 8
	s_cbranch_scc1 .LBB63_636
; %bb.632:
	;; [unrolled: 3-line block ×3, first 2 shown]
	s_cmp_gt_i32 s0, 9
	s_cbranch_scc0 .LBB63_638
; %bb.634:
	s_wait_loadcnt 0x0
	global_load_b64 v[4:5], v[14:15], off
	s_mov_b32 s1, 0
	s_wait_loadcnt 0x0
	v_trunc_f64_e32 v[4:5], v[4:5]
	s_delay_alu instid0(VALU_DEP_1) | instskip(NEXT) | instid1(VALU_DEP_1)
	v_ldexp_f64 v[16:17], v[4:5], 0xffffffe0
	v_floor_f64_e32 v[16:17], v[16:17]
	s_delay_alu instid0(VALU_DEP_1) | instskip(SKIP_1) | instid1(VALU_DEP_2)
	v_fmamk_f64 v[18:19], v[16:17], 0xc1f00000, v[4:5]
	v_cvt_i32_f64_e32 v5, v[16:17]
	v_cvt_u32_f64_e32 v4, v[18:19]
	s_branch .LBB63_639
.LBB63_635:
	s_mov_b32 s1, -1
                                        ; implicit-def: $vgpr4_vgpr5
	s_branch .LBB63_657
.LBB63_636:
	s_mov_b32 s1, -1
                                        ; implicit-def: $vgpr4_vgpr5
	s_branch .LBB63_645
.LBB63_637:
	s_mov_b32 s1, -1
                                        ; implicit-def: $vgpr4_vgpr5
	s_branch .LBB63_642
.LBB63_638:
	s_mov_b32 s1, -1
                                        ; implicit-def: $vgpr4_vgpr5
.LBB63_639:
	s_delay_alu instid0(SALU_CYCLE_1)
	s_and_not1_b32 vcc_lo, exec_lo, s1
	s_cbranch_vccnz .LBB63_641
; %bb.640:
	global_load_b32 v1, v[14:15], off
	s_wait_loadcnt 0x0
	v_trunc_f32_e32 v1, v1
	s_delay_alu instid0(VALU_DEP_1) | instskip(SKIP_1) | instid1(VALU_DEP_2)
	v_mul_f32_e64 v3, 0x2f800000, |v1|
	v_ashrrev_i32_e32 v4, 31, v1
	v_floor_f32_e32 v3, v3
	s_delay_alu instid0(VALU_DEP_1) | instskip(SKIP_1) | instid1(VALU_DEP_2)
	v_fma_f32 v5, 0xcf800000, v3, |v1|
	v_cvt_u32_f32_e32 v1, v3
	v_cvt_u32_f32_e32 v3, v5
	s_delay_alu instid0(VALU_DEP_2) | instskip(NEXT) | instid1(VALU_DEP_2)
	v_dual_mov_b32 v5, v4 :: v_dual_bitop2_b32 v17, v1, v4 bitop3:0x14
	v_xor_b32_e32 v16, v3, v4
	s_delay_alu instid0(VALU_DEP_1)
	v_sub_nc_u64_e32 v[4:5], v[16:17], v[4:5]
.LBB63_641:
	s_mov_b32 s1, 0
.LBB63_642:
	s_delay_alu instid0(SALU_CYCLE_1)
	s_and_not1_b32 vcc_lo, exec_lo, s1
	s_cbranch_vccnz .LBB63_644
; %bb.643:
	global_load_b32 v1, v[14:15], off
	s_wait_loadcnt 0x0
	v_cvt_f32_f16_e32 v1, v1
	s_delay_alu instid0(VALU_DEP_1) | instskip(NEXT) | instid1(VALU_DEP_1)
	v_cvt_i32_f32_e32 v4, v1
	v_ashrrev_i32_e32 v5, 31, v4
.LBB63_644:
	s_mov_b32 s1, 0
.LBB63_645:
	s_delay_alu instid0(SALU_CYCLE_1)
	s_and_not1_b32 vcc_lo, exec_lo, s1
	s_cbranch_vccnz .LBB63_656
; %bb.646:
	s_cmp_lt_i32 s0, 6
	s_cbranch_scc1 .LBB63_649
; %bb.647:
	s_cmp_gt_i32 s0, 6
	s_cbranch_scc0 .LBB63_650
; %bb.648:
	s_wait_loadcnt 0x0
	global_load_b64 v[4:5], v[14:15], off
	s_mov_b32 s1, 0
	s_wait_loadcnt 0x0
	v_trunc_f64_e32 v[4:5], v[4:5]
	s_delay_alu instid0(VALU_DEP_1) | instskip(NEXT) | instid1(VALU_DEP_1)
	v_ldexp_f64 v[16:17], v[4:5], 0xffffffe0
	v_floor_f64_e32 v[16:17], v[16:17]
	s_delay_alu instid0(VALU_DEP_1) | instskip(SKIP_1) | instid1(VALU_DEP_2)
	v_fmamk_f64 v[18:19], v[16:17], 0xc1f00000, v[4:5]
	v_cvt_i32_f64_e32 v5, v[16:17]
	v_cvt_u32_f64_e32 v4, v[18:19]
	s_branch .LBB63_651
.LBB63_649:
	s_mov_b32 s1, -1
                                        ; implicit-def: $vgpr4_vgpr5
	s_branch .LBB63_654
.LBB63_650:
	s_mov_b32 s1, -1
                                        ; implicit-def: $vgpr4_vgpr5
.LBB63_651:
	s_delay_alu instid0(SALU_CYCLE_1)
	s_and_not1_b32 vcc_lo, exec_lo, s1
	s_cbranch_vccnz .LBB63_653
; %bb.652:
	global_load_b32 v1, v[14:15], off
	s_wait_loadcnt 0x0
	v_trunc_f32_e32 v1, v1
	s_delay_alu instid0(VALU_DEP_1) | instskip(SKIP_1) | instid1(VALU_DEP_2)
	v_mul_f32_e64 v3, 0x2f800000, |v1|
	v_ashrrev_i32_e32 v4, 31, v1
	v_floor_f32_e32 v3, v3
	s_delay_alu instid0(VALU_DEP_1) | instskip(SKIP_1) | instid1(VALU_DEP_2)
	v_fma_f32 v5, 0xcf800000, v3, |v1|
	v_cvt_u32_f32_e32 v1, v3
	v_cvt_u32_f32_e32 v3, v5
	s_delay_alu instid0(VALU_DEP_2) | instskip(NEXT) | instid1(VALU_DEP_2)
	v_dual_mov_b32 v5, v4 :: v_dual_bitop2_b32 v17, v1, v4 bitop3:0x14
	v_xor_b32_e32 v16, v3, v4
	s_delay_alu instid0(VALU_DEP_1)
	v_sub_nc_u64_e32 v[4:5], v[16:17], v[4:5]
.LBB63_653:
	s_mov_b32 s1, 0
.LBB63_654:
	s_delay_alu instid0(SALU_CYCLE_1)
	s_and_not1_b32 vcc_lo, exec_lo, s1
	s_cbranch_vccnz .LBB63_656
; %bb.655:
	global_load_u16 v1, v[14:15], off
	s_wait_loadcnt 0x0
	v_cvt_f32_f16_e32 v1, v1
	s_delay_alu instid0(VALU_DEP_1) | instskip(NEXT) | instid1(VALU_DEP_1)
	v_cvt_i32_f32_e32 v4, v1
	v_ashrrev_i32_e32 v5, 31, v4
.LBB63_656:
	s_mov_b32 s1, 0
.LBB63_657:
	s_delay_alu instid0(SALU_CYCLE_1)
	s_and_not1_b32 vcc_lo, exec_lo, s1
	s_cbranch_vccnz .LBB63_677
; %bb.658:
	s_cmp_lt_i32 s0, 2
	s_cbranch_scc1 .LBB63_662
; %bb.659:
	s_cmp_lt_i32 s0, 3
	s_cbranch_scc1 .LBB63_663
; %bb.660:
	s_cmp_gt_i32 s0, 3
	s_cbranch_scc0 .LBB63_664
; %bb.661:
	s_wait_loadcnt 0x0
	global_load_b64 v[4:5], v[14:15], off
	s_mov_b32 s1, 0
	s_branch .LBB63_665
.LBB63_662:
	s_mov_b32 s1, -1
                                        ; implicit-def: $vgpr4_vgpr5
	s_branch .LBB63_671
.LBB63_663:
	s_mov_b32 s1, -1
                                        ; implicit-def: $vgpr4_vgpr5
	s_branch .LBB63_668
.LBB63_664:
	s_mov_b32 s1, -1
                                        ; implicit-def: $vgpr4_vgpr5
.LBB63_665:
	s_delay_alu instid0(SALU_CYCLE_1)
	s_and_not1_b32 vcc_lo, exec_lo, s1
	s_cbranch_vccnz .LBB63_667
; %bb.666:
	s_wait_loadcnt 0x0
	global_load_b32 v4, v[14:15], off
	s_wait_loadcnt 0x0
	v_ashrrev_i32_e32 v5, 31, v4
.LBB63_667:
	s_mov_b32 s1, 0
.LBB63_668:
	s_delay_alu instid0(SALU_CYCLE_1)
	s_and_not1_b32 vcc_lo, exec_lo, s1
	s_cbranch_vccnz .LBB63_670
; %bb.669:
	global_load_u16 v1, v[14:15], off
	s_wait_loadcnt 0x0
	v_bfe_i32 v4, v1, 0, 16
	s_delay_alu instid0(VALU_DEP_1)
	v_ashrrev_i32_e32 v5, 31, v4
.LBB63_670:
	s_mov_b32 s1, 0
.LBB63_671:
	s_delay_alu instid0(SALU_CYCLE_1)
	s_and_not1_b32 vcc_lo, exec_lo, s1
	s_cbranch_vccnz .LBB63_677
; %bb.672:
	s_cmp_gt_i32 s0, 0
	s_mov_b32 s0, 0
	s_cbranch_scc0 .LBB63_674
; %bb.673:
	global_load_i8 v1, v[14:15], off
	s_wait_loadcnt 0x0
	v_bfe_i32 v4, v1, 0, 16
	s_delay_alu instid0(VALU_DEP_1)
	v_ashrrev_i32_e32 v5, 31, v4
	s_branch .LBB63_675
.LBB63_674:
	s_mov_b32 s0, -1
                                        ; implicit-def: $vgpr4_vgpr5
.LBB63_675:
	s_delay_alu instid0(SALU_CYCLE_1)
	s_and_not1_b32 vcc_lo, exec_lo, s0
	s_cbranch_vccnz .LBB63_677
; %bb.676:
	global_load_u8 v1, v[14:15], off
	s_mov_b32 s0, 0
	s_wait_loadcnt 0x1
	v_mov_b32_e32 v5, s0
	s_wait_loadcnt 0x0
	v_and_b32_e32 v4, 0xffff, v1
.LBB63_677:
	s_branch .LBB63_548
.LBB63_678:
	s_mov_b32 s0, 0
	s_mov_b32 s1, s70
	;; [unrolled: 1-line block ×10, first 2 shown]
.LBB63_679:
	s_mov_b64 s[14:15], s[78:79]
	s_mov_b32 s12, s76
	s_branch .LBB63_802
.LBB63_680:
	s_mov_b32 s1, -1
	s_mov_b32 s88, 0
	s_mov_b32 s58, 0
                                        ; implicit-def: $vgpr14_vgpr15
	s_branch .LBB63_2734
.LBB63_681:
	s_mov_b32 s45, -1
	s_mov_b32 s46, 0
.LBB63_682:
                                        ; implicit-def: $vgpr8_vgpr9
.LBB63_683:
	s_and_b32 vcc_lo, exec_lo, s1
	s_cbranch_vccz .LBB63_687
; %bb.684:
	s_cmp_eq_u32 s35, 44
	s_cbranch_scc0 .LBB63_686
; %bb.685:
	global_load_u8 v1, v[14:15], off
	s_mov_b32 s45, 0
	s_mov_b32 s46, -1
	s_wait_loadcnt 0x0
	v_lshlrev_b32_e32 v3, 23, v1
	v_cmp_ne_u32_e32 vcc_lo, 0, v1
	s_delay_alu instid0(VALU_DEP_2) | instskip(NEXT) | instid1(VALU_DEP_1)
	v_trunc_f32_e32 v3, v3
	v_mul_f32_e64 v7, 0x2f800000, |v3|
	v_ashrrev_i32_e32 v8, 31, v3
	s_delay_alu instid0(VALU_DEP_2) | instskip(NEXT) | instid1(VALU_DEP_1)
	v_floor_f32_e32 v7, v7
	v_fma_f32 v9, 0xcf800000, v7, |v3|
	v_cvt_u32_f32_e32 v3, v7
	s_delay_alu instid0(VALU_DEP_2) | instskip(NEXT) | instid1(VALU_DEP_2)
	v_cvt_u32_f32_e32 v7, v9
	v_dual_mov_b32 v9, v8 :: v_dual_bitop2_b32 v17, v3, v8 bitop3:0x14
	s_delay_alu instid0(VALU_DEP_2) | instskip(NEXT) | instid1(VALU_DEP_1)
	v_xor_b32_e32 v16, v7, v8
	v_sub_nc_u64_e32 v[8:9], v[16:17], v[8:9]
	s_delay_alu instid0(VALU_DEP_1)
	v_dual_cndmask_b32 v9, 0, v9 :: v_dual_cndmask_b32 v8, 0, v8
	s_branch .LBB63_687
.LBB63_686:
	s_mov_b32 s45, -1
                                        ; implicit-def: $vgpr8_vgpr9
.LBB63_687:
	s_mov_b32 s1, 0
.LBB63_688:
	s_delay_alu instid0(SALU_CYCLE_1)
	s_and_b32 vcc_lo, exec_lo, s1
	s_cbranch_vccz .LBB63_692
; %bb.689:
	s_cmp_eq_u32 s35, 29
	s_cbranch_scc0 .LBB63_691
; %bb.690:
	global_load_b64 v[8:9], v[14:15], off
	s_mov_b32 s46, -1
	s_mov_b32 s45, 0
	s_branch .LBB63_692
.LBB63_691:
	s_mov_b32 s45, -1
                                        ; implicit-def: $vgpr8_vgpr9
.LBB63_692:
	s_mov_b32 s1, 0
.LBB63_693:
	s_delay_alu instid0(SALU_CYCLE_1)
	s_and_b32 vcc_lo, exec_lo, s1
	s_cbranch_vccz .LBB63_709
; %bb.694:
	s_cmp_lt_i32 s35, 27
	s_cbranch_scc1 .LBB63_697
; %bb.695:
	s_cmp_gt_i32 s35, 27
	s_cbranch_scc0 .LBB63_698
; %bb.696:
	s_wait_loadcnt 0x0
	global_load_b32 v8, v[14:15], off
	v_mov_b32_e32 v9, 0
	s_mov_b32 s1, 0
	s_branch .LBB63_699
.LBB63_697:
	s_mov_b32 s1, -1
                                        ; implicit-def: $vgpr8_vgpr9
	s_branch .LBB63_702
.LBB63_698:
	s_mov_b32 s1, -1
                                        ; implicit-def: $vgpr8_vgpr9
.LBB63_699:
	s_delay_alu instid0(SALU_CYCLE_1)
	s_and_not1_b32 vcc_lo, exec_lo, s1
	s_cbranch_vccnz .LBB63_701
; %bb.700:
	global_load_u16 v1, v[14:15], off
	s_mov_b32 s1, 0
	s_wait_loadcnt 0x1
	v_mov_b32_e32 v9, s1
	s_wait_loadcnt 0x0
	v_and_b32_e32 v8, 0xffff, v1
.LBB63_701:
	s_mov_b32 s1, 0
.LBB63_702:
	s_delay_alu instid0(SALU_CYCLE_1)
	s_and_not1_b32 vcc_lo, exec_lo, s1
	s_cbranch_vccnz .LBB63_708
; %bb.703:
	global_load_u8 v1, v[14:15], off
	s_mov_b32 s46, 0
	s_mov_b32 s1, exec_lo
	s_wait_loadcnt 0x0
	v_cmpx_lt_i16_e32 0x7f, v1
	s_xor_b32 s1, exec_lo, s1
	s_cbranch_execz .LBB63_720
; %bb.704:
	v_cmp_ne_u16_e32 vcc_lo, 0x80, v1
	s_and_b32 s46, vcc_lo, exec_lo
	s_and_not1_saveexec_b32 s1, s1
	s_cbranch_execnz .LBB63_721
.LBB63_705:
	s_or_b32 exec_lo, exec_lo, s1
	v_mov_b64_e32 v[8:9], 0
	s_and_saveexec_b32 s1, s46
	s_cbranch_execz .LBB63_707
.LBB63_706:
	v_and_b32_e32 v3, 0xffff, v1
	s_delay_alu instid0(VALU_DEP_1) | instskip(SKIP_1) | instid1(VALU_DEP_2)
	v_and_b32_e32 v7, 7, v3
	v_bfe_u32 v11, v3, 3, 4
	v_clz_i32_u32_e32 v8, v7
	s_delay_alu instid0(VALU_DEP_2) | instskip(NEXT) | instid1(VALU_DEP_2)
	v_cmp_eq_u32_e32 vcc_lo, 0, v11
	v_min_u32_e32 v8, 32, v8
	s_delay_alu instid0(VALU_DEP_1) | instskip(NEXT) | instid1(VALU_DEP_1)
	v_subrev_nc_u32_e32 v9, 28, v8
	v_dual_lshlrev_b32 v3, v9, v3 :: v_dual_sub_nc_u32 v8, 29, v8
	s_delay_alu instid0(VALU_DEP_1) | instskip(NEXT) | instid1(VALU_DEP_2)
	v_dual_lshlrev_b32 v1, 24, v1 :: v_dual_bitop2_b32 v3, 7, v3 bitop3:0x40
	v_cndmask_b32_e32 v8, v11, v8, vcc_lo
	s_delay_alu instid0(VALU_DEP_2) | instskip(NEXT) | instid1(VALU_DEP_3)
	v_cndmask_b32_e32 v3, v7, v3, vcc_lo
	v_and_b32_e32 v1, 0x80000000, v1
	s_delay_alu instid0(VALU_DEP_3) | instskip(NEXT) | instid1(VALU_DEP_3)
	v_lshl_add_u32 v7, v8, 23, 0x3b800000
	v_lshlrev_b32_e32 v3, 20, v3
	s_delay_alu instid0(VALU_DEP_1) | instskip(NEXT) | instid1(VALU_DEP_1)
	v_or3_b32 v1, v1, v7, v3
	v_trunc_f32_e32 v1, v1
	s_delay_alu instid0(VALU_DEP_1) | instskip(SKIP_1) | instid1(VALU_DEP_2)
	v_mul_f32_e64 v3, 0x2f800000, |v1|
	v_ashrrev_i32_e32 v8, 31, v1
	v_floor_f32_e32 v3, v3
	s_delay_alu instid0(VALU_DEP_2) | instskip(NEXT) | instid1(VALU_DEP_2)
	v_mov_b32_e32 v9, v8
	v_fma_f32 v7, 0xcf800000, v3, |v1|
	v_cvt_u32_f32_e32 v1, v3
	s_delay_alu instid0(VALU_DEP_2) | instskip(NEXT) | instid1(VALU_DEP_2)
	v_cvt_u32_f32_e32 v3, v7
	v_xor_b32_e32 v17, v1, v8
	s_delay_alu instid0(VALU_DEP_2) | instskip(NEXT) | instid1(VALU_DEP_1)
	v_xor_b32_e32 v16, v3, v8
	v_sub_nc_u64_e32 v[8:9], v[16:17], v[8:9]
.LBB63_707:
	s_or_b32 exec_lo, exec_lo, s1
.LBB63_708:
	s_mov_b32 s46, -1
.LBB63_709:
	s_mov_b32 s1, 0
.LBB63_710:
	s_delay_alu instid0(SALU_CYCLE_1)
	s_and_b32 vcc_lo, exec_lo, s1
	s_cbranch_vccz .LBB63_743
; %bb.711:
	s_cmp_gt_i32 s35, 22
	s_cbranch_scc0 .LBB63_719
; %bb.712:
	s_cmp_lt_i32 s35, 24
	s_cbranch_scc1 .LBB63_722
; %bb.713:
	s_cmp_gt_i32 s35, 24
	s_cbranch_scc0 .LBB63_723
; %bb.714:
	global_load_u8 v1, v[14:15], off
	s_mov_b32 s46, 0
	s_mov_b32 s1, exec_lo
	s_wait_loadcnt 0x0
	v_cmpx_lt_i16_e32 0x7f, v1
	s_xor_b32 s1, exec_lo, s1
	s_cbranch_execz .LBB63_735
; %bb.715:
	v_cmp_ne_u16_e32 vcc_lo, 0x80, v1
	s_and_b32 s46, vcc_lo, exec_lo
	s_and_not1_saveexec_b32 s1, s1
	s_cbranch_execnz .LBB63_736
.LBB63_716:
	s_or_b32 exec_lo, exec_lo, s1
	v_mov_b64_e32 v[8:9], 0
	s_and_saveexec_b32 s1, s46
	s_cbranch_execz .LBB63_718
.LBB63_717:
	v_and_b32_e32 v3, 0xffff, v1
	s_delay_alu instid0(VALU_DEP_1) | instskip(SKIP_1) | instid1(VALU_DEP_2)
	v_and_b32_e32 v7, 3, v3
	v_bfe_u32 v11, v3, 2, 5
	v_clz_i32_u32_e32 v8, v7
	s_delay_alu instid0(VALU_DEP_2) | instskip(NEXT) | instid1(VALU_DEP_2)
	v_cmp_eq_u32_e32 vcc_lo, 0, v11
	v_min_u32_e32 v8, 32, v8
	s_delay_alu instid0(VALU_DEP_1) | instskip(NEXT) | instid1(VALU_DEP_1)
	v_subrev_nc_u32_e32 v9, 29, v8
	v_dual_lshlrev_b32 v3, v9, v3 :: v_dual_sub_nc_u32 v8, 30, v8
	s_delay_alu instid0(VALU_DEP_1) | instskip(NEXT) | instid1(VALU_DEP_2)
	v_dual_lshlrev_b32 v1, 24, v1 :: v_dual_bitop2_b32 v3, 3, v3 bitop3:0x40
	v_cndmask_b32_e32 v8, v11, v8, vcc_lo
	s_delay_alu instid0(VALU_DEP_2) | instskip(NEXT) | instid1(VALU_DEP_3)
	v_cndmask_b32_e32 v3, v7, v3, vcc_lo
	v_and_b32_e32 v1, 0x80000000, v1
	s_delay_alu instid0(VALU_DEP_3) | instskip(NEXT) | instid1(VALU_DEP_3)
	v_lshl_add_u32 v7, v8, 23, 0x37800000
	v_lshlrev_b32_e32 v3, 21, v3
	s_delay_alu instid0(VALU_DEP_1) | instskip(NEXT) | instid1(VALU_DEP_1)
	v_or3_b32 v1, v1, v7, v3
	v_trunc_f32_e32 v1, v1
	s_delay_alu instid0(VALU_DEP_1) | instskip(SKIP_1) | instid1(VALU_DEP_2)
	v_mul_f32_e64 v3, 0x2f800000, |v1|
	v_ashrrev_i32_e32 v8, 31, v1
	v_floor_f32_e32 v3, v3
	s_delay_alu instid0(VALU_DEP_2) | instskip(NEXT) | instid1(VALU_DEP_2)
	v_mov_b32_e32 v9, v8
	v_fma_f32 v7, 0xcf800000, v3, |v1|
	v_cvt_u32_f32_e32 v1, v3
	s_delay_alu instid0(VALU_DEP_2) | instskip(NEXT) | instid1(VALU_DEP_2)
	v_cvt_u32_f32_e32 v3, v7
	v_xor_b32_e32 v17, v1, v8
	s_delay_alu instid0(VALU_DEP_2) | instskip(NEXT) | instid1(VALU_DEP_1)
	v_xor_b32_e32 v16, v3, v8
	v_sub_nc_u64_e32 v[8:9], v[16:17], v[8:9]
.LBB63_718:
	s_or_b32 exec_lo, exec_lo, s1
	s_mov_b32 s1, 0
	s_branch .LBB63_724
.LBB63_719:
	s_mov_b32 s1, -1
                                        ; implicit-def: $vgpr8_vgpr9
	s_branch .LBB63_730
.LBB63_720:
	s_and_not1_saveexec_b32 s1, s1
	s_cbranch_execz .LBB63_705
.LBB63_721:
	v_cmp_ne_u16_e32 vcc_lo, 0, v1
	s_and_not1_b32 s36, s46, exec_lo
	s_and_b32 s37, vcc_lo, exec_lo
	s_delay_alu instid0(SALU_CYCLE_1)
	s_or_b32 s46, s36, s37
	s_or_b32 exec_lo, exec_lo, s1
	v_mov_b64_e32 v[8:9], 0
	s_and_saveexec_b32 s1, s46
	s_cbranch_execnz .LBB63_706
	s_branch .LBB63_707
.LBB63_722:
	s_mov_b32 s1, -1
                                        ; implicit-def: $vgpr8_vgpr9
	s_branch .LBB63_727
.LBB63_723:
	s_mov_b32 s1, -1
                                        ; implicit-def: $vgpr8_vgpr9
.LBB63_724:
	s_delay_alu instid0(SALU_CYCLE_1)
	s_and_b32 vcc_lo, exec_lo, s1
	s_cbranch_vccz .LBB63_726
; %bb.725:
	global_load_u8 v1, v[14:15], off
	s_wait_loadcnt 0x0
	v_lshlrev_b32_e32 v1, 24, v1
	s_delay_alu instid0(VALU_DEP_1) | instskip(NEXT) | instid1(VALU_DEP_1)
	v_and_b32_e32 v3, 0x7f000000, v1
	v_clz_i32_u32_e32 v7, v3
	v_add_nc_u32_e32 v9, 0x1000000, v3
	v_cmp_ne_u32_e32 vcc_lo, 0, v3
	s_delay_alu instid0(VALU_DEP_3) | instskip(NEXT) | instid1(VALU_DEP_1)
	v_min_u32_e32 v7, 32, v7
	v_sub_nc_u32_e64 v7, v7, 4 clamp
	s_delay_alu instid0(VALU_DEP_1) | instskip(NEXT) | instid1(VALU_DEP_1)
	v_lshlrev_b32_e32 v8, v7, v3
	v_dual_lshlrev_b32 v7, 23, v7 :: v_dual_lshrrev_b32 v8, 4, v8
	s_delay_alu instid0(VALU_DEP_1) | instskip(NEXT) | instid1(VALU_DEP_1)
	v_dual_sub_nc_u32 v7, v8, v7 :: v_dual_ashrrev_i32 v8, 8, v9
	v_add_nc_u32_e32 v7, 0x3c000000, v7
	s_delay_alu instid0(VALU_DEP_1) | instskip(NEXT) | instid1(VALU_DEP_1)
	v_and_or_b32 v7, 0x7f800000, v8, v7
	v_cndmask_b32_e32 v3, 0, v7, vcc_lo
	s_delay_alu instid0(VALU_DEP_1) | instskip(NEXT) | instid1(VALU_DEP_1)
	v_and_or_b32 v1, 0x80000000, v1, v3
	v_trunc_f32_e32 v1, v1
	s_delay_alu instid0(VALU_DEP_1) | instskip(SKIP_1) | instid1(VALU_DEP_2)
	v_mul_f32_e64 v3, 0x2f800000, |v1|
	v_ashrrev_i32_e32 v8, 31, v1
	v_floor_f32_e32 v3, v3
	s_delay_alu instid0(VALU_DEP_1) | instskip(SKIP_1) | instid1(VALU_DEP_4)
	v_fma_f32 v7, 0xcf800000, v3, |v1|
	v_cvt_u32_f32_e32 v1, v3
	v_mov_b32_e32 v9, v8
	s_delay_alu instid0(VALU_DEP_3) | instskip(NEXT) | instid1(VALU_DEP_3)
	v_cvt_u32_f32_e32 v3, v7
	v_xor_b32_e32 v17, v1, v8
	s_delay_alu instid0(VALU_DEP_2) | instskip(NEXT) | instid1(VALU_DEP_1)
	v_xor_b32_e32 v16, v3, v8
	v_sub_nc_u64_e32 v[8:9], v[16:17], v[8:9]
.LBB63_726:
	s_mov_b32 s1, 0
.LBB63_727:
	s_delay_alu instid0(SALU_CYCLE_1)
	s_and_not1_b32 vcc_lo, exec_lo, s1
	s_cbranch_vccnz .LBB63_729
; %bb.728:
	global_load_u8 v1, v[14:15], off
	s_wait_loadcnt 0x0
	v_lshlrev_b32_e32 v3, 25, v1
	v_lshlrev_b16 v1, 8, v1
	s_delay_alu instid0(VALU_DEP_1) | instskip(SKIP_1) | instid1(VALU_DEP_2)
	v_and_or_b32 v8, 0x7f00, v1, 0.5
	v_bfe_i32 v1, v1, 0, 16
	v_dual_add_f32 v8, -0.5, v8 :: v_dual_lshrrev_b32 v7, 4, v3
	v_cmp_gt_u32_e32 vcc_lo, 0x8000000, v3
	s_delay_alu instid0(VALU_DEP_2) | instskip(NEXT) | instid1(VALU_DEP_1)
	v_or_b32_e32 v7, 0x70000000, v7
	v_mul_f32_e32 v7, 0x7800000, v7
	s_delay_alu instid0(VALU_DEP_1) | instskip(NEXT) | instid1(VALU_DEP_1)
	v_cndmask_b32_e32 v3, v7, v8, vcc_lo
	v_and_or_b32 v1, 0x80000000, v1, v3
	s_delay_alu instid0(VALU_DEP_1) | instskip(NEXT) | instid1(VALU_DEP_1)
	v_trunc_f32_e32 v1, v1
	v_mul_f32_e64 v3, 0x2f800000, |v1|
	v_ashrrev_i32_e32 v8, 31, v1
	s_delay_alu instid0(VALU_DEP_2) | instskip(NEXT) | instid1(VALU_DEP_2)
	v_floor_f32_e32 v3, v3
	v_mov_b32_e32 v9, v8
	s_delay_alu instid0(VALU_DEP_2) | instskip(SKIP_1) | instid1(VALU_DEP_2)
	v_fma_f32 v7, 0xcf800000, v3, |v1|
	v_cvt_u32_f32_e32 v1, v3
	v_cvt_u32_f32_e32 v3, v7
	s_delay_alu instid0(VALU_DEP_2) | instskip(NEXT) | instid1(VALU_DEP_2)
	v_xor_b32_e32 v17, v1, v8
	v_xor_b32_e32 v16, v3, v8
	s_delay_alu instid0(VALU_DEP_1)
	v_sub_nc_u64_e32 v[8:9], v[16:17], v[8:9]
.LBB63_729:
	s_mov_b32 s1, 0
	s_mov_b32 s46, -1
.LBB63_730:
	s_and_not1_b32 vcc_lo, exec_lo, s1
	s_cbranch_vccnz .LBB63_743
; %bb.731:
	s_cmp_gt_i32 s35, 14
	s_cbranch_scc0 .LBB63_734
; %bb.732:
	s_cmp_eq_u32 s35, 15
	s_cbranch_scc0 .LBB63_737
; %bb.733:
	global_load_u16 v1, v[14:15], off
	s_mov_b32 s46, -1
	s_mov_b32 s45, 0
	s_wait_loadcnt 0x0
	v_lshlrev_b32_e32 v1, 16, v1
	s_delay_alu instid0(VALU_DEP_1) | instskip(NEXT) | instid1(VALU_DEP_1)
	v_trunc_f32_e32 v1, v1
	v_mul_f32_e64 v3, 0x2f800000, |v1|
	v_ashrrev_i32_e32 v8, 31, v1
	s_delay_alu instid0(VALU_DEP_2) | instskip(NEXT) | instid1(VALU_DEP_2)
	v_floor_f32_e32 v3, v3
	v_mov_b32_e32 v9, v8
	s_delay_alu instid0(VALU_DEP_2) | instskip(SKIP_1) | instid1(VALU_DEP_2)
	v_fma_f32 v7, 0xcf800000, v3, |v1|
	v_cvt_u32_f32_e32 v1, v3
	v_cvt_u32_f32_e32 v3, v7
	s_delay_alu instid0(VALU_DEP_2) | instskip(NEXT) | instid1(VALU_DEP_2)
	v_xor_b32_e32 v17, v1, v8
	v_xor_b32_e32 v16, v3, v8
	s_delay_alu instid0(VALU_DEP_1)
	v_sub_nc_u64_e32 v[8:9], v[16:17], v[8:9]
	s_branch .LBB63_738
.LBB63_734:
	s_mov_b32 s1, -1
                                        ; implicit-def: $vgpr8_vgpr9
	s_branch .LBB63_739
.LBB63_735:
	s_and_not1_saveexec_b32 s1, s1
	s_cbranch_execz .LBB63_716
.LBB63_736:
	v_cmp_ne_u16_e32 vcc_lo, 0, v1
	s_and_not1_b32 s36, s46, exec_lo
	s_and_b32 s37, vcc_lo, exec_lo
	s_delay_alu instid0(SALU_CYCLE_1)
	s_or_b32 s46, s36, s37
	s_or_b32 exec_lo, exec_lo, s1
	v_mov_b64_e32 v[8:9], 0
	s_and_saveexec_b32 s1, s46
	s_cbranch_execnz .LBB63_717
	s_branch .LBB63_718
.LBB63_737:
	s_mov_b32 s45, -1
                                        ; implicit-def: $vgpr8_vgpr9
.LBB63_738:
	s_mov_b32 s1, 0
.LBB63_739:
	s_delay_alu instid0(SALU_CYCLE_1)
	s_and_b32 vcc_lo, exec_lo, s1
	s_cbranch_vccz .LBB63_743
; %bb.740:
	s_cmp_eq_u32 s35, 11
	s_cbranch_scc0 .LBB63_742
; %bb.741:
	global_load_u8 v1, v[14:15], off
	s_mov_b32 s45, 0
	s_mov_b32 s46, -1
	s_wait_loadcnt 0x1
	v_mov_b32_e32 v9, s45
	s_wait_loadcnt 0x0
	v_cmp_ne_u16_e32 vcc_lo, 0, v1
	v_cndmask_b32_e64 v8, 0, 1, vcc_lo
	s_branch .LBB63_743
.LBB63_742:
	s_mov_b32 s45, -1
                                        ; implicit-def: $vgpr8_vgpr9
.LBB63_743:
	s_mov_b32 s1, 0
.LBB63_744:
	s_delay_alu instid0(SALU_CYCLE_1)
	s_and_b32 vcc_lo, exec_lo, s1
	s_cbranch_vccz .LBB63_793
; %bb.745:
	s_and_b32 s0, 0xffff, s0
	s_delay_alu instid0(SALU_CYCLE_1)
	s_cmp_lt_i32 s0, 5
	s_cbranch_scc1 .LBB63_750
; %bb.746:
	s_cmp_lt_i32 s0, 8
	s_cbranch_scc1 .LBB63_751
; %bb.747:
	;; [unrolled: 3-line block ×3, first 2 shown]
	s_cmp_gt_i32 s0, 9
	s_cbranch_scc0 .LBB63_753
; %bb.749:
	s_wait_loadcnt 0x0
	global_load_b64 v[8:9], v[14:15], off
	s_mov_b32 s1, 0
	s_wait_loadcnt 0x0
	v_trunc_f64_e32 v[8:9], v[8:9]
	s_delay_alu instid0(VALU_DEP_1) | instskip(NEXT) | instid1(VALU_DEP_1)
	v_ldexp_f64 v[16:17], v[8:9], 0xffffffe0
	v_floor_f64_e32 v[16:17], v[16:17]
	s_delay_alu instid0(VALU_DEP_1) | instskip(SKIP_1) | instid1(VALU_DEP_2)
	v_fmamk_f64 v[18:19], v[16:17], 0xc1f00000, v[8:9]
	v_cvt_i32_f64_e32 v9, v[16:17]
	v_cvt_u32_f64_e32 v8, v[18:19]
	s_branch .LBB63_754
.LBB63_750:
	s_mov_b32 s1, -1
                                        ; implicit-def: $vgpr8_vgpr9
	s_branch .LBB63_772
.LBB63_751:
	s_mov_b32 s1, -1
                                        ; implicit-def: $vgpr8_vgpr9
	s_branch .LBB63_760
.LBB63_752:
	s_mov_b32 s1, -1
                                        ; implicit-def: $vgpr8_vgpr9
	s_branch .LBB63_757
.LBB63_753:
	s_mov_b32 s1, -1
                                        ; implicit-def: $vgpr8_vgpr9
.LBB63_754:
	s_delay_alu instid0(SALU_CYCLE_1)
	s_and_not1_b32 vcc_lo, exec_lo, s1
	s_cbranch_vccnz .LBB63_756
; %bb.755:
	global_load_b32 v1, v[14:15], off
	s_wait_loadcnt 0x0
	v_trunc_f32_e32 v1, v1
	s_delay_alu instid0(VALU_DEP_1) | instskip(SKIP_1) | instid1(VALU_DEP_2)
	v_mul_f32_e64 v3, 0x2f800000, |v1|
	v_ashrrev_i32_e32 v8, 31, v1
	v_floor_f32_e32 v3, v3
	s_delay_alu instid0(VALU_DEP_1) | instskip(SKIP_1) | instid1(VALU_DEP_4)
	v_fma_f32 v7, 0xcf800000, v3, |v1|
	v_cvt_u32_f32_e32 v1, v3
	v_mov_b32_e32 v9, v8
	s_delay_alu instid0(VALU_DEP_3) | instskip(NEXT) | instid1(VALU_DEP_3)
	v_cvt_u32_f32_e32 v3, v7
	v_xor_b32_e32 v17, v1, v8
	s_delay_alu instid0(VALU_DEP_2) | instskip(NEXT) | instid1(VALU_DEP_1)
	v_xor_b32_e32 v16, v3, v8
	v_sub_nc_u64_e32 v[8:9], v[16:17], v[8:9]
.LBB63_756:
	s_mov_b32 s1, 0
.LBB63_757:
	s_delay_alu instid0(SALU_CYCLE_1)
	s_and_not1_b32 vcc_lo, exec_lo, s1
	s_cbranch_vccnz .LBB63_759
; %bb.758:
	global_load_b32 v1, v[14:15], off
	s_wait_loadcnt 0x0
	v_cvt_f32_f16_e32 v1, v1
	s_delay_alu instid0(VALU_DEP_1) | instskip(NEXT) | instid1(VALU_DEP_1)
	v_cvt_i32_f32_e32 v8, v1
	v_ashrrev_i32_e32 v9, 31, v8
.LBB63_759:
	s_mov_b32 s1, 0
.LBB63_760:
	s_delay_alu instid0(SALU_CYCLE_1)
	s_and_not1_b32 vcc_lo, exec_lo, s1
	s_cbranch_vccnz .LBB63_771
; %bb.761:
	s_cmp_lt_i32 s0, 6
	s_cbranch_scc1 .LBB63_764
; %bb.762:
	s_cmp_gt_i32 s0, 6
	s_cbranch_scc0 .LBB63_765
; %bb.763:
	s_wait_loadcnt 0x0
	global_load_b64 v[8:9], v[14:15], off
	s_mov_b32 s1, 0
	s_wait_loadcnt 0x0
	v_trunc_f64_e32 v[8:9], v[8:9]
	s_delay_alu instid0(VALU_DEP_1) | instskip(NEXT) | instid1(VALU_DEP_1)
	v_ldexp_f64 v[16:17], v[8:9], 0xffffffe0
	v_floor_f64_e32 v[16:17], v[16:17]
	s_delay_alu instid0(VALU_DEP_1) | instskip(SKIP_1) | instid1(VALU_DEP_2)
	v_fmamk_f64 v[18:19], v[16:17], 0xc1f00000, v[8:9]
	v_cvt_i32_f64_e32 v9, v[16:17]
	v_cvt_u32_f64_e32 v8, v[18:19]
	s_branch .LBB63_766
.LBB63_764:
	s_mov_b32 s1, -1
                                        ; implicit-def: $vgpr8_vgpr9
	s_branch .LBB63_769
.LBB63_765:
	s_mov_b32 s1, -1
                                        ; implicit-def: $vgpr8_vgpr9
.LBB63_766:
	s_delay_alu instid0(SALU_CYCLE_1)
	s_and_not1_b32 vcc_lo, exec_lo, s1
	s_cbranch_vccnz .LBB63_768
; %bb.767:
	global_load_b32 v1, v[14:15], off
	s_wait_loadcnt 0x0
	v_trunc_f32_e32 v1, v1
	s_delay_alu instid0(VALU_DEP_1) | instskip(SKIP_1) | instid1(VALU_DEP_2)
	v_mul_f32_e64 v3, 0x2f800000, |v1|
	v_ashrrev_i32_e32 v8, 31, v1
	v_floor_f32_e32 v3, v3
	s_delay_alu instid0(VALU_DEP_1) | instskip(SKIP_1) | instid1(VALU_DEP_4)
	v_fma_f32 v7, 0xcf800000, v3, |v1|
	v_cvt_u32_f32_e32 v1, v3
	v_mov_b32_e32 v9, v8
	s_delay_alu instid0(VALU_DEP_3) | instskip(NEXT) | instid1(VALU_DEP_3)
	v_cvt_u32_f32_e32 v3, v7
	v_xor_b32_e32 v17, v1, v8
	s_delay_alu instid0(VALU_DEP_2) | instskip(NEXT) | instid1(VALU_DEP_1)
	v_xor_b32_e32 v16, v3, v8
	v_sub_nc_u64_e32 v[8:9], v[16:17], v[8:9]
.LBB63_768:
	s_mov_b32 s1, 0
.LBB63_769:
	s_delay_alu instid0(SALU_CYCLE_1)
	s_and_not1_b32 vcc_lo, exec_lo, s1
	s_cbranch_vccnz .LBB63_771
; %bb.770:
	global_load_u16 v1, v[14:15], off
	s_wait_loadcnt 0x0
	v_cvt_f32_f16_e32 v1, v1
	s_delay_alu instid0(VALU_DEP_1) | instskip(NEXT) | instid1(VALU_DEP_1)
	v_cvt_i32_f32_e32 v8, v1
	v_ashrrev_i32_e32 v9, 31, v8
.LBB63_771:
	s_mov_b32 s1, 0
.LBB63_772:
	s_delay_alu instid0(SALU_CYCLE_1)
	s_and_not1_b32 vcc_lo, exec_lo, s1
	s_cbranch_vccnz .LBB63_792
; %bb.773:
	s_cmp_lt_i32 s0, 2
	s_cbranch_scc1 .LBB63_777
; %bb.774:
	s_cmp_lt_i32 s0, 3
	s_cbranch_scc1 .LBB63_778
; %bb.775:
	s_cmp_gt_i32 s0, 3
	s_cbranch_scc0 .LBB63_779
; %bb.776:
	s_wait_loadcnt 0x0
	global_load_b64 v[8:9], v[14:15], off
	s_mov_b32 s1, 0
	s_branch .LBB63_780
.LBB63_777:
	s_mov_b32 s1, -1
                                        ; implicit-def: $vgpr8_vgpr9
	s_branch .LBB63_786
.LBB63_778:
	s_mov_b32 s1, -1
                                        ; implicit-def: $vgpr8_vgpr9
	s_branch .LBB63_783
.LBB63_779:
	s_mov_b32 s1, -1
                                        ; implicit-def: $vgpr8_vgpr9
.LBB63_780:
	s_delay_alu instid0(SALU_CYCLE_1)
	s_and_not1_b32 vcc_lo, exec_lo, s1
	s_cbranch_vccnz .LBB63_782
; %bb.781:
	s_wait_loadcnt 0x0
	global_load_b32 v8, v[14:15], off
	s_wait_loadcnt 0x0
	v_ashrrev_i32_e32 v9, 31, v8
.LBB63_782:
	s_mov_b32 s1, 0
.LBB63_783:
	s_delay_alu instid0(SALU_CYCLE_1)
	s_and_not1_b32 vcc_lo, exec_lo, s1
	s_cbranch_vccnz .LBB63_785
; %bb.784:
	global_load_u16 v1, v[14:15], off
	s_wait_loadcnt 0x0
	v_bfe_i32 v8, v1, 0, 16
	s_delay_alu instid0(VALU_DEP_1)
	v_ashrrev_i32_e32 v9, 31, v8
.LBB63_785:
	s_mov_b32 s1, 0
.LBB63_786:
	s_delay_alu instid0(SALU_CYCLE_1)
	s_and_not1_b32 vcc_lo, exec_lo, s1
	s_cbranch_vccnz .LBB63_792
; %bb.787:
	s_cmp_gt_i32 s0, 0
	s_mov_b32 s0, 0
	s_cbranch_scc0 .LBB63_789
; %bb.788:
	global_load_i8 v1, v[14:15], off
	s_wait_loadcnt 0x0
	v_bfe_i32 v8, v1, 0, 16
	s_delay_alu instid0(VALU_DEP_1)
	v_ashrrev_i32_e32 v9, 31, v8
	s_branch .LBB63_790
.LBB63_789:
	s_mov_b32 s0, -1
                                        ; implicit-def: $vgpr8_vgpr9
.LBB63_790:
	s_delay_alu instid0(SALU_CYCLE_1)
	s_and_not1_b32 vcc_lo, exec_lo, s0
	s_cbranch_vccnz .LBB63_792
; %bb.791:
	global_load_u8 v1, v[14:15], off
	s_mov_b32 s0, 0
	s_wait_loadcnt 0x1
	v_mov_b32_e32 v9, s0
	s_wait_loadcnt 0x0
	v_and_b32_e32 v8, 0xffff, v1
.LBB63_792:
	s_mov_b32 s46, -1
.LBB63_793:
	s_delay_alu instid0(SALU_CYCLE_1)
	s_and_not1_b32 vcc_lo, exec_lo, s46
	s_cbranch_vccnz .LBB63_801
; %bb.794:
	s_load_b512 s[4:19], s[2:3], 0x248
	v_mov_b32_e32 v13, 0
	s_and_b32 s0, s80, 0xff
	s_delay_alu instid0(SALU_CYCLE_1) | instskip(SKIP_1) | instid1(VALU_DEP_1)
	s_cmp_lt_i32 s0, 11
	s_wait_kmcnt 0x0
	v_add_nc_u64_e32 v[14:15], s[10:11], v[12:13]
	s_cbranch_scc1 .LBB63_814
; %bb.795:
	s_and_b32 s35, 0xffff, s0
	s_delay_alu instid0(SALU_CYCLE_1)
	s_cmp_gt_i32 s35, 25
	s_cbranch_scc0 .LBB63_829
; %bb.796:
	s_cmp_gt_i32 s35, 28
	s_cbranch_scc0 .LBB63_831
; %bb.797:
	;; [unrolled: 3-line block ×4, first 2 shown]
	s_cmp_eq_u32 s35, 46
	s_mov_b32 s1, 0
	s_cbranch_scc0 .LBB63_964
; %bb.800:
	global_load_b32 v1, v[14:15], off
	s_mov_b32 s47, -1
	s_mov_b32 s46, 0
	s_wait_loadcnt 0x0
	v_lshlrev_b32_e32 v1, 16, v1
	s_delay_alu instid0(VALU_DEP_1) | instskip(NEXT) | instid1(VALU_DEP_1)
	v_trunc_f32_e32 v1, v1
	v_mul_f32_e64 v3, 0x2f800000, |v1|
	v_ashrrev_i32_e32 v12, 31, v1
	s_delay_alu instid0(VALU_DEP_2) | instskip(NEXT) | instid1(VALU_DEP_2)
	v_floor_f32_e32 v3, v3
	v_mov_b32_e32 v13, v12
	s_delay_alu instid0(VALU_DEP_2) | instskip(SKIP_1) | instid1(VALU_DEP_2)
	v_fma_f32 v7, 0xcf800000, v3, |v1|
	v_cvt_u32_f32_e32 v1, v3
	v_cvt_u32_f32_e32 v3, v7
	s_delay_alu instid0(VALU_DEP_2) | instskip(NEXT) | instid1(VALU_DEP_2)
	v_xor_b32_e32 v17, v1, v12
	v_xor_b32_e32 v16, v3, v12
	s_delay_alu instid0(VALU_DEP_1)
	v_sub_nc_u64_e32 v[12:13], v[16:17], v[12:13]
	s_branch .LBB63_966
.LBB63_801:
	s_mov_b32 s0, 0
	s_mov_b32 s1, s70
	;; [unrolled: 1-line block ×9, first 2 shown]
.LBB63_802:
                                        ; implicit-def: $vgpr0
.LBB63_803:
	s_and_not1_b32 s36, s70, exec_lo
	s_and_b32 s1, s1, exec_lo
	s_and_not1_b32 s37, s71, exec_lo
	s_and_b32 s35, s35, exec_lo
	s_or_b32 s101, s36, s1
	s_or_b32 s104, s37, s35
	s_and_not1_b32 s1, s85, exec_lo
	s_and_b32 s35, s58, exec_lo
	s_and_not1_b32 s36, s86, exec_lo
	s_and_b32 s37, s60, exec_lo
	s_or_b32 vcc_hi, s1, s35
	s_or_b32 s99, s36, s37
	s_and_not1_b32 s1, s87, exec_lo
	s_and_b32 s35, s59, exec_lo
	s_and_not1_b32 s36, s88, exec_lo
	s_and_b32 s37, s94, exec_lo
	s_or_b32 s100, s1, s35
	s_or_b32 s97, s36, s37
	s_and_not1_b32 s1, s89, exec_lo
	s_and_b32 s35, s47, exec_lo
	s_and_not1_b32 s36, s90, exec_lo
	s_and_b32 s37, s46, exec_lo
	s_or_b32 s98, s1, s35
	s_or_b32 s95, s36, s37
	s_and_not1_b32 s1, s91, exec_lo
	s_and_b32 s35, s45, exec_lo
	s_and_not1_b32 s36, s92, exec_lo
	s_and_b32 s37, s44, exec_lo
	s_mov_b32 s76, s49
	s_mov_b32 s79, s51
	s_or_b32 s96, s1, s35
	s_or_b32 s94, s36, s37
	s_or_not1_b32 s35, s0, exec_lo
.LBB63_804:
	s_wait_xcnt 0x0
	s_or_b32 exec_lo, exec_lo, s23
	s_mov_b32 s1, 0
	s_mov_b32 s44, 0
	;; [unrolled: 1-line block ×3, first 2 shown]
                                        ; implicit-def: $sgpr0
                                        ; implicit-def: $vgpr14_vgpr15
                                        ; implicit-def: $vgpr2
                                        ; implicit-def: $vgpr12
                                        ; implicit-def: $vgpr10
                                        ; implicit-def: $vgpr6
                                        ; implicit-def: $vgpr8
                                        ; implicit-def: $vgpr4_vgpr5
	s_and_saveexec_b32 s23, s35
	s_cbranch_execz .LBB63_1310
; %bb.805:
	s_mov_b32 s60, -1
	s_mov_b32 s35, s94
	s_mov_b32 s47, s96
	;; [unrolled: 1-line block ×7, first 2 shown]
	s_mov_b32 s66, vcc_hi
	s_mov_b32 s64, s104
	s_mov_b32 s67, s101
	s_mov_b32 s44, exec_lo
	v_cmpx_gt_i32_e64 s83, v0
	s_cbranch_execz .LBB63_1213
; %bb.806:
	s_and_not1_b32 vcc_lo, exec_lo, s74
	s_cbranch_vccnz .LBB63_813
; %bb.807:
	s_and_not1_b32 vcc_lo, exec_lo, s84
	s_cbranch_vccnz .LBB63_815
; %bb.808:
	s_wait_loadcnt 0x0
	v_dual_mov_b32 v10, 0 :: v_dual_mov_b32 v1, v0
	v_dual_mov_b32 v6, 0 :: v_dual_mov_b32 v8, 0
	v_dual_mov_b32 v12, 0 :: v_dual_mov_b32 v2, 0
	v_mov_b32_e32 v4, 0
	s_add_co_i32 s0, s68, 1
	s_mov_b64 s[36:37], 0xffffffffffffffd0
	s_mov_b64 s[8:9], s[40:41]
	s_mov_b32 s5, s48
	s_mov_b64 s[10:11], s[42:43]
	s_mov_b32 s4, s50
	s_and_b32 s0, s0, 30
	s_add_nc_u64 s[58:59], s[2:3], s[36:37]
	s_mov_b64 s[60:61], s[2:3]
.LBB63_809:                             ; =>This Inner Loop Header: Depth=1
	s_clause 0x1
	s_load_b128 s[48:51], s[60:61], 0x4
	s_load_b64 s[46:47], s[60:61], 0x14
	s_clause 0x1
	s_load_b256 s[36:43], s[58:59], 0xf4
	s_load_b128 s[64:67], s[58:59], 0x114
	s_add_co_i32 s0, s0, -2
	s_wait_xcnt 0x0
	s_add_nc_u64 s[60:61], s[60:61], 24
	s_cmp_eq_u32 s0, 0
	s_add_nc_u64 s[58:59], s[58:59], 48
	s_wait_kmcnt 0x0
	v_mul_hi_u32 v3, s49, v1
	s_delay_alu instid0(VALU_DEP_1) | instskip(NEXT) | instid1(VALU_DEP_1)
	v_add_nc_u32_e32 v3, v1, v3
	v_lshrrev_b32_e32 v3, s50, v3
	s_delay_alu instid0(VALU_DEP_1) | instskip(SKIP_1) | instid1(VALU_DEP_1)
	v_mul_hi_u32 v5, s46, v3
	v_mul_lo_u32 v7, v3, s48
	v_dual_add_nc_u32 v5, v3, v5 :: v_dual_sub_nc_u32 v7, v1, v7
	s_delay_alu instid0(VALU_DEP_1) | instskip(NEXT) | instid1(VALU_DEP_2)
	v_lshrrev_b32_e32 v1, s47, v5
	v_mad_u32 v4, v7, s37, v4
	v_mad_u32 v2, v7, s36, v2
	;; [unrolled: 1-line block ×4, first 2 shown]
	v_mul_lo_u32 v5, v1, s51
	v_mad_u32 v6, s41, v7, v6
	v_mad_u32 v7, s40, v7, v10
	s_delay_alu instid0(VALU_DEP_3) | instskip(NEXT) | instid1(VALU_DEP_1)
	v_sub_nc_u32_e32 v3, v3, v5
	v_mad_u32 v4, v3, s43, v4
	v_mad_u32 v2, v3, s42, v2
	;; [unrolled: 1-line block ×6, first 2 shown]
	s_cbranch_scc0 .LBB63_809
; %bb.810:
	s_bitcmp1_b32 s68, 0
	s_cselect_b32 s0, -1, 0
	s_delay_alu instid0(SALU_CYCLE_1)
	s_and_b32 vcc_lo, exec_lo, s0
	s_cbranch_vccnz .LBB63_812
; %bb.811:
	s_load_b96 s[40:42], s[60:61], 0x4
	s_clause 0x1
	s_load_b128 s[36:39], s[58:59], 0xf4
	s_load_b64 s[0:1], s[58:59], 0x104
	s_wait_kmcnt 0x0
	v_mul_hi_u32 v3, s41, v1
	s_delay_alu instid0(VALU_DEP_1) | instskip(NEXT) | instid1(VALU_DEP_1)
	v_add_nc_u32_e32 v3, v1, v3
	v_lshrrev_b32_e32 v3, s42, v3
	s_delay_alu instid0(VALU_DEP_1) | instskip(NEXT) | instid1(VALU_DEP_1)
	v_mul_lo_u32 v3, v3, s40
	v_sub_nc_u32_e32 v1, v1, v3
	s_delay_alu instid0(VALU_DEP_1)
	v_mad_u32 v2, v1, s36, v2
	v_mad_u32 v4, v1, s37, v4
	;; [unrolled: 1-line block ×6, first 2 shown]
.LBB63_812:
	s_mov_b64 s[42:43], s[10:11]
	s_mov_b32 s50, s4
	s_mov_b32 s48, s5
	s_mov_b64 s[40:41], s[8:9]
	s_branch .LBB63_816
.LBB63_813:
	s_mov_b32 s0, -1
                                        ; implicit-def: $vgpr4
                                        ; implicit-def: $vgpr2
                                        ; implicit-def: $vgpr12
                                        ; implicit-def: $vgpr8
                                        ; implicit-def: $vgpr6
                                        ; implicit-def: $vgpr10
	s_branch .LBB63_817
.LBB63_814:
	s_mov_b32 s1, -1
	s_mov_b32 s47, 0
	s_mov_b32 s46, s90
                                        ; implicit-def: $vgpr12_vgpr13
	s_branch .LBB63_1032
.LBB63_815:
	s_wait_loadcnt 0x0
	v_dual_mov_b32 v4, 0 :: v_dual_mov_b32 v2, 0
	v_dual_mov_b32 v12, 0 :: v_dual_mov_b32 v8, 0
	;; [unrolled: 1-line block ×3, first 2 shown]
.LBB63_816:
	s_mov_b32 s0, 0
.LBB63_817:
	s_delay_alu instid0(SALU_CYCLE_1)
	s_and_not1_b32 vcc_lo, exec_lo, s0
	s_cbranch_vccnz .LBB63_820
; %bb.818:
	v_mov_b32_e32 v1, 0
	s_load_b256 s[4:11], s[2:3], 0xc4
	s_and_not1_b32 vcc_lo, exec_lo, s48
	s_delay_alu instid0(VALU_DEP_1) | instskip(NEXT) | instid1(VALU_DEP_1)
	v_mul_u64_e32 v[2:3], s[54:55], v[0:1]
	v_add_nc_u32_e32 v2, v0, v3
	s_wait_loadcnt 0x0
	s_delay_alu instid0(VALU_DEP_1) | instskip(NEXT) | instid1(VALU_DEP_1)
	v_lshrrev_b32_e32 v14, s14, v2
	v_mul_lo_u32 v2, v14, s12
	s_delay_alu instid0(VALU_DEP_1) | instskip(SKIP_1) | instid1(VALU_DEP_1)
	v_sub_nc_u32_e32 v3, v0, v2
	s_wait_kmcnt 0x0
	v_mul_lo_u32 v4, v3, s5
	v_mul_lo_u32 v2, v3, s4
	;; [unrolled: 1-line block ×6, first 2 shown]
	s_cbranch_vccnz .LBB63_820
; %bb.819:
	v_mov_b32_e32 v15, v1
	s_delay_alu instid0(VALU_DEP_1) | instskip(NEXT) | instid1(VALU_DEP_1)
	v_mul_u64_e32 v[16:17], s[56:57], v[14:15]
	v_add_nc_u32_e32 v1, v14, v17
	s_delay_alu instid0(VALU_DEP_1) | instskip(NEXT) | instid1(VALU_DEP_1)
	v_lshrrev_b32_e32 v1, s79, v1
	v_mul_lo_u32 v1, v1, s15
	s_delay_alu instid0(VALU_DEP_1) | instskip(NEXT) | instid1(VALU_DEP_1)
	v_sub_nc_u32_e32 v1, v14, v1
	v_mad_u32 v2, v1, s10, v2
	v_mad_u32 v4, v1, s11, v4
	;; [unrolled: 1-line block ×6, first 2 shown]
.LBB63_820:
	s_mov_b32 s51, s76
	s_mov_b64 s[78:79], s[14:15]
	s_mov_b32 s76, s12
	s_load_b512 s[4:19], s[2:3], 0x248
	s_wait_loadcnt 0x0
	v_mov_b32_e32 v5, 0
	s_and_b32 s0, s50, 0xff
	s_delay_alu instid0(SALU_CYCLE_1) | instskip(SKIP_1) | instid1(VALU_DEP_1)
	s_cmp_lt_i32 s0, 11
	s_wait_kmcnt 0x0
	v_add_nc_u64_e32 v[14:15], s[6:7], v[4:5]
	s_cbranch_scc1 .LBB63_827
; %bb.821:
	s_and_b32 s35, 0xffff, s0
	s_delay_alu instid0(SALU_CYCLE_1)
	s_cmp_gt_i32 s35, 25
	s_cbranch_scc0 .LBB63_828
; %bb.822:
	s_cmp_gt_i32 s35, 28
	s_cbranch_scc0 .LBB63_830
; %bb.823:
	;; [unrolled: 3-line block ×4, first 2 shown]
	s_cmp_eq_u32 s35, 46
	s_mov_b32 s1, 0
	s_cbranch_scc0 .LBB63_836
; %bb.826:
	global_load_b32 v1, v[14:15], off
	s_mov_b32 s45, -1
	s_mov_b32 s49, 0
	s_wait_loadcnt 0x0
	v_lshlrev_b32_e32 v1, 16, v1
	s_delay_alu instid0(VALU_DEP_1) | instskip(NEXT) | instid1(VALU_DEP_1)
	v_trunc_f32_e32 v1, v1
	v_mul_f32_e64 v3, 0x2f800000, |v1|
	v_ashrrev_i32_e32 v4, 31, v1
	s_delay_alu instid0(VALU_DEP_2) | instskip(NEXT) | instid1(VALU_DEP_1)
	v_floor_f32_e32 v3, v3
	v_fma_f32 v5, 0xcf800000, v3, |v1|
	v_cvt_u32_f32_e32 v1, v3
	s_delay_alu instid0(VALU_DEP_2) | instskip(NEXT) | instid1(VALU_DEP_2)
	v_cvt_u32_f32_e32 v3, v5
	v_dual_mov_b32 v5, v4 :: v_dual_bitop2_b32 v17, v1, v4 bitop3:0x14
	s_delay_alu instid0(VALU_DEP_2) | instskip(NEXT) | instid1(VALU_DEP_1)
	v_xor_b32_e32 v16, v3, v4
	v_sub_nc_u64_e32 v[4:5], v[16:17], v[4:5]
	s_branch .LBB63_838
.LBB63_827:
	s_mov_b32 s1, -1
	s_mov_b32 s45, 0
	s_mov_b32 s49, s94
                                        ; implicit-def: $vgpr4_vgpr5
	s_branch .LBB63_899
.LBB63_828:
	s_mov_b32 s1, -1
	s_mov_b32 s45, 0
	s_mov_b32 s49, s94
                                        ; implicit-def: $vgpr4_vgpr5
	s_branch .LBB63_865
.LBB63_829:
	s_mov_b32 s1, -1
	s_mov_b32 s47, 0
	s_mov_b32 s46, s90
                                        ; implicit-def: $vgpr12_vgpr13
	s_branch .LBB63_998
.LBB63_830:
	s_mov_b32 s1, -1
	s_mov_b32 s45, 0
	s_mov_b32 s49, s94
                                        ; implicit-def: $vgpr4_vgpr5
	s_branch .LBB63_848
.LBB63_831:
	s_mov_b32 s1, -1
	s_mov_b32 s47, 0
	s_mov_b32 s46, s90
                                        ; implicit-def: $vgpr12_vgpr13
	s_branch .LBB63_981
.LBB63_832:
	s_mov_b32 s1, -1
	s_mov_b32 s45, 0
	s_mov_b32 s49, s94
                                        ; implicit-def: $vgpr4_vgpr5
	s_branch .LBB63_843
.LBB63_833:
	s_mov_b32 s1, -1
	s_mov_b32 s47, 0
	s_mov_b32 s46, s90
                                        ; implicit-def: $vgpr12_vgpr13
	s_branch .LBB63_976
.LBB63_834:
	s_mov_b32 s1, -1
	s_mov_b32 s45, 0
	s_mov_b32 s49, s94
	s_branch .LBB63_837
.LBB63_835:
	s_mov_b32 s1, -1
	s_mov_b32 s47, 0
	s_mov_b32 s46, s90
	s_branch .LBB63_965
.LBB63_836:
	s_mov_b32 s49, -1
	s_mov_b32 s45, 0
.LBB63_837:
                                        ; implicit-def: $vgpr4_vgpr5
.LBB63_838:
	s_and_b32 vcc_lo, exec_lo, s1
	s_cbranch_vccz .LBB63_842
; %bb.839:
	s_cmp_eq_u32 s35, 44
	s_cbranch_scc0 .LBB63_841
; %bb.840:
	global_load_u8 v1, v[14:15], off
	s_mov_b32 s49, 0
	s_mov_b32 s45, -1
	s_wait_loadcnt 0x0
	v_lshlrev_b32_e32 v3, 23, v1
	v_cmp_ne_u32_e32 vcc_lo, 0, v1
	s_delay_alu instid0(VALU_DEP_2) | instskip(NEXT) | instid1(VALU_DEP_1)
	v_trunc_f32_e32 v3, v3
	v_mul_f32_e64 v4, 0x2f800000, |v3|
	s_delay_alu instid0(VALU_DEP_1) | instskip(SKIP_1) | instid1(VALU_DEP_2)
	v_floor_f32_e32 v5, v4
	v_ashrrev_i32_e32 v4, 31, v3
	v_fma_f32 v7, 0xcf800000, v5, |v3|
	v_cvt_u32_f32_e32 v3, v5
	s_delay_alu instid0(VALU_DEP_3) | instskip(NEXT) | instid1(VALU_DEP_3)
	v_mov_b32_e32 v5, v4
	v_cvt_u32_f32_e32 v7, v7
	s_delay_alu instid0(VALU_DEP_3) | instskip(NEXT) | instid1(VALU_DEP_2)
	v_xor_b32_e32 v17, v3, v4
	v_xor_b32_e32 v16, v7, v4
	s_delay_alu instid0(VALU_DEP_1) | instskip(NEXT) | instid1(VALU_DEP_1)
	v_sub_nc_u64_e32 v[4:5], v[16:17], v[4:5]
	v_dual_cndmask_b32 v5, 0, v5 :: v_dual_cndmask_b32 v4, 0, v4
	s_branch .LBB63_842
.LBB63_841:
	s_mov_b32 s49, -1
                                        ; implicit-def: $vgpr4_vgpr5
.LBB63_842:
	s_mov_b32 s1, 0
.LBB63_843:
	s_delay_alu instid0(SALU_CYCLE_1)
	s_and_b32 vcc_lo, exec_lo, s1
	s_cbranch_vccz .LBB63_847
; %bb.844:
	s_cmp_eq_u32 s35, 29
	s_cbranch_scc0 .LBB63_846
; %bb.845:
	global_load_b64 v[4:5], v[14:15], off
	s_mov_b32 s45, -1
	s_mov_b32 s49, 0
	s_branch .LBB63_847
.LBB63_846:
	s_mov_b32 s49, -1
                                        ; implicit-def: $vgpr4_vgpr5
.LBB63_847:
	s_mov_b32 s1, 0
.LBB63_848:
	s_delay_alu instid0(SALU_CYCLE_1)
	s_and_b32 vcc_lo, exec_lo, s1
	s_cbranch_vccz .LBB63_864
; %bb.849:
	s_cmp_lt_i32 s35, 27
	s_cbranch_scc1 .LBB63_852
; %bb.850:
	s_cmp_gt_i32 s35, 27
	s_cbranch_scc0 .LBB63_853
; %bb.851:
	s_wait_loadcnt 0x0
	global_load_b32 v4, v[14:15], off
	v_mov_b32_e32 v5, 0
	s_mov_b32 s1, 0
	s_branch .LBB63_854
.LBB63_852:
	s_mov_b32 s1, -1
                                        ; implicit-def: $vgpr4_vgpr5
	s_branch .LBB63_857
.LBB63_853:
	s_mov_b32 s1, -1
                                        ; implicit-def: $vgpr4_vgpr5
.LBB63_854:
	s_delay_alu instid0(SALU_CYCLE_1)
	s_and_not1_b32 vcc_lo, exec_lo, s1
	s_cbranch_vccnz .LBB63_856
; %bb.855:
	global_load_u16 v1, v[14:15], off
	s_mov_b32 s1, 0
	s_wait_loadcnt 0x1
	v_mov_b32_e32 v5, s1
	s_wait_loadcnt 0x0
	v_and_b32_e32 v4, 0xffff, v1
.LBB63_856:
	s_mov_b32 s1, 0
.LBB63_857:
	s_delay_alu instid0(SALU_CYCLE_1)
	s_and_not1_b32 vcc_lo, exec_lo, s1
	s_cbranch_vccnz .LBB63_863
; %bb.858:
	global_load_u8 v1, v[14:15], off
	s_mov_b32 s45, 0
	s_mov_b32 s1, exec_lo
	s_wait_loadcnt 0x0
	v_cmpx_lt_i16_e32 0x7f, v1
	s_xor_b32 s1, exec_lo, s1
	s_cbranch_execz .LBB63_875
; %bb.859:
	v_cmp_ne_u16_e32 vcc_lo, 0x80, v1
	s_and_b32 s45, vcc_lo, exec_lo
	s_and_not1_saveexec_b32 s1, s1
	s_cbranch_execnz .LBB63_876
.LBB63_860:
	s_or_b32 exec_lo, exec_lo, s1
	v_mov_b64_e32 v[4:5], 0
	s_and_saveexec_b32 s1, s45
	s_cbranch_execz .LBB63_862
.LBB63_861:
	v_and_b32_e32 v3, 0xffff, v1
	s_delay_alu instid0(VALU_DEP_1) | instskip(SKIP_1) | instid1(VALU_DEP_2)
	v_and_b32_e32 v4, 7, v3
	v_bfe_u32 v9, v3, 3, 4
	v_clz_i32_u32_e32 v5, v4
	s_delay_alu instid0(VALU_DEP_2) | instskip(NEXT) | instid1(VALU_DEP_2)
	v_cmp_eq_u32_e32 vcc_lo, 0, v9
	v_min_u32_e32 v5, 32, v5
	s_delay_alu instid0(VALU_DEP_1) | instskip(NEXT) | instid1(VALU_DEP_1)
	v_subrev_nc_u32_e32 v7, 28, v5
	v_dual_lshlrev_b32 v3, v7, v3 :: v_dual_sub_nc_u32 v5, 29, v5
	s_delay_alu instid0(VALU_DEP_1) | instskip(NEXT) | instid1(VALU_DEP_1)
	v_dual_lshlrev_b32 v1, 24, v1 :: v_dual_bitop2_b32 v3, 7, v3 bitop3:0x40
	v_dual_cndmask_b32 v3, v4, v3, vcc_lo :: v_dual_cndmask_b32 v5, v9, v5, vcc_lo
	s_delay_alu instid0(VALU_DEP_2) | instskip(NEXT) | instid1(VALU_DEP_2)
	v_and_b32_e32 v1, 0x80000000, v1
	v_lshlrev_b32_e32 v3, 20, v3
	s_delay_alu instid0(VALU_DEP_3) | instskip(NEXT) | instid1(VALU_DEP_1)
	v_lshl_add_u32 v4, v5, 23, 0x3b800000
	v_or3_b32 v1, v1, v4, v3
	s_delay_alu instid0(VALU_DEP_1) | instskip(NEXT) | instid1(VALU_DEP_1)
	v_trunc_f32_e32 v1, v1
	v_mul_f32_e64 v3, 0x2f800000, |v1|
	v_ashrrev_i32_e32 v4, 31, v1
	s_delay_alu instid0(VALU_DEP_2) | instskip(NEXT) | instid1(VALU_DEP_1)
	v_floor_f32_e32 v3, v3
	v_fma_f32 v5, 0xcf800000, v3, |v1|
	v_cvt_u32_f32_e32 v1, v3
	s_delay_alu instid0(VALU_DEP_2) | instskip(NEXT) | instid1(VALU_DEP_2)
	v_cvt_u32_f32_e32 v3, v5
	v_dual_mov_b32 v5, v4 :: v_dual_bitop2_b32 v17, v1, v4 bitop3:0x14
	s_delay_alu instid0(VALU_DEP_2) | instskip(NEXT) | instid1(VALU_DEP_1)
	v_xor_b32_e32 v16, v3, v4
	v_sub_nc_u64_e32 v[4:5], v[16:17], v[4:5]
.LBB63_862:
	s_or_b32 exec_lo, exec_lo, s1
.LBB63_863:
	s_mov_b32 s45, -1
.LBB63_864:
	s_mov_b32 s1, 0
.LBB63_865:
	s_delay_alu instid0(SALU_CYCLE_1)
	s_and_b32 vcc_lo, exec_lo, s1
	s_cbranch_vccz .LBB63_898
; %bb.866:
	s_cmp_gt_i32 s35, 22
	s_cbranch_scc0 .LBB63_874
; %bb.867:
	s_cmp_lt_i32 s35, 24
	s_cbranch_scc1 .LBB63_877
; %bb.868:
	s_cmp_gt_i32 s35, 24
	s_cbranch_scc0 .LBB63_878
; %bb.869:
	global_load_u8 v1, v[14:15], off
	s_mov_b32 s45, 0
	s_mov_b32 s1, exec_lo
	s_wait_loadcnt 0x0
	v_cmpx_lt_i16_e32 0x7f, v1
	s_xor_b32 s1, exec_lo, s1
	s_cbranch_execz .LBB63_890
; %bb.870:
	v_cmp_ne_u16_e32 vcc_lo, 0x80, v1
	s_and_b32 s45, vcc_lo, exec_lo
	s_and_not1_saveexec_b32 s1, s1
	s_cbranch_execnz .LBB63_891
.LBB63_871:
	s_or_b32 exec_lo, exec_lo, s1
	v_mov_b64_e32 v[4:5], 0
	s_and_saveexec_b32 s1, s45
	s_cbranch_execz .LBB63_873
.LBB63_872:
	v_and_b32_e32 v3, 0xffff, v1
	s_delay_alu instid0(VALU_DEP_1) | instskip(SKIP_1) | instid1(VALU_DEP_2)
	v_and_b32_e32 v4, 3, v3
	v_bfe_u32 v9, v3, 2, 5
	v_clz_i32_u32_e32 v5, v4
	s_delay_alu instid0(VALU_DEP_2) | instskip(NEXT) | instid1(VALU_DEP_2)
	v_cmp_eq_u32_e32 vcc_lo, 0, v9
	v_min_u32_e32 v5, 32, v5
	s_delay_alu instid0(VALU_DEP_1) | instskip(NEXT) | instid1(VALU_DEP_1)
	v_subrev_nc_u32_e32 v7, 29, v5
	v_dual_lshlrev_b32 v3, v7, v3 :: v_dual_sub_nc_u32 v5, 30, v5
	s_delay_alu instid0(VALU_DEP_1) | instskip(NEXT) | instid1(VALU_DEP_1)
	v_dual_lshlrev_b32 v1, 24, v1 :: v_dual_bitop2_b32 v3, 3, v3 bitop3:0x40
	v_dual_cndmask_b32 v3, v4, v3, vcc_lo :: v_dual_cndmask_b32 v5, v9, v5, vcc_lo
	s_delay_alu instid0(VALU_DEP_2) | instskip(NEXT) | instid1(VALU_DEP_2)
	v_and_b32_e32 v1, 0x80000000, v1
	v_lshlrev_b32_e32 v3, 21, v3
	s_delay_alu instid0(VALU_DEP_3) | instskip(NEXT) | instid1(VALU_DEP_1)
	v_lshl_add_u32 v4, v5, 23, 0x37800000
	v_or3_b32 v1, v1, v4, v3
	s_delay_alu instid0(VALU_DEP_1) | instskip(NEXT) | instid1(VALU_DEP_1)
	v_trunc_f32_e32 v1, v1
	v_mul_f32_e64 v3, 0x2f800000, |v1|
	v_ashrrev_i32_e32 v4, 31, v1
	s_delay_alu instid0(VALU_DEP_2) | instskip(NEXT) | instid1(VALU_DEP_1)
	v_floor_f32_e32 v3, v3
	v_fma_f32 v5, 0xcf800000, v3, |v1|
	v_cvt_u32_f32_e32 v1, v3
	s_delay_alu instid0(VALU_DEP_2) | instskip(NEXT) | instid1(VALU_DEP_2)
	v_cvt_u32_f32_e32 v3, v5
	v_dual_mov_b32 v5, v4 :: v_dual_bitop2_b32 v17, v1, v4 bitop3:0x14
	s_delay_alu instid0(VALU_DEP_2) | instskip(NEXT) | instid1(VALU_DEP_1)
	v_xor_b32_e32 v16, v3, v4
	v_sub_nc_u64_e32 v[4:5], v[16:17], v[4:5]
.LBB63_873:
	s_or_b32 exec_lo, exec_lo, s1
	s_mov_b32 s1, 0
	s_branch .LBB63_879
.LBB63_874:
	s_mov_b32 s1, -1
                                        ; implicit-def: $vgpr4_vgpr5
	s_branch .LBB63_885
.LBB63_875:
	s_and_not1_saveexec_b32 s1, s1
	s_cbranch_execz .LBB63_860
.LBB63_876:
	v_cmp_ne_u16_e32 vcc_lo, 0, v1
	s_and_not1_b32 s36, s45, exec_lo
	s_and_b32 s37, vcc_lo, exec_lo
	s_delay_alu instid0(SALU_CYCLE_1)
	s_or_b32 s45, s36, s37
	s_or_b32 exec_lo, exec_lo, s1
	v_mov_b64_e32 v[4:5], 0
	s_and_saveexec_b32 s1, s45
	s_cbranch_execnz .LBB63_861
	s_branch .LBB63_862
.LBB63_877:
	s_mov_b32 s1, -1
                                        ; implicit-def: $vgpr4_vgpr5
	s_branch .LBB63_882
.LBB63_878:
	s_mov_b32 s1, -1
                                        ; implicit-def: $vgpr4_vgpr5
.LBB63_879:
	s_delay_alu instid0(SALU_CYCLE_1)
	s_and_b32 vcc_lo, exec_lo, s1
	s_cbranch_vccz .LBB63_881
; %bb.880:
	global_load_u8 v1, v[14:15], off
	s_wait_loadcnt 0x0
	v_lshlrev_b32_e32 v1, 24, v1
	s_delay_alu instid0(VALU_DEP_1) | instskip(NEXT) | instid1(VALU_DEP_1)
	v_and_b32_e32 v3, 0x7f000000, v1
	v_clz_i32_u32_e32 v4, v3
	v_add_nc_u32_e32 v7, 0x1000000, v3
	v_cmp_ne_u32_e32 vcc_lo, 0, v3
	s_delay_alu instid0(VALU_DEP_3) | instskip(NEXT) | instid1(VALU_DEP_1)
	v_min_u32_e32 v4, 32, v4
	v_sub_nc_u32_e64 v4, v4, 4 clamp
	s_delay_alu instid0(VALU_DEP_1) | instskip(NEXT) | instid1(VALU_DEP_1)
	v_dual_lshlrev_b32 v5, v4, v3 :: v_dual_lshlrev_b32 v4, 23, v4
	v_lshrrev_b32_e32 v5, 4, v5
	s_delay_alu instid0(VALU_DEP_1) | instskip(NEXT) | instid1(VALU_DEP_1)
	v_dual_sub_nc_u32 v4, v5, v4 :: v_dual_ashrrev_i32 v5, 8, v7
	v_add_nc_u32_e32 v4, 0x3c000000, v4
	s_delay_alu instid0(VALU_DEP_1) | instskip(NEXT) | instid1(VALU_DEP_1)
	v_and_or_b32 v4, 0x7f800000, v5, v4
	v_cndmask_b32_e32 v3, 0, v4, vcc_lo
	s_delay_alu instid0(VALU_DEP_1) | instskip(NEXT) | instid1(VALU_DEP_1)
	v_and_or_b32 v1, 0x80000000, v1, v3
	v_trunc_f32_e32 v1, v1
	s_delay_alu instid0(VALU_DEP_1) | instskip(SKIP_1) | instid1(VALU_DEP_2)
	v_mul_f32_e64 v3, 0x2f800000, |v1|
	v_ashrrev_i32_e32 v4, 31, v1
	v_floor_f32_e32 v3, v3
	s_delay_alu instid0(VALU_DEP_1) | instskip(SKIP_1) | instid1(VALU_DEP_2)
	v_fma_f32 v5, 0xcf800000, v3, |v1|
	v_cvt_u32_f32_e32 v1, v3
	v_cvt_u32_f32_e32 v3, v5
	s_delay_alu instid0(VALU_DEP_2) | instskip(NEXT) | instid1(VALU_DEP_2)
	v_dual_mov_b32 v5, v4 :: v_dual_bitop2_b32 v17, v1, v4 bitop3:0x14
	v_xor_b32_e32 v16, v3, v4
	s_delay_alu instid0(VALU_DEP_1)
	v_sub_nc_u64_e32 v[4:5], v[16:17], v[4:5]
.LBB63_881:
	s_mov_b32 s1, 0
.LBB63_882:
	s_delay_alu instid0(SALU_CYCLE_1)
	s_and_not1_b32 vcc_lo, exec_lo, s1
	s_cbranch_vccnz .LBB63_884
; %bb.883:
	global_load_u8 v1, v[14:15], off
	s_wait_loadcnt 0x0
	v_lshlrev_b32_e32 v3, 25, v1
	v_lshlrev_b16 v1, 8, v1
	s_delay_alu instid0(VALU_DEP_1) | instskip(NEXT) | instid1(VALU_DEP_3)
	v_and_or_b32 v5, 0x7f00, v1, 0.5
	v_lshrrev_b32_e32 v4, 4, v3
	v_bfe_i32 v1, v1, 0, 16
	s_delay_alu instid0(VALU_DEP_3) | instskip(NEXT) | instid1(VALU_DEP_3)
	v_add_f32_e32 v5, -0.5, v5
	v_or_b32_e32 v4, 0x70000000, v4
	s_delay_alu instid0(VALU_DEP_1) | instskip(SKIP_1) | instid1(VALU_DEP_2)
	v_mul_f32_e32 v4, 0x7800000, v4
	v_cmp_gt_u32_e32 vcc_lo, 0x8000000, v3
	v_cndmask_b32_e32 v3, v4, v5, vcc_lo
	s_delay_alu instid0(VALU_DEP_1) | instskip(NEXT) | instid1(VALU_DEP_1)
	v_and_or_b32 v1, 0x80000000, v1, v3
	v_trunc_f32_e32 v1, v1
	s_delay_alu instid0(VALU_DEP_1) | instskip(SKIP_1) | instid1(VALU_DEP_2)
	v_mul_f32_e64 v3, 0x2f800000, |v1|
	v_ashrrev_i32_e32 v4, 31, v1
	v_floor_f32_e32 v3, v3
	s_delay_alu instid0(VALU_DEP_1) | instskip(SKIP_1) | instid1(VALU_DEP_2)
	v_fma_f32 v5, 0xcf800000, v3, |v1|
	v_cvt_u32_f32_e32 v1, v3
	v_cvt_u32_f32_e32 v3, v5
	s_delay_alu instid0(VALU_DEP_2) | instskip(NEXT) | instid1(VALU_DEP_2)
	v_dual_mov_b32 v5, v4 :: v_dual_bitop2_b32 v17, v1, v4 bitop3:0x14
	v_xor_b32_e32 v16, v3, v4
	s_delay_alu instid0(VALU_DEP_1)
	v_sub_nc_u64_e32 v[4:5], v[16:17], v[4:5]
.LBB63_884:
	s_mov_b32 s1, 0
	s_mov_b32 s45, -1
.LBB63_885:
	s_and_not1_b32 vcc_lo, exec_lo, s1
	s_cbranch_vccnz .LBB63_898
; %bb.886:
	s_cmp_gt_i32 s35, 14
	s_cbranch_scc0 .LBB63_889
; %bb.887:
	s_cmp_eq_u32 s35, 15
	s_cbranch_scc0 .LBB63_892
; %bb.888:
	global_load_u16 v1, v[14:15], off
	s_mov_b32 s45, -1
	s_mov_b32 s49, 0
	s_wait_loadcnt 0x0
	v_lshlrev_b32_e32 v1, 16, v1
	s_delay_alu instid0(VALU_DEP_1) | instskip(NEXT) | instid1(VALU_DEP_1)
	v_trunc_f32_e32 v1, v1
	v_mul_f32_e64 v3, 0x2f800000, |v1|
	v_ashrrev_i32_e32 v4, 31, v1
	s_delay_alu instid0(VALU_DEP_2) | instskip(NEXT) | instid1(VALU_DEP_1)
	v_floor_f32_e32 v3, v3
	v_fma_f32 v5, 0xcf800000, v3, |v1|
	v_cvt_u32_f32_e32 v1, v3
	s_delay_alu instid0(VALU_DEP_2) | instskip(NEXT) | instid1(VALU_DEP_2)
	v_cvt_u32_f32_e32 v3, v5
	v_dual_mov_b32 v5, v4 :: v_dual_bitop2_b32 v17, v1, v4 bitop3:0x14
	s_delay_alu instid0(VALU_DEP_2) | instskip(NEXT) | instid1(VALU_DEP_1)
	v_xor_b32_e32 v16, v3, v4
	v_sub_nc_u64_e32 v[4:5], v[16:17], v[4:5]
	s_branch .LBB63_893
.LBB63_889:
	s_mov_b32 s1, -1
                                        ; implicit-def: $vgpr4_vgpr5
	s_branch .LBB63_894
.LBB63_890:
	s_and_not1_saveexec_b32 s1, s1
	s_cbranch_execz .LBB63_871
.LBB63_891:
	v_cmp_ne_u16_e32 vcc_lo, 0, v1
	s_and_not1_b32 s36, s45, exec_lo
	s_and_b32 s37, vcc_lo, exec_lo
	s_delay_alu instid0(SALU_CYCLE_1)
	s_or_b32 s45, s36, s37
	s_or_b32 exec_lo, exec_lo, s1
	v_mov_b64_e32 v[4:5], 0
	s_and_saveexec_b32 s1, s45
	s_cbranch_execnz .LBB63_872
	s_branch .LBB63_873
.LBB63_892:
	s_mov_b32 s49, -1
                                        ; implicit-def: $vgpr4_vgpr5
.LBB63_893:
	s_mov_b32 s1, 0
.LBB63_894:
	s_delay_alu instid0(SALU_CYCLE_1)
	s_and_b32 vcc_lo, exec_lo, s1
	s_cbranch_vccz .LBB63_898
; %bb.895:
	s_cmp_eq_u32 s35, 11
	s_cbranch_scc0 .LBB63_897
; %bb.896:
	global_load_u8 v1, v[14:15], off
	s_mov_b32 s49, 0
	s_mov_b32 s45, -1
	s_wait_loadcnt 0x1
	v_mov_b32_e32 v5, s49
	s_wait_loadcnt 0x0
	v_cmp_ne_u16_e32 vcc_lo, 0, v1
	v_cndmask_b32_e64 v4, 0, 1, vcc_lo
	s_branch .LBB63_898
.LBB63_897:
	s_mov_b32 s49, -1
                                        ; implicit-def: $vgpr4_vgpr5
.LBB63_898:
	s_mov_b32 s1, 0
.LBB63_899:
	s_delay_alu instid0(SALU_CYCLE_1)
	s_and_b32 vcc_lo, exec_lo, s1
	s_cbranch_vccz .LBB63_948
; %bb.900:
	s_and_b32 s0, 0xffff, s0
	s_delay_alu instid0(SALU_CYCLE_1)
	s_cmp_lt_i32 s0, 5
	s_cbranch_scc1 .LBB63_905
; %bb.901:
	s_cmp_lt_i32 s0, 8
	s_cbranch_scc1 .LBB63_906
; %bb.902:
	;; [unrolled: 3-line block ×3, first 2 shown]
	s_cmp_gt_i32 s0, 9
	s_cbranch_scc0 .LBB63_908
; %bb.904:
	s_wait_loadcnt 0x0
	global_load_b64 v[4:5], v[14:15], off
	s_mov_b32 s1, 0
	s_wait_loadcnt 0x0
	v_trunc_f64_e32 v[4:5], v[4:5]
	s_delay_alu instid0(VALU_DEP_1) | instskip(NEXT) | instid1(VALU_DEP_1)
	v_ldexp_f64 v[16:17], v[4:5], 0xffffffe0
	v_floor_f64_e32 v[16:17], v[16:17]
	s_delay_alu instid0(VALU_DEP_1) | instskip(SKIP_1) | instid1(VALU_DEP_2)
	v_fmamk_f64 v[18:19], v[16:17], 0xc1f00000, v[4:5]
	v_cvt_i32_f64_e32 v5, v[16:17]
	v_cvt_u32_f64_e32 v4, v[18:19]
	s_branch .LBB63_909
.LBB63_905:
	s_mov_b32 s1, -1
                                        ; implicit-def: $vgpr4_vgpr5
	s_branch .LBB63_927
.LBB63_906:
	s_mov_b32 s1, -1
                                        ; implicit-def: $vgpr4_vgpr5
	s_branch .LBB63_915
.LBB63_907:
	s_mov_b32 s1, -1
                                        ; implicit-def: $vgpr4_vgpr5
	s_branch .LBB63_912
.LBB63_908:
	s_mov_b32 s1, -1
                                        ; implicit-def: $vgpr4_vgpr5
.LBB63_909:
	s_delay_alu instid0(SALU_CYCLE_1)
	s_and_not1_b32 vcc_lo, exec_lo, s1
	s_cbranch_vccnz .LBB63_911
; %bb.910:
	global_load_b32 v1, v[14:15], off
	s_wait_loadcnt 0x0
	v_trunc_f32_e32 v1, v1
	s_delay_alu instid0(VALU_DEP_1) | instskip(SKIP_1) | instid1(VALU_DEP_2)
	v_mul_f32_e64 v3, 0x2f800000, |v1|
	v_ashrrev_i32_e32 v4, 31, v1
	v_floor_f32_e32 v3, v3
	s_delay_alu instid0(VALU_DEP_1) | instskip(SKIP_1) | instid1(VALU_DEP_2)
	v_fma_f32 v5, 0xcf800000, v3, |v1|
	v_cvt_u32_f32_e32 v1, v3
	v_cvt_u32_f32_e32 v3, v5
	s_delay_alu instid0(VALU_DEP_2) | instskip(NEXT) | instid1(VALU_DEP_2)
	v_dual_mov_b32 v5, v4 :: v_dual_bitop2_b32 v17, v1, v4 bitop3:0x14
	v_xor_b32_e32 v16, v3, v4
	s_delay_alu instid0(VALU_DEP_1)
	v_sub_nc_u64_e32 v[4:5], v[16:17], v[4:5]
.LBB63_911:
	s_mov_b32 s1, 0
.LBB63_912:
	s_delay_alu instid0(SALU_CYCLE_1)
	s_and_not1_b32 vcc_lo, exec_lo, s1
	s_cbranch_vccnz .LBB63_914
; %bb.913:
	global_load_b32 v1, v[14:15], off
	s_wait_loadcnt 0x0
	v_cvt_f32_f16_e32 v1, v1
	s_delay_alu instid0(VALU_DEP_1) | instskip(NEXT) | instid1(VALU_DEP_1)
	v_cvt_i32_f32_e32 v4, v1
	v_ashrrev_i32_e32 v5, 31, v4
.LBB63_914:
	s_mov_b32 s1, 0
.LBB63_915:
	s_delay_alu instid0(SALU_CYCLE_1)
	s_and_not1_b32 vcc_lo, exec_lo, s1
	s_cbranch_vccnz .LBB63_926
; %bb.916:
	s_cmp_lt_i32 s0, 6
	s_cbranch_scc1 .LBB63_919
; %bb.917:
	s_cmp_gt_i32 s0, 6
	s_cbranch_scc0 .LBB63_920
; %bb.918:
	s_wait_loadcnt 0x0
	global_load_b64 v[4:5], v[14:15], off
	s_mov_b32 s1, 0
	s_wait_loadcnt 0x0
	v_trunc_f64_e32 v[4:5], v[4:5]
	s_delay_alu instid0(VALU_DEP_1) | instskip(NEXT) | instid1(VALU_DEP_1)
	v_ldexp_f64 v[16:17], v[4:5], 0xffffffe0
	v_floor_f64_e32 v[16:17], v[16:17]
	s_delay_alu instid0(VALU_DEP_1) | instskip(SKIP_1) | instid1(VALU_DEP_2)
	v_fmamk_f64 v[18:19], v[16:17], 0xc1f00000, v[4:5]
	v_cvt_i32_f64_e32 v5, v[16:17]
	v_cvt_u32_f64_e32 v4, v[18:19]
	s_branch .LBB63_921
.LBB63_919:
	s_mov_b32 s1, -1
                                        ; implicit-def: $vgpr4_vgpr5
	s_branch .LBB63_924
.LBB63_920:
	s_mov_b32 s1, -1
                                        ; implicit-def: $vgpr4_vgpr5
.LBB63_921:
	s_delay_alu instid0(SALU_CYCLE_1)
	s_and_not1_b32 vcc_lo, exec_lo, s1
	s_cbranch_vccnz .LBB63_923
; %bb.922:
	global_load_b32 v1, v[14:15], off
	s_wait_loadcnt 0x0
	v_trunc_f32_e32 v1, v1
	s_delay_alu instid0(VALU_DEP_1) | instskip(SKIP_1) | instid1(VALU_DEP_2)
	v_mul_f32_e64 v3, 0x2f800000, |v1|
	v_ashrrev_i32_e32 v4, 31, v1
	v_floor_f32_e32 v3, v3
	s_delay_alu instid0(VALU_DEP_1) | instskip(SKIP_1) | instid1(VALU_DEP_2)
	v_fma_f32 v5, 0xcf800000, v3, |v1|
	v_cvt_u32_f32_e32 v1, v3
	v_cvt_u32_f32_e32 v3, v5
	s_delay_alu instid0(VALU_DEP_2) | instskip(NEXT) | instid1(VALU_DEP_2)
	v_dual_mov_b32 v5, v4 :: v_dual_bitop2_b32 v17, v1, v4 bitop3:0x14
	v_xor_b32_e32 v16, v3, v4
	s_delay_alu instid0(VALU_DEP_1)
	v_sub_nc_u64_e32 v[4:5], v[16:17], v[4:5]
.LBB63_923:
	s_mov_b32 s1, 0
.LBB63_924:
	s_delay_alu instid0(SALU_CYCLE_1)
	s_and_not1_b32 vcc_lo, exec_lo, s1
	s_cbranch_vccnz .LBB63_926
; %bb.925:
	global_load_u16 v1, v[14:15], off
	s_wait_loadcnt 0x0
	v_cvt_f32_f16_e32 v1, v1
	s_delay_alu instid0(VALU_DEP_1) | instskip(NEXT) | instid1(VALU_DEP_1)
	v_cvt_i32_f32_e32 v4, v1
	v_ashrrev_i32_e32 v5, 31, v4
.LBB63_926:
	s_mov_b32 s1, 0
.LBB63_927:
	s_delay_alu instid0(SALU_CYCLE_1)
	s_and_not1_b32 vcc_lo, exec_lo, s1
	s_cbranch_vccnz .LBB63_947
; %bb.928:
	s_cmp_lt_i32 s0, 2
	s_cbranch_scc1 .LBB63_932
; %bb.929:
	s_cmp_lt_i32 s0, 3
	s_cbranch_scc1 .LBB63_933
; %bb.930:
	s_cmp_gt_i32 s0, 3
	s_cbranch_scc0 .LBB63_934
; %bb.931:
	s_wait_loadcnt 0x0
	global_load_b64 v[4:5], v[14:15], off
	s_mov_b32 s1, 0
	s_branch .LBB63_935
.LBB63_932:
	s_mov_b32 s1, -1
                                        ; implicit-def: $vgpr4_vgpr5
	s_branch .LBB63_941
.LBB63_933:
	s_mov_b32 s1, -1
                                        ; implicit-def: $vgpr4_vgpr5
	s_branch .LBB63_938
.LBB63_934:
	s_mov_b32 s1, -1
                                        ; implicit-def: $vgpr4_vgpr5
.LBB63_935:
	s_delay_alu instid0(SALU_CYCLE_1)
	s_and_not1_b32 vcc_lo, exec_lo, s1
	s_cbranch_vccnz .LBB63_937
; %bb.936:
	s_wait_loadcnt 0x0
	global_load_b32 v4, v[14:15], off
	s_wait_loadcnt 0x0
	v_ashrrev_i32_e32 v5, 31, v4
.LBB63_937:
	s_mov_b32 s1, 0
.LBB63_938:
	s_delay_alu instid0(SALU_CYCLE_1)
	s_and_not1_b32 vcc_lo, exec_lo, s1
	s_cbranch_vccnz .LBB63_940
; %bb.939:
	global_load_u16 v1, v[14:15], off
	s_wait_loadcnt 0x0
	v_bfe_i32 v4, v1, 0, 16
	s_delay_alu instid0(VALU_DEP_1)
	v_ashrrev_i32_e32 v5, 31, v4
.LBB63_940:
	s_mov_b32 s1, 0
.LBB63_941:
	s_delay_alu instid0(SALU_CYCLE_1)
	s_and_not1_b32 vcc_lo, exec_lo, s1
	s_cbranch_vccnz .LBB63_947
; %bb.942:
	s_cmp_gt_i32 s0, 0
	s_mov_b32 s0, 0
	s_cbranch_scc0 .LBB63_944
; %bb.943:
	global_load_i8 v1, v[14:15], off
	s_wait_loadcnt 0x0
	v_bfe_i32 v4, v1, 0, 16
	s_delay_alu instid0(VALU_DEP_1)
	v_ashrrev_i32_e32 v5, 31, v4
	s_branch .LBB63_945
.LBB63_944:
	s_mov_b32 s0, -1
                                        ; implicit-def: $vgpr4_vgpr5
.LBB63_945:
	s_delay_alu instid0(SALU_CYCLE_1)
	s_and_not1_b32 vcc_lo, exec_lo, s0
	s_cbranch_vccnz .LBB63_947
; %bb.946:
	global_load_u8 v1, v[14:15], off
	s_mov_b32 s0, 0
	s_wait_loadcnt 0x1
	v_mov_b32_e32 v5, s0
	s_wait_loadcnt 0x0
	v_and_b32_e32 v4, 0xffff, v1
.LBB63_947:
	s_mov_b32 s45, -1
.LBB63_948:
	s_delay_alu instid0(SALU_CYCLE_1)
	s_and_not1_b32 vcc_lo, exec_lo, s45
	s_cbranch_vccnz .LBB63_956
; %bb.949:
	s_load_b512 s[4:19], s[2:3], 0x248
	v_mov_b32_e32 v9, 0
	s_and_b32 s0, s82, 0xff
	s_delay_alu instid0(SALU_CYCLE_1) | instskip(SKIP_1) | instid1(VALU_DEP_1)
	s_cmp_lt_i32 s0, 11
	s_wait_kmcnt 0x0
	v_add_nc_u64_e32 v[14:15], s[8:9], v[8:9]
	s_cbranch_scc1 .LBB63_958
; %bb.950:
	s_and_b32 s35, 0xffff, s0
	s_delay_alu instid0(SALU_CYCLE_1)
	s_cmp_gt_i32 s35, 25
	s_cbranch_scc0 .LBB63_959
; %bb.951:
	s_cmp_gt_i32 s35, 28
	s_mov_b64 s[14:15], s[78:79]
	s_mov_b32 s12, s76
	s_cbranch_scc0 .LBB63_960
; %bb.952:
	s_cmp_gt_i32 s35, 43
	s_cbranch_scc0 .LBB63_961
; %bb.953:
	s_cmp_gt_i32 s35, 45
	s_cbranch_scc0 .LBB63_962
; %bb.954:
	s_cmp_eq_u32 s35, 46
	s_mov_b32 s1, 0
	s_cbranch_scc0 .LBB63_969
; %bb.955:
	global_load_b32 v1, v[14:15], off
	s_mov_b32 s45, -1
	s_mov_b32 s4, 0
	s_wait_loadcnt 0x0
	v_lshlrev_b32_e32 v1, 16, v1
	s_delay_alu instid0(VALU_DEP_1) | instskip(NEXT) | instid1(VALU_DEP_1)
	v_trunc_f32_e32 v1, v1
	v_mul_f32_e64 v3, 0x2f800000, |v1|
	v_ashrrev_i32_e32 v8, 31, v1
	s_delay_alu instid0(VALU_DEP_2) | instskip(NEXT) | instid1(VALU_DEP_2)
	v_floor_f32_e32 v3, v3
	v_mov_b32_e32 v9, v8
	s_delay_alu instid0(VALU_DEP_2) | instskip(SKIP_1) | instid1(VALU_DEP_2)
	v_fma_f32 v7, 0xcf800000, v3, |v1|
	v_cvt_u32_f32_e32 v1, v3
	v_cvt_u32_f32_e32 v3, v7
	s_delay_alu instid0(VALU_DEP_2) | instskip(NEXT) | instid1(VALU_DEP_2)
	v_xor_b32_e32 v17, v1, v8
	v_xor_b32_e32 v16, v3, v8
	s_delay_alu instid0(VALU_DEP_1)
	v_sub_nc_u64_e32 v[8:9], v[16:17], v[8:9]
	s_branch .LBB63_971
.LBB63_956:
	s_mov_b32 s0, 0
	s_mov_b32 s1, s101
	;; [unrolled: 1-line block ×3, first 2 shown]
	s_mov_b32 s58, vcc_hi
	s_mov_b32 s60, s99
	s_mov_b32 s59, s100
	;; [unrolled: 1-line block ×6, first 2 shown]
.LBB63_957:
	s_mov_b64 s[14:15], s[78:79]
	s_mov_b32 s12, s76
	s_branch .LBB63_1210
.LBB63_958:
	s_mov_b32 s1, -1
	s_mov_b32 s45, 0
	s_mov_b32 s4, s96
                                        ; implicit-def: $vgpr8_vgpr9
	s_mov_b64 s[14:15], s[78:79]
	s_mov_b32 s12, s76
	s_branch .LBB63_1152
.LBB63_959:
	s_mov_b32 s1, -1
	s_mov_b32 s45, 0
	s_mov_b32 s4, s96
	s_mov_b64 s[14:15], s[78:79]
	s_mov_b32 s12, s76
                                        ; implicit-def: $vgpr8_vgpr9
	s_branch .LBB63_1118
.LBB63_960:
	s_mov_b32 s1, -1
	s_mov_b32 s45, 0
	s_mov_b32 s4, s96
                                        ; implicit-def: $vgpr8_vgpr9
	s_branch .LBB63_1101
.LBB63_961:
	s_mov_b32 s1, -1
	s_mov_b32 s45, 0
	s_mov_b32 s4, s96
                                        ; implicit-def: $vgpr8_vgpr9
	s_branch .LBB63_1096
.LBB63_962:
	s_mov_b32 s1, -1
	s_mov_b32 s45, 0
	s_mov_b32 s4, s96
	s_branch .LBB63_970
.LBB63_963:
	s_mov_b32 s1, -1
	s_mov_b32 s88, 0
	s_branch .LBB63_2717
.LBB63_964:
	s_mov_b32 s46, -1
	s_mov_b32 s47, 0
.LBB63_965:
                                        ; implicit-def: $vgpr12_vgpr13
.LBB63_966:
	s_and_b32 vcc_lo, exec_lo, s1
	s_cbranch_vccz .LBB63_975
; %bb.967:
	s_cmp_eq_u32 s35, 44
	s_cbranch_scc0 .LBB63_974
; %bb.968:
	global_load_u8 v1, v[14:15], off
	s_mov_b32 s46, 0
	s_mov_b32 s47, -1
	s_wait_loadcnt 0x0
	v_lshlrev_b32_e32 v3, 23, v1
	v_cmp_ne_u32_e32 vcc_lo, 0, v1
	s_delay_alu instid0(VALU_DEP_2) | instskip(NEXT) | instid1(VALU_DEP_1)
	v_trunc_f32_e32 v3, v3
	v_mul_f32_e64 v7, 0x2f800000, |v3|
	v_ashrrev_i32_e32 v12, 31, v3
	s_delay_alu instid0(VALU_DEP_2) | instskip(NEXT) | instid1(VALU_DEP_2)
	v_floor_f32_e32 v7, v7
	v_mov_b32_e32 v13, v12
	s_delay_alu instid0(VALU_DEP_2) | instskip(SKIP_1) | instid1(VALU_DEP_2)
	v_fma_f32 v11, 0xcf800000, v7, |v3|
	v_cvt_u32_f32_e32 v3, v7
	v_cvt_u32_f32_e32 v7, v11
	s_delay_alu instid0(VALU_DEP_2) | instskip(NEXT) | instid1(VALU_DEP_2)
	v_xor_b32_e32 v17, v3, v12
	v_xor_b32_e32 v16, v7, v12
	s_delay_alu instid0(VALU_DEP_1) | instskip(NEXT) | instid1(VALU_DEP_1)
	v_sub_nc_u64_e32 v[12:13], v[16:17], v[12:13]
	v_dual_cndmask_b32 v13, 0, v13 :: v_dual_cndmask_b32 v12, 0, v12
	s_branch .LBB63_975
.LBB63_969:
	s_mov_b32 s4, -1
	s_mov_b32 s45, 0
.LBB63_970:
                                        ; implicit-def: $vgpr8_vgpr9
.LBB63_971:
	s_and_b32 vcc_lo, exec_lo, s1
	s_cbranch_vccz .LBB63_1095
; %bb.972:
	s_cmp_eq_u32 s35, 44
	s_cbranch_scc0 .LBB63_1094
; %bb.973:
	global_load_u8 v1, v[14:15], off
	s_mov_b32 s4, 0
	s_mov_b32 s45, -1
	s_wait_loadcnt 0x0
	v_lshlrev_b32_e32 v3, 23, v1
	v_cmp_ne_u32_e32 vcc_lo, 0, v1
	s_delay_alu instid0(VALU_DEP_2) | instskip(NEXT) | instid1(VALU_DEP_1)
	v_trunc_f32_e32 v3, v3
	v_mul_f32_e64 v7, 0x2f800000, |v3|
	v_ashrrev_i32_e32 v8, 31, v3
	s_delay_alu instid0(VALU_DEP_2) | instskip(NEXT) | instid1(VALU_DEP_1)
	v_floor_f32_e32 v7, v7
	v_fma_f32 v9, 0xcf800000, v7, |v3|
	v_cvt_u32_f32_e32 v3, v7
	s_delay_alu instid0(VALU_DEP_2) | instskip(NEXT) | instid1(VALU_DEP_2)
	v_cvt_u32_f32_e32 v7, v9
	v_dual_mov_b32 v9, v8 :: v_dual_bitop2_b32 v17, v3, v8 bitop3:0x14
	s_delay_alu instid0(VALU_DEP_2) | instskip(NEXT) | instid1(VALU_DEP_1)
	v_xor_b32_e32 v16, v7, v8
	v_sub_nc_u64_e32 v[8:9], v[16:17], v[8:9]
	s_delay_alu instid0(VALU_DEP_1)
	v_dual_cndmask_b32 v9, 0, v9 :: v_dual_cndmask_b32 v8, 0, v8
	s_branch .LBB63_1095
.LBB63_974:
	s_mov_b32 s46, -1
                                        ; implicit-def: $vgpr12_vgpr13
.LBB63_975:
	s_mov_b32 s1, 0
.LBB63_976:
	s_delay_alu instid0(SALU_CYCLE_1)
	s_and_b32 vcc_lo, exec_lo, s1
	s_cbranch_vccz .LBB63_980
; %bb.977:
	s_cmp_eq_u32 s35, 29
	s_cbranch_scc0 .LBB63_979
; %bb.978:
	global_load_b64 v[12:13], v[14:15], off
	s_mov_b32 s47, -1
	s_mov_b32 s46, 0
	s_branch .LBB63_980
.LBB63_979:
	s_mov_b32 s46, -1
                                        ; implicit-def: $vgpr12_vgpr13
.LBB63_980:
	s_mov_b32 s1, 0
.LBB63_981:
	s_delay_alu instid0(SALU_CYCLE_1)
	s_and_b32 vcc_lo, exec_lo, s1
	s_cbranch_vccz .LBB63_997
; %bb.982:
	s_cmp_lt_i32 s35, 27
	s_cbranch_scc1 .LBB63_985
; %bb.983:
	s_cmp_gt_i32 s35, 27
	s_cbranch_scc0 .LBB63_986
; %bb.984:
	s_wait_loadcnt 0x0
	global_load_b32 v12, v[14:15], off
	v_mov_b32_e32 v13, 0
	s_mov_b32 s1, 0
	s_branch .LBB63_987
.LBB63_985:
	s_mov_b32 s1, -1
                                        ; implicit-def: $vgpr12_vgpr13
	s_branch .LBB63_990
.LBB63_986:
	s_mov_b32 s1, -1
                                        ; implicit-def: $vgpr12_vgpr13
.LBB63_987:
	s_delay_alu instid0(SALU_CYCLE_1)
	s_and_not1_b32 vcc_lo, exec_lo, s1
	s_cbranch_vccnz .LBB63_989
; %bb.988:
	global_load_u16 v1, v[14:15], off
	s_mov_b32 s1, 0
	s_wait_loadcnt 0x1
	v_mov_b32_e32 v13, s1
	s_wait_loadcnt 0x0
	v_and_b32_e32 v12, 0xffff, v1
.LBB63_989:
	s_mov_b32 s1, 0
.LBB63_990:
	s_delay_alu instid0(SALU_CYCLE_1)
	s_and_not1_b32 vcc_lo, exec_lo, s1
	s_cbranch_vccnz .LBB63_996
; %bb.991:
	global_load_u8 v1, v[14:15], off
	s_mov_b32 s47, 0
	s_mov_b32 s1, exec_lo
	s_wait_loadcnt 0x0
	v_cmpx_lt_i16_e32 0x7f, v1
	s_xor_b32 s1, exec_lo, s1
	s_cbranch_execz .LBB63_1008
; %bb.992:
	v_cmp_ne_u16_e32 vcc_lo, 0x80, v1
	s_and_b32 s47, vcc_lo, exec_lo
	s_and_not1_saveexec_b32 s1, s1
	s_cbranch_execnz .LBB63_1009
.LBB63_993:
	s_or_b32 exec_lo, exec_lo, s1
	v_mov_b64_e32 v[12:13], 0
	s_and_saveexec_b32 s1, s47
	s_cbranch_execz .LBB63_995
.LBB63_994:
	v_and_b32_e32 v3, 0xffff, v1
	s_delay_alu instid0(VALU_DEP_1) | instskip(SKIP_1) | instid1(VALU_DEP_2)
	v_dual_lshlrev_b32 v1, 24, v1 :: v_dual_bitop2_b32 v7, 7, v3 bitop3:0x40
	v_bfe_u32 v13, v3, 3, 4
	v_and_b32_e32 v1, 0x80000000, v1
	s_delay_alu instid0(VALU_DEP_3) | instskip(NEXT) | instid1(VALU_DEP_3)
	v_clz_i32_u32_e32 v11, v7
	v_cmp_eq_u32_e32 vcc_lo, 0, v13
	s_delay_alu instid0(VALU_DEP_2) | instskip(NEXT) | instid1(VALU_DEP_1)
	v_min_u32_e32 v11, 32, v11
	v_subrev_nc_u32_e32 v12, 28, v11
	v_sub_nc_u32_e32 v11, 29, v11
	s_delay_alu instid0(VALU_DEP_2) | instskip(NEXT) | instid1(VALU_DEP_2)
	v_lshlrev_b32_e32 v3, v12, v3
	v_cndmask_b32_e32 v11, v13, v11, vcc_lo
	s_delay_alu instid0(VALU_DEP_2) | instskip(NEXT) | instid1(VALU_DEP_1)
	v_and_b32_e32 v3, 7, v3
	v_cndmask_b32_e32 v3, v7, v3, vcc_lo
	s_delay_alu instid0(VALU_DEP_3) | instskip(NEXT) | instid1(VALU_DEP_2)
	v_lshl_add_u32 v7, v11, 23, 0x3b800000
	v_lshlrev_b32_e32 v3, 20, v3
	s_delay_alu instid0(VALU_DEP_1) | instskip(NEXT) | instid1(VALU_DEP_1)
	v_or3_b32 v1, v1, v7, v3
	v_trunc_f32_e32 v1, v1
	s_delay_alu instid0(VALU_DEP_1) | instskip(SKIP_1) | instid1(VALU_DEP_2)
	v_mul_f32_e64 v3, 0x2f800000, |v1|
	v_ashrrev_i32_e32 v12, 31, v1
	v_floor_f32_e32 v3, v3
	s_delay_alu instid0(VALU_DEP_2) | instskip(NEXT) | instid1(VALU_DEP_2)
	v_mov_b32_e32 v13, v12
	v_fma_f32 v7, 0xcf800000, v3, |v1|
	v_cvt_u32_f32_e32 v1, v3
	s_delay_alu instid0(VALU_DEP_2) | instskip(NEXT) | instid1(VALU_DEP_2)
	v_cvt_u32_f32_e32 v3, v7
	v_xor_b32_e32 v17, v1, v12
	s_delay_alu instid0(VALU_DEP_2) | instskip(NEXT) | instid1(VALU_DEP_1)
	v_xor_b32_e32 v16, v3, v12
	v_sub_nc_u64_e32 v[12:13], v[16:17], v[12:13]
.LBB63_995:
	s_or_b32 exec_lo, exec_lo, s1
.LBB63_996:
	s_mov_b32 s47, -1
.LBB63_997:
	s_mov_b32 s1, 0
.LBB63_998:
	s_delay_alu instid0(SALU_CYCLE_1)
	s_and_b32 vcc_lo, exec_lo, s1
	s_cbranch_vccz .LBB63_1031
; %bb.999:
	s_cmp_gt_i32 s35, 22
	s_cbranch_scc0 .LBB63_1007
; %bb.1000:
	s_cmp_lt_i32 s35, 24
	s_cbranch_scc1 .LBB63_1010
; %bb.1001:
	s_cmp_gt_i32 s35, 24
	s_cbranch_scc0 .LBB63_1011
; %bb.1002:
	global_load_u8 v1, v[14:15], off
	s_mov_b32 s47, 0
	s_mov_b32 s1, exec_lo
	s_wait_loadcnt 0x0
	v_cmpx_lt_i16_e32 0x7f, v1
	s_xor_b32 s1, exec_lo, s1
	s_cbranch_execz .LBB63_1023
; %bb.1003:
	v_cmp_ne_u16_e32 vcc_lo, 0x80, v1
	s_and_b32 s47, vcc_lo, exec_lo
	s_and_not1_saveexec_b32 s1, s1
	s_cbranch_execnz .LBB63_1024
.LBB63_1004:
	s_or_b32 exec_lo, exec_lo, s1
	v_mov_b64_e32 v[12:13], 0
	s_and_saveexec_b32 s1, s47
	s_cbranch_execz .LBB63_1006
.LBB63_1005:
	v_and_b32_e32 v3, 0xffff, v1
	s_delay_alu instid0(VALU_DEP_1) | instskip(SKIP_1) | instid1(VALU_DEP_2)
	v_dual_lshlrev_b32 v1, 24, v1 :: v_dual_bitop2_b32 v7, 3, v3 bitop3:0x40
	v_bfe_u32 v13, v3, 2, 5
	v_and_b32_e32 v1, 0x80000000, v1
	s_delay_alu instid0(VALU_DEP_3) | instskip(NEXT) | instid1(VALU_DEP_3)
	v_clz_i32_u32_e32 v11, v7
	v_cmp_eq_u32_e32 vcc_lo, 0, v13
	s_delay_alu instid0(VALU_DEP_2) | instskip(NEXT) | instid1(VALU_DEP_1)
	v_min_u32_e32 v11, 32, v11
	v_subrev_nc_u32_e32 v12, 29, v11
	v_sub_nc_u32_e32 v11, 30, v11
	s_delay_alu instid0(VALU_DEP_2) | instskip(NEXT) | instid1(VALU_DEP_2)
	v_lshlrev_b32_e32 v3, v12, v3
	v_cndmask_b32_e32 v11, v13, v11, vcc_lo
	s_delay_alu instid0(VALU_DEP_2) | instskip(NEXT) | instid1(VALU_DEP_1)
	v_and_b32_e32 v3, 3, v3
	v_cndmask_b32_e32 v3, v7, v3, vcc_lo
	s_delay_alu instid0(VALU_DEP_3) | instskip(NEXT) | instid1(VALU_DEP_2)
	v_lshl_add_u32 v7, v11, 23, 0x37800000
	v_lshlrev_b32_e32 v3, 21, v3
	s_delay_alu instid0(VALU_DEP_1) | instskip(NEXT) | instid1(VALU_DEP_1)
	v_or3_b32 v1, v1, v7, v3
	v_trunc_f32_e32 v1, v1
	s_delay_alu instid0(VALU_DEP_1) | instskip(SKIP_1) | instid1(VALU_DEP_2)
	v_mul_f32_e64 v3, 0x2f800000, |v1|
	v_ashrrev_i32_e32 v12, 31, v1
	v_floor_f32_e32 v3, v3
	s_delay_alu instid0(VALU_DEP_2) | instskip(NEXT) | instid1(VALU_DEP_2)
	v_mov_b32_e32 v13, v12
	v_fma_f32 v7, 0xcf800000, v3, |v1|
	v_cvt_u32_f32_e32 v1, v3
	s_delay_alu instid0(VALU_DEP_2) | instskip(NEXT) | instid1(VALU_DEP_2)
	v_cvt_u32_f32_e32 v3, v7
	v_xor_b32_e32 v17, v1, v12
	s_delay_alu instid0(VALU_DEP_2) | instskip(NEXT) | instid1(VALU_DEP_1)
	v_xor_b32_e32 v16, v3, v12
	v_sub_nc_u64_e32 v[12:13], v[16:17], v[12:13]
.LBB63_1006:
	s_or_b32 exec_lo, exec_lo, s1
	s_mov_b32 s1, 0
	s_branch .LBB63_1012
.LBB63_1007:
	s_mov_b32 s1, -1
                                        ; implicit-def: $vgpr12_vgpr13
	s_branch .LBB63_1018
.LBB63_1008:
	s_and_not1_saveexec_b32 s1, s1
	s_cbranch_execz .LBB63_993
.LBB63_1009:
	v_cmp_ne_u16_e32 vcc_lo, 0, v1
	s_and_not1_b32 s36, s47, exec_lo
	s_and_b32 s37, vcc_lo, exec_lo
	s_delay_alu instid0(SALU_CYCLE_1)
	s_or_b32 s47, s36, s37
	s_or_b32 exec_lo, exec_lo, s1
	v_mov_b64_e32 v[12:13], 0
	s_and_saveexec_b32 s1, s47
	s_cbranch_execnz .LBB63_994
	s_branch .LBB63_995
.LBB63_1010:
	s_mov_b32 s1, -1
                                        ; implicit-def: $vgpr12_vgpr13
	s_branch .LBB63_1015
.LBB63_1011:
	s_mov_b32 s1, -1
                                        ; implicit-def: $vgpr12_vgpr13
.LBB63_1012:
	s_delay_alu instid0(SALU_CYCLE_1)
	s_and_b32 vcc_lo, exec_lo, s1
	s_cbranch_vccz .LBB63_1014
; %bb.1013:
	global_load_u8 v1, v[14:15], off
	s_wait_loadcnt 0x0
	v_lshlrev_b32_e32 v1, 24, v1
	s_delay_alu instid0(VALU_DEP_1) | instskip(NEXT) | instid1(VALU_DEP_1)
	v_and_b32_e32 v3, 0x7f000000, v1
	v_clz_i32_u32_e32 v7, v3
	v_add_nc_u32_e32 v12, 0x1000000, v3
	v_cmp_ne_u32_e32 vcc_lo, 0, v3
	s_delay_alu instid0(VALU_DEP_3) | instskip(NEXT) | instid1(VALU_DEP_1)
	v_min_u32_e32 v7, 32, v7
	v_sub_nc_u32_e64 v7, v7, 4 clamp
	s_delay_alu instid0(VALU_DEP_1) | instskip(SKIP_1) | instid1(VALU_DEP_2)
	v_lshlrev_b32_e32 v11, v7, v3
	v_lshlrev_b32_e32 v7, 23, v7
	v_lshrrev_b32_e32 v11, 4, v11
	s_delay_alu instid0(VALU_DEP_1) | instskip(NEXT) | instid1(VALU_DEP_1)
	v_dual_sub_nc_u32 v7, v11, v7 :: v_dual_ashrrev_i32 v11, 8, v12
	v_add_nc_u32_e32 v7, 0x3c000000, v7
	s_delay_alu instid0(VALU_DEP_1) | instskip(NEXT) | instid1(VALU_DEP_1)
	v_and_or_b32 v7, 0x7f800000, v11, v7
	v_cndmask_b32_e32 v3, 0, v7, vcc_lo
	s_delay_alu instid0(VALU_DEP_1) | instskip(NEXT) | instid1(VALU_DEP_1)
	v_and_or_b32 v1, 0x80000000, v1, v3
	v_trunc_f32_e32 v1, v1
	s_delay_alu instid0(VALU_DEP_1) | instskip(SKIP_1) | instid1(VALU_DEP_2)
	v_mul_f32_e64 v3, 0x2f800000, |v1|
	v_ashrrev_i32_e32 v12, 31, v1
	v_floor_f32_e32 v3, v3
	s_delay_alu instid0(VALU_DEP_2) | instskip(NEXT) | instid1(VALU_DEP_2)
	v_mov_b32_e32 v13, v12
	v_fma_f32 v7, 0xcf800000, v3, |v1|
	v_cvt_u32_f32_e32 v1, v3
	s_delay_alu instid0(VALU_DEP_2) | instskip(NEXT) | instid1(VALU_DEP_2)
	v_cvt_u32_f32_e32 v3, v7
	v_xor_b32_e32 v17, v1, v12
	s_delay_alu instid0(VALU_DEP_2) | instskip(NEXT) | instid1(VALU_DEP_1)
	v_xor_b32_e32 v16, v3, v12
	v_sub_nc_u64_e32 v[12:13], v[16:17], v[12:13]
.LBB63_1014:
	s_mov_b32 s1, 0
.LBB63_1015:
	s_delay_alu instid0(SALU_CYCLE_1)
	s_and_not1_b32 vcc_lo, exec_lo, s1
	s_cbranch_vccnz .LBB63_1017
; %bb.1016:
	global_load_u8 v1, v[14:15], off
	s_wait_loadcnt 0x0
	v_lshlrev_b32_e32 v3, 25, v1
	v_lshlrev_b16 v1, 8, v1
	s_delay_alu instid0(VALU_DEP_1) | instskip(SKIP_1) | instid1(VALU_DEP_2)
	v_and_or_b32 v11, 0x7f00, v1, 0.5
	v_bfe_i32 v1, v1, 0, 16
	v_add_f32_e32 v11, -0.5, v11
	v_lshrrev_b32_e32 v7, 4, v3
	v_cmp_gt_u32_e32 vcc_lo, 0x8000000, v3
	s_delay_alu instid0(VALU_DEP_2) | instskip(NEXT) | instid1(VALU_DEP_1)
	v_or_b32_e32 v7, 0x70000000, v7
	v_mul_f32_e32 v7, 0x7800000, v7
	s_delay_alu instid0(VALU_DEP_1) | instskip(NEXT) | instid1(VALU_DEP_1)
	v_cndmask_b32_e32 v3, v7, v11, vcc_lo
	v_and_or_b32 v1, 0x80000000, v1, v3
	s_delay_alu instid0(VALU_DEP_1) | instskip(NEXT) | instid1(VALU_DEP_1)
	v_trunc_f32_e32 v1, v1
	v_mul_f32_e64 v3, 0x2f800000, |v1|
	v_ashrrev_i32_e32 v12, 31, v1
	s_delay_alu instid0(VALU_DEP_2) | instskip(NEXT) | instid1(VALU_DEP_2)
	v_floor_f32_e32 v3, v3
	v_mov_b32_e32 v13, v12
	s_delay_alu instid0(VALU_DEP_2) | instskip(SKIP_1) | instid1(VALU_DEP_2)
	v_fma_f32 v7, 0xcf800000, v3, |v1|
	v_cvt_u32_f32_e32 v1, v3
	v_cvt_u32_f32_e32 v3, v7
	s_delay_alu instid0(VALU_DEP_2) | instskip(NEXT) | instid1(VALU_DEP_2)
	v_xor_b32_e32 v17, v1, v12
	v_xor_b32_e32 v16, v3, v12
	s_delay_alu instid0(VALU_DEP_1)
	v_sub_nc_u64_e32 v[12:13], v[16:17], v[12:13]
.LBB63_1017:
	s_mov_b32 s1, 0
	s_mov_b32 s47, -1
.LBB63_1018:
	s_and_not1_b32 vcc_lo, exec_lo, s1
	s_cbranch_vccnz .LBB63_1031
; %bb.1019:
	s_cmp_gt_i32 s35, 14
	s_cbranch_scc0 .LBB63_1022
; %bb.1020:
	s_cmp_eq_u32 s35, 15
	s_cbranch_scc0 .LBB63_1025
; %bb.1021:
	global_load_u16 v1, v[14:15], off
	s_mov_b32 s47, -1
	s_mov_b32 s46, 0
	s_wait_loadcnt 0x0
	v_lshlrev_b32_e32 v1, 16, v1
	s_delay_alu instid0(VALU_DEP_1) | instskip(NEXT) | instid1(VALU_DEP_1)
	v_trunc_f32_e32 v1, v1
	v_mul_f32_e64 v3, 0x2f800000, |v1|
	v_ashrrev_i32_e32 v12, 31, v1
	s_delay_alu instid0(VALU_DEP_2) | instskip(NEXT) | instid1(VALU_DEP_2)
	v_floor_f32_e32 v3, v3
	v_mov_b32_e32 v13, v12
	s_delay_alu instid0(VALU_DEP_2) | instskip(SKIP_1) | instid1(VALU_DEP_2)
	v_fma_f32 v7, 0xcf800000, v3, |v1|
	v_cvt_u32_f32_e32 v1, v3
	v_cvt_u32_f32_e32 v3, v7
	s_delay_alu instid0(VALU_DEP_2) | instskip(NEXT) | instid1(VALU_DEP_2)
	v_xor_b32_e32 v17, v1, v12
	v_xor_b32_e32 v16, v3, v12
	s_delay_alu instid0(VALU_DEP_1)
	v_sub_nc_u64_e32 v[12:13], v[16:17], v[12:13]
	s_branch .LBB63_1026
.LBB63_1022:
	s_mov_b32 s1, -1
                                        ; implicit-def: $vgpr12_vgpr13
	s_branch .LBB63_1027
.LBB63_1023:
	s_and_not1_saveexec_b32 s1, s1
	s_cbranch_execz .LBB63_1004
.LBB63_1024:
	v_cmp_ne_u16_e32 vcc_lo, 0, v1
	s_and_not1_b32 s36, s47, exec_lo
	s_and_b32 s37, vcc_lo, exec_lo
	s_delay_alu instid0(SALU_CYCLE_1)
	s_or_b32 s47, s36, s37
	s_or_b32 exec_lo, exec_lo, s1
	v_mov_b64_e32 v[12:13], 0
	s_and_saveexec_b32 s1, s47
	s_cbranch_execnz .LBB63_1005
	s_branch .LBB63_1006
.LBB63_1025:
	s_mov_b32 s46, -1
                                        ; implicit-def: $vgpr12_vgpr13
.LBB63_1026:
	s_mov_b32 s1, 0
.LBB63_1027:
	s_delay_alu instid0(SALU_CYCLE_1)
	s_and_b32 vcc_lo, exec_lo, s1
	s_cbranch_vccz .LBB63_1031
; %bb.1028:
	s_cmp_eq_u32 s35, 11
	s_cbranch_scc0 .LBB63_1030
; %bb.1029:
	global_load_u8 v1, v[14:15], off
	s_mov_b32 s46, 0
	s_mov_b32 s47, -1
	s_wait_loadcnt 0x1
	v_mov_b32_e32 v13, s46
	s_wait_loadcnt 0x0
	v_cmp_ne_u16_e32 vcc_lo, 0, v1
	v_cndmask_b32_e64 v12, 0, 1, vcc_lo
	s_branch .LBB63_1031
.LBB63_1030:
	s_mov_b32 s46, -1
                                        ; implicit-def: $vgpr12_vgpr13
.LBB63_1031:
	s_mov_b32 s1, 0
.LBB63_1032:
	s_delay_alu instid0(SALU_CYCLE_1)
	s_and_b32 vcc_lo, exec_lo, s1
	s_cbranch_vccz .LBB63_1081
; %bb.1033:
	s_and_b32 s0, 0xffff, s0
	s_delay_alu instid0(SALU_CYCLE_1)
	s_cmp_lt_i32 s0, 5
	s_cbranch_scc1 .LBB63_1038
; %bb.1034:
	s_cmp_lt_i32 s0, 8
	s_cbranch_scc1 .LBB63_1039
; %bb.1035:
	;; [unrolled: 3-line block ×3, first 2 shown]
	s_cmp_gt_i32 s0, 9
	s_cbranch_scc0 .LBB63_1041
; %bb.1037:
	s_wait_loadcnt 0x0
	global_load_b64 v[12:13], v[14:15], off
	s_mov_b32 s1, 0
	s_wait_loadcnt 0x0
	v_trunc_f64_e32 v[12:13], v[12:13]
	s_delay_alu instid0(VALU_DEP_1) | instskip(NEXT) | instid1(VALU_DEP_1)
	v_ldexp_f64 v[16:17], v[12:13], 0xffffffe0
	v_floor_f64_e32 v[16:17], v[16:17]
	s_delay_alu instid0(VALU_DEP_1) | instskip(SKIP_1) | instid1(VALU_DEP_2)
	v_fmamk_f64 v[18:19], v[16:17], 0xc1f00000, v[12:13]
	v_cvt_i32_f64_e32 v13, v[16:17]
	v_cvt_u32_f64_e32 v12, v[18:19]
	s_branch .LBB63_1042
.LBB63_1038:
	s_mov_b32 s1, -1
                                        ; implicit-def: $vgpr12_vgpr13
	s_branch .LBB63_1060
.LBB63_1039:
	s_mov_b32 s1, -1
                                        ; implicit-def: $vgpr12_vgpr13
	s_branch .LBB63_1048
.LBB63_1040:
	s_mov_b32 s1, -1
                                        ; implicit-def: $vgpr12_vgpr13
	s_branch .LBB63_1045
.LBB63_1041:
	s_mov_b32 s1, -1
                                        ; implicit-def: $vgpr12_vgpr13
.LBB63_1042:
	s_delay_alu instid0(SALU_CYCLE_1)
	s_and_not1_b32 vcc_lo, exec_lo, s1
	s_cbranch_vccnz .LBB63_1044
; %bb.1043:
	global_load_b32 v1, v[14:15], off
	s_wait_loadcnt 0x0
	v_trunc_f32_e32 v1, v1
	s_delay_alu instid0(VALU_DEP_1) | instskip(SKIP_1) | instid1(VALU_DEP_2)
	v_mul_f32_e64 v3, 0x2f800000, |v1|
	v_ashrrev_i32_e32 v12, 31, v1
	v_floor_f32_e32 v3, v3
	s_delay_alu instid0(VALU_DEP_1) | instskip(SKIP_1) | instid1(VALU_DEP_4)
	v_fma_f32 v7, 0xcf800000, v3, |v1|
	v_cvt_u32_f32_e32 v1, v3
	v_mov_b32_e32 v13, v12
	s_delay_alu instid0(VALU_DEP_3) | instskip(NEXT) | instid1(VALU_DEP_3)
	v_cvt_u32_f32_e32 v3, v7
	v_xor_b32_e32 v17, v1, v12
	s_delay_alu instid0(VALU_DEP_2) | instskip(NEXT) | instid1(VALU_DEP_1)
	v_xor_b32_e32 v16, v3, v12
	v_sub_nc_u64_e32 v[12:13], v[16:17], v[12:13]
.LBB63_1044:
	s_mov_b32 s1, 0
.LBB63_1045:
	s_delay_alu instid0(SALU_CYCLE_1)
	s_and_not1_b32 vcc_lo, exec_lo, s1
	s_cbranch_vccnz .LBB63_1047
; %bb.1046:
	global_load_b32 v1, v[14:15], off
	s_wait_loadcnt 0x0
	v_cvt_f32_f16_e32 v1, v1
	s_delay_alu instid0(VALU_DEP_1) | instskip(NEXT) | instid1(VALU_DEP_1)
	v_cvt_i32_f32_e32 v12, v1
	v_ashrrev_i32_e32 v13, 31, v12
.LBB63_1047:
	s_mov_b32 s1, 0
.LBB63_1048:
	s_delay_alu instid0(SALU_CYCLE_1)
	s_and_not1_b32 vcc_lo, exec_lo, s1
	s_cbranch_vccnz .LBB63_1059
; %bb.1049:
	s_cmp_lt_i32 s0, 6
	s_cbranch_scc1 .LBB63_1052
; %bb.1050:
	s_cmp_gt_i32 s0, 6
	s_cbranch_scc0 .LBB63_1053
; %bb.1051:
	s_wait_loadcnt 0x0
	global_load_b64 v[12:13], v[14:15], off
	s_mov_b32 s1, 0
	s_wait_loadcnt 0x0
	v_trunc_f64_e32 v[12:13], v[12:13]
	s_delay_alu instid0(VALU_DEP_1) | instskip(NEXT) | instid1(VALU_DEP_1)
	v_ldexp_f64 v[16:17], v[12:13], 0xffffffe0
	v_floor_f64_e32 v[16:17], v[16:17]
	s_delay_alu instid0(VALU_DEP_1) | instskip(SKIP_1) | instid1(VALU_DEP_2)
	v_fmamk_f64 v[18:19], v[16:17], 0xc1f00000, v[12:13]
	v_cvt_i32_f64_e32 v13, v[16:17]
	v_cvt_u32_f64_e32 v12, v[18:19]
	s_branch .LBB63_1054
.LBB63_1052:
	s_mov_b32 s1, -1
                                        ; implicit-def: $vgpr12_vgpr13
	s_branch .LBB63_1057
.LBB63_1053:
	s_mov_b32 s1, -1
                                        ; implicit-def: $vgpr12_vgpr13
.LBB63_1054:
	s_delay_alu instid0(SALU_CYCLE_1)
	s_and_not1_b32 vcc_lo, exec_lo, s1
	s_cbranch_vccnz .LBB63_1056
; %bb.1055:
	global_load_b32 v1, v[14:15], off
	s_wait_loadcnt 0x0
	v_trunc_f32_e32 v1, v1
	s_delay_alu instid0(VALU_DEP_1) | instskip(SKIP_1) | instid1(VALU_DEP_2)
	v_mul_f32_e64 v3, 0x2f800000, |v1|
	v_ashrrev_i32_e32 v12, 31, v1
	v_floor_f32_e32 v3, v3
	s_delay_alu instid0(VALU_DEP_1) | instskip(SKIP_1) | instid1(VALU_DEP_4)
	v_fma_f32 v7, 0xcf800000, v3, |v1|
	v_cvt_u32_f32_e32 v1, v3
	v_mov_b32_e32 v13, v12
	s_delay_alu instid0(VALU_DEP_3) | instskip(NEXT) | instid1(VALU_DEP_3)
	v_cvt_u32_f32_e32 v3, v7
	v_xor_b32_e32 v17, v1, v12
	s_delay_alu instid0(VALU_DEP_2) | instskip(NEXT) | instid1(VALU_DEP_1)
	v_xor_b32_e32 v16, v3, v12
	v_sub_nc_u64_e32 v[12:13], v[16:17], v[12:13]
.LBB63_1056:
	s_mov_b32 s1, 0
.LBB63_1057:
	s_delay_alu instid0(SALU_CYCLE_1)
	s_and_not1_b32 vcc_lo, exec_lo, s1
	s_cbranch_vccnz .LBB63_1059
; %bb.1058:
	global_load_u16 v1, v[14:15], off
	s_wait_loadcnt 0x0
	v_cvt_f32_f16_e32 v1, v1
	s_delay_alu instid0(VALU_DEP_1) | instskip(NEXT) | instid1(VALU_DEP_1)
	v_cvt_i32_f32_e32 v12, v1
	v_ashrrev_i32_e32 v13, 31, v12
.LBB63_1059:
	s_mov_b32 s1, 0
.LBB63_1060:
	s_delay_alu instid0(SALU_CYCLE_1)
	s_and_not1_b32 vcc_lo, exec_lo, s1
	s_cbranch_vccnz .LBB63_1080
; %bb.1061:
	s_cmp_lt_i32 s0, 2
	s_cbranch_scc1 .LBB63_1065
; %bb.1062:
	s_cmp_lt_i32 s0, 3
	s_cbranch_scc1 .LBB63_1066
; %bb.1063:
	s_cmp_gt_i32 s0, 3
	s_cbranch_scc0 .LBB63_1067
; %bb.1064:
	s_wait_loadcnt 0x0
	global_load_b64 v[12:13], v[14:15], off
	s_mov_b32 s1, 0
	s_branch .LBB63_1068
.LBB63_1065:
	s_mov_b32 s1, -1
                                        ; implicit-def: $vgpr12_vgpr13
	s_branch .LBB63_1074
.LBB63_1066:
	s_mov_b32 s1, -1
                                        ; implicit-def: $vgpr12_vgpr13
	s_branch .LBB63_1071
.LBB63_1067:
	s_mov_b32 s1, -1
                                        ; implicit-def: $vgpr12_vgpr13
.LBB63_1068:
	s_delay_alu instid0(SALU_CYCLE_1)
	s_and_not1_b32 vcc_lo, exec_lo, s1
	s_cbranch_vccnz .LBB63_1070
; %bb.1069:
	s_wait_loadcnt 0x0
	global_load_b32 v12, v[14:15], off
	s_wait_loadcnt 0x0
	v_ashrrev_i32_e32 v13, 31, v12
.LBB63_1070:
	s_mov_b32 s1, 0
.LBB63_1071:
	s_delay_alu instid0(SALU_CYCLE_1)
	s_and_not1_b32 vcc_lo, exec_lo, s1
	s_cbranch_vccnz .LBB63_1073
; %bb.1072:
	global_load_u16 v1, v[14:15], off
	s_wait_loadcnt 0x0
	v_bfe_i32 v12, v1, 0, 16
	s_delay_alu instid0(VALU_DEP_1)
	v_ashrrev_i32_e32 v13, 31, v12
.LBB63_1073:
	s_mov_b32 s1, 0
.LBB63_1074:
	s_delay_alu instid0(SALU_CYCLE_1)
	s_and_not1_b32 vcc_lo, exec_lo, s1
	s_cbranch_vccnz .LBB63_1080
; %bb.1075:
	s_cmp_gt_i32 s0, 0
	s_mov_b32 s0, 0
	s_cbranch_scc0 .LBB63_1077
; %bb.1076:
	global_load_i8 v1, v[14:15], off
	s_wait_loadcnt 0x0
	v_bfe_i32 v12, v1, 0, 16
	s_delay_alu instid0(VALU_DEP_1)
	v_ashrrev_i32_e32 v13, 31, v12
	s_branch .LBB63_1078
.LBB63_1077:
	s_mov_b32 s0, -1
                                        ; implicit-def: $vgpr12_vgpr13
.LBB63_1078:
	s_delay_alu instid0(SALU_CYCLE_1)
	s_and_not1_b32 vcc_lo, exec_lo, s0
	s_cbranch_vccnz .LBB63_1080
; %bb.1079:
	global_load_u8 v1, v[14:15], off
	s_mov_b32 s0, 0
	s_wait_loadcnt 0x1
	v_mov_b32_e32 v13, s0
	s_wait_loadcnt 0x0
	v_and_b32_e32 v12, 0xffff, v1
.LBB63_1080:
	s_mov_b32 s47, -1
.LBB63_1081:
	s_delay_alu instid0(SALU_CYCLE_1)
	s_and_not1_b32 vcc_lo, exec_lo, s47
	s_cbranch_vccnz .LBB63_1089
; %bb.1082:
	s_load_b512 s[4:19], s[2:3], 0x248
	v_mov_b32_e32 v11, 0
	s_and_b32 s0, s31, 0xff
	s_delay_alu instid0(SALU_CYCLE_1) | instskip(SKIP_1) | instid1(VALU_DEP_1)
	s_cmp_lt_i32 s0, 11
	s_wait_kmcnt 0x0
	v_add_nc_u64_e32 v[14:15], s[12:13], v[10:11]
	s_cbranch_scc1 .LBB63_1090
; %bb.1083:
	s_and_b32 s35, 0xffff, s0
	s_delay_alu instid0(SALU_CYCLE_1)
	s_cmp_gt_i32 s35, 25
	s_cbranch_scc0 .LBB63_1091
; %bb.1084:
	s_cmp_gt_i32 s35, 28
	s_cbranch_scc0 .LBB63_1092
; %bb.1085:
	;; [unrolled: 3-line block ×4, first 2 shown]
	s_cmp_eq_u32 s35, 46
	s_mov_b32 s1, 0
	s_cbranch_scc0 .LBB63_2721
; %bb.1088:
	global_load_b32 v1, v[14:15], off
	s_mov_b32 s58, -1
	s_mov_b32 s47, 0
	s_wait_loadcnt 0x0
	v_lshlrev_b32_e32 v1, 16, v1
	s_delay_alu instid0(VALU_DEP_1) | instskip(NEXT) | instid1(VALU_DEP_1)
	v_trunc_f32_e32 v1, v1
	v_mul_f32_e64 v3, 0x2f800000, |v1|
	v_ashrrev_i32_e32 v10, 31, v1
	s_delay_alu instid0(VALU_DEP_2) | instskip(NEXT) | instid1(VALU_DEP_2)
	v_floor_f32_e32 v3, v3
	v_mov_b32_e32 v11, v10
	s_delay_alu instid0(VALU_DEP_2) | instskip(SKIP_1) | instid1(VALU_DEP_2)
	v_fma_f32 v7, 0xcf800000, v3, |v1|
	v_cvt_u32_f32_e32 v1, v3
	v_cvt_u32_f32_e32 v3, v7
	s_delay_alu instid0(VALU_DEP_2) | instskip(NEXT) | instid1(VALU_DEP_2)
	v_xor_b32_e32 v17, v1, v10
	v_xor_b32_e32 v16, v3, v10
	s_delay_alu instid0(VALU_DEP_1)
	v_sub_nc_u64_e32 v[10:11], v[16:17], v[10:11]
	s_branch .LBB63_2723
.LBB63_1089:
	s_mov_b32 s0, 0
	s_mov_b32 s1, s70
	;; [unrolled: 1-line block ×8, first 2 shown]
	s_branch .LBB63_679
.LBB63_1090:
	s_mov_b32 s1, -1
	s_mov_b32 s58, 0
	s_mov_b32 s47, s89
                                        ; implicit-def: $vgpr10_vgpr11
	s_branch .LBB63_2926
.LBB63_1091:
	s_mov_b32 s1, -1
	s_mov_b32 s58, 0
	s_mov_b32 s47, s89
                                        ; implicit-def: $vgpr10_vgpr11
	s_branch .LBB63_2892
.LBB63_1092:
	s_mov_b32 s1, -1
	s_mov_b32 s58, 0
	s_mov_b32 s47, s89
                                        ; implicit-def: $vgpr10_vgpr11
	s_branch .LBB63_2875
.LBB63_1093:
	s_mov_b32 s1, -1
	s_mov_b32 s58, 0
	s_mov_b32 s47, s89
                                        ; implicit-def: $vgpr10_vgpr11
	s_branch .LBB63_2870
.LBB63_1094:
	s_mov_b32 s4, -1
                                        ; implicit-def: $vgpr8_vgpr9
.LBB63_1095:
	s_mov_b32 s1, 0
.LBB63_1096:
	s_delay_alu instid0(SALU_CYCLE_1)
	s_and_b32 vcc_lo, exec_lo, s1
	s_cbranch_vccz .LBB63_1100
; %bb.1097:
	s_cmp_eq_u32 s35, 29
	s_cbranch_scc0 .LBB63_1099
; %bb.1098:
	global_load_b64 v[8:9], v[14:15], off
	s_mov_b32 s45, -1
	s_mov_b32 s4, 0
	s_branch .LBB63_1100
.LBB63_1099:
	s_mov_b32 s4, -1
                                        ; implicit-def: $vgpr8_vgpr9
.LBB63_1100:
	s_mov_b32 s1, 0
.LBB63_1101:
	s_delay_alu instid0(SALU_CYCLE_1)
	s_and_b32 vcc_lo, exec_lo, s1
	s_cbranch_vccz .LBB63_1117
; %bb.1102:
	s_cmp_lt_i32 s35, 27
	s_cbranch_scc1 .LBB63_1105
; %bb.1103:
	s_cmp_gt_i32 s35, 27
	s_cbranch_scc0 .LBB63_1106
; %bb.1104:
	s_wait_loadcnt 0x0
	global_load_b32 v8, v[14:15], off
	v_mov_b32_e32 v9, 0
	s_mov_b32 s1, 0
	s_branch .LBB63_1107
.LBB63_1105:
	s_mov_b32 s1, -1
                                        ; implicit-def: $vgpr8_vgpr9
	s_branch .LBB63_1110
.LBB63_1106:
	s_mov_b32 s1, -1
                                        ; implicit-def: $vgpr8_vgpr9
.LBB63_1107:
	s_delay_alu instid0(SALU_CYCLE_1)
	s_and_not1_b32 vcc_lo, exec_lo, s1
	s_cbranch_vccnz .LBB63_1109
; %bb.1108:
	global_load_u16 v1, v[14:15], off
	s_mov_b32 s1, 0
	s_wait_loadcnt 0x1
	v_mov_b32_e32 v9, s1
	s_wait_loadcnt 0x0
	v_and_b32_e32 v8, 0xffff, v1
.LBB63_1109:
	s_mov_b32 s1, 0
.LBB63_1110:
	s_delay_alu instid0(SALU_CYCLE_1)
	s_and_not1_b32 vcc_lo, exec_lo, s1
	s_cbranch_vccnz .LBB63_1116
; %bb.1111:
	global_load_u8 v1, v[14:15], off
	s_mov_b32 s45, 0
	s_mov_b32 s1, exec_lo
	s_wait_loadcnt 0x0
	v_cmpx_lt_i16_e32 0x7f, v1
	s_xor_b32 s1, exec_lo, s1
	s_cbranch_execz .LBB63_1128
; %bb.1112:
	v_cmp_ne_u16_e32 vcc_lo, 0x80, v1
	s_and_b32 s45, vcc_lo, exec_lo
	s_and_not1_saveexec_b32 s1, s1
	s_cbranch_execnz .LBB63_1129
.LBB63_1113:
	s_or_b32 exec_lo, exec_lo, s1
	v_mov_b64_e32 v[8:9], 0
	s_and_saveexec_b32 s1, s45
	s_cbranch_execz .LBB63_1115
.LBB63_1114:
	v_and_b32_e32 v3, 0xffff, v1
	s_delay_alu instid0(VALU_DEP_1) | instskip(SKIP_1) | instid1(VALU_DEP_2)
	v_and_b32_e32 v7, 7, v3
	v_bfe_u32 v11, v3, 3, 4
	v_clz_i32_u32_e32 v8, v7
	s_delay_alu instid0(VALU_DEP_2) | instskip(NEXT) | instid1(VALU_DEP_2)
	v_cmp_eq_u32_e32 vcc_lo, 0, v11
	v_min_u32_e32 v8, 32, v8
	s_delay_alu instid0(VALU_DEP_1) | instskip(NEXT) | instid1(VALU_DEP_1)
	v_subrev_nc_u32_e32 v9, 28, v8
	v_dual_lshlrev_b32 v3, v9, v3 :: v_dual_sub_nc_u32 v8, 29, v8
	s_delay_alu instid0(VALU_DEP_1) | instskip(NEXT) | instid1(VALU_DEP_2)
	v_dual_lshlrev_b32 v1, 24, v1 :: v_dual_bitop2_b32 v3, 7, v3 bitop3:0x40
	v_cndmask_b32_e32 v8, v11, v8, vcc_lo
	s_delay_alu instid0(VALU_DEP_2) | instskip(NEXT) | instid1(VALU_DEP_3)
	v_cndmask_b32_e32 v3, v7, v3, vcc_lo
	v_and_b32_e32 v1, 0x80000000, v1
	s_delay_alu instid0(VALU_DEP_3) | instskip(NEXT) | instid1(VALU_DEP_3)
	v_lshl_add_u32 v7, v8, 23, 0x3b800000
	v_lshlrev_b32_e32 v3, 20, v3
	s_delay_alu instid0(VALU_DEP_1) | instskip(NEXT) | instid1(VALU_DEP_1)
	v_or3_b32 v1, v1, v7, v3
	v_trunc_f32_e32 v1, v1
	s_delay_alu instid0(VALU_DEP_1) | instskip(SKIP_1) | instid1(VALU_DEP_2)
	v_mul_f32_e64 v3, 0x2f800000, |v1|
	v_ashrrev_i32_e32 v8, 31, v1
	v_floor_f32_e32 v3, v3
	s_delay_alu instid0(VALU_DEP_2) | instskip(NEXT) | instid1(VALU_DEP_2)
	v_mov_b32_e32 v9, v8
	v_fma_f32 v7, 0xcf800000, v3, |v1|
	v_cvt_u32_f32_e32 v1, v3
	s_delay_alu instid0(VALU_DEP_2) | instskip(NEXT) | instid1(VALU_DEP_2)
	v_cvt_u32_f32_e32 v3, v7
	v_xor_b32_e32 v17, v1, v8
	s_delay_alu instid0(VALU_DEP_2) | instskip(NEXT) | instid1(VALU_DEP_1)
	v_xor_b32_e32 v16, v3, v8
	v_sub_nc_u64_e32 v[8:9], v[16:17], v[8:9]
.LBB63_1115:
	s_or_b32 exec_lo, exec_lo, s1
.LBB63_1116:
	s_mov_b32 s45, -1
.LBB63_1117:
	s_mov_b32 s1, 0
.LBB63_1118:
	s_delay_alu instid0(SALU_CYCLE_1)
	s_and_b32 vcc_lo, exec_lo, s1
	s_cbranch_vccz .LBB63_1151
; %bb.1119:
	s_cmp_gt_i32 s35, 22
	s_cbranch_scc0 .LBB63_1127
; %bb.1120:
	s_cmp_lt_i32 s35, 24
	s_cbranch_scc1 .LBB63_1130
; %bb.1121:
	s_cmp_gt_i32 s35, 24
	s_cbranch_scc0 .LBB63_1131
; %bb.1122:
	global_load_u8 v1, v[14:15], off
	s_mov_b32 s45, 0
	s_mov_b32 s1, exec_lo
	s_wait_loadcnt 0x0
	v_cmpx_lt_i16_e32 0x7f, v1
	s_xor_b32 s1, exec_lo, s1
	s_cbranch_execz .LBB63_1143
; %bb.1123:
	v_cmp_ne_u16_e32 vcc_lo, 0x80, v1
	s_and_b32 s45, vcc_lo, exec_lo
	s_and_not1_saveexec_b32 s1, s1
	s_cbranch_execnz .LBB63_1144
.LBB63_1124:
	s_or_b32 exec_lo, exec_lo, s1
	v_mov_b64_e32 v[8:9], 0
	s_and_saveexec_b32 s1, s45
	s_cbranch_execz .LBB63_1126
.LBB63_1125:
	v_and_b32_e32 v3, 0xffff, v1
	s_delay_alu instid0(VALU_DEP_1) | instskip(SKIP_1) | instid1(VALU_DEP_2)
	v_and_b32_e32 v7, 3, v3
	v_bfe_u32 v11, v3, 2, 5
	v_clz_i32_u32_e32 v8, v7
	s_delay_alu instid0(VALU_DEP_2) | instskip(NEXT) | instid1(VALU_DEP_2)
	v_cmp_eq_u32_e32 vcc_lo, 0, v11
	v_min_u32_e32 v8, 32, v8
	s_delay_alu instid0(VALU_DEP_1) | instskip(NEXT) | instid1(VALU_DEP_1)
	v_subrev_nc_u32_e32 v9, 29, v8
	v_dual_lshlrev_b32 v3, v9, v3 :: v_dual_sub_nc_u32 v8, 30, v8
	s_delay_alu instid0(VALU_DEP_1) | instskip(NEXT) | instid1(VALU_DEP_2)
	v_dual_lshlrev_b32 v1, 24, v1 :: v_dual_bitop2_b32 v3, 3, v3 bitop3:0x40
	v_cndmask_b32_e32 v8, v11, v8, vcc_lo
	s_delay_alu instid0(VALU_DEP_2) | instskip(NEXT) | instid1(VALU_DEP_3)
	v_cndmask_b32_e32 v3, v7, v3, vcc_lo
	v_and_b32_e32 v1, 0x80000000, v1
	s_delay_alu instid0(VALU_DEP_3) | instskip(NEXT) | instid1(VALU_DEP_3)
	v_lshl_add_u32 v7, v8, 23, 0x37800000
	v_lshlrev_b32_e32 v3, 21, v3
	s_delay_alu instid0(VALU_DEP_1) | instskip(NEXT) | instid1(VALU_DEP_1)
	v_or3_b32 v1, v1, v7, v3
	v_trunc_f32_e32 v1, v1
	s_delay_alu instid0(VALU_DEP_1) | instskip(SKIP_1) | instid1(VALU_DEP_2)
	v_mul_f32_e64 v3, 0x2f800000, |v1|
	v_ashrrev_i32_e32 v8, 31, v1
	v_floor_f32_e32 v3, v3
	s_delay_alu instid0(VALU_DEP_2) | instskip(NEXT) | instid1(VALU_DEP_2)
	v_mov_b32_e32 v9, v8
	v_fma_f32 v7, 0xcf800000, v3, |v1|
	v_cvt_u32_f32_e32 v1, v3
	s_delay_alu instid0(VALU_DEP_2) | instskip(NEXT) | instid1(VALU_DEP_2)
	v_cvt_u32_f32_e32 v3, v7
	v_xor_b32_e32 v17, v1, v8
	s_delay_alu instid0(VALU_DEP_2) | instskip(NEXT) | instid1(VALU_DEP_1)
	v_xor_b32_e32 v16, v3, v8
	v_sub_nc_u64_e32 v[8:9], v[16:17], v[8:9]
.LBB63_1126:
	s_or_b32 exec_lo, exec_lo, s1
	s_mov_b32 s1, 0
	s_branch .LBB63_1132
.LBB63_1127:
	s_mov_b32 s1, -1
                                        ; implicit-def: $vgpr8_vgpr9
	s_branch .LBB63_1138
.LBB63_1128:
	s_and_not1_saveexec_b32 s1, s1
	s_cbranch_execz .LBB63_1113
.LBB63_1129:
	v_cmp_ne_u16_e32 vcc_lo, 0, v1
	s_and_not1_b32 s36, s45, exec_lo
	s_and_b32 s37, vcc_lo, exec_lo
	s_delay_alu instid0(SALU_CYCLE_1)
	s_or_b32 s45, s36, s37
	s_or_b32 exec_lo, exec_lo, s1
	v_mov_b64_e32 v[8:9], 0
	s_and_saveexec_b32 s1, s45
	s_cbranch_execnz .LBB63_1114
	s_branch .LBB63_1115
.LBB63_1130:
	s_mov_b32 s1, -1
                                        ; implicit-def: $vgpr8_vgpr9
	s_branch .LBB63_1135
.LBB63_1131:
	s_mov_b32 s1, -1
                                        ; implicit-def: $vgpr8_vgpr9
.LBB63_1132:
	s_delay_alu instid0(SALU_CYCLE_1)
	s_and_b32 vcc_lo, exec_lo, s1
	s_cbranch_vccz .LBB63_1134
; %bb.1133:
	global_load_u8 v1, v[14:15], off
	s_wait_loadcnt 0x0
	v_lshlrev_b32_e32 v1, 24, v1
	s_delay_alu instid0(VALU_DEP_1) | instskip(NEXT) | instid1(VALU_DEP_1)
	v_and_b32_e32 v3, 0x7f000000, v1
	v_clz_i32_u32_e32 v7, v3
	v_add_nc_u32_e32 v9, 0x1000000, v3
	v_cmp_ne_u32_e32 vcc_lo, 0, v3
	s_delay_alu instid0(VALU_DEP_3) | instskip(NEXT) | instid1(VALU_DEP_1)
	v_min_u32_e32 v7, 32, v7
	v_sub_nc_u32_e64 v7, v7, 4 clamp
	s_delay_alu instid0(VALU_DEP_1) | instskip(NEXT) | instid1(VALU_DEP_1)
	v_lshlrev_b32_e32 v8, v7, v3
	v_dual_lshlrev_b32 v7, 23, v7 :: v_dual_lshrrev_b32 v8, 4, v8
	s_delay_alu instid0(VALU_DEP_1) | instskip(NEXT) | instid1(VALU_DEP_1)
	v_dual_sub_nc_u32 v7, v8, v7 :: v_dual_ashrrev_i32 v8, 8, v9
	v_add_nc_u32_e32 v7, 0x3c000000, v7
	s_delay_alu instid0(VALU_DEP_1) | instskip(NEXT) | instid1(VALU_DEP_1)
	v_and_or_b32 v7, 0x7f800000, v8, v7
	v_cndmask_b32_e32 v3, 0, v7, vcc_lo
	s_delay_alu instid0(VALU_DEP_1) | instskip(NEXT) | instid1(VALU_DEP_1)
	v_and_or_b32 v1, 0x80000000, v1, v3
	v_trunc_f32_e32 v1, v1
	s_delay_alu instid0(VALU_DEP_1) | instskip(SKIP_1) | instid1(VALU_DEP_2)
	v_mul_f32_e64 v3, 0x2f800000, |v1|
	v_ashrrev_i32_e32 v8, 31, v1
	v_floor_f32_e32 v3, v3
	s_delay_alu instid0(VALU_DEP_1) | instskip(SKIP_1) | instid1(VALU_DEP_4)
	v_fma_f32 v7, 0xcf800000, v3, |v1|
	v_cvt_u32_f32_e32 v1, v3
	v_mov_b32_e32 v9, v8
	s_delay_alu instid0(VALU_DEP_3) | instskip(NEXT) | instid1(VALU_DEP_3)
	v_cvt_u32_f32_e32 v3, v7
	v_xor_b32_e32 v17, v1, v8
	s_delay_alu instid0(VALU_DEP_2) | instskip(NEXT) | instid1(VALU_DEP_1)
	v_xor_b32_e32 v16, v3, v8
	v_sub_nc_u64_e32 v[8:9], v[16:17], v[8:9]
.LBB63_1134:
	s_mov_b32 s1, 0
.LBB63_1135:
	s_delay_alu instid0(SALU_CYCLE_1)
	s_and_not1_b32 vcc_lo, exec_lo, s1
	s_cbranch_vccnz .LBB63_1137
; %bb.1136:
	global_load_u8 v1, v[14:15], off
	s_wait_loadcnt 0x0
	v_lshlrev_b32_e32 v3, 25, v1
	v_lshlrev_b16 v1, 8, v1
	s_delay_alu instid0(VALU_DEP_1) | instskip(SKIP_1) | instid1(VALU_DEP_2)
	v_and_or_b32 v8, 0x7f00, v1, 0.5
	v_bfe_i32 v1, v1, 0, 16
	v_dual_add_f32 v8, -0.5, v8 :: v_dual_lshrrev_b32 v7, 4, v3
	v_cmp_gt_u32_e32 vcc_lo, 0x8000000, v3
	s_delay_alu instid0(VALU_DEP_2) | instskip(NEXT) | instid1(VALU_DEP_1)
	v_or_b32_e32 v7, 0x70000000, v7
	v_mul_f32_e32 v7, 0x7800000, v7
	s_delay_alu instid0(VALU_DEP_1) | instskip(NEXT) | instid1(VALU_DEP_1)
	v_cndmask_b32_e32 v3, v7, v8, vcc_lo
	v_and_or_b32 v1, 0x80000000, v1, v3
	s_delay_alu instid0(VALU_DEP_1) | instskip(NEXT) | instid1(VALU_DEP_1)
	v_trunc_f32_e32 v1, v1
	v_mul_f32_e64 v3, 0x2f800000, |v1|
	v_ashrrev_i32_e32 v8, 31, v1
	s_delay_alu instid0(VALU_DEP_2) | instskip(NEXT) | instid1(VALU_DEP_2)
	v_floor_f32_e32 v3, v3
	v_mov_b32_e32 v9, v8
	s_delay_alu instid0(VALU_DEP_2) | instskip(SKIP_1) | instid1(VALU_DEP_2)
	v_fma_f32 v7, 0xcf800000, v3, |v1|
	v_cvt_u32_f32_e32 v1, v3
	v_cvt_u32_f32_e32 v3, v7
	s_delay_alu instid0(VALU_DEP_2) | instskip(NEXT) | instid1(VALU_DEP_2)
	v_xor_b32_e32 v17, v1, v8
	v_xor_b32_e32 v16, v3, v8
	s_delay_alu instid0(VALU_DEP_1)
	v_sub_nc_u64_e32 v[8:9], v[16:17], v[8:9]
.LBB63_1137:
	s_mov_b32 s1, 0
	s_mov_b32 s45, -1
.LBB63_1138:
	s_and_not1_b32 vcc_lo, exec_lo, s1
	s_cbranch_vccnz .LBB63_1151
; %bb.1139:
	s_cmp_gt_i32 s35, 14
	s_cbranch_scc0 .LBB63_1142
; %bb.1140:
	s_cmp_eq_u32 s35, 15
	s_cbranch_scc0 .LBB63_1145
; %bb.1141:
	global_load_u16 v1, v[14:15], off
	s_mov_b32 s45, -1
	s_mov_b32 s4, 0
	s_wait_loadcnt 0x0
	v_lshlrev_b32_e32 v1, 16, v1
	s_delay_alu instid0(VALU_DEP_1) | instskip(NEXT) | instid1(VALU_DEP_1)
	v_trunc_f32_e32 v1, v1
	v_mul_f32_e64 v3, 0x2f800000, |v1|
	v_ashrrev_i32_e32 v8, 31, v1
	s_delay_alu instid0(VALU_DEP_2) | instskip(NEXT) | instid1(VALU_DEP_2)
	v_floor_f32_e32 v3, v3
	v_mov_b32_e32 v9, v8
	s_delay_alu instid0(VALU_DEP_2) | instskip(SKIP_1) | instid1(VALU_DEP_2)
	v_fma_f32 v7, 0xcf800000, v3, |v1|
	v_cvt_u32_f32_e32 v1, v3
	v_cvt_u32_f32_e32 v3, v7
	s_delay_alu instid0(VALU_DEP_2) | instskip(NEXT) | instid1(VALU_DEP_2)
	v_xor_b32_e32 v17, v1, v8
	v_xor_b32_e32 v16, v3, v8
	s_delay_alu instid0(VALU_DEP_1)
	v_sub_nc_u64_e32 v[8:9], v[16:17], v[8:9]
	s_branch .LBB63_1146
.LBB63_1142:
	s_mov_b32 s1, -1
                                        ; implicit-def: $vgpr8_vgpr9
	s_branch .LBB63_1147
.LBB63_1143:
	s_and_not1_saveexec_b32 s1, s1
	s_cbranch_execz .LBB63_1124
.LBB63_1144:
	v_cmp_ne_u16_e32 vcc_lo, 0, v1
	s_and_not1_b32 s36, s45, exec_lo
	s_and_b32 s37, vcc_lo, exec_lo
	s_delay_alu instid0(SALU_CYCLE_1)
	s_or_b32 s45, s36, s37
	s_or_b32 exec_lo, exec_lo, s1
	v_mov_b64_e32 v[8:9], 0
	s_and_saveexec_b32 s1, s45
	s_cbranch_execnz .LBB63_1125
	s_branch .LBB63_1126
.LBB63_1145:
	s_mov_b32 s4, -1
                                        ; implicit-def: $vgpr8_vgpr9
.LBB63_1146:
	s_mov_b32 s1, 0
.LBB63_1147:
	s_delay_alu instid0(SALU_CYCLE_1)
	s_and_b32 vcc_lo, exec_lo, s1
	s_cbranch_vccz .LBB63_1151
; %bb.1148:
	s_cmp_eq_u32 s35, 11
	s_cbranch_scc0 .LBB63_1150
; %bb.1149:
	global_load_u8 v1, v[14:15], off
	s_mov_b32 s4, 0
	s_mov_b32 s45, -1
	s_wait_loadcnt 0x1
	v_mov_b32_e32 v9, s4
	s_wait_loadcnt 0x0
	v_cmp_ne_u16_e32 vcc_lo, 0, v1
	v_cndmask_b32_e64 v8, 0, 1, vcc_lo
	s_branch .LBB63_1151
.LBB63_1150:
	s_mov_b32 s4, -1
                                        ; implicit-def: $vgpr8_vgpr9
.LBB63_1151:
	s_mov_b32 s1, 0
.LBB63_1152:
	s_delay_alu instid0(SALU_CYCLE_1)
	s_and_b32 vcc_lo, exec_lo, s1
	s_cbranch_vccz .LBB63_1201
; %bb.1153:
	s_and_b32 s0, 0xffff, s0
	s_delay_alu instid0(SALU_CYCLE_1)
	s_cmp_lt_i32 s0, 5
	s_cbranch_scc1 .LBB63_1158
; %bb.1154:
	s_cmp_lt_i32 s0, 8
	s_cbranch_scc1 .LBB63_1159
; %bb.1155:
	;; [unrolled: 3-line block ×3, first 2 shown]
	s_cmp_gt_i32 s0, 9
	s_cbranch_scc0 .LBB63_1161
; %bb.1157:
	s_wait_loadcnt 0x0
	global_load_b64 v[8:9], v[14:15], off
	s_mov_b32 s1, 0
	s_wait_loadcnt 0x0
	v_trunc_f64_e32 v[8:9], v[8:9]
	s_delay_alu instid0(VALU_DEP_1) | instskip(NEXT) | instid1(VALU_DEP_1)
	v_ldexp_f64 v[16:17], v[8:9], 0xffffffe0
	v_floor_f64_e32 v[16:17], v[16:17]
	s_delay_alu instid0(VALU_DEP_1) | instskip(SKIP_1) | instid1(VALU_DEP_2)
	v_fmamk_f64 v[18:19], v[16:17], 0xc1f00000, v[8:9]
	v_cvt_i32_f64_e32 v9, v[16:17]
	v_cvt_u32_f64_e32 v8, v[18:19]
	s_branch .LBB63_1162
.LBB63_1158:
	s_mov_b32 s1, -1
                                        ; implicit-def: $vgpr8_vgpr9
	s_branch .LBB63_1180
.LBB63_1159:
	s_mov_b32 s1, -1
                                        ; implicit-def: $vgpr8_vgpr9
	s_branch .LBB63_1168
.LBB63_1160:
	s_mov_b32 s1, -1
                                        ; implicit-def: $vgpr8_vgpr9
	s_branch .LBB63_1165
.LBB63_1161:
	s_mov_b32 s1, -1
                                        ; implicit-def: $vgpr8_vgpr9
.LBB63_1162:
	s_delay_alu instid0(SALU_CYCLE_1)
	s_and_not1_b32 vcc_lo, exec_lo, s1
	s_cbranch_vccnz .LBB63_1164
; %bb.1163:
	global_load_b32 v1, v[14:15], off
	s_wait_loadcnt 0x0
	v_trunc_f32_e32 v1, v1
	s_delay_alu instid0(VALU_DEP_1) | instskip(SKIP_1) | instid1(VALU_DEP_2)
	v_mul_f32_e64 v3, 0x2f800000, |v1|
	v_ashrrev_i32_e32 v8, 31, v1
	v_floor_f32_e32 v3, v3
	s_delay_alu instid0(VALU_DEP_1) | instskip(SKIP_1) | instid1(VALU_DEP_4)
	v_fma_f32 v7, 0xcf800000, v3, |v1|
	v_cvt_u32_f32_e32 v1, v3
	v_mov_b32_e32 v9, v8
	s_delay_alu instid0(VALU_DEP_3) | instskip(NEXT) | instid1(VALU_DEP_3)
	v_cvt_u32_f32_e32 v3, v7
	v_xor_b32_e32 v17, v1, v8
	s_delay_alu instid0(VALU_DEP_2) | instskip(NEXT) | instid1(VALU_DEP_1)
	v_xor_b32_e32 v16, v3, v8
	v_sub_nc_u64_e32 v[8:9], v[16:17], v[8:9]
.LBB63_1164:
	s_mov_b32 s1, 0
.LBB63_1165:
	s_delay_alu instid0(SALU_CYCLE_1)
	s_and_not1_b32 vcc_lo, exec_lo, s1
	s_cbranch_vccnz .LBB63_1167
; %bb.1166:
	global_load_b32 v1, v[14:15], off
	s_wait_loadcnt 0x0
	v_cvt_f32_f16_e32 v1, v1
	s_delay_alu instid0(VALU_DEP_1) | instskip(NEXT) | instid1(VALU_DEP_1)
	v_cvt_i32_f32_e32 v8, v1
	v_ashrrev_i32_e32 v9, 31, v8
.LBB63_1167:
	s_mov_b32 s1, 0
.LBB63_1168:
	s_delay_alu instid0(SALU_CYCLE_1)
	s_and_not1_b32 vcc_lo, exec_lo, s1
	s_cbranch_vccnz .LBB63_1179
; %bb.1169:
	s_cmp_lt_i32 s0, 6
	s_cbranch_scc1 .LBB63_1172
; %bb.1170:
	s_cmp_gt_i32 s0, 6
	s_cbranch_scc0 .LBB63_1173
; %bb.1171:
	s_wait_loadcnt 0x0
	global_load_b64 v[8:9], v[14:15], off
	s_mov_b32 s1, 0
	s_wait_loadcnt 0x0
	v_trunc_f64_e32 v[8:9], v[8:9]
	s_delay_alu instid0(VALU_DEP_1) | instskip(NEXT) | instid1(VALU_DEP_1)
	v_ldexp_f64 v[16:17], v[8:9], 0xffffffe0
	v_floor_f64_e32 v[16:17], v[16:17]
	s_delay_alu instid0(VALU_DEP_1) | instskip(SKIP_1) | instid1(VALU_DEP_2)
	v_fmamk_f64 v[18:19], v[16:17], 0xc1f00000, v[8:9]
	v_cvt_i32_f64_e32 v9, v[16:17]
	v_cvt_u32_f64_e32 v8, v[18:19]
	s_branch .LBB63_1174
.LBB63_1172:
	s_mov_b32 s1, -1
                                        ; implicit-def: $vgpr8_vgpr9
	s_branch .LBB63_1177
.LBB63_1173:
	s_mov_b32 s1, -1
                                        ; implicit-def: $vgpr8_vgpr9
.LBB63_1174:
	s_delay_alu instid0(SALU_CYCLE_1)
	s_and_not1_b32 vcc_lo, exec_lo, s1
	s_cbranch_vccnz .LBB63_1176
; %bb.1175:
	global_load_b32 v1, v[14:15], off
	s_wait_loadcnt 0x0
	v_trunc_f32_e32 v1, v1
	s_delay_alu instid0(VALU_DEP_1) | instskip(SKIP_1) | instid1(VALU_DEP_2)
	v_mul_f32_e64 v3, 0x2f800000, |v1|
	v_ashrrev_i32_e32 v8, 31, v1
	v_floor_f32_e32 v3, v3
	s_delay_alu instid0(VALU_DEP_1) | instskip(SKIP_1) | instid1(VALU_DEP_4)
	v_fma_f32 v7, 0xcf800000, v3, |v1|
	v_cvt_u32_f32_e32 v1, v3
	v_mov_b32_e32 v9, v8
	s_delay_alu instid0(VALU_DEP_3) | instskip(NEXT) | instid1(VALU_DEP_3)
	v_cvt_u32_f32_e32 v3, v7
	v_xor_b32_e32 v17, v1, v8
	s_delay_alu instid0(VALU_DEP_2) | instskip(NEXT) | instid1(VALU_DEP_1)
	v_xor_b32_e32 v16, v3, v8
	v_sub_nc_u64_e32 v[8:9], v[16:17], v[8:9]
.LBB63_1176:
	s_mov_b32 s1, 0
.LBB63_1177:
	s_delay_alu instid0(SALU_CYCLE_1)
	s_and_not1_b32 vcc_lo, exec_lo, s1
	s_cbranch_vccnz .LBB63_1179
; %bb.1178:
	global_load_u16 v1, v[14:15], off
	s_wait_loadcnt 0x0
	v_cvt_f32_f16_e32 v1, v1
	s_delay_alu instid0(VALU_DEP_1) | instskip(NEXT) | instid1(VALU_DEP_1)
	v_cvt_i32_f32_e32 v8, v1
	v_ashrrev_i32_e32 v9, 31, v8
.LBB63_1179:
	s_mov_b32 s1, 0
.LBB63_1180:
	s_delay_alu instid0(SALU_CYCLE_1)
	s_and_not1_b32 vcc_lo, exec_lo, s1
	s_cbranch_vccnz .LBB63_1200
; %bb.1181:
	s_cmp_lt_i32 s0, 2
	s_cbranch_scc1 .LBB63_1185
; %bb.1182:
	s_cmp_lt_i32 s0, 3
	s_cbranch_scc1 .LBB63_1186
; %bb.1183:
	s_cmp_gt_i32 s0, 3
	s_cbranch_scc0 .LBB63_1187
; %bb.1184:
	s_wait_loadcnt 0x0
	global_load_b64 v[8:9], v[14:15], off
	s_mov_b32 s1, 0
	s_branch .LBB63_1188
.LBB63_1185:
	s_mov_b32 s1, -1
                                        ; implicit-def: $vgpr8_vgpr9
	s_branch .LBB63_1194
.LBB63_1186:
	s_mov_b32 s1, -1
                                        ; implicit-def: $vgpr8_vgpr9
	s_branch .LBB63_1191
.LBB63_1187:
	s_mov_b32 s1, -1
                                        ; implicit-def: $vgpr8_vgpr9
.LBB63_1188:
	s_delay_alu instid0(SALU_CYCLE_1)
	s_and_not1_b32 vcc_lo, exec_lo, s1
	s_cbranch_vccnz .LBB63_1190
; %bb.1189:
	s_wait_loadcnt 0x0
	global_load_b32 v8, v[14:15], off
	s_wait_loadcnt 0x0
	v_ashrrev_i32_e32 v9, 31, v8
.LBB63_1190:
	s_mov_b32 s1, 0
.LBB63_1191:
	s_delay_alu instid0(SALU_CYCLE_1)
	s_and_not1_b32 vcc_lo, exec_lo, s1
	s_cbranch_vccnz .LBB63_1193
; %bb.1192:
	global_load_u16 v1, v[14:15], off
	s_wait_loadcnt 0x0
	v_bfe_i32 v8, v1, 0, 16
	s_delay_alu instid0(VALU_DEP_1)
	v_ashrrev_i32_e32 v9, 31, v8
.LBB63_1193:
	s_mov_b32 s1, 0
.LBB63_1194:
	s_delay_alu instid0(SALU_CYCLE_1)
	s_and_not1_b32 vcc_lo, exec_lo, s1
	s_cbranch_vccnz .LBB63_1200
; %bb.1195:
	s_cmp_gt_i32 s0, 0
	s_mov_b32 s0, 0
	s_cbranch_scc0 .LBB63_1197
; %bb.1196:
	global_load_i8 v1, v[14:15], off
	s_wait_loadcnt 0x0
	v_bfe_i32 v8, v1, 0, 16
	s_delay_alu instid0(VALU_DEP_1)
	v_ashrrev_i32_e32 v9, 31, v8
	s_branch .LBB63_1198
.LBB63_1197:
	s_mov_b32 s0, -1
                                        ; implicit-def: $vgpr8_vgpr9
.LBB63_1198:
	s_delay_alu instid0(SALU_CYCLE_1)
	s_and_not1_b32 vcc_lo, exec_lo, s0
	s_cbranch_vccnz .LBB63_1200
; %bb.1199:
	global_load_u8 v1, v[14:15], off
	s_mov_b32 s0, 0
	s_wait_loadcnt 0x1
	v_mov_b32_e32 v9, s0
	s_wait_loadcnt 0x0
	v_and_b32_e32 v8, 0xffff, v1
.LBB63_1200:
	s_mov_b32 s45, -1
.LBB63_1201:
	s_delay_alu instid0(SALU_CYCLE_1)
	s_and_not1_b32 vcc_lo, exec_lo, s45
	s_cbranch_vccnz .LBB63_1209
; %bb.1202:
                                        ; implicit-def: $vgpr66 : SGPR spill to VGPR lane
	v_mov_b32_e32 v13, 0
	v_writelane_b32 v66, s4, 0
	s_load_b512 s[4:19], s[2:3], 0x248
	s_and_b32 s0, s80, 0xff
	s_delay_alu instid0(SALU_CYCLE_1)
	s_cmp_lt_i32 s0, 11
	s_wait_kmcnt 0x0
	v_add_nc_u64_e32 v[14:15], s[10:11], v[12:13]
	s_cbranch_scc1 .LBB63_1223
; %bb.1203:
	s_and_b32 s35, 0xffff, s0
	s_delay_alu instid0(SALU_CYCLE_1)
	s_cmp_gt_i32 s35, 25
	s_cbranch_scc0 .LBB63_1238
; %bb.1204:
	v_readlane_b32 s4, v66, 0
	s_cmp_gt_i32 s35, 28
	s_cbranch_scc0 .LBB63_1240
; %bb.1205:
	s_cmp_gt_i32 s35, 43
	s_cbranch_scc0 .LBB63_1242
; %bb.1206:
	;; [unrolled: 3-line block ×3, first 2 shown]
	s_cmp_eq_u32 s35, 46
	s_mov_b32 s1, 0
	s_cbranch_scc0 .LBB63_2726
; %bb.1208:
	global_load_b32 v1, v[14:15], off
	s_mov_b32 s45, -1
	s_mov_b32 s47, 0
	s_wait_loadcnt 0x0
	v_lshlrev_b32_e32 v1, 16, v1
	s_delay_alu instid0(VALU_DEP_1) | instskip(NEXT) | instid1(VALU_DEP_1)
	v_trunc_f32_e32 v1, v1
	v_mul_f32_e64 v3, 0x2f800000, |v1|
	v_ashrrev_i32_e32 v12, 31, v1
	s_delay_alu instid0(VALU_DEP_2) | instskip(NEXT) | instid1(VALU_DEP_2)
	v_floor_f32_e32 v3, v3
	v_mov_b32_e32 v13, v12
	s_delay_alu instid0(VALU_DEP_2) | instskip(SKIP_1) | instid1(VALU_DEP_2)
	v_fma_f32 v7, 0xcf800000, v3, |v1|
	v_cvt_u32_f32_e32 v1, v3
	v_cvt_u32_f32_e32 v3, v7
	s_delay_alu instid0(VALU_DEP_2) | instskip(NEXT) | instid1(VALU_DEP_2)
	v_xor_b32_e32 v17, v1, v12
	v_xor_b32_e32 v16, v3, v12
	s_delay_alu instid0(VALU_DEP_1)
	v_sub_nc_u64_e32 v[12:13], v[16:17], v[12:13]
	s_branch .LBB63_2728
.LBB63_1209:
	s_mov_b32 s0, 0
	s_mov_b32 s1, s101
	;; [unrolled: 1-line block ×3, first 2 shown]
	s_mov_b32 s58, vcc_hi
	s_mov_b32 s60, s99
	s_mov_b32 s59, s100
	;; [unrolled: 1-line block ×5, first 2 shown]
.LBB63_1210:
                                        ; implicit-def: $vgpr0
.LBB63_1211:
	s_load_b64 s[78:79], s[2:3], 0x14
	s_mov_b32 s76, s51
.LBB63_1212:
	s_and_not1_b32 s36, s101, exec_lo
	s_and_b32 s1, s1, exec_lo
	s_and_not1_b32 s37, s104, exec_lo
	s_and_b32 s35, s35, exec_lo
	s_or_b32 s67, s36, s1
	s_or_b32 s64, s37, s35
	s_and_not1_b32 s1, vcc_hi, exec_lo
	s_and_b32 s35, s58, exec_lo
	s_and_not1_b32 s36, s99, exec_lo
	s_and_b32 s37, s60, exec_lo
	s_or_b32 s66, s1, s35
	s_or_b32 s62, s36, s37
	s_and_not1_b32 s1, s100, exec_lo
	s_and_b32 s35, s59, exec_lo
	s_and_not1_b32 s36, s97, exec_lo
	s_and_b32 s37, s46, exec_lo
	s_or_b32 s65, s1, s35
	s_or_b32 s46, s36, s37
	s_and_not1_b32 s1, s98, exec_lo
	;; [unrolled: 6-line block ×3, first 2 shown]
	s_and_b32 s35, s4, exec_lo
	s_and_not1_b32 s36, s94, exec_lo
	s_and_b32 s37, s49, exec_lo
	s_or_b32 s47, s1, s35
	s_or_b32 s35, s36, s37
	s_or_not1_b32 s60, s0, exec_lo
.LBB63_1213:
	s_or_b32 exec_lo, exec_lo, s44
	s_mov_b32 s1, 0
	s_mov_b32 s58, 0
	;; [unrolled: 1-line block ×3, first 2 shown]
                                        ; implicit-def: $sgpr0
                                        ; implicit-def: $vgpr14_vgpr15
                                        ; implicit-def: $vgpr2
                                        ; implicit-def: $vgpr12
                                        ; implicit-def: $vgpr10
                                        ; implicit-def: $vgpr6
                                        ; implicit-def: $vgpr8
                                        ; implicit-def: $vgpr4_vgpr5
	s_and_saveexec_b32 s44, s60
	s_cbranch_execz .LBB63_1309
; %bb.1214:
	s_mov_b32 s17, s68
	s_mov_b32 s60, s35
	s_mov_b32 s68, exec_lo
                                        ; implicit-def: $sgpr0
                                        ; implicit-def: $vgpr14_vgpr15
                                        ; implicit-def: $vgpr2
                                        ; implicit-def: $vgpr12
                                        ; implicit-def: $vgpr10
                                        ; implicit-def: $vgpr6
                                        ; implicit-def: $vgpr8
                                        ; implicit-def: $vgpr4_vgpr5
	v_cmpx_gt_i32_e64 s83, v0
	s_cbranch_execz .LBB63_1308
; %bb.1215:
	s_and_not1_b32 vcc_lo, exec_lo, s74
	s_cbranch_vccnz .LBB63_1222
; %bb.1216:
	s_and_not1_b32 vcc_lo, exec_lo, s84
	s_cbranch_vccnz .LBB63_1224
; %bb.1217:
	s_wait_loadcnt 0x0
	v_dual_mov_b32 v8, 0 :: v_dual_mov_b32 v1, v0
	v_dual_mov_b32 v6, 0 :: v_dual_mov_b32 v10, 0
	;; [unrolled: 1-line block ×3, first 2 shown]
	v_mov_b32_e32 v4, 0
	s_add_co_i32 s0, s17, 1
	s_mov_b64 s[36:37], 0xffffffffffffffd0
	s_mov_b64 s[18:19], s[14:15]
	s_mov_b32 s16, s12
	s_mov_b64 s[12:13], s[40:41]
	s_mov_b64 s[4:5], s[28:29]
	s_mov_b32 s10, s48
	s_wait_kmcnt 0x0
	s_mov_b32 s11, s79
	s_mov_b64 s[14:15], s[42:43]
	s_mov_b32 s9, s50
	s_mov_b32 s8, s82
	s_mov_b64 s[6:7], s[30:31]
	s_mov_b32 s28, s80
	s_mov_b32 s80, s53
	;; [unrolled: 1-line block ×5, first 2 shown]
	s_and_b32 s0, s0, 30
	s_add_nc_u64 s[58:59], s[2:3], s[36:37]
	s_mov_b64 s[60:61], s[2:3]
.LBB63_1218:                            ; =>This Inner Loop Header: Depth=1
	s_clause 0x1
	s_load_b128 s[48:51], s[60:61], 0x4
	s_load_b64 s[52:53], s[60:61], 0x14
	s_clause 0x1
	s_load_b256 s[36:43], s[58:59], 0xf4
	s_load_b128 s[76:79], s[58:59], 0x114
	s_add_co_i32 s0, s0, -2
	s_wait_xcnt 0x0
	s_add_nc_u64 s[60:61], s[60:61], 24
	s_cmp_eq_u32 s0, 0
	s_add_nc_u64 s[58:59], s[58:59], 48
	s_wait_kmcnt 0x0
	v_mul_hi_u32 v3, s49, v1
	s_delay_alu instid0(VALU_DEP_1) | instskip(NEXT) | instid1(VALU_DEP_1)
	v_add_nc_u32_e32 v3, v1, v3
	v_lshrrev_b32_e32 v3, s50, v3
	s_delay_alu instid0(VALU_DEP_1) | instskip(SKIP_1) | instid1(VALU_DEP_1)
	v_mul_hi_u32 v5, s52, v3
	v_mul_lo_u32 v7, v3, s48
	v_dual_add_nc_u32 v5, v3, v5 :: v_dual_sub_nc_u32 v7, v1, v7
	s_delay_alu instid0(VALU_DEP_1) | instskip(NEXT) | instid1(VALU_DEP_2)
	v_lshrrev_b32_e32 v1, s53, v5
	v_mad_u32 v4, v7, s37, v4
	v_mad_u32 v2, v7, s36, v2
	v_mad_u32 v9, v7, s39, v12
	v_mad_u32 v10, v7, s38, v10
	v_mul_lo_u32 v5, v1, s51
	v_mad_u32 v6, s41, v7, v6
	v_mad_u32 v7, s40, v7, v8
	s_delay_alu instid0(VALU_DEP_3) | instskip(NEXT) | instid1(VALU_DEP_1)
	v_sub_nc_u32_e32 v3, v3, v5
	v_mad_u32 v4, v3, s43, v4
	v_mad_u32 v2, v3, s42, v2
	v_mad_u32 v12, v3, s77, v9
	v_mad_u32 v10, v3, s76, v10
	v_mad_u32 v6, s79, v3, v6
	v_mad_u32 v8, s78, v3, v7
	s_cbranch_scc0 .LBB63_1218
; %bb.1219:
	s_bitcmp1_b32 s17, 0
	s_cselect_b32 s0, -1, 0
	s_delay_alu instid0(SALU_CYCLE_1)
	s_and_b32 vcc_lo, exec_lo, s0
	s_cbranch_vccnz .LBB63_1221
; %bb.1220:
	s_load_b96 s[40:42], s[60:61], 0x4
	s_clause 0x1
	s_load_b128 s[36:39], s[58:59], 0xf4
	s_load_b64 s[0:1], s[58:59], 0x104
	s_wait_kmcnt 0x0
	v_mul_hi_u32 v3, s41, v1
	s_delay_alu instid0(VALU_DEP_1) | instskip(NEXT) | instid1(VALU_DEP_1)
	v_add_nc_u32_e32 v3, v1, v3
	v_lshrrev_b32_e32 v3, s42, v3
	s_delay_alu instid0(VALU_DEP_1) | instskip(NEXT) | instid1(VALU_DEP_1)
	v_mul_lo_u32 v3, v3, s40
	v_sub_nc_u32_e32 v1, v1, v3
	s_delay_alu instid0(VALU_DEP_1)
	v_mad_u32 v2, v1, s36, v2
	v_mad_u32 v4, v1, s37, v4
	;; [unrolled: 1-line block ×6, first 2 shown]
.LBB63_1221:
	s_mov_b32 s53, s80
	s_mov_b32 s80, s28
	s_mov_b64 s[30:31], s[6:7]
	s_mov_b64 s[42:43], s[14:15]
	s_mov_b32 s50, s9
	s_mov_b32 s79, s11
	;; [unrolled: 1-line block ×6, first 2 shown]
	s_mov_b64 s[28:29], s[4:5]
	s_mov_b32 s82, s8
	s_mov_b64 s[40:41], s[12:13]
	s_mov_b64 s[14:15], s[18:19]
	s_mov_b32 s12, s16
	s_branch .LBB63_1225
.LBB63_1222:
	s_mov_b32 s0, -1
                                        ; implicit-def: $vgpr4
                                        ; implicit-def: $vgpr2
                                        ; implicit-def: $vgpr12
                                        ; implicit-def: $vgpr10
                                        ; implicit-def: $vgpr6
                                        ; implicit-def: $vgpr8
	s_branch .LBB63_1226
.LBB63_1223:
	s_mov_b32 s1, -1
	s_mov_b32 s45, 0
	s_mov_b32 s47, s95
                                        ; implicit-def: $vgpr12_vgpr13
	v_readlane_b32 s4, v66, 0
	s_branch .LBB63_3046
.LBB63_1224:
	s_wait_loadcnt 0x0
	v_dual_mov_b32 v4, 0 :: v_dual_mov_b32 v2, 0
	v_dual_mov_b32 v12, 0 :: v_dual_mov_b32 v10, 0
	;; [unrolled: 1-line block ×3, first 2 shown]
.LBB63_1225:
	s_mov_b32 s0, 0
.LBB63_1226:
	s_delay_alu instid0(SALU_CYCLE_1)
	s_and_not1_b32 vcc_lo, exec_lo, s0
	s_cbranch_vccnz .LBB63_1229
; %bb.1227:
	v_mov_b32_e32 v1, 0
	s_load_b256 s[4:11], s[2:3], 0xc4
	s_and_not1_b32 vcc_lo, exec_lo, s48
	s_delay_alu instid0(VALU_DEP_1) | instskip(NEXT) | instid1(VALU_DEP_1)
	v_mul_u64_e32 v[2:3], s[54:55], v[0:1]
	v_add_nc_u32_e32 v2, v0, v3
	s_wait_loadcnt 0x0
	s_delay_alu instid0(VALU_DEP_1) | instskip(NEXT) | instid1(VALU_DEP_1)
	v_lshrrev_b32_e32 v14, s14, v2
	v_mul_lo_u32 v2, v14, s12
	s_delay_alu instid0(VALU_DEP_1) | instskip(SKIP_1) | instid1(VALU_DEP_1)
	v_sub_nc_u32_e32 v0, v0, v2
	s_wait_kmcnt 0x0
	v_mul_lo_u32 v4, v0, s5
	v_mul_lo_u32 v2, v0, s4
	;; [unrolled: 1-line block ×6, first 2 shown]
	s_cbranch_vccnz .LBB63_1229
; %bb.1228:
	v_mov_b32_e32 v15, v1
	s_delay_alu instid0(VALU_DEP_1) | instskip(NEXT) | instid1(VALU_DEP_1)
	v_mul_u64_e32 v[0:1], s[56:57], v[14:15]
	v_add_nc_u32_e32 v0, v14, v1
	s_delay_alu instid0(VALU_DEP_1) | instskip(NEXT) | instid1(VALU_DEP_1)
	v_lshrrev_b32_e32 v0, s79, v0
	v_mul_lo_u32 v0, v0, s15
	s_delay_alu instid0(VALU_DEP_1) | instskip(NEXT) | instid1(VALU_DEP_1)
	v_sub_nc_u32_e32 v0, v14, v0
	v_mad_u32 v2, v0, s10, v2
	v_mad_u32 v4, v0, s11, v4
	;; [unrolled: 1-line block ×6, first 2 shown]
.LBB63_1229:
	s_load_b512 s[4:19], s[2:3], 0x248
	s_wait_loadcnt 0x0
	v_mov_b32_e32 v5, 0
	s_and_b32 s0, s50, 0xff
	s_delay_alu instid0(SALU_CYCLE_1) | instskip(SKIP_1) | instid1(VALU_DEP_1)
	s_cmp_lt_i32 s0, 11
	s_wait_kmcnt 0x0
	v_add_nc_u64_e32 v[14:15], s[6:7], v[4:5]
	s_cbranch_scc1 .LBB63_1236
; %bb.1230:
	s_and_b32 s1, 0xffff, s0
	s_mov_b32 s7, 0
	s_cmp_gt_i32 s1, 25
	s_cbranch_scc0 .LBB63_1237
; %bb.1231:
	s_cmp_gt_i32 s1, 28
	s_cbranch_scc0 .LBB63_1239
; %bb.1232:
	;; [unrolled: 3-line block ×4, first 2 shown]
	s_cmp_eq_u32 s1, 46
	s_mov_b32 s37, 0
	s_cbranch_scc0 .LBB63_1246
; %bb.1235:
	global_load_b32 v0, v[14:15], off
	s_mov_b32 s6, 0
	s_mov_b32 s36, -1
	s_wait_loadcnt 0x0
	v_lshlrev_b32_e32 v0, 16, v0
	s_delay_alu instid0(VALU_DEP_1) | instskip(NEXT) | instid1(VALU_DEP_1)
	v_trunc_f32_e32 v0, v0
	v_mul_f32_e64 v1, 0x2f800000, |v0|
	s_delay_alu instid0(VALU_DEP_1) | instskip(NEXT) | instid1(VALU_DEP_1)
	v_floor_f32_e32 v1, v1
	v_fma_f32 v3, 0xcf800000, v1, |v0|
	v_ashrrev_i32_e32 v0, 31, v0
	v_cvt_u32_f32_e32 v4, v1
	s_delay_alu instid0(VALU_DEP_3) | instskip(NEXT) | instid1(VALU_DEP_3)
	v_cvt_u32_f32_e32 v3, v3
	v_mov_b32_e32 v1, v0
	s_delay_alu instid0(VALU_DEP_3) | instskip(NEXT) | instid1(VALU_DEP_3)
	v_xor_b32_e32 v5, v4, v0
	v_xor_b32_e32 v4, v3, v0
	s_delay_alu instid0(VALU_DEP_1)
	v_sub_nc_u64_e32 v[4:5], v[4:5], v[0:1]
	s_branch .LBB63_1248
.LBB63_1236:
	s_mov_b32 s1, -1
	s_mov_b32 s36, 0
	s_mov_b32 s7, 0
	;; [unrolled: 1-line block ×3, first 2 shown]
                                        ; implicit-def: $vgpr4_vgpr5
	s_branch .LBB63_1307
.LBB63_1237:
	s_mov_b32 s37, -1
	s_mov_b32 s36, 0
	s_mov_b32 s6, s35
                                        ; implicit-def: $vgpr4_vgpr5
	s_branch .LBB63_1275
.LBB63_1238:
	v_readlane_b32 s4, v66, 0
	s_mov_b32 s1, -1
	s_mov_b32 s45, 0
	s_mov_b32 s47, s95
                                        ; implicit-def: $vgpr12_vgpr13
	s_branch .LBB63_3012
.LBB63_1239:
	s_mov_b32 s37, -1
	s_mov_b32 s36, 0
	s_mov_b32 s6, s35
                                        ; implicit-def: $vgpr4_vgpr5
	s_branch .LBB63_1258
.LBB63_1240:
	s_mov_b32 s1, -1
	s_mov_b32 s45, 0
	s_mov_b32 s47, s95
                                        ; implicit-def: $vgpr12_vgpr13
	s_branch .LBB63_2995
.LBB63_1241:
	s_mov_b32 s37, -1
	s_mov_b32 s36, 0
	s_mov_b32 s6, s35
                                        ; implicit-def: $vgpr4_vgpr5
	s_branch .LBB63_1253
.LBB63_1242:
	s_mov_b32 s1, -1
	s_mov_b32 s45, 0
	s_mov_b32 s47, s95
                                        ; implicit-def: $vgpr12_vgpr13
	s_branch .LBB63_2990
.LBB63_1243:
	s_mov_b32 s37, -1
	s_mov_b32 s36, 0
	s_mov_b32 s6, s35
	s_branch .LBB63_1247
.LBB63_1244:
	s_mov_b32 s1, -1
	s_mov_b32 s58, 0
	s_mov_b32 s47, s89
	s_branch .LBB63_2722
.LBB63_1245:
	s_mov_b32 s1, -1
	s_mov_b32 s45, 0
	s_mov_b32 s47, s95
	s_branch .LBB63_2727
.LBB63_1246:
	s_mov_b32 s6, -1
	s_mov_b32 s36, 0
.LBB63_1247:
                                        ; implicit-def: $vgpr4_vgpr5
.LBB63_1248:
	s_and_b32 vcc_lo, exec_lo, s37
	s_cbranch_vccz .LBB63_1252
; %bb.1249:
	s_cmp_eq_u32 s1, 44
	s_cbranch_scc0 .LBB63_1251
; %bb.1250:
	global_load_u8 v3, v[14:15], off
	s_mov_b32 s6, 0
	s_mov_b32 s36, -1
	s_wait_loadcnt 0x0
	v_cmp_ne_u32_e32 vcc_lo, 0, v3
	v_lshlrev_b32_e32 v0, 23, v3
	s_delay_alu instid0(VALU_DEP_1) | instskip(NEXT) | instid1(VALU_DEP_1)
	v_trunc_f32_e32 v0, v0
	v_mul_f32_e64 v1, 0x2f800000, |v0|
	s_delay_alu instid0(VALU_DEP_1) | instskip(NEXT) | instid1(VALU_DEP_1)
	v_floor_f32_e32 v1, v1
	v_fma_f32 v4, 0xcf800000, v1, |v0|
	v_ashrrev_i32_e32 v0, 31, v0
	v_cvt_u32_f32_e32 v5, v1
	s_delay_alu instid0(VALU_DEP_3) | instskip(NEXT) | instid1(VALU_DEP_2)
	v_cvt_u32_f32_e32 v4, v4
	v_dual_mov_b32 v1, v0 :: v_dual_bitop2_b32 v5, v5, v0 bitop3:0x14
	s_delay_alu instid0(VALU_DEP_2) | instskip(NEXT) | instid1(VALU_DEP_1)
	v_xor_b32_e32 v4, v4, v0
	v_sub_nc_u64_e32 v[0:1], v[4:5], v[0:1]
	s_delay_alu instid0(VALU_DEP_1)
	v_dual_cndmask_b32 v5, 0, v1 :: v_dual_cndmask_b32 v4, 0, v0
	s_branch .LBB63_1252
.LBB63_1251:
	s_mov_b32 s6, -1
                                        ; implicit-def: $vgpr4_vgpr5
.LBB63_1252:
	s_mov_b32 s37, 0
.LBB63_1253:
	s_delay_alu instid0(SALU_CYCLE_1)
	s_and_b32 vcc_lo, exec_lo, s37
	s_cbranch_vccz .LBB63_1257
; %bb.1254:
	s_cmp_eq_u32 s1, 29
	s_cbranch_scc0 .LBB63_1256
; %bb.1255:
	global_load_b64 v[4:5], v[14:15], off
	s_mov_b32 s6, 0
	s_mov_b32 s36, -1
	s_branch .LBB63_1257
.LBB63_1256:
	s_mov_b32 s6, -1
                                        ; implicit-def: $vgpr4_vgpr5
.LBB63_1257:
	s_mov_b32 s37, 0
.LBB63_1258:
	s_delay_alu instid0(SALU_CYCLE_1)
	s_and_b32 vcc_lo, exec_lo, s37
	s_cbranch_vccz .LBB63_1274
; %bb.1259:
	s_cmp_lt_i32 s1, 27
	s_cbranch_scc1 .LBB63_1262
; %bb.1260:
	s_cmp_gt_i32 s1, 27
	s_cbranch_scc0 .LBB63_1263
; %bb.1261:
	s_wait_loadcnt 0x0
	global_load_b32 v4, v[14:15], off
	v_mov_b32_e32 v5, 0
	s_mov_b32 s36, 0
	s_branch .LBB63_1264
.LBB63_1262:
	s_mov_b32 s36, -1
                                        ; implicit-def: $vgpr4_vgpr5
	s_branch .LBB63_1267
.LBB63_1263:
	s_mov_b32 s36, -1
                                        ; implicit-def: $vgpr4_vgpr5
.LBB63_1264:
	s_delay_alu instid0(SALU_CYCLE_1)
	s_and_not1_b32 vcc_lo, exec_lo, s36
	s_cbranch_vccnz .LBB63_1266
; %bb.1265:
	global_load_u16 v0, v[14:15], off
	s_mov_b32 s36, 0
	s_wait_loadcnt 0x1
	v_mov_b32_e32 v5, s36
	s_wait_loadcnt 0x0
	v_and_b32_e32 v4, 0xffff, v0
.LBB63_1266:
	s_mov_b32 s36, 0
.LBB63_1267:
	s_delay_alu instid0(SALU_CYCLE_1)
	s_and_not1_b32 vcc_lo, exec_lo, s36
	s_cbranch_vccnz .LBB63_1273
; %bb.1268:
	global_load_u8 v0, v[14:15], off
	s_mov_b32 s37, 0
	s_mov_b32 s36, exec_lo
	s_wait_loadcnt 0x0
	v_cmpx_lt_i16_e32 0x7f, v0
	s_xor_b32 s36, exec_lo, s36
	s_cbranch_execz .LBB63_1285
; %bb.1269:
	v_cmp_ne_u16_e32 vcc_lo, 0x80, v0
	s_and_b32 s37, vcc_lo, exec_lo
	s_and_not1_saveexec_b32 s36, s36
	s_cbranch_execnz .LBB63_1286
.LBB63_1270:
	s_or_b32 exec_lo, exec_lo, s36
	v_mov_b64_e32 v[4:5], 0
	s_and_saveexec_b32 s36, s37
	s_cbranch_execz .LBB63_1272
.LBB63_1271:
	v_and_b32_e32 v1, 0xffff, v0
	s_delay_alu instid0(VALU_DEP_1) | instskip(SKIP_1) | instid1(VALU_DEP_2)
	v_and_b32_e32 v3, 7, v1
	v_bfe_u32 v7, v1, 3, 4
	v_clz_i32_u32_e32 v4, v3
	s_delay_alu instid0(VALU_DEP_2) | instskip(NEXT) | instid1(VALU_DEP_2)
	v_cmp_eq_u32_e32 vcc_lo, 0, v7
	v_min_u32_e32 v4, 32, v4
	s_delay_alu instid0(VALU_DEP_1) | instskip(NEXT) | instid1(VALU_DEP_1)
	v_subrev_nc_u32_e32 v5, 28, v4
	v_dual_lshlrev_b32 v1, v5, v1 :: v_dual_sub_nc_u32 v4, 29, v4
	s_delay_alu instid0(VALU_DEP_1) | instskip(NEXT) | instid1(VALU_DEP_1)
	v_dual_lshlrev_b32 v0, 24, v0 :: v_dual_bitop2_b32 v1, 7, v1 bitop3:0x40
	v_cndmask_b32_e32 v1, v3, v1, vcc_lo
	s_delay_alu instid0(VALU_DEP_3) | instskip(NEXT) | instid1(VALU_DEP_3)
	v_cndmask_b32_e32 v4, v7, v4, vcc_lo
	v_and_b32_e32 v0, 0x80000000, v0
	s_delay_alu instid0(VALU_DEP_3) | instskip(NEXT) | instid1(VALU_DEP_3)
	v_lshlrev_b32_e32 v1, 20, v1
	v_lshl_add_u32 v3, v4, 23, 0x3b800000
	s_delay_alu instid0(VALU_DEP_1) | instskip(NEXT) | instid1(VALU_DEP_1)
	v_or3_b32 v0, v0, v3, v1
	v_trunc_f32_e32 v0, v0
	s_delay_alu instid0(VALU_DEP_1) | instskip(NEXT) | instid1(VALU_DEP_1)
	v_mul_f32_e64 v1, 0x2f800000, |v0|
	v_floor_f32_e32 v1, v1
	s_delay_alu instid0(VALU_DEP_1) | instskip(SKIP_2) | instid1(VALU_DEP_3)
	v_fma_f32 v3, 0xcf800000, v1, |v0|
	v_ashrrev_i32_e32 v0, 31, v0
	v_cvt_u32_f32_e32 v4, v1
	v_cvt_u32_f32_e32 v3, v3
	s_delay_alu instid0(VALU_DEP_3) | instskip(NEXT) | instid1(VALU_DEP_3)
	v_mov_b32_e32 v1, v0
	v_xor_b32_e32 v5, v4, v0
	s_delay_alu instid0(VALU_DEP_3) | instskip(NEXT) | instid1(VALU_DEP_1)
	v_xor_b32_e32 v4, v3, v0
	v_sub_nc_u64_e32 v[4:5], v[4:5], v[0:1]
.LBB63_1272:
	s_or_b32 exec_lo, exec_lo, s36
.LBB63_1273:
	s_mov_b32 s36, -1
.LBB63_1274:
	s_mov_b32 s37, 0
.LBB63_1275:
	s_delay_alu instid0(SALU_CYCLE_1)
	s_and_b32 vcc_lo, exec_lo, s37
	s_cbranch_vccz .LBB63_1306
; %bb.1276:
	s_cmp_gt_i32 s1, 22
	s_cbranch_scc0 .LBB63_1284
; %bb.1277:
	s_cmp_lt_i32 s1, 24
	s_cbranch_scc1 .LBB63_1287
; %bb.1278:
	s_cmp_gt_i32 s1, 24
	s_cbranch_scc0 .LBB63_1288
; %bb.1279:
	global_load_u8 v0, v[14:15], off
	s_mov_b32 s36, 0
	s_mov_b32 s7, exec_lo
	s_wait_loadcnt 0x0
	v_cmpx_lt_i16_e32 0x7f, v0
	s_xor_b32 s7, exec_lo, s7
	s_cbranch_execz .LBB63_1300
; %bb.1280:
	v_cmp_ne_u16_e32 vcc_lo, 0x80, v0
	s_and_b32 s36, vcc_lo, exec_lo
	s_and_not1_saveexec_b32 s7, s7
	s_cbranch_execnz .LBB63_1301
.LBB63_1281:
	s_or_b32 exec_lo, exec_lo, s7
	v_mov_b64_e32 v[4:5], 0
	s_and_saveexec_b32 s7, s36
	s_cbranch_execz .LBB63_1283
.LBB63_1282:
	v_and_b32_e32 v1, 0xffff, v0
	s_delay_alu instid0(VALU_DEP_1) | instskip(SKIP_1) | instid1(VALU_DEP_2)
	v_and_b32_e32 v3, 3, v1
	v_bfe_u32 v7, v1, 2, 5
	v_clz_i32_u32_e32 v4, v3
	s_delay_alu instid0(VALU_DEP_2) | instskip(NEXT) | instid1(VALU_DEP_2)
	v_cmp_eq_u32_e32 vcc_lo, 0, v7
	v_min_u32_e32 v4, 32, v4
	s_delay_alu instid0(VALU_DEP_1) | instskip(NEXT) | instid1(VALU_DEP_1)
	v_subrev_nc_u32_e32 v5, 29, v4
	v_dual_lshlrev_b32 v1, v5, v1 :: v_dual_sub_nc_u32 v4, 30, v4
	s_delay_alu instid0(VALU_DEP_1) | instskip(NEXT) | instid1(VALU_DEP_1)
	v_dual_lshlrev_b32 v0, 24, v0 :: v_dual_bitop2_b32 v1, 3, v1 bitop3:0x40
	v_cndmask_b32_e32 v1, v3, v1, vcc_lo
	s_delay_alu instid0(VALU_DEP_3) | instskip(NEXT) | instid1(VALU_DEP_3)
	v_cndmask_b32_e32 v4, v7, v4, vcc_lo
	v_and_b32_e32 v0, 0x80000000, v0
	s_delay_alu instid0(VALU_DEP_3) | instskip(NEXT) | instid1(VALU_DEP_3)
	v_lshlrev_b32_e32 v1, 21, v1
	v_lshl_add_u32 v3, v4, 23, 0x37800000
	s_delay_alu instid0(VALU_DEP_1) | instskip(NEXT) | instid1(VALU_DEP_1)
	v_or3_b32 v0, v0, v3, v1
	v_trunc_f32_e32 v0, v0
	s_delay_alu instid0(VALU_DEP_1) | instskip(NEXT) | instid1(VALU_DEP_1)
	v_mul_f32_e64 v1, 0x2f800000, |v0|
	v_floor_f32_e32 v1, v1
	s_delay_alu instid0(VALU_DEP_1) | instskip(SKIP_2) | instid1(VALU_DEP_3)
	v_fma_f32 v3, 0xcf800000, v1, |v0|
	v_ashrrev_i32_e32 v0, 31, v0
	v_cvt_u32_f32_e32 v4, v1
	v_cvt_u32_f32_e32 v3, v3
	s_delay_alu instid0(VALU_DEP_3) | instskip(NEXT) | instid1(VALU_DEP_3)
	v_mov_b32_e32 v1, v0
	v_xor_b32_e32 v5, v4, v0
	s_delay_alu instid0(VALU_DEP_3) | instskip(NEXT) | instid1(VALU_DEP_1)
	v_xor_b32_e32 v4, v3, v0
	v_sub_nc_u64_e32 v[4:5], v[4:5], v[0:1]
.LBB63_1283:
	s_or_b32 exec_lo, exec_lo, s7
	s_mov_b32 s7, 0
	s_branch .LBB63_1289
.LBB63_1284:
	s_mov_b32 s7, -1
                                        ; implicit-def: $vgpr4_vgpr5
	s_branch .LBB63_1295
.LBB63_1285:
	s_and_not1_saveexec_b32 s36, s36
	s_cbranch_execz .LBB63_1270
.LBB63_1286:
	v_cmp_ne_u16_e32 vcc_lo, 0, v0
	s_and_not1_b32 s37, s37, exec_lo
	s_and_b32 s38, vcc_lo, exec_lo
	s_delay_alu instid0(SALU_CYCLE_1)
	s_or_b32 s37, s37, s38
	s_or_b32 exec_lo, exec_lo, s36
	v_mov_b64_e32 v[4:5], 0
	s_and_saveexec_b32 s36, s37
	s_cbranch_execnz .LBB63_1271
	s_branch .LBB63_1272
.LBB63_1287:
	s_mov_b32 s7, -1
                                        ; implicit-def: $vgpr4_vgpr5
	s_branch .LBB63_1292
.LBB63_1288:
	s_mov_b32 s7, -1
                                        ; implicit-def: $vgpr4_vgpr5
.LBB63_1289:
	s_delay_alu instid0(SALU_CYCLE_1)
	s_and_b32 vcc_lo, exec_lo, s7
	s_cbranch_vccz .LBB63_1291
; %bb.1290:
	global_load_u8 v0, v[14:15], off
	s_wait_loadcnt 0x0
	v_lshlrev_b32_e32 v0, 24, v0
	s_delay_alu instid0(VALU_DEP_1) | instskip(NEXT) | instid1(VALU_DEP_1)
	v_and_b32_e32 v1, 0x7f000000, v0
	v_clz_i32_u32_e32 v3, v1
	v_add_nc_u32_e32 v5, 0x1000000, v1
	v_cmp_ne_u32_e32 vcc_lo, 0, v1
	s_delay_alu instid0(VALU_DEP_3) | instskip(NEXT) | instid1(VALU_DEP_1)
	v_min_u32_e32 v3, 32, v3
	v_sub_nc_u32_e64 v3, v3, 4 clamp
	s_delay_alu instid0(VALU_DEP_1) | instskip(NEXT) | instid1(VALU_DEP_1)
	v_dual_lshlrev_b32 v4, v3, v1 :: v_dual_lshlrev_b32 v3, 23, v3
	v_lshrrev_b32_e32 v4, 4, v4
	s_delay_alu instid0(VALU_DEP_1) | instskip(NEXT) | instid1(VALU_DEP_1)
	v_dual_sub_nc_u32 v3, v4, v3 :: v_dual_ashrrev_i32 v4, 8, v5
	v_add_nc_u32_e32 v3, 0x3c000000, v3
	s_delay_alu instid0(VALU_DEP_1) | instskip(NEXT) | instid1(VALU_DEP_1)
	v_and_or_b32 v3, 0x7f800000, v4, v3
	v_cndmask_b32_e32 v1, 0, v3, vcc_lo
	s_delay_alu instid0(VALU_DEP_1) | instskip(NEXT) | instid1(VALU_DEP_1)
	v_and_or_b32 v0, 0x80000000, v0, v1
	v_trunc_f32_e32 v0, v0
	s_delay_alu instid0(VALU_DEP_1) | instskip(NEXT) | instid1(VALU_DEP_1)
	v_mul_f32_e64 v1, 0x2f800000, |v0|
	v_floor_f32_e32 v1, v1
	s_delay_alu instid0(VALU_DEP_1) | instskip(SKIP_2) | instid1(VALU_DEP_3)
	v_fma_f32 v3, 0xcf800000, v1, |v0|
	v_ashrrev_i32_e32 v0, 31, v0
	v_cvt_u32_f32_e32 v4, v1
	v_cvt_u32_f32_e32 v3, v3
	s_delay_alu instid0(VALU_DEP_3) | instskip(NEXT) | instid1(VALU_DEP_3)
	v_mov_b32_e32 v1, v0
	v_xor_b32_e32 v5, v4, v0
	s_delay_alu instid0(VALU_DEP_3) | instskip(NEXT) | instid1(VALU_DEP_1)
	v_xor_b32_e32 v4, v3, v0
	v_sub_nc_u64_e32 v[4:5], v[4:5], v[0:1]
.LBB63_1291:
	s_mov_b32 s7, 0
.LBB63_1292:
	s_delay_alu instid0(SALU_CYCLE_1)
	s_and_not1_b32 vcc_lo, exec_lo, s7
	s_cbranch_vccnz .LBB63_1294
; %bb.1293:
	global_load_u8 v0, v[14:15], off
	s_wait_loadcnt 0x0
	v_lshlrev_b32_e32 v1, 25, v0
	v_lshlrev_b16 v0, 8, v0
	s_delay_alu instid0(VALU_DEP_2) | instskip(NEXT) | instid1(VALU_DEP_2)
	v_cmp_gt_u32_e32 vcc_lo, 0x8000000, v1
	v_and_or_b32 v4, 0x7f00, v0, 0.5
	v_lshrrev_b32_e32 v3, 4, v1
	v_bfe_i32 v0, v0, 0, 16
	s_delay_alu instid0(VALU_DEP_3) | instskip(NEXT) | instid1(VALU_DEP_3)
	v_add_f32_e32 v4, -0.5, v4
	v_or_b32_e32 v3, 0x70000000, v3
	s_delay_alu instid0(VALU_DEP_1) | instskip(NEXT) | instid1(VALU_DEP_1)
	v_mul_f32_e32 v3, 0x7800000, v3
	v_cndmask_b32_e32 v1, v3, v4, vcc_lo
	s_delay_alu instid0(VALU_DEP_1) | instskip(NEXT) | instid1(VALU_DEP_1)
	v_and_or_b32 v0, 0x80000000, v0, v1
	v_trunc_f32_e32 v0, v0
	s_delay_alu instid0(VALU_DEP_1) | instskip(NEXT) | instid1(VALU_DEP_1)
	v_mul_f32_e64 v1, 0x2f800000, |v0|
	v_floor_f32_e32 v1, v1
	s_delay_alu instid0(VALU_DEP_1) | instskip(SKIP_2) | instid1(VALU_DEP_3)
	v_fma_f32 v3, 0xcf800000, v1, |v0|
	v_ashrrev_i32_e32 v0, 31, v0
	v_cvt_u32_f32_e32 v4, v1
	v_cvt_u32_f32_e32 v3, v3
	s_delay_alu instid0(VALU_DEP_3) | instskip(NEXT) | instid1(VALU_DEP_3)
	v_mov_b32_e32 v1, v0
	v_xor_b32_e32 v5, v4, v0
	s_delay_alu instid0(VALU_DEP_3) | instskip(NEXT) | instid1(VALU_DEP_1)
	v_xor_b32_e32 v4, v3, v0
	v_sub_nc_u64_e32 v[4:5], v[4:5], v[0:1]
.LBB63_1294:
	s_mov_b32 s7, 0
	s_mov_b32 s36, -1
.LBB63_1295:
	s_and_not1_b32 vcc_lo, exec_lo, s7
	s_mov_b32 s7, 0
	s_cbranch_vccnz .LBB63_1306
; %bb.1296:
	s_cmp_gt_i32 s1, 14
	s_cbranch_scc0 .LBB63_1299
; %bb.1297:
	s_cmp_eq_u32 s1, 15
	s_cbranch_scc0 .LBB63_1302
; %bb.1298:
	global_load_u16 v0, v[14:15], off
	s_mov_b32 s6, 0
	s_mov_b32 s36, -1
	s_wait_loadcnt 0x0
	v_lshlrev_b32_e32 v0, 16, v0
	s_delay_alu instid0(VALU_DEP_1) | instskip(NEXT) | instid1(VALU_DEP_1)
	v_trunc_f32_e32 v0, v0
	v_mul_f32_e64 v1, 0x2f800000, |v0|
	s_delay_alu instid0(VALU_DEP_1) | instskip(NEXT) | instid1(VALU_DEP_1)
	v_floor_f32_e32 v1, v1
	v_fma_f32 v3, 0xcf800000, v1, |v0|
	v_ashrrev_i32_e32 v0, 31, v0
	v_cvt_u32_f32_e32 v4, v1
	s_delay_alu instid0(VALU_DEP_3) | instskip(NEXT) | instid1(VALU_DEP_3)
	v_cvt_u32_f32_e32 v3, v3
	v_mov_b32_e32 v1, v0
	s_delay_alu instid0(VALU_DEP_3) | instskip(NEXT) | instid1(VALU_DEP_3)
	v_xor_b32_e32 v5, v4, v0
	v_xor_b32_e32 v4, v3, v0
	s_delay_alu instid0(VALU_DEP_1)
	v_sub_nc_u64_e32 v[4:5], v[4:5], v[0:1]
	s_branch .LBB63_1304
.LBB63_1299:
	s_mov_b32 s7, -1
	s_branch .LBB63_1303
.LBB63_1300:
	s_and_not1_saveexec_b32 s7, s7
	s_cbranch_execz .LBB63_1281
.LBB63_1301:
	v_cmp_ne_u16_e32 vcc_lo, 0, v0
	s_and_not1_b32 s36, s36, exec_lo
	s_and_b32 s37, vcc_lo, exec_lo
	s_delay_alu instid0(SALU_CYCLE_1)
	s_or_b32 s36, s36, s37
	s_or_b32 exec_lo, exec_lo, s7
	v_mov_b64_e32 v[4:5], 0
	s_and_saveexec_b32 s7, s36
	s_cbranch_execnz .LBB63_1282
	s_branch .LBB63_1283
.LBB63_1302:
	s_mov_b32 s6, -1
.LBB63_1303:
                                        ; implicit-def: $vgpr4_vgpr5
.LBB63_1304:
	s_and_b32 vcc_lo, exec_lo, s7
	s_mov_b32 s7, 0
	s_cbranch_vccz .LBB63_1306
; %bb.1305:
	s_cmp_lg_u32 s1, 11
	s_mov_b32 s7, -1
	s_cselect_b32 s1, -1, 0
	s_and_not1_b32 s6, s6, exec_lo
	s_and_b32 s1, s1, exec_lo
	s_delay_alu instid0(SALU_CYCLE_1)
	s_or_b32 s6, s6, s1
.LBB63_1306:
	s_mov_b32 s1, 0
.LBB63_1307:
	s_and_b32 s59, s36, exec_lo
	s_and_not1_b32 s36, s35, exec_lo
	s_and_b32 s6, s6, exec_lo
	s_and_b32 s58, s1, exec_lo
	;; [unrolled: 1-line block ×3, first 2 shown]
	s_or_b32 s60, s36, s6
.LBB63_1308:
	s_wait_xcnt 0x0
	s_or_b32 exec_lo, exec_lo, s68
	s_delay_alu instid0(SALU_CYCLE_1)
	s_and_not1_b32 s6, s35, exec_lo
	s_and_b32 s7, s60, exec_lo
	s_and_b32 s59, s59, exec_lo
	s_and_b32 s58, s58, exec_lo
	s_and_b32 s1, s1, exec_lo
	s_or_b32 s35, s6, s7
.LBB63_1309:
	s_or_b32 exec_lo, exec_lo, s44
	s_delay_alu instid0(SALU_CYCLE_1)
	s_and_not1_b32 s6, s101, exec_lo
	s_and_b32 s7, s67, exec_lo
	s_and_not1_b32 s36, vcc_hi, exec_lo
	s_or_b32 s101, s6, s7
	s_and_not1_b32 s6, s104, exec_lo
	s_and_b32 s7, s64, exec_lo
	s_and_b32 s37, s66, exec_lo
	s_or_b32 s104, s6, s7
	s_and_not1_b32 s6, s99, exec_lo
	s_and_b32 s7, s62, exec_lo
	s_or_b32 vcc_hi, s36, s37
	s_and_not1_b32 s36, s100, exec_lo
	s_and_b32 s37, s65, exec_lo
	s_or_b32 s99, s6, s7
	s_and_not1_b32 s6, s97, exec_lo
	s_and_b32 s7, s46, exec_lo
	s_or_b32 s100, s36, s37
	s_and_not1_b32 s36, s98, exec_lo
	s_and_b32 s37, s63, exec_lo
	s_or_b32 s97, s6, s7
	s_and_not1_b32 s6, s95, exec_lo
	s_and_b32 s7, s45, exec_lo
	s_or_b32 s98, s36, s37
	s_and_not1_b32 s36, s96, exec_lo
	s_and_b32 s37, s47, exec_lo
	s_or_b32 s95, s6, s7
	s_and_not1_b32 s6, s94, exec_lo
	s_and_b32 s7, s35, exec_lo
	s_or_b32 s96, s36, s37
	s_and_b32 s45, s59, exec_lo
	s_and_b32 s44, s58, exec_lo
	;; [unrolled: 1-line block ×3, first 2 shown]
	s_or_b32 s94, s6, s7
.LBB63_1310:
	s_or_b32 exec_lo, exec_lo, s23
	s_delay_alu instid0(SALU_CYCLE_1)
	s_and_not1_b32 s6, s70, exec_lo
	s_and_b32 s7, s101, exec_lo
	s_and_not1_b32 s23, s85, exec_lo
	s_or_b32 s70, s6, s7
	s_and_not1_b32 s6, s71, exec_lo
	s_and_b32 s7, s104, exec_lo
	s_and_b32 s35, vcc_hi, exec_lo
	s_or_b32 s71, s6, s7
	s_and_not1_b32 s6, s86, exec_lo
	s_and_b32 s7, s99, exec_lo
	s_or_b32 s85, s23, s35
	s_and_not1_b32 s23, s87, exec_lo
	s_and_b32 s35, s100, exec_lo
	;; [unrolled: 3-line block ×7, first 2 shown]
	s_or_b32 s91, s23, s35
	s_and_b32 s23, s45, exec_lo
	s_and_b32 s44, s44, exec_lo
	;; [unrolled: 1-line block ×3, first 2 shown]
	s_or_b32 s92, s6, s7
	s_or_b32 exec_lo, exec_lo, s93
	s_mov_b32 s1, 0
	s_and_saveexec_b32 s6, s92
	s_cbranch_execz .LBB63_533
.LBB63_1311:
	s_mov_b32 s1, exec_lo
	s_and_not1_b32 s55, s55, exec_lo
	s_trap 2
	s_or_b32 exec_lo, exec_lo, s6
	s_and_saveexec_b32 s6, s55
	s_delay_alu instid0(SALU_CYCLE_1)
	s_xor_b32 s6, exec_lo, s6
	s_cbranch_execnz .LBB63_534
.LBB63_1312:
	s_or_b32 exec_lo, exec_lo, s6
	s_and_saveexec_b32 s6, s44
	s_cbranch_execz .LBB63_1358
.LBB63_1313:
	s_sext_i32_i16 s7, s0
	s_delay_alu instid0(SALU_CYCLE_1)
	s_cmp_lt_i32 s7, 5
	s_cbranch_scc1 .LBB63_1318
; %bb.1314:
	s_cmp_lt_i32 s7, 8
	s_cbranch_scc1 .LBB63_1319
; %bb.1315:
	;; [unrolled: 3-line block ×3, first 2 shown]
	s_cmp_gt_i32 s7, 9
	s_cbranch_scc0 .LBB63_1321
; %bb.1317:
	s_wait_loadcnt 0x0
	global_load_b64 v[0:1], v[14:15], off
	s_mov_b32 s7, 0
	s_wait_loadcnt 0x0
	v_trunc_f64_e32 v[0:1], v[0:1]
	s_delay_alu instid0(VALU_DEP_1) | instskip(NEXT) | instid1(VALU_DEP_1)
	v_ldexp_f64 v[4:5], v[0:1], 0xffffffe0
	v_floor_f64_e32 v[4:5], v[4:5]
	s_delay_alu instid0(VALU_DEP_1) | instskip(SKIP_1) | instid1(VALU_DEP_2)
	v_fmamk_f64 v[0:1], v[4:5], 0xc1f00000, v[0:1]
	v_cvt_i32_f64_e32 v5, v[4:5]
	v_cvt_u32_f64_e32 v4, v[0:1]
	s_branch .LBB63_1322
.LBB63_1318:
                                        ; implicit-def: $vgpr4_vgpr5
	s_branch .LBB63_1339
.LBB63_1319:
                                        ; implicit-def: $vgpr4_vgpr5
	s_branch .LBB63_1328
.LBB63_1320:
	s_mov_b32 s7, -1
                                        ; implicit-def: $vgpr4_vgpr5
	s_branch .LBB63_1325
.LBB63_1321:
	s_mov_b32 s7, -1
                                        ; implicit-def: $vgpr4_vgpr5
.LBB63_1322:
	s_delay_alu instid0(SALU_CYCLE_1)
	s_and_not1_b32 vcc_lo, exec_lo, s7
	s_cbranch_vccnz .LBB63_1324
; %bb.1323:
	s_wait_loadcnt 0x0
	global_load_b32 v0, v[14:15], off
	s_wait_loadcnt 0x0
	v_trunc_f32_e32 v0, v0
	s_delay_alu instid0(VALU_DEP_1) | instskip(NEXT) | instid1(VALU_DEP_1)
	v_mul_f32_e64 v1, 0x2f800000, |v0|
	v_floor_f32_e32 v1, v1
	s_delay_alu instid0(VALU_DEP_1) | instskip(SKIP_2) | instid1(VALU_DEP_3)
	v_fma_f32 v3, 0xcf800000, v1, |v0|
	v_ashrrev_i32_e32 v0, 31, v0
	v_cvt_u32_f32_e32 v4, v1
	v_cvt_u32_f32_e32 v3, v3
	s_delay_alu instid0(VALU_DEP_3) | instskip(NEXT) | instid1(VALU_DEP_3)
	v_mov_b32_e32 v1, v0
	v_xor_b32_e32 v5, v4, v0
	s_delay_alu instid0(VALU_DEP_3) | instskip(NEXT) | instid1(VALU_DEP_1)
	v_xor_b32_e32 v4, v3, v0
	v_sub_nc_u64_e32 v[4:5], v[4:5], v[0:1]
.LBB63_1324:
	s_mov_b32 s7, 0
.LBB63_1325:
	s_delay_alu instid0(SALU_CYCLE_1)
	s_and_not1_b32 vcc_lo, exec_lo, s7
	s_cbranch_vccnz .LBB63_1327
; %bb.1326:
	s_wait_loadcnt 0x0
	global_load_b32 v0, v[14:15], off
	s_wait_loadcnt 0x0
	v_cvt_f32_f16_e32 v0, v0
	s_delay_alu instid0(VALU_DEP_1) | instskip(NEXT) | instid1(VALU_DEP_1)
	v_cvt_i32_f32_e32 v4, v0
	v_ashrrev_i32_e32 v5, 31, v4
.LBB63_1327:
	s_cbranch_execnz .LBB63_1338
.LBB63_1328:
	s_sext_i32_i16 s7, s0
	s_delay_alu instid0(SALU_CYCLE_1)
	s_cmp_lt_i32 s7, 6
	s_cbranch_scc1 .LBB63_1331
; %bb.1329:
	s_cmp_gt_i32 s7, 6
	s_cbranch_scc0 .LBB63_1332
; %bb.1330:
	s_wait_loadcnt 0x0
	global_load_b64 v[0:1], v[14:15], off
	s_mov_b32 s7, 0
	s_wait_loadcnt 0x0
	v_trunc_f64_e32 v[0:1], v[0:1]
	s_delay_alu instid0(VALU_DEP_1) | instskip(NEXT) | instid1(VALU_DEP_1)
	v_ldexp_f64 v[4:5], v[0:1], 0xffffffe0
	v_floor_f64_e32 v[4:5], v[4:5]
	s_delay_alu instid0(VALU_DEP_1) | instskip(SKIP_1) | instid1(VALU_DEP_2)
	v_fmamk_f64 v[0:1], v[4:5], 0xc1f00000, v[0:1]
	v_cvt_i32_f64_e32 v5, v[4:5]
	v_cvt_u32_f64_e32 v4, v[0:1]
	s_branch .LBB63_1333
.LBB63_1331:
	s_mov_b32 s7, -1
                                        ; implicit-def: $vgpr4_vgpr5
	s_branch .LBB63_1336
.LBB63_1332:
	s_mov_b32 s7, -1
                                        ; implicit-def: $vgpr4_vgpr5
.LBB63_1333:
	s_delay_alu instid0(SALU_CYCLE_1)
	s_and_not1_b32 vcc_lo, exec_lo, s7
	s_cbranch_vccnz .LBB63_1335
; %bb.1334:
	s_wait_loadcnt 0x0
	global_load_b32 v0, v[14:15], off
	s_wait_loadcnt 0x0
	v_trunc_f32_e32 v0, v0
	s_delay_alu instid0(VALU_DEP_1) | instskip(NEXT) | instid1(VALU_DEP_1)
	v_mul_f32_e64 v1, 0x2f800000, |v0|
	v_floor_f32_e32 v1, v1
	s_delay_alu instid0(VALU_DEP_1) | instskip(SKIP_2) | instid1(VALU_DEP_3)
	v_fma_f32 v3, 0xcf800000, v1, |v0|
	v_ashrrev_i32_e32 v0, 31, v0
	v_cvt_u32_f32_e32 v4, v1
	v_cvt_u32_f32_e32 v3, v3
	s_delay_alu instid0(VALU_DEP_3) | instskip(NEXT) | instid1(VALU_DEP_3)
	v_mov_b32_e32 v1, v0
	v_xor_b32_e32 v5, v4, v0
	s_delay_alu instid0(VALU_DEP_3) | instskip(NEXT) | instid1(VALU_DEP_1)
	v_xor_b32_e32 v4, v3, v0
	v_sub_nc_u64_e32 v[4:5], v[4:5], v[0:1]
.LBB63_1335:
	s_mov_b32 s7, 0
.LBB63_1336:
	s_delay_alu instid0(SALU_CYCLE_1)
	s_and_not1_b32 vcc_lo, exec_lo, s7
	s_cbranch_vccnz .LBB63_1338
; %bb.1337:
	s_wait_loadcnt 0x0
	global_load_u16 v0, v[14:15], off
	s_wait_loadcnt 0x0
	v_cvt_f32_f16_e32 v0, v0
	s_delay_alu instid0(VALU_DEP_1) | instskip(NEXT) | instid1(VALU_DEP_1)
	v_cvt_i32_f32_e32 v4, v0
	v_ashrrev_i32_e32 v5, 31, v4
.LBB63_1338:
	s_cbranch_execnz .LBB63_1357
.LBB63_1339:
	s_sext_i32_i16 s7, s0
	s_delay_alu instid0(SALU_CYCLE_1)
	s_cmp_lt_i32 s7, 2
	s_cbranch_scc1 .LBB63_1343
; %bb.1340:
	s_cmp_lt_i32 s7, 3
	s_cbranch_scc1 .LBB63_1344
; %bb.1341:
	s_cmp_gt_i32 s7, 3
	s_cbranch_scc0 .LBB63_1345
; %bb.1342:
	s_wait_loadcnt 0x0
	global_load_b64 v[4:5], v[14:15], off
	s_mov_b32 s7, 0
	s_branch .LBB63_1346
.LBB63_1343:
                                        ; implicit-def: $vgpr4_vgpr5
	s_branch .LBB63_1352
.LBB63_1344:
	s_mov_b32 s7, -1
                                        ; implicit-def: $vgpr4_vgpr5
	s_branch .LBB63_1349
.LBB63_1345:
	s_mov_b32 s7, -1
                                        ; implicit-def: $vgpr4_vgpr5
.LBB63_1346:
	s_delay_alu instid0(SALU_CYCLE_1)
	s_and_not1_b32 vcc_lo, exec_lo, s7
	s_cbranch_vccnz .LBB63_1348
; %bb.1347:
	s_wait_loadcnt 0x0
	global_load_b32 v4, v[14:15], off
	s_wait_loadcnt 0x0
	v_ashrrev_i32_e32 v5, 31, v4
.LBB63_1348:
	s_mov_b32 s7, 0
.LBB63_1349:
	s_delay_alu instid0(SALU_CYCLE_1)
	s_and_not1_b32 vcc_lo, exec_lo, s7
	s_cbranch_vccnz .LBB63_1351
; %bb.1350:
	s_wait_loadcnt 0x0
	global_load_u16 v0, v[14:15], off
	s_wait_loadcnt 0x0
	v_bfe_i32 v4, v0, 0, 16
	s_delay_alu instid0(VALU_DEP_1)
	v_ashrrev_i32_e32 v5, 31, v4
.LBB63_1351:
	s_cbranch_execnz .LBB63_1357
.LBB63_1352:
	s_sext_i32_i16 s0, s0
	s_delay_alu instid0(SALU_CYCLE_1)
	s_cmp_gt_i32 s0, 0
	s_mov_b32 s0, 0
	s_cbranch_scc0 .LBB63_1354
; %bb.1353:
	s_wait_loadcnt 0x0
	global_load_i8 v0, v[14:15], off
	s_wait_loadcnt 0x0
	v_bfe_i32 v4, v0, 0, 16
	s_delay_alu instid0(VALU_DEP_1)
	v_ashrrev_i32_e32 v5, 31, v4
	s_branch .LBB63_1355
.LBB63_1354:
	s_mov_b32 s0, -1
                                        ; implicit-def: $vgpr4_vgpr5
.LBB63_1355:
	s_delay_alu instid0(SALU_CYCLE_1)
	s_and_not1_b32 vcc_lo, exec_lo, s0
	s_cbranch_vccnz .LBB63_1357
; %bb.1356:
	s_wait_loadcnt 0x0
	global_load_u8 v0, v[14:15], off
	s_mov_b32 s0, 0
	s_delay_alu instid0(SALU_CYCLE_1)
	v_mov_b32_e32 v5, s0
	s_wait_loadcnt 0x0
	v_and_b32_e32 v4, 0xffff, v0
.LBB63_1357:
	s_or_b32 s23, s23, exec_lo
.LBB63_1358:
	s_wait_xcnt 0x0
	s_or_b32 exec_lo, exec_lo, s6
	s_mov_b32 s36, 0
	s_mov_b32 s35, 0
	;; [unrolled: 1-line block ×3, first 2 shown]
                                        ; implicit-def: $sgpr0
                                        ; implicit-def: $vgpr14_vgpr15
                                        ; implicit-def: $vgpr0_vgpr1
	s_and_saveexec_b32 s6, s23
	s_cbranch_execz .LBB63_1366
; %bb.1359:
	s_load_b512 s[36:51], s[2:3], 0x248
	s_wait_loadcnt 0x0
	v_mov_b32_e32 v11, 0
	s_and_b32 s0, s82, 0xff
	s_delay_alu instid0(SALU_CYCLE_1) | instskip(SKIP_1) | instid1(VALU_DEP_1)
	s_cmp_lt_i32 s0, 11
	s_wait_kmcnt 0x0
	v_add_nc_u64_e32 v[14:15], s[40:41], v[10:11]
	s_cbranch_scc1 .LBB63_1369
; %bb.1360:
	s_and_b32 s7, 0xffff, s0
	s_mov_b32 s9, 0
	s_cmp_gt_i32 s7, 25
	s_cbranch_scc0 .LBB63_1370
; %bb.1361:
	s_cmp_gt_i32 s7, 28
	s_cbranch_scc0 .LBB63_1371
; %bb.1362:
	;; [unrolled: 3-line block ×4, first 2 shown]
	s_cmp_eq_u32 s7, 46
	s_cbranch_scc0 .LBB63_1374
; %bb.1365:
	global_load_b32 v0, v[14:15], off
	s_mov_b32 s8, 0
	s_mov_b32 s23, -1
	s_wait_loadcnt 0x0
	v_lshlrev_b32_e32 v0, 16, v0
	s_delay_alu instid0(VALU_DEP_1) | instskip(NEXT) | instid1(VALU_DEP_1)
	v_trunc_f32_e32 v0, v0
	v_mul_f32_e64 v1, 0x2f800000, |v0|
	s_delay_alu instid0(VALU_DEP_1) | instskip(NEXT) | instid1(VALU_DEP_1)
	v_floor_f32_e32 v1, v1
	v_fma_f32 v3, 0xcf800000, v1, |v0|
	v_ashrrev_i32_e32 v0, 31, v0
	v_cvt_u32_f32_e32 v7, v1
	s_delay_alu instid0(VALU_DEP_3) | instskip(NEXT) | instid1(VALU_DEP_2)
	v_cvt_u32_f32_e32 v3, v3
	v_dual_mov_b32 v1, v0 :: v_dual_bitop2_b32 v11, v7, v0 bitop3:0x14
	s_delay_alu instid0(VALU_DEP_2) | instskip(NEXT) | instid1(VALU_DEP_1)
	v_xor_b32_e32 v10, v3, v0
	v_sub_nc_u64_e32 v[0:1], v[10:11], v[0:1]
	s_branch .LBB63_1376
.LBB63_1366:
	s_or_b32 exec_lo, exec_lo, s6
	s_and_saveexec_b32 s6, s91
	s_cbranch_execnz .LBB63_1435
.LBB63_1367:
	s_or_b32 exec_lo, exec_lo, s6
	s_and_saveexec_b32 s6, s36
	s_delay_alu instid0(SALU_CYCLE_1)
	s_xor_b32 s6, exec_lo, s6
	s_cbranch_execz .LBB63_1436
.LBB63_1368:
	s_wait_loadcnt 0x0
	global_load_u8 v0, v[14:15], off
	s_mov_b32 s8, 0
	s_or_b32 s7, s7, exec_lo
	v_mov_b32_e32 v1, s8
	s_wait_loadcnt 0x0
	v_cmp_ne_u16_e32 vcc_lo, 0, v0
	v_cndmask_b32_e64 v0, 0, 1, vcc_lo
	s_wait_xcnt 0x0
	s_or_b32 exec_lo, exec_lo, s6
	s_and_saveexec_b32 s6, s35
	s_cbranch_execz .LBB63_1482
	s_branch .LBB63_1437
.LBB63_1369:
	s_mov_b32 s35, -1
	s_mov_b32 s23, 0
	s_mov_b32 s9, 0
	;; [unrolled: 1-line block ×3, first 2 shown]
                                        ; implicit-def: $vgpr0_vgpr1
	s_branch .LBB63_1434
.LBB63_1370:
	s_mov_b32 s23, 0
	s_mov_b32 s8, s91
                                        ; implicit-def: $vgpr0_vgpr1
	s_cbranch_execnz .LBB63_1403
	s_branch .LBB63_1433
.LBB63_1371:
	s_mov_b32 s35, -1
	s_mov_b32 s23, 0
	s_mov_b32 s8, s91
                                        ; implicit-def: $vgpr0_vgpr1
	s_branch .LBB63_1386
.LBB63_1372:
	s_mov_b32 s35, -1
	s_mov_b32 s23, 0
	s_mov_b32 s8, s91
                                        ; implicit-def: $vgpr0_vgpr1
	s_branch .LBB63_1381
.LBB63_1373:
	s_mov_b32 s35, -1
	s_mov_b32 s23, 0
	s_mov_b32 s8, s91
	s_branch .LBB63_1375
.LBB63_1374:
	s_mov_b32 s8, -1
	s_mov_b32 s23, 0
.LBB63_1375:
                                        ; implicit-def: $vgpr0_vgpr1
.LBB63_1376:
	s_and_b32 vcc_lo, exec_lo, s35
	s_cbranch_vccz .LBB63_1380
; %bb.1377:
	s_cmp_eq_u32 s7, 44
	s_cbranch_scc0 .LBB63_1379
; %bb.1378:
	global_load_u8 v3, v[14:15], off
	s_mov_b32 s8, 0
	s_mov_b32 s23, -1
	s_wait_loadcnt 0x0
	v_cmp_ne_u32_e32 vcc_lo, 0, v3
	v_lshlrev_b32_e32 v0, 23, v3
	s_delay_alu instid0(VALU_DEP_1) | instskip(NEXT) | instid1(VALU_DEP_1)
	v_trunc_f32_e32 v0, v0
	v_mul_f32_e64 v1, 0x2f800000, |v0|
	s_delay_alu instid0(VALU_DEP_1) | instskip(NEXT) | instid1(VALU_DEP_1)
	v_floor_f32_e32 v1, v1
	v_fma_f32 v7, 0xcf800000, v1, |v0|
	v_ashrrev_i32_e32 v0, 31, v0
	v_cvt_u32_f32_e32 v9, v1
	s_delay_alu instid0(VALU_DEP_3) | instskip(NEXT) | instid1(VALU_DEP_2)
	v_cvt_u32_f32_e32 v7, v7
	v_dual_mov_b32 v1, v0 :: v_dual_bitop2_b32 v11, v9, v0 bitop3:0x14
	s_delay_alu instid0(VALU_DEP_2) | instskip(NEXT) | instid1(VALU_DEP_1)
	v_xor_b32_e32 v10, v7, v0
	v_sub_nc_u64_e32 v[0:1], v[10:11], v[0:1]
	s_delay_alu instid0(VALU_DEP_1)
	v_dual_cndmask_b32 v1, 0, v1 :: v_dual_cndmask_b32 v0, 0, v0
	s_branch .LBB63_1380
.LBB63_1379:
	s_mov_b32 s8, -1
                                        ; implicit-def: $vgpr0_vgpr1
.LBB63_1380:
	s_mov_b32 s35, 0
.LBB63_1381:
	s_delay_alu instid0(SALU_CYCLE_1)
	s_and_b32 vcc_lo, exec_lo, s35
	s_cbranch_vccz .LBB63_1385
; %bb.1382:
	s_cmp_eq_u32 s7, 29
	s_cbranch_scc0 .LBB63_1384
; %bb.1383:
	global_load_b64 v[0:1], v[14:15], off
	s_mov_b32 s8, 0
	s_mov_b32 s23, -1
	s_branch .LBB63_1385
.LBB63_1384:
	s_mov_b32 s8, -1
                                        ; implicit-def: $vgpr0_vgpr1
.LBB63_1385:
	s_mov_b32 s35, 0
.LBB63_1386:
	s_delay_alu instid0(SALU_CYCLE_1)
	s_and_b32 vcc_lo, exec_lo, s35
	s_cbranch_vccz .LBB63_1402
; %bb.1387:
	s_cmp_lt_i32 s7, 27
	s_cbranch_scc1 .LBB63_1390
; %bb.1388:
	s_cmp_gt_i32 s7, 27
	s_cbranch_scc0 .LBB63_1391
; %bb.1389:
	s_wait_loadcnt 0x0
	global_load_b32 v0, v[14:15], off
	v_mov_b32_e32 v1, 0
	s_mov_b32 s23, 0
	s_branch .LBB63_1392
.LBB63_1390:
	s_mov_b32 s23, -1
                                        ; implicit-def: $vgpr0_vgpr1
	s_branch .LBB63_1395
.LBB63_1391:
	s_mov_b32 s23, -1
                                        ; implicit-def: $vgpr0_vgpr1
.LBB63_1392:
	s_delay_alu instid0(SALU_CYCLE_1)
	s_and_not1_b32 vcc_lo, exec_lo, s23
	s_cbranch_vccnz .LBB63_1394
; %bb.1393:
	s_wait_loadcnt 0x0
	global_load_u16 v0, v[14:15], off
	s_mov_b32 s23, 0
	s_delay_alu instid0(SALU_CYCLE_1)
	v_mov_b32_e32 v1, s23
	s_wait_loadcnt 0x0
	v_and_b32_e32 v0, 0xffff, v0
.LBB63_1394:
	s_mov_b32 s23, 0
.LBB63_1395:
	s_delay_alu instid0(SALU_CYCLE_1)
	s_and_not1_b32 vcc_lo, exec_lo, s23
	s_cbranch_vccnz .LBB63_1401
; %bb.1396:
	global_load_u8 v3, v[14:15], off
	s_mov_b32 s35, 0
	s_mov_b32 s23, exec_lo
	s_wait_loadcnt 0x0
	v_cmpx_lt_i16_e32 0x7f, v3
	s_xor_b32 s23, exec_lo, s23
	s_cbranch_execz .LBB63_1412
; %bb.1397:
	v_cmp_ne_u16_e32 vcc_lo, 0x80, v3
	s_and_b32 s35, vcc_lo, exec_lo
	s_and_not1_saveexec_b32 s23, s23
	s_cbranch_execnz .LBB63_1413
.LBB63_1398:
	s_or_b32 exec_lo, exec_lo, s23
	v_mov_b64_e32 v[0:1], 0
	s_and_saveexec_b32 s23, s35
	s_cbranch_execz .LBB63_1400
.LBB63_1399:
	v_and_b32_e32 v0, 0xffff, v3
	s_delay_alu instid0(VALU_DEP_1) | instskip(SKIP_1) | instid1(VALU_DEP_2)
	v_and_b32_e32 v1, 7, v0
	v_bfe_u32 v10, v0, 3, 4
	v_clz_i32_u32_e32 v7, v1
	s_delay_alu instid0(VALU_DEP_2) | instskip(NEXT) | instid1(VALU_DEP_2)
	v_cmp_eq_u32_e32 vcc_lo, 0, v10
	v_min_u32_e32 v7, 32, v7
	s_delay_alu instid0(VALU_DEP_1) | instskip(NEXT) | instid1(VALU_DEP_1)
	v_subrev_nc_u32_e32 v9, 28, v7
	v_dual_lshlrev_b32 v0, v9, v0 :: v_dual_sub_nc_u32 v7, 29, v7
	s_delay_alu instid0(VALU_DEP_1) | instskip(NEXT) | instid1(VALU_DEP_1)
	v_dual_lshlrev_b32 v3, 24, v3 :: v_dual_bitop2_b32 v0, 7, v0 bitop3:0x40
	v_dual_cndmask_b32 v0, v1, v0 :: v_dual_cndmask_b32 v7, v10, v7
	s_delay_alu instid0(VALU_DEP_2) | instskip(NEXT) | instid1(VALU_DEP_2)
	v_and_b32_e32 v1, 0x80000000, v3
	v_lshlrev_b32_e32 v0, 20, v0
	s_delay_alu instid0(VALU_DEP_3) | instskip(NEXT) | instid1(VALU_DEP_1)
	v_lshl_add_u32 v3, v7, 23, 0x3b800000
	v_or3_b32 v0, v1, v3, v0
	s_delay_alu instid0(VALU_DEP_1) | instskip(NEXT) | instid1(VALU_DEP_1)
	v_trunc_f32_e32 v0, v0
	v_mul_f32_e64 v1, 0x2f800000, |v0|
	s_delay_alu instid0(VALU_DEP_1) | instskip(NEXT) | instid1(VALU_DEP_1)
	v_floor_f32_e32 v1, v1
	v_fma_f32 v3, 0xcf800000, v1, |v0|
	v_ashrrev_i32_e32 v0, 31, v0
	v_cvt_u32_f32_e32 v7, v1
	s_delay_alu instid0(VALU_DEP_3) | instskip(NEXT) | instid1(VALU_DEP_2)
	v_cvt_u32_f32_e32 v3, v3
	v_dual_mov_b32 v1, v0 :: v_dual_bitop2_b32 v11, v7, v0 bitop3:0x14
	s_delay_alu instid0(VALU_DEP_2) | instskip(NEXT) | instid1(VALU_DEP_1)
	v_xor_b32_e32 v10, v3, v0
	v_sub_nc_u64_e32 v[0:1], v[10:11], v[0:1]
.LBB63_1400:
	s_or_b32 exec_lo, exec_lo, s23
.LBB63_1401:
	s_mov_b32 s23, -1
.LBB63_1402:
	s_branch .LBB63_1433
.LBB63_1403:
	s_cmp_gt_i32 s7, 22
	s_cbranch_scc0 .LBB63_1411
; %bb.1404:
	s_cmp_lt_i32 s7, 24
	s_cbranch_scc1 .LBB63_1414
; %bb.1405:
	s_cmp_gt_i32 s7, 24
	s_cbranch_scc0 .LBB63_1415
; %bb.1406:
	global_load_u8 v3, v[14:15], off
	s_mov_b32 s23, 0
	s_mov_b32 s9, exec_lo
	s_wait_loadcnt 0x0
	v_cmpx_lt_i16_e32 0x7f, v3
	s_xor_b32 s9, exec_lo, s9
	s_cbranch_execz .LBB63_1427
; %bb.1407:
	v_cmp_ne_u16_e32 vcc_lo, 0x80, v3
	s_and_b32 s23, vcc_lo, exec_lo
	s_and_not1_saveexec_b32 s9, s9
	s_cbranch_execnz .LBB63_1428
.LBB63_1408:
	s_or_b32 exec_lo, exec_lo, s9
	v_mov_b64_e32 v[0:1], 0
	s_and_saveexec_b32 s9, s23
	s_cbranch_execz .LBB63_1410
.LBB63_1409:
	v_and_b32_e32 v0, 0xffff, v3
	s_delay_alu instid0(VALU_DEP_1) | instskip(SKIP_1) | instid1(VALU_DEP_2)
	v_and_b32_e32 v1, 3, v0
	v_bfe_u32 v10, v0, 2, 5
	v_clz_i32_u32_e32 v7, v1
	s_delay_alu instid0(VALU_DEP_2) | instskip(NEXT) | instid1(VALU_DEP_2)
	v_cmp_eq_u32_e32 vcc_lo, 0, v10
	v_min_u32_e32 v7, 32, v7
	s_delay_alu instid0(VALU_DEP_1) | instskip(NEXT) | instid1(VALU_DEP_1)
	v_subrev_nc_u32_e32 v9, 29, v7
	v_dual_lshlrev_b32 v0, v9, v0 :: v_dual_sub_nc_u32 v7, 30, v7
	s_delay_alu instid0(VALU_DEP_1) | instskip(NEXT) | instid1(VALU_DEP_1)
	v_dual_lshlrev_b32 v3, 24, v3 :: v_dual_bitop2_b32 v0, 3, v0 bitop3:0x40
	v_dual_cndmask_b32 v0, v1, v0 :: v_dual_cndmask_b32 v7, v10, v7
	s_delay_alu instid0(VALU_DEP_2) | instskip(NEXT) | instid1(VALU_DEP_2)
	v_and_b32_e32 v1, 0x80000000, v3
	v_lshlrev_b32_e32 v0, 21, v0
	s_delay_alu instid0(VALU_DEP_3) | instskip(NEXT) | instid1(VALU_DEP_1)
	v_lshl_add_u32 v3, v7, 23, 0x37800000
	v_or3_b32 v0, v1, v3, v0
	s_delay_alu instid0(VALU_DEP_1) | instskip(NEXT) | instid1(VALU_DEP_1)
	v_trunc_f32_e32 v0, v0
	v_mul_f32_e64 v1, 0x2f800000, |v0|
	s_delay_alu instid0(VALU_DEP_1) | instskip(NEXT) | instid1(VALU_DEP_1)
	v_floor_f32_e32 v1, v1
	v_fma_f32 v3, 0xcf800000, v1, |v0|
	v_ashrrev_i32_e32 v0, 31, v0
	v_cvt_u32_f32_e32 v7, v1
	s_delay_alu instid0(VALU_DEP_3) | instskip(NEXT) | instid1(VALU_DEP_2)
	v_cvt_u32_f32_e32 v3, v3
	v_dual_mov_b32 v1, v0 :: v_dual_bitop2_b32 v11, v7, v0 bitop3:0x14
	s_delay_alu instid0(VALU_DEP_2) | instskip(NEXT) | instid1(VALU_DEP_1)
	v_xor_b32_e32 v10, v3, v0
	v_sub_nc_u64_e32 v[0:1], v[10:11], v[0:1]
.LBB63_1410:
	s_or_b32 exec_lo, exec_lo, s9
	s_mov_b32 s9, 0
	s_branch .LBB63_1416
.LBB63_1411:
	s_mov_b32 s9, -1
                                        ; implicit-def: $vgpr0_vgpr1
	s_branch .LBB63_1422
.LBB63_1412:
	s_and_not1_saveexec_b32 s23, s23
	s_cbranch_execz .LBB63_1398
.LBB63_1413:
	v_cmp_ne_u16_e32 vcc_lo, 0, v3
	s_and_not1_b32 s35, s35, exec_lo
	s_and_b32 s36, vcc_lo, exec_lo
	s_delay_alu instid0(SALU_CYCLE_1)
	s_or_b32 s35, s35, s36
	s_or_b32 exec_lo, exec_lo, s23
	v_mov_b64_e32 v[0:1], 0
	s_and_saveexec_b32 s23, s35
	s_cbranch_execnz .LBB63_1399
	s_branch .LBB63_1400
.LBB63_1414:
	s_mov_b32 s9, -1
                                        ; implicit-def: $vgpr0_vgpr1
	s_branch .LBB63_1419
.LBB63_1415:
	s_mov_b32 s9, -1
                                        ; implicit-def: $vgpr0_vgpr1
.LBB63_1416:
	s_delay_alu instid0(SALU_CYCLE_1)
	s_and_b32 vcc_lo, exec_lo, s9
	s_cbranch_vccz .LBB63_1418
; %bb.1417:
	s_wait_loadcnt 0x0
	global_load_u8 v0, v[14:15], off
	s_wait_loadcnt 0x0
	v_lshlrev_b32_e32 v0, 24, v0
	s_delay_alu instid0(VALU_DEP_1) | instskip(NEXT) | instid1(VALU_DEP_1)
	v_and_b32_e32 v1, 0x7f000000, v0
	v_clz_i32_u32_e32 v3, v1
	v_add_nc_u32_e32 v9, 0x1000000, v1
	v_cmp_ne_u32_e32 vcc_lo, 0, v1
	s_delay_alu instid0(VALU_DEP_3) | instskip(NEXT) | instid1(VALU_DEP_1)
	v_min_u32_e32 v3, 32, v3
	v_sub_nc_u32_e64 v3, v3, 4 clamp
	s_delay_alu instid0(VALU_DEP_1) | instskip(NEXT) | instid1(VALU_DEP_1)
	v_dual_lshlrev_b32 v7, v3, v1 :: v_dual_lshlrev_b32 v3, 23, v3
	v_lshrrev_b32_e32 v7, 4, v7
	s_delay_alu instid0(VALU_DEP_1) | instskip(NEXT) | instid1(VALU_DEP_1)
	v_dual_sub_nc_u32 v3, v7, v3 :: v_dual_ashrrev_i32 v7, 8, v9
	v_add_nc_u32_e32 v3, 0x3c000000, v3
	s_delay_alu instid0(VALU_DEP_1) | instskip(NEXT) | instid1(VALU_DEP_1)
	v_and_or_b32 v3, 0x7f800000, v7, v3
	v_cndmask_b32_e32 v1, 0, v3, vcc_lo
	s_delay_alu instid0(VALU_DEP_1) | instskip(NEXT) | instid1(VALU_DEP_1)
	v_and_or_b32 v0, 0x80000000, v0, v1
	v_trunc_f32_e32 v0, v0
	s_delay_alu instid0(VALU_DEP_1) | instskip(NEXT) | instid1(VALU_DEP_1)
	v_mul_f32_e64 v1, 0x2f800000, |v0|
	v_floor_f32_e32 v1, v1
	s_delay_alu instid0(VALU_DEP_1) | instskip(SKIP_2) | instid1(VALU_DEP_3)
	v_fma_f32 v3, 0xcf800000, v1, |v0|
	v_ashrrev_i32_e32 v0, 31, v0
	v_cvt_u32_f32_e32 v7, v1
	v_cvt_u32_f32_e32 v3, v3
	s_delay_alu instid0(VALU_DEP_2) | instskip(NEXT) | instid1(VALU_DEP_2)
	v_dual_mov_b32 v1, v0 :: v_dual_bitop2_b32 v11, v7, v0 bitop3:0x14
	v_xor_b32_e32 v10, v3, v0
	s_delay_alu instid0(VALU_DEP_1)
	v_sub_nc_u64_e32 v[0:1], v[10:11], v[0:1]
.LBB63_1418:
	s_mov_b32 s9, 0
.LBB63_1419:
	s_delay_alu instid0(SALU_CYCLE_1)
	s_and_not1_b32 vcc_lo, exec_lo, s9
	s_cbranch_vccnz .LBB63_1421
; %bb.1420:
	s_wait_loadcnt 0x0
	global_load_u8 v0, v[14:15], off
	s_wait_loadcnt 0x0
	v_lshlrev_b32_e32 v1, 25, v0
	v_lshlrev_b16 v0, 8, v0
	s_delay_alu instid0(VALU_DEP_1) | instskip(SKIP_1) | instid1(VALU_DEP_2)
	v_and_or_b32 v7, 0x7f00, v0, 0.5
	v_bfe_i32 v0, v0, 0, 16
	v_dual_add_f32 v7, -0.5, v7 :: v_dual_lshrrev_b32 v3, 4, v1
	v_cmp_gt_u32_e32 vcc_lo, 0x8000000, v1
	s_delay_alu instid0(VALU_DEP_2) | instskip(NEXT) | instid1(VALU_DEP_1)
	v_or_b32_e32 v3, 0x70000000, v3
	v_mul_f32_e32 v3, 0x7800000, v3
	s_delay_alu instid0(VALU_DEP_1) | instskip(NEXT) | instid1(VALU_DEP_1)
	v_cndmask_b32_e32 v1, v3, v7, vcc_lo
	v_and_or_b32 v0, 0x80000000, v0, v1
	s_delay_alu instid0(VALU_DEP_1) | instskip(NEXT) | instid1(VALU_DEP_1)
	v_trunc_f32_e32 v0, v0
	v_mul_f32_e64 v1, 0x2f800000, |v0|
	s_delay_alu instid0(VALU_DEP_1) | instskip(NEXT) | instid1(VALU_DEP_1)
	v_floor_f32_e32 v1, v1
	v_fma_f32 v3, 0xcf800000, v1, |v0|
	v_ashrrev_i32_e32 v0, 31, v0
	v_cvt_u32_f32_e32 v7, v1
	s_delay_alu instid0(VALU_DEP_3) | instskip(NEXT) | instid1(VALU_DEP_2)
	v_cvt_u32_f32_e32 v3, v3
	v_dual_mov_b32 v1, v0 :: v_dual_bitop2_b32 v11, v7, v0 bitop3:0x14
	s_delay_alu instid0(VALU_DEP_2) | instskip(NEXT) | instid1(VALU_DEP_1)
	v_xor_b32_e32 v10, v3, v0
	v_sub_nc_u64_e32 v[0:1], v[10:11], v[0:1]
.LBB63_1421:
	s_mov_b32 s9, 0
	s_mov_b32 s23, -1
.LBB63_1422:
	s_and_not1_b32 vcc_lo, exec_lo, s9
	s_mov_b32 s9, 0
	s_cbranch_vccnz .LBB63_1433
; %bb.1423:
	s_cmp_gt_i32 s7, 14
	s_cbranch_scc0 .LBB63_1426
; %bb.1424:
	s_cmp_eq_u32 s7, 15
	s_cbranch_scc0 .LBB63_1429
; %bb.1425:
	s_wait_loadcnt 0x0
	global_load_u16 v0, v[14:15], off
	s_mov_b32 s8, 0
	s_mov_b32 s23, -1
	s_wait_loadcnt 0x0
	v_lshlrev_b32_e32 v0, 16, v0
	s_delay_alu instid0(VALU_DEP_1) | instskip(NEXT) | instid1(VALU_DEP_1)
	v_trunc_f32_e32 v0, v0
	v_mul_f32_e64 v1, 0x2f800000, |v0|
	s_delay_alu instid0(VALU_DEP_1) | instskip(NEXT) | instid1(VALU_DEP_1)
	v_floor_f32_e32 v1, v1
	v_fma_f32 v3, 0xcf800000, v1, |v0|
	v_ashrrev_i32_e32 v0, 31, v0
	v_cvt_u32_f32_e32 v7, v1
	s_delay_alu instid0(VALU_DEP_3) | instskip(NEXT) | instid1(VALU_DEP_2)
	v_cvt_u32_f32_e32 v3, v3
	v_dual_mov_b32 v1, v0 :: v_dual_bitop2_b32 v11, v7, v0 bitop3:0x14
	s_delay_alu instid0(VALU_DEP_2) | instskip(NEXT) | instid1(VALU_DEP_1)
	v_xor_b32_e32 v10, v3, v0
	v_sub_nc_u64_e32 v[0:1], v[10:11], v[0:1]
	s_branch .LBB63_1431
.LBB63_1426:
	s_mov_b32 s9, -1
	s_branch .LBB63_1430
.LBB63_1427:
	s_and_not1_saveexec_b32 s9, s9
	s_cbranch_execz .LBB63_1408
.LBB63_1428:
	v_cmp_ne_u16_e32 vcc_lo, 0, v3
	s_and_not1_b32 s23, s23, exec_lo
	s_and_b32 s35, vcc_lo, exec_lo
	s_delay_alu instid0(SALU_CYCLE_1)
	s_or_b32 s23, s23, s35
	s_or_b32 exec_lo, exec_lo, s9
	v_mov_b64_e32 v[0:1], 0
	s_and_saveexec_b32 s9, s23
	s_cbranch_execnz .LBB63_1409
	s_branch .LBB63_1410
.LBB63_1429:
	s_mov_b32 s8, -1
.LBB63_1430:
                                        ; implicit-def: $vgpr0_vgpr1
.LBB63_1431:
	s_and_b32 vcc_lo, exec_lo, s9
	s_mov_b32 s9, 0
	s_cbranch_vccz .LBB63_1433
; %bb.1432:
	s_cmp_lg_u32 s7, 11
	s_mov_b32 s9, -1
	s_cselect_b32 s7, -1, 0
	s_and_not1_b32 s8, s8, exec_lo
	s_and_b32 s7, s7, exec_lo
	s_delay_alu instid0(SALU_CYCLE_1)
	s_or_b32 s8, s8, s7
.LBB63_1433:
	s_mov_b32 s35, 0
.LBB63_1434:
	s_and_b32 s7, s23, exec_lo
	s_and_not1_b32 s23, s91, exec_lo
	s_and_b32 s8, s8, exec_lo
	s_and_b32 s35, s35, exec_lo
	;; [unrolled: 1-line block ×3, first 2 shown]
	s_or_b32 s91, s23, s8
	s_wait_xcnt 0x0
	s_or_b32 exec_lo, exec_lo, s6
	s_and_saveexec_b32 s6, s91
	s_cbranch_execz .LBB63_1367
.LBB63_1435:
	s_or_b32 s1, s1, exec_lo
	s_and_not1_b32 s36, s36, exec_lo
	s_trap 2
	s_or_b32 exec_lo, exec_lo, s6
	s_and_saveexec_b32 s6, s36
	s_delay_alu instid0(SALU_CYCLE_1)
	s_xor_b32 s6, exec_lo, s6
	s_cbranch_execnz .LBB63_1368
.LBB63_1436:
	s_or_b32 exec_lo, exec_lo, s6
	s_and_saveexec_b32 s6, s35
	s_cbranch_execz .LBB63_1482
.LBB63_1437:
	s_sext_i32_i16 s8, s0
	s_delay_alu instid0(SALU_CYCLE_1)
	s_cmp_lt_i32 s8, 5
	s_cbranch_scc1 .LBB63_1442
; %bb.1438:
	s_cmp_lt_i32 s8, 8
	s_cbranch_scc1 .LBB63_1443
; %bb.1439:
	;; [unrolled: 3-line block ×3, first 2 shown]
	s_cmp_gt_i32 s8, 9
	s_cbranch_scc0 .LBB63_1445
; %bb.1441:
	s_wait_loadcnt 0x0
	global_load_b64 v[0:1], v[14:15], off
	s_mov_b32 s8, 0
	s_wait_loadcnt 0x0
	v_trunc_f64_e32 v[0:1], v[0:1]
	s_delay_alu instid0(VALU_DEP_1) | instskip(NEXT) | instid1(VALU_DEP_1)
	v_ldexp_f64 v[10:11], v[0:1], 0xffffffe0
	v_floor_f64_e32 v[10:11], v[10:11]
	s_delay_alu instid0(VALU_DEP_1) | instskip(SKIP_1) | instid1(VALU_DEP_2)
	v_fmamk_f64 v[16:17], v[10:11], 0xc1f00000, v[0:1]
	v_cvt_i32_f64_e32 v1, v[10:11]
	v_cvt_u32_f64_e32 v0, v[16:17]
	s_branch .LBB63_1446
.LBB63_1442:
                                        ; implicit-def: $vgpr0_vgpr1
	s_branch .LBB63_1463
.LBB63_1443:
                                        ; implicit-def: $vgpr0_vgpr1
	s_branch .LBB63_1452
.LBB63_1444:
	s_mov_b32 s8, -1
                                        ; implicit-def: $vgpr0_vgpr1
	s_branch .LBB63_1449
.LBB63_1445:
	s_mov_b32 s8, -1
                                        ; implicit-def: $vgpr0_vgpr1
.LBB63_1446:
	s_delay_alu instid0(SALU_CYCLE_1)
	s_and_not1_b32 vcc_lo, exec_lo, s8
	s_cbranch_vccnz .LBB63_1448
; %bb.1447:
	s_wait_loadcnt 0x0
	global_load_b32 v0, v[14:15], off
	s_wait_loadcnt 0x0
	v_trunc_f32_e32 v0, v0
	s_delay_alu instid0(VALU_DEP_1) | instskip(NEXT) | instid1(VALU_DEP_1)
	v_mul_f32_e64 v1, 0x2f800000, |v0|
	v_floor_f32_e32 v1, v1
	s_delay_alu instid0(VALU_DEP_1) | instskip(SKIP_2) | instid1(VALU_DEP_3)
	v_fma_f32 v3, 0xcf800000, v1, |v0|
	v_ashrrev_i32_e32 v0, 31, v0
	v_cvt_u32_f32_e32 v7, v1
	v_cvt_u32_f32_e32 v3, v3
	s_delay_alu instid0(VALU_DEP_2) | instskip(NEXT) | instid1(VALU_DEP_2)
	v_dual_mov_b32 v1, v0 :: v_dual_bitop2_b32 v11, v7, v0 bitop3:0x14
	v_xor_b32_e32 v10, v3, v0
	s_delay_alu instid0(VALU_DEP_1)
	v_sub_nc_u64_e32 v[0:1], v[10:11], v[0:1]
.LBB63_1448:
	s_mov_b32 s8, 0
.LBB63_1449:
	s_delay_alu instid0(SALU_CYCLE_1)
	s_and_not1_b32 vcc_lo, exec_lo, s8
	s_cbranch_vccnz .LBB63_1451
; %bb.1450:
	s_wait_loadcnt 0x0
	global_load_b32 v0, v[14:15], off
	s_wait_loadcnt 0x0
	v_cvt_f32_f16_e32 v0, v0
	s_delay_alu instid0(VALU_DEP_1) | instskip(NEXT) | instid1(VALU_DEP_1)
	v_cvt_i32_f32_e32 v0, v0
	v_ashrrev_i32_e32 v1, 31, v0
.LBB63_1451:
	s_cbranch_execnz .LBB63_1462
.LBB63_1452:
	s_sext_i32_i16 s8, s0
	s_delay_alu instid0(SALU_CYCLE_1)
	s_cmp_lt_i32 s8, 6
	s_cbranch_scc1 .LBB63_1455
; %bb.1453:
	s_cmp_gt_i32 s8, 6
	s_cbranch_scc0 .LBB63_1456
; %bb.1454:
	s_wait_loadcnt 0x0
	global_load_b64 v[0:1], v[14:15], off
	s_mov_b32 s8, 0
	s_wait_loadcnt 0x0
	v_trunc_f64_e32 v[0:1], v[0:1]
	s_delay_alu instid0(VALU_DEP_1) | instskip(NEXT) | instid1(VALU_DEP_1)
	v_ldexp_f64 v[10:11], v[0:1], 0xffffffe0
	v_floor_f64_e32 v[10:11], v[10:11]
	s_delay_alu instid0(VALU_DEP_1) | instskip(SKIP_1) | instid1(VALU_DEP_2)
	v_fmamk_f64 v[16:17], v[10:11], 0xc1f00000, v[0:1]
	v_cvt_i32_f64_e32 v1, v[10:11]
	v_cvt_u32_f64_e32 v0, v[16:17]
	s_branch .LBB63_1457
.LBB63_1455:
	s_mov_b32 s8, -1
                                        ; implicit-def: $vgpr0_vgpr1
	s_branch .LBB63_1460
.LBB63_1456:
	s_mov_b32 s8, -1
                                        ; implicit-def: $vgpr0_vgpr1
.LBB63_1457:
	s_delay_alu instid0(SALU_CYCLE_1)
	s_and_not1_b32 vcc_lo, exec_lo, s8
	s_cbranch_vccnz .LBB63_1459
; %bb.1458:
	s_wait_loadcnt 0x0
	global_load_b32 v0, v[14:15], off
	s_wait_loadcnt 0x0
	v_trunc_f32_e32 v0, v0
	s_delay_alu instid0(VALU_DEP_1) | instskip(NEXT) | instid1(VALU_DEP_1)
	v_mul_f32_e64 v1, 0x2f800000, |v0|
	v_floor_f32_e32 v1, v1
	s_delay_alu instid0(VALU_DEP_1) | instskip(SKIP_2) | instid1(VALU_DEP_3)
	v_fma_f32 v3, 0xcf800000, v1, |v0|
	v_ashrrev_i32_e32 v0, 31, v0
	v_cvt_u32_f32_e32 v7, v1
	v_cvt_u32_f32_e32 v3, v3
	s_delay_alu instid0(VALU_DEP_2) | instskip(NEXT) | instid1(VALU_DEP_2)
	v_dual_mov_b32 v1, v0 :: v_dual_bitop2_b32 v11, v7, v0 bitop3:0x14
	v_xor_b32_e32 v10, v3, v0
	s_delay_alu instid0(VALU_DEP_1)
	v_sub_nc_u64_e32 v[0:1], v[10:11], v[0:1]
.LBB63_1459:
	s_mov_b32 s8, 0
.LBB63_1460:
	s_delay_alu instid0(SALU_CYCLE_1)
	s_and_not1_b32 vcc_lo, exec_lo, s8
	s_cbranch_vccnz .LBB63_1462
; %bb.1461:
	s_wait_loadcnt 0x0
	global_load_u16 v0, v[14:15], off
	s_wait_loadcnt 0x0
	v_cvt_f32_f16_e32 v0, v0
	s_delay_alu instid0(VALU_DEP_1) | instskip(NEXT) | instid1(VALU_DEP_1)
	v_cvt_i32_f32_e32 v0, v0
	v_ashrrev_i32_e32 v1, 31, v0
.LBB63_1462:
	s_cbranch_execnz .LBB63_1481
.LBB63_1463:
	s_sext_i32_i16 s8, s0
	s_delay_alu instid0(SALU_CYCLE_1)
	s_cmp_lt_i32 s8, 2
	s_cbranch_scc1 .LBB63_1467
; %bb.1464:
	s_cmp_lt_i32 s8, 3
	s_cbranch_scc1 .LBB63_1468
; %bb.1465:
	s_cmp_gt_i32 s8, 3
	s_cbranch_scc0 .LBB63_1469
; %bb.1466:
	s_wait_loadcnt 0x0
	global_load_b64 v[0:1], v[14:15], off
	s_mov_b32 s8, 0
	s_branch .LBB63_1470
.LBB63_1467:
                                        ; implicit-def: $vgpr0_vgpr1
	s_branch .LBB63_1476
.LBB63_1468:
	s_mov_b32 s8, -1
                                        ; implicit-def: $vgpr0_vgpr1
	s_branch .LBB63_1473
.LBB63_1469:
	s_mov_b32 s8, -1
                                        ; implicit-def: $vgpr0_vgpr1
.LBB63_1470:
	s_delay_alu instid0(SALU_CYCLE_1)
	s_and_not1_b32 vcc_lo, exec_lo, s8
	s_cbranch_vccnz .LBB63_1472
; %bb.1471:
	s_wait_loadcnt 0x0
	global_load_b32 v0, v[14:15], off
	s_wait_loadcnt 0x0
	v_ashrrev_i32_e32 v1, 31, v0
.LBB63_1472:
	s_mov_b32 s8, 0
.LBB63_1473:
	s_delay_alu instid0(SALU_CYCLE_1)
	s_and_not1_b32 vcc_lo, exec_lo, s8
	s_cbranch_vccnz .LBB63_1475
; %bb.1474:
	s_wait_loadcnt 0x0
	global_load_u16 v0, v[14:15], off
	s_wait_loadcnt 0x0
	v_bfe_i32 v0, v0, 0, 16
	s_delay_alu instid0(VALU_DEP_1)
	v_ashrrev_i32_e32 v1, 31, v0
.LBB63_1475:
	s_cbranch_execnz .LBB63_1481
.LBB63_1476:
	s_sext_i32_i16 s0, s0
	s_delay_alu instid0(SALU_CYCLE_1)
	s_cmp_gt_i32 s0, 0
	s_mov_b32 s0, 0
	s_cbranch_scc0 .LBB63_1478
; %bb.1477:
	s_wait_loadcnt 0x0
	global_load_i8 v0, v[14:15], off
	s_wait_loadcnt 0x0
	v_bfe_i32 v0, v0, 0, 16
	s_delay_alu instid0(VALU_DEP_1)
	v_ashrrev_i32_e32 v1, 31, v0
	s_branch .LBB63_1479
.LBB63_1478:
	s_mov_b32 s0, -1
                                        ; implicit-def: $vgpr0_vgpr1
.LBB63_1479:
	s_delay_alu instid0(SALU_CYCLE_1)
	s_and_not1_b32 vcc_lo, exec_lo, s0
	s_cbranch_vccnz .LBB63_1481
; %bb.1480:
	s_wait_loadcnt 0x0
	global_load_u8 v0, v[14:15], off
	s_mov_b32 s0, 0
	s_delay_alu instid0(SALU_CYCLE_1)
	v_mov_b32_e32 v1, s0
	s_wait_loadcnt 0x0
	v_and_b32_e32 v0, 0xffff, v0
.LBB63_1481:
	s_or_b32 s7, s7, exec_lo
.LBB63_1482:
	s_wait_xcnt 0x0
	s_or_b32 exec_lo, exec_lo, s6
	s_mov_b32 s8, 0
	s_mov_b32 s23, 0
	s_mov_b32 s9, 0
                                        ; implicit-def: $sgpr0
                                        ; implicit-def: $vgpr14_vgpr15
                                        ; implicit-def: $vgpr10_vgpr11
	s_and_saveexec_b32 s6, s7
	s_cbranch_execz .LBB63_1490
; %bb.1483:
	s_load_b512 s[36:51], s[2:3], 0x248
	s_wait_loadcnt 0x0
	v_mov_b32_e32 v13, 0
	s_and_b32 s0, s80, 0xff
	s_delay_alu instid0(SALU_CYCLE_1) | instskip(SKIP_1) | instid1(VALU_DEP_1)
	s_cmp_lt_i32 s0, 11
	s_wait_kmcnt 0x0
	v_add_nc_u64_e32 v[14:15], s[42:43], v[12:13]
	s_cbranch_scc1 .LBB63_1493
; %bb.1484:
	s_and_b32 s7, 0xffff, s0
	s_mov_b32 s10, 0
	s_cmp_gt_i32 s7, 25
	s_cbranch_scc0 .LBB63_1494
; %bb.1485:
	s_cmp_gt_i32 s7, 28
	s_cbranch_scc0 .LBB63_1495
; %bb.1486:
	;; [unrolled: 3-line block ×4, first 2 shown]
	s_cmp_eq_u32 s7, 46
	s_mov_b32 s11, 0
	s_cbranch_scc0 .LBB63_1498
; %bb.1489:
	global_load_b32 v3, v[14:15], off
	s_mov_b32 s9, -1
	s_wait_loadcnt 0x0
	v_lshlrev_b32_e32 v3, 16, v3
	s_delay_alu instid0(VALU_DEP_1) | instskip(NEXT) | instid1(VALU_DEP_1)
	v_trunc_f32_e32 v3, v3
	v_mul_f32_e64 v7, 0x2f800000, |v3|
	v_ashrrev_i32_e32 v10, 31, v3
	s_delay_alu instid0(VALU_DEP_2) | instskip(NEXT) | instid1(VALU_DEP_2)
	v_floor_f32_e32 v7, v7
	v_mov_b32_e32 v11, v10
	s_delay_alu instid0(VALU_DEP_2) | instskip(SKIP_1) | instid1(VALU_DEP_2)
	v_fma_f32 v9, 0xcf800000, v7, |v3|
	v_cvt_u32_f32_e32 v3, v7
	v_cvt_u32_f32_e32 v7, v9
	s_delay_alu instid0(VALU_DEP_2) | instskip(NEXT) | instid1(VALU_DEP_2)
	v_xor_b32_e32 v13, v3, v10
	v_xor_b32_e32 v12, v7, v10
	s_delay_alu instid0(VALU_DEP_1)
	v_sub_nc_u64_e32 v[10:11], v[12:13], v[10:11]
	s_branch .LBB63_1500
.LBB63_1490:
	s_or_b32 exec_lo, exec_lo, s6
	s_and_saveexec_b32 s6, s90
	s_cbranch_execnz .LBB63_1559
.LBB63_1491:
	s_or_b32 exec_lo, exec_lo, s6
	s_and_saveexec_b32 s6, s8
	s_delay_alu instid0(SALU_CYCLE_1)
	s_xor_b32 s6, exec_lo, s6
	s_cbranch_execz .LBB63_1560
.LBB63_1492:
	s_wait_loadcnt 0x0
	global_load_u8 v3, v[14:15], off
	s_mov_b32 s7, 0
	s_or_b32 s9, s9, exec_lo
	v_mov_b32_e32 v11, s7
	s_wait_loadcnt 0x0
	v_cmp_ne_u16_e32 vcc_lo, 0, v3
	v_cndmask_b32_e64 v10, 0, 1, vcc_lo
	s_wait_xcnt 0x0
	s_or_b32 exec_lo, exec_lo, s6
	s_and_saveexec_b32 s6, s23
	s_cbranch_execz .LBB63_1606
	s_branch .LBB63_1561
.LBB63_1493:
	s_mov_b32 s7, -1
	s_mov_b32 s10, 0
	s_mov_b32 s8, s90
                                        ; implicit-def: $vgpr10_vgpr11
	s_branch .LBB63_1558
.LBB63_1494:
	s_mov_b32 s8, s90
                                        ; implicit-def: $vgpr10_vgpr11
	s_cbranch_execnz .LBB63_1527
	s_branch .LBB63_1557
.LBB63_1495:
	s_mov_b32 s11, -1
	s_mov_b32 s8, s90
                                        ; implicit-def: $vgpr10_vgpr11
	s_branch .LBB63_1510
.LBB63_1496:
	s_mov_b32 s11, -1
	s_mov_b32 s8, s90
                                        ; implicit-def: $vgpr10_vgpr11
	s_branch .LBB63_1505
.LBB63_1497:
	s_mov_b32 s11, -1
	s_mov_b32 s8, s90
	s_branch .LBB63_1499
.LBB63_1498:
	s_mov_b32 s8, -1
.LBB63_1499:
                                        ; implicit-def: $vgpr10_vgpr11
.LBB63_1500:
	s_and_b32 vcc_lo, exec_lo, s11
	s_cbranch_vccz .LBB63_1504
; %bb.1501:
	s_cmp_eq_u32 s7, 44
	s_cbranch_scc0 .LBB63_1503
; %bb.1502:
	global_load_u8 v3, v[14:15], off
	s_mov_b32 s8, 0
	s_mov_b32 s9, -1
	s_wait_loadcnt 0x0
	v_lshlrev_b32_e32 v7, 23, v3
	v_cmp_ne_u32_e32 vcc_lo, 0, v3
	s_delay_alu instid0(VALU_DEP_2) | instskip(NEXT) | instid1(VALU_DEP_1)
	v_trunc_f32_e32 v7, v7
	v_mul_f32_e64 v9, 0x2f800000, |v7|
	v_ashrrev_i32_e32 v10, 31, v7
	s_delay_alu instid0(VALU_DEP_2) | instskip(NEXT) | instid1(VALU_DEP_1)
	v_floor_f32_e32 v9, v9
	v_fma_f32 v11, 0xcf800000, v9, |v7|
	v_cvt_u32_f32_e32 v7, v9
	s_delay_alu instid0(VALU_DEP_2) | instskip(NEXT) | instid1(VALU_DEP_2)
	v_cvt_u32_f32_e32 v9, v11
	v_dual_mov_b32 v11, v10 :: v_dual_bitop2_b32 v13, v7, v10 bitop3:0x14
	s_delay_alu instid0(VALU_DEP_2) | instskip(NEXT) | instid1(VALU_DEP_1)
	v_xor_b32_e32 v12, v9, v10
	v_sub_nc_u64_e32 v[10:11], v[12:13], v[10:11]
	s_delay_alu instid0(VALU_DEP_1)
	v_dual_cndmask_b32 v11, 0, v11 :: v_dual_cndmask_b32 v10, 0, v10
	s_branch .LBB63_1504
.LBB63_1503:
	s_mov_b32 s8, -1
                                        ; implicit-def: $vgpr10_vgpr11
.LBB63_1504:
	s_mov_b32 s11, 0
.LBB63_1505:
	s_delay_alu instid0(SALU_CYCLE_1)
	s_and_b32 vcc_lo, exec_lo, s11
	s_cbranch_vccz .LBB63_1509
; %bb.1506:
	s_cmp_eq_u32 s7, 29
	s_cbranch_scc0 .LBB63_1508
; %bb.1507:
	global_load_b64 v[10:11], v[14:15], off
	s_mov_b32 s8, 0
	s_mov_b32 s9, -1
	s_branch .LBB63_1509
.LBB63_1508:
	s_mov_b32 s8, -1
                                        ; implicit-def: $vgpr10_vgpr11
.LBB63_1509:
	s_mov_b32 s11, 0
.LBB63_1510:
	s_delay_alu instid0(SALU_CYCLE_1)
	s_and_b32 vcc_lo, exec_lo, s11
	s_cbranch_vccz .LBB63_1526
; %bb.1511:
	s_cmp_lt_i32 s7, 27
	s_cbranch_scc1 .LBB63_1514
; %bb.1512:
	s_cmp_gt_i32 s7, 27
	s_cbranch_scc0 .LBB63_1515
; %bb.1513:
	s_wait_loadcnt 0x0
	global_load_b32 v10, v[14:15], off
	v_mov_b32_e32 v11, 0
	s_mov_b32 s9, 0
	s_branch .LBB63_1516
.LBB63_1514:
	s_mov_b32 s9, -1
                                        ; implicit-def: $vgpr10_vgpr11
	s_branch .LBB63_1519
.LBB63_1515:
	s_mov_b32 s9, -1
                                        ; implicit-def: $vgpr10_vgpr11
.LBB63_1516:
	s_delay_alu instid0(SALU_CYCLE_1)
	s_and_not1_b32 vcc_lo, exec_lo, s9
	s_cbranch_vccnz .LBB63_1518
; %bb.1517:
	global_load_u16 v3, v[14:15], off
	s_mov_b32 s9, 0
	s_wait_loadcnt 0x1
	v_mov_b32_e32 v11, s9
	s_wait_loadcnt 0x0
	v_and_b32_e32 v10, 0xffff, v3
.LBB63_1518:
	s_mov_b32 s9, 0
.LBB63_1519:
	s_delay_alu instid0(SALU_CYCLE_1)
	s_and_not1_b32 vcc_lo, exec_lo, s9
	s_cbranch_vccnz .LBB63_1525
; %bb.1520:
	global_load_u8 v3, v[14:15], off
	s_mov_b32 s11, 0
	s_mov_b32 s9, exec_lo
	s_wait_loadcnt 0x0
	v_cmpx_lt_i16_e32 0x7f, v3
	s_xor_b32 s9, exec_lo, s9
	s_cbranch_execz .LBB63_1536
; %bb.1521:
	v_cmp_ne_u16_e32 vcc_lo, 0x80, v3
	s_and_b32 s11, vcc_lo, exec_lo
	s_and_not1_saveexec_b32 s9, s9
	s_cbranch_execnz .LBB63_1537
.LBB63_1522:
	s_or_b32 exec_lo, exec_lo, s9
	v_mov_b64_e32 v[10:11], 0
	s_and_saveexec_b32 s9, s11
	s_cbranch_execz .LBB63_1524
.LBB63_1523:
	v_and_b32_e32 v7, 0xffff, v3
	s_delay_alu instid0(VALU_DEP_1) | instskip(SKIP_1) | instid1(VALU_DEP_2)
	v_and_b32_e32 v9, 7, v7
	v_bfe_u32 v12, v7, 3, 4
	v_clz_i32_u32_e32 v10, v9
	s_delay_alu instid0(VALU_DEP_2) | instskip(NEXT) | instid1(VALU_DEP_2)
	v_cmp_eq_u32_e32 vcc_lo, 0, v12
	v_min_u32_e32 v10, 32, v10
	s_delay_alu instid0(VALU_DEP_1) | instskip(NEXT) | instid1(VALU_DEP_1)
	v_subrev_nc_u32_e32 v11, 28, v10
	v_dual_lshlrev_b32 v7, v11, v7 :: v_dual_sub_nc_u32 v10, 29, v10
	s_delay_alu instid0(VALU_DEP_1) | instskip(NEXT) | instid1(VALU_DEP_2)
	v_and_b32_e32 v7, 7, v7
	v_dual_cndmask_b32 v10, v12, v10 :: v_dual_lshlrev_b32 v3, 24, v3
	s_delay_alu instid0(VALU_DEP_2) | instskip(NEXT) | instid1(VALU_DEP_2)
	v_cndmask_b32_e32 v7, v9, v7, vcc_lo
	v_and_b32_e32 v3, 0x80000000, v3
	s_delay_alu instid0(VALU_DEP_3) | instskip(NEXT) | instid1(VALU_DEP_3)
	v_lshl_add_u32 v9, v10, 23, 0x3b800000
	v_lshlrev_b32_e32 v7, 20, v7
	s_delay_alu instid0(VALU_DEP_1) | instskip(NEXT) | instid1(VALU_DEP_1)
	v_or3_b32 v3, v3, v9, v7
	v_trunc_f32_e32 v3, v3
	s_delay_alu instid0(VALU_DEP_1) | instskip(SKIP_1) | instid1(VALU_DEP_2)
	v_mul_f32_e64 v7, 0x2f800000, |v3|
	v_ashrrev_i32_e32 v10, 31, v3
	v_floor_f32_e32 v7, v7
	s_delay_alu instid0(VALU_DEP_2) | instskip(NEXT) | instid1(VALU_DEP_2)
	v_mov_b32_e32 v11, v10
	v_fma_f32 v9, 0xcf800000, v7, |v3|
	v_cvt_u32_f32_e32 v3, v7
	s_delay_alu instid0(VALU_DEP_2) | instskip(NEXT) | instid1(VALU_DEP_2)
	v_cvt_u32_f32_e32 v7, v9
	v_xor_b32_e32 v13, v3, v10
	s_delay_alu instid0(VALU_DEP_2) | instskip(NEXT) | instid1(VALU_DEP_1)
	v_xor_b32_e32 v12, v7, v10
	v_sub_nc_u64_e32 v[10:11], v[12:13], v[10:11]
.LBB63_1524:
	s_or_b32 exec_lo, exec_lo, s9
.LBB63_1525:
	s_mov_b32 s9, -1
.LBB63_1526:
	s_branch .LBB63_1557
.LBB63_1527:
	s_cmp_gt_i32 s7, 22
	s_cbranch_scc0 .LBB63_1535
; %bb.1528:
	s_cmp_lt_i32 s7, 24
	s_cbranch_scc1 .LBB63_1538
; %bb.1529:
	s_cmp_gt_i32 s7, 24
	s_cbranch_scc0 .LBB63_1539
; %bb.1530:
	global_load_u8 v3, v[14:15], off
	s_mov_b32 s9, exec_lo
	s_wait_loadcnt 0x0
	v_cmpx_lt_i16_e32 0x7f, v3
	s_xor_b32 s9, exec_lo, s9
	s_cbranch_execz .LBB63_1551
; %bb.1531:
	v_cmp_ne_u16_e32 vcc_lo, 0x80, v3
	s_and_b32 s10, vcc_lo, exec_lo
	s_and_not1_saveexec_b32 s9, s9
	s_cbranch_execnz .LBB63_1552
.LBB63_1532:
	s_or_b32 exec_lo, exec_lo, s9
	v_mov_b64_e32 v[10:11], 0
	s_and_saveexec_b32 s9, s10
	s_cbranch_execz .LBB63_1534
.LBB63_1533:
	v_and_b32_e32 v7, 0xffff, v3
	s_delay_alu instid0(VALU_DEP_1) | instskip(SKIP_1) | instid1(VALU_DEP_2)
	v_and_b32_e32 v9, 3, v7
	v_bfe_u32 v12, v7, 2, 5
	v_clz_i32_u32_e32 v10, v9
	s_delay_alu instid0(VALU_DEP_2) | instskip(NEXT) | instid1(VALU_DEP_2)
	v_cmp_eq_u32_e32 vcc_lo, 0, v12
	v_min_u32_e32 v10, 32, v10
	s_delay_alu instid0(VALU_DEP_1) | instskip(NEXT) | instid1(VALU_DEP_1)
	v_subrev_nc_u32_e32 v11, 29, v10
	v_dual_lshlrev_b32 v7, v11, v7 :: v_dual_sub_nc_u32 v10, 30, v10
	s_delay_alu instid0(VALU_DEP_1) | instskip(NEXT) | instid1(VALU_DEP_2)
	v_and_b32_e32 v7, 3, v7
	v_dual_cndmask_b32 v10, v12, v10 :: v_dual_lshlrev_b32 v3, 24, v3
	s_delay_alu instid0(VALU_DEP_2) | instskip(NEXT) | instid1(VALU_DEP_2)
	v_cndmask_b32_e32 v7, v9, v7, vcc_lo
	v_and_b32_e32 v3, 0x80000000, v3
	s_delay_alu instid0(VALU_DEP_3) | instskip(NEXT) | instid1(VALU_DEP_3)
	v_lshl_add_u32 v9, v10, 23, 0x37800000
	v_lshlrev_b32_e32 v7, 21, v7
	s_delay_alu instid0(VALU_DEP_1) | instskip(NEXT) | instid1(VALU_DEP_1)
	v_or3_b32 v3, v3, v9, v7
	v_trunc_f32_e32 v3, v3
	s_delay_alu instid0(VALU_DEP_1) | instskip(SKIP_1) | instid1(VALU_DEP_2)
	v_mul_f32_e64 v7, 0x2f800000, |v3|
	v_ashrrev_i32_e32 v10, 31, v3
	v_floor_f32_e32 v7, v7
	s_delay_alu instid0(VALU_DEP_2) | instskip(NEXT) | instid1(VALU_DEP_2)
	v_mov_b32_e32 v11, v10
	v_fma_f32 v9, 0xcf800000, v7, |v3|
	v_cvt_u32_f32_e32 v3, v7
	s_delay_alu instid0(VALU_DEP_2) | instskip(NEXT) | instid1(VALU_DEP_2)
	v_cvt_u32_f32_e32 v7, v9
	v_xor_b32_e32 v13, v3, v10
	s_delay_alu instid0(VALU_DEP_2) | instskip(NEXT) | instid1(VALU_DEP_1)
	v_xor_b32_e32 v12, v7, v10
	v_sub_nc_u64_e32 v[10:11], v[12:13], v[10:11]
.LBB63_1534:
	s_or_b32 exec_lo, exec_lo, s9
	s_mov_b32 s9, 0
	s_branch .LBB63_1540
.LBB63_1535:
	s_mov_b32 s10, -1
                                        ; implicit-def: $vgpr10_vgpr11
	s_branch .LBB63_1546
.LBB63_1536:
	s_and_not1_saveexec_b32 s9, s9
	s_cbranch_execz .LBB63_1522
.LBB63_1537:
	v_cmp_ne_u16_e32 vcc_lo, 0, v3
	s_and_not1_b32 s11, s11, exec_lo
	s_and_b32 s23, vcc_lo, exec_lo
	s_delay_alu instid0(SALU_CYCLE_1)
	s_or_b32 s11, s11, s23
	s_or_b32 exec_lo, exec_lo, s9
	v_mov_b64_e32 v[10:11], 0
	s_and_saveexec_b32 s9, s11
	s_cbranch_execnz .LBB63_1523
	s_branch .LBB63_1524
.LBB63_1538:
	s_mov_b32 s9, -1
                                        ; implicit-def: $vgpr10_vgpr11
	s_branch .LBB63_1543
.LBB63_1539:
	s_mov_b32 s9, -1
                                        ; implicit-def: $vgpr10_vgpr11
.LBB63_1540:
	s_delay_alu instid0(SALU_CYCLE_1)
	s_and_b32 vcc_lo, exec_lo, s9
	s_cbranch_vccz .LBB63_1542
; %bb.1541:
	global_load_u8 v3, v[14:15], off
	s_wait_loadcnt 0x0
	v_lshlrev_b32_e32 v3, 24, v3
	s_delay_alu instid0(VALU_DEP_1) | instskip(NEXT) | instid1(VALU_DEP_1)
	v_and_b32_e32 v7, 0x7f000000, v3
	v_clz_i32_u32_e32 v9, v7
	v_add_nc_u32_e32 v11, 0x1000000, v7
	v_cmp_ne_u32_e32 vcc_lo, 0, v7
	s_delay_alu instid0(VALU_DEP_3) | instskip(NEXT) | instid1(VALU_DEP_1)
	v_min_u32_e32 v9, 32, v9
	v_sub_nc_u32_e64 v9, v9, 4 clamp
	s_delay_alu instid0(VALU_DEP_1) | instskip(NEXT) | instid1(VALU_DEP_1)
	v_dual_lshlrev_b32 v10, v9, v7 :: v_dual_lshlrev_b32 v9, 23, v9
	v_lshrrev_b32_e32 v10, 4, v10
	s_delay_alu instid0(VALU_DEP_1) | instskip(NEXT) | instid1(VALU_DEP_1)
	v_dual_sub_nc_u32 v9, v10, v9 :: v_dual_ashrrev_i32 v10, 8, v11
	v_add_nc_u32_e32 v9, 0x3c000000, v9
	s_delay_alu instid0(VALU_DEP_1) | instskip(NEXT) | instid1(VALU_DEP_1)
	v_and_or_b32 v9, 0x7f800000, v10, v9
	v_cndmask_b32_e32 v7, 0, v9, vcc_lo
	s_delay_alu instid0(VALU_DEP_1) | instskip(NEXT) | instid1(VALU_DEP_1)
	v_and_or_b32 v3, 0x80000000, v3, v7
	v_trunc_f32_e32 v3, v3
	s_delay_alu instid0(VALU_DEP_1) | instskip(SKIP_1) | instid1(VALU_DEP_2)
	v_mul_f32_e64 v7, 0x2f800000, |v3|
	v_ashrrev_i32_e32 v10, 31, v3
	v_floor_f32_e32 v7, v7
	s_delay_alu instid0(VALU_DEP_1) | instskip(SKIP_1) | instid1(VALU_DEP_4)
	v_fma_f32 v9, 0xcf800000, v7, |v3|
	v_cvt_u32_f32_e32 v3, v7
	v_mov_b32_e32 v11, v10
	s_delay_alu instid0(VALU_DEP_3) | instskip(NEXT) | instid1(VALU_DEP_3)
	v_cvt_u32_f32_e32 v7, v9
	v_xor_b32_e32 v13, v3, v10
	s_delay_alu instid0(VALU_DEP_2) | instskip(NEXT) | instid1(VALU_DEP_1)
	v_xor_b32_e32 v12, v7, v10
	v_sub_nc_u64_e32 v[10:11], v[12:13], v[10:11]
.LBB63_1542:
	s_mov_b32 s9, 0
.LBB63_1543:
	s_delay_alu instid0(SALU_CYCLE_1)
	s_and_not1_b32 vcc_lo, exec_lo, s9
	s_cbranch_vccnz .LBB63_1545
; %bb.1544:
	global_load_u8 v3, v[14:15], off
	s_wait_loadcnt 0x0
	v_lshlrev_b32_e32 v7, 25, v3
	v_lshlrev_b16 v3, 8, v3
	s_delay_alu instid0(VALU_DEP_1) | instskip(SKIP_1) | instid1(VALU_DEP_2)
	v_and_or_b32 v10, 0x7f00, v3, 0.5
	v_bfe_i32 v3, v3, 0, 16
	v_dual_add_f32 v10, -0.5, v10 :: v_dual_lshrrev_b32 v9, 4, v7
	v_cmp_gt_u32_e32 vcc_lo, 0x8000000, v7
	s_delay_alu instid0(VALU_DEP_2) | instskip(NEXT) | instid1(VALU_DEP_1)
	v_or_b32_e32 v9, 0x70000000, v9
	v_mul_f32_e32 v9, 0x7800000, v9
	s_delay_alu instid0(VALU_DEP_1) | instskip(NEXT) | instid1(VALU_DEP_1)
	v_cndmask_b32_e32 v7, v9, v10, vcc_lo
	v_and_or_b32 v3, 0x80000000, v3, v7
	s_delay_alu instid0(VALU_DEP_1) | instskip(NEXT) | instid1(VALU_DEP_1)
	v_trunc_f32_e32 v3, v3
	v_mul_f32_e64 v7, 0x2f800000, |v3|
	v_ashrrev_i32_e32 v10, 31, v3
	s_delay_alu instid0(VALU_DEP_2) | instskip(NEXT) | instid1(VALU_DEP_2)
	v_floor_f32_e32 v7, v7
	v_mov_b32_e32 v11, v10
	s_delay_alu instid0(VALU_DEP_2) | instskip(SKIP_1) | instid1(VALU_DEP_2)
	v_fma_f32 v9, 0xcf800000, v7, |v3|
	v_cvt_u32_f32_e32 v3, v7
	v_cvt_u32_f32_e32 v7, v9
	s_delay_alu instid0(VALU_DEP_2) | instskip(NEXT) | instid1(VALU_DEP_2)
	v_xor_b32_e32 v13, v3, v10
	v_xor_b32_e32 v12, v7, v10
	s_delay_alu instid0(VALU_DEP_1)
	v_sub_nc_u64_e32 v[10:11], v[12:13], v[10:11]
.LBB63_1545:
	s_mov_b32 s10, 0
	s_mov_b32 s9, -1
.LBB63_1546:
	s_and_not1_b32 vcc_lo, exec_lo, s10
	s_mov_b32 s10, 0
	s_cbranch_vccnz .LBB63_1557
; %bb.1547:
	s_cmp_gt_i32 s7, 14
	s_cbranch_scc0 .LBB63_1550
; %bb.1548:
	s_cmp_eq_u32 s7, 15
	s_cbranch_scc0 .LBB63_1553
; %bb.1549:
	global_load_u16 v3, v[14:15], off
	s_mov_b32 s8, 0
	s_mov_b32 s9, -1
	s_wait_loadcnt 0x0
	v_lshlrev_b32_e32 v3, 16, v3
	s_delay_alu instid0(VALU_DEP_1) | instskip(NEXT) | instid1(VALU_DEP_1)
	v_trunc_f32_e32 v3, v3
	v_mul_f32_e64 v7, 0x2f800000, |v3|
	v_ashrrev_i32_e32 v10, 31, v3
	s_delay_alu instid0(VALU_DEP_2) | instskip(NEXT) | instid1(VALU_DEP_2)
	v_floor_f32_e32 v7, v7
	v_mov_b32_e32 v11, v10
	s_delay_alu instid0(VALU_DEP_2) | instskip(SKIP_1) | instid1(VALU_DEP_2)
	v_fma_f32 v9, 0xcf800000, v7, |v3|
	v_cvt_u32_f32_e32 v3, v7
	v_cvt_u32_f32_e32 v7, v9
	s_delay_alu instid0(VALU_DEP_2) | instskip(NEXT) | instid1(VALU_DEP_2)
	v_xor_b32_e32 v13, v3, v10
	v_xor_b32_e32 v12, v7, v10
	s_delay_alu instid0(VALU_DEP_1)
	v_sub_nc_u64_e32 v[10:11], v[12:13], v[10:11]
	s_branch .LBB63_1555
.LBB63_1550:
	s_mov_b32 s10, -1
	s_branch .LBB63_1554
.LBB63_1551:
	s_and_not1_saveexec_b32 s9, s9
	s_cbranch_execz .LBB63_1532
.LBB63_1552:
	v_cmp_ne_u16_e32 vcc_lo, 0, v3
	s_and_not1_b32 s10, s10, exec_lo
	s_and_b32 s11, vcc_lo, exec_lo
	s_delay_alu instid0(SALU_CYCLE_1)
	s_or_b32 s10, s10, s11
	s_or_b32 exec_lo, exec_lo, s9
	v_mov_b64_e32 v[10:11], 0
	s_and_saveexec_b32 s9, s10
	s_cbranch_execnz .LBB63_1533
	s_branch .LBB63_1534
.LBB63_1553:
	s_mov_b32 s8, -1
.LBB63_1554:
                                        ; implicit-def: $vgpr10_vgpr11
.LBB63_1555:
	s_and_b32 vcc_lo, exec_lo, s10
	s_mov_b32 s10, 0
	s_cbranch_vccz .LBB63_1557
; %bb.1556:
	s_cmp_lg_u32 s7, 11
	s_mov_b32 s10, -1
	s_cselect_b32 s7, -1, 0
	s_and_not1_b32 s8, s8, exec_lo
	s_and_b32 s7, s7, exec_lo
	s_delay_alu instid0(SALU_CYCLE_1)
	s_or_b32 s8, s8, s7
.LBB63_1557:
	s_mov_b32 s7, 0
.LBB63_1558:
	s_delay_alu instid0(SALU_CYCLE_1)
	s_and_b32 s23, s7, exec_lo
	s_and_not1_b32 s7, s90, exec_lo
	s_and_b32 s11, s8, exec_lo
	s_and_b32 s9, s9, exec_lo
	s_and_b32 s8, s10, exec_lo
	s_or_b32 s90, s7, s11
	s_wait_xcnt 0x0
	s_or_b32 exec_lo, exec_lo, s6
	s_and_saveexec_b32 s6, s90
	s_cbranch_execz .LBB63_1491
.LBB63_1559:
	s_or_b32 s1, s1, exec_lo
	s_and_not1_b32 s8, s8, exec_lo
	s_trap 2
	s_or_b32 exec_lo, exec_lo, s6
	s_and_saveexec_b32 s6, s8
	s_delay_alu instid0(SALU_CYCLE_1)
	s_xor_b32 s6, exec_lo, s6
	s_cbranch_execnz .LBB63_1492
.LBB63_1560:
	s_or_b32 exec_lo, exec_lo, s6
	s_and_saveexec_b32 s6, s23
	s_cbranch_execz .LBB63_1606
.LBB63_1561:
	s_sext_i32_i16 s7, s0
	s_delay_alu instid0(SALU_CYCLE_1)
	s_cmp_lt_i32 s7, 5
	s_cbranch_scc1 .LBB63_1566
; %bb.1562:
	s_cmp_lt_i32 s7, 8
	s_cbranch_scc1 .LBB63_1567
; %bb.1563:
	;; [unrolled: 3-line block ×3, first 2 shown]
	s_cmp_gt_i32 s7, 9
	s_cbranch_scc0 .LBB63_1569
; %bb.1565:
	s_wait_loadcnt 0x0
	global_load_b64 v[10:11], v[14:15], off
	s_mov_b32 s7, 0
	s_wait_loadcnt 0x0
	v_trunc_f64_e32 v[10:11], v[10:11]
	s_delay_alu instid0(VALU_DEP_1) | instskip(NEXT) | instid1(VALU_DEP_1)
	v_ldexp_f64 v[12:13], v[10:11], 0xffffffe0
	v_floor_f64_e32 v[12:13], v[12:13]
	s_delay_alu instid0(VALU_DEP_1) | instskip(SKIP_1) | instid1(VALU_DEP_2)
	v_fmamk_f64 v[16:17], v[12:13], 0xc1f00000, v[10:11]
	v_cvt_i32_f64_e32 v11, v[12:13]
	v_cvt_u32_f64_e32 v10, v[16:17]
	s_branch .LBB63_1570
.LBB63_1566:
                                        ; implicit-def: $vgpr10_vgpr11
	s_branch .LBB63_1587
.LBB63_1567:
                                        ; implicit-def: $vgpr10_vgpr11
	s_branch .LBB63_1576
.LBB63_1568:
	s_mov_b32 s7, -1
                                        ; implicit-def: $vgpr10_vgpr11
	s_branch .LBB63_1573
.LBB63_1569:
	s_mov_b32 s7, -1
                                        ; implicit-def: $vgpr10_vgpr11
.LBB63_1570:
	s_delay_alu instid0(SALU_CYCLE_1)
	s_and_not1_b32 vcc_lo, exec_lo, s7
	s_cbranch_vccnz .LBB63_1572
; %bb.1571:
	s_wait_loadcnt 0x0
	global_load_b32 v3, v[14:15], off
	s_wait_loadcnt 0x0
	v_trunc_f32_e32 v3, v3
	s_delay_alu instid0(VALU_DEP_1) | instskip(SKIP_1) | instid1(VALU_DEP_2)
	v_mul_f32_e64 v7, 0x2f800000, |v3|
	v_ashrrev_i32_e32 v10, 31, v3
	v_floor_f32_e32 v7, v7
	s_delay_alu instid0(VALU_DEP_1) | instskip(SKIP_1) | instid1(VALU_DEP_4)
	v_fma_f32 v9, 0xcf800000, v7, |v3|
	v_cvt_u32_f32_e32 v3, v7
	v_mov_b32_e32 v11, v10
	s_delay_alu instid0(VALU_DEP_3) | instskip(NEXT) | instid1(VALU_DEP_3)
	v_cvt_u32_f32_e32 v7, v9
	v_xor_b32_e32 v13, v3, v10
	s_delay_alu instid0(VALU_DEP_2) | instskip(NEXT) | instid1(VALU_DEP_1)
	v_xor_b32_e32 v12, v7, v10
	v_sub_nc_u64_e32 v[10:11], v[12:13], v[10:11]
.LBB63_1572:
	s_mov_b32 s7, 0
.LBB63_1573:
	s_delay_alu instid0(SALU_CYCLE_1)
	s_and_not1_b32 vcc_lo, exec_lo, s7
	s_cbranch_vccnz .LBB63_1575
; %bb.1574:
	s_wait_loadcnt 0x0
	global_load_b32 v3, v[14:15], off
	s_wait_loadcnt 0x0
	v_cvt_f32_f16_e32 v3, v3
	s_delay_alu instid0(VALU_DEP_1) | instskip(NEXT) | instid1(VALU_DEP_1)
	v_cvt_i32_f32_e32 v10, v3
	v_ashrrev_i32_e32 v11, 31, v10
.LBB63_1575:
	s_cbranch_execnz .LBB63_1586
.LBB63_1576:
	s_sext_i32_i16 s7, s0
	s_delay_alu instid0(SALU_CYCLE_1)
	s_cmp_lt_i32 s7, 6
	s_cbranch_scc1 .LBB63_1579
; %bb.1577:
	s_cmp_gt_i32 s7, 6
	s_cbranch_scc0 .LBB63_1580
; %bb.1578:
	s_wait_loadcnt 0x0
	global_load_b64 v[10:11], v[14:15], off
	s_mov_b32 s7, 0
	s_wait_loadcnt 0x0
	v_trunc_f64_e32 v[10:11], v[10:11]
	s_delay_alu instid0(VALU_DEP_1) | instskip(NEXT) | instid1(VALU_DEP_1)
	v_ldexp_f64 v[12:13], v[10:11], 0xffffffe0
	v_floor_f64_e32 v[12:13], v[12:13]
	s_delay_alu instid0(VALU_DEP_1) | instskip(SKIP_1) | instid1(VALU_DEP_2)
	v_fmamk_f64 v[16:17], v[12:13], 0xc1f00000, v[10:11]
	v_cvt_i32_f64_e32 v11, v[12:13]
	v_cvt_u32_f64_e32 v10, v[16:17]
	s_branch .LBB63_1581
.LBB63_1579:
	s_mov_b32 s7, -1
                                        ; implicit-def: $vgpr10_vgpr11
	s_branch .LBB63_1584
.LBB63_1580:
	s_mov_b32 s7, -1
                                        ; implicit-def: $vgpr10_vgpr11
.LBB63_1581:
	s_delay_alu instid0(SALU_CYCLE_1)
	s_and_not1_b32 vcc_lo, exec_lo, s7
	s_cbranch_vccnz .LBB63_1583
; %bb.1582:
	s_wait_loadcnt 0x0
	global_load_b32 v3, v[14:15], off
	s_wait_loadcnt 0x0
	v_trunc_f32_e32 v3, v3
	s_delay_alu instid0(VALU_DEP_1) | instskip(SKIP_1) | instid1(VALU_DEP_2)
	v_mul_f32_e64 v7, 0x2f800000, |v3|
	v_ashrrev_i32_e32 v10, 31, v3
	v_floor_f32_e32 v7, v7
	s_delay_alu instid0(VALU_DEP_1) | instskip(SKIP_1) | instid1(VALU_DEP_4)
	v_fma_f32 v9, 0xcf800000, v7, |v3|
	v_cvt_u32_f32_e32 v3, v7
	v_mov_b32_e32 v11, v10
	s_delay_alu instid0(VALU_DEP_3) | instskip(NEXT) | instid1(VALU_DEP_3)
	v_cvt_u32_f32_e32 v7, v9
	v_xor_b32_e32 v13, v3, v10
	s_delay_alu instid0(VALU_DEP_2) | instskip(NEXT) | instid1(VALU_DEP_1)
	v_xor_b32_e32 v12, v7, v10
	v_sub_nc_u64_e32 v[10:11], v[12:13], v[10:11]
.LBB63_1583:
	s_mov_b32 s7, 0
.LBB63_1584:
	s_delay_alu instid0(SALU_CYCLE_1)
	s_and_not1_b32 vcc_lo, exec_lo, s7
	s_cbranch_vccnz .LBB63_1586
; %bb.1585:
	s_wait_loadcnt 0x0
	global_load_u16 v3, v[14:15], off
	s_wait_loadcnt 0x0
	v_cvt_f32_f16_e32 v3, v3
	s_delay_alu instid0(VALU_DEP_1) | instskip(NEXT) | instid1(VALU_DEP_1)
	v_cvt_i32_f32_e32 v10, v3
	v_ashrrev_i32_e32 v11, 31, v10
.LBB63_1586:
	s_cbranch_execnz .LBB63_1605
.LBB63_1587:
	s_sext_i32_i16 s7, s0
	s_delay_alu instid0(SALU_CYCLE_1)
	s_cmp_lt_i32 s7, 2
	s_cbranch_scc1 .LBB63_1591
; %bb.1588:
	s_cmp_lt_i32 s7, 3
	s_cbranch_scc1 .LBB63_1592
; %bb.1589:
	s_cmp_gt_i32 s7, 3
	s_cbranch_scc0 .LBB63_1593
; %bb.1590:
	s_wait_loadcnt 0x0
	global_load_b64 v[10:11], v[14:15], off
	s_mov_b32 s7, 0
	s_branch .LBB63_1594
.LBB63_1591:
                                        ; implicit-def: $vgpr10_vgpr11
	s_branch .LBB63_1600
.LBB63_1592:
	s_mov_b32 s7, -1
                                        ; implicit-def: $vgpr10_vgpr11
	s_branch .LBB63_1597
.LBB63_1593:
	s_mov_b32 s7, -1
                                        ; implicit-def: $vgpr10_vgpr11
.LBB63_1594:
	s_delay_alu instid0(SALU_CYCLE_1)
	s_and_not1_b32 vcc_lo, exec_lo, s7
	s_cbranch_vccnz .LBB63_1596
; %bb.1595:
	s_wait_loadcnt 0x0
	global_load_b32 v10, v[14:15], off
	s_wait_loadcnt 0x0
	v_ashrrev_i32_e32 v11, 31, v10
.LBB63_1596:
	s_mov_b32 s7, 0
.LBB63_1597:
	s_delay_alu instid0(SALU_CYCLE_1)
	s_and_not1_b32 vcc_lo, exec_lo, s7
	s_cbranch_vccnz .LBB63_1599
; %bb.1598:
	s_wait_loadcnt 0x0
	global_load_u16 v3, v[14:15], off
	s_wait_loadcnt 0x0
	v_bfe_i32 v10, v3, 0, 16
	s_delay_alu instid0(VALU_DEP_1)
	v_ashrrev_i32_e32 v11, 31, v10
.LBB63_1599:
	s_cbranch_execnz .LBB63_1605
.LBB63_1600:
	s_sext_i32_i16 s0, s0
	s_delay_alu instid0(SALU_CYCLE_1)
	s_cmp_gt_i32 s0, 0
	s_mov_b32 s0, 0
	s_cbranch_scc0 .LBB63_1602
; %bb.1601:
	s_wait_loadcnt 0x0
	global_load_i8 v3, v[14:15], off
	s_wait_loadcnt 0x0
	v_bfe_i32 v10, v3, 0, 16
	s_delay_alu instid0(VALU_DEP_1)
	v_ashrrev_i32_e32 v11, 31, v10
	s_branch .LBB63_1603
.LBB63_1602:
	s_mov_b32 s0, -1
                                        ; implicit-def: $vgpr10_vgpr11
.LBB63_1603:
	s_delay_alu instid0(SALU_CYCLE_1)
	s_and_not1_b32 vcc_lo, exec_lo, s0
	s_cbranch_vccnz .LBB63_1605
; %bb.1604:
	s_wait_loadcnt 0x0
	global_load_u8 v3, v[14:15], off
	s_mov_b32 s0, 0
	s_delay_alu instid0(SALU_CYCLE_1)
	v_mov_b32_e32 v11, s0
	s_wait_loadcnt 0x0
	v_and_b32_e32 v10, 0xffff, v3
.LBB63_1605:
	s_or_b32 s9, s9, exec_lo
.LBB63_1606:
	s_wait_xcnt 0x0
	s_or_b32 exec_lo, exec_lo, s6
	s_mov_b32 s8, 0
	s_mov_b32 s10, 0
	;; [unrolled: 1-line block ×3, first 2 shown]
                                        ; implicit-def: $sgpr0
                                        ; implicit-def: $vgpr14_vgpr15
                                        ; implicit-def: $vgpr12_vgpr13
	s_and_saveexec_b32 s6, s9
	s_cbranch_execz .LBB63_1614
; %bb.1607:
	s_load_b512 s[36:51], s[2:3], 0x248
	s_wait_loadcnt 0x0
	v_mov_b32_e32 v9, 0
	s_and_b32 s0, s31, 0xff
	s_delay_alu instid0(SALU_CYCLE_1) | instskip(SKIP_1) | instid1(VALU_DEP_1)
	s_cmp_lt_i32 s0, 11
	s_wait_kmcnt 0x0
	v_add_nc_u64_e32 v[14:15], s[44:45], v[8:9]
	s_cbranch_scc1 .LBB63_1617
; %bb.1608:
	s_and_b32 s7, 0xffff, s0
	s_mov_b32 s9, 0
	s_cmp_gt_i32 s7, 25
	s_cbranch_scc0 .LBB63_1618
; %bb.1609:
	s_cmp_gt_i32 s7, 28
	s_cbranch_scc0 .LBB63_1619
; %bb.1610:
	;; [unrolled: 3-line block ×4, first 2 shown]
	s_cmp_eq_u32 s7, 46
	s_mov_b32 s11, 0
	s_cbranch_scc0 .LBB63_1622
; %bb.1613:
	global_load_b32 v3, v[14:15], off
	s_mov_b32 s10, -1
	s_wait_loadcnt 0x0
	v_lshlrev_b32_e32 v3, 16, v3
	s_delay_alu instid0(VALU_DEP_1) | instskip(NEXT) | instid1(VALU_DEP_1)
	v_trunc_f32_e32 v3, v3
	v_mul_f32_e64 v7, 0x2f800000, |v3|
	v_ashrrev_i32_e32 v8, 31, v3
	s_delay_alu instid0(VALU_DEP_2) | instskip(NEXT) | instid1(VALU_DEP_1)
	v_floor_f32_e32 v7, v7
	v_fma_f32 v9, 0xcf800000, v7, |v3|
	v_cvt_u32_f32_e32 v3, v7
	s_delay_alu instid0(VALU_DEP_2) | instskip(NEXT) | instid1(VALU_DEP_2)
	v_cvt_u32_f32_e32 v7, v9
	v_dual_mov_b32 v9, v8 :: v_dual_bitop2_b32 v13, v3, v8 bitop3:0x14
	s_delay_alu instid0(VALU_DEP_2) | instskip(NEXT) | instid1(VALU_DEP_1)
	v_xor_b32_e32 v12, v7, v8
	v_sub_nc_u64_e32 v[12:13], v[12:13], v[8:9]
	s_branch .LBB63_1624
.LBB63_1614:
	s_or_b32 exec_lo, exec_lo, s6
	s_and_saveexec_b32 s6, s89
	s_cbranch_execnz .LBB63_1683
.LBB63_1615:
	s_or_b32 exec_lo, exec_lo, s6
	s_and_saveexec_b32 s6, s8
	s_delay_alu instid0(SALU_CYCLE_1)
	s_xor_b32 s6, exec_lo, s6
	s_cbranch_execz .LBB63_1684
.LBB63_1616:
	s_wait_loadcnt 0x0
	global_load_u8 v3, v[14:15], off
	s_mov_b32 s8, 0
	s_or_b32 s7, s7, exec_lo
	v_mov_b32_e32 v13, s8
	s_wait_loadcnt 0x0
	v_cmp_ne_u16_e32 vcc_lo, 0, v3
	v_cndmask_b32_e64 v12, 0, 1, vcc_lo
	s_wait_xcnt 0x0
	s_or_b32 exec_lo, exec_lo, s6
	s_and_saveexec_b32 s6, s10
	s_cbranch_execz .LBB63_1730
	s_branch .LBB63_1685
.LBB63_1617:
	s_mov_b32 s11, -1
	s_mov_b32 s9, 0
	s_mov_b32 s8, s89
                                        ; implicit-def: $vgpr12_vgpr13
	s_branch .LBB63_1682
.LBB63_1618:
	s_mov_b32 s8, s89
                                        ; implicit-def: $vgpr12_vgpr13
	s_cbranch_execnz .LBB63_1651
	s_branch .LBB63_1681
.LBB63_1619:
	s_mov_b32 s11, -1
	s_mov_b32 s8, s89
                                        ; implicit-def: $vgpr12_vgpr13
	s_branch .LBB63_1634
.LBB63_1620:
	s_mov_b32 s11, -1
	s_mov_b32 s8, s89
                                        ; implicit-def: $vgpr12_vgpr13
	s_branch .LBB63_1629
.LBB63_1621:
	s_mov_b32 s11, -1
	s_mov_b32 s8, s89
	s_branch .LBB63_1623
.LBB63_1622:
	s_mov_b32 s8, -1
.LBB63_1623:
                                        ; implicit-def: $vgpr12_vgpr13
.LBB63_1624:
	s_and_b32 vcc_lo, exec_lo, s11
	s_cbranch_vccz .LBB63_1628
; %bb.1625:
	s_cmp_eq_u32 s7, 44
	s_cbranch_scc0 .LBB63_1627
; %bb.1626:
	global_load_u8 v3, v[14:15], off
	s_mov_b32 s8, 0
	s_mov_b32 s10, -1
	s_wait_loadcnt 0x0
	v_lshlrev_b32_e32 v7, 23, v3
	v_cmp_ne_u32_e32 vcc_lo, 0, v3
	s_delay_alu instid0(VALU_DEP_2) | instskip(NEXT) | instid1(VALU_DEP_1)
	v_trunc_f32_e32 v7, v7
	v_mul_f32_e64 v8, 0x2f800000, |v7|
	s_delay_alu instid0(VALU_DEP_1) | instskip(SKIP_1) | instid1(VALU_DEP_2)
	v_floor_f32_e32 v9, v8
	v_ashrrev_i32_e32 v8, 31, v7
	v_fma_f32 v12, 0xcf800000, v9, |v7|
	v_cvt_u32_f32_e32 v7, v9
	s_delay_alu instid0(VALU_DEP_3) | instskip(NEXT) | instid1(VALU_DEP_3)
	v_mov_b32_e32 v9, v8
	v_cvt_u32_f32_e32 v12, v12
	s_delay_alu instid0(VALU_DEP_3) | instskip(NEXT) | instid1(VALU_DEP_2)
	v_xor_b32_e32 v13, v7, v8
	v_xor_b32_e32 v12, v12, v8
	s_delay_alu instid0(VALU_DEP_1) | instskip(NEXT) | instid1(VALU_DEP_1)
	v_sub_nc_u64_e32 v[8:9], v[12:13], v[8:9]
	v_dual_cndmask_b32 v13, 0, v9 :: v_dual_cndmask_b32 v12, 0, v8
	s_branch .LBB63_1628
.LBB63_1627:
	s_mov_b32 s8, -1
                                        ; implicit-def: $vgpr12_vgpr13
.LBB63_1628:
	s_mov_b32 s11, 0
.LBB63_1629:
	s_delay_alu instid0(SALU_CYCLE_1)
	s_and_b32 vcc_lo, exec_lo, s11
	s_cbranch_vccz .LBB63_1633
; %bb.1630:
	s_cmp_eq_u32 s7, 29
	s_cbranch_scc0 .LBB63_1632
; %bb.1631:
	global_load_b64 v[12:13], v[14:15], off
	s_mov_b32 s8, 0
	s_mov_b32 s10, -1
	s_branch .LBB63_1633
.LBB63_1632:
	s_mov_b32 s8, -1
                                        ; implicit-def: $vgpr12_vgpr13
.LBB63_1633:
	s_mov_b32 s11, 0
.LBB63_1634:
	s_delay_alu instid0(SALU_CYCLE_1)
	s_and_b32 vcc_lo, exec_lo, s11
	s_cbranch_vccz .LBB63_1650
; %bb.1635:
	s_cmp_lt_i32 s7, 27
	s_cbranch_scc1 .LBB63_1638
; %bb.1636:
	s_cmp_gt_i32 s7, 27
	s_cbranch_scc0 .LBB63_1639
; %bb.1637:
	s_wait_loadcnt 0x0
	global_load_b32 v12, v[14:15], off
	v_mov_b32_e32 v13, 0
	s_mov_b32 s10, 0
	s_branch .LBB63_1640
.LBB63_1638:
	s_mov_b32 s10, -1
                                        ; implicit-def: $vgpr12_vgpr13
	s_branch .LBB63_1643
.LBB63_1639:
	s_mov_b32 s10, -1
                                        ; implicit-def: $vgpr12_vgpr13
.LBB63_1640:
	s_delay_alu instid0(SALU_CYCLE_1)
	s_and_not1_b32 vcc_lo, exec_lo, s10
	s_cbranch_vccnz .LBB63_1642
; %bb.1641:
	global_load_u16 v3, v[14:15], off
	s_mov_b32 s10, 0
	s_wait_loadcnt 0x1
	v_mov_b32_e32 v13, s10
	s_wait_loadcnt 0x0
	v_and_b32_e32 v12, 0xffff, v3
.LBB63_1642:
	s_mov_b32 s10, 0
.LBB63_1643:
	s_delay_alu instid0(SALU_CYCLE_1)
	s_and_not1_b32 vcc_lo, exec_lo, s10
	s_cbranch_vccnz .LBB63_1649
; %bb.1644:
	global_load_u8 v3, v[14:15], off
	s_mov_b32 s11, 0
	s_mov_b32 s10, exec_lo
	s_wait_loadcnt 0x0
	v_cmpx_lt_i16_e32 0x7f, v3
	s_xor_b32 s10, exec_lo, s10
	s_cbranch_execz .LBB63_1660
; %bb.1645:
	v_cmp_ne_u16_e32 vcc_lo, 0x80, v3
	s_and_b32 s11, vcc_lo, exec_lo
	s_and_not1_saveexec_b32 s10, s10
	s_cbranch_execnz .LBB63_1661
.LBB63_1646:
	s_or_b32 exec_lo, exec_lo, s10
	v_mov_b64_e32 v[12:13], 0
	s_and_saveexec_b32 s10, s11
	s_cbranch_execz .LBB63_1648
.LBB63_1647:
	v_and_b32_e32 v7, 0xffff, v3
	s_delay_alu instid0(VALU_DEP_1) | instskip(SKIP_1) | instid1(VALU_DEP_2)
	v_and_b32_e32 v8, 7, v7
	v_bfe_u32 v13, v7, 3, 4
	v_clz_i32_u32_e32 v9, v8
	s_delay_alu instid0(VALU_DEP_2) | instskip(NEXT) | instid1(VALU_DEP_2)
	v_cmp_eq_u32_e32 vcc_lo, 0, v13
	v_min_u32_e32 v9, 32, v9
	s_delay_alu instid0(VALU_DEP_1) | instskip(NEXT) | instid1(VALU_DEP_1)
	v_subrev_nc_u32_e32 v12, 28, v9
	v_dual_lshlrev_b32 v7, v12, v7 :: v_dual_sub_nc_u32 v9, 29, v9
	s_delay_alu instid0(VALU_DEP_1) | instskip(NEXT) | instid1(VALU_DEP_2)
	v_and_b32_e32 v7, 7, v7
	v_dual_lshlrev_b32 v3, 24, v3 :: v_dual_cndmask_b32 v9, v13, v9, vcc_lo
	s_delay_alu instid0(VALU_DEP_2) | instskip(NEXT) | instid1(VALU_DEP_2)
	v_cndmask_b32_e32 v7, v8, v7, vcc_lo
	v_and_b32_e32 v3, 0x80000000, v3
	s_delay_alu instid0(VALU_DEP_3) | instskip(NEXT) | instid1(VALU_DEP_3)
	v_lshl_add_u32 v8, v9, 23, 0x3b800000
	v_lshlrev_b32_e32 v7, 20, v7
	s_delay_alu instid0(VALU_DEP_1) | instskip(NEXT) | instid1(VALU_DEP_1)
	v_or3_b32 v3, v3, v8, v7
	v_trunc_f32_e32 v3, v3
	s_delay_alu instid0(VALU_DEP_1) | instskip(SKIP_1) | instid1(VALU_DEP_2)
	v_mul_f32_e64 v7, 0x2f800000, |v3|
	v_ashrrev_i32_e32 v8, 31, v3
	v_floor_f32_e32 v7, v7
	s_delay_alu instid0(VALU_DEP_1) | instskip(SKIP_1) | instid1(VALU_DEP_2)
	v_fma_f32 v9, 0xcf800000, v7, |v3|
	v_cvt_u32_f32_e32 v3, v7
	v_cvt_u32_f32_e32 v7, v9
	s_delay_alu instid0(VALU_DEP_2) | instskip(NEXT) | instid1(VALU_DEP_2)
	v_dual_mov_b32 v9, v8 :: v_dual_bitop2_b32 v13, v3, v8 bitop3:0x14
	v_xor_b32_e32 v12, v7, v8
	s_delay_alu instid0(VALU_DEP_1)
	v_sub_nc_u64_e32 v[12:13], v[12:13], v[8:9]
.LBB63_1648:
	s_or_b32 exec_lo, exec_lo, s10
.LBB63_1649:
	s_mov_b32 s10, -1
.LBB63_1650:
	s_branch .LBB63_1681
.LBB63_1651:
	s_cmp_gt_i32 s7, 22
	s_cbranch_scc0 .LBB63_1659
; %bb.1652:
	s_cmp_lt_i32 s7, 24
	s_cbranch_scc1 .LBB63_1662
; %bb.1653:
	s_cmp_gt_i32 s7, 24
	s_cbranch_scc0 .LBB63_1663
; %bb.1654:
	global_load_u8 v3, v[14:15], off
	s_mov_b32 s10, 0
	s_mov_b32 s9, exec_lo
	s_wait_loadcnt 0x0
	v_cmpx_lt_i16_e32 0x7f, v3
	s_xor_b32 s9, exec_lo, s9
	s_cbranch_execz .LBB63_1675
; %bb.1655:
	v_cmp_ne_u16_e32 vcc_lo, 0x80, v3
	s_and_b32 s10, vcc_lo, exec_lo
	s_and_not1_saveexec_b32 s9, s9
	s_cbranch_execnz .LBB63_1676
.LBB63_1656:
	s_or_b32 exec_lo, exec_lo, s9
	v_mov_b64_e32 v[12:13], 0
	s_and_saveexec_b32 s9, s10
	s_cbranch_execz .LBB63_1658
.LBB63_1657:
	v_and_b32_e32 v7, 0xffff, v3
	s_delay_alu instid0(VALU_DEP_1) | instskip(SKIP_1) | instid1(VALU_DEP_2)
	v_and_b32_e32 v8, 3, v7
	v_bfe_u32 v13, v7, 2, 5
	v_clz_i32_u32_e32 v9, v8
	s_delay_alu instid0(VALU_DEP_2) | instskip(NEXT) | instid1(VALU_DEP_2)
	v_cmp_eq_u32_e32 vcc_lo, 0, v13
	v_min_u32_e32 v9, 32, v9
	s_delay_alu instid0(VALU_DEP_1) | instskip(NEXT) | instid1(VALU_DEP_1)
	v_subrev_nc_u32_e32 v12, 29, v9
	v_dual_lshlrev_b32 v7, v12, v7 :: v_dual_sub_nc_u32 v9, 30, v9
	s_delay_alu instid0(VALU_DEP_1) | instskip(NEXT) | instid1(VALU_DEP_2)
	v_and_b32_e32 v7, 3, v7
	v_dual_lshlrev_b32 v3, 24, v3 :: v_dual_cndmask_b32 v9, v13, v9, vcc_lo
	s_delay_alu instid0(VALU_DEP_2) | instskip(NEXT) | instid1(VALU_DEP_2)
	v_cndmask_b32_e32 v7, v8, v7, vcc_lo
	v_and_b32_e32 v3, 0x80000000, v3
	s_delay_alu instid0(VALU_DEP_3) | instskip(NEXT) | instid1(VALU_DEP_3)
	v_lshl_add_u32 v8, v9, 23, 0x37800000
	v_lshlrev_b32_e32 v7, 21, v7
	s_delay_alu instid0(VALU_DEP_1) | instskip(NEXT) | instid1(VALU_DEP_1)
	v_or3_b32 v3, v3, v8, v7
	v_trunc_f32_e32 v3, v3
	s_delay_alu instid0(VALU_DEP_1) | instskip(SKIP_1) | instid1(VALU_DEP_2)
	v_mul_f32_e64 v7, 0x2f800000, |v3|
	v_ashrrev_i32_e32 v8, 31, v3
	v_floor_f32_e32 v7, v7
	s_delay_alu instid0(VALU_DEP_1) | instskip(SKIP_1) | instid1(VALU_DEP_2)
	v_fma_f32 v9, 0xcf800000, v7, |v3|
	v_cvt_u32_f32_e32 v3, v7
	v_cvt_u32_f32_e32 v7, v9
	s_delay_alu instid0(VALU_DEP_2) | instskip(NEXT) | instid1(VALU_DEP_2)
	v_dual_mov_b32 v9, v8 :: v_dual_bitop2_b32 v13, v3, v8 bitop3:0x14
	v_xor_b32_e32 v12, v7, v8
	s_delay_alu instid0(VALU_DEP_1)
	v_sub_nc_u64_e32 v[12:13], v[12:13], v[8:9]
.LBB63_1658:
	s_or_b32 exec_lo, exec_lo, s9
	s_mov_b32 s9, 0
	s_branch .LBB63_1664
.LBB63_1659:
	s_mov_b32 s9, -1
                                        ; implicit-def: $vgpr12_vgpr13
	s_branch .LBB63_1670
.LBB63_1660:
	s_and_not1_saveexec_b32 s10, s10
	s_cbranch_execz .LBB63_1646
.LBB63_1661:
	v_cmp_ne_u16_e32 vcc_lo, 0, v3
	s_and_not1_b32 s11, s11, exec_lo
	s_and_b32 s12, vcc_lo, exec_lo
	s_delay_alu instid0(SALU_CYCLE_1)
	s_or_b32 s11, s11, s12
	s_or_b32 exec_lo, exec_lo, s10
	v_mov_b64_e32 v[12:13], 0
	s_and_saveexec_b32 s10, s11
	s_cbranch_execnz .LBB63_1647
	s_branch .LBB63_1648
.LBB63_1662:
	s_mov_b32 s9, -1
                                        ; implicit-def: $vgpr12_vgpr13
	s_branch .LBB63_1667
.LBB63_1663:
	s_mov_b32 s9, -1
                                        ; implicit-def: $vgpr12_vgpr13
.LBB63_1664:
	s_delay_alu instid0(SALU_CYCLE_1)
	s_and_b32 vcc_lo, exec_lo, s9
	s_cbranch_vccz .LBB63_1666
; %bb.1665:
	global_load_u8 v3, v[14:15], off
	s_wait_loadcnt 0x0
	v_lshlrev_b32_e32 v3, 24, v3
	s_delay_alu instid0(VALU_DEP_1) | instskip(NEXT) | instid1(VALU_DEP_1)
	v_and_b32_e32 v7, 0x7f000000, v3
	v_clz_i32_u32_e32 v8, v7
	v_cmp_ne_u32_e32 vcc_lo, 0, v7
	v_add_nc_u32_e32 v12, 0x1000000, v7
	s_delay_alu instid0(VALU_DEP_3) | instskip(NEXT) | instid1(VALU_DEP_1)
	v_min_u32_e32 v8, 32, v8
	v_sub_nc_u32_e64 v8, v8, 4 clamp
	s_delay_alu instid0(VALU_DEP_1) | instskip(NEXT) | instid1(VALU_DEP_1)
	v_dual_lshlrev_b32 v9, v8, v7 :: v_dual_lshlrev_b32 v8, 23, v8
	v_lshrrev_b32_e32 v9, 4, v9
	s_delay_alu instid0(VALU_DEP_1) | instskip(SKIP_1) | instid1(VALU_DEP_2)
	v_sub_nc_u32_e32 v8, v9, v8
	v_ashrrev_i32_e32 v9, 8, v12
	v_add_nc_u32_e32 v8, 0x3c000000, v8
	s_delay_alu instid0(VALU_DEP_1) | instskip(NEXT) | instid1(VALU_DEP_1)
	v_and_or_b32 v8, 0x7f800000, v9, v8
	v_cndmask_b32_e32 v7, 0, v8, vcc_lo
	s_delay_alu instid0(VALU_DEP_1) | instskip(NEXT) | instid1(VALU_DEP_1)
	v_and_or_b32 v3, 0x80000000, v3, v7
	v_trunc_f32_e32 v3, v3
	s_delay_alu instid0(VALU_DEP_1) | instskip(SKIP_1) | instid1(VALU_DEP_2)
	v_mul_f32_e64 v7, 0x2f800000, |v3|
	v_ashrrev_i32_e32 v8, 31, v3
	v_floor_f32_e32 v7, v7
	s_delay_alu instid0(VALU_DEP_1) | instskip(SKIP_1) | instid1(VALU_DEP_2)
	v_fma_f32 v9, 0xcf800000, v7, |v3|
	v_cvt_u32_f32_e32 v3, v7
	v_cvt_u32_f32_e32 v7, v9
	s_delay_alu instid0(VALU_DEP_2) | instskip(NEXT) | instid1(VALU_DEP_2)
	v_dual_mov_b32 v9, v8 :: v_dual_bitop2_b32 v13, v3, v8 bitop3:0x14
	v_xor_b32_e32 v12, v7, v8
	s_delay_alu instid0(VALU_DEP_1)
	v_sub_nc_u64_e32 v[12:13], v[12:13], v[8:9]
.LBB63_1666:
	s_mov_b32 s9, 0
.LBB63_1667:
	s_delay_alu instid0(SALU_CYCLE_1)
	s_and_not1_b32 vcc_lo, exec_lo, s9
	s_cbranch_vccnz .LBB63_1669
; %bb.1668:
	global_load_u8 v3, v[14:15], off
	s_wait_loadcnt 0x0
	v_lshlrev_b32_e32 v7, 25, v3
	v_lshlrev_b16 v3, 8, v3
	s_delay_alu instid0(VALU_DEP_1) | instskip(SKIP_1) | instid1(VALU_DEP_2)
	v_and_or_b32 v9, 0x7f00, v3, 0.5
	v_bfe_i32 v3, v3, 0, 16
	v_dual_add_f32 v9, -0.5, v9 :: v_dual_lshrrev_b32 v8, 4, v7
	v_cmp_gt_u32_e32 vcc_lo, 0x8000000, v7
	s_delay_alu instid0(VALU_DEP_2) | instskip(NEXT) | instid1(VALU_DEP_1)
	v_or_b32_e32 v8, 0x70000000, v8
	v_mul_f32_e32 v8, 0x7800000, v8
	s_delay_alu instid0(VALU_DEP_1) | instskip(NEXT) | instid1(VALU_DEP_1)
	v_cndmask_b32_e32 v7, v8, v9, vcc_lo
	v_and_or_b32 v3, 0x80000000, v3, v7
	s_delay_alu instid0(VALU_DEP_1) | instskip(NEXT) | instid1(VALU_DEP_1)
	v_trunc_f32_e32 v3, v3
	v_mul_f32_e64 v7, 0x2f800000, |v3|
	v_ashrrev_i32_e32 v8, 31, v3
	s_delay_alu instid0(VALU_DEP_2) | instskip(NEXT) | instid1(VALU_DEP_1)
	v_floor_f32_e32 v7, v7
	v_fma_f32 v9, 0xcf800000, v7, |v3|
	v_cvt_u32_f32_e32 v3, v7
	s_delay_alu instid0(VALU_DEP_2) | instskip(NEXT) | instid1(VALU_DEP_2)
	v_cvt_u32_f32_e32 v7, v9
	v_dual_mov_b32 v9, v8 :: v_dual_bitop2_b32 v13, v3, v8 bitop3:0x14
	s_delay_alu instid0(VALU_DEP_2) | instskip(NEXT) | instid1(VALU_DEP_1)
	v_xor_b32_e32 v12, v7, v8
	v_sub_nc_u64_e32 v[12:13], v[12:13], v[8:9]
.LBB63_1669:
	s_mov_b32 s9, 0
	s_mov_b32 s10, -1
.LBB63_1670:
	s_and_not1_b32 vcc_lo, exec_lo, s9
	s_mov_b32 s9, 0
	s_cbranch_vccnz .LBB63_1681
; %bb.1671:
	s_cmp_gt_i32 s7, 14
	s_cbranch_scc0 .LBB63_1674
; %bb.1672:
	s_cmp_eq_u32 s7, 15
	s_cbranch_scc0 .LBB63_1677
; %bb.1673:
	global_load_u16 v3, v[14:15], off
	s_mov_b32 s8, 0
	s_mov_b32 s10, -1
	s_wait_loadcnt 0x0
	v_lshlrev_b32_e32 v3, 16, v3
	s_delay_alu instid0(VALU_DEP_1) | instskip(NEXT) | instid1(VALU_DEP_1)
	v_trunc_f32_e32 v3, v3
	v_mul_f32_e64 v7, 0x2f800000, |v3|
	v_ashrrev_i32_e32 v8, 31, v3
	s_delay_alu instid0(VALU_DEP_2) | instskip(NEXT) | instid1(VALU_DEP_1)
	v_floor_f32_e32 v7, v7
	v_fma_f32 v9, 0xcf800000, v7, |v3|
	v_cvt_u32_f32_e32 v3, v7
	s_delay_alu instid0(VALU_DEP_2) | instskip(NEXT) | instid1(VALU_DEP_2)
	v_cvt_u32_f32_e32 v7, v9
	v_dual_mov_b32 v9, v8 :: v_dual_bitop2_b32 v13, v3, v8 bitop3:0x14
	s_delay_alu instid0(VALU_DEP_2) | instskip(NEXT) | instid1(VALU_DEP_1)
	v_xor_b32_e32 v12, v7, v8
	v_sub_nc_u64_e32 v[12:13], v[12:13], v[8:9]
	s_branch .LBB63_1679
.LBB63_1674:
	s_mov_b32 s9, -1
	s_branch .LBB63_1678
.LBB63_1675:
	s_and_not1_saveexec_b32 s9, s9
	s_cbranch_execz .LBB63_1656
.LBB63_1676:
	v_cmp_ne_u16_e32 vcc_lo, 0, v3
	s_and_not1_b32 s10, s10, exec_lo
	s_and_b32 s11, vcc_lo, exec_lo
	s_delay_alu instid0(SALU_CYCLE_1)
	s_or_b32 s10, s10, s11
	s_or_b32 exec_lo, exec_lo, s9
	v_mov_b64_e32 v[12:13], 0
	s_and_saveexec_b32 s9, s10
	s_cbranch_execnz .LBB63_1657
	s_branch .LBB63_1658
.LBB63_1677:
	s_mov_b32 s8, -1
.LBB63_1678:
                                        ; implicit-def: $vgpr12_vgpr13
.LBB63_1679:
	s_and_b32 vcc_lo, exec_lo, s9
	s_mov_b32 s9, 0
	s_cbranch_vccz .LBB63_1681
; %bb.1680:
	s_cmp_lg_u32 s7, 11
	s_mov_b32 s9, -1
	s_cselect_b32 s7, -1, 0
	s_and_not1_b32 s8, s8, exec_lo
	s_and_b32 s7, s7, exec_lo
	s_delay_alu instid0(SALU_CYCLE_1)
	s_or_b32 s8, s8, s7
.LBB63_1681:
	s_mov_b32 s11, 0
.LBB63_1682:
	s_and_b32 s7, s10, exec_lo
	s_and_b32 s10, s11, exec_lo
	s_and_not1_b32 s11, s89, exec_lo
	s_and_b32 s12, s8, exec_lo
	s_and_b32 s8, s9, exec_lo
	s_or_b32 s89, s11, s12
	s_wait_xcnt 0x0
	s_or_b32 exec_lo, exec_lo, s6
	s_and_saveexec_b32 s6, s89
	s_cbranch_execz .LBB63_1615
.LBB63_1683:
	s_or_b32 s1, s1, exec_lo
	s_and_not1_b32 s8, s8, exec_lo
	s_trap 2
	s_or_b32 exec_lo, exec_lo, s6
	s_and_saveexec_b32 s6, s8
	s_delay_alu instid0(SALU_CYCLE_1)
	s_xor_b32 s6, exec_lo, s6
	s_cbranch_execnz .LBB63_1616
.LBB63_1684:
	s_or_b32 exec_lo, exec_lo, s6
	s_and_saveexec_b32 s6, s10
	s_cbranch_execz .LBB63_1730
.LBB63_1685:
	s_sext_i32_i16 s8, s0
	s_delay_alu instid0(SALU_CYCLE_1)
	s_cmp_lt_i32 s8, 5
	s_cbranch_scc1 .LBB63_1690
; %bb.1686:
	s_cmp_lt_i32 s8, 8
	s_cbranch_scc1 .LBB63_1691
; %bb.1687:
	;; [unrolled: 3-line block ×3, first 2 shown]
	s_cmp_gt_i32 s8, 9
	s_cbranch_scc0 .LBB63_1693
; %bb.1689:
	s_wait_loadcnt 0x0
	global_load_b64 v[8:9], v[14:15], off
	s_mov_b32 s8, 0
	s_wait_loadcnt 0x0
	v_trunc_f64_e32 v[8:9], v[8:9]
	s_delay_alu instid0(VALU_DEP_1) | instskip(NEXT) | instid1(VALU_DEP_1)
	v_ldexp_f64 v[12:13], v[8:9], 0xffffffe0
	v_floor_f64_e32 v[12:13], v[12:13]
	s_delay_alu instid0(VALU_DEP_1) | instskip(SKIP_1) | instid1(VALU_DEP_2)
	v_fmamk_f64 v[8:9], v[12:13], 0xc1f00000, v[8:9]
	v_cvt_i32_f64_e32 v13, v[12:13]
	v_cvt_u32_f64_e32 v12, v[8:9]
	s_branch .LBB63_1694
.LBB63_1690:
                                        ; implicit-def: $vgpr12_vgpr13
	s_branch .LBB63_1711
.LBB63_1691:
                                        ; implicit-def: $vgpr12_vgpr13
	s_branch .LBB63_1700
.LBB63_1692:
	s_mov_b32 s8, -1
                                        ; implicit-def: $vgpr12_vgpr13
	s_branch .LBB63_1697
.LBB63_1693:
	s_mov_b32 s8, -1
                                        ; implicit-def: $vgpr12_vgpr13
.LBB63_1694:
	s_delay_alu instid0(SALU_CYCLE_1)
	s_and_not1_b32 vcc_lo, exec_lo, s8
	s_cbranch_vccnz .LBB63_1696
; %bb.1695:
	s_wait_loadcnt 0x0
	global_load_b32 v3, v[14:15], off
	s_wait_loadcnt 0x0
	v_trunc_f32_e32 v3, v3
	s_delay_alu instid0(VALU_DEP_1) | instskip(SKIP_1) | instid1(VALU_DEP_2)
	v_mul_f32_e64 v7, 0x2f800000, |v3|
	v_ashrrev_i32_e32 v8, 31, v3
	v_floor_f32_e32 v7, v7
	s_delay_alu instid0(VALU_DEP_1) | instskip(SKIP_1) | instid1(VALU_DEP_2)
	v_fma_f32 v9, 0xcf800000, v7, |v3|
	v_cvt_u32_f32_e32 v3, v7
	v_cvt_u32_f32_e32 v7, v9
	s_delay_alu instid0(VALU_DEP_2) | instskip(NEXT) | instid1(VALU_DEP_2)
	v_dual_mov_b32 v9, v8 :: v_dual_bitop2_b32 v13, v3, v8 bitop3:0x14
	v_xor_b32_e32 v12, v7, v8
	s_delay_alu instid0(VALU_DEP_1)
	v_sub_nc_u64_e32 v[12:13], v[12:13], v[8:9]
.LBB63_1696:
	s_mov_b32 s8, 0
.LBB63_1697:
	s_delay_alu instid0(SALU_CYCLE_1)
	s_and_not1_b32 vcc_lo, exec_lo, s8
	s_cbranch_vccnz .LBB63_1699
; %bb.1698:
	s_wait_loadcnt 0x0
	global_load_b32 v3, v[14:15], off
	s_wait_loadcnt 0x0
	v_cvt_f32_f16_e32 v3, v3
	s_delay_alu instid0(VALU_DEP_1) | instskip(NEXT) | instid1(VALU_DEP_1)
	v_cvt_i32_f32_e32 v12, v3
	v_ashrrev_i32_e32 v13, 31, v12
.LBB63_1699:
	s_cbranch_execnz .LBB63_1710
.LBB63_1700:
	s_sext_i32_i16 s8, s0
	s_delay_alu instid0(SALU_CYCLE_1)
	s_cmp_lt_i32 s8, 6
	s_cbranch_scc1 .LBB63_1703
; %bb.1701:
	s_cmp_gt_i32 s8, 6
	s_cbranch_scc0 .LBB63_1704
; %bb.1702:
	s_wait_loadcnt 0x0
	global_load_b64 v[8:9], v[14:15], off
	s_mov_b32 s8, 0
	s_wait_loadcnt 0x0
	v_trunc_f64_e32 v[8:9], v[8:9]
	s_delay_alu instid0(VALU_DEP_1) | instskip(NEXT) | instid1(VALU_DEP_1)
	v_ldexp_f64 v[12:13], v[8:9], 0xffffffe0
	v_floor_f64_e32 v[12:13], v[12:13]
	s_delay_alu instid0(VALU_DEP_1) | instskip(SKIP_1) | instid1(VALU_DEP_2)
	v_fmamk_f64 v[8:9], v[12:13], 0xc1f00000, v[8:9]
	v_cvt_i32_f64_e32 v13, v[12:13]
	v_cvt_u32_f64_e32 v12, v[8:9]
	s_branch .LBB63_1705
.LBB63_1703:
	s_mov_b32 s8, -1
                                        ; implicit-def: $vgpr12_vgpr13
	s_branch .LBB63_1708
.LBB63_1704:
	s_mov_b32 s8, -1
                                        ; implicit-def: $vgpr12_vgpr13
.LBB63_1705:
	s_delay_alu instid0(SALU_CYCLE_1)
	s_and_not1_b32 vcc_lo, exec_lo, s8
	s_cbranch_vccnz .LBB63_1707
; %bb.1706:
	s_wait_loadcnt 0x0
	global_load_b32 v3, v[14:15], off
	s_wait_loadcnt 0x0
	v_trunc_f32_e32 v3, v3
	s_delay_alu instid0(VALU_DEP_1) | instskip(SKIP_1) | instid1(VALU_DEP_2)
	v_mul_f32_e64 v7, 0x2f800000, |v3|
	v_ashrrev_i32_e32 v8, 31, v3
	v_floor_f32_e32 v7, v7
	s_delay_alu instid0(VALU_DEP_1) | instskip(SKIP_1) | instid1(VALU_DEP_2)
	v_fma_f32 v9, 0xcf800000, v7, |v3|
	v_cvt_u32_f32_e32 v3, v7
	v_cvt_u32_f32_e32 v7, v9
	s_delay_alu instid0(VALU_DEP_2) | instskip(NEXT) | instid1(VALU_DEP_2)
	v_dual_mov_b32 v9, v8 :: v_dual_bitop2_b32 v13, v3, v8 bitop3:0x14
	v_xor_b32_e32 v12, v7, v8
	s_delay_alu instid0(VALU_DEP_1)
	v_sub_nc_u64_e32 v[12:13], v[12:13], v[8:9]
.LBB63_1707:
	s_mov_b32 s8, 0
.LBB63_1708:
	s_delay_alu instid0(SALU_CYCLE_1)
	s_and_not1_b32 vcc_lo, exec_lo, s8
	s_cbranch_vccnz .LBB63_1710
; %bb.1709:
	s_wait_loadcnt 0x0
	global_load_u16 v3, v[14:15], off
	s_wait_loadcnt 0x0
	v_cvt_f32_f16_e32 v3, v3
	s_delay_alu instid0(VALU_DEP_1) | instskip(NEXT) | instid1(VALU_DEP_1)
	v_cvt_i32_f32_e32 v12, v3
	v_ashrrev_i32_e32 v13, 31, v12
.LBB63_1710:
	s_cbranch_execnz .LBB63_1729
.LBB63_1711:
	s_sext_i32_i16 s8, s0
	s_delay_alu instid0(SALU_CYCLE_1)
	s_cmp_lt_i32 s8, 2
	s_cbranch_scc1 .LBB63_1715
; %bb.1712:
	s_cmp_lt_i32 s8, 3
	s_cbranch_scc1 .LBB63_1716
; %bb.1713:
	s_cmp_gt_i32 s8, 3
	s_cbranch_scc0 .LBB63_1717
; %bb.1714:
	s_wait_loadcnt 0x0
	global_load_b64 v[12:13], v[14:15], off
	s_mov_b32 s8, 0
	s_branch .LBB63_1718
.LBB63_1715:
                                        ; implicit-def: $vgpr12_vgpr13
	s_branch .LBB63_1724
.LBB63_1716:
	s_mov_b32 s8, -1
                                        ; implicit-def: $vgpr12_vgpr13
	s_branch .LBB63_1721
.LBB63_1717:
	s_mov_b32 s8, -1
                                        ; implicit-def: $vgpr12_vgpr13
.LBB63_1718:
	s_delay_alu instid0(SALU_CYCLE_1)
	s_and_not1_b32 vcc_lo, exec_lo, s8
	s_cbranch_vccnz .LBB63_1720
; %bb.1719:
	s_wait_loadcnt 0x0
	global_load_b32 v12, v[14:15], off
	s_wait_loadcnt 0x0
	v_ashrrev_i32_e32 v13, 31, v12
.LBB63_1720:
	s_mov_b32 s8, 0
.LBB63_1721:
	s_delay_alu instid0(SALU_CYCLE_1)
	s_and_not1_b32 vcc_lo, exec_lo, s8
	s_cbranch_vccnz .LBB63_1723
; %bb.1722:
	s_wait_loadcnt 0x0
	global_load_u16 v3, v[14:15], off
	s_wait_loadcnt 0x0
	v_bfe_i32 v12, v3, 0, 16
	s_delay_alu instid0(VALU_DEP_1)
	v_ashrrev_i32_e32 v13, 31, v12
.LBB63_1723:
	s_cbranch_execnz .LBB63_1729
.LBB63_1724:
	s_sext_i32_i16 s0, s0
	s_delay_alu instid0(SALU_CYCLE_1)
	s_cmp_gt_i32 s0, 0
	s_mov_b32 s0, 0
	s_cbranch_scc0 .LBB63_1726
; %bb.1725:
	s_wait_loadcnt 0x0
	global_load_i8 v3, v[14:15], off
	s_wait_loadcnt 0x0
	v_bfe_i32 v12, v3, 0, 16
	s_delay_alu instid0(VALU_DEP_1)
	v_ashrrev_i32_e32 v13, 31, v12
	s_branch .LBB63_1727
.LBB63_1726:
	s_mov_b32 s0, -1
                                        ; implicit-def: $vgpr12_vgpr13
.LBB63_1727:
	s_delay_alu instid0(SALU_CYCLE_1)
	s_and_not1_b32 vcc_lo, exec_lo, s0
	s_cbranch_vccnz .LBB63_1729
; %bb.1728:
	s_wait_loadcnt 0x0
	global_load_u8 v3, v[14:15], off
	s_mov_b32 s0, 0
	s_delay_alu instid0(SALU_CYCLE_1)
	v_mov_b32_e32 v13, s0
	s_wait_loadcnt 0x0
	v_and_b32_e32 v12, 0xffff, v3
.LBB63_1729:
	s_or_b32 s7, s7, exec_lo
.LBB63_1730:
	s_wait_xcnt 0x0
	s_or_b32 exec_lo, exec_lo, s6
	s_mov_b32 s8, 0
	s_mov_b32 s11, 0
	;; [unrolled: 1-line block ×3, first 2 shown]
                                        ; implicit-def: $sgpr0
                                        ; implicit-def: $vgpr8_vgpr9
                                        ; implicit-def: $vgpr14_vgpr15
	s_and_saveexec_b32 s6, s7
	s_cbranch_execz .LBB63_1738
; %bb.1731:
	s_load_b512 s[36:51], s[2:3], 0x248
	v_mov_b32_e32 v7, 0
	s_and_b32 s0, s53, 0xff
	s_delay_alu instid0(SALU_CYCLE_1)
	s_cmp_lt_i32 s0, 11
	s_wait_loadcnt 0x0
	s_wait_kmcnt 0x0
	v_add_nc_u64_e32 v[8:9], s[46:47], v[6:7]
	s_cbranch_scc1 .LBB63_1741
; %bb.1732:
	s_and_b32 s7, 0xffff, s0
	s_mov_b32 s10, 0
	s_cmp_gt_i32 s7, 25
	s_cbranch_scc0 .LBB63_1742
; %bb.1733:
	s_cmp_gt_i32 s7, 28
	s_cbranch_scc0 .LBB63_1743
; %bb.1734:
	;; [unrolled: 3-line block ×4, first 2 shown]
	s_cmp_eq_u32 s7, 46
	s_cbranch_scc0 .LBB63_1746
; %bb.1737:
	global_load_b32 v3, v[8:9], off
	s_mov_b32 s9, -1
	s_wait_loadcnt 0x0
	v_lshlrev_b32_e32 v3, 16, v3
	s_delay_alu instid0(VALU_DEP_1) | instskip(NEXT) | instid1(VALU_DEP_1)
	v_trunc_f32_e32 v3, v3
	v_mul_f32_e64 v6, 0x2f800000, |v3|
	s_delay_alu instid0(VALU_DEP_1) | instskip(SKIP_1) | instid1(VALU_DEP_2)
	v_floor_f32_e32 v7, v6
	v_ashrrev_i32_e32 v6, 31, v3
	v_fma_f32 v14, 0xcf800000, v7, |v3|
	v_cvt_u32_f32_e32 v3, v7
	s_delay_alu instid0(VALU_DEP_3) | instskip(NEXT) | instid1(VALU_DEP_3)
	v_mov_b32_e32 v7, v6
	v_cvt_u32_f32_e32 v14, v14
	s_delay_alu instid0(VALU_DEP_3) | instskip(NEXT) | instid1(VALU_DEP_2)
	v_xor_b32_e32 v15, v3, v6
	v_xor_b32_e32 v14, v14, v6
	s_delay_alu instid0(VALU_DEP_1)
	v_sub_nc_u64_e32 v[14:15], v[14:15], v[6:7]
	s_branch .LBB63_1748
.LBB63_1738:
	s_or_b32 exec_lo, exec_lo, s6
	s_and_saveexec_b32 s6, s88
	s_cbranch_execnz .LBB63_1807
.LBB63_1739:
	s_or_b32 exec_lo, exec_lo, s6
	s_and_saveexec_b32 s6, s8
	s_delay_alu instid0(SALU_CYCLE_1)
	s_xor_b32 s6, exec_lo, s6
	s_cbranch_execz .LBB63_1808
.LBB63_1740:
	s_wait_loadcnt 0x0
	global_load_u8 v3, v[8:9], off
	s_mov_b32 s7, 0
	s_or_b32 s9, s9, exec_lo
	v_mov_b32_e32 v15, s7
	s_wait_loadcnt 0x0
	v_cmp_ne_u16_e32 vcc_lo, 0, v3
	v_cndmask_b32_e64 v14, 0, 1, vcc_lo
	s_wait_xcnt 0x0
	s_or_b32 exec_lo, exec_lo, s6
	s_and_saveexec_b32 s6, s11
	s_cbranch_execz .LBB63_1854
	s_branch .LBB63_1809
.LBB63_1741:
	s_mov_b32 s7, -1
	s_mov_b32 s10, 0
	s_mov_b32 s8, s88
                                        ; implicit-def: $vgpr14_vgpr15
	s_branch .LBB63_1806
.LBB63_1742:
	s_mov_b32 s8, s88
                                        ; implicit-def: $vgpr14_vgpr15
	s_cbranch_execnz .LBB63_1775
	s_branch .LBB63_1805
.LBB63_1743:
	s_mov_b32 s11, -1
	s_mov_b32 s8, s88
                                        ; implicit-def: $vgpr14_vgpr15
	s_branch .LBB63_1758
.LBB63_1744:
	s_mov_b32 s11, -1
	s_mov_b32 s8, s88
                                        ; implicit-def: $vgpr14_vgpr15
	s_branch .LBB63_1753
.LBB63_1745:
	s_mov_b32 s11, -1
	s_mov_b32 s8, s88
	s_branch .LBB63_1747
.LBB63_1746:
	s_mov_b32 s8, -1
.LBB63_1747:
                                        ; implicit-def: $vgpr14_vgpr15
.LBB63_1748:
	s_and_b32 vcc_lo, exec_lo, s11
	s_cbranch_vccz .LBB63_1752
; %bb.1749:
	s_cmp_eq_u32 s7, 44
	s_cbranch_scc0 .LBB63_1751
; %bb.1750:
	global_load_u8 v3, v[8:9], off
	s_mov_b32 s8, 0
	s_mov_b32 s9, -1
	s_wait_loadcnt 0x0
	v_lshlrev_b32_e32 v6, 23, v3
	v_cmp_ne_u32_e32 vcc_lo, 0, v3
	s_delay_alu instid0(VALU_DEP_2) | instskip(NEXT) | instid1(VALU_DEP_1)
	v_trunc_f32_e32 v6, v6
	v_mul_f32_e64 v7, 0x2f800000, |v6|
	s_delay_alu instid0(VALU_DEP_1) | instskip(NEXT) | instid1(VALU_DEP_1)
	v_floor_f32_e32 v7, v7
	v_fma_f32 v14, 0xcf800000, v7, |v6|
	v_ashrrev_i32_e32 v6, 31, v6
	v_cvt_u32_f32_e32 v15, v7
	s_delay_alu instid0(VALU_DEP_3) | instskip(NEXT) | instid1(VALU_DEP_2)
	v_cvt_u32_f32_e32 v14, v14
	v_dual_mov_b32 v7, v6 :: v_dual_bitop2_b32 v15, v15, v6 bitop3:0x14
	s_delay_alu instid0(VALU_DEP_2) | instskip(NEXT) | instid1(VALU_DEP_1)
	v_xor_b32_e32 v14, v14, v6
	v_sub_nc_u64_e32 v[6:7], v[14:15], v[6:7]
	s_delay_alu instid0(VALU_DEP_1)
	v_dual_cndmask_b32 v15, 0, v7 :: v_dual_cndmask_b32 v14, 0, v6
	s_branch .LBB63_1752
.LBB63_1751:
	s_mov_b32 s8, -1
                                        ; implicit-def: $vgpr14_vgpr15
.LBB63_1752:
	s_mov_b32 s11, 0
.LBB63_1753:
	s_delay_alu instid0(SALU_CYCLE_1)
	s_and_b32 vcc_lo, exec_lo, s11
	s_cbranch_vccz .LBB63_1757
; %bb.1754:
	s_cmp_eq_u32 s7, 29
	s_cbranch_scc0 .LBB63_1756
; %bb.1755:
	global_load_b64 v[14:15], v[8:9], off
	s_mov_b32 s8, 0
	s_mov_b32 s9, -1
	s_branch .LBB63_1757
.LBB63_1756:
	s_mov_b32 s8, -1
                                        ; implicit-def: $vgpr14_vgpr15
.LBB63_1757:
	s_mov_b32 s11, 0
.LBB63_1758:
	s_delay_alu instid0(SALU_CYCLE_1)
	s_and_b32 vcc_lo, exec_lo, s11
	s_cbranch_vccz .LBB63_1774
; %bb.1759:
	s_cmp_lt_i32 s7, 27
	s_cbranch_scc1 .LBB63_1762
; %bb.1760:
	s_cmp_gt_i32 s7, 27
	s_cbranch_scc0 .LBB63_1763
; %bb.1761:
	s_wait_loadcnt 0x0
	global_load_b32 v14, v[8:9], off
	v_mov_b32_e32 v15, 0
	s_mov_b32 s9, 0
	s_branch .LBB63_1764
.LBB63_1762:
	s_mov_b32 s9, -1
                                        ; implicit-def: $vgpr14_vgpr15
	s_branch .LBB63_1767
.LBB63_1763:
	s_mov_b32 s9, -1
                                        ; implicit-def: $vgpr14_vgpr15
.LBB63_1764:
	s_delay_alu instid0(SALU_CYCLE_1)
	s_and_not1_b32 vcc_lo, exec_lo, s9
	s_cbranch_vccnz .LBB63_1766
; %bb.1765:
	global_load_u16 v3, v[8:9], off
	s_mov_b32 s9, 0
	s_wait_loadcnt 0x1
	v_mov_b32_e32 v15, s9
	s_wait_loadcnt 0x0
	v_and_b32_e32 v14, 0xffff, v3
.LBB63_1766:
	s_mov_b32 s9, 0
.LBB63_1767:
	s_delay_alu instid0(SALU_CYCLE_1)
	s_and_not1_b32 vcc_lo, exec_lo, s9
	s_cbranch_vccnz .LBB63_1773
; %bb.1768:
	global_load_u8 v3, v[8:9], off
	s_mov_b32 s11, 0
	s_mov_b32 s9, exec_lo
	s_wait_loadcnt 0x0
	v_cmpx_lt_i16_e32 0x7f, v3
	s_xor_b32 s9, exec_lo, s9
	s_cbranch_execz .LBB63_1784
; %bb.1769:
	v_cmp_ne_u16_e32 vcc_lo, 0x80, v3
	s_and_b32 s11, vcc_lo, exec_lo
	s_and_not1_saveexec_b32 s9, s9
	s_cbranch_execnz .LBB63_1785
.LBB63_1770:
	s_or_b32 exec_lo, exec_lo, s9
	v_mov_b64_e32 v[14:15], 0
	s_and_saveexec_b32 s9, s11
	s_cbranch_execz .LBB63_1772
.LBB63_1771:
	v_and_b32_e32 v6, 0xffff, v3
	s_delay_alu instid0(VALU_DEP_1) | instskip(SKIP_1) | instid1(VALU_DEP_2)
	v_dual_lshlrev_b32 v3, 24, v3 :: v_dual_bitop2_b32 v7, 7, v6 bitop3:0x40
	v_bfe_u32 v16, v6, 3, 4
	v_and_b32_e32 v3, 0x80000000, v3
	s_delay_alu instid0(VALU_DEP_3) | instskip(NEXT) | instid1(VALU_DEP_3)
	v_clz_i32_u32_e32 v14, v7
	v_cmp_eq_u32_e32 vcc_lo, 0, v16
	s_delay_alu instid0(VALU_DEP_2) | instskip(NEXT) | instid1(VALU_DEP_1)
	v_min_u32_e32 v14, 32, v14
	v_subrev_nc_u32_e32 v15, 28, v14
	v_sub_nc_u32_e32 v14, 29, v14
	s_delay_alu instid0(VALU_DEP_2) | instskip(NEXT) | instid1(VALU_DEP_2)
	v_lshlrev_b32_e32 v6, v15, v6
	v_cndmask_b32_e32 v14, v16, v14, vcc_lo
	s_delay_alu instid0(VALU_DEP_2) | instskip(NEXT) | instid1(VALU_DEP_1)
	v_and_b32_e32 v6, 7, v6
	v_cndmask_b32_e32 v6, v7, v6, vcc_lo
	s_delay_alu instid0(VALU_DEP_3) | instskip(NEXT) | instid1(VALU_DEP_2)
	v_lshl_add_u32 v7, v14, 23, 0x3b800000
	v_lshlrev_b32_e32 v6, 20, v6
	s_delay_alu instid0(VALU_DEP_1) | instskip(NEXT) | instid1(VALU_DEP_1)
	v_or3_b32 v3, v3, v7, v6
	v_trunc_f32_e32 v3, v3
	s_delay_alu instid0(VALU_DEP_1) | instskip(NEXT) | instid1(VALU_DEP_1)
	v_mul_f32_e64 v6, 0x2f800000, |v3|
	v_floor_f32_e32 v7, v6
	v_ashrrev_i32_e32 v6, 31, v3
	s_delay_alu instid0(VALU_DEP_2) | instskip(SKIP_1) | instid1(VALU_DEP_3)
	v_fma_f32 v14, 0xcf800000, v7, |v3|
	v_cvt_u32_f32_e32 v3, v7
	v_mov_b32_e32 v7, v6
	s_delay_alu instid0(VALU_DEP_3) | instskip(NEXT) | instid1(VALU_DEP_3)
	v_cvt_u32_f32_e32 v14, v14
	v_xor_b32_e32 v15, v3, v6
	s_delay_alu instid0(VALU_DEP_2) | instskip(NEXT) | instid1(VALU_DEP_1)
	v_xor_b32_e32 v14, v14, v6
	v_sub_nc_u64_e32 v[14:15], v[14:15], v[6:7]
.LBB63_1772:
	s_or_b32 exec_lo, exec_lo, s9
.LBB63_1773:
	s_mov_b32 s9, -1
.LBB63_1774:
	s_branch .LBB63_1805
.LBB63_1775:
	s_cmp_gt_i32 s7, 22
	s_cbranch_scc0 .LBB63_1783
; %bb.1776:
	s_cmp_lt_i32 s7, 24
	s_cbranch_scc1 .LBB63_1786
; %bb.1777:
	s_cmp_gt_i32 s7, 24
	s_cbranch_scc0 .LBB63_1787
; %bb.1778:
	global_load_u8 v3, v[8:9], off
	s_mov_b32 s9, exec_lo
	s_wait_loadcnt 0x0
	v_cmpx_lt_i16_e32 0x7f, v3
	s_xor_b32 s9, exec_lo, s9
	s_cbranch_execz .LBB63_1799
; %bb.1779:
	v_cmp_ne_u16_e32 vcc_lo, 0x80, v3
	s_and_b32 s10, vcc_lo, exec_lo
	s_and_not1_saveexec_b32 s9, s9
	s_cbranch_execnz .LBB63_1800
.LBB63_1780:
	s_or_b32 exec_lo, exec_lo, s9
	v_mov_b64_e32 v[14:15], 0
	s_and_saveexec_b32 s9, s10
	s_cbranch_execz .LBB63_1782
.LBB63_1781:
	v_and_b32_e32 v6, 0xffff, v3
	s_delay_alu instid0(VALU_DEP_1) | instskip(SKIP_1) | instid1(VALU_DEP_2)
	v_dual_lshlrev_b32 v3, 24, v3 :: v_dual_bitop2_b32 v7, 3, v6 bitop3:0x40
	v_bfe_u32 v16, v6, 2, 5
	v_and_b32_e32 v3, 0x80000000, v3
	s_delay_alu instid0(VALU_DEP_3) | instskip(NEXT) | instid1(VALU_DEP_3)
	v_clz_i32_u32_e32 v14, v7
	v_cmp_eq_u32_e32 vcc_lo, 0, v16
	s_delay_alu instid0(VALU_DEP_2) | instskip(NEXT) | instid1(VALU_DEP_1)
	v_min_u32_e32 v14, 32, v14
	v_subrev_nc_u32_e32 v15, 29, v14
	v_sub_nc_u32_e32 v14, 30, v14
	s_delay_alu instid0(VALU_DEP_2) | instskip(NEXT) | instid1(VALU_DEP_2)
	v_lshlrev_b32_e32 v6, v15, v6
	v_cndmask_b32_e32 v14, v16, v14, vcc_lo
	s_delay_alu instid0(VALU_DEP_2) | instskip(NEXT) | instid1(VALU_DEP_1)
	v_and_b32_e32 v6, 3, v6
	v_cndmask_b32_e32 v6, v7, v6, vcc_lo
	s_delay_alu instid0(VALU_DEP_3) | instskip(NEXT) | instid1(VALU_DEP_2)
	v_lshl_add_u32 v7, v14, 23, 0x37800000
	v_lshlrev_b32_e32 v6, 21, v6
	s_delay_alu instid0(VALU_DEP_1) | instskip(NEXT) | instid1(VALU_DEP_1)
	v_or3_b32 v3, v3, v7, v6
	v_trunc_f32_e32 v3, v3
	s_delay_alu instid0(VALU_DEP_1) | instskip(NEXT) | instid1(VALU_DEP_1)
	v_mul_f32_e64 v6, 0x2f800000, |v3|
	v_floor_f32_e32 v7, v6
	v_ashrrev_i32_e32 v6, 31, v3
	s_delay_alu instid0(VALU_DEP_2) | instskip(SKIP_1) | instid1(VALU_DEP_3)
	v_fma_f32 v14, 0xcf800000, v7, |v3|
	v_cvt_u32_f32_e32 v3, v7
	v_mov_b32_e32 v7, v6
	s_delay_alu instid0(VALU_DEP_3) | instskip(NEXT) | instid1(VALU_DEP_3)
	v_cvt_u32_f32_e32 v14, v14
	v_xor_b32_e32 v15, v3, v6
	s_delay_alu instid0(VALU_DEP_2) | instskip(NEXT) | instid1(VALU_DEP_1)
	v_xor_b32_e32 v14, v14, v6
	v_sub_nc_u64_e32 v[14:15], v[14:15], v[6:7]
.LBB63_1782:
	s_or_b32 exec_lo, exec_lo, s9
	s_mov_b32 s9, 0
	s_branch .LBB63_1788
.LBB63_1783:
	s_mov_b32 s10, -1
                                        ; implicit-def: $vgpr14_vgpr15
	s_branch .LBB63_1794
.LBB63_1784:
	s_and_not1_saveexec_b32 s9, s9
	s_cbranch_execz .LBB63_1770
.LBB63_1785:
	v_cmp_ne_u16_e32 vcc_lo, 0, v3
	s_and_not1_b32 s11, s11, exec_lo
	s_and_b32 s12, vcc_lo, exec_lo
	s_delay_alu instid0(SALU_CYCLE_1)
	s_or_b32 s11, s11, s12
	s_or_b32 exec_lo, exec_lo, s9
	v_mov_b64_e32 v[14:15], 0
	s_and_saveexec_b32 s9, s11
	s_cbranch_execnz .LBB63_1771
	s_branch .LBB63_1772
.LBB63_1786:
	s_mov_b32 s9, -1
                                        ; implicit-def: $vgpr14_vgpr15
	s_branch .LBB63_1791
.LBB63_1787:
	s_mov_b32 s9, -1
                                        ; implicit-def: $vgpr14_vgpr15
.LBB63_1788:
	s_delay_alu instid0(SALU_CYCLE_1)
	s_and_b32 vcc_lo, exec_lo, s9
	s_cbranch_vccz .LBB63_1790
; %bb.1789:
	global_load_u8 v3, v[8:9], off
	s_wait_loadcnt 0x0
	v_lshlrev_b32_e32 v3, 24, v3
	s_delay_alu instid0(VALU_DEP_1) | instskip(NEXT) | instid1(VALU_DEP_1)
	v_and_b32_e32 v6, 0x7f000000, v3
	v_clz_i32_u32_e32 v7, v6
	v_cmp_ne_u32_e32 vcc_lo, 0, v6
	v_add_nc_u32_e32 v15, 0x1000000, v6
	s_delay_alu instid0(VALU_DEP_3) | instskip(NEXT) | instid1(VALU_DEP_1)
	v_min_u32_e32 v7, 32, v7
	v_sub_nc_u32_e64 v7, v7, 4 clamp
	s_delay_alu instid0(VALU_DEP_1) | instskip(NEXT) | instid1(VALU_DEP_1)
	v_dual_lshlrev_b32 v14, v7, v6 :: v_dual_lshlrev_b32 v7, 23, v7
	v_lshrrev_b32_e32 v14, 4, v14
	s_delay_alu instid0(VALU_DEP_1) | instskip(SKIP_1) | instid1(VALU_DEP_2)
	v_sub_nc_u32_e32 v7, v14, v7
	v_ashrrev_i32_e32 v14, 8, v15
	v_add_nc_u32_e32 v7, 0x3c000000, v7
	s_delay_alu instid0(VALU_DEP_1) | instskip(NEXT) | instid1(VALU_DEP_1)
	v_and_or_b32 v7, 0x7f800000, v14, v7
	v_cndmask_b32_e32 v6, 0, v7, vcc_lo
	s_delay_alu instid0(VALU_DEP_1) | instskip(NEXT) | instid1(VALU_DEP_1)
	v_and_or_b32 v3, 0x80000000, v3, v6
	v_trunc_f32_e32 v3, v3
	s_delay_alu instid0(VALU_DEP_1) | instskip(NEXT) | instid1(VALU_DEP_1)
	v_mul_f32_e64 v6, 0x2f800000, |v3|
	v_floor_f32_e32 v7, v6
	v_ashrrev_i32_e32 v6, 31, v3
	s_delay_alu instid0(VALU_DEP_2) | instskip(SKIP_1) | instid1(VALU_DEP_3)
	v_fma_f32 v14, 0xcf800000, v7, |v3|
	v_cvt_u32_f32_e32 v3, v7
	v_mov_b32_e32 v7, v6
	s_delay_alu instid0(VALU_DEP_3) | instskip(NEXT) | instid1(VALU_DEP_3)
	v_cvt_u32_f32_e32 v14, v14
	v_xor_b32_e32 v15, v3, v6
	s_delay_alu instid0(VALU_DEP_2) | instskip(NEXT) | instid1(VALU_DEP_1)
	v_xor_b32_e32 v14, v14, v6
	v_sub_nc_u64_e32 v[14:15], v[14:15], v[6:7]
.LBB63_1790:
	s_mov_b32 s9, 0
.LBB63_1791:
	s_delay_alu instid0(SALU_CYCLE_1)
	s_and_not1_b32 vcc_lo, exec_lo, s9
	s_cbranch_vccnz .LBB63_1793
; %bb.1792:
	global_load_u8 v3, v[8:9], off
	s_wait_loadcnt 0x0
	v_lshlrev_b32_e32 v6, 25, v3
	v_lshlrev_b16 v3, 8, v3
	s_delay_alu instid0(VALU_DEP_1) | instskip(SKIP_1) | instid1(VALU_DEP_2)
	v_and_or_b32 v14, 0x7f00, v3, 0.5
	v_bfe_i32 v3, v3, 0, 16
	v_add_f32_e32 v14, -0.5, v14
	v_lshrrev_b32_e32 v7, 4, v6
	v_cmp_gt_u32_e32 vcc_lo, 0x8000000, v6
	s_delay_alu instid0(VALU_DEP_2) | instskip(NEXT) | instid1(VALU_DEP_1)
	v_or_b32_e32 v7, 0x70000000, v7
	v_mul_f32_e32 v7, 0x7800000, v7
	s_delay_alu instid0(VALU_DEP_1) | instskip(NEXT) | instid1(VALU_DEP_1)
	v_cndmask_b32_e32 v6, v7, v14, vcc_lo
	v_and_or_b32 v3, 0x80000000, v3, v6
	s_delay_alu instid0(VALU_DEP_1) | instskip(NEXT) | instid1(VALU_DEP_1)
	v_trunc_f32_e32 v3, v3
	v_mul_f32_e64 v6, 0x2f800000, |v3|
	s_delay_alu instid0(VALU_DEP_1) | instskip(SKIP_1) | instid1(VALU_DEP_2)
	v_floor_f32_e32 v7, v6
	v_ashrrev_i32_e32 v6, 31, v3
	v_fma_f32 v14, 0xcf800000, v7, |v3|
	v_cvt_u32_f32_e32 v3, v7
	s_delay_alu instid0(VALU_DEP_3) | instskip(NEXT) | instid1(VALU_DEP_3)
	v_mov_b32_e32 v7, v6
	v_cvt_u32_f32_e32 v14, v14
	s_delay_alu instid0(VALU_DEP_3) | instskip(NEXT) | instid1(VALU_DEP_2)
	v_xor_b32_e32 v15, v3, v6
	v_xor_b32_e32 v14, v14, v6
	s_delay_alu instid0(VALU_DEP_1)
	v_sub_nc_u64_e32 v[14:15], v[14:15], v[6:7]
.LBB63_1793:
	s_mov_b32 s10, 0
	s_mov_b32 s9, -1
.LBB63_1794:
	s_and_not1_b32 vcc_lo, exec_lo, s10
	s_mov_b32 s10, 0
	s_cbranch_vccnz .LBB63_1805
; %bb.1795:
	s_cmp_gt_i32 s7, 14
	s_cbranch_scc0 .LBB63_1798
; %bb.1796:
	s_cmp_eq_u32 s7, 15
	s_cbranch_scc0 .LBB63_1801
; %bb.1797:
	global_load_u16 v3, v[8:9], off
	s_mov_b32 s8, 0
	s_mov_b32 s9, -1
	s_wait_loadcnt 0x0
	v_lshlrev_b32_e32 v3, 16, v3
	s_delay_alu instid0(VALU_DEP_1) | instskip(NEXT) | instid1(VALU_DEP_1)
	v_trunc_f32_e32 v3, v3
	v_mul_f32_e64 v6, 0x2f800000, |v3|
	s_delay_alu instid0(VALU_DEP_1) | instskip(SKIP_1) | instid1(VALU_DEP_2)
	v_floor_f32_e32 v7, v6
	v_ashrrev_i32_e32 v6, 31, v3
	v_fma_f32 v14, 0xcf800000, v7, |v3|
	v_cvt_u32_f32_e32 v3, v7
	s_delay_alu instid0(VALU_DEP_3) | instskip(NEXT) | instid1(VALU_DEP_3)
	v_mov_b32_e32 v7, v6
	v_cvt_u32_f32_e32 v14, v14
	s_delay_alu instid0(VALU_DEP_3) | instskip(NEXT) | instid1(VALU_DEP_2)
	v_xor_b32_e32 v15, v3, v6
	v_xor_b32_e32 v14, v14, v6
	s_delay_alu instid0(VALU_DEP_1)
	v_sub_nc_u64_e32 v[14:15], v[14:15], v[6:7]
	s_branch .LBB63_1803
.LBB63_1798:
	s_mov_b32 s10, -1
	s_branch .LBB63_1802
.LBB63_1799:
	s_and_not1_saveexec_b32 s9, s9
	s_cbranch_execz .LBB63_1780
.LBB63_1800:
	v_cmp_ne_u16_e32 vcc_lo, 0, v3
	s_and_not1_b32 s10, s10, exec_lo
	s_and_b32 s11, vcc_lo, exec_lo
	s_delay_alu instid0(SALU_CYCLE_1)
	s_or_b32 s10, s10, s11
	s_or_b32 exec_lo, exec_lo, s9
	v_mov_b64_e32 v[14:15], 0
	s_and_saveexec_b32 s9, s10
	s_cbranch_execnz .LBB63_1781
	s_branch .LBB63_1782
.LBB63_1801:
	s_mov_b32 s8, -1
.LBB63_1802:
                                        ; implicit-def: $vgpr14_vgpr15
.LBB63_1803:
	s_and_b32 vcc_lo, exec_lo, s10
	s_mov_b32 s10, 0
	s_cbranch_vccz .LBB63_1805
; %bb.1804:
	s_cmp_lg_u32 s7, 11
	s_mov_b32 s10, -1
	s_cselect_b32 s7, -1, 0
	s_and_not1_b32 s8, s8, exec_lo
	s_and_b32 s7, s7, exec_lo
	s_delay_alu instid0(SALU_CYCLE_1)
	s_or_b32 s8, s8, s7
.LBB63_1805:
	s_mov_b32 s7, 0
.LBB63_1806:
	s_delay_alu instid0(SALU_CYCLE_1)
	s_and_b32 s11, s7, exec_lo
	s_and_not1_b32 s7, s88, exec_lo
	s_and_b32 s12, s8, exec_lo
	s_and_b32 s9, s9, exec_lo
	;; [unrolled: 1-line block ×3, first 2 shown]
	s_or_b32 s88, s7, s12
	s_wait_xcnt 0x0
	s_or_b32 exec_lo, exec_lo, s6
	s_and_saveexec_b32 s6, s88
	s_cbranch_execz .LBB63_1739
.LBB63_1807:
	s_or_b32 s1, s1, exec_lo
	s_and_not1_b32 s8, s8, exec_lo
	s_trap 2
	s_or_b32 exec_lo, exec_lo, s6
	s_and_saveexec_b32 s6, s8
	s_delay_alu instid0(SALU_CYCLE_1)
	s_xor_b32 s6, exec_lo, s6
	s_cbranch_execnz .LBB63_1740
.LBB63_1808:
	s_or_b32 exec_lo, exec_lo, s6
	s_and_saveexec_b32 s6, s11
	s_cbranch_execz .LBB63_1854
.LBB63_1809:
	s_sext_i32_i16 s7, s0
	s_delay_alu instid0(SALU_CYCLE_1)
	s_cmp_lt_i32 s7, 5
	s_cbranch_scc1 .LBB63_1814
; %bb.1810:
	s_cmp_lt_i32 s7, 8
	s_cbranch_scc1 .LBB63_1815
; %bb.1811:
	s_cmp_lt_i32 s7, 9
	s_cbranch_scc1 .LBB63_1816
; %bb.1812:
	s_cmp_gt_i32 s7, 9
	s_cbranch_scc0 .LBB63_1817
; %bb.1813:
	s_wait_loadcnt 0x0
	global_load_b64 v[6:7], v[8:9], off
	s_mov_b32 s7, 0
	s_wait_loadcnt 0x0
	v_trunc_f64_e32 v[6:7], v[6:7]
	s_delay_alu instid0(VALU_DEP_1) | instskip(NEXT) | instid1(VALU_DEP_1)
	v_ldexp_f64 v[14:15], v[6:7], 0xffffffe0
	v_floor_f64_e32 v[14:15], v[14:15]
	s_delay_alu instid0(VALU_DEP_1) | instskip(SKIP_1) | instid1(VALU_DEP_2)
	v_fmamk_f64 v[6:7], v[14:15], 0xc1f00000, v[6:7]
	v_cvt_i32_f64_e32 v15, v[14:15]
	v_cvt_u32_f64_e32 v14, v[6:7]
	s_branch .LBB63_1818
.LBB63_1814:
                                        ; implicit-def: $vgpr14_vgpr15
	s_branch .LBB63_1835
.LBB63_1815:
                                        ; implicit-def: $vgpr14_vgpr15
	s_branch .LBB63_1824
.LBB63_1816:
	s_mov_b32 s7, -1
                                        ; implicit-def: $vgpr14_vgpr15
	s_branch .LBB63_1821
.LBB63_1817:
	s_mov_b32 s7, -1
                                        ; implicit-def: $vgpr14_vgpr15
.LBB63_1818:
	s_delay_alu instid0(SALU_CYCLE_1)
	s_and_not1_b32 vcc_lo, exec_lo, s7
	s_cbranch_vccnz .LBB63_1820
; %bb.1819:
	s_wait_loadcnt 0x0
	global_load_b32 v3, v[8:9], off
	s_wait_loadcnt 0x0
	v_trunc_f32_e32 v3, v3
	s_delay_alu instid0(VALU_DEP_1) | instskip(NEXT) | instid1(VALU_DEP_1)
	v_mul_f32_e64 v6, 0x2f800000, |v3|
	v_floor_f32_e32 v7, v6
	v_ashrrev_i32_e32 v6, 31, v3
	s_delay_alu instid0(VALU_DEP_2) | instskip(SKIP_1) | instid1(VALU_DEP_3)
	v_fma_f32 v14, 0xcf800000, v7, |v3|
	v_cvt_u32_f32_e32 v3, v7
	v_mov_b32_e32 v7, v6
	s_delay_alu instid0(VALU_DEP_3) | instskip(NEXT) | instid1(VALU_DEP_3)
	v_cvt_u32_f32_e32 v14, v14
	v_xor_b32_e32 v15, v3, v6
	s_delay_alu instid0(VALU_DEP_2) | instskip(NEXT) | instid1(VALU_DEP_1)
	v_xor_b32_e32 v14, v14, v6
	v_sub_nc_u64_e32 v[14:15], v[14:15], v[6:7]
.LBB63_1820:
	s_mov_b32 s7, 0
.LBB63_1821:
	s_delay_alu instid0(SALU_CYCLE_1)
	s_and_not1_b32 vcc_lo, exec_lo, s7
	s_cbranch_vccnz .LBB63_1823
; %bb.1822:
	s_wait_loadcnt 0x0
	global_load_b32 v3, v[8:9], off
	s_wait_loadcnt 0x0
	v_cvt_f32_f16_e32 v3, v3
	s_delay_alu instid0(VALU_DEP_1) | instskip(NEXT) | instid1(VALU_DEP_1)
	v_cvt_i32_f32_e32 v14, v3
	v_ashrrev_i32_e32 v15, 31, v14
.LBB63_1823:
	s_cbranch_execnz .LBB63_1834
.LBB63_1824:
	s_sext_i32_i16 s7, s0
	s_delay_alu instid0(SALU_CYCLE_1)
	s_cmp_lt_i32 s7, 6
	s_cbranch_scc1 .LBB63_1827
; %bb.1825:
	s_cmp_gt_i32 s7, 6
	s_cbranch_scc0 .LBB63_1828
; %bb.1826:
	s_wait_loadcnt 0x0
	global_load_b64 v[6:7], v[8:9], off
	s_mov_b32 s7, 0
	s_wait_loadcnt 0x0
	v_trunc_f64_e32 v[6:7], v[6:7]
	s_delay_alu instid0(VALU_DEP_1) | instskip(NEXT) | instid1(VALU_DEP_1)
	v_ldexp_f64 v[14:15], v[6:7], 0xffffffe0
	v_floor_f64_e32 v[14:15], v[14:15]
	s_delay_alu instid0(VALU_DEP_1) | instskip(SKIP_1) | instid1(VALU_DEP_2)
	v_fmamk_f64 v[6:7], v[14:15], 0xc1f00000, v[6:7]
	v_cvt_i32_f64_e32 v15, v[14:15]
	v_cvt_u32_f64_e32 v14, v[6:7]
	s_branch .LBB63_1829
.LBB63_1827:
	s_mov_b32 s7, -1
                                        ; implicit-def: $vgpr14_vgpr15
	s_branch .LBB63_1832
.LBB63_1828:
	s_mov_b32 s7, -1
                                        ; implicit-def: $vgpr14_vgpr15
.LBB63_1829:
	s_delay_alu instid0(SALU_CYCLE_1)
	s_and_not1_b32 vcc_lo, exec_lo, s7
	s_cbranch_vccnz .LBB63_1831
; %bb.1830:
	s_wait_loadcnt 0x0
	global_load_b32 v3, v[8:9], off
	s_wait_loadcnt 0x0
	v_trunc_f32_e32 v3, v3
	s_delay_alu instid0(VALU_DEP_1) | instskip(NEXT) | instid1(VALU_DEP_1)
	v_mul_f32_e64 v6, 0x2f800000, |v3|
	v_floor_f32_e32 v7, v6
	v_ashrrev_i32_e32 v6, 31, v3
	s_delay_alu instid0(VALU_DEP_2) | instskip(SKIP_1) | instid1(VALU_DEP_3)
	v_fma_f32 v14, 0xcf800000, v7, |v3|
	v_cvt_u32_f32_e32 v3, v7
	v_mov_b32_e32 v7, v6
	s_delay_alu instid0(VALU_DEP_3) | instskip(NEXT) | instid1(VALU_DEP_3)
	v_cvt_u32_f32_e32 v14, v14
	v_xor_b32_e32 v15, v3, v6
	s_delay_alu instid0(VALU_DEP_2) | instskip(NEXT) | instid1(VALU_DEP_1)
	v_xor_b32_e32 v14, v14, v6
	v_sub_nc_u64_e32 v[14:15], v[14:15], v[6:7]
.LBB63_1831:
	s_mov_b32 s7, 0
.LBB63_1832:
	s_delay_alu instid0(SALU_CYCLE_1)
	s_and_not1_b32 vcc_lo, exec_lo, s7
	s_cbranch_vccnz .LBB63_1834
; %bb.1833:
	s_wait_loadcnt 0x0
	global_load_u16 v3, v[8:9], off
	s_wait_loadcnt 0x0
	v_cvt_f32_f16_e32 v3, v3
	s_delay_alu instid0(VALU_DEP_1) | instskip(NEXT) | instid1(VALU_DEP_1)
	v_cvt_i32_f32_e32 v14, v3
	v_ashrrev_i32_e32 v15, 31, v14
.LBB63_1834:
	s_cbranch_execnz .LBB63_1853
.LBB63_1835:
	s_sext_i32_i16 s7, s0
	s_delay_alu instid0(SALU_CYCLE_1)
	s_cmp_lt_i32 s7, 2
	s_cbranch_scc1 .LBB63_1839
; %bb.1836:
	s_cmp_lt_i32 s7, 3
	s_cbranch_scc1 .LBB63_1840
; %bb.1837:
	s_cmp_gt_i32 s7, 3
	s_cbranch_scc0 .LBB63_1841
; %bb.1838:
	s_wait_loadcnt 0x0
	global_load_b64 v[14:15], v[8:9], off
	s_mov_b32 s7, 0
	s_branch .LBB63_1842
.LBB63_1839:
                                        ; implicit-def: $vgpr14_vgpr15
	s_branch .LBB63_1848
.LBB63_1840:
	s_mov_b32 s7, -1
                                        ; implicit-def: $vgpr14_vgpr15
	s_branch .LBB63_1845
.LBB63_1841:
	s_mov_b32 s7, -1
                                        ; implicit-def: $vgpr14_vgpr15
.LBB63_1842:
	s_delay_alu instid0(SALU_CYCLE_1)
	s_and_not1_b32 vcc_lo, exec_lo, s7
	s_cbranch_vccnz .LBB63_1844
; %bb.1843:
	s_wait_loadcnt 0x0
	global_load_b32 v14, v[8:9], off
	s_wait_loadcnt 0x0
	v_ashrrev_i32_e32 v15, 31, v14
.LBB63_1844:
	s_mov_b32 s7, 0
.LBB63_1845:
	s_delay_alu instid0(SALU_CYCLE_1)
	s_and_not1_b32 vcc_lo, exec_lo, s7
	s_cbranch_vccnz .LBB63_1847
; %bb.1846:
	s_wait_loadcnt 0x0
	global_load_u16 v3, v[8:9], off
	s_wait_loadcnt 0x0
	v_bfe_i32 v14, v3, 0, 16
	s_delay_alu instid0(VALU_DEP_1)
	v_ashrrev_i32_e32 v15, 31, v14
.LBB63_1847:
	s_cbranch_execnz .LBB63_1853
.LBB63_1848:
	s_sext_i32_i16 s0, s0
	s_delay_alu instid0(SALU_CYCLE_1)
	s_cmp_gt_i32 s0, 0
	s_mov_b32 s0, 0
	s_cbranch_scc0 .LBB63_1850
; %bb.1849:
	s_wait_loadcnt 0x0
	global_load_i8 v3, v[8:9], off
	s_wait_loadcnt 0x0
	v_bfe_i32 v14, v3, 0, 16
	s_delay_alu instid0(VALU_DEP_1)
	v_ashrrev_i32_e32 v15, 31, v14
	s_branch .LBB63_1851
.LBB63_1850:
	s_mov_b32 s0, -1
                                        ; implicit-def: $vgpr14_vgpr15
.LBB63_1851:
	s_delay_alu instid0(SALU_CYCLE_1)
	s_and_not1_b32 vcc_lo, exec_lo, s0
	s_cbranch_vccnz .LBB63_1853
; %bb.1852:
	s_wait_loadcnt 0x0
	global_load_u8 v3, v[8:9], off
	s_mov_b32 s0, 0
	s_delay_alu instid0(SALU_CYCLE_1)
	v_mov_b32_e32 v15, s0
	s_wait_loadcnt 0x0
	v_and_b32_e32 v14, 0xffff, v3
.LBB63_1853:
	s_or_b32 s9, s9, exec_lo
.LBB63_1854:
	s_wait_xcnt 0x0
	s_or_b32 exec_lo, exec_lo, s6
	s_mov_b32 s0, 0
	s_and_saveexec_b32 s6, s9
	s_delay_alu instid0(SALU_CYCLE_1)
	s_xor_b32 s6, exec_lo, s6
	s_cbranch_execz .LBB63_1856
; %bb.1855:
	s_load_b512 s[36:51], s[2:3], 0x248
	s_xor_b32 s7, s81, -1
	s_and_not1_b32 s8, s87, exec_lo
	s_mov_b32 s0, exec_lo
	s_wait_loadcnt 0x0
	s_wait_kmcnt 0x0
	v_cmp_ne_u64_e32 vcc_lo, s[48:49], v[4:5]
	s_or_b32 s7, s7, vcc_lo
	s_delay_alu instid0(SALU_CYCLE_1) | instskip(NEXT) | instid1(SALU_CYCLE_1)
	s_and_b32 s7, s7, exec_lo
	s_or_b32 s87, s8, s7
.LBB63_1856:
	s_or_b32 exec_lo, exec_lo, s6
	s_and_saveexec_b32 s6, s87
	s_cbranch_execnz .LBB63_1893
.LBB63_1857:
	s_or_b32 exec_lo, exec_lo, s6
	s_mov_b32 s7, 0
	s_and_saveexec_b32 s6, s0
	s_delay_alu instid0(SALU_CYCLE_1)
	s_xor_b32 s0, exec_lo, s6
	s_cbranch_execz .LBB63_1859
; %bb.1858:
	s_wait_loadcnt 0x0
	v_cmp_ne_u64_e32 vcc_lo, s[20:21], v[0:1]
	s_xor_b32 s6, s52, -1
	s_and_not1_b32 s8, s86, exec_lo
	s_mov_b32 s7, exec_lo
	s_or_b32 s6, s6, vcc_lo
	s_delay_alu instid0(SALU_CYCLE_1) | instskip(NEXT) | instid1(SALU_CYCLE_1)
	s_and_b32 s6, s6, exec_lo
	s_or_b32 s86, s8, s6
.LBB63_1859:
	s_or_b32 exec_lo, exec_lo, s0
	s_and_saveexec_b32 s0, s86
	s_cbranch_execnz .LBB63_1894
.LBB63_1860:
	s_or_b32 exec_lo, exec_lo, s0
	s_mov_b32 s6, 0
	s_and_saveexec_b32 s0, s7
	s_delay_alu instid0(SALU_CYCLE_1)
	s_xor_b32 s7, exec_lo, s0
	s_cbranch_execz .LBB63_1872
; %bb.1861:
	s_load_b512 s[36:51], s[2:3], 0x248
	s_wait_loadcnt 0x0
	v_sub_nc_u64_e32 v[0:1], v[12:13], v[10:11]
	s_and_not1_b32 s8, s85, exec_lo
	s_mov_b32 s6, exec_lo
	s_wait_kmcnt 0x0
	s_mov_b64 s[16:17], s[48:49]
	s_mov_b64 s[18:19], s[50:51]
	s_delay_alu instid0(VALU_DEP_1) | instskip(SKIP_2) | instid1(SALU_CYCLE_1)
	v_cmp_le_i64_e32 vcc_lo, s[16:17], v[0:1]
	v_cmp_ge_i64_e64 s0, s[18:19], v[0:1]
	s_and_b32 s0, vcc_lo, s0
	s_and_b32 s0, s77, s0
	s_delay_alu instid0(SALU_CYCLE_1) | instskip(NEXT) | instid1(SALU_CYCLE_1)
	s_xor_b32 s0, s0, -1
	s_and_b32 s0, s0, exec_lo
	s_delay_alu instid0(SALU_CYCLE_1)
	s_or_b32 s85, s8, s0
	s_or_b32 exec_lo, exec_lo, s7
	s_and_saveexec_b32 s0, s85
	s_cbranch_execz .LBB63_1873
.LBB63_1862:
	s_or_b32 s1, s1, exec_lo
	s_and_not1_b32 s6, s6, exec_lo
	s_trap 2
	s_or_b32 exec_lo, exec_lo, s0
	s_mov_b32 s8, 0
	s_and_saveexec_b32 s18, s6
	s_cbranch_execnz .LBB63_1874
.LBB63_1863:
	s_or_b32 exec_lo, exec_lo, s18
	s_and_saveexec_b32 s0, s71
	s_cbranch_execnz .LBB63_1892
.LBB63_1864:
	s_or_b32 exec_lo, exec_lo, s0
	s_mov_b32 s9, 0
	s_mov_b32 s7, 0
                                        ; implicit-def: $sgpr0
                                        ; implicit-def: $vgpr0_vgpr1
	s_and_saveexec_b32 s6, s8
	s_cbranch_execz .LBB63_1881
; %bb.1865:
	s_load_b512 s[8:23], s[2:3], 0x248
	v_mov_b32_e32 v3, 0
	s_and_b32 s0, s30, 0xff
	s_delay_alu instid0(SALU_CYCLE_1)
	s_cmp_lt_i32 s0, 11
	s_wait_loadcnt 0x0
	s_wait_kmcnt 0x0
	v_add_nc_u64_e32 v[0:1], s[8:9], v[2:3]
	s_cbranch_scc1 .LBB63_1889
; %bb.1866:
	s_and_b32 s5, 0xffff, s0
	s_mov_b32 s7, -1
	s_cmp_gt_i32 s5, 25
	s_mov_b32 s4, s70
	s_cbranch_scc0 .LBB63_1914
; %bb.1867:
	s_cmp_gt_i32 s5, 28
	s_mov_b32 s4, s70
	s_cbranch_scc0 .LBB63_1904
; %bb.1868:
	;; [unrolled: 4-line block ×4, first 2 shown]
	s_cmp_eq_u32 s5, 46
	s_mov_b32 s4, -1
	s_cbranch_scc0 .LBB63_1895
; %bb.1871:
	v_mov_b32_e32 v2, 0
	s_mov_b32 s4, 0
	s_mov_b32 s7, 0
	global_store_b32 v[0:1], v2, off
	s_branch .LBB63_1896
.LBB63_1872:
	s_or_b32 exec_lo, exec_lo, s7
	s_and_saveexec_b32 s0, s85
	s_cbranch_execnz .LBB63_1862
.LBB63_1873:
	s_or_b32 exec_lo, exec_lo, s0
	s_mov_b32 s8, 0
	s_and_saveexec_b32 s18, s6
	s_cbranch_execz .LBB63_1863
.LBB63_1874:
	v_cmp_lt_i64_e64 s0, s[20:21], 1
	s_wait_loadcnt 0x0
	v_mov_b64_e32 v[0:1], 0
	s_xor_b32 s6, s76, -1
	s_delay_alu instid0(SALU_CYCLE_1) | instskip(NEXT) | instid1(SALU_CYCLE_1)
	s_or_b32 s0, s0, s6
	s_and_b32 vcc_lo, exec_lo, s0
	s_cbranch_vccnz .LBB63_1884
; %bb.1875:
	v_mul_u64_e32 v[6:7], s[20:21], v[14:15]
	v_mov_b64_e32 v[0:1], 0
	s_mov_b32 s35, 0
	v_mov_b32_e32 v4, 0
	s_lshl_b64 s[10:11], s[34:35], 3
	s_mov_b64 s[6:7], 0xffffffff
	s_add_nc_u64 s[8:9], s[24:25], s[10:11]
	s_add_nc_u64 s[10:11], s[26:27], s[10:11]
	s_branch .LBB63_1877
.LBB63_1876:                            ;   in Loop: Header=BB63_1877 Depth=1
	s_or_b32 exec_lo, exec_lo, s0
	global_load_b64 v[14:15], v4, s[10:11]
	v_mul_u64_e32 v[16:17], s[12:13], v[8:9]
	s_add_co_i32 s22, s22, -1
	s_add_nc_u64 s[8:9], s[8:9], -8
	s_cmp_lg_u32 s22, 0
	s_wait_xcnt 0x0
	s_add_nc_u64 s[10:11], s[10:11], -8
	s_delay_alu instid0(VALU_DEP_1) | instskip(SKIP_1) | instid1(VALU_DEP_1)
	v_sub_nc_u64_e32 v[6:7], v[6:7], v[16:17]
	s_wait_loadcnt 0x0
	v_mad_nc_u64_u32 v[0:1], v6, v14, v[0:1]
	s_delay_alu instid0(VALU_DEP_1) | instskip(NEXT) | instid1(VALU_DEP_1)
	v_mad_u32 v1, v7, v14, v1
	v_mad_u32 v1, v6, v15, v1
	v_mov_b64_e32 v[6:7], v[8:9]
	s_cbranch_scc0 .LBB63_1884
.LBB63_1877:                            ; =>This Inner Loop Header: Depth=1
	global_load_b64 v[8:9], v4, s[8:9]
	s_mov_b32 s0, exec_lo
	s_wait_loadcnt 0x0
	v_or_b32_e32 v5, v7, v9
	v_readfirstlane_b32 s12, v8
	v_readfirstlane_b32 s13, v9
                                        ; implicit-def: $vgpr8_vgpr9
	s_wait_xcnt 0x0
	s_delay_alu instid0(VALU_DEP_3)
	v_cmpx_ne_u64_e32 0, v[4:5]
	s_xor_b32 s19, exec_lo, s0
	s_cbranch_execz .LBB63_1879
; %bb.1878:                             ;   in Loop: Header=BB63_1877 Depth=1
	s_ashr_i32 s14, s13, 31
	v_dual_mov_b32 v17, v4 :: v_dual_ashrrev_i32 v8, 31, v7
	s_mov_b32 s15, s14
	v_mov_b32_e32 v25, v4
	s_add_nc_u64 s[16:17], s[12:13], s[14:15]
	s_delay_alu instid0(VALU_DEP_2) | instskip(SKIP_1) | instid1(SALU_CYCLE_1)
	v_mov_b32_e32 v9, v8
	s_xor_b64 s[16:17], s[16:17], s[14:15]
	s_cvt_f32_u32 s0, s16
	s_cvt_f32_u32 s15, s17
	s_sub_nc_u64 s[24:25], 0, s[16:17]
	v_add_nc_u64_e32 v[14:15], v[6:7], v[8:9]
	v_mov_b32_e32 v21, v4
	s_fmamk_f32 s0, s15, 0x4f800000, s0
	s_delay_alu instid0(SALU_CYCLE_3) | instskip(NEXT) | instid1(VALU_DEP_2)
	v_s_rcp_f32 s0, s0
	v_xor_b32_e32 v16, v14, v8
	s_delay_alu instid0(VALU_DEP_3) | instskip(SKIP_1) | instid1(TRANS32_DEP_1)
	v_xor_b32_e32 v20, v15, v8
	v_xor_b32_e32 v8, s14, v8
	s_mul_f32 s0, s0, 0x5f7ffffc
	s_delay_alu instid0(SALU_CYCLE_3) | instskip(NEXT) | instid1(SALU_CYCLE_3)
	s_mul_f32 s15, s0, 0x2f800000
	s_trunc_f32 s15, s15
	s_delay_alu instid0(SALU_CYCLE_3) | instskip(SKIP_1) | instid1(SALU_CYCLE_2)
	s_fmamk_f32 s0, s15, 0xcf800000, s0
	s_cvt_u32_f32 s21, s15
	s_cvt_u32_f32 s20, s0
	s_delay_alu instid0(SALU_CYCLE_3) | instskip(NEXT) | instid1(SALU_CYCLE_1)
	s_mul_u64 s[26:27], s[24:25], s[20:21]
	s_mul_hi_u32 s37, s20, s27
	s_mul_i32 s36, s20, s27
	s_mul_hi_u32 s34, s20, s26
	s_mul_i32 s15, s21, s26
	s_add_nc_u64 s[36:37], s[34:35], s[36:37]
	s_mul_hi_u32 s0, s21, s26
	s_mul_hi_u32 s23, s21, s27
	s_add_co_u32 s15, s36, s15
	s_add_co_ci_u32 s34, s37, s0
	s_mul_i32 s26, s21, s27
	s_add_co_ci_u32 s27, s23, 0
	s_delay_alu instid0(SALU_CYCLE_1) | instskip(NEXT) | instid1(SALU_CYCLE_1)
	s_add_nc_u64 s[26:27], s[34:35], s[26:27]
	s_add_co_u32 s20, s20, s26
	s_cselect_b32 s0, -1, 0
	s_delay_alu instid0(SALU_CYCLE_1) | instskip(SKIP_1) | instid1(SALU_CYCLE_1)
	s_cmp_lg_u32 s0, 0
	s_add_co_ci_u32 s21, s21, s27
	s_mul_u64 s[24:25], s[24:25], s[20:21]
	s_delay_alu instid0(SALU_CYCLE_1)
	s_mul_hi_u32 s27, s20, s25
	s_mul_i32 s26, s20, s25
	s_mul_hi_u32 s34, s20, s24
	s_mul_i32 s15, s21, s24
	s_add_nc_u64 s[26:27], s[34:35], s[26:27]
	s_mul_hi_u32 s0, s21, s24
	s_mul_hi_u32 s23, s21, s25
	s_add_co_u32 s15, s26, s15
	s_add_co_ci_u32 s34, s27, s0
	s_mul_i32 s24, s21, s25
	s_add_co_ci_u32 s25, s23, 0
	s_delay_alu instid0(SALU_CYCLE_1) | instskip(NEXT) | instid1(SALU_CYCLE_1)
	s_add_nc_u64 s[24:25], s[34:35], s[24:25]
	s_add_co_u32 s0, s20, s24
	s_cselect_b32 s15, -1, 0
	v_mul_hi_u32 v24, v16, s0
	s_cmp_lg_u32 s15, 0
	s_add_co_ci_u32 s34, s21, s25
	s_and_b64 s[20:21], s[0:1], s[6:7]
	v_mul_u64_e32 v[18:19], s[34:35], v[16:17]
	v_mul_u64_e32 v[14:15], s[20:21], v[20:21]
	v_mul_u64_e32 v[22:23], s[34:35], v[20:21]
	s_delay_alu instid0(VALU_DEP_3) | instskip(NEXT) | instid1(VALU_DEP_1)
	v_add_nc_u64_e32 v[18:19], v[24:25], v[18:19]
	v_add_co_u32 v3, vcc_lo, v18, v14
	s_delay_alu instid0(VALU_DEP_2) | instskip(NEXT) | instid1(VALU_DEP_4)
	v_add_co_ci_u32_e32 v24, vcc_lo, v19, v15, vcc_lo
	v_add_co_ci_u32_e32 v23, vcc_lo, 0, v23, vcc_lo
	s_delay_alu instid0(VALU_DEP_1) | instskip(NEXT) | instid1(VALU_DEP_1)
	v_add_nc_u64_e32 v[14:15], v[24:25], v[22:23]
	v_mul_u64_e32 v[18:19], s[16:17], v[14:15]
	s_delay_alu instid0(VALU_DEP_1) | instskip(NEXT) | instid1(VALU_DEP_2)
	v_sub_nc_u32_e32 v3, v20, v19
	v_sub_co_u32 v5, vcc_lo, v16, v18
	s_delay_alu instid0(VALU_DEP_1) | instskip(NEXT) | instid1(VALU_DEP_3)
	v_sub_co_ci_u32_e64 v20, null, v20, v19, vcc_lo
	v_subrev_co_ci_u32_e64 v3, null, s17, v3, vcc_lo
	s_delay_alu instid0(VALU_DEP_3) | instskip(SKIP_1) | instid1(VALU_DEP_3)
	v_sub_co_u32 v9, s0, v5, s16
	v_add_nc_u64_e32 v[18:19], 1, v[14:15]
	v_subrev_co_ci_u32_e64 v3, null, 0, v3, s0
	s_delay_alu instid0(VALU_DEP_3) | instskip(SKIP_1) | instid1(VALU_DEP_3)
	v_cmp_le_u32_e32 vcc_lo, s16, v9
	v_cndmask_b32_e64 v9, 0, -1, vcc_lo
	v_cmp_le_u32_e32 vcc_lo, s17, v3
	v_cndmask_b32_e64 v16, 0, -1, vcc_lo
	;; [unrolled: 2-line block ×4, first 2 shown]
	v_cmp_eq_u32_e32 vcc_lo, s17, v3
	v_cndmask_b32_e32 v3, v16, v9, vcc_lo
	v_cmp_eq_u32_e32 vcc_lo, s17, v20
	v_add_nc_u64_e32 v[16:17], 2, v[14:15]
	v_dual_mov_b32 v9, v8 :: v_dual_cndmask_b32 v5, v21, v5, vcc_lo
	s_delay_alu instid0(VALU_DEP_4) | instskip(NEXT) | instid1(VALU_DEP_2)
	v_cmp_ne_u32_e32 vcc_lo, 0, v3
	v_cmp_ne_u32_e64 s0, 0, v5
	s_delay_alu instid0(VALU_DEP_4) | instskip(NEXT) | instid1(VALU_DEP_1)
	v_dual_cndmask_b32 v3, v19, v17, vcc_lo :: v_dual_cndmask_b32 v5, v18, v16, vcc_lo
	v_dual_cndmask_b32 v3, v15, v3, s0 :: v_dual_cndmask_b32 v5, v14, v5, s0
	s_delay_alu instid0(VALU_DEP_1) | instskip(NEXT) | instid1(VALU_DEP_2)
	v_xor_b32_e32 v15, v3, v8
	v_xor_b32_e32 v14, v5, v8
	s_delay_alu instid0(VALU_DEP_1)
	v_sub_nc_u64_e32 v[8:9], v[14:15], v[8:9]
.LBB63_1879:                            ;   in Loop: Header=BB63_1877 Depth=1
	s_and_not1_saveexec_b32 s0, s19
	s_cbranch_execz .LBB63_1876
; %bb.1880:                             ;   in Loop: Header=BB63_1877 Depth=1
	v_cvt_f32_u32_e32 v3, s12
	s_sub_co_i32 s14, 0, s12
	s_delay_alu instid0(VALU_DEP_1) | instskip(SKIP_1) | instid1(TRANS32_DEP_1)
	v_rcp_iflag_f32_e32 v3, v3
	v_nop
	v_mul_f32_e32 v3, 0x4f7ffffe, v3
	s_delay_alu instid0(VALU_DEP_1) | instskip(NEXT) | instid1(VALU_DEP_1)
	v_cvt_u32_f32_e32 v3, v3
	v_mul_lo_u32 v5, s14, v3
	s_delay_alu instid0(VALU_DEP_1) | instskip(NEXT) | instid1(VALU_DEP_1)
	v_mul_hi_u32 v5, v3, v5
	v_add_nc_u32_e32 v3, v3, v5
	s_delay_alu instid0(VALU_DEP_1) | instskip(NEXT) | instid1(VALU_DEP_1)
	v_mul_hi_u32 v3, v6, v3
	v_mul_lo_u32 v5, v3, s12
	s_delay_alu instid0(VALU_DEP_1) | instskip(NEXT) | instid1(VALU_DEP_1)
	v_sub_nc_u32_e32 v5, v6, v5
	v_subrev_nc_u32_e32 v9, s12, v5
	v_cmp_le_u32_e32 vcc_lo, s12, v5
	s_delay_alu instid0(VALU_DEP_2) | instskip(NEXT) | instid1(VALU_DEP_1)
	v_dual_cndmask_b32 v5, v5, v9 :: v_dual_add_nc_u32 v8, 1, v3
	v_dual_cndmask_b32 v3, v3, v8, vcc_lo :: v_dual_mov_b32 v9, v4
	s_delay_alu instid0(VALU_DEP_2) | instskip(NEXT) | instid1(VALU_DEP_2)
	v_cmp_le_u32_e32 vcc_lo, s12, v5
	v_add_nc_u32_e32 v8, 1, v3
	s_delay_alu instid0(VALU_DEP_1)
	v_cndmask_b32_e32 v8, v3, v8, vcc_lo
	s_branch .LBB63_1876
.LBB63_1881:
	s_or_b32 exec_lo, exec_lo, s6
	s_and_saveexec_b32 s4, s70
	s_cbranch_execnz .LBB63_1934
.LBB63_1882:
	s_or_b32 exec_lo, exec_lo, s4
	s_and_saveexec_b32 s4, s9
	s_delay_alu instid0(SALU_CYCLE_1)
	s_xor_b32 s4, exec_lo, s4
	s_cbranch_execz .LBB63_1935
.LBB63_1883:
	v_mov_b32_e32 v2, 0
	s_wait_loadcnt 0x0
	global_store_b8 v[0:1], v2, off
	s_wait_xcnt 0x0
	s_or_b32 exec_lo, exec_lo, s4
	s_and_saveexec_b32 s4, s7
	s_delay_alu instid0(SALU_CYCLE_1)
	s_xor_b32 s4, exec_lo, s4
	s_cbranch_execz .LBB63_1973
	s_branch .LBB63_1936
.LBB63_1884:
	s_mov_b32 s6, s71
	s_mov_b32 s0, exec_lo
	v_cmpx_gt_i64_e64 v[12:13], v[10:11]
	s_cbranch_execz .LBB63_1891
; %bb.1885:
	s_delay_alu instid0(VALU_DEP_2) | instskip(SKIP_2) | instid1(VALU_DEP_1)
	v_lshlrev_b64_e32 v[0:1], 3, v[0:1]
	s_mov_b32 s6, 0
	s_xor_b32 s8, s69, -1
                                        ; implicit-def: $sgpr7
                                        ; implicit-def: $sgpr10
                                        ; implicit-def: $sgpr9
	v_lshl_add_u64 v[4:5], v[10:11], 3, v[0:1]
	v_add_nc_u64_e32 v[6:7], s[28:29], v[0:1]
	s_delay_alu instid0(VALU_DEP_2) | instskip(NEXT) | instid1(VALU_DEP_1)
	v_add_nc_u64_e32 v[4:5], s[28:29], v[4:5]
	v_add_nc_u64_e32 v[0:1], 8, v[4:5]
	s_delay_alu instid0(VALU_DEP_3)
	v_lshl_add_u64 v[4:5], v[12:13], 3, v[6:7]
	s_branch .LBB63_1887
.LBB63_1886:                            ;   in Loop: Header=BB63_1887 Depth=1
	s_or_b32 exec_lo, exec_lo, s11
	s_xor_b32 s11, s9, -1
	s_and_b32 s12, exec_lo, s10
	s_delay_alu instid0(SALU_CYCLE_1) | instskip(SKIP_2) | instid1(SALU_CYCLE_1)
	s_or_b32 s6, s12, s6
	s_and_not1_b32 s7, s7, exec_lo
	s_and_b32 s11, s11, exec_lo
	s_or_b32 s7, s7, s11
	s_and_not1_b32 exec_lo, exec_lo, s6
	s_cbranch_execz .LBB63_1890
.LBB63_1887:                            ; =>This Inner Loop Header: Depth=1
	s_or_b32 s9, s9, exec_lo
	s_or_b32 s10, s10, exec_lo
	s_mov_b32 s11, exec_lo
	s_delay_alu instid0(VALU_DEP_2)
	v_cmpx_lt_u64_e64 v[0:1], v[4:5]
	s_cbranch_execz .LBB63_1886
; %bb.1888:                             ;   in Loop: Header=BB63_1887 Depth=1
	global_load_b128 v[6:9], v[0:1], off offset:-8
	s_wait_xcnt 0x0
	v_add_nc_u64_e32 v[0:1], 8, v[0:1]
	s_and_not1_b32 s10, s10, exec_lo
	s_and_not1_b32 s9, s9, exec_lo
	s_wait_loadcnt 0x0
	v_cmp_ge_i64_e32 vcc_lo, v[6:7], v[8:9]
	s_or_b32 s12, s8, vcc_lo
	s_delay_alu instid0(SALU_CYCLE_1) | instskip(NEXT) | instid1(SALU_CYCLE_1)
	s_and_b32 s12, s12, exec_lo
	s_or_b32 s10, s10, s12
	s_branch .LBB63_1886
.LBB63_1889:
	s_mov_b32 s8, 0
	s_mov_b32 s7, -1
	s_mov_b32 s4, s70
	s_branch .LBB63_1933
.LBB63_1890:
	s_or_b32 exec_lo, exec_lo, s6
	s_delay_alu instid0(SALU_CYCLE_1) | instskip(SKIP_1) | instid1(SALU_CYCLE_1)
	s_and_not1_b32 s6, s71, exec_lo
	s_and_b32 s7, s7, exec_lo
	s_or_b32 s6, s6, s7
.LBB63_1891:
	s_or_b32 exec_lo, exec_lo, s0
	s_delay_alu instid0(SALU_CYCLE_1)
	s_and_not1_b32 s0, s71, exec_lo
	s_and_b32 s6, s6, exec_lo
	s_mov_b32 s8, exec_lo
	s_or_b32 s71, s0, s6
	s_or_b32 exec_lo, exec_lo, s18
	s_and_saveexec_b32 s0, s71
	s_cbranch_execz .LBB63_1864
.LBB63_1892:
	s_or_b32 s1, s1, exec_lo
	s_and_not1_b32 s8, s8, exec_lo
	s_trap 2
	s_branch .LBB63_1864
.LBB63_1893:
	s_or_b32 s1, s1, exec_lo
	s_and_not1_b32 s0, s0, exec_lo
	s_trap 2
	s_branch .LBB63_1857
.LBB63_1894:
	s_or_b32 s1, s1, exec_lo
	s_and_not1_b32 s7, s7, exec_lo
	s_trap 2
	s_branch .LBB63_1860
.LBB63_1895:
	s_mov_b32 s7, 0
.LBB63_1896:
	s_delay_alu instid0(SALU_CYCLE_1)
	s_and_b32 vcc_lo, exec_lo, s7
	s_cbranch_vccz .LBB63_1899
; %bb.1897:
	s_cmp_eq_u32 s5, 44
	s_mov_b32 s4, -1
	s_cbranch_scc0 .LBB63_1899
; %bb.1898:
	s_wait_xcnt 0x0
	v_mov_b32_e32 v2, 0
	s_mov_b32 s4, 0
	s_mov_b32 s7, 0
	global_store_b8 v[0:1], v2, off
	s_branch .LBB63_1900
.LBB63_1899:
	s_mov_b32 s7, 0
.LBB63_1900:
	s_delay_alu instid0(SALU_CYCLE_1)
	s_and_b32 vcc_lo, exec_lo, s7
	s_cbranch_vccz .LBB63_1903
; %bb.1901:
	s_cmp_eq_u32 s5, 29
	s_mov_b32 s4, -1
	s_cbranch_scc0 .LBB63_1903
; %bb.1902:
	s_wait_xcnt 0x0
	v_mov_b64_e32 v[2:3], 0
	s_mov_b32 s4, 0
	s_mov_b32 s7, 0
	global_store_b64 v[0:1], v[2:3], off
	s_branch .LBB63_1904
.LBB63_1903:
	s_mov_b32 s7, 0
.LBB63_1904:
	s_delay_alu instid0(SALU_CYCLE_1)
	s_and_b32 vcc_lo, exec_lo, s7
	s_cbranch_vccz .LBB63_1913
; %bb.1905:
	s_cmp_lt_i32 s5, 27
	s_mov_b32 s7, -1
	s_cbranch_scc1 .LBB63_1911
; %bb.1906:
	s_cmp_gt_i32 s5, 27
	s_cbranch_scc0 .LBB63_1908
; %bb.1907:
	s_wait_xcnt 0x0
	v_mov_b32_e32 v2, 0
	s_mov_b32 s7, 0
	global_store_b32 v[0:1], v2, off
.LBB63_1908:
	s_and_not1_b32 vcc_lo, exec_lo, s7
	s_cbranch_vccnz .LBB63_1910
; %bb.1909:
	s_wait_xcnt 0x0
	v_mov_b32_e32 v2, 0
	global_store_b16 v[0:1], v2, off
.LBB63_1910:
	s_mov_b32 s7, 0
.LBB63_1911:
	s_delay_alu instid0(SALU_CYCLE_1)
	s_and_not1_b32 vcc_lo, exec_lo, s7
	s_cbranch_vccnz .LBB63_1913
; %bb.1912:
	s_wait_xcnt 0x0
	v_mov_b32_e32 v2, 0
	global_store_b8 v[0:1], v2, off
.LBB63_1913:
	s_mov_b32 s7, 0
.LBB63_1914:
	s_delay_alu instid0(SALU_CYCLE_1)
	s_and_b32 vcc_lo, exec_lo, s7
	s_mov_b32 s7, 0
	s_cbranch_vccz .LBB63_1932
; %bb.1915:
	s_cmp_gt_i32 s5, 22
	s_mov_b32 s8, -1
	s_cbranch_scc0 .LBB63_1925
; %bb.1916:
	s_cmp_lt_i32 s5, 24
	s_cbranch_scc1 .LBB63_1922
; %bb.1917:
	s_cmp_gt_i32 s5, 24
	s_cbranch_scc0 .LBB63_1919
; %bb.1918:
	s_wait_xcnt 0x0
	v_mov_b32_e32 v2, 0
	s_mov_b32 s8, 0
	global_store_b8 v[0:1], v2, off
.LBB63_1919:
	s_and_not1_b32 vcc_lo, exec_lo, s8
	s_cbranch_vccnz .LBB63_1921
; %bb.1920:
	s_wait_xcnt 0x0
	v_mov_b32_e32 v2, 0
	global_store_b8 v[0:1], v2, off
.LBB63_1921:
	s_mov_b32 s8, 0
.LBB63_1922:
	s_delay_alu instid0(SALU_CYCLE_1)
	s_and_not1_b32 vcc_lo, exec_lo, s8
	s_cbranch_vccnz .LBB63_1924
; %bb.1923:
	s_wait_xcnt 0x0
	v_mov_b32_e32 v2, 0
	global_store_b8 v[0:1], v2, off
.LBB63_1924:
	s_mov_b32 s8, 0
.LBB63_1925:
	s_delay_alu instid0(SALU_CYCLE_1)
	s_and_not1_b32 vcc_lo, exec_lo, s8
	s_mov_b32 s8, 0
	s_cbranch_vccnz .LBB63_1933
; %bb.1926:
	s_cmp_gt_i32 s5, 14
	s_mov_b32 s8, -1
	s_cbranch_scc0 .LBB63_1930
; %bb.1927:
	s_cmp_eq_u32 s5, 15
	s_mov_b32 s4, -1
	s_cbranch_scc0 .LBB63_1929
; %bb.1928:
	s_wait_xcnt 0x0
	v_mov_b32_e32 v2, 0
	s_mov_b32 s4, 0
	global_store_b16 v[0:1], v2, off
.LBB63_1929:
	s_mov_b32 s8, 0
.LBB63_1930:
	s_delay_alu instid0(SALU_CYCLE_1)
	s_and_b32 vcc_lo, exec_lo, s8
	s_mov_b32 s8, 0
	s_cbranch_vccz .LBB63_1933
; %bb.1931:
	s_cmp_lg_u32 s5, 11
	s_mov_b32 s8, -1
	s_cselect_b32 s5, -1, 0
	s_and_not1_b32 s4, s4, exec_lo
	s_and_b32 s5, s5, exec_lo
	s_delay_alu instid0(SALU_CYCLE_1)
	s_or_b32 s4, s4, s5
	s_branch .LBB63_1933
.LBB63_1932:
	s_mov_b32 s8, 0
.LBB63_1933:
	s_and_not1_b32 s5, s70, exec_lo
	s_and_b32 s4, s4, exec_lo
	s_and_b32 s7, s7, exec_lo
	;; [unrolled: 1-line block ×3, first 2 shown]
	s_or_b32 s70, s5, s4
	s_wait_xcnt 0x0
	s_or_b32 exec_lo, exec_lo, s6
	s_and_saveexec_b32 s4, s70
	s_cbranch_execz .LBB63_1882
.LBB63_1934:
	s_or_b32 s1, s1, exec_lo
	s_and_not1_b32 s9, s9, exec_lo
	s_trap 2
	s_or_b32 exec_lo, exec_lo, s4
	s_and_saveexec_b32 s4, s9
	s_delay_alu instid0(SALU_CYCLE_1)
	s_xor_b32 s4, exec_lo, s4
	s_cbranch_execnz .LBB63_1883
.LBB63_1935:
	s_or_b32 exec_lo, exec_lo, s4
	s_and_saveexec_b32 s4, s7
	s_delay_alu instid0(SALU_CYCLE_1)
	s_xor_b32 s4, exec_lo, s4
	s_cbranch_execz .LBB63_1973
.LBB63_1936:
	s_sext_i32_i16 s6, s0
	s_mov_b32 s5, -1
	s_cmp_lt_i32 s6, 5
	s_cbranch_scc1 .LBB63_1957
; %bb.1937:
	s_cmp_lt_i32 s6, 8
	s_cbranch_scc1 .LBB63_1947
; %bb.1938:
	;; [unrolled: 3-line block ×3, first 2 shown]
	s_cmp_gt_i32 s6, 9
	s_cbranch_scc0 .LBB63_1941
; %bb.1940:
	v_mov_b32_e32 v2, 0
	s_mov_b32 s5, 0
	s_wait_loadcnt 0x0
	s_delay_alu instid0(VALU_DEP_1)
	v_dual_mov_b32 v3, v2 :: v_dual_mov_b32 v4, v2
	v_mov_b32_e32 v5, v2
	global_store_b128 v[0:1], v[2:5], off
.LBB63_1941:
	s_and_not1_b32 vcc_lo, exec_lo, s5
	s_cbranch_vccnz .LBB63_1943
; %bb.1942:
	s_wait_xcnt 0x0
	v_mov_b64_e32 v[2:3], 0
	s_wait_loadcnt 0x0
	global_store_b64 v[0:1], v[2:3], off
.LBB63_1943:
	s_mov_b32 s5, 0
.LBB63_1944:
	s_delay_alu instid0(SALU_CYCLE_1)
	s_and_not1_b32 vcc_lo, exec_lo, s5
	s_cbranch_vccnz .LBB63_1946
; %bb.1945:
	s_wait_xcnt 0x0
	v_mov_b32_e32 v2, 0
	s_wait_loadcnt 0x0
	global_store_b32 v[0:1], v2, off
.LBB63_1946:
	s_mov_b32 s5, 0
.LBB63_1947:
	s_delay_alu instid0(SALU_CYCLE_1)
	s_and_not1_b32 vcc_lo, exec_lo, s5
	s_cbranch_vccnz .LBB63_1956
; %bb.1948:
	s_sext_i32_i16 s6, s0
	s_mov_b32 s5, -1
	s_cmp_lt_i32 s6, 6
	s_cbranch_scc1 .LBB63_1954
; %bb.1949:
	s_cmp_gt_i32 s6, 6
	s_cbranch_scc0 .LBB63_1951
; %bb.1950:
	s_wait_xcnt 0x0
	v_mov_b64_e32 v[2:3], 0
	s_mov_b32 s5, 0
	s_wait_loadcnt 0x0
	global_store_b64 v[0:1], v[2:3], off
.LBB63_1951:
	s_and_not1_b32 vcc_lo, exec_lo, s5
	s_cbranch_vccnz .LBB63_1953
; %bb.1952:
	s_wait_xcnt 0x0
	v_mov_b32_e32 v2, 0
	s_wait_loadcnt 0x0
	global_store_b32 v[0:1], v2, off
.LBB63_1953:
	s_mov_b32 s5, 0
.LBB63_1954:
	s_delay_alu instid0(SALU_CYCLE_1)
	s_and_not1_b32 vcc_lo, exec_lo, s5
	s_cbranch_vccnz .LBB63_1956
; %bb.1955:
	s_wait_xcnt 0x0
	v_mov_b32_e32 v2, 0
	s_wait_loadcnt 0x0
	global_store_b16 v[0:1], v2, off
.LBB63_1956:
	s_mov_b32 s5, 0
.LBB63_1957:
	s_delay_alu instid0(SALU_CYCLE_1)
	s_and_not1_b32 vcc_lo, exec_lo, s5
	s_cbranch_vccnz .LBB63_1973
; %bb.1958:
	s_sext_i32_i16 s6, s0
	s_mov_b32 s5, -1
	s_cmp_lt_i32 s6, 2
	s_cbranch_scc1 .LBB63_1968
; %bb.1959:
	s_cmp_lt_i32 s6, 3
	s_cbranch_scc1 .LBB63_1965
; %bb.1960:
	s_cmp_gt_i32 s6, 3
	s_cbranch_scc0 .LBB63_1962
; %bb.1961:
	s_wait_xcnt 0x0
	v_mov_b64_e32 v[2:3], 0
	s_mov_b32 s5, 0
	s_wait_loadcnt 0x0
	global_store_b64 v[0:1], v[2:3], off
.LBB63_1962:
	s_and_not1_b32 vcc_lo, exec_lo, s5
	s_cbranch_vccnz .LBB63_1964
; %bb.1963:
	s_wait_xcnt 0x0
	v_mov_b32_e32 v2, 0
	s_wait_loadcnt 0x0
	global_store_b32 v[0:1], v2, off
.LBB63_1964:
	s_mov_b32 s5, 0
.LBB63_1965:
	s_delay_alu instid0(SALU_CYCLE_1)
	s_and_not1_b32 vcc_lo, exec_lo, s5
	s_cbranch_vccnz .LBB63_1967
; %bb.1966:
	s_wait_xcnt 0x0
	v_mov_b32_e32 v2, 0
	s_wait_loadcnt 0x0
	global_store_b16 v[0:1], v2, off
.LBB63_1967:
	s_mov_b32 s5, 0
.LBB63_1968:
	s_delay_alu instid0(SALU_CYCLE_1)
	s_and_not1_b32 vcc_lo, exec_lo, s5
	s_cbranch_vccnz .LBB63_1973
; %bb.1969:
	s_sext_i32_i16 s0, s0
	s_delay_alu instid0(SALU_CYCLE_1)
	s_cmp_gt_i32 s0, 0
	s_mov_b32 s0, -1
	s_cbranch_scc0 .LBB63_1971
; %bb.1970:
	s_wait_xcnt 0x0
	v_mov_b32_e32 v2, 0
	s_mov_b32 s0, 0
	s_wait_loadcnt 0x0
	global_store_b8 v[0:1], v2, off
.LBB63_1971:
	s_and_not1_b32 vcc_lo, exec_lo, s0
	s_cbranch_vccnz .LBB63_1973
; %bb.1972:
	s_wait_xcnt 0x0
	v_mov_b32_e32 v2, 0
	s_wait_loadcnt 0x0
	global_store_b8 v[0:1], v2, off
.LBB63_1973:
	s_wait_xcnt 0x0
	s_or_b32 exec_lo, exec_lo, s4
	s_delay_alu instid0(SALU_CYCLE_1)
	s_and_b32 s36, s1, exec_lo
                                        ; implicit-def: $vgpr1
                                        ; implicit-def: $vgpr0
.LBB63_1974:
	s_or_saveexec_b32 s37, s75
	s_mov_b32 s4, 0
                                        ; implicit-def: $vgpr42_vgpr43
                                        ; implicit-def: $sgpr0
	s_xor_b32 exec_lo, exec_lo, s37
	s_cbranch_execz .LBB63_2651
; %bb.1975:
	v_cndmask_b32_e64 v3, 0, 1, s74
	s_and_not1_b32 vcc_lo, exec_lo, s74
	s_cbranch_vccnz .LBB63_1981
; %bb.1976:
	s_cmp_lg_u32 s33, 0
	s_mov_b32 s6, 0
	s_cbranch_scc0 .LBB63_1985
; %bb.1977:
	s_min_u32 s7, s72, 15
	s_wait_loadcnt 0x0
	v_dual_mov_b32 v44, 0 :: v_dual_mov_b32 v2, v0
	v_dual_mov_b32 v42, 0 :: v_dual_mov_b32 v12, 0
	;; [unrolled: 1-line block ×3, first 2 shown]
	v_mov_b32_e32 v8, 0
	s_add_co_i32 s4, s7, 1
	s_mov_b64 s[0:1], 0xffffffffffffffd0
	s_and_b32 s8, s4, 30
	s_add_nc_u64 s[0:1], s[2:3], s[0:1]
	s_mov_b64 s[4:5], s[2:3]
.LBB63_1978:                            ; =>This Inner Loop Header: Depth=1
	s_clause 0x1
	s_load_b128 s[20:23], s[4:5], 0x4
	s_load_b64 s[10:11], s[4:5], 0x14
	s_clause 0x1
	s_load_b256 s[12:19], s[0:1], 0xf4
	s_load_b128 s[24:27], s[0:1], 0x114
	s_add_co_i32 s8, s8, -2
	s_wait_xcnt 0x0
	s_add_nc_u64 s[4:5], s[4:5], 24
	s_cmp_lg_u32 s8, 0
	s_add_nc_u64 s[0:1], s[0:1], 48
	s_wait_kmcnt 0x0
	v_mul_hi_u32 v4, s21, v2
	s_delay_alu instid0(VALU_DEP_1) | instskip(NEXT) | instid1(VALU_DEP_1)
	v_add_nc_u32_e32 v4, v2, v4
	v_lshrrev_b32_e32 v4, s22, v4
	s_delay_alu instid0(VALU_DEP_1) | instskip(SKIP_1) | instid1(VALU_DEP_1)
	v_mul_hi_u32 v5, s10, v4
	v_mul_lo_u32 v7, v4, s20
	v_dual_add_nc_u32 v5, v4, v5 :: v_dual_sub_nc_u32 v7, v2, v7
	s_delay_alu instid0(VALU_DEP_1) | instskip(NEXT) | instid1(VALU_DEP_2)
	v_lshrrev_b32_e32 v2, s11, v5
	v_mad_u32 v5, v7, s13, v8
	v_mad_u32 v6, v7, s12, v6
	;; [unrolled: 1-line block ×4, first 2 shown]
	v_mul_lo_u32 v8, v2, s23
	v_mad_u32 v11, s17, v7, v42
	v_mad_u32 v7, s16, v7, v44
	s_delay_alu instid0(VALU_DEP_3) | instskip(NEXT) | instid1(VALU_DEP_1)
	v_sub_nc_u32_e32 v4, v4, v8
	v_mad_u32 v8, v4, s19, v5
	v_mad_u32 v6, v4, s18, v6
	;; [unrolled: 1-line block ×6, first 2 shown]
	s_cbranch_scc1 .LBB63_1978
; %bb.1979:
	s_bitcmp1_b32 s7, 0
	s_cselect_b32 s7, -1, 0
	s_delay_alu instid0(SALU_CYCLE_1)
	s_and_b32 vcc_lo, exec_lo, s7
	s_cbranch_vccnz .LBB63_1982
; %bb.1980:
	s_load_b96 s[12:14], s[4:5], 0x4
	s_load_b128 s[8:11], s[0:1], 0xf4
	s_wait_xcnt 0x0
	s_load_b64 s[4:5], s[0:1], 0x104
	s_wait_kmcnt 0x0
	v_mul_hi_u32 v4, s13, v2
	s_delay_alu instid0(VALU_DEP_1) | instskip(NEXT) | instid1(VALU_DEP_1)
	v_add_nc_u32_e32 v4, v2, v4
	v_lshrrev_b32_e32 v4, s14, v4
	s_delay_alu instid0(VALU_DEP_1) | instskip(NEXT) | instid1(VALU_DEP_1)
	v_mul_lo_u32 v4, v4, s12
	v_sub_nc_u32_e32 v2, v2, v4
	s_delay_alu instid0(VALU_DEP_1)
	v_mad_u32 v6, v2, s8, v6
	v_mad_u32 v8, v2, s9, v8
	v_mad_u32 v12, v2, s10, v12
	v_mad_u32 v46, v2, s11, v46
	v_mad_u32 v44, s4, v2, v44
	v_mad_u32 v42, s5, v2, v42
	s_and_not1_b32 vcc_lo, exec_lo, s6
	s_cbranch_vccz .LBB63_1983
	s_branch .LBB63_1986
.LBB63_1981:
	s_mov_b32 s6, -1
                                        ; implicit-def: $vgpr8
                                        ; implicit-def: $vgpr6
                                        ; implicit-def: $vgpr46
                                        ; implicit-def: $vgpr12
                                        ; implicit-def: $vgpr42
                                        ; implicit-def: $vgpr44
.LBB63_1982:
	s_delay_alu instid0(SALU_CYCLE_1)
	s_and_not1_b32 vcc_lo, exec_lo, s6
	s_cbranch_vccnz .LBB63_1986
.LBB63_1983:
	s_clause 0x2
	s_load_b96 s[8:10], s[2:3], 0x4
	s_load_b128 s[4:7], s[2:3], 0xc4
	s_load_b64 s[0:1], s[2:3], 0xd4
	s_cmp_lt_u32 s33, 2
	s_wait_loadcnt 0x0
	s_wait_kmcnt 0x0
	v_mul_hi_u32 v2, s9, v0
	s_delay_alu instid0(VALU_DEP_1) | instskip(NEXT) | instid1(VALU_DEP_1)
	v_add_nc_u32_e32 v2, v0, v2
	v_lshrrev_b32_e32 v2, s10, v2
	s_delay_alu instid0(VALU_DEP_1) | instskip(NEXT) | instid1(VALU_DEP_1)
	v_mul_lo_u32 v4, v2, s8
	v_sub_nc_u32_e32 v4, v0, v4
	s_delay_alu instid0(VALU_DEP_1)
	v_mul_lo_u32 v8, v4, s5
	v_mul_lo_u32 v6, v4, s4
	;; [unrolled: 1-line block ×6, first 2 shown]
	s_cbranch_scc1 .LBB63_1986
; %bb.1984:
	s_clause 0x2
	s_load_b96 s[8:10], s[2:3], 0x10
	s_load_b128 s[4:7], s[2:3], 0xdc
	s_load_b64 s[0:1], s[2:3], 0xec
	s_wait_kmcnt 0x0
	v_mul_hi_u32 v4, s9, v2
	s_delay_alu instid0(VALU_DEP_1) | instskip(NEXT) | instid1(VALU_DEP_1)
	v_add_nc_u32_e32 v4, v2, v4
	v_lshrrev_b32_e32 v4, s10, v4
	s_delay_alu instid0(VALU_DEP_1) | instskip(NEXT) | instid1(VALU_DEP_1)
	v_mul_lo_u32 v4, v4, s8
	v_sub_nc_u32_e32 v2, v2, v4
	s_delay_alu instid0(VALU_DEP_1)
	v_mad_u32 v6, v2, s4, v6
	v_mad_u32 v8, v2, s5, v8
	;; [unrolled: 1-line block ×6, first 2 shown]
	s_branch .LBB63_1986
.LBB63_1985:
	s_wait_loadcnt 0x0
	v_dual_mov_b32 v8, 0 :: v_dual_mov_b32 v6, 0
	v_dual_mov_b32 v46, 0 :: v_dual_mov_b32 v12, 0
	;; [unrolled: 1-line block ×3, first 2 shown]
	s_and_not1_b32 vcc_lo, exec_lo, s6
	s_cbranch_vccz .LBB63_1983
.LBB63_1986:
	v_cmp_ne_u32_e32 vcc_lo, 1, v3
	s_wait_loadcnt 0x0
	v_add_nc_u32_e32 v2, 0x80, v0
	s_cbranch_vccnz .LBB63_1992
; %bb.1987:
	s_cmp_lg_u32 s33, 0
	s_mov_b32 s6, 0
	s_cbranch_scc0 .LBB63_1996
; %bb.1988:
	s_min_u32 s7, s72, 15
	v_dual_mov_b32 v34, 0 :: v_dual_mov_b32 v5, v2
	v_dual_mov_b32 v32, 0 :: v_dual_mov_b32 v38, 0
	;; [unrolled: 1-line block ×3, first 2 shown]
	v_mov_b32_e32 v40, 0
	s_add_co_i32 s4, s7, 1
	s_mov_b64 s[0:1], 0xffffffffffffffd0
	s_and_b32 s8, s4, 30
	s_add_nc_u64 s[0:1], s[2:3], s[0:1]
	s_mov_b64 s[4:5], s[2:3]
.LBB63_1989:                            ; =>This Inner Loop Header: Depth=1
	s_clause 0x1
	s_load_b128 s[20:23], s[4:5], 0x4
	s_load_b64 s[10:11], s[4:5], 0x14
	s_clause 0x1
	s_load_b256 s[12:19], s[0:1], 0xf4
	s_load_b128 s[24:27], s[0:1], 0x114
	s_add_co_i32 s8, s8, -2
	s_wait_xcnt 0x0
	s_add_nc_u64 s[4:5], s[4:5], 24
	s_cmp_lg_u32 s8, 0
	s_add_nc_u64 s[0:1], s[0:1], 48
	s_wait_kmcnt 0x0
	v_mul_hi_u32 v7, s21, v5
	s_delay_alu instid0(VALU_DEP_1) | instskip(NEXT) | instid1(VALU_DEP_1)
	v_add_nc_u32_e32 v7, v5, v7
	v_lshrrev_b32_e32 v7, s22, v7
	s_delay_alu instid0(VALU_DEP_1) | instskip(SKIP_1) | instid1(VALU_DEP_1)
	v_mul_hi_u32 v9, s10, v7
	v_mul_lo_u32 v10, v7, s20
	v_dual_add_nc_u32 v9, v7, v9 :: v_dual_sub_nc_u32 v10, v5, v10
	s_delay_alu instid0(VALU_DEP_1) | instskip(NEXT) | instid1(VALU_DEP_2)
	v_lshrrev_b32_e32 v5, s11, v9
	v_mad_u32 v9, v10, s13, v40
	v_mad_u32 v4, v10, s12, v4
	;; [unrolled: 1-line block ×4, first 2 shown]
	v_mul_lo_u32 v11, v5, s23
	v_mad_u32 v15, s17, v10, v32
	v_mad_u32 v10, s16, v10, v34
	s_delay_alu instid0(VALU_DEP_3) | instskip(NEXT) | instid1(VALU_DEP_1)
	v_sub_nc_u32_e32 v7, v7, v11
	v_mad_u32 v40, v7, s19, v9
	v_mad_u32 v4, v7, s18, v4
	;; [unrolled: 1-line block ×6, first 2 shown]
	s_cbranch_scc1 .LBB63_1989
; %bb.1990:
	s_bitcmp1_b32 s7, 0
	s_cselect_b32 s7, -1, 0
	s_delay_alu instid0(SALU_CYCLE_1)
	s_and_b32 vcc_lo, exec_lo, s7
	s_cbranch_vccnz .LBB63_1993
; %bb.1991:
	s_load_b96 s[12:14], s[4:5], 0x4
	s_load_b128 s[8:11], s[0:1], 0xf4
	s_wait_xcnt 0x0
	s_load_b64 s[4:5], s[0:1], 0x104
	s_wait_kmcnt 0x0
	v_mul_hi_u32 v7, s13, v5
	s_delay_alu instid0(VALU_DEP_1) | instskip(NEXT) | instid1(VALU_DEP_1)
	v_add_nc_u32_e32 v7, v5, v7
	v_lshrrev_b32_e32 v7, s14, v7
	s_delay_alu instid0(VALU_DEP_1) | instskip(NEXT) | instid1(VALU_DEP_1)
	v_mul_lo_u32 v7, v7, s12
	v_sub_nc_u32_e32 v5, v5, v7
	s_delay_alu instid0(VALU_DEP_1)
	v_mad_u32 v4, v5, s8, v4
	v_mad_u32 v40, v5, s9, v40
	v_mad_u32 v38, v5, s10, v38
	v_mad_u32 v36, v5, s11, v36
	v_mad_u32 v34, s4, v5, v34
	v_mad_u32 v32, s5, v5, v32
	s_and_not1_b32 vcc_lo, exec_lo, s6
	s_cbranch_vccz .LBB63_1994
	s_branch .LBB63_1997
.LBB63_1992:
	s_mov_b32 s6, -1
                                        ; implicit-def: $vgpr40
                                        ; implicit-def: $vgpr4
                                        ; implicit-def: $vgpr36
                                        ; implicit-def: $vgpr38
                                        ; implicit-def: $vgpr32
                                        ; implicit-def: $vgpr34
.LBB63_1993:
	s_delay_alu instid0(SALU_CYCLE_1)
	s_and_not1_b32 vcc_lo, exec_lo, s6
	s_cbranch_vccnz .LBB63_1997
.LBB63_1994:
	s_clause 0x2
	s_load_b96 s[8:10], s[2:3], 0x4
	s_load_b128 s[4:7], s[2:3], 0xc4
	s_load_b64 s[0:1], s[2:3], 0xd4
	s_cmp_lt_u32 s33, 2
	s_wait_kmcnt 0x0
	v_mul_hi_u32 v4, s9, v2
	s_delay_alu instid0(VALU_DEP_1) | instskip(NEXT) | instid1(VALU_DEP_1)
	v_add_nc_u32_e32 v4, v2, v4
	v_lshrrev_b32_e32 v5, s10, v4
	s_delay_alu instid0(VALU_DEP_1) | instskip(NEXT) | instid1(VALU_DEP_1)
	v_mul_lo_u32 v4, v5, s8
	v_sub_nc_u32_e32 v2, v2, v4
	s_delay_alu instid0(VALU_DEP_1)
	v_mul_lo_u32 v40, v2, s5
	v_mul_lo_u32 v4, v2, s4
	;; [unrolled: 1-line block ×6, first 2 shown]
	s_cbranch_scc1 .LBB63_1997
; %bb.1995:
	s_clause 0x2
	s_load_b96 s[8:10], s[2:3], 0x10
	s_load_b128 s[4:7], s[2:3], 0xdc
	s_load_b64 s[0:1], s[2:3], 0xec
	s_wait_kmcnt 0x0
	v_mul_hi_u32 v2, s9, v5
	s_delay_alu instid0(VALU_DEP_1) | instskip(NEXT) | instid1(VALU_DEP_1)
	v_add_nc_u32_e32 v2, v5, v2
	v_lshrrev_b32_e32 v2, s10, v2
	s_delay_alu instid0(VALU_DEP_1) | instskip(NEXT) | instid1(VALU_DEP_1)
	v_mul_lo_u32 v2, v2, s8
	v_sub_nc_u32_e32 v2, v5, v2
	s_delay_alu instid0(VALU_DEP_1)
	v_mad_u32 v4, v2, s4, v4
	v_mad_u32 v40, v2, s5, v40
	;; [unrolled: 1-line block ×6, first 2 shown]
	s_branch .LBB63_1997
.LBB63_1996:
	v_dual_mov_b32 v40, 0 :: v_dual_mov_b32 v4, 0
	v_dual_mov_b32 v36, 0 :: v_dual_mov_b32 v38, 0
	;; [unrolled: 1-line block ×3, first 2 shown]
	s_and_not1_b32 vcc_lo, exec_lo, s6
	s_cbranch_vccz .LBB63_1994
.LBB63_1997:
	v_cmp_ne_u32_e32 vcc_lo, 1, v3
	v_add_nc_u32_e32 v0, 0x100, v0
	s_cbranch_vccnz .LBB63_2003
; %bb.1998:
	s_cmp_lg_u32 s33, 0
	s_mov_b32 s6, 0
	s_cbranch_scc0 .LBB63_2007
; %bb.1999:
	s_min_u32 s7, s72, 15
	v_dual_mov_b32 v24, 0 :: v_dual_mov_b32 v5, v0
	v_dual_mov_b32 v22, 0 :: v_dual_mov_b32 v28, 0
	;; [unrolled: 1-line block ×3, first 2 shown]
	v_mov_b32_e32 v30, 0
	s_add_co_i32 s4, s7, 1
	s_mov_b64 s[0:1], 0xffffffffffffffd0
	s_and_b32 s8, s4, 30
	s_add_nc_u64 s[0:1], s[2:3], s[0:1]
	s_mov_b64 s[4:5], s[2:3]
.LBB63_2000:                            ; =>This Inner Loop Header: Depth=1
	s_clause 0x1
	s_load_b128 s[20:23], s[4:5], 0x4
	s_load_b64 s[10:11], s[4:5], 0x14
	s_clause 0x1
	s_load_b256 s[12:19], s[0:1], 0xf4
	s_load_b128 s[24:27], s[0:1], 0x114
	s_add_co_i32 s8, s8, -2
	s_wait_xcnt 0x0
	s_add_nc_u64 s[4:5], s[4:5], 24
	s_cmp_lg_u32 s8, 0
	s_add_nc_u64 s[0:1], s[0:1], 48
	s_wait_kmcnt 0x0
	v_mul_hi_u32 v7, s21, v5
	s_delay_alu instid0(VALU_DEP_1) | instskip(NEXT) | instid1(VALU_DEP_1)
	v_add_nc_u32_e32 v7, v5, v7
	v_lshrrev_b32_e32 v7, s22, v7
	s_delay_alu instid0(VALU_DEP_1) | instskip(SKIP_1) | instid1(VALU_DEP_1)
	v_mul_hi_u32 v9, s10, v7
	v_mul_lo_u32 v10, v7, s20
	v_dual_add_nc_u32 v9, v7, v9 :: v_dual_sub_nc_u32 v10, v5, v10
	s_delay_alu instid0(VALU_DEP_1) | instskip(NEXT) | instid1(VALU_DEP_2)
	v_lshrrev_b32_e32 v5, s11, v9
	v_mad_u32 v9, v10, s13, v30
	v_mad_u32 v2, v10, s12, v2
	;; [unrolled: 1-line block ×4, first 2 shown]
	v_mul_lo_u32 v11, v5, s23
	v_mad_u32 v15, s17, v10, v22
	v_mad_u32 v10, s16, v10, v24
	s_delay_alu instid0(VALU_DEP_3) | instskip(NEXT) | instid1(VALU_DEP_1)
	v_sub_nc_u32_e32 v7, v7, v11
	v_mad_u32 v30, v7, s19, v9
	v_mad_u32 v2, v7, s18, v2
	;; [unrolled: 1-line block ×6, first 2 shown]
	s_cbranch_scc1 .LBB63_2000
; %bb.2001:
	s_bitcmp1_b32 s7, 0
	s_cselect_b32 s7, -1, 0
	s_delay_alu instid0(SALU_CYCLE_1)
	s_and_b32 vcc_lo, exec_lo, s7
	s_cbranch_vccnz .LBB63_2004
; %bb.2002:
	s_load_b96 s[12:14], s[4:5], 0x4
	s_load_b128 s[8:11], s[0:1], 0xf4
	s_wait_xcnt 0x0
	s_load_b64 s[4:5], s[0:1], 0x104
	s_wait_kmcnt 0x0
	v_mul_hi_u32 v7, s13, v5
	s_delay_alu instid0(VALU_DEP_1) | instskip(NEXT) | instid1(VALU_DEP_1)
	v_add_nc_u32_e32 v7, v5, v7
	v_lshrrev_b32_e32 v7, s14, v7
	s_delay_alu instid0(VALU_DEP_1) | instskip(NEXT) | instid1(VALU_DEP_1)
	v_mul_lo_u32 v7, v7, s12
	v_sub_nc_u32_e32 v5, v5, v7
	s_delay_alu instid0(VALU_DEP_1)
	v_mad_u32 v2, v5, s8, v2
	v_mad_u32 v30, v5, s9, v30
	;; [unrolled: 1-line block ×6, first 2 shown]
	s_and_not1_b32 vcc_lo, exec_lo, s6
	s_cbranch_vccz .LBB63_2005
	s_branch .LBB63_2008
.LBB63_2003:
	s_mov_b32 s6, -1
                                        ; implicit-def: $vgpr30
                                        ; implicit-def: $vgpr2
                                        ; implicit-def: $vgpr26
                                        ; implicit-def: $vgpr28
                                        ; implicit-def: $vgpr22
                                        ; implicit-def: $vgpr24
.LBB63_2004:
	s_delay_alu instid0(SALU_CYCLE_1)
	s_and_not1_b32 vcc_lo, exec_lo, s6
	s_cbranch_vccnz .LBB63_2008
.LBB63_2005:
	s_clause 0x2
	s_load_b96 s[8:10], s[2:3], 0x4
	s_load_b128 s[4:7], s[2:3], 0xc4
	s_load_b64 s[0:1], s[2:3], 0xd4
	s_cmp_lt_u32 s33, 2
	s_wait_kmcnt 0x0
	v_mul_hi_u32 v2, s9, v0
	s_delay_alu instid0(VALU_DEP_1) | instskip(NEXT) | instid1(VALU_DEP_1)
	v_add_nc_u32_e32 v2, v0, v2
	v_lshrrev_b32_e32 v5, s10, v2
	s_delay_alu instid0(VALU_DEP_1) | instskip(NEXT) | instid1(VALU_DEP_1)
	v_mul_lo_u32 v2, v5, s8
	v_sub_nc_u32_e32 v0, v0, v2
	s_delay_alu instid0(VALU_DEP_1)
	v_mul_lo_u32 v30, v0, s5
	v_mul_lo_u32 v2, v0, s4
	;; [unrolled: 1-line block ×6, first 2 shown]
	s_cbranch_scc1 .LBB63_2008
; %bb.2006:
	s_clause 0x2
	s_load_b96 s[8:10], s[2:3], 0x10
	s_load_b128 s[4:7], s[2:3], 0xdc
	s_load_b64 s[0:1], s[2:3], 0xec
	s_wait_kmcnt 0x0
	v_mul_hi_u32 v0, s9, v5
	s_delay_alu instid0(VALU_DEP_1) | instskip(NEXT) | instid1(VALU_DEP_1)
	v_add_nc_u32_e32 v0, v5, v0
	v_lshrrev_b32_e32 v0, s10, v0
	s_delay_alu instid0(VALU_DEP_1) | instskip(NEXT) | instid1(VALU_DEP_1)
	v_mul_lo_u32 v0, v0, s8
	v_sub_nc_u32_e32 v0, v5, v0
	s_delay_alu instid0(VALU_DEP_1)
	v_mad_u32 v2, v0, s4, v2
	v_mad_u32 v30, v0, s5, v30
	;; [unrolled: 1-line block ×6, first 2 shown]
	s_branch .LBB63_2008
.LBB63_2007:
	v_dual_mov_b32 v30, 0 :: v_dual_mov_b32 v2, 0
	v_dual_mov_b32 v26, 0 :: v_dual_mov_b32 v28, 0
	;; [unrolled: 1-line block ×3, first 2 shown]
	s_and_not1_b32 vcc_lo, exec_lo, s6
	s_cbranch_vccz .LBB63_2005
.LBB63_2008:
	v_cmp_ne_u32_e32 vcc_lo, 1, v3
	s_cbranch_vccnz .LBB63_2014
; %bb.2009:
	s_cmp_lg_u32 s33, 0
	s_mov_b32 s6, 0
	s_cbranch_scc0 .LBB63_2018
; %bb.2010:
	s_min_u32 s7, s72, 15
	v_dual_mov_b32 v14, 0 :: v_dual_mov_b32 v3, v1
	v_dual_mov_b32 v10, 0 :: v_dual_mov_b32 v18, 0
	;; [unrolled: 1-line block ×3, first 2 shown]
	v_mov_b32_e32 v20, 0
	s_add_co_i32 s4, s7, 1
	s_mov_b64 s[0:1], 0xffffffffffffffd0
	s_and_b32 s8, s4, 30
	s_add_nc_u64 s[0:1], s[2:3], s[0:1]
	s_mov_b64 s[4:5], s[2:3]
.LBB63_2011:                            ; =>This Inner Loop Header: Depth=1
	s_clause 0x1
	s_load_b128 s[20:23], s[4:5], 0x4
	s_load_b64 s[10:11], s[4:5], 0x14
	s_clause 0x1
	s_load_b256 s[12:19], s[0:1], 0xf4
	s_load_b128 s[24:27], s[0:1], 0x114
	s_add_co_i32 s8, s8, -2
	s_wait_xcnt 0x0
	s_add_nc_u64 s[4:5], s[4:5], 24
	s_cmp_lg_u32 s8, 0
	s_add_nc_u64 s[0:1], s[0:1], 48
	s_wait_kmcnt 0x0
	v_mul_hi_u32 v5, s21, v3
	s_delay_alu instid0(VALU_DEP_1) | instskip(NEXT) | instid1(VALU_DEP_1)
	v_add_nc_u32_e32 v5, v3, v5
	v_lshrrev_b32_e32 v5, s22, v5
	s_delay_alu instid0(VALU_DEP_1) | instskip(SKIP_1) | instid1(VALU_DEP_1)
	v_mul_hi_u32 v7, s10, v5
	v_mul_lo_u32 v9, v5, s20
	v_dual_add_nc_u32 v7, v5, v7 :: v_dual_sub_nc_u32 v9, v3, v9
	s_delay_alu instid0(VALU_DEP_1) | instskip(NEXT) | instid1(VALU_DEP_2)
	v_lshrrev_b32_e32 v3, s11, v7
	v_mad_u32 v7, v9, s13, v20
	v_mad_u32 v0, v9, s12, v0
	;; [unrolled: 1-line block ×4, first 2 shown]
	v_mul_lo_u32 v11, v3, s23
	v_mad_u32 v10, s17, v9, v10
	v_mad_u32 v9, s16, v9, v14
	s_delay_alu instid0(VALU_DEP_3) | instskip(NEXT) | instid1(VALU_DEP_1)
	v_sub_nc_u32_e32 v5, v5, v11
	v_mad_u32 v20, v5, s19, v7
	v_mad_u32 v0, v5, s18, v0
	v_mad_u32 v16, v5, s25, v13
	v_mad_u32 v18, v5, s24, v15
	v_mad_u32 v10, s27, v5, v10
	v_mad_u32 v14, s26, v5, v9
	s_cbranch_scc1 .LBB63_2011
; %bb.2012:
	s_bitcmp1_b32 s7, 0
	s_cselect_b32 s7, -1, 0
	s_delay_alu instid0(SALU_CYCLE_1)
	s_and_b32 vcc_lo, exec_lo, s7
	s_cbranch_vccnz .LBB63_2015
; %bb.2013:
	s_load_b96 s[12:14], s[4:5], 0x4
	s_load_b128 s[8:11], s[0:1], 0xf4
	s_wait_xcnt 0x0
	s_load_b64 s[4:5], s[0:1], 0x104
	s_wait_kmcnt 0x0
	v_mul_hi_u32 v5, s13, v3
	s_delay_alu instid0(VALU_DEP_1) | instskip(NEXT) | instid1(VALU_DEP_1)
	v_add_nc_u32_e32 v5, v3, v5
	v_lshrrev_b32_e32 v5, s14, v5
	s_delay_alu instid0(VALU_DEP_1) | instskip(NEXT) | instid1(VALU_DEP_1)
	v_mul_lo_u32 v5, v5, s12
	v_sub_nc_u32_e32 v3, v3, v5
	s_delay_alu instid0(VALU_DEP_1)
	v_mad_u32 v0, v3, s8, v0
	v_mad_u32 v20, v3, s9, v20
	;; [unrolled: 1-line block ×6, first 2 shown]
	s_and_not1_b32 vcc_lo, exec_lo, s6
	s_cbranch_vccz .LBB63_2016
	s_branch .LBB63_2019
.LBB63_2014:
	s_mov_b32 s6, -1
                                        ; implicit-def: $vgpr20
                                        ; implicit-def: $vgpr0
                                        ; implicit-def: $vgpr16
                                        ; implicit-def: $vgpr18
                                        ; implicit-def: $vgpr10
                                        ; implicit-def: $vgpr14
.LBB63_2015:
	s_delay_alu instid0(SALU_CYCLE_1)
	s_and_not1_b32 vcc_lo, exec_lo, s6
	s_cbranch_vccnz .LBB63_2019
.LBB63_2016:
	s_clause 0x2
	s_load_b96 s[8:10], s[2:3], 0x4
	s_load_b128 s[4:7], s[2:3], 0xc4
	s_load_b64 s[0:1], s[2:3], 0xd4
	s_cmp_lt_u32 s33, 2
	s_wait_kmcnt 0x0
	v_mul_hi_u32 v0, s9, v1
	s_delay_alu instid0(VALU_DEP_1) | instskip(NEXT) | instid1(VALU_DEP_1)
	v_add_nc_u32_e32 v0, v1, v0
	v_lshrrev_b32_e32 v3, s10, v0
	s_delay_alu instid0(VALU_DEP_1) | instskip(NEXT) | instid1(VALU_DEP_1)
	v_mul_lo_u32 v0, v3, s8
	v_sub_nc_u32_e32 v1, v1, v0
	s_delay_alu instid0(VALU_DEP_1)
	v_mul_lo_u32 v20, v1, s5
	v_mul_lo_u32 v0, v1, s4
	;; [unrolled: 1-line block ×6, first 2 shown]
	s_cbranch_scc1 .LBB63_2019
; %bb.2017:
	s_clause 0x2
	s_load_b96 s[8:10], s[2:3], 0x10
	s_load_b128 s[4:7], s[2:3], 0xdc
	s_load_b64 s[0:1], s[2:3], 0xec
	s_wait_kmcnt 0x0
	v_mul_hi_u32 v1, s9, v3
	s_delay_alu instid0(VALU_DEP_1) | instskip(NEXT) | instid1(VALU_DEP_1)
	v_add_nc_u32_e32 v1, v3, v1
	v_lshrrev_b32_e32 v1, s10, v1
	s_delay_alu instid0(VALU_DEP_1) | instskip(NEXT) | instid1(VALU_DEP_1)
	v_mul_lo_u32 v1, v1, s8
	v_sub_nc_u32_e32 v1, v3, v1
	s_delay_alu instid0(VALU_DEP_1)
	v_mad_u32 v0, v1, s4, v0
	v_mad_u32 v20, v1, s5, v20
	;; [unrolled: 1-line block ×6, first 2 shown]
	s_branch .LBB63_2019
.LBB63_2018:
	v_dual_mov_b32 v20, 0 :: v_dual_mov_b32 v0, 0
	v_dual_mov_b32 v16, 0 :: v_dual_mov_b32 v18, 0
	;; [unrolled: 1-line block ×3, first 2 shown]
	s_and_not1_b32 vcc_lo, exec_lo, s6
	s_cbranch_vccz .LBB63_2016
.LBB63_2019:
	v_mov_b32_e32 v9, 0
	s_load_b128 s[4:7], s[2:3], 0x248
	global_load_u8 v1, v9, s[2:3] offset:689
	s_wait_kmcnt 0x0
	v_add_nc_u64_e32 v[48:49], s[6:7], v[8:9]
	s_wait_loadcnt 0x0
	v_and_b32_e32 v3, 0xffff, v1
	v_readfirstlane_b32 s34, v1
	s_delay_alu instid0(VALU_DEP_2)
	v_cmp_gt_i32_e32 vcc_lo, 11, v3
	s_cbranch_vccnz .LBB63_2026
; %bb.2020:
	s_and_b32 s0, 0xffff, s34
	s_mov_b32 s8, 0
	s_cmp_gt_i32 s0, 25
	s_cbranch_scc0 .LBB63_2028
; %bb.2021:
	s_cmp_gt_i32 s0, 28
	s_cbranch_scc0 .LBB63_2029
; %bb.2022:
	;; [unrolled: 3-line block ×4, first 2 shown]
	s_cmp_eq_u32 s0, 46
	s_mov_b32 s10, 0
	s_cbranch_scc0 .LBB63_2032
; %bb.2025:
	global_load_b32 v1, v[48:49], off
	s_mov_b32 s1, 0
	s_mov_b32 s9, -1
	s_wait_loadcnt 0x0
	v_lshlrev_b32_e32 v1, 16, v1
	s_delay_alu instid0(VALU_DEP_1) | instskip(NEXT) | instid1(VALU_DEP_1)
	v_trunc_f32_e32 v1, v1
	v_mul_f32_e64 v3, 0x2f800000, |v1|
	v_ashrrev_i32_e32 v8, 31, v1
	s_delay_alu instid0(VALU_DEP_2) | instskip(SKIP_1) | instid1(VALU_DEP_2)
	v_floor_f32_e32 v3, v3
	s_wait_xcnt 0x1
	v_mov_b32_e32 v9, v8
	s_delay_alu instid0(VALU_DEP_2) | instskip(SKIP_1) | instid1(VALU_DEP_2)
	v_fma_f32 v5, 0xcf800000, v3, |v1|
	v_cvt_u32_f32_e32 v1, v3
	v_cvt_u32_f32_e32 v3, v5
	s_delay_alu instid0(VALU_DEP_2) | instskip(NEXT) | instid1(VALU_DEP_2)
	v_xor_b32_e32 v51, v1, v8
	v_xor_b32_e32 v50, v3, v8
	s_delay_alu instid0(VALU_DEP_1)
	v_sub_nc_u64_e32 v[8:9], v[50:51], v[8:9]
	s_branch .LBB63_2034
.LBB63_2026:
	s_mov_b32 s9, 0
	s_mov_b32 s33, s36
                                        ; implicit-def: $vgpr8_vgpr9
	s_cbranch_execnz .LBB63_2092
.LBB63_2027:
	s_and_not1_b32 vcc_lo, exec_lo, s9
	s_cbranch_vccz .LBB63_2137
	s_branch .LBB63_2649
.LBB63_2028:
	s_mov_b32 s9, 0
	s_mov_b32 s1, 0
                                        ; implicit-def: $vgpr8_vgpr9
	s_cbranch_execnz .LBB63_2059
	s_branch .LBB63_2088
.LBB63_2029:
	s_mov_b32 s9, 0
	s_mov_b32 s1, 0
                                        ; implicit-def: $vgpr8_vgpr9
	s_cbranch_execz .LBB63_2058
	s_branch .LBB63_2043
.LBB63_2030:
	s_mov_b32 s9, 0
	s_mov_b32 s1, 0
                                        ; implicit-def: $vgpr8_vgpr9
	s_cbranch_execnz .LBB63_2039
	s_branch .LBB63_2042
.LBB63_2031:
	s_mov_b32 s10, -1
	s_mov_b32 s9, 0
	s_mov_b32 s1, 0
	s_branch .LBB63_2033
.LBB63_2032:
	s_mov_b32 s1, -1
	s_mov_b32 s9, 0
.LBB63_2033:
                                        ; implicit-def: $vgpr8_vgpr9
.LBB63_2034:
	s_and_b32 vcc_lo, exec_lo, s10
	s_cbranch_vccz .LBB63_2037
; %bb.2035:
	s_cmp_eq_u32 s0, 44
	s_cbranch_scc0 .LBB63_2038
; %bb.2036:
	global_load_u8 v1, v[48:49], off
	s_mov_b32 s1, 0
	s_mov_b32 s9, -1
	s_wait_loadcnt 0x0
	v_lshlrev_b32_e32 v3, 23, v1
	v_cmp_ne_u32_e32 vcc_lo, 0, v1
	s_delay_alu instid0(VALU_DEP_2) | instskip(NEXT) | instid1(VALU_DEP_1)
	v_trunc_f32_e32 v3, v3
	v_mul_f32_e64 v5, 0x2f800000, |v3|
	v_ashrrev_i32_e32 v8, 31, v3
	s_delay_alu instid0(VALU_DEP_2) | instskip(SKIP_1) | instid1(VALU_DEP_2)
	v_floor_f32_e32 v5, v5
	s_wait_xcnt 0x1
	v_mov_b32_e32 v9, v8
	s_delay_alu instid0(VALU_DEP_2) | instskip(SKIP_1) | instid1(VALU_DEP_2)
	v_fma_f32 v7, 0xcf800000, v5, |v3|
	v_cvt_u32_f32_e32 v3, v5
	v_cvt_u32_f32_e32 v5, v7
	s_delay_alu instid0(VALU_DEP_2) | instskip(NEXT) | instid1(VALU_DEP_2)
	v_xor_b32_e32 v51, v3, v8
	v_xor_b32_e32 v50, v5, v8
	s_delay_alu instid0(VALU_DEP_1) | instskip(NEXT) | instid1(VALU_DEP_1)
	v_sub_nc_u64_e32 v[8:9], v[50:51], v[8:9]
	v_dual_cndmask_b32 v9, 0, v9 :: v_dual_cndmask_b32 v8, 0, v8
.LBB63_2037:
	s_branch .LBB63_2042
.LBB63_2038:
	s_mov_b32 s1, -1
                                        ; implicit-def: $vgpr8_vgpr9
	s_branch .LBB63_2042
.LBB63_2039:
	s_cmp_eq_u32 s0, 29
	s_cbranch_scc0 .LBB63_2041
; %bb.2040:
	global_load_b64 v[8:9], v[48:49], off
	s_mov_b32 s1, 0
	s_mov_b32 s9, -1
	s_branch .LBB63_2042
.LBB63_2041:
	s_mov_b32 s1, -1
                                        ; implicit-def: $vgpr8_vgpr9
.LBB63_2042:
	s_branch .LBB63_2058
.LBB63_2043:
	s_cmp_lt_i32 s0, 27
	s_cbranch_scc1 .LBB63_2046
; %bb.2044:
	s_cmp_gt_i32 s0, 27
	s_cbranch_scc0 .LBB63_2047
; %bb.2045:
	s_wait_loadcnt 0x0
	global_load_b32 v8, v[48:49], off
	s_wait_xcnt 0x1
	v_mov_b32_e32 v9, 0
	s_mov_b32 s9, 0
	s_branch .LBB63_2048
.LBB63_2046:
	s_mov_b32 s9, -1
                                        ; implicit-def: $vgpr8_vgpr9
	s_branch .LBB63_2051
.LBB63_2047:
	s_mov_b32 s9, -1
                                        ; implicit-def: $vgpr8_vgpr9
.LBB63_2048:
	s_delay_alu instid0(SALU_CYCLE_1)
	s_and_not1_b32 vcc_lo, exec_lo, s9
	s_cbranch_vccnz .LBB63_2050
; %bb.2049:
	global_load_u16 v1, v[48:49], off
	s_mov_b32 s9, 0
	s_wait_loadcnt 0x1
	s_wait_xcnt 0x1
	v_mov_b32_e32 v9, s9
	s_wait_loadcnt 0x0
	v_and_b32_e32 v8, 0xffff, v1
.LBB63_2050:
	s_mov_b32 s9, 0
.LBB63_2051:
	s_delay_alu instid0(SALU_CYCLE_1)
	s_and_not1_b32 vcc_lo, exec_lo, s9
	s_cbranch_vccnz .LBB63_2057
; %bb.2052:
	global_load_u8 v1, v[48:49], off
	s_mov_b32 s10, 0
	s_mov_b32 s9, exec_lo
	s_wait_loadcnt 0x0
	v_cmpx_lt_i16_e32 0x7f, v1
	s_xor_b32 s9, exec_lo, s9
	s_cbranch_execz .LBB63_2068
; %bb.2053:
	v_cmp_ne_u16_e32 vcc_lo, 0x80, v1
	s_and_b32 s10, vcc_lo, exec_lo
	s_and_not1_saveexec_b32 s9, s9
	s_cbranch_execnz .LBB63_2069
.LBB63_2054:
	s_or_b32 exec_lo, exec_lo, s9
	v_mov_b64_e32 v[8:9], 0
	s_and_saveexec_b32 s9, s10
	s_cbranch_execz .LBB63_2056
.LBB63_2055:
	v_and_b32_e32 v3, 0xffff, v1
	s_delay_alu instid0(VALU_DEP_1) | instskip(SKIP_1) | instid1(VALU_DEP_2)
	v_dual_lshlrev_b32 v1, 24, v1 :: v_dual_bitop2_b32 v5, 7, v3 bitop3:0x40
	v_bfe_u32 v9, v3, 3, 4
	v_and_b32_e32 v1, 0x80000000, v1
	s_delay_alu instid0(VALU_DEP_3) | instskip(NEXT) | instid1(VALU_DEP_3)
	v_clz_i32_u32_e32 v7, v5
	v_cmp_eq_u32_e32 vcc_lo, 0, v9
	s_delay_alu instid0(VALU_DEP_2) | instskip(NEXT) | instid1(VALU_DEP_1)
	v_min_u32_e32 v7, 32, v7
	v_subrev_nc_u32_e32 v8, 28, v7
	v_sub_nc_u32_e32 v7, 29, v7
	s_delay_alu instid0(VALU_DEP_2) | instskip(NEXT) | instid1(VALU_DEP_2)
	v_lshlrev_b32_e32 v3, v8, v3
	v_cndmask_b32_e32 v7, v9, v7, vcc_lo
	s_delay_alu instid0(VALU_DEP_2) | instskip(NEXT) | instid1(VALU_DEP_1)
	v_and_b32_e32 v3, 7, v3
	v_cndmask_b32_e32 v3, v5, v3, vcc_lo
	s_delay_alu instid0(VALU_DEP_3) | instskip(NEXT) | instid1(VALU_DEP_2)
	v_lshl_add_u32 v5, v7, 23, 0x3b800000
	v_lshlrev_b32_e32 v3, 20, v3
	s_delay_alu instid0(VALU_DEP_1) | instskip(NEXT) | instid1(VALU_DEP_1)
	v_or3_b32 v1, v1, v5, v3
	v_trunc_f32_e32 v1, v1
	s_delay_alu instid0(VALU_DEP_1) | instskip(SKIP_1) | instid1(VALU_DEP_2)
	v_mul_f32_e64 v3, 0x2f800000, |v1|
	v_ashrrev_i32_e32 v8, 31, v1
	v_floor_f32_e32 v3, v3
	s_delay_alu instid0(VALU_DEP_2) | instskip(NEXT) | instid1(VALU_DEP_2)
	v_mov_b32_e32 v9, v8
	v_fma_f32 v5, 0xcf800000, v3, |v1|
	v_cvt_u32_f32_e32 v1, v3
	s_delay_alu instid0(VALU_DEP_2) | instskip(NEXT) | instid1(VALU_DEP_2)
	v_cvt_u32_f32_e32 v3, v5
	v_xor_b32_e32 v51, v1, v8
	s_delay_alu instid0(VALU_DEP_2) | instskip(NEXT) | instid1(VALU_DEP_1)
	v_xor_b32_e32 v50, v3, v8
	v_sub_nc_u64_e32 v[8:9], v[50:51], v[8:9]
.LBB63_2056:
	s_or_b32 exec_lo, exec_lo, s9
.LBB63_2057:
	s_mov_b32 s9, -1
.LBB63_2058:
	s_branch .LBB63_2088
.LBB63_2059:
	s_cmp_gt_i32 s0, 22
	s_cbranch_scc0 .LBB63_2067
; %bb.2060:
	s_cmp_lt_i32 s0, 24
	s_cbranch_scc1 .LBB63_2070
; %bb.2061:
	s_cmp_gt_i32 s0, 24
	s_cbranch_scc0 .LBB63_2071
; %bb.2062:
	global_load_u8 v1, v[48:49], off
	s_mov_b32 s9, 0
	s_mov_b32 s8, exec_lo
	s_wait_loadcnt 0x0
	v_cmpx_lt_i16_e32 0x7f, v1
	s_xor_b32 s8, exec_lo, s8
	s_cbranch_execz .LBB63_2082
; %bb.2063:
	v_cmp_ne_u16_e32 vcc_lo, 0x80, v1
	s_and_b32 s9, vcc_lo, exec_lo
	s_and_not1_saveexec_b32 s8, s8
	s_cbranch_execnz .LBB63_2083
.LBB63_2064:
	s_or_b32 exec_lo, exec_lo, s8
	v_mov_b64_e32 v[8:9], 0
	s_and_saveexec_b32 s8, s9
	s_cbranch_execz .LBB63_2066
.LBB63_2065:
	v_and_b32_e32 v3, 0xffff, v1
	s_delay_alu instid0(VALU_DEP_1) | instskip(SKIP_1) | instid1(VALU_DEP_2)
	v_dual_lshlrev_b32 v1, 24, v1 :: v_dual_bitop2_b32 v5, 3, v3 bitop3:0x40
	v_bfe_u32 v9, v3, 2, 5
	v_and_b32_e32 v1, 0x80000000, v1
	s_delay_alu instid0(VALU_DEP_3) | instskip(NEXT) | instid1(VALU_DEP_3)
	v_clz_i32_u32_e32 v7, v5
	v_cmp_eq_u32_e32 vcc_lo, 0, v9
	s_delay_alu instid0(VALU_DEP_2) | instskip(NEXT) | instid1(VALU_DEP_1)
	v_min_u32_e32 v7, 32, v7
	v_subrev_nc_u32_e32 v8, 29, v7
	v_sub_nc_u32_e32 v7, 30, v7
	s_delay_alu instid0(VALU_DEP_2) | instskip(NEXT) | instid1(VALU_DEP_2)
	v_lshlrev_b32_e32 v3, v8, v3
	v_cndmask_b32_e32 v7, v9, v7, vcc_lo
	s_delay_alu instid0(VALU_DEP_2) | instskip(NEXT) | instid1(VALU_DEP_1)
	v_and_b32_e32 v3, 3, v3
	v_cndmask_b32_e32 v3, v5, v3, vcc_lo
	s_delay_alu instid0(VALU_DEP_3) | instskip(NEXT) | instid1(VALU_DEP_2)
	v_lshl_add_u32 v5, v7, 23, 0x37800000
	v_lshlrev_b32_e32 v3, 21, v3
	s_delay_alu instid0(VALU_DEP_1) | instskip(NEXT) | instid1(VALU_DEP_1)
	v_or3_b32 v1, v1, v5, v3
	v_trunc_f32_e32 v1, v1
	s_delay_alu instid0(VALU_DEP_1) | instskip(SKIP_1) | instid1(VALU_DEP_2)
	v_mul_f32_e64 v3, 0x2f800000, |v1|
	v_ashrrev_i32_e32 v8, 31, v1
	v_floor_f32_e32 v3, v3
	s_delay_alu instid0(VALU_DEP_2) | instskip(NEXT) | instid1(VALU_DEP_2)
	v_mov_b32_e32 v9, v8
	v_fma_f32 v5, 0xcf800000, v3, |v1|
	v_cvt_u32_f32_e32 v1, v3
	s_delay_alu instid0(VALU_DEP_2) | instskip(NEXT) | instid1(VALU_DEP_2)
	v_cvt_u32_f32_e32 v3, v5
	v_xor_b32_e32 v51, v1, v8
	s_delay_alu instid0(VALU_DEP_2) | instskip(NEXT) | instid1(VALU_DEP_1)
	v_xor_b32_e32 v50, v3, v8
	v_sub_nc_u64_e32 v[8:9], v[50:51], v[8:9]
.LBB63_2066:
	s_or_b32 exec_lo, exec_lo, s8
	s_mov_b32 s8, 0
	s_branch .LBB63_2072
.LBB63_2067:
                                        ; implicit-def: $vgpr8_vgpr9
	s_mov_b32 s8, 0
	s_branch .LBB63_2078
.LBB63_2068:
	s_and_not1_saveexec_b32 s9, s9
	s_cbranch_execz .LBB63_2054
.LBB63_2069:
	v_cmp_ne_u16_e32 vcc_lo, 0, v1
	s_and_not1_b32 s10, s10, exec_lo
	s_and_b32 s11, vcc_lo, exec_lo
	s_delay_alu instid0(SALU_CYCLE_1)
	s_or_b32 s10, s10, s11
	s_or_b32 exec_lo, exec_lo, s9
	v_mov_b64_e32 v[8:9], 0
	s_and_saveexec_b32 s9, s10
	s_cbranch_execnz .LBB63_2055
	s_branch .LBB63_2056
.LBB63_2070:
	s_mov_b32 s8, -1
                                        ; implicit-def: $vgpr8_vgpr9
	s_branch .LBB63_2075
.LBB63_2071:
	s_mov_b32 s8, -1
                                        ; implicit-def: $vgpr8_vgpr9
.LBB63_2072:
	s_delay_alu instid0(SALU_CYCLE_1)
	s_and_b32 vcc_lo, exec_lo, s8
	s_cbranch_vccz .LBB63_2074
; %bb.2073:
	global_load_u8 v1, v[48:49], off
	s_wait_loadcnt 0x0
	v_lshlrev_b32_e32 v1, 24, v1
	s_delay_alu instid0(VALU_DEP_1) | instskip(NEXT) | instid1(VALU_DEP_1)
	v_and_b32_e32 v3, 0x7f000000, v1
	v_clz_i32_u32_e32 v5, v3
	v_cmp_ne_u32_e32 vcc_lo, 0, v3
	v_add_nc_u32_e32 v8, 0x1000000, v3
	s_delay_alu instid0(VALU_DEP_3) | instskip(NEXT) | instid1(VALU_DEP_1)
	v_min_u32_e32 v5, 32, v5
	v_sub_nc_u32_e64 v5, v5, 4 clamp
	s_delay_alu instid0(VALU_DEP_1) | instskip(NEXT) | instid1(VALU_DEP_1)
	v_dual_lshlrev_b32 v7, v5, v3 :: v_dual_lshlrev_b32 v5, 23, v5
	v_lshrrev_b32_e32 v7, 4, v7
	s_delay_alu instid0(VALU_DEP_1) | instskip(NEXT) | instid1(VALU_DEP_1)
	v_dual_sub_nc_u32 v5, v7, v5 :: v_dual_ashrrev_i32 v7, 8, v8
	v_add_nc_u32_e32 v5, 0x3c000000, v5
	s_delay_alu instid0(VALU_DEP_1) | instskip(NEXT) | instid1(VALU_DEP_1)
	v_and_or_b32 v5, 0x7f800000, v7, v5
	v_cndmask_b32_e32 v3, 0, v5, vcc_lo
	s_delay_alu instid0(VALU_DEP_1) | instskip(NEXT) | instid1(VALU_DEP_1)
	v_and_or_b32 v1, 0x80000000, v1, v3
	v_trunc_f32_e32 v1, v1
	s_delay_alu instid0(VALU_DEP_1) | instskip(SKIP_1) | instid1(VALU_DEP_2)
	v_mul_f32_e64 v3, 0x2f800000, |v1|
	v_ashrrev_i32_e32 v8, 31, v1
	v_floor_f32_e32 v3, v3
	s_delay_alu instid0(VALU_DEP_1) | instskip(SKIP_3) | instid1(VALU_DEP_3)
	v_fma_f32 v5, 0xcf800000, v3, |v1|
	v_cvt_u32_f32_e32 v1, v3
	s_wait_xcnt 0x1
	v_mov_b32_e32 v9, v8
	v_cvt_u32_f32_e32 v3, v5
	s_delay_alu instid0(VALU_DEP_3) | instskip(NEXT) | instid1(VALU_DEP_2)
	v_xor_b32_e32 v51, v1, v8
	v_xor_b32_e32 v50, v3, v8
	s_delay_alu instid0(VALU_DEP_1)
	v_sub_nc_u64_e32 v[8:9], v[50:51], v[8:9]
.LBB63_2074:
	s_mov_b32 s8, 0
.LBB63_2075:
	s_delay_alu instid0(SALU_CYCLE_1)
	s_and_not1_b32 vcc_lo, exec_lo, s8
	s_cbranch_vccnz .LBB63_2077
; %bb.2076:
	global_load_u8 v1, v[48:49], off
	s_wait_loadcnt 0x0
	v_lshlrev_b32_e32 v3, 25, v1
	v_lshlrev_b16 v1, 8, v1
	s_delay_alu instid0(VALU_DEP_1) | instskip(SKIP_1) | instid1(VALU_DEP_2)
	v_and_or_b32 v7, 0x7f00, v1, 0.5
	v_bfe_i32 v1, v1, 0, 16
	v_add_f32_e32 v7, -0.5, v7
	v_lshrrev_b32_e32 v5, 4, v3
	v_cmp_gt_u32_e32 vcc_lo, 0x8000000, v3
	s_delay_alu instid0(VALU_DEP_2) | instskip(NEXT) | instid1(VALU_DEP_1)
	v_or_b32_e32 v5, 0x70000000, v5
	v_mul_f32_e32 v5, 0x7800000, v5
	s_delay_alu instid0(VALU_DEP_1) | instskip(NEXT) | instid1(VALU_DEP_1)
	v_cndmask_b32_e32 v3, v5, v7, vcc_lo
	v_and_or_b32 v1, 0x80000000, v1, v3
	s_delay_alu instid0(VALU_DEP_1) | instskip(NEXT) | instid1(VALU_DEP_1)
	v_trunc_f32_e32 v1, v1
	v_mul_f32_e64 v3, 0x2f800000, |v1|
	v_ashrrev_i32_e32 v8, 31, v1
	s_delay_alu instid0(VALU_DEP_2) | instskip(SKIP_1) | instid1(VALU_DEP_2)
	v_floor_f32_e32 v3, v3
	s_wait_xcnt 0x1
	v_mov_b32_e32 v9, v8
	s_delay_alu instid0(VALU_DEP_2) | instskip(SKIP_1) | instid1(VALU_DEP_2)
	v_fma_f32 v5, 0xcf800000, v3, |v1|
	v_cvt_u32_f32_e32 v1, v3
	v_cvt_u32_f32_e32 v3, v5
	s_delay_alu instid0(VALU_DEP_2) | instskip(NEXT) | instid1(VALU_DEP_2)
	v_xor_b32_e32 v51, v1, v8
	v_xor_b32_e32 v50, v3, v8
	s_delay_alu instid0(VALU_DEP_1)
	v_sub_nc_u64_e32 v[8:9], v[50:51], v[8:9]
.LBB63_2077:
	s_mov_b32 s9, -1
	s_mov_b32 s8, 0
	s_cbranch_execnz .LBB63_2088
.LBB63_2078:
	s_cmp_gt_i32 s0, 14
	s_cbranch_scc0 .LBB63_2081
; %bb.2079:
	s_cmp_eq_u32 s0, 15
	s_cbranch_scc0 .LBB63_2084
; %bb.2080:
	global_load_u16 v1, v[48:49], off
	s_mov_b32 s1, 0
	s_mov_b32 s9, -1
	s_wait_loadcnt 0x0
	v_lshlrev_b32_e32 v1, 16, v1
	s_delay_alu instid0(VALU_DEP_1) | instskip(NEXT) | instid1(VALU_DEP_1)
	v_trunc_f32_e32 v1, v1
	v_mul_f32_e64 v3, 0x2f800000, |v1|
	v_ashrrev_i32_e32 v8, 31, v1
	s_delay_alu instid0(VALU_DEP_2) | instskip(SKIP_1) | instid1(VALU_DEP_2)
	v_floor_f32_e32 v3, v3
	s_wait_xcnt 0x1
	v_mov_b32_e32 v9, v8
	s_delay_alu instid0(VALU_DEP_2) | instskip(SKIP_1) | instid1(VALU_DEP_2)
	v_fma_f32 v5, 0xcf800000, v3, |v1|
	v_cvt_u32_f32_e32 v1, v3
	v_cvt_u32_f32_e32 v3, v5
	s_delay_alu instid0(VALU_DEP_2) | instskip(NEXT) | instid1(VALU_DEP_2)
	v_xor_b32_e32 v51, v1, v8
	v_xor_b32_e32 v50, v3, v8
	s_delay_alu instid0(VALU_DEP_1)
	v_sub_nc_u64_e32 v[8:9], v[50:51], v[8:9]
	s_branch .LBB63_2086
.LBB63_2081:
	s_mov_b32 s8, -1
	s_branch .LBB63_2085
.LBB63_2082:
	s_and_not1_saveexec_b32 s8, s8
	s_cbranch_execz .LBB63_2064
.LBB63_2083:
	v_cmp_ne_u16_e32 vcc_lo, 0, v1
	s_and_not1_b32 s9, s9, exec_lo
	s_and_b32 s10, vcc_lo, exec_lo
	s_delay_alu instid0(SALU_CYCLE_1)
	s_or_b32 s9, s9, s10
	s_or_b32 exec_lo, exec_lo, s8
	v_mov_b64_e32 v[8:9], 0
	s_and_saveexec_b32 s8, s9
	s_cbranch_execnz .LBB63_2065
	s_branch .LBB63_2066
.LBB63_2084:
	s_mov_b32 s1, -1
.LBB63_2085:
                                        ; implicit-def: $vgpr8_vgpr9
.LBB63_2086:
	s_and_b32 vcc_lo, exec_lo, s8
	s_mov_b32 s8, 0
	s_cbranch_vccz .LBB63_2088
; %bb.2087:
	s_cmp_lg_u32 s0, 11
	s_mov_b32 s8, -1
	s_cselect_b32 s1, -1, 0
.LBB63_2088:
	s_delay_alu instid0(SALU_CYCLE_1)
	s_and_b32 vcc_lo, exec_lo, s1
	s_mov_b32 s33, s36
	s_cbranch_vccnz .LBB63_2149
; %bb.2089:
	s_and_not1_b32 vcc_lo, exec_lo, s8
	s_cbranch_vccnz .LBB63_2091
.LBB63_2090:
	global_load_u8 v1, v[48:49], off
	s_mov_b32 s0, 0
	s_mov_b32 s9, -1
	s_wait_loadcnt 0x1
	s_wait_xcnt 0x1
	v_mov_b32_e32 v9, s0
	s_wait_loadcnt 0x0
	v_cmp_ne_u16_e32 vcc_lo, 0, v1
	v_cndmask_b32_e64 v8, 0, 1, vcc_lo
.LBB63_2091:
	s_branch .LBB63_2027
.LBB63_2092:
	s_and_b32 s0, 0xffff, s34
	s_delay_alu instid0(SALU_CYCLE_1)
	s_cmp_lt_i32 s0, 5
	s_cbranch_scc1 .LBB63_2097
; %bb.2093:
	s_cmp_lt_i32 s0, 8
	s_cbranch_scc1 .LBB63_2098
; %bb.2094:
	;; [unrolled: 3-line block ×3, first 2 shown]
	s_cmp_gt_i32 s0, 9
	s_cbranch_scc0 .LBB63_2100
; %bb.2096:
	s_wait_loadcnt 0x0
	global_load_b64 v[8:9], v[48:49], off
	s_mov_b32 s1, 0
	s_wait_loadcnt 0x0
	v_trunc_f64_e32 v[8:9], v[8:9]
	s_delay_alu instid0(VALU_DEP_1) | instskip(NEXT) | instid1(VALU_DEP_1)
	v_ldexp_f64 v[50:51], v[8:9], 0xffffffe0
	v_floor_f64_e32 v[50:51], v[50:51]
	s_delay_alu instid0(VALU_DEP_1) | instskip(SKIP_1) | instid1(VALU_DEP_2)
	v_fmamk_f64 v[52:53], v[50:51], 0xc1f00000, v[8:9]
	v_cvt_i32_f64_e32 v9, v[50:51]
	v_cvt_u32_f64_e32 v8, v[52:53]
	s_branch .LBB63_2101
.LBB63_2097:
                                        ; implicit-def: $vgpr8_vgpr9
	s_branch .LBB63_2118
.LBB63_2098:
                                        ; implicit-def: $vgpr8_vgpr9
	s_branch .LBB63_2107
.LBB63_2099:
	s_mov_b32 s1, -1
                                        ; implicit-def: $vgpr8_vgpr9
	s_branch .LBB63_2104
.LBB63_2100:
	s_mov_b32 s1, -1
                                        ; implicit-def: $vgpr8_vgpr9
.LBB63_2101:
	s_delay_alu instid0(SALU_CYCLE_1)
	s_and_not1_b32 vcc_lo, exec_lo, s1
	s_cbranch_vccnz .LBB63_2103
; %bb.2102:
	global_load_b32 v1, v[48:49], off
	s_wait_loadcnt 0x0
	v_trunc_f32_e32 v1, v1
	s_delay_alu instid0(VALU_DEP_1) | instskip(SKIP_1) | instid1(VALU_DEP_2)
	v_mul_f32_e64 v3, 0x2f800000, |v1|
	v_ashrrev_i32_e32 v8, 31, v1
	v_floor_f32_e32 v3, v3
	s_delay_alu instid0(VALU_DEP_1) | instskip(SKIP_3) | instid1(VALU_DEP_3)
	v_fma_f32 v5, 0xcf800000, v3, |v1|
	v_cvt_u32_f32_e32 v1, v3
	s_wait_xcnt 0x1
	v_mov_b32_e32 v9, v8
	v_cvt_u32_f32_e32 v3, v5
	s_delay_alu instid0(VALU_DEP_3) | instskip(NEXT) | instid1(VALU_DEP_2)
	v_xor_b32_e32 v51, v1, v8
	v_xor_b32_e32 v50, v3, v8
	s_delay_alu instid0(VALU_DEP_1)
	v_sub_nc_u64_e32 v[8:9], v[50:51], v[8:9]
.LBB63_2103:
	s_mov_b32 s1, 0
.LBB63_2104:
	s_delay_alu instid0(SALU_CYCLE_1)
	s_and_not1_b32 vcc_lo, exec_lo, s1
	s_cbranch_vccnz .LBB63_2106
; %bb.2105:
	global_load_b32 v1, v[48:49], off
	s_wait_loadcnt 0x0
	v_cvt_f32_f16_e32 v1, v1
	s_delay_alu instid0(VALU_DEP_1) | instskip(SKIP_1) | instid1(VALU_DEP_1)
	v_cvt_i32_f32_e32 v8, v1
	s_wait_xcnt 0x1
	v_ashrrev_i32_e32 v9, 31, v8
.LBB63_2106:
	s_cbranch_execnz .LBB63_2117
.LBB63_2107:
	s_cmp_lt_i32 s0, 6
	s_cbranch_scc1 .LBB63_2110
; %bb.2108:
	s_cmp_gt_i32 s0, 6
	s_cbranch_scc0 .LBB63_2111
; %bb.2109:
	s_wait_loadcnt 0x0
	global_load_b64 v[8:9], v[48:49], off
	s_mov_b32 s1, 0
	s_wait_loadcnt 0x0
	v_trunc_f64_e32 v[8:9], v[8:9]
	s_delay_alu instid0(VALU_DEP_1) | instskip(NEXT) | instid1(VALU_DEP_1)
	v_ldexp_f64 v[50:51], v[8:9], 0xffffffe0
	v_floor_f64_e32 v[50:51], v[50:51]
	s_delay_alu instid0(VALU_DEP_1) | instskip(SKIP_1) | instid1(VALU_DEP_2)
	v_fmamk_f64 v[52:53], v[50:51], 0xc1f00000, v[8:9]
	v_cvt_i32_f64_e32 v9, v[50:51]
	v_cvt_u32_f64_e32 v8, v[52:53]
	s_branch .LBB63_2112
.LBB63_2110:
	s_mov_b32 s1, -1
                                        ; implicit-def: $vgpr8_vgpr9
	s_branch .LBB63_2115
.LBB63_2111:
	s_mov_b32 s1, -1
                                        ; implicit-def: $vgpr8_vgpr9
.LBB63_2112:
	s_delay_alu instid0(SALU_CYCLE_1)
	s_and_not1_b32 vcc_lo, exec_lo, s1
	s_cbranch_vccnz .LBB63_2114
; %bb.2113:
	global_load_b32 v1, v[48:49], off
	s_wait_loadcnt 0x0
	v_trunc_f32_e32 v1, v1
	s_delay_alu instid0(VALU_DEP_1) | instskip(SKIP_1) | instid1(VALU_DEP_2)
	v_mul_f32_e64 v3, 0x2f800000, |v1|
	v_ashrrev_i32_e32 v8, 31, v1
	v_floor_f32_e32 v3, v3
	s_delay_alu instid0(VALU_DEP_1) | instskip(SKIP_3) | instid1(VALU_DEP_3)
	v_fma_f32 v5, 0xcf800000, v3, |v1|
	v_cvt_u32_f32_e32 v1, v3
	s_wait_xcnt 0x1
	v_mov_b32_e32 v9, v8
	v_cvt_u32_f32_e32 v3, v5
	s_delay_alu instid0(VALU_DEP_3) | instskip(NEXT) | instid1(VALU_DEP_2)
	v_xor_b32_e32 v51, v1, v8
	v_xor_b32_e32 v50, v3, v8
	s_delay_alu instid0(VALU_DEP_1)
	v_sub_nc_u64_e32 v[8:9], v[50:51], v[8:9]
.LBB63_2114:
	s_mov_b32 s1, 0
.LBB63_2115:
	s_delay_alu instid0(SALU_CYCLE_1)
	s_and_not1_b32 vcc_lo, exec_lo, s1
	s_cbranch_vccnz .LBB63_2117
; %bb.2116:
	global_load_u16 v1, v[48:49], off
	s_wait_loadcnt 0x0
	v_cvt_f32_f16_e32 v1, v1
	s_delay_alu instid0(VALU_DEP_1) | instskip(SKIP_1) | instid1(VALU_DEP_1)
	v_cvt_i32_f32_e32 v8, v1
	s_wait_xcnt 0x1
	v_ashrrev_i32_e32 v9, 31, v8
.LBB63_2117:
	s_cbranch_execnz .LBB63_2136
.LBB63_2118:
	s_cmp_lt_i32 s0, 2
	s_cbranch_scc1 .LBB63_2122
; %bb.2119:
	s_cmp_lt_i32 s0, 3
	s_cbranch_scc1 .LBB63_2123
; %bb.2120:
	s_cmp_gt_i32 s0, 3
	s_cbranch_scc0 .LBB63_2124
; %bb.2121:
	s_wait_loadcnt 0x0
	global_load_b64 v[8:9], v[48:49], off
	s_mov_b32 s1, 0
	s_branch .LBB63_2125
.LBB63_2122:
                                        ; implicit-def: $vgpr8_vgpr9
	s_branch .LBB63_2131
.LBB63_2123:
	s_mov_b32 s1, -1
                                        ; implicit-def: $vgpr8_vgpr9
	s_branch .LBB63_2128
.LBB63_2124:
	s_mov_b32 s1, -1
                                        ; implicit-def: $vgpr8_vgpr9
.LBB63_2125:
	s_delay_alu instid0(SALU_CYCLE_1)
	s_and_not1_b32 vcc_lo, exec_lo, s1
	s_cbranch_vccnz .LBB63_2127
; %bb.2126:
	s_wait_loadcnt 0x0
	global_load_b32 v8, v[48:49], off
	s_wait_loadcnt 0x0
	s_wait_xcnt 0x1
	v_ashrrev_i32_e32 v9, 31, v8
.LBB63_2127:
	s_mov_b32 s1, 0
.LBB63_2128:
	s_delay_alu instid0(SALU_CYCLE_1)
	s_and_not1_b32 vcc_lo, exec_lo, s1
	s_cbranch_vccnz .LBB63_2130
; %bb.2129:
	global_load_u16 v1, v[48:49], off
	s_wait_loadcnt 0x0
	v_bfe_i32 v8, v1, 0, 16
	s_wait_xcnt 0x1
	s_delay_alu instid0(VALU_DEP_1)
	v_ashrrev_i32_e32 v9, 31, v8
.LBB63_2130:
	s_cbranch_execnz .LBB63_2136
.LBB63_2131:
	s_cmp_gt_i32 s0, 0
	s_mov_b32 s0, 0
	s_cbranch_scc0 .LBB63_2133
; %bb.2132:
	global_load_i8 v1, v[48:49], off
	s_wait_loadcnt 0x0
	v_bfe_i32 v8, v1, 0, 16
	s_wait_xcnt 0x1
	s_delay_alu instid0(VALU_DEP_1)
	v_ashrrev_i32_e32 v9, 31, v8
	s_branch .LBB63_2134
.LBB63_2133:
	s_mov_b32 s0, -1
                                        ; implicit-def: $vgpr8_vgpr9
.LBB63_2134:
	s_delay_alu instid0(SALU_CYCLE_1)
	s_and_not1_b32 vcc_lo, exec_lo, s0
	s_cbranch_vccnz .LBB63_2136
; %bb.2135:
	global_load_u8 v1, v[48:49], off
	s_mov_b32 s0, 0
	s_wait_loadcnt 0x1
	s_wait_xcnt 0x1
	v_mov_b32_e32 v9, s0
	s_wait_loadcnt 0x0
	v_and_b32_e32 v8, 0xffff, v1
.LBB63_2136:
.LBB63_2137:
	v_mov_b32_e32 v13, 0
	s_load_b64 s[10:11], s[2:3], 0x258
	global_load_u8 v1, v13, s[2:3] offset:690
	s_wait_kmcnt 0x0
	v_add_nc_u64_e32 v[48:49], s[10:11], v[12:13]
	s_wait_loadcnt 0x0
	v_and_b32_e32 v3, 0xffff, v1
	v_readfirstlane_b32 s35, v1
	s_delay_alu instid0(VALU_DEP_2)
	v_cmp_gt_i32_e32 vcc_lo, 11, v3
	s_cbranch_vccnz .LBB63_2144
; %bb.2138:
	s_and_b32 s0, 0xffff, s35
	s_mov_b32 s8, 0
	s_cmp_gt_i32 s0, 25
	s_cbranch_scc0 .LBB63_2146
; %bb.2139:
	s_cmp_gt_i32 s0, 28
	s_cbranch_scc0 .LBB63_2147
; %bb.2140:
	;; [unrolled: 3-line block ×4, first 2 shown]
	s_cmp_eq_u32 s0, 46
	s_mov_b32 s12, 0
	s_cbranch_scc0 .LBB63_2151
; %bb.2143:
	global_load_b32 v1, v[48:49], off
	s_mov_b32 s1, 0
	s_mov_b32 s9, -1
	s_wait_loadcnt 0x0
	v_lshlrev_b32_e32 v1, 16, v1
	s_delay_alu instid0(VALU_DEP_1) | instskip(NEXT) | instid1(VALU_DEP_1)
	v_trunc_f32_e32 v1, v1
	v_mul_f32_e64 v3, 0x2f800000, |v1|
	v_ashrrev_i32_e32 v12, 31, v1
	s_delay_alu instid0(VALU_DEP_2) | instskip(SKIP_1) | instid1(VALU_DEP_2)
	v_floor_f32_e32 v3, v3
	s_wait_xcnt 0x1
	v_mov_b32_e32 v13, v12
	s_delay_alu instid0(VALU_DEP_2) | instskip(SKIP_1) | instid1(VALU_DEP_2)
	v_fma_f32 v5, 0xcf800000, v3, |v1|
	v_cvt_u32_f32_e32 v1, v3
	v_cvt_u32_f32_e32 v3, v5
	s_delay_alu instid0(VALU_DEP_2) | instskip(NEXT) | instid1(VALU_DEP_2)
	v_xor_b32_e32 v51, v1, v12
	v_xor_b32_e32 v50, v3, v12
	s_delay_alu instid0(VALU_DEP_1)
	v_sub_nc_u64_e32 v[12:13], v[50:51], v[12:13]
	s_branch .LBB63_2153
.LBB63_2144:
	s_mov_b32 s9, 0
                                        ; implicit-def: $vgpr12_vgpr13
	s_cbranch_execnz .LBB63_2214
.LBB63_2145:
	s_and_not1_b32 vcc_lo, exec_lo, s9
	s_cbranch_vccnz .LBB63_2649
	s_branch .LBB63_2261
.LBB63_2146:
	s_mov_b32 s9, 0
	s_mov_b32 s1, 0
                                        ; implicit-def: $vgpr12_vgpr13
	s_cbranch_execnz .LBB63_2180
	s_branch .LBB63_2210
.LBB63_2147:
	s_mov_b32 s12, -1
	s_mov_b32 s9, 0
	s_mov_b32 s1, 0
                                        ; implicit-def: $vgpr12_vgpr13
	s_branch .LBB63_2163
.LBB63_2148:
	s_mov_b32 s12, -1
	s_mov_b32 s9, 0
	s_mov_b32 s1, 0
                                        ; implicit-def: $vgpr12_vgpr13
	s_branch .LBB63_2158
.LBB63_2149:
	s_or_b32 s33, s36, exec_lo
	s_trap 2
	s_cbranch_execz .LBB63_2090
	s_branch .LBB63_2091
.LBB63_2150:
	s_mov_b32 s12, -1
	s_mov_b32 s9, 0
	s_mov_b32 s1, 0
	s_branch .LBB63_2152
.LBB63_2151:
	s_mov_b32 s1, -1
	s_mov_b32 s9, 0
.LBB63_2152:
                                        ; implicit-def: $vgpr12_vgpr13
.LBB63_2153:
	s_and_b32 vcc_lo, exec_lo, s12
	s_cbranch_vccz .LBB63_2157
; %bb.2154:
	s_cmp_eq_u32 s0, 44
	s_cbranch_scc0 .LBB63_2156
; %bb.2155:
	global_load_u8 v1, v[48:49], off
	s_mov_b32 s1, 0
	s_mov_b32 s9, -1
	s_wait_loadcnt 0x0
	v_lshlrev_b32_e32 v3, 23, v1
	v_cmp_ne_u32_e32 vcc_lo, 0, v1
	s_delay_alu instid0(VALU_DEP_2) | instskip(NEXT) | instid1(VALU_DEP_1)
	v_trunc_f32_e32 v3, v3
	v_mul_f32_e64 v5, 0x2f800000, |v3|
	v_ashrrev_i32_e32 v12, 31, v3
	s_delay_alu instid0(VALU_DEP_2) | instskip(SKIP_1) | instid1(VALU_DEP_2)
	v_floor_f32_e32 v5, v5
	s_wait_xcnt 0x1
	v_mov_b32_e32 v13, v12
	s_delay_alu instid0(VALU_DEP_2) | instskip(SKIP_1) | instid1(VALU_DEP_2)
	v_fma_f32 v7, 0xcf800000, v5, |v3|
	v_cvt_u32_f32_e32 v3, v5
	v_cvt_u32_f32_e32 v5, v7
	s_delay_alu instid0(VALU_DEP_2) | instskip(NEXT) | instid1(VALU_DEP_2)
	v_xor_b32_e32 v51, v3, v12
	v_xor_b32_e32 v50, v5, v12
	s_delay_alu instid0(VALU_DEP_1) | instskip(NEXT) | instid1(VALU_DEP_1)
	v_sub_nc_u64_e32 v[12:13], v[50:51], v[12:13]
	v_dual_cndmask_b32 v13, 0, v13 :: v_dual_cndmask_b32 v12, 0, v12
	s_branch .LBB63_2157
.LBB63_2156:
	s_mov_b32 s1, -1
                                        ; implicit-def: $vgpr12_vgpr13
.LBB63_2157:
	s_mov_b32 s12, 0
.LBB63_2158:
	s_delay_alu instid0(SALU_CYCLE_1)
	s_and_b32 vcc_lo, exec_lo, s12
	s_cbranch_vccz .LBB63_2162
; %bb.2159:
	s_cmp_eq_u32 s0, 29
	s_cbranch_scc0 .LBB63_2161
; %bb.2160:
	global_load_b64 v[12:13], v[48:49], off
	s_mov_b32 s1, 0
	s_mov_b32 s9, -1
	s_branch .LBB63_2162
.LBB63_2161:
	s_mov_b32 s1, -1
                                        ; implicit-def: $vgpr12_vgpr13
.LBB63_2162:
	s_mov_b32 s12, 0
.LBB63_2163:
	s_delay_alu instid0(SALU_CYCLE_1)
	s_and_b32 vcc_lo, exec_lo, s12
	s_cbranch_vccz .LBB63_2179
; %bb.2164:
	s_cmp_lt_i32 s0, 27
	s_cbranch_scc1 .LBB63_2167
; %bb.2165:
	s_cmp_gt_i32 s0, 27
	s_cbranch_scc0 .LBB63_2168
; %bb.2166:
	s_wait_loadcnt 0x0
	global_load_b32 v12, v[48:49], off
	s_wait_xcnt 0x1
	v_mov_b32_e32 v13, 0
	s_mov_b32 s9, 0
	s_branch .LBB63_2169
.LBB63_2167:
	s_mov_b32 s9, -1
                                        ; implicit-def: $vgpr12_vgpr13
	s_branch .LBB63_2172
.LBB63_2168:
	s_mov_b32 s9, -1
                                        ; implicit-def: $vgpr12_vgpr13
.LBB63_2169:
	s_delay_alu instid0(SALU_CYCLE_1)
	s_and_not1_b32 vcc_lo, exec_lo, s9
	s_cbranch_vccnz .LBB63_2171
; %bb.2170:
	global_load_u16 v1, v[48:49], off
	s_mov_b32 s9, 0
	s_wait_loadcnt 0x1
	s_wait_xcnt 0x1
	v_mov_b32_e32 v13, s9
	s_wait_loadcnt 0x0
	v_and_b32_e32 v12, 0xffff, v1
.LBB63_2171:
	s_mov_b32 s9, 0
.LBB63_2172:
	s_delay_alu instid0(SALU_CYCLE_1)
	s_and_not1_b32 vcc_lo, exec_lo, s9
	s_cbranch_vccnz .LBB63_2178
; %bb.2173:
	global_load_u8 v1, v[48:49], off
	s_mov_b32 s12, 0
	s_mov_b32 s9, exec_lo
	s_wait_loadcnt 0x0
	v_cmpx_lt_i16_e32 0x7f, v1
	s_xor_b32 s9, exec_lo, s9
	s_cbranch_execz .LBB63_2189
; %bb.2174:
	v_cmp_ne_u16_e32 vcc_lo, 0x80, v1
	s_and_b32 s12, vcc_lo, exec_lo
	s_and_not1_saveexec_b32 s9, s9
	s_cbranch_execnz .LBB63_2190
.LBB63_2175:
	s_or_b32 exec_lo, exec_lo, s9
	v_mov_b64_e32 v[12:13], 0
	s_and_saveexec_b32 s9, s12
	s_cbranch_execz .LBB63_2177
.LBB63_2176:
	v_and_b32_e32 v3, 0xffff, v1
	s_delay_alu instid0(VALU_DEP_1) | instskip(SKIP_1) | instid1(VALU_DEP_2)
	v_dual_lshlrev_b32 v1, 24, v1 :: v_dual_bitop2_b32 v5, 7, v3 bitop3:0x40
	v_bfe_u32 v12, v3, 3, 4
	v_and_b32_e32 v1, 0x80000000, v1
	s_delay_alu instid0(VALU_DEP_3) | instskip(NEXT) | instid1(VALU_DEP_3)
	v_clz_i32_u32_e32 v7, v5
	v_cmp_eq_u32_e32 vcc_lo, 0, v12
	s_delay_alu instid0(VALU_DEP_2) | instskip(NEXT) | instid1(VALU_DEP_1)
	v_min_u32_e32 v7, 32, v7
	v_subrev_nc_u32_e32 v11, 28, v7
	v_sub_nc_u32_e32 v7, 29, v7
	s_delay_alu instid0(VALU_DEP_2) | instskip(NEXT) | instid1(VALU_DEP_2)
	v_lshlrev_b32_e32 v3, v11, v3
	v_cndmask_b32_e32 v7, v12, v7, vcc_lo
	s_delay_alu instid0(VALU_DEP_2) | instskip(NEXT) | instid1(VALU_DEP_1)
	v_and_b32_e32 v3, 7, v3
	v_cndmask_b32_e32 v3, v5, v3, vcc_lo
	s_delay_alu instid0(VALU_DEP_3) | instskip(NEXT) | instid1(VALU_DEP_2)
	v_lshl_add_u32 v5, v7, 23, 0x3b800000
	v_lshlrev_b32_e32 v3, 20, v3
	s_delay_alu instid0(VALU_DEP_1) | instskip(NEXT) | instid1(VALU_DEP_1)
	v_or3_b32 v1, v1, v5, v3
	v_trunc_f32_e32 v1, v1
	s_delay_alu instid0(VALU_DEP_1) | instskip(SKIP_1) | instid1(VALU_DEP_2)
	v_mul_f32_e64 v3, 0x2f800000, |v1|
	v_ashrrev_i32_e32 v12, 31, v1
	v_floor_f32_e32 v3, v3
	s_delay_alu instid0(VALU_DEP_2) | instskip(NEXT) | instid1(VALU_DEP_2)
	v_mov_b32_e32 v13, v12
	v_fma_f32 v5, 0xcf800000, v3, |v1|
	v_cvt_u32_f32_e32 v1, v3
	s_delay_alu instid0(VALU_DEP_2) | instskip(NEXT) | instid1(VALU_DEP_2)
	v_cvt_u32_f32_e32 v3, v5
	v_xor_b32_e32 v51, v1, v12
	s_delay_alu instid0(VALU_DEP_2) | instskip(NEXT) | instid1(VALU_DEP_1)
	v_xor_b32_e32 v50, v3, v12
	v_sub_nc_u64_e32 v[12:13], v[50:51], v[12:13]
.LBB63_2177:
	s_or_b32 exec_lo, exec_lo, s9
.LBB63_2178:
	s_mov_b32 s9, -1
.LBB63_2179:
	s_branch .LBB63_2210
.LBB63_2180:
	s_cmp_gt_i32 s0, 22
	s_cbranch_scc0 .LBB63_2188
; %bb.2181:
	s_cmp_lt_i32 s0, 24
	s_cbranch_scc1 .LBB63_2191
; %bb.2182:
	s_cmp_gt_i32 s0, 24
	s_cbranch_scc0 .LBB63_2192
; %bb.2183:
	global_load_u8 v1, v[48:49], off
	s_mov_b32 s9, 0
	s_mov_b32 s8, exec_lo
	s_wait_loadcnt 0x0
	v_cmpx_lt_i16_e32 0x7f, v1
	s_xor_b32 s8, exec_lo, s8
	s_cbranch_execz .LBB63_2204
; %bb.2184:
	v_cmp_ne_u16_e32 vcc_lo, 0x80, v1
	s_and_b32 s9, vcc_lo, exec_lo
	s_and_not1_saveexec_b32 s8, s8
	s_cbranch_execnz .LBB63_2205
.LBB63_2185:
	s_or_b32 exec_lo, exec_lo, s8
	v_mov_b64_e32 v[12:13], 0
	s_and_saveexec_b32 s8, s9
	s_cbranch_execz .LBB63_2187
.LBB63_2186:
	v_and_b32_e32 v3, 0xffff, v1
	s_delay_alu instid0(VALU_DEP_1) | instskip(SKIP_1) | instid1(VALU_DEP_2)
	v_dual_lshlrev_b32 v1, 24, v1 :: v_dual_bitop2_b32 v5, 3, v3 bitop3:0x40
	v_bfe_u32 v12, v3, 2, 5
	v_and_b32_e32 v1, 0x80000000, v1
	s_delay_alu instid0(VALU_DEP_3) | instskip(NEXT) | instid1(VALU_DEP_3)
	v_clz_i32_u32_e32 v7, v5
	v_cmp_eq_u32_e32 vcc_lo, 0, v12
	s_delay_alu instid0(VALU_DEP_2) | instskip(NEXT) | instid1(VALU_DEP_1)
	v_min_u32_e32 v7, 32, v7
	v_subrev_nc_u32_e32 v11, 29, v7
	v_sub_nc_u32_e32 v7, 30, v7
	s_delay_alu instid0(VALU_DEP_2) | instskip(NEXT) | instid1(VALU_DEP_2)
	v_lshlrev_b32_e32 v3, v11, v3
	v_cndmask_b32_e32 v7, v12, v7, vcc_lo
	s_delay_alu instid0(VALU_DEP_2) | instskip(NEXT) | instid1(VALU_DEP_1)
	v_and_b32_e32 v3, 3, v3
	v_cndmask_b32_e32 v3, v5, v3, vcc_lo
	s_delay_alu instid0(VALU_DEP_3) | instskip(NEXT) | instid1(VALU_DEP_2)
	v_lshl_add_u32 v5, v7, 23, 0x37800000
	v_lshlrev_b32_e32 v3, 21, v3
	s_delay_alu instid0(VALU_DEP_1) | instskip(NEXT) | instid1(VALU_DEP_1)
	v_or3_b32 v1, v1, v5, v3
	v_trunc_f32_e32 v1, v1
	s_delay_alu instid0(VALU_DEP_1) | instskip(SKIP_1) | instid1(VALU_DEP_2)
	v_mul_f32_e64 v3, 0x2f800000, |v1|
	v_ashrrev_i32_e32 v12, 31, v1
	v_floor_f32_e32 v3, v3
	s_delay_alu instid0(VALU_DEP_2) | instskip(NEXT) | instid1(VALU_DEP_2)
	v_mov_b32_e32 v13, v12
	v_fma_f32 v5, 0xcf800000, v3, |v1|
	v_cvt_u32_f32_e32 v1, v3
	s_delay_alu instid0(VALU_DEP_2) | instskip(NEXT) | instid1(VALU_DEP_2)
	v_cvt_u32_f32_e32 v3, v5
	v_xor_b32_e32 v51, v1, v12
	s_delay_alu instid0(VALU_DEP_2) | instskip(NEXT) | instid1(VALU_DEP_1)
	v_xor_b32_e32 v50, v3, v12
	v_sub_nc_u64_e32 v[12:13], v[50:51], v[12:13]
.LBB63_2187:
	s_or_b32 exec_lo, exec_lo, s8
	s_mov_b32 s8, 0
	s_branch .LBB63_2193
.LBB63_2188:
	s_mov_b32 s8, -1
                                        ; implicit-def: $vgpr12_vgpr13
	s_branch .LBB63_2199
.LBB63_2189:
	s_and_not1_saveexec_b32 s9, s9
	s_cbranch_execz .LBB63_2175
.LBB63_2190:
	v_cmp_ne_u16_e32 vcc_lo, 0, v1
	s_and_not1_b32 s12, s12, exec_lo
	s_and_b32 s13, vcc_lo, exec_lo
	s_delay_alu instid0(SALU_CYCLE_1)
	s_or_b32 s12, s12, s13
	s_or_b32 exec_lo, exec_lo, s9
	v_mov_b64_e32 v[12:13], 0
	s_and_saveexec_b32 s9, s12
	s_cbranch_execnz .LBB63_2176
	s_branch .LBB63_2177
.LBB63_2191:
	s_mov_b32 s8, -1
                                        ; implicit-def: $vgpr12_vgpr13
	s_branch .LBB63_2196
.LBB63_2192:
	s_mov_b32 s8, -1
                                        ; implicit-def: $vgpr12_vgpr13
.LBB63_2193:
	s_delay_alu instid0(SALU_CYCLE_1)
	s_and_b32 vcc_lo, exec_lo, s8
	s_cbranch_vccz .LBB63_2195
; %bb.2194:
	global_load_u8 v1, v[48:49], off
	s_wait_loadcnt 0x0
	v_lshlrev_b32_e32 v1, 24, v1
	s_delay_alu instid0(VALU_DEP_1) | instskip(NEXT) | instid1(VALU_DEP_1)
	v_and_b32_e32 v3, 0x7f000000, v1
	v_clz_i32_u32_e32 v5, v3
	v_add_nc_u32_e32 v11, 0x1000000, v3
	v_cmp_ne_u32_e32 vcc_lo, 0, v3
	s_delay_alu instid0(VALU_DEP_3) | instskip(NEXT) | instid1(VALU_DEP_1)
	v_min_u32_e32 v5, 32, v5
	v_sub_nc_u32_e64 v5, v5, 4 clamp
	s_delay_alu instid0(VALU_DEP_1) | instskip(NEXT) | instid1(VALU_DEP_1)
	v_dual_lshlrev_b32 v7, v5, v3 :: v_dual_lshlrev_b32 v5, 23, v5
	v_lshrrev_b32_e32 v7, 4, v7
	s_delay_alu instid0(VALU_DEP_1) | instskip(NEXT) | instid1(VALU_DEP_1)
	v_dual_sub_nc_u32 v5, v7, v5 :: v_dual_ashrrev_i32 v7, 8, v11
	v_add_nc_u32_e32 v5, 0x3c000000, v5
	s_delay_alu instid0(VALU_DEP_1) | instskip(NEXT) | instid1(VALU_DEP_1)
	v_and_or_b32 v5, 0x7f800000, v7, v5
	v_cndmask_b32_e32 v3, 0, v5, vcc_lo
	s_delay_alu instid0(VALU_DEP_1) | instskip(NEXT) | instid1(VALU_DEP_1)
	v_and_or_b32 v1, 0x80000000, v1, v3
	v_trunc_f32_e32 v1, v1
	s_delay_alu instid0(VALU_DEP_1) | instskip(SKIP_1) | instid1(VALU_DEP_2)
	v_mul_f32_e64 v3, 0x2f800000, |v1|
	v_ashrrev_i32_e32 v12, 31, v1
	v_floor_f32_e32 v3, v3
	s_wait_xcnt 0x1
	s_delay_alu instid0(VALU_DEP_2) | instskip(NEXT) | instid1(VALU_DEP_2)
	v_mov_b32_e32 v13, v12
	v_fma_f32 v5, 0xcf800000, v3, |v1|
	v_cvt_u32_f32_e32 v1, v3
	s_delay_alu instid0(VALU_DEP_2) | instskip(NEXT) | instid1(VALU_DEP_2)
	v_cvt_u32_f32_e32 v3, v5
	v_xor_b32_e32 v51, v1, v12
	s_delay_alu instid0(VALU_DEP_2) | instskip(NEXT) | instid1(VALU_DEP_1)
	v_xor_b32_e32 v50, v3, v12
	v_sub_nc_u64_e32 v[12:13], v[50:51], v[12:13]
.LBB63_2195:
	s_mov_b32 s8, 0
.LBB63_2196:
	s_delay_alu instid0(SALU_CYCLE_1)
	s_and_not1_b32 vcc_lo, exec_lo, s8
	s_cbranch_vccnz .LBB63_2198
; %bb.2197:
	global_load_u8 v1, v[48:49], off
	s_wait_loadcnt 0x0
	v_lshlrev_b32_e32 v3, 25, v1
	v_lshlrev_b16 v1, 8, v1
	s_delay_alu instid0(VALU_DEP_1) | instskip(SKIP_1) | instid1(VALU_DEP_2)
	v_and_or_b32 v7, 0x7f00, v1, 0.5
	v_bfe_i32 v1, v1, 0, 16
	v_add_f32_e32 v7, -0.5, v7
	v_lshrrev_b32_e32 v5, 4, v3
	v_cmp_gt_u32_e32 vcc_lo, 0x8000000, v3
	s_delay_alu instid0(VALU_DEP_2) | instskip(NEXT) | instid1(VALU_DEP_1)
	v_or_b32_e32 v5, 0x70000000, v5
	v_mul_f32_e32 v5, 0x7800000, v5
	s_delay_alu instid0(VALU_DEP_1) | instskip(NEXT) | instid1(VALU_DEP_1)
	v_cndmask_b32_e32 v3, v5, v7, vcc_lo
	v_and_or_b32 v1, 0x80000000, v1, v3
	s_delay_alu instid0(VALU_DEP_1) | instskip(NEXT) | instid1(VALU_DEP_1)
	v_trunc_f32_e32 v1, v1
	v_mul_f32_e64 v3, 0x2f800000, |v1|
	v_ashrrev_i32_e32 v12, 31, v1
	s_delay_alu instid0(VALU_DEP_2) | instskip(SKIP_1) | instid1(VALU_DEP_2)
	v_floor_f32_e32 v3, v3
	s_wait_xcnt 0x1
	v_mov_b32_e32 v13, v12
	s_delay_alu instid0(VALU_DEP_2) | instskip(SKIP_1) | instid1(VALU_DEP_2)
	v_fma_f32 v5, 0xcf800000, v3, |v1|
	v_cvt_u32_f32_e32 v1, v3
	v_cvt_u32_f32_e32 v3, v5
	s_delay_alu instid0(VALU_DEP_2) | instskip(NEXT) | instid1(VALU_DEP_2)
	v_xor_b32_e32 v51, v1, v12
	v_xor_b32_e32 v50, v3, v12
	s_delay_alu instid0(VALU_DEP_1)
	v_sub_nc_u64_e32 v[12:13], v[50:51], v[12:13]
.LBB63_2198:
	s_mov_b32 s8, 0
	s_mov_b32 s9, -1
.LBB63_2199:
	s_and_not1_b32 vcc_lo, exec_lo, s8
	s_mov_b32 s8, 0
	s_cbranch_vccnz .LBB63_2210
; %bb.2200:
	s_cmp_gt_i32 s0, 14
	s_cbranch_scc0 .LBB63_2203
; %bb.2201:
	s_cmp_eq_u32 s0, 15
	s_cbranch_scc0 .LBB63_2206
; %bb.2202:
	global_load_u16 v1, v[48:49], off
	s_mov_b32 s1, 0
	s_mov_b32 s9, -1
	s_wait_loadcnt 0x0
	v_lshlrev_b32_e32 v1, 16, v1
	s_delay_alu instid0(VALU_DEP_1) | instskip(NEXT) | instid1(VALU_DEP_1)
	v_trunc_f32_e32 v1, v1
	v_mul_f32_e64 v3, 0x2f800000, |v1|
	v_ashrrev_i32_e32 v12, 31, v1
	s_delay_alu instid0(VALU_DEP_2) | instskip(SKIP_1) | instid1(VALU_DEP_2)
	v_floor_f32_e32 v3, v3
	s_wait_xcnt 0x1
	v_mov_b32_e32 v13, v12
	s_delay_alu instid0(VALU_DEP_2) | instskip(SKIP_1) | instid1(VALU_DEP_2)
	v_fma_f32 v5, 0xcf800000, v3, |v1|
	v_cvt_u32_f32_e32 v1, v3
	v_cvt_u32_f32_e32 v3, v5
	s_delay_alu instid0(VALU_DEP_2) | instskip(NEXT) | instid1(VALU_DEP_2)
	v_xor_b32_e32 v51, v1, v12
	v_xor_b32_e32 v50, v3, v12
	s_delay_alu instid0(VALU_DEP_1)
	v_sub_nc_u64_e32 v[12:13], v[50:51], v[12:13]
	s_branch .LBB63_2208
.LBB63_2203:
	s_mov_b32 s8, -1
	s_branch .LBB63_2207
.LBB63_2204:
	s_and_not1_saveexec_b32 s8, s8
	s_cbranch_execz .LBB63_2185
.LBB63_2205:
	v_cmp_ne_u16_e32 vcc_lo, 0, v1
	s_and_not1_b32 s9, s9, exec_lo
	s_and_b32 s12, vcc_lo, exec_lo
	s_delay_alu instid0(SALU_CYCLE_1)
	s_or_b32 s9, s9, s12
	s_or_b32 exec_lo, exec_lo, s8
	v_mov_b64_e32 v[12:13], 0
	s_and_saveexec_b32 s8, s9
	s_cbranch_execnz .LBB63_2186
	s_branch .LBB63_2187
.LBB63_2206:
	s_mov_b32 s1, -1
.LBB63_2207:
                                        ; implicit-def: $vgpr12_vgpr13
.LBB63_2208:
	s_and_b32 vcc_lo, exec_lo, s8
	s_mov_b32 s8, 0
	s_cbranch_vccz .LBB63_2210
; %bb.2209:
	s_cmp_lg_u32 s0, 11
	s_mov_b32 s8, -1
	s_cselect_b32 s1, -1, 0
.LBB63_2210:
	s_delay_alu instid0(SALU_CYCLE_1)
	s_and_b32 vcc_lo, exec_lo, s1
	s_cbranch_vccnz .LBB63_2273
; %bb.2211:
	s_and_not1_b32 vcc_lo, exec_lo, s8
	s_cbranch_vccnz .LBB63_2213
.LBB63_2212:
	global_load_u8 v1, v[48:49], off
	s_mov_b32 s0, 0
	s_mov_b32 s9, -1
	s_wait_loadcnt 0x1
	s_wait_xcnt 0x1
	v_mov_b32_e32 v13, s0
	s_wait_loadcnt 0x0
	v_cmp_ne_u16_e32 vcc_lo, 0, v1
	v_cndmask_b32_e64 v12, 0, 1, vcc_lo
.LBB63_2213:
	s_branch .LBB63_2145
.LBB63_2214:
	s_and_b32 s0, 0xffff, s35
	s_delay_alu instid0(SALU_CYCLE_1)
	s_cmp_lt_i32 s0, 5
	s_cbranch_scc1 .LBB63_2219
; %bb.2215:
	s_cmp_lt_i32 s0, 8
	s_cbranch_scc1 .LBB63_2220
; %bb.2216:
	;; [unrolled: 3-line block ×3, first 2 shown]
	s_cmp_gt_i32 s0, 9
	s_cbranch_scc0 .LBB63_2222
; %bb.2218:
	s_wait_loadcnt 0x0
	global_load_b64 v[12:13], v[48:49], off
	s_mov_b32 s1, 0
	s_wait_loadcnt 0x0
	v_trunc_f64_e32 v[12:13], v[12:13]
	s_delay_alu instid0(VALU_DEP_1) | instskip(NEXT) | instid1(VALU_DEP_1)
	v_ldexp_f64 v[50:51], v[12:13], 0xffffffe0
	v_floor_f64_e32 v[50:51], v[50:51]
	s_delay_alu instid0(VALU_DEP_1) | instskip(SKIP_1) | instid1(VALU_DEP_2)
	v_fmamk_f64 v[52:53], v[50:51], 0xc1f00000, v[12:13]
	v_cvt_i32_f64_e32 v13, v[50:51]
	v_cvt_u32_f64_e32 v12, v[52:53]
	s_branch .LBB63_2223
.LBB63_2219:
                                        ; implicit-def: $vgpr12_vgpr13
	s_branch .LBB63_2241
.LBB63_2220:
	s_mov_b32 s1, -1
                                        ; implicit-def: $vgpr12_vgpr13
	s_branch .LBB63_2229
.LBB63_2221:
	s_mov_b32 s1, -1
                                        ; implicit-def: $vgpr12_vgpr13
	s_branch .LBB63_2226
.LBB63_2222:
	s_mov_b32 s1, -1
                                        ; implicit-def: $vgpr12_vgpr13
.LBB63_2223:
	s_delay_alu instid0(SALU_CYCLE_1)
	s_and_not1_b32 vcc_lo, exec_lo, s1
	s_cbranch_vccnz .LBB63_2225
; %bb.2224:
	global_load_b32 v1, v[48:49], off
	s_wait_loadcnt 0x0
	v_trunc_f32_e32 v1, v1
	s_delay_alu instid0(VALU_DEP_1) | instskip(SKIP_1) | instid1(VALU_DEP_2)
	v_mul_f32_e64 v3, 0x2f800000, |v1|
	v_ashrrev_i32_e32 v12, 31, v1
	v_floor_f32_e32 v3, v3
	s_delay_alu instid0(VALU_DEP_1) | instskip(SKIP_3) | instid1(VALU_DEP_3)
	v_fma_f32 v5, 0xcf800000, v3, |v1|
	v_cvt_u32_f32_e32 v1, v3
	s_wait_xcnt 0x1
	v_mov_b32_e32 v13, v12
	v_cvt_u32_f32_e32 v3, v5
	s_delay_alu instid0(VALU_DEP_3) | instskip(NEXT) | instid1(VALU_DEP_2)
	v_xor_b32_e32 v51, v1, v12
	v_xor_b32_e32 v50, v3, v12
	s_delay_alu instid0(VALU_DEP_1)
	v_sub_nc_u64_e32 v[12:13], v[50:51], v[12:13]
.LBB63_2225:
	s_mov_b32 s1, 0
.LBB63_2226:
	s_delay_alu instid0(SALU_CYCLE_1)
	s_and_not1_b32 vcc_lo, exec_lo, s1
	s_cbranch_vccnz .LBB63_2228
; %bb.2227:
	global_load_b32 v1, v[48:49], off
	s_wait_loadcnt 0x0
	v_cvt_f32_f16_e32 v1, v1
	s_delay_alu instid0(VALU_DEP_1) | instskip(SKIP_1) | instid1(VALU_DEP_1)
	v_cvt_i32_f32_e32 v12, v1
	s_wait_xcnt 0x1
	v_ashrrev_i32_e32 v13, 31, v12
.LBB63_2228:
	s_mov_b32 s1, 0
.LBB63_2229:
	s_delay_alu instid0(SALU_CYCLE_1)
	s_and_not1_b32 vcc_lo, exec_lo, s1
	s_cbranch_vccnz .LBB63_2240
; %bb.2230:
	s_cmp_lt_i32 s0, 6
	s_cbranch_scc1 .LBB63_2233
; %bb.2231:
	s_cmp_gt_i32 s0, 6
	s_cbranch_scc0 .LBB63_2234
; %bb.2232:
	s_wait_loadcnt 0x0
	global_load_b64 v[12:13], v[48:49], off
	s_mov_b32 s1, 0
	s_wait_loadcnt 0x0
	v_trunc_f64_e32 v[12:13], v[12:13]
	s_delay_alu instid0(VALU_DEP_1) | instskip(NEXT) | instid1(VALU_DEP_1)
	v_ldexp_f64 v[50:51], v[12:13], 0xffffffe0
	v_floor_f64_e32 v[50:51], v[50:51]
	s_delay_alu instid0(VALU_DEP_1) | instskip(SKIP_1) | instid1(VALU_DEP_2)
	v_fmamk_f64 v[52:53], v[50:51], 0xc1f00000, v[12:13]
	v_cvt_i32_f64_e32 v13, v[50:51]
	v_cvt_u32_f64_e32 v12, v[52:53]
	s_branch .LBB63_2235
.LBB63_2233:
	s_mov_b32 s1, -1
                                        ; implicit-def: $vgpr12_vgpr13
	s_branch .LBB63_2238
.LBB63_2234:
	s_mov_b32 s1, -1
                                        ; implicit-def: $vgpr12_vgpr13
.LBB63_2235:
	s_delay_alu instid0(SALU_CYCLE_1)
	s_and_not1_b32 vcc_lo, exec_lo, s1
	s_cbranch_vccnz .LBB63_2237
; %bb.2236:
	global_load_b32 v1, v[48:49], off
	s_wait_loadcnt 0x0
	v_trunc_f32_e32 v1, v1
	s_delay_alu instid0(VALU_DEP_1) | instskip(SKIP_1) | instid1(VALU_DEP_2)
	v_mul_f32_e64 v3, 0x2f800000, |v1|
	v_ashrrev_i32_e32 v12, 31, v1
	v_floor_f32_e32 v3, v3
	s_delay_alu instid0(VALU_DEP_1) | instskip(SKIP_3) | instid1(VALU_DEP_3)
	v_fma_f32 v5, 0xcf800000, v3, |v1|
	v_cvt_u32_f32_e32 v1, v3
	s_wait_xcnt 0x1
	v_mov_b32_e32 v13, v12
	v_cvt_u32_f32_e32 v3, v5
	s_delay_alu instid0(VALU_DEP_3) | instskip(NEXT) | instid1(VALU_DEP_2)
	v_xor_b32_e32 v51, v1, v12
	v_xor_b32_e32 v50, v3, v12
	s_delay_alu instid0(VALU_DEP_1)
	v_sub_nc_u64_e32 v[12:13], v[50:51], v[12:13]
.LBB63_2237:
	s_mov_b32 s1, 0
.LBB63_2238:
	s_delay_alu instid0(SALU_CYCLE_1)
	s_and_not1_b32 vcc_lo, exec_lo, s1
	s_cbranch_vccnz .LBB63_2240
; %bb.2239:
	global_load_u16 v1, v[48:49], off
	s_wait_loadcnt 0x0
	v_cvt_f32_f16_e32 v1, v1
	s_delay_alu instid0(VALU_DEP_1) | instskip(SKIP_1) | instid1(VALU_DEP_1)
	v_cvt_i32_f32_e32 v12, v1
	s_wait_xcnt 0x1
	v_ashrrev_i32_e32 v13, 31, v12
.LBB63_2240:
	s_cbranch_execnz .LBB63_2260
.LBB63_2241:
	s_cmp_lt_i32 s0, 2
	s_cbranch_scc1 .LBB63_2245
; %bb.2242:
	s_cmp_lt_i32 s0, 3
	s_cbranch_scc1 .LBB63_2246
; %bb.2243:
	s_cmp_gt_i32 s0, 3
	s_cbranch_scc0 .LBB63_2247
; %bb.2244:
	s_wait_loadcnt 0x0
	global_load_b64 v[12:13], v[48:49], off
	s_mov_b32 s1, 0
	s_branch .LBB63_2248
.LBB63_2245:
	s_mov_b32 s1, -1
                                        ; implicit-def: $vgpr12_vgpr13
	s_branch .LBB63_2254
.LBB63_2246:
	s_mov_b32 s1, -1
                                        ; implicit-def: $vgpr12_vgpr13
	s_branch .LBB63_2251
.LBB63_2247:
	s_mov_b32 s1, -1
                                        ; implicit-def: $vgpr12_vgpr13
.LBB63_2248:
	s_delay_alu instid0(SALU_CYCLE_1)
	s_and_not1_b32 vcc_lo, exec_lo, s1
	s_cbranch_vccnz .LBB63_2250
; %bb.2249:
	s_wait_loadcnt 0x0
	global_load_b32 v12, v[48:49], off
	s_wait_loadcnt 0x0
	s_wait_xcnt 0x1
	v_ashrrev_i32_e32 v13, 31, v12
.LBB63_2250:
	s_mov_b32 s1, 0
.LBB63_2251:
	s_delay_alu instid0(SALU_CYCLE_1)
	s_and_not1_b32 vcc_lo, exec_lo, s1
	s_cbranch_vccnz .LBB63_2253
; %bb.2252:
	global_load_u16 v1, v[48:49], off
	s_wait_loadcnt 0x0
	v_bfe_i32 v12, v1, 0, 16
	s_wait_xcnt 0x1
	s_delay_alu instid0(VALU_DEP_1)
	v_ashrrev_i32_e32 v13, 31, v12
.LBB63_2253:
	s_mov_b32 s1, 0
.LBB63_2254:
	s_delay_alu instid0(SALU_CYCLE_1)
	s_and_not1_b32 vcc_lo, exec_lo, s1
	s_cbranch_vccnz .LBB63_2260
; %bb.2255:
	s_cmp_gt_i32 s0, 0
	s_mov_b32 s0, 0
	s_cbranch_scc0 .LBB63_2257
; %bb.2256:
	global_load_i8 v1, v[48:49], off
	s_wait_loadcnt 0x0
	v_bfe_i32 v12, v1, 0, 16
	s_wait_xcnt 0x1
	s_delay_alu instid0(VALU_DEP_1)
	v_ashrrev_i32_e32 v13, 31, v12
	s_branch .LBB63_2258
.LBB63_2257:
	s_mov_b32 s0, -1
                                        ; implicit-def: $vgpr12_vgpr13
.LBB63_2258:
	s_delay_alu instid0(SALU_CYCLE_1)
	s_and_not1_b32 vcc_lo, exec_lo, s0
	s_cbranch_vccnz .LBB63_2260
; %bb.2259:
	global_load_u8 v1, v[48:49], off
	s_mov_b32 s0, 0
	s_wait_loadcnt 0x1
	s_wait_xcnt 0x1
	v_mov_b32_e32 v13, s0
	s_wait_loadcnt 0x0
	v_and_b32_e32 v12, 0xffff, v1
.LBB63_2260:
.LBB63_2261:
	v_mov_b32_e32 v47, 0
	s_load_b64 s[12:13], s[2:3], 0x260
	global_load_u8 v1, v47, s[2:3] offset:691
	s_wait_kmcnt 0x0
	v_add_nc_u64_e32 v[48:49], s[12:13], v[46:47]
	s_wait_loadcnt 0x0
	v_and_b32_e32 v3, 0xffff, v1
	v_readfirstlane_b32 s49, v1
	s_delay_alu instid0(VALU_DEP_2)
	v_cmp_gt_i32_e32 vcc_lo, 11, v3
	s_cbranch_vccnz .LBB63_2268
; %bb.2262:
	s_and_b32 s0, 0xffff, s49
	s_mov_b32 s8, 0
	s_cmp_gt_i32 s0, 25
	s_cbranch_scc0 .LBB63_2270
; %bb.2263:
	s_cmp_gt_i32 s0, 28
	s_cbranch_scc0 .LBB63_2271
; %bb.2264:
	;; [unrolled: 3-line block ×4, first 2 shown]
	s_cmp_eq_u32 s0, 46
	s_mov_b32 s14, 0
	s_cbranch_scc0 .LBB63_2275
; %bb.2267:
	global_load_b32 v1, v[48:49], off
	s_mov_b32 s1, 0
	s_mov_b32 s9, -1
	s_wait_loadcnt 0x0
	v_lshlrev_b32_e32 v1, 16, v1
	s_delay_alu instid0(VALU_DEP_1) | instskip(NEXT) | instid1(VALU_DEP_1)
	v_trunc_f32_e32 v1, v1
	v_mul_f32_e64 v3, 0x2f800000, |v1|
	v_ashrrev_i32_e32 v46, 31, v1
	s_delay_alu instid0(VALU_DEP_2) | instskip(SKIP_1) | instid1(VALU_DEP_2)
	v_floor_f32_e32 v3, v3
	s_wait_xcnt 0x1
	v_mov_b32_e32 v47, v46
	s_delay_alu instid0(VALU_DEP_2) | instskip(SKIP_1) | instid1(VALU_DEP_2)
	v_fma_f32 v5, 0xcf800000, v3, |v1|
	v_cvt_u32_f32_e32 v1, v3
	v_cvt_u32_f32_e32 v3, v5
	s_delay_alu instid0(VALU_DEP_2) | instskip(NEXT) | instid1(VALU_DEP_2)
	v_xor_b32_e32 v51, v1, v46
	v_xor_b32_e32 v50, v3, v46
	s_delay_alu instid0(VALU_DEP_1)
	v_sub_nc_u64_e32 v[46:47], v[50:51], v[46:47]
	s_branch .LBB63_2277
.LBB63_2268:
	s_mov_b32 s9, 0
                                        ; implicit-def: $vgpr46_vgpr47
	s_cbranch_execnz .LBB63_2339
.LBB63_2269:
	s_and_not1_b32 vcc_lo, exec_lo, s9
	s_cbranch_vccnz .LBB63_2649
	s_branch .LBB63_2387
.LBB63_2270:
	s_mov_b32 s14, -1
	s_mov_b32 s9, 0
	s_mov_b32 s1, 0
                                        ; implicit-def: $vgpr46_vgpr47
	s_branch .LBB63_2304
.LBB63_2271:
	s_mov_b32 s14, -1
	s_mov_b32 s9, 0
	s_mov_b32 s1, 0
                                        ; implicit-def: $vgpr46_vgpr47
	s_branch .LBB63_2287
.LBB63_2272:
	s_mov_b32 s14, -1
	s_mov_b32 s9, 0
	s_mov_b32 s1, 0
                                        ; implicit-def: $vgpr46_vgpr47
	s_branch .LBB63_2282
.LBB63_2273:
	s_or_b32 s33, s33, exec_lo
	s_trap 2
	s_cbranch_execz .LBB63_2212
	s_branch .LBB63_2213
.LBB63_2274:
	s_mov_b32 s14, -1
	s_mov_b32 s9, 0
	s_mov_b32 s1, 0
	s_branch .LBB63_2276
.LBB63_2275:
	s_mov_b32 s1, -1
	s_mov_b32 s9, 0
.LBB63_2276:
                                        ; implicit-def: $vgpr46_vgpr47
.LBB63_2277:
	s_and_b32 vcc_lo, exec_lo, s14
	s_cbranch_vccz .LBB63_2281
; %bb.2278:
	s_cmp_eq_u32 s0, 44
	s_cbranch_scc0 .LBB63_2280
; %bb.2279:
	global_load_u8 v1, v[48:49], off
	s_mov_b32 s1, 0
	s_mov_b32 s9, -1
	s_wait_loadcnt 0x0
	v_lshlrev_b32_e32 v3, 23, v1
	v_cmp_ne_u32_e32 vcc_lo, 0, v1
	s_delay_alu instid0(VALU_DEP_2) | instskip(NEXT) | instid1(VALU_DEP_1)
	v_trunc_f32_e32 v3, v3
	v_mul_f32_e64 v5, 0x2f800000, |v3|
	v_ashrrev_i32_e32 v46, 31, v3
	s_delay_alu instid0(VALU_DEP_2) | instskip(SKIP_1) | instid1(VALU_DEP_2)
	v_floor_f32_e32 v5, v5
	s_wait_xcnt 0x1
	v_mov_b32_e32 v47, v46
	s_delay_alu instid0(VALU_DEP_2) | instskip(SKIP_1) | instid1(VALU_DEP_2)
	v_fma_f32 v7, 0xcf800000, v5, |v3|
	v_cvt_u32_f32_e32 v3, v5
	v_cvt_u32_f32_e32 v5, v7
	s_delay_alu instid0(VALU_DEP_2) | instskip(NEXT) | instid1(VALU_DEP_2)
	v_xor_b32_e32 v51, v3, v46
	v_xor_b32_e32 v50, v5, v46
	s_delay_alu instid0(VALU_DEP_1) | instskip(NEXT) | instid1(VALU_DEP_1)
	v_sub_nc_u64_e32 v[46:47], v[50:51], v[46:47]
	v_dual_cndmask_b32 v47, 0, v47 :: v_dual_cndmask_b32 v46, 0, v46
	s_branch .LBB63_2281
.LBB63_2280:
	s_mov_b32 s1, -1
                                        ; implicit-def: $vgpr46_vgpr47
.LBB63_2281:
	s_mov_b32 s14, 0
.LBB63_2282:
	s_delay_alu instid0(SALU_CYCLE_1)
	s_and_b32 vcc_lo, exec_lo, s14
	s_cbranch_vccz .LBB63_2286
; %bb.2283:
	s_cmp_eq_u32 s0, 29
	s_cbranch_scc0 .LBB63_2285
; %bb.2284:
	global_load_b64 v[46:47], v[48:49], off
	s_mov_b32 s1, 0
	s_mov_b32 s9, -1
	s_branch .LBB63_2286
.LBB63_2285:
	s_mov_b32 s1, -1
                                        ; implicit-def: $vgpr46_vgpr47
.LBB63_2286:
	s_mov_b32 s14, 0
.LBB63_2287:
	s_delay_alu instid0(SALU_CYCLE_1)
	s_and_b32 vcc_lo, exec_lo, s14
	s_cbranch_vccz .LBB63_2303
; %bb.2288:
	s_cmp_lt_i32 s0, 27
	s_cbranch_scc1 .LBB63_2291
; %bb.2289:
	s_cmp_gt_i32 s0, 27
	s_cbranch_scc0 .LBB63_2292
; %bb.2290:
	s_wait_loadcnt 0x0
	global_load_b32 v46, v[48:49], off
	s_wait_xcnt 0x1
	v_mov_b32_e32 v47, 0
	s_mov_b32 s9, 0
	s_branch .LBB63_2293
.LBB63_2291:
	s_mov_b32 s9, -1
                                        ; implicit-def: $vgpr46_vgpr47
	s_branch .LBB63_2296
.LBB63_2292:
	s_mov_b32 s9, -1
                                        ; implicit-def: $vgpr46_vgpr47
.LBB63_2293:
	s_delay_alu instid0(SALU_CYCLE_1)
	s_and_not1_b32 vcc_lo, exec_lo, s9
	s_cbranch_vccnz .LBB63_2295
; %bb.2294:
	global_load_u16 v1, v[48:49], off
	s_mov_b32 s9, 0
	s_wait_loadcnt 0x1
	s_wait_xcnt 0x1
	v_mov_b32_e32 v47, s9
	s_wait_loadcnt 0x0
	v_and_b32_e32 v46, 0xffff, v1
.LBB63_2295:
	s_mov_b32 s9, 0
.LBB63_2296:
	s_delay_alu instid0(SALU_CYCLE_1)
	s_and_not1_b32 vcc_lo, exec_lo, s9
	s_cbranch_vccnz .LBB63_2302
; %bb.2297:
	global_load_u8 v1, v[48:49], off
	s_mov_b32 s14, 0
	s_mov_b32 s9, exec_lo
	s_wait_loadcnt 0x0
	v_cmpx_lt_i16_e32 0x7f, v1
	s_xor_b32 s9, exec_lo, s9
	s_cbranch_execz .LBB63_2314
; %bb.2298:
	v_cmp_ne_u16_e32 vcc_lo, 0x80, v1
	s_and_b32 s14, vcc_lo, exec_lo
	s_and_not1_saveexec_b32 s9, s9
	s_cbranch_execnz .LBB63_2315
.LBB63_2299:
	s_or_b32 exec_lo, exec_lo, s9
	v_mov_b64_e32 v[46:47], 0
	s_and_saveexec_b32 s9, s14
	s_cbranch_execz .LBB63_2301
.LBB63_2300:
	v_and_b32_e32 v3, 0xffff, v1
	s_delay_alu instid0(VALU_DEP_1) | instskip(SKIP_1) | instid1(VALU_DEP_2)
	v_dual_lshlrev_b32 v1, 24, v1 :: v_dual_bitop2_b32 v5, 7, v3 bitop3:0x40
	v_bfe_u32 v15, v3, 3, 4
	v_and_b32_e32 v1, 0x80000000, v1
	s_delay_alu instid0(VALU_DEP_3) | instskip(NEXT) | instid1(VALU_DEP_3)
	v_clz_i32_u32_e32 v7, v5
	v_cmp_eq_u32_e32 vcc_lo, 0, v15
	s_delay_alu instid0(VALU_DEP_2) | instskip(NEXT) | instid1(VALU_DEP_1)
	v_min_u32_e32 v7, 32, v7
	v_subrev_nc_u32_e32 v11, 28, v7
	v_sub_nc_u32_e32 v7, 29, v7
	s_delay_alu instid0(VALU_DEP_2) | instskip(NEXT) | instid1(VALU_DEP_2)
	v_lshlrev_b32_e32 v3, v11, v3
	v_cndmask_b32_e32 v7, v15, v7, vcc_lo
	s_delay_alu instid0(VALU_DEP_2) | instskip(NEXT) | instid1(VALU_DEP_1)
	v_and_b32_e32 v3, 7, v3
	v_cndmask_b32_e32 v3, v5, v3, vcc_lo
	s_delay_alu instid0(VALU_DEP_3) | instskip(NEXT) | instid1(VALU_DEP_2)
	v_lshl_add_u32 v5, v7, 23, 0x3b800000
	v_lshlrev_b32_e32 v3, 20, v3
	s_delay_alu instid0(VALU_DEP_1) | instskip(NEXT) | instid1(VALU_DEP_1)
	v_or3_b32 v1, v1, v5, v3
	v_trunc_f32_e32 v1, v1
	s_delay_alu instid0(VALU_DEP_1) | instskip(SKIP_1) | instid1(VALU_DEP_2)
	v_mul_f32_e64 v3, 0x2f800000, |v1|
	v_ashrrev_i32_e32 v46, 31, v1
	v_floor_f32_e32 v3, v3
	s_delay_alu instid0(VALU_DEP_2) | instskip(NEXT) | instid1(VALU_DEP_2)
	v_mov_b32_e32 v47, v46
	v_fma_f32 v5, 0xcf800000, v3, |v1|
	v_cvt_u32_f32_e32 v1, v3
	s_delay_alu instid0(VALU_DEP_2) | instskip(NEXT) | instid1(VALU_DEP_2)
	v_cvt_u32_f32_e32 v3, v5
	v_xor_b32_e32 v51, v1, v46
	s_delay_alu instid0(VALU_DEP_2) | instskip(NEXT) | instid1(VALU_DEP_1)
	v_xor_b32_e32 v50, v3, v46
	v_sub_nc_u64_e32 v[46:47], v[50:51], v[46:47]
.LBB63_2301:
	s_or_b32 exec_lo, exec_lo, s9
.LBB63_2302:
	s_mov_b32 s9, -1
.LBB63_2303:
	s_mov_b32 s14, 0
.LBB63_2304:
	s_delay_alu instid0(SALU_CYCLE_1)
	s_and_b32 vcc_lo, exec_lo, s14
	s_cbranch_vccz .LBB63_2335
; %bb.2305:
	s_cmp_gt_i32 s0, 22
	s_cbranch_scc0 .LBB63_2313
; %bb.2306:
	s_cmp_lt_i32 s0, 24
	s_cbranch_scc1 .LBB63_2316
; %bb.2307:
	s_cmp_gt_i32 s0, 24
	s_cbranch_scc0 .LBB63_2317
; %bb.2308:
	global_load_u8 v1, v[48:49], off
	s_mov_b32 s9, 0
	s_mov_b32 s8, exec_lo
	s_wait_loadcnt 0x0
	v_cmpx_lt_i16_e32 0x7f, v1
	s_xor_b32 s8, exec_lo, s8
	s_cbranch_execz .LBB63_2329
; %bb.2309:
	v_cmp_ne_u16_e32 vcc_lo, 0x80, v1
	s_and_b32 s9, vcc_lo, exec_lo
	s_and_not1_saveexec_b32 s8, s8
	s_cbranch_execnz .LBB63_2330
.LBB63_2310:
	s_or_b32 exec_lo, exec_lo, s8
	v_mov_b64_e32 v[46:47], 0
	s_and_saveexec_b32 s8, s9
	s_cbranch_execz .LBB63_2312
.LBB63_2311:
	v_and_b32_e32 v3, 0xffff, v1
	s_delay_alu instid0(VALU_DEP_1) | instskip(SKIP_1) | instid1(VALU_DEP_2)
	v_dual_lshlrev_b32 v1, 24, v1 :: v_dual_bitop2_b32 v5, 3, v3 bitop3:0x40
	v_bfe_u32 v15, v3, 2, 5
	v_and_b32_e32 v1, 0x80000000, v1
	s_delay_alu instid0(VALU_DEP_3) | instskip(NEXT) | instid1(VALU_DEP_3)
	v_clz_i32_u32_e32 v7, v5
	v_cmp_eq_u32_e32 vcc_lo, 0, v15
	s_delay_alu instid0(VALU_DEP_2) | instskip(NEXT) | instid1(VALU_DEP_1)
	v_min_u32_e32 v7, 32, v7
	v_subrev_nc_u32_e32 v11, 29, v7
	v_sub_nc_u32_e32 v7, 30, v7
	s_delay_alu instid0(VALU_DEP_2) | instskip(NEXT) | instid1(VALU_DEP_2)
	v_lshlrev_b32_e32 v3, v11, v3
	v_cndmask_b32_e32 v7, v15, v7, vcc_lo
	s_delay_alu instid0(VALU_DEP_2) | instskip(NEXT) | instid1(VALU_DEP_1)
	v_and_b32_e32 v3, 3, v3
	v_cndmask_b32_e32 v3, v5, v3, vcc_lo
	s_delay_alu instid0(VALU_DEP_3) | instskip(NEXT) | instid1(VALU_DEP_2)
	v_lshl_add_u32 v5, v7, 23, 0x37800000
	v_lshlrev_b32_e32 v3, 21, v3
	s_delay_alu instid0(VALU_DEP_1) | instskip(NEXT) | instid1(VALU_DEP_1)
	v_or3_b32 v1, v1, v5, v3
	v_trunc_f32_e32 v1, v1
	s_delay_alu instid0(VALU_DEP_1) | instskip(SKIP_1) | instid1(VALU_DEP_2)
	v_mul_f32_e64 v3, 0x2f800000, |v1|
	v_ashrrev_i32_e32 v46, 31, v1
	v_floor_f32_e32 v3, v3
	s_delay_alu instid0(VALU_DEP_2) | instskip(NEXT) | instid1(VALU_DEP_2)
	v_mov_b32_e32 v47, v46
	v_fma_f32 v5, 0xcf800000, v3, |v1|
	v_cvt_u32_f32_e32 v1, v3
	s_delay_alu instid0(VALU_DEP_2) | instskip(NEXT) | instid1(VALU_DEP_2)
	v_cvt_u32_f32_e32 v3, v5
	v_xor_b32_e32 v51, v1, v46
	s_delay_alu instid0(VALU_DEP_2) | instskip(NEXT) | instid1(VALU_DEP_1)
	v_xor_b32_e32 v50, v3, v46
	v_sub_nc_u64_e32 v[46:47], v[50:51], v[46:47]
.LBB63_2312:
	s_or_b32 exec_lo, exec_lo, s8
	s_mov_b32 s8, 0
	s_branch .LBB63_2318
.LBB63_2313:
	s_mov_b32 s8, -1
                                        ; implicit-def: $vgpr46_vgpr47
	s_branch .LBB63_2324
.LBB63_2314:
	s_and_not1_saveexec_b32 s9, s9
	s_cbranch_execz .LBB63_2299
.LBB63_2315:
	v_cmp_ne_u16_e32 vcc_lo, 0, v1
	s_and_not1_b32 s14, s14, exec_lo
	s_and_b32 s15, vcc_lo, exec_lo
	s_delay_alu instid0(SALU_CYCLE_1)
	s_or_b32 s14, s14, s15
	s_or_b32 exec_lo, exec_lo, s9
	v_mov_b64_e32 v[46:47], 0
	s_and_saveexec_b32 s9, s14
	s_cbranch_execnz .LBB63_2300
	s_branch .LBB63_2301
.LBB63_2316:
	s_mov_b32 s8, -1
                                        ; implicit-def: $vgpr46_vgpr47
	s_branch .LBB63_2321
.LBB63_2317:
	s_mov_b32 s8, -1
                                        ; implicit-def: $vgpr46_vgpr47
.LBB63_2318:
	s_delay_alu instid0(SALU_CYCLE_1)
	s_and_b32 vcc_lo, exec_lo, s8
	s_cbranch_vccz .LBB63_2320
; %bb.2319:
	global_load_u8 v1, v[48:49], off
	s_wait_loadcnt 0x0
	v_lshlrev_b32_e32 v1, 24, v1
	s_delay_alu instid0(VALU_DEP_1) | instskip(NEXT) | instid1(VALU_DEP_1)
	v_and_b32_e32 v3, 0x7f000000, v1
	v_clz_i32_u32_e32 v5, v3
	v_add_nc_u32_e32 v11, 0x1000000, v3
	v_cmp_ne_u32_e32 vcc_lo, 0, v3
	s_delay_alu instid0(VALU_DEP_3) | instskip(NEXT) | instid1(VALU_DEP_1)
	v_min_u32_e32 v5, 32, v5
	v_sub_nc_u32_e64 v5, v5, 4 clamp
	s_delay_alu instid0(VALU_DEP_1) | instskip(NEXT) | instid1(VALU_DEP_1)
	v_dual_lshlrev_b32 v7, v5, v3 :: v_dual_lshlrev_b32 v5, 23, v5
	v_lshrrev_b32_e32 v7, 4, v7
	s_delay_alu instid0(VALU_DEP_1) | instskip(NEXT) | instid1(VALU_DEP_1)
	v_dual_sub_nc_u32 v5, v7, v5 :: v_dual_ashrrev_i32 v7, 8, v11
	v_add_nc_u32_e32 v5, 0x3c000000, v5
	s_delay_alu instid0(VALU_DEP_1) | instskip(NEXT) | instid1(VALU_DEP_1)
	v_and_or_b32 v5, 0x7f800000, v7, v5
	v_cndmask_b32_e32 v3, 0, v5, vcc_lo
	s_delay_alu instid0(VALU_DEP_1) | instskip(NEXT) | instid1(VALU_DEP_1)
	v_and_or_b32 v1, 0x80000000, v1, v3
	v_trunc_f32_e32 v1, v1
	s_delay_alu instid0(VALU_DEP_1) | instskip(SKIP_1) | instid1(VALU_DEP_2)
	v_mul_f32_e64 v3, 0x2f800000, |v1|
	v_ashrrev_i32_e32 v46, 31, v1
	v_floor_f32_e32 v3, v3
	s_wait_xcnt 0x1
	s_delay_alu instid0(VALU_DEP_2) | instskip(NEXT) | instid1(VALU_DEP_2)
	v_mov_b32_e32 v47, v46
	v_fma_f32 v5, 0xcf800000, v3, |v1|
	v_cvt_u32_f32_e32 v1, v3
	s_delay_alu instid0(VALU_DEP_2) | instskip(NEXT) | instid1(VALU_DEP_2)
	v_cvt_u32_f32_e32 v3, v5
	v_xor_b32_e32 v51, v1, v46
	s_delay_alu instid0(VALU_DEP_2) | instskip(NEXT) | instid1(VALU_DEP_1)
	v_xor_b32_e32 v50, v3, v46
	v_sub_nc_u64_e32 v[46:47], v[50:51], v[46:47]
.LBB63_2320:
	s_mov_b32 s8, 0
.LBB63_2321:
	s_delay_alu instid0(SALU_CYCLE_1)
	s_and_not1_b32 vcc_lo, exec_lo, s8
	s_cbranch_vccnz .LBB63_2323
; %bb.2322:
	global_load_u8 v1, v[48:49], off
	s_wait_loadcnt 0x0
	v_lshlrev_b32_e32 v3, 25, v1
	v_lshlrev_b16 v1, 8, v1
	s_delay_alu instid0(VALU_DEP_1) | instskip(SKIP_1) | instid1(VALU_DEP_2)
	v_and_or_b32 v7, 0x7f00, v1, 0.5
	v_bfe_i32 v1, v1, 0, 16
	v_add_f32_e32 v7, -0.5, v7
	v_lshrrev_b32_e32 v5, 4, v3
	v_cmp_gt_u32_e32 vcc_lo, 0x8000000, v3
	s_delay_alu instid0(VALU_DEP_2) | instskip(NEXT) | instid1(VALU_DEP_1)
	v_or_b32_e32 v5, 0x70000000, v5
	v_mul_f32_e32 v5, 0x7800000, v5
	s_delay_alu instid0(VALU_DEP_1) | instskip(NEXT) | instid1(VALU_DEP_1)
	v_cndmask_b32_e32 v3, v5, v7, vcc_lo
	v_and_or_b32 v1, 0x80000000, v1, v3
	s_delay_alu instid0(VALU_DEP_1) | instskip(NEXT) | instid1(VALU_DEP_1)
	v_trunc_f32_e32 v1, v1
	v_mul_f32_e64 v3, 0x2f800000, |v1|
	v_ashrrev_i32_e32 v46, 31, v1
	s_delay_alu instid0(VALU_DEP_2) | instskip(SKIP_1) | instid1(VALU_DEP_2)
	v_floor_f32_e32 v3, v3
	s_wait_xcnt 0x1
	v_mov_b32_e32 v47, v46
	s_delay_alu instid0(VALU_DEP_2) | instskip(SKIP_1) | instid1(VALU_DEP_2)
	v_fma_f32 v5, 0xcf800000, v3, |v1|
	v_cvt_u32_f32_e32 v1, v3
	v_cvt_u32_f32_e32 v3, v5
	s_delay_alu instid0(VALU_DEP_2) | instskip(NEXT) | instid1(VALU_DEP_2)
	v_xor_b32_e32 v51, v1, v46
	v_xor_b32_e32 v50, v3, v46
	s_delay_alu instid0(VALU_DEP_1)
	v_sub_nc_u64_e32 v[46:47], v[50:51], v[46:47]
.LBB63_2323:
	s_mov_b32 s8, 0
	s_mov_b32 s9, -1
.LBB63_2324:
	s_and_not1_b32 vcc_lo, exec_lo, s8
	s_mov_b32 s8, 0
	s_cbranch_vccnz .LBB63_2335
; %bb.2325:
	s_cmp_gt_i32 s0, 14
	s_cbranch_scc0 .LBB63_2328
; %bb.2326:
	s_cmp_eq_u32 s0, 15
	s_cbranch_scc0 .LBB63_2331
; %bb.2327:
	global_load_u16 v1, v[48:49], off
	s_mov_b32 s1, 0
	s_mov_b32 s9, -1
	s_wait_loadcnt 0x0
	v_lshlrev_b32_e32 v1, 16, v1
	s_delay_alu instid0(VALU_DEP_1) | instskip(NEXT) | instid1(VALU_DEP_1)
	v_trunc_f32_e32 v1, v1
	v_mul_f32_e64 v3, 0x2f800000, |v1|
	v_ashrrev_i32_e32 v46, 31, v1
	s_delay_alu instid0(VALU_DEP_2) | instskip(SKIP_1) | instid1(VALU_DEP_2)
	v_floor_f32_e32 v3, v3
	s_wait_xcnt 0x1
	v_mov_b32_e32 v47, v46
	s_delay_alu instid0(VALU_DEP_2) | instskip(SKIP_1) | instid1(VALU_DEP_2)
	v_fma_f32 v5, 0xcf800000, v3, |v1|
	v_cvt_u32_f32_e32 v1, v3
	v_cvt_u32_f32_e32 v3, v5
	s_delay_alu instid0(VALU_DEP_2) | instskip(NEXT) | instid1(VALU_DEP_2)
	v_xor_b32_e32 v51, v1, v46
	v_xor_b32_e32 v50, v3, v46
	s_delay_alu instid0(VALU_DEP_1)
	v_sub_nc_u64_e32 v[46:47], v[50:51], v[46:47]
	s_branch .LBB63_2333
.LBB63_2328:
	s_mov_b32 s8, -1
	s_branch .LBB63_2332
.LBB63_2329:
	s_and_not1_saveexec_b32 s8, s8
	s_cbranch_execz .LBB63_2310
.LBB63_2330:
	v_cmp_ne_u16_e32 vcc_lo, 0, v1
	s_and_not1_b32 s9, s9, exec_lo
	s_and_b32 s14, vcc_lo, exec_lo
	s_delay_alu instid0(SALU_CYCLE_1)
	s_or_b32 s9, s9, s14
	s_or_b32 exec_lo, exec_lo, s8
	v_mov_b64_e32 v[46:47], 0
	s_and_saveexec_b32 s8, s9
	s_cbranch_execnz .LBB63_2311
	s_branch .LBB63_2312
.LBB63_2331:
	s_mov_b32 s1, -1
.LBB63_2332:
                                        ; implicit-def: $vgpr46_vgpr47
.LBB63_2333:
	s_and_b32 vcc_lo, exec_lo, s8
	s_mov_b32 s8, 0
	s_cbranch_vccz .LBB63_2335
; %bb.2334:
	s_cmp_lg_u32 s0, 11
	s_mov_b32 s8, -1
	s_cselect_b32 s1, -1, 0
.LBB63_2335:
	s_delay_alu instid0(SALU_CYCLE_1)
	s_and_b32 vcc_lo, exec_lo, s1
	s_cbranch_vccnz .LBB63_2398
; %bb.2336:
	s_and_not1_b32 vcc_lo, exec_lo, s8
	s_cbranch_vccnz .LBB63_2338
.LBB63_2337:
	global_load_u8 v1, v[48:49], off
	s_mov_b32 s0, 0
	s_mov_b32 s9, -1
	s_wait_loadcnt 0x1
	s_wait_xcnt 0x1
	v_mov_b32_e32 v47, s0
	s_wait_loadcnt 0x0
	v_cmp_ne_u16_e32 vcc_lo, 0, v1
	v_cndmask_b32_e64 v46, 0, 1, vcc_lo
.LBB63_2338:
	s_branch .LBB63_2269
.LBB63_2339:
	s_and_b32 s0, 0xffff, s49
	s_delay_alu instid0(SALU_CYCLE_1)
	s_cmp_lt_i32 s0, 5
	s_cbranch_scc1 .LBB63_2344
; %bb.2340:
	s_cmp_lt_i32 s0, 8
	s_cbranch_scc1 .LBB63_2345
; %bb.2341:
	;; [unrolled: 3-line block ×3, first 2 shown]
	s_cmp_gt_i32 s0, 9
	s_cbranch_scc0 .LBB63_2347
; %bb.2343:
	s_wait_loadcnt 0x0
	global_load_b64 v[46:47], v[48:49], off
	s_mov_b32 s1, 0
	s_wait_loadcnt 0x0
	v_trunc_f64_e32 v[46:47], v[46:47]
	s_delay_alu instid0(VALU_DEP_1) | instskip(NEXT) | instid1(VALU_DEP_1)
	v_ldexp_f64 v[50:51], v[46:47], 0xffffffe0
	v_floor_f64_e32 v[50:51], v[50:51]
	s_delay_alu instid0(VALU_DEP_1) | instskip(SKIP_1) | instid1(VALU_DEP_2)
	v_fmamk_f64 v[52:53], v[50:51], 0xc1f00000, v[46:47]
	v_cvt_i32_f64_e32 v47, v[50:51]
	v_cvt_u32_f64_e32 v46, v[52:53]
	s_branch .LBB63_2348
.LBB63_2344:
	s_mov_b32 s1, -1
                                        ; implicit-def: $vgpr46_vgpr47
	s_branch .LBB63_2366
.LBB63_2345:
	s_mov_b32 s1, -1
                                        ; implicit-def: $vgpr46_vgpr47
	s_branch .LBB63_2354
.LBB63_2346:
	s_mov_b32 s1, -1
                                        ; implicit-def: $vgpr46_vgpr47
	s_branch .LBB63_2351
.LBB63_2347:
	s_mov_b32 s1, -1
                                        ; implicit-def: $vgpr46_vgpr47
.LBB63_2348:
	s_delay_alu instid0(SALU_CYCLE_1)
	s_and_not1_b32 vcc_lo, exec_lo, s1
	s_cbranch_vccnz .LBB63_2350
; %bb.2349:
	global_load_b32 v1, v[48:49], off
	s_wait_loadcnt 0x0
	v_trunc_f32_e32 v1, v1
	s_delay_alu instid0(VALU_DEP_1) | instskip(SKIP_1) | instid1(VALU_DEP_2)
	v_mul_f32_e64 v3, 0x2f800000, |v1|
	v_ashrrev_i32_e32 v46, 31, v1
	v_floor_f32_e32 v3, v3
	s_delay_alu instid0(VALU_DEP_1) | instskip(SKIP_3) | instid1(VALU_DEP_3)
	v_fma_f32 v5, 0xcf800000, v3, |v1|
	v_cvt_u32_f32_e32 v1, v3
	s_wait_xcnt 0x1
	v_mov_b32_e32 v47, v46
	v_cvt_u32_f32_e32 v3, v5
	s_delay_alu instid0(VALU_DEP_3) | instskip(NEXT) | instid1(VALU_DEP_2)
	v_xor_b32_e32 v51, v1, v46
	v_xor_b32_e32 v50, v3, v46
	s_delay_alu instid0(VALU_DEP_1)
	v_sub_nc_u64_e32 v[46:47], v[50:51], v[46:47]
.LBB63_2350:
	s_mov_b32 s1, 0
.LBB63_2351:
	s_delay_alu instid0(SALU_CYCLE_1)
	s_and_not1_b32 vcc_lo, exec_lo, s1
	s_cbranch_vccnz .LBB63_2353
; %bb.2352:
	global_load_b32 v1, v[48:49], off
	s_wait_loadcnt 0x0
	v_cvt_f32_f16_e32 v1, v1
	s_delay_alu instid0(VALU_DEP_1) | instskip(SKIP_1) | instid1(VALU_DEP_1)
	v_cvt_i32_f32_e32 v46, v1
	s_wait_xcnt 0x1
	v_ashrrev_i32_e32 v47, 31, v46
.LBB63_2353:
	s_mov_b32 s1, 0
.LBB63_2354:
	s_delay_alu instid0(SALU_CYCLE_1)
	s_and_not1_b32 vcc_lo, exec_lo, s1
	s_cbranch_vccnz .LBB63_2365
; %bb.2355:
	s_cmp_lt_i32 s0, 6
	s_cbranch_scc1 .LBB63_2358
; %bb.2356:
	s_cmp_gt_i32 s0, 6
	s_cbranch_scc0 .LBB63_2359
; %bb.2357:
	s_wait_loadcnt 0x0
	global_load_b64 v[46:47], v[48:49], off
	s_mov_b32 s1, 0
	s_wait_loadcnt 0x0
	v_trunc_f64_e32 v[46:47], v[46:47]
	s_delay_alu instid0(VALU_DEP_1) | instskip(NEXT) | instid1(VALU_DEP_1)
	v_ldexp_f64 v[50:51], v[46:47], 0xffffffe0
	v_floor_f64_e32 v[50:51], v[50:51]
	s_delay_alu instid0(VALU_DEP_1) | instskip(SKIP_1) | instid1(VALU_DEP_2)
	v_fmamk_f64 v[52:53], v[50:51], 0xc1f00000, v[46:47]
	v_cvt_i32_f64_e32 v47, v[50:51]
	v_cvt_u32_f64_e32 v46, v[52:53]
	s_branch .LBB63_2360
.LBB63_2358:
	s_mov_b32 s1, -1
                                        ; implicit-def: $vgpr46_vgpr47
	s_branch .LBB63_2363
.LBB63_2359:
	s_mov_b32 s1, -1
                                        ; implicit-def: $vgpr46_vgpr47
.LBB63_2360:
	s_delay_alu instid0(SALU_CYCLE_1)
	s_and_not1_b32 vcc_lo, exec_lo, s1
	s_cbranch_vccnz .LBB63_2362
; %bb.2361:
	global_load_b32 v1, v[48:49], off
	s_wait_loadcnt 0x0
	v_trunc_f32_e32 v1, v1
	s_delay_alu instid0(VALU_DEP_1) | instskip(SKIP_1) | instid1(VALU_DEP_2)
	v_mul_f32_e64 v3, 0x2f800000, |v1|
	v_ashrrev_i32_e32 v46, 31, v1
	v_floor_f32_e32 v3, v3
	s_delay_alu instid0(VALU_DEP_1) | instskip(SKIP_3) | instid1(VALU_DEP_3)
	v_fma_f32 v5, 0xcf800000, v3, |v1|
	v_cvt_u32_f32_e32 v1, v3
	s_wait_xcnt 0x1
	v_mov_b32_e32 v47, v46
	v_cvt_u32_f32_e32 v3, v5
	s_delay_alu instid0(VALU_DEP_3) | instskip(NEXT) | instid1(VALU_DEP_2)
	v_xor_b32_e32 v51, v1, v46
	v_xor_b32_e32 v50, v3, v46
	s_delay_alu instid0(VALU_DEP_1)
	v_sub_nc_u64_e32 v[46:47], v[50:51], v[46:47]
.LBB63_2362:
	s_mov_b32 s1, 0
.LBB63_2363:
	s_delay_alu instid0(SALU_CYCLE_1)
	s_and_not1_b32 vcc_lo, exec_lo, s1
	s_cbranch_vccnz .LBB63_2365
; %bb.2364:
	global_load_u16 v1, v[48:49], off
	s_wait_loadcnt 0x0
	v_cvt_f32_f16_e32 v1, v1
	s_delay_alu instid0(VALU_DEP_1) | instskip(SKIP_1) | instid1(VALU_DEP_1)
	v_cvt_i32_f32_e32 v46, v1
	s_wait_xcnt 0x1
	v_ashrrev_i32_e32 v47, 31, v46
.LBB63_2365:
	s_mov_b32 s1, 0
.LBB63_2366:
	s_delay_alu instid0(SALU_CYCLE_1)
	s_and_not1_b32 vcc_lo, exec_lo, s1
	s_cbranch_vccnz .LBB63_2386
; %bb.2367:
	s_cmp_lt_i32 s0, 2
	s_cbranch_scc1 .LBB63_2371
; %bb.2368:
	s_cmp_lt_i32 s0, 3
	s_cbranch_scc1 .LBB63_2372
; %bb.2369:
	s_cmp_gt_i32 s0, 3
	s_cbranch_scc0 .LBB63_2373
; %bb.2370:
	s_wait_loadcnt 0x0
	global_load_b64 v[46:47], v[48:49], off
	s_mov_b32 s1, 0
	s_branch .LBB63_2374
.LBB63_2371:
	s_mov_b32 s1, -1
                                        ; implicit-def: $vgpr46_vgpr47
	s_branch .LBB63_2380
.LBB63_2372:
	s_mov_b32 s1, -1
                                        ; implicit-def: $vgpr46_vgpr47
	s_branch .LBB63_2377
.LBB63_2373:
	s_mov_b32 s1, -1
                                        ; implicit-def: $vgpr46_vgpr47
.LBB63_2374:
	s_delay_alu instid0(SALU_CYCLE_1)
	s_and_not1_b32 vcc_lo, exec_lo, s1
	s_cbranch_vccnz .LBB63_2376
; %bb.2375:
	s_wait_loadcnt 0x0
	global_load_b32 v46, v[48:49], off
	s_wait_loadcnt 0x0
	s_wait_xcnt 0x1
	v_ashrrev_i32_e32 v47, 31, v46
.LBB63_2376:
	s_mov_b32 s1, 0
.LBB63_2377:
	s_delay_alu instid0(SALU_CYCLE_1)
	s_and_not1_b32 vcc_lo, exec_lo, s1
	s_cbranch_vccnz .LBB63_2379
; %bb.2378:
	global_load_u16 v1, v[48:49], off
	s_wait_loadcnt 0x0
	v_bfe_i32 v46, v1, 0, 16
	s_wait_xcnt 0x1
	s_delay_alu instid0(VALU_DEP_1)
	v_ashrrev_i32_e32 v47, 31, v46
.LBB63_2379:
	s_mov_b32 s1, 0
.LBB63_2380:
	s_delay_alu instid0(SALU_CYCLE_1)
	s_and_not1_b32 vcc_lo, exec_lo, s1
	s_cbranch_vccnz .LBB63_2386
; %bb.2381:
	s_cmp_gt_i32 s0, 0
	s_mov_b32 s0, 0
	s_cbranch_scc0 .LBB63_2383
; %bb.2382:
	global_load_i8 v1, v[48:49], off
	s_wait_loadcnt 0x0
	v_bfe_i32 v46, v1, 0, 16
	s_wait_xcnt 0x1
	s_delay_alu instid0(VALU_DEP_1)
	v_ashrrev_i32_e32 v47, 31, v46
	s_branch .LBB63_2384
.LBB63_2383:
	s_mov_b32 s0, -1
                                        ; implicit-def: $vgpr46_vgpr47
.LBB63_2384:
	s_delay_alu instid0(SALU_CYCLE_1)
	s_and_not1_b32 vcc_lo, exec_lo, s0
	s_cbranch_vccnz .LBB63_2386
; %bb.2385:
	global_load_u8 v1, v[48:49], off
	s_mov_b32 s0, 0
	s_wait_loadcnt 0x1
	s_wait_xcnt 0x1
	v_mov_b32_e32 v47, s0
	s_wait_loadcnt 0x0
	v_and_b32_e32 v46, 0xffff, v1
.LBB63_2386:
.LBB63_2387:
	s_clause 0x1
	s_load_b64 s[14:15], s[2:3], 0x268
	s_load_b32 s0, s[2:3], 0x2b4
	v_mov_b32_e32 v45, 0
	s_wait_kmcnt 0x0
	s_delay_alu instid0(VALU_DEP_1) | instskip(SKIP_1) | instid1(SALU_CYCLE_1)
	v_add_nc_u64_e32 v[48:49], s[14:15], v[44:45]
	s_and_b32 s50, s0, 0xff
	s_cmp_lt_i32 s50, 11
	s_cbranch_scc1 .LBB63_2394
; %bb.2388:
	s_and_b32 s0, 0xffff, s50
	s_mov_b32 s8, 0
	s_cmp_gt_i32 s0, 25
	s_cbranch_scc0 .LBB63_2395
; %bb.2389:
	s_cmp_gt_i32 s0, 28
	s_cbranch_scc0 .LBB63_2396
; %bb.2390:
	;; [unrolled: 3-line block ×4, first 2 shown]
	s_cmp_eq_u32 s0, 46
	s_mov_b32 s16, 0
	s_cbranch_scc0 .LBB63_2400
; %bb.2393:
	global_load_b32 v1, v[48:49], off
	s_mov_b32 s1, 0
	s_mov_b32 s9, -1
	s_wait_loadcnt 0x0
	v_lshlrev_b32_e32 v1, 16, v1
	s_delay_alu instid0(VALU_DEP_1) | instskip(NEXT) | instid1(VALU_DEP_1)
	v_trunc_f32_e32 v1, v1
	v_mul_f32_e64 v3, 0x2f800000, |v1|
	v_ashrrev_i32_e32 v44, 31, v1
	s_delay_alu instid0(VALU_DEP_2) | instskip(NEXT) | instid1(VALU_DEP_2)
	v_floor_f32_e32 v3, v3
	v_mov_b32_e32 v45, v44
	s_delay_alu instid0(VALU_DEP_2) | instskip(SKIP_1) | instid1(VALU_DEP_2)
	v_fma_f32 v5, 0xcf800000, v3, |v1|
	v_cvt_u32_f32_e32 v1, v3
	v_cvt_u32_f32_e32 v3, v5
	s_delay_alu instid0(VALU_DEP_2) | instskip(NEXT) | instid1(VALU_DEP_2)
	v_xor_b32_e32 v51, v1, v44
	v_xor_b32_e32 v50, v3, v44
	s_delay_alu instid0(VALU_DEP_1)
	v_sub_nc_u64_e32 v[44:45], v[50:51], v[44:45]
	s_branch .LBB63_2402
.LBB63_2394:
	s_mov_b32 s0, -1
	s_mov_b32 s9, 0
                                        ; implicit-def: $vgpr44_vgpr45
	s_branch .LBB63_2464
.LBB63_2395:
	s_mov_b32 s16, -1
	s_mov_b32 s9, 0
	s_mov_b32 s1, 0
                                        ; implicit-def: $vgpr44_vgpr45
	s_branch .LBB63_2429
.LBB63_2396:
	s_mov_b32 s16, -1
	s_mov_b32 s9, 0
	s_mov_b32 s1, 0
                                        ; implicit-def: $vgpr44_vgpr45
	s_branch .LBB63_2412
.LBB63_2397:
	s_mov_b32 s16, -1
	s_mov_b32 s9, 0
	s_mov_b32 s1, 0
                                        ; implicit-def: $vgpr44_vgpr45
	s_branch .LBB63_2407
.LBB63_2398:
	s_or_b32 s33, s33, exec_lo
	s_trap 2
	s_cbranch_execz .LBB63_2337
	s_branch .LBB63_2338
.LBB63_2399:
	s_mov_b32 s16, -1
	s_mov_b32 s9, 0
	s_mov_b32 s1, 0
	s_branch .LBB63_2401
.LBB63_2400:
	s_mov_b32 s1, -1
	s_mov_b32 s9, 0
.LBB63_2401:
                                        ; implicit-def: $vgpr44_vgpr45
.LBB63_2402:
	s_and_b32 vcc_lo, exec_lo, s16
	s_cbranch_vccz .LBB63_2406
; %bb.2403:
	s_cmp_eq_u32 s0, 44
	s_cbranch_scc0 .LBB63_2405
; %bb.2404:
	global_load_u8 v1, v[48:49], off
	s_mov_b32 s1, 0
	s_mov_b32 s9, -1
	s_wait_loadcnt 0x0
	v_lshlrev_b32_e32 v3, 23, v1
	v_cmp_ne_u32_e32 vcc_lo, 0, v1
	s_delay_alu instid0(VALU_DEP_2) | instskip(NEXT) | instid1(VALU_DEP_1)
	v_trunc_f32_e32 v3, v3
	v_mul_f32_e64 v5, 0x2f800000, |v3|
	v_ashrrev_i32_e32 v44, 31, v3
	s_delay_alu instid0(VALU_DEP_2) | instskip(NEXT) | instid1(VALU_DEP_2)
	v_floor_f32_e32 v5, v5
	v_mov_b32_e32 v45, v44
	s_delay_alu instid0(VALU_DEP_2) | instskip(SKIP_1) | instid1(VALU_DEP_2)
	v_fma_f32 v7, 0xcf800000, v5, |v3|
	v_cvt_u32_f32_e32 v3, v5
	v_cvt_u32_f32_e32 v5, v7
	s_delay_alu instid0(VALU_DEP_2) | instskip(NEXT) | instid1(VALU_DEP_2)
	v_xor_b32_e32 v51, v3, v44
	v_xor_b32_e32 v50, v5, v44
	s_delay_alu instid0(VALU_DEP_1) | instskip(NEXT) | instid1(VALU_DEP_1)
	v_sub_nc_u64_e32 v[44:45], v[50:51], v[44:45]
	v_dual_cndmask_b32 v45, 0, v45 :: v_dual_cndmask_b32 v44, 0, v44
	s_branch .LBB63_2406
.LBB63_2405:
	s_mov_b32 s1, -1
                                        ; implicit-def: $vgpr44_vgpr45
.LBB63_2406:
	s_mov_b32 s16, 0
.LBB63_2407:
	s_delay_alu instid0(SALU_CYCLE_1)
	s_and_b32 vcc_lo, exec_lo, s16
	s_cbranch_vccz .LBB63_2411
; %bb.2408:
	s_cmp_eq_u32 s0, 29
	s_cbranch_scc0 .LBB63_2410
; %bb.2409:
	global_load_b64 v[44:45], v[48:49], off
	s_mov_b32 s1, 0
	s_mov_b32 s9, -1
	s_branch .LBB63_2411
.LBB63_2410:
	s_mov_b32 s1, -1
                                        ; implicit-def: $vgpr44_vgpr45
.LBB63_2411:
	s_mov_b32 s16, 0
.LBB63_2412:
	s_delay_alu instid0(SALU_CYCLE_1)
	s_and_b32 vcc_lo, exec_lo, s16
	s_cbranch_vccz .LBB63_2428
; %bb.2413:
	s_cmp_lt_i32 s0, 27
	s_cbranch_scc1 .LBB63_2416
; %bb.2414:
	s_cmp_gt_i32 s0, 27
	s_cbranch_scc0 .LBB63_2417
; %bb.2415:
	s_wait_loadcnt 0x0
	global_load_b32 v44, v[48:49], off
	v_mov_b32_e32 v45, 0
	s_mov_b32 s9, 0
	s_branch .LBB63_2418
.LBB63_2416:
	s_mov_b32 s9, -1
                                        ; implicit-def: $vgpr44_vgpr45
	s_branch .LBB63_2421
.LBB63_2417:
	s_mov_b32 s9, -1
                                        ; implicit-def: $vgpr44_vgpr45
.LBB63_2418:
	s_delay_alu instid0(SALU_CYCLE_1)
	s_and_not1_b32 vcc_lo, exec_lo, s9
	s_cbranch_vccnz .LBB63_2420
; %bb.2419:
	global_load_u16 v1, v[48:49], off
	s_mov_b32 s9, 0
	s_wait_loadcnt 0x1
	v_mov_b32_e32 v45, s9
	s_wait_loadcnt 0x0
	v_and_b32_e32 v44, 0xffff, v1
.LBB63_2420:
	s_mov_b32 s9, 0
.LBB63_2421:
	s_delay_alu instid0(SALU_CYCLE_1)
	s_and_not1_b32 vcc_lo, exec_lo, s9
	s_cbranch_vccnz .LBB63_2427
; %bb.2422:
	global_load_u8 v1, v[48:49], off
	s_mov_b32 s16, 0
	s_mov_b32 s9, exec_lo
	s_wait_loadcnt 0x0
	v_cmpx_lt_i16_e32 0x7f, v1
	s_xor_b32 s9, exec_lo, s9
	s_cbranch_execz .LBB63_2439
; %bb.2423:
	v_cmp_ne_u16_e32 vcc_lo, 0x80, v1
	s_and_b32 s16, vcc_lo, exec_lo
	s_and_not1_saveexec_b32 s9, s9
	s_cbranch_execnz .LBB63_2440
.LBB63_2424:
	s_or_b32 exec_lo, exec_lo, s9
	v_mov_b64_e32 v[44:45], 0
	s_and_saveexec_b32 s9, s16
	s_cbranch_execz .LBB63_2426
.LBB63_2425:
	v_and_b32_e32 v3, 0xffff, v1
	s_delay_alu instid0(VALU_DEP_1) | instskip(SKIP_1) | instid1(VALU_DEP_2)
	v_dual_lshlrev_b32 v1, 24, v1 :: v_dual_bitop2_b32 v5, 7, v3 bitop3:0x40
	v_bfe_u32 v15, v3, 3, 4
	v_and_b32_e32 v1, 0x80000000, v1
	s_delay_alu instid0(VALU_DEP_3) | instskip(NEXT) | instid1(VALU_DEP_3)
	v_clz_i32_u32_e32 v7, v5
	v_cmp_eq_u32_e32 vcc_lo, 0, v15
	s_delay_alu instid0(VALU_DEP_2) | instskip(NEXT) | instid1(VALU_DEP_1)
	v_min_u32_e32 v7, 32, v7
	v_subrev_nc_u32_e32 v11, 28, v7
	v_sub_nc_u32_e32 v7, 29, v7
	s_delay_alu instid0(VALU_DEP_2) | instskip(NEXT) | instid1(VALU_DEP_2)
	v_lshlrev_b32_e32 v3, v11, v3
	v_cndmask_b32_e32 v7, v15, v7, vcc_lo
	s_delay_alu instid0(VALU_DEP_2) | instskip(NEXT) | instid1(VALU_DEP_1)
	v_and_b32_e32 v3, 7, v3
	v_cndmask_b32_e32 v3, v5, v3, vcc_lo
	s_delay_alu instid0(VALU_DEP_3) | instskip(NEXT) | instid1(VALU_DEP_2)
	v_lshl_add_u32 v5, v7, 23, 0x3b800000
	v_lshlrev_b32_e32 v3, 20, v3
	s_delay_alu instid0(VALU_DEP_1) | instskip(NEXT) | instid1(VALU_DEP_1)
	v_or3_b32 v1, v1, v5, v3
	v_trunc_f32_e32 v1, v1
	s_delay_alu instid0(VALU_DEP_1) | instskip(SKIP_1) | instid1(VALU_DEP_2)
	v_mul_f32_e64 v3, 0x2f800000, |v1|
	v_ashrrev_i32_e32 v44, 31, v1
	v_floor_f32_e32 v3, v3
	s_delay_alu instid0(VALU_DEP_2) | instskip(NEXT) | instid1(VALU_DEP_2)
	v_mov_b32_e32 v45, v44
	v_fma_f32 v5, 0xcf800000, v3, |v1|
	v_cvt_u32_f32_e32 v1, v3
	s_delay_alu instid0(VALU_DEP_2) | instskip(NEXT) | instid1(VALU_DEP_2)
	v_cvt_u32_f32_e32 v3, v5
	v_xor_b32_e32 v51, v1, v44
	s_delay_alu instid0(VALU_DEP_2) | instskip(NEXT) | instid1(VALU_DEP_1)
	v_xor_b32_e32 v50, v3, v44
	v_sub_nc_u64_e32 v[44:45], v[50:51], v[44:45]
.LBB63_2426:
	s_or_b32 exec_lo, exec_lo, s9
.LBB63_2427:
	s_mov_b32 s9, -1
.LBB63_2428:
	s_mov_b32 s16, 0
.LBB63_2429:
	s_delay_alu instid0(SALU_CYCLE_1)
	s_and_b32 vcc_lo, exec_lo, s16
	s_cbranch_vccz .LBB63_2460
; %bb.2430:
	s_cmp_gt_i32 s0, 22
	s_cbranch_scc0 .LBB63_2438
; %bb.2431:
	s_cmp_lt_i32 s0, 24
	s_cbranch_scc1 .LBB63_2441
; %bb.2432:
	s_cmp_gt_i32 s0, 24
	s_cbranch_scc0 .LBB63_2442
; %bb.2433:
	global_load_u8 v1, v[48:49], off
	s_mov_b32 s9, 0
	s_mov_b32 s8, exec_lo
	s_wait_loadcnt 0x0
	v_cmpx_lt_i16_e32 0x7f, v1
	s_xor_b32 s8, exec_lo, s8
	s_cbranch_execz .LBB63_2454
; %bb.2434:
	v_cmp_ne_u16_e32 vcc_lo, 0x80, v1
	s_and_b32 s9, vcc_lo, exec_lo
	s_and_not1_saveexec_b32 s8, s8
	s_cbranch_execnz .LBB63_2455
.LBB63_2435:
	s_or_b32 exec_lo, exec_lo, s8
	v_mov_b64_e32 v[44:45], 0
	s_and_saveexec_b32 s8, s9
	s_cbranch_execz .LBB63_2437
.LBB63_2436:
	v_and_b32_e32 v3, 0xffff, v1
	s_delay_alu instid0(VALU_DEP_1) | instskip(SKIP_1) | instid1(VALU_DEP_2)
	v_dual_lshlrev_b32 v1, 24, v1 :: v_dual_bitop2_b32 v5, 3, v3 bitop3:0x40
	v_bfe_u32 v15, v3, 2, 5
	v_and_b32_e32 v1, 0x80000000, v1
	s_delay_alu instid0(VALU_DEP_3) | instskip(NEXT) | instid1(VALU_DEP_3)
	v_clz_i32_u32_e32 v7, v5
	v_cmp_eq_u32_e32 vcc_lo, 0, v15
	s_delay_alu instid0(VALU_DEP_2) | instskip(NEXT) | instid1(VALU_DEP_1)
	v_min_u32_e32 v7, 32, v7
	v_subrev_nc_u32_e32 v11, 29, v7
	v_sub_nc_u32_e32 v7, 30, v7
	s_delay_alu instid0(VALU_DEP_2) | instskip(NEXT) | instid1(VALU_DEP_2)
	v_lshlrev_b32_e32 v3, v11, v3
	v_cndmask_b32_e32 v7, v15, v7, vcc_lo
	s_delay_alu instid0(VALU_DEP_2) | instskip(NEXT) | instid1(VALU_DEP_1)
	v_and_b32_e32 v3, 3, v3
	v_cndmask_b32_e32 v3, v5, v3, vcc_lo
	s_delay_alu instid0(VALU_DEP_3) | instskip(NEXT) | instid1(VALU_DEP_2)
	v_lshl_add_u32 v5, v7, 23, 0x37800000
	v_lshlrev_b32_e32 v3, 21, v3
	s_delay_alu instid0(VALU_DEP_1) | instskip(NEXT) | instid1(VALU_DEP_1)
	v_or3_b32 v1, v1, v5, v3
	v_trunc_f32_e32 v1, v1
	s_delay_alu instid0(VALU_DEP_1) | instskip(SKIP_1) | instid1(VALU_DEP_2)
	v_mul_f32_e64 v3, 0x2f800000, |v1|
	v_ashrrev_i32_e32 v44, 31, v1
	v_floor_f32_e32 v3, v3
	s_delay_alu instid0(VALU_DEP_2) | instskip(NEXT) | instid1(VALU_DEP_2)
	v_mov_b32_e32 v45, v44
	v_fma_f32 v5, 0xcf800000, v3, |v1|
	v_cvt_u32_f32_e32 v1, v3
	s_delay_alu instid0(VALU_DEP_2) | instskip(NEXT) | instid1(VALU_DEP_2)
	v_cvt_u32_f32_e32 v3, v5
	v_xor_b32_e32 v51, v1, v44
	s_delay_alu instid0(VALU_DEP_2) | instskip(NEXT) | instid1(VALU_DEP_1)
	v_xor_b32_e32 v50, v3, v44
	v_sub_nc_u64_e32 v[44:45], v[50:51], v[44:45]
.LBB63_2437:
	s_or_b32 exec_lo, exec_lo, s8
	s_mov_b32 s8, 0
	s_branch .LBB63_2443
.LBB63_2438:
	s_mov_b32 s8, -1
                                        ; implicit-def: $vgpr44_vgpr45
	s_branch .LBB63_2449
.LBB63_2439:
	s_and_not1_saveexec_b32 s9, s9
	s_cbranch_execz .LBB63_2424
.LBB63_2440:
	v_cmp_ne_u16_e32 vcc_lo, 0, v1
	s_and_not1_b32 s16, s16, exec_lo
	s_and_b32 s17, vcc_lo, exec_lo
	s_delay_alu instid0(SALU_CYCLE_1)
	s_or_b32 s16, s16, s17
	s_or_b32 exec_lo, exec_lo, s9
	v_mov_b64_e32 v[44:45], 0
	s_and_saveexec_b32 s9, s16
	s_cbranch_execnz .LBB63_2425
	s_branch .LBB63_2426
.LBB63_2441:
	s_mov_b32 s8, -1
                                        ; implicit-def: $vgpr44_vgpr45
	s_branch .LBB63_2446
.LBB63_2442:
	s_mov_b32 s8, -1
                                        ; implicit-def: $vgpr44_vgpr45
.LBB63_2443:
	s_delay_alu instid0(SALU_CYCLE_1)
	s_and_b32 vcc_lo, exec_lo, s8
	s_cbranch_vccz .LBB63_2445
; %bb.2444:
	global_load_u8 v1, v[48:49], off
	s_wait_loadcnt 0x0
	v_lshlrev_b32_e32 v1, 24, v1
	s_delay_alu instid0(VALU_DEP_1) | instskip(NEXT) | instid1(VALU_DEP_1)
	v_and_b32_e32 v3, 0x7f000000, v1
	v_clz_i32_u32_e32 v5, v3
	v_add_nc_u32_e32 v11, 0x1000000, v3
	v_cmp_ne_u32_e32 vcc_lo, 0, v3
	s_delay_alu instid0(VALU_DEP_3) | instskip(NEXT) | instid1(VALU_DEP_1)
	v_min_u32_e32 v5, 32, v5
	v_sub_nc_u32_e64 v5, v5, 4 clamp
	s_delay_alu instid0(VALU_DEP_1) | instskip(NEXT) | instid1(VALU_DEP_1)
	v_dual_lshlrev_b32 v7, v5, v3 :: v_dual_lshlrev_b32 v5, 23, v5
	v_lshrrev_b32_e32 v7, 4, v7
	s_delay_alu instid0(VALU_DEP_1) | instskip(NEXT) | instid1(VALU_DEP_1)
	v_dual_sub_nc_u32 v5, v7, v5 :: v_dual_ashrrev_i32 v7, 8, v11
	v_add_nc_u32_e32 v5, 0x3c000000, v5
	s_delay_alu instid0(VALU_DEP_1) | instskip(NEXT) | instid1(VALU_DEP_1)
	v_and_or_b32 v5, 0x7f800000, v7, v5
	v_cndmask_b32_e32 v3, 0, v5, vcc_lo
	s_delay_alu instid0(VALU_DEP_1) | instskip(NEXT) | instid1(VALU_DEP_1)
	v_and_or_b32 v1, 0x80000000, v1, v3
	v_trunc_f32_e32 v1, v1
	s_delay_alu instid0(VALU_DEP_1) | instskip(SKIP_1) | instid1(VALU_DEP_2)
	v_mul_f32_e64 v3, 0x2f800000, |v1|
	v_ashrrev_i32_e32 v44, 31, v1
	v_floor_f32_e32 v3, v3
	s_delay_alu instid0(VALU_DEP_2) | instskip(NEXT) | instid1(VALU_DEP_2)
	v_mov_b32_e32 v45, v44
	v_fma_f32 v5, 0xcf800000, v3, |v1|
	v_cvt_u32_f32_e32 v1, v3
	s_delay_alu instid0(VALU_DEP_2) | instskip(NEXT) | instid1(VALU_DEP_2)
	v_cvt_u32_f32_e32 v3, v5
	v_xor_b32_e32 v51, v1, v44
	s_delay_alu instid0(VALU_DEP_2) | instskip(NEXT) | instid1(VALU_DEP_1)
	v_xor_b32_e32 v50, v3, v44
	v_sub_nc_u64_e32 v[44:45], v[50:51], v[44:45]
.LBB63_2445:
	s_mov_b32 s8, 0
.LBB63_2446:
	s_delay_alu instid0(SALU_CYCLE_1)
	s_and_not1_b32 vcc_lo, exec_lo, s8
	s_cbranch_vccnz .LBB63_2448
; %bb.2447:
	global_load_u8 v1, v[48:49], off
	s_wait_loadcnt 0x0
	v_lshlrev_b32_e32 v3, 25, v1
	v_lshlrev_b16 v1, 8, v1
	s_delay_alu instid0(VALU_DEP_1) | instskip(SKIP_1) | instid1(VALU_DEP_2)
	v_and_or_b32 v7, 0x7f00, v1, 0.5
	v_bfe_i32 v1, v1, 0, 16
	v_add_f32_e32 v7, -0.5, v7
	v_lshrrev_b32_e32 v5, 4, v3
	v_cmp_gt_u32_e32 vcc_lo, 0x8000000, v3
	s_delay_alu instid0(VALU_DEP_2) | instskip(NEXT) | instid1(VALU_DEP_1)
	v_or_b32_e32 v5, 0x70000000, v5
	v_mul_f32_e32 v5, 0x7800000, v5
	s_delay_alu instid0(VALU_DEP_1) | instskip(NEXT) | instid1(VALU_DEP_1)
	v_cndmask_b32_e32 v3, v5, v7, vcc_lo
	v_and_or_b32 v1, 0x80000000, v1, v3
	s_delay_alu instid0(VALU_DEP_1) | instskip(NEXT) | instid1(VALU_DEP_1)
	v_trunc_f32_e32 v1, v1
	v_mul_f32_e64 v3, 0x2f800000, |v1|
	v_ashrrev_i32_e32 v44, 31, v1
	s_delay_alu instid0(VALU_DEP_2) | instskip(NEXT) | instid1(VALU_DEP_2)
	v_floor_f32_e32 v3, v3
	v_mov_b32_e32 v45, v44
	s_delay_alu instid0(VALU_DEP_2) | instskip(SKIP_1) | instid1(VALU_DEP_2)
	v_fma_f32 v5, 0xcf800000, v3, |v1|
	v_cvt_u32_f32_e32 v1, v3
	v_cvt_u32_f32_e32 v3, v5
	s_delay_alu instid0(VALU_DEP_2) | instskip(NEXT) | instid1(VALU_DEP_2)
	v_xor_b32_e32 v51, v1, v44
	v_xor_b32_e32 v50, v3, v44
	s_delay_alu instid0(VALU_DEP_1)
	v_sub_nc_u64_e32 v[44:45], v[50:51], v[44:45]
.LBB63_2448:
	s_mov_b32 s8, 0
	s_mov_b32 s9, -1
.LBB63_2449:
	s_and_not1_b32 vcc_lo, exec_lo, s8
	s_mov_b32 s8, 0
	s_cbranch_vccnz .LBB63_2460
; %bb.2450:
	s_cmp_gt_i32 s0, 14
	s_cbranch_scc0 .LBB63_2453
; %bb.2451:
	s_cmp_eq_u32 s0, 15
	s_cbranch_scc0 .LBB63_2456
; %bb.2452:
	global_load_u16 v1, v[48:49], off
	s_mov_b32 s1, 0
	s_mov_b32 s9, -1
	s_wait_loadcnt 0x0
	v_lshlrev_b32_e32 v1, 16, v1
	s_delay_alu instid0(VALU_DEP_1) | instskip(NEXT) | instid1(VALU_DEP_1)
	v_trunc_f32_e32 v1, v1
	v_mul_f32_e64 v3, 0x2f800000, |v1|
	v_ashrrev_i32_e32 v44, 31, v1
	s_delay_alu instid0(VALU_DEP_2) | instskip(NEXT) | instid1(VALU_DEP_2)
	v_floor_f32_e32 v3, v3
	v_mov_b32_e32 v45, v44
	s_delay_alu instid0(VALU_DEP_2) | instskip(SKIP_1) | instid1(VALU_DEP_2)
	v_fma_f32 v5, 0xcf800000, v3, |v1|
	v_cvt_u32_f32_e32 v1, v3
	v_cvt_u32_f32_e32 v3, v5
	s_delay_alu instid0(VALU_DEP_2) | instskip(NEXT) | instid1(VALU_DEP_2)
	v_xor_b32_e32 v51, v1, v44
	v_xor_b32_e32 v50, v3, v44
	s_delay_alu instid0(VALU_DEP_1)
	v_sub_nc_u64_e32 v[44:45], v[50:51], v[44:45]
	s_branch .LBB63_2458
.LBB63_2453:
	s_mov_b32 s8, -1
	s_branch .LBB63_2457
.LBB63_2454:
	s_and_not1_saveexec_b32 s8, s8
	s_cbranch_execz .LBB63_2435
.LBB63_2455:
	v_cmp_ne_u16_e32 vcc_lo, 0, v1
	s_and_not1_b32 s9, s9, exec_lo
	s_and_b32 s16, vcc_lo, exec_lo
	s_delay_alu instid0(SALU_CYCLE_1)
	s_or_b32 s9, s9, s16
	s_or_b32 exec_lo, exec_lo, s8
	v_mov_b64_e32 v[44:45], 0
	s_and_saveexec_b32 s8, s9
	s_cbranch_execnz .LBB63_2436
	s_branch .LBB63_2437
.LBB63_2456:
	s_mov_b32 s1, -1
.LBB63_2457:
                                        ; implicit-def: $vgpr44_vgpr45
.LBB63_2458:
	s_and_b32 vcc_lo, exec_lo, s8
	s_mov_b32 s8, 0
	s_cbranch_vccz .LBB63_2460
; %bb.2459:
	s_cmp_lg_u32 s0, 11
	s_mov_b32 s8, -1
	s_cselect_b32 s1, -1, 0
.LBB63_2460:
	s_delay_alu instid0(SALU_CYCLE_1)
	s_and_b32 vcc_lo, exec_lo, s1
	s_cbranch_vccnz .LBB63_2525
; %bb.2461:
	s_and_not1_b32 vcc_lo, exec_lo, s8
	s_cbranch_vccnz .LBB63_2463
.LBB63_2462:
	global_load_u8 v1, v[48:49], off
	s_mov_b32 s0, 0
	s_mov_b32 s9, -1
	s_wait_loadcnt 0x1
	v_mov_b32_e32 v45, s0
	s_wait_loadcnt 0x0
	v_cmp_ne_u16_e32 vcc_lo, 0, v1
	v_cndmask_b32_e64 v44, 0, 1, vcc_lo
.LBB63_2463:
	s_mov_b32 s0, 0
.LBB63_2464:
	s_delay_alu instid0(SALU_CYCLE_1)
	s_and_b32 vcc_lo, exec_lo, s0
	s_cbranch_vccz .LBB63_2513
; %bb.2465:
	s_and_b32 s0, 0xffff, s50
	s_delay_alu instid0(SALU_CYCLE_1)
	s_cmp_lt_i32 s0, 5
	s_cbranch_scc1 .LBB63_2470
; %bb.2466:
	s_cmp_lt_i32 s0, 8
	s_cbranch_scc1 .LBB63_2471
; %bb.2467:
	;; [unrolled: 3-line block ×3, first 2 shown]
	s_cmp_gt_i32 s0, 9
	s_cbranch_scc0 .LBB63_2473
; %bb.2469:
	s_wait_loadcnt 0x0
	global_load_b64 v[44:45], v[48:49], off
	s_mov_b32 s1, 0
	s_wait_loadcnt 0x0
	v_trunc_f64_e32 v[44:45], v[44:45]
	s_delay_alu instid0(VALU_DEP_1) | instskip(NEXT) | instid1(VALU_DEP_1)
	v_ldexp_f64 v[50:51], v[44:45], 0xffffffe0
	v_floor_f64_e32 v[50:51], v[50:51]
	s_delay_alu instid0(VALU_DEP_1) | instskip(SKIP_1) | instid1(VALU_DEP_2)
	v_fmamk_f64 v[52:53], v[50:51], 0xc1f00000, v[44:45]
	v_cvt_i32_f64_e32 v45, v[50:51]
	v_cvt_u32_f64_e32 v44, v[52:53]
	s_branch .LBB63_2474
.LBB63_2470:
	s_mov_b32 s1, -1
                                        ; implicit-def: $vgpr44_vgpr45
	s_branch .LBB63_2492
.LBB63_2471:
	s_mov_b32 s1, -1
                                        ; implicit-def: $vgpr44_vgpr45
	s_branch .LBB63_2480
.LBB63_2472:
	s_mov_b32 s1, -1
                                        ; implicit-def: $vgpr44_vgpr45
	s_branch .LBB63_2477
.LBB63_2473:
	s_mov_b32 s1, -1
                                        ; implicit-def: $vgpr44_vgpr45
.LBB63_2474:
	s_delay_alu instid0(SALU_CYCLE_1)
	s_and_not1_b32 vcc_lo, exec_lo, s1
	s_cbranch_vccnz .LBB63_2476
; %bb.2475:
	global_load_b32 v1, v[48:49], off
	s_wait_loadcnt 0x0
	v_trunc_f32_e32 v1, v1
	s_delay_alu instid0(VALU_DEP_1) | instskip(SKIP_1) | instid1(VALU_DEP_2)
	v_mul_f32_e64 v3, 0x2f800000, |v1|
	v_ashrrev_i32_e32 v44, 31, v1
	v_floor_f32_e32 v3, v3
	s_delay_alu instid0(VALU_DEP_1) | instskip(SKIP_1) | instid1(VALU_DEP_4)
	v_fma_f32 v5, 0xcf800000, v3, |v1|
	v_cvt_u32_f32_e32 v1, v3
	v_mov_b32_e32 v45, v44
	s_delay_alu instid0(VALU_DEP_3) | instskip(NEXT) | instid1(VALU_DEP_3)
	v_cvt_u32_f32_e32 v3, v5
	v_xor_b32_e32 v51, v1, v44
	s_delay_alu instid0(VALU_DEP_2) | instskip(NEXT) | instid1(VALU_DEP_1)
	v_xor_b32_e32 v50, v3, v44
	v_sub_nc_u64_e32 v[44:45], v[50:51], v[44:45]
.LBB63_2476:
	s_mov_b32 s1, 0
.LBB63_2477:
	s_delay_alu instid0(SALU_CYCLE_1)
	s_and_not1_b32 vcc_lo, exec_lo, s1
	s_cbranch_vccnz .LBB63_2479
; %bb.2478:
	global_load_b32 v1, v[48:49], off
	s_wait_loadcnt 0x0
	v_cvt_f32_f16_e32 v1, v1
	s_delay_alu instid0(VALU_DEP_1) | instskip(NEXT) | instid1(VALU_DEP_1)
	v_cvt_i32_f32_e32 v44, v1
	v_ashrrev_i32_e32 v45, 31, v44
.LBB63_2479:
	s_mov_b32 s1, 0
.LBB63_2480:
	s_delay_alu instid0(SALU_CYCLE_1)
	s_and_not1_b32 vcc_lo, exec_lo, s1
	s_cbranch_vccnz .LBB63_2491
; %bb.2481:
	s_cmp_lt_i32 s0, 6
	s_cbranch_scc1 .LBB63_2484
; %bb.2482:
	s_cmp_gt_i32 s0, 6
	s_cbranch_scc0 .LBB63_2485
; %bb.2483:
	s_wait_loadcnt 0x0
	global_load_b64 v[44:45], v[48:49], off
	s_mov_b32 s1, 0
	s_wait_loadcnt 0x0
	v_trunc_f64_e32 v[44:45], v[44:45]
	s_delay_alu instid0(VALU_DEP_1) | instskip(NEXT) | instid1(VALU_DEP_1)
	v_ldexp_f64 v[50:51], v[44:45], 0xffffffe0
	v_floor_f64_e32 v[50:51], v[50:51]
	s_delay_alu instid0(VALU_DEP_1) | instskip(SKIP_1) | instid1(VALU_DEP_2)
	v_fmamk_f64 v[52:53], v[50:51], 0xc1f00000, v[44:45]
	v_cvt_i32_f64_e32 v45, v[50:51]
	v_cvt_u32_f64_e32 v44, v[52:53]
	s_branch .LBB63_2486
.LBB63_2484:
	s_mov_b32 s1, -1
                                        ; implicit-def: $vgpr44_vgpr45
	s_branch .LBB63_2489
.LBB63_2485:
	s_mov_b32 s1, -1
                                        ; implicit-def: $vgpr44_vgpr45
.LBB63_2486:
	s_delay_alu instid0(SALU_CYCLE_1)
	s_and_not1_b32 vcc_lo, exec_lo, s1
	s_cbranch_vccnz .LBB63_2488
; %bb.2487:
	global_load_b32 v1, v[48:49], off
	s_wait_loadcnt 0x0
	v_trunc_f32_e32 v1, v1
	s_delay_alu instid0(VALU_DEP_1) | instskip(SKIP_1) | instid1(VALU_DEP_2)
	v_mul_f32_e64 v3, 0x2f800000, |v1|
	v_ashrrev_i32_e32 v44, 31, v1
	v_floor_f32_e32 v3, v3
	s_delay_alu instid0(VALU_DEP_1) | instskip(SKIP_1) | instid1(VALU_DEP_4)
	v_fma_f32 v5, 0xcf800000, v3, |v1|
	v_cvt_u32_f32_e32 v1, v3
	v_mov_b32_e32 v45, v44
	s_delay_alu instid0(VALU_DEP_3) | instskip(NEXT) | instid1(VALU_DEP_3)
	v_cvt_u32_f32_e32 v3, v5
	v_xor_b32_e32 v51, v1, v44
	s_delay_alu instid0(VALU_DEP_2) | instskip(NEXT) | instid1(VALU_DEP_1)
	v_xor_b32_e32 v50, v3, v44
	v_sub_nc_u64_e32 v[44:45], v[50:51], v[44:45]
.LBB63_2488:
	s_mov_b32 s1, 0
.LBB63_2489:
	s_delay_alu instid0(SALU_CYCLE_1)
	s_and_not1_b32 vcc_lo, exec_lo, s1
	s_cbranch_vccnz .LBB63_2491
; %bb.2490:
	global_load_u16 v1, v[48:49], off
	s_wait_loadcnt 0x0
	v_cvt_f32_f16_e32 v1, v1
	s_delay_alu instid0(VALU_DEP_1) | instskip(NEXT) | instid1(VALU_DEP_1)
	v_cvt_i32_f32_e32 v44, v1
	v_ashrrev_i32_e32 v45, 31, v44
.LBB63_2491:
	s_mov_b32 s1, 0
.LBB63_2492:
	s_delay_alu instid0(SALU_CYCLE_1)
	s_and_not1_b32 vcc_lo, exec_lo, s1
	s_cbranch_vccnz .LBB63_2512
; %bb.2493:
	s_cmp_lt_i32 s0, 2
	s_cbranch_scc1 .LBB63_2497
; %bb.2494:
	s_cmp_lt_i32 s0, 3
	s_cbranch_scc1 .LBB63_2498
; %bb.2495:
	s_cmp_gt_i32 s0, 3
	s_cbranch_scc0 .LBB63_2499
; %bb.2496:
	s_wait_loadcnt 0x0
	global_load_b64 v[44:45], v[48:49], off
	s_mov_b32 s1, 0
	s_branch .LBB63_2500
.LBB63_2497:
	s_mov_b32 s1, -1
                                        ; implicit-def: $vgpr44_vgpr45
	s_branch .LBB63_2506
.LBB63_2498:
	s_mov_b32 s1, -1
                                        ; implicit-def: $vgpr44_vgpr45
	s_branch .LBB63_2503
.LBB63_2499:
	s_mov_b32 s1, -1
                                        ; implicit-def: $vgpr44_vgpr45
.LBB63_2500:
	s_delay_alu instid0(SALU_CYCLE_1)
	s_and_not1_b32 vcc_lo, exec_lo, s1
	s_cbranch_vccnz .LBB63_2502
; %bb.2501:
	s_wait_loadcnt 0x0
	global_load_b32 v44, v[48:49], off
	s_wait_loadcnt 0x0
	v_ashrrev_i32_e32 v45, 31, v44
.LBB63_2502:
	s_mov_b32 s1, 0
.LBB63_2503:
	s_delay_alu instid0(SALU_CYCLE_1)
	s_and_not1_b32 vcc_lo, exec_lo, s1
	s_cbranch_vccnz .LBB63_2505
; %bb.2504:
	global_load_u16 v1, v[48:49], off
	s_wait_loadcnt 0x0
	v_bfe_i32 v44, v1, 0, 16
	s_delay_alu instid0(VALU_DEP_1)
	v_ashrrev_i32_e32 v45, 31, v44
.LBB63_2505:
	s_mov_b32 s1, 0
.LBB63_2506:
	s_delay_alu instid0(SALU_CYCLE_1)
	s_and_not1_b32 vcc_lo, exec_lo, s1
	s_cbranch_vccnz .LBB63_2512
; %bb.2507:
	s_cmp_gt_i32 s0, 0
	s_mov_b32 s0, 0
	s_cbranch_scc0 .LBB63_2509
; %bb.2508:
	global_load_i8 v1, v[48:49], off
	s_wait_loadcnt 0x0
	v_bfe_i32 v44, v1, 0, 16
	s_delay_alu instid0(VALU_DEP_1)
	v_ashrrev_i32_e32 v45, 31, v44
	s_branch .LBB63_2510
.LBB63_2509:
	s_mov_b32 s0, -1
                                        ; implicit-def: $vgpr44_vgpr45
.LBB63_2510:
	s_delay_alu instid0(SALU_CYCLE_1)
	s_and_not1_b32 vcc_lo, exec_lo, s0
	s_cbranch_vccnz .LBB63_2512
; %bb.2511:
	global_load_u8 v1, v[48:49], off
	s_mov_b32 s0, 0
	s_wait_loadcnt 0x1
	v_mov_b32_e32 v45, s0
	s_wait_loadcnt 0x0
	v_and_b32_e32 v44, 0xffff, v1
.LBB63_2512:
	s_mov_b32 s9, -1
.LBB63_2513:
	s_delay_alu instid0(SALU_CYCLE_1)
	s_and_not1_b32 vcc_lo, exec_lo, s9
	s_cbranch_vccnz .LBB63_2649
; %bb.2514:
	v_mov_b32_e32 v43, 0
	s_load_b64 s[16:17], s[2:3], 0x270
	global_load_u8 v1, v43, s[2:3] offset:693
	s_wait_kmcnt 0x0
	v_add_nc_u64_e32 v[42:43], s[16:17], v[42:43]
	s_wait_loadcnt 0x0
	v_and_b32_e32 v3, 0xffff, v1
	v_readfirstlane_b32 s51, v1
	s_delay_alu instid0(VALU_DEP_2)
	v_cmp_gt_i32_e32 vcc_lo, 11, v3
	s_cbranch_vccnz .LBB63_2521
; %bb.2515:
	s_and_b32 s0, 0xffff, s51
	s_mov_b32 s8, 0
	s_cmp_gt_i32 s0, 25
	s_cbranch_scc0 .LBB63_2522
; %bb.2516:
	s_cmp_gt_i32 s0, 28
	s_cbranch_scc0 .LBB63_2523
; %bb.2517:
	;; [unrolled: 3-line block ×4, first 2 shown]
	s_cmp_eq_u32 s0, 46
	s_mov_b32 s18, 0
	s_cbranch_scc0 .LBB63_2527
; %bb.2520:
	global_load_b32 v1, v[42:43], off
	s_mov_b32 s1, 0
	s_mov_b32 s9, -1
	s_wait_loadcnt 0x0
	v_lshlrev_b32_e32 v1, 16, v1
	s_delay_alu instid0(VALU_DEP_1) | instskip(NEXT) | instid1(VALU_DEP_1)
	v_trunc_f32_e32 v1, v1
	v_mul_f32_e64 v3, 0x2f800000, |v1|
	v_ashrrev_i32_e32 v48, 31, v1
	s_delay_alu instid0(VALU_DEP_2) | instskip(NEXT) | instid1(VALU_DEP_2)
	v_floor_f32_e32 v3, v3
	v_mov_b32_e32 v49, v48
	s_delay_alu instid0(VALU_DEP_2) | instskip(SKIP_1) | instid1(VALU_DEP_2)
	v_fma_f32 v5, 0xcf800000, v3, |v1|
	v_cvt_u32_f32_e32 v1, v3
	v_cvt_u32_f32_e32 v3, v5
	s_delay_alu instid0(VALU_DEP_2) | instskip(NEXT) | instid1(VALU_DEP_2)
	v_xor_b32_e32 v51, v1, v48
	v_xor_b32_e32 v50, v3, v48
	s_delay_alu instid0(VALU_DEP_1)
	v_sub_nc_u64_e32 v[48:49], v[50:51], v[48:49]
	s_branch .LBB63_2529
.LBB63_2521:
	s_mov_b32 s0, -1
	s_mov_b32 s9, 0
                                        ; implicit-def: $vgpr48_vgpr49
	s_branch .LBB63_2591
.LBB63_2522:
	s_mov_b32 s18, -1
	s_mov_b32 s9, 0
	s_mov_b32 s1, 0
                                        ; implicit-def: $vgpr48_vgpr49
	s_branch .LBB63_2556
.LBB63_2523:
	s_mov_b32 s18, -1
	s_mov_b32 s9, 0
	s_mov_b32 s1, 0
                                        ; implicit-def: $vgpr48_vgpr49
	s_branch .LBB63_2539
.LBB63_2524:
	s_mov_b32 s18, -1
	s_mov_b32 s9, 0
	s_mov_b32 s1, 0
                                        ; implicit-def: $vgpr48_vgpr49
	s_branch .LBB63_2534
.LBB63_2525:
	s_or_b32 s33, s33, exec_lo
	s_trap 2
	s_cbranch_execz .LBB63_2462
	s_branch .LBB63_2463
.LBB63_2526:
	s_mov_b32 s18, -1
	s_mov_b32 s9, 0
	s_mov_b32 s1, 0
	s_branch .LBB63_2528
.LBB63_2527:
	s_mov_b32 s1, -1
	s_mov_b32 s9, 0
.LBB63_2528:
                                        ; implicit-def: $vgpr48_vgpr49
.LBB63_2529:
	s_and_b32 vcc_lo, exec_lo, s18
	s_cbranch_vccz .LBB63_2533
; %bb.2530:
	s_cmp_eq_u32 s0, 44
	s_cbranch_scc0 .LBB63_2532
; %bb.2531:
	global_load_u8 v1, v[42:43], off
	s_mov_b32 s1, 0
	s_mov_b32 s9, -1
	s_wait_loadcnt 0x0
	v_lshlrev_b32_e32 v3, 23, v1
	v_cmp_ne_u32_e32 vcc_lo, 0, v1
	s_delay_alu instid0(VALU_DEP_2) | instskip(NEXT) | instid1(VALU_DEP_1)
	v_trunc_f32_e32 v3, v3
	v_mul_f32_e64 v5, 0x2f800000, |v3|
	v_ashrrev_i32_e32 v48, 31, v3
	s_delay_alu instid0(VALU_DEP_2) | instskip(NEXT) | instid1(VALU_DEP_2)
	v_floor_f32_e32 v5, v5
	v_mov_b32_e32 v49, v48
	s_delay_alu instid0(VALU_DEP_2) | instskip(SKIP_1) | instid1(VALU_DEP_2)
	v_fma_f32 v7, 0xcf800000, v5, |v3|
	v_cvt_u32_f32_e32 v3, v5
	v_cvt_u32_f32_e32 v5, v7
	s_delay_alu instid0(VALU_DEP_2) | instskip(NEXT) | instid1(VALU_DEP_2)
	v_xor_b32_e32 v51, v3, v48
	v_xor_b32_e32 v50, v5, v48
	s_delay_alu instid0(VALU_DEP_1) | instskip(NEXT) | instid1(VALU_DEP_1)
	v_sub_nc_u64_e32 v[48:49], v[50:51], v[48:49]
	v_dual_cndmask_b32 v49, 0, v49 :: v_dual_cndmask_b32 v48, 0, v48
	s_branch .LBB63_2533
.LBB63_2532:
	s_mov_b32 s1, -1
                                        ; implicit-def: $vgpr48_vgpr49
.LBB63_2533:
	s_mov_b32 s18, 0
.LBB63_2534:
	s_delay_alu instid0(SALU_CYCLE_1)
	s_and_b32 vcc_lo, exec_lo, s18
	s_cbranch_vccz .LBB63_2538
; %bb.2535:
	s_cmp_eq_u32 s0, 29
	s_cbranch_scc0 .LBB63_2537
; %bb.2536:
	global_load_b64 v[48:49], v[42:43], off
	s_mov_b32 s1, 0
	s_mov_b32 s9, -1
	s_branch .LBB63_2538
.LBB63_2537:
	s_mov_b32 s1, -1
                                        ; implicit-def: $vgpr48_vgpr49
.LBB63_2538:
	s_mov_b32 s18, 0
.LBB63_2539:
	s_delay_alu instid0(SALU_CYCLE_1)
	s_and_b32 vcc_lo, exec_lo, s18
	s_cbranch_vccz .LBB63_2555
; %bb.2540:
	s_cmp_lt_i32 s0, 27
	s_cbranch_scc1 .LBB63_2543
; %bb.2541:
	s_cmp_gt_i32 s0, 27
	s_cbranch_scc0 .LBB63_2544
; %bb.2542:
	s_wait_loadcnt 0x0
	global_load_b32 v48, v[42:43], off
	v_mov_b32_e32 v49, 0
	s_mov_b32 s9, 0
	s_branch .LBB63_2545
.LBB63_2543:
	s_mov_b32 s9, -1
                                        ; implicit-def: $vgpr48_vgpr49
	s_branch .LBB63_2548
.LBB63_2544:
	s_mov_b32 s9, -1
                                        ; implicit-def: $vgpr48_vgpr49
.LBB63_2545:
	s_delay_alu instid0(SALU_CYCLE_1)
	s_and_not1_b32 vcc_lo, exec_lo, s9
	s_cbranch_vccnz .LBB63_2547
; %bb.2546:
	global_load_u16 v1, v[42:43], off
	s_mov_b32 s9, 0
	s_wait_loadcnt 0x1
	v_mov_b32_e32 v49, s9
	s_wait_loadcnt 0x0
	v_and_b32_e32 v48, 0xffff, v1
.LBB63_2547:
	s_mov_b32 s9, 0
.LBB63_2548:
	s_delay_alu instid0(SALU_CYCLE_1)
	s_and_not1_b32 vcc_lo, exec_lo, s9
	s_cbranch_vccnz .LBB63_2554
; %bb.2549:
	global_load_u8 v1, v[42:43], off
	s_mov_b32 s18, 0
	s_mov_b32 s9, exec_lo
	s_wait_loadcnt 0x0
	v_cmpx_lt_i16_e32 0x7f, v1
	s_xor_b32 s9, exec_lo, s9
	s_cbranch_execz .LBB63_2566
; %bb.2550:
	v_cmp_ne_u16_e32 vcc_lo, 0x80, v1
	s_and_b32 s18, vcc_lo, exec_lo
	s_and_not1_saveexec_b32 s9, s9
	s_cbranch_execnz .LBB63_2567
.LBB63_2551:
	s_or_b32 exec_lo, exec_lo, s9
	v_mov_b64_e32 v[48:49], 0
	s_and_saveexec_b32 s9, s18
	s_cbranch_execz .LBB63_2553
.LBB63_2552:
	v_and_b32_e32 v3, 0xffff, v1
	s_delay_alu instid0(VALU_DEP_1) | instskip(SKIP_1) | instid1(VALU_DEP_2)
	v_dual_lshlrev_b32 v1, 24, v1 :: v_dual_bitop2_b32 v5, 7, v3 bitop3:0x40
	v_bfe_u32 v15, v3, 3, 4
	v_and_b32_e32 v1, 0x80000000, v1
	s_delay_alu instid0(VALU_DEP_3) | instskip(NEXT) | instid1(VALU_DEP_3)
	v_clz_i32_u32_e32 v7, v5
	v_cmp_eq_u32_e32 vcc_lo, 0, v15
	s_delay_alu instid0(VALU_DEP_2) | instskip(NEXT) | instid1(VALU_DEP_1)
	v_min_u32_e32 v7, 32, v7
	v_subrev_nc_u32_e32 v11, 28, v7
	v_sub_nc_u32_e32 v7, 29, v7
	s_delay_alu instid0(VALU_DEP_2) | instskip(NEXT) | instid1(VALU_DEP_2)
	v_lshlrev_b32_e32 v3, v11, v3
	v_cndmask_b32_e32 v7, v15, v7, vcc_lo
	s_delay_alu instid0(VALU_DEP_2) | instskip(NEXT) | instid1(VALU_DEP_1)
	v_and_b32_e32 v3, 7, v3
	v_cndmask_b32_e32 v3, v5, v3, vcc_lo
	s_delay_alu instid0(VALU_DEP_3) | instskip(NEXT) | instid1(VALU_DEP_2)
	v_lshl_add_u32 v5, v7, 23, 0x3b800000
	v_lshlrev_b32_e32 v3, 20, v3
	s_delay_alu instid0(VALU_DEP_1) | instskip(NEXT) | instid1(VALU_DEP_1)
	v_or3_b32 v1, v1, v5, v3
	v_trunc_f32_e32 v1, v1
	s_delay_alu instid0(VALU_DEP_1) | instskip(SKIP_1) | instid1(VALU_DEP_2)
	v_mul_f32_e64 v3, 0x2f800000, |v1|
	v_ashrrev_i32_e32 v48, 31, v1
	v_floor_f32_e32 v3, v3
	s_delay_alu instid0(VALU_DEP_2) | instskip(NEXT) | instid1(VALU_DEP_2)
	v_mov_b32_e32 v49, v48
	v_fma_f32 v5, 0xcf800000, v3, |v1|
	v_cvt_u32_f32_e32 v1, v3
	s_delay_alu instid0(VALU_DEP_2) | instskip(NEXT) | instid1(VALU_DEP_2)
	v_cvt_u32_f32_e32 v3, v5
	v_xor_b32_e32 v51, v1, v48
	s_delay_alu instid0(VALU_DEP_2) | instskip(NEXT) | instid1(VALU_DEP_1)
	v_xor_b32_e32 v50, v3, v48
	v_sub_nc_u64_e32 v[48:49], v[50:51], v[48:49]
.LBB63_2553:
	s_or_b32 exec_lo, exec_lo, s9
.LBB63_2554:
	s_mov_b32 s9, -1
.LBB63_2555:
	s_mov_b32 s18, 0
.LBB63_2556:
	s_delay_alu instid0(SALU_CYCLE_1)
	s_and_b32 vcc_lo, exec_lo, s18
	s_cbranch_vccz .LBB63_2587
; %bb.2557:
	s_cmp_gt_i32 s0, 22
	s_cbranch_scc0 .LBB63_2565
; %bb.2558:
	s_cmp_lt_i32 s0, 24
	s_cbranch_scc1 .LBB63_2568
; %bb.2559:
	s_cmp_gt_i32 s0, 24
	s_cbranch_scc0 .LBB63_2569
; %bb.2560:
	global_load_u8 v1, v[42:43], off
	s_mov_b32 s9, 0
	s_mov_b32 s8, exec_lo
	s_wait_loadcnt 0x0
	v_cmpx_lt_i16_e32 0x7f, v1
	s_xor_b32 s8, exec_lo, s8
	s_cbranch_execz .LBB63_2581
; %bb.2561:
	v_cmp_ne_u16_e32 vcc_lo, 0x80, v1
	s_and_b32 s9, vcc_lo, exec_lo
	s_and_not1_saveexec_b32 s8, s8
	s_cbranch_execnz .LBB63_2582
.LBB63_2562:
	s_or_b32 exec_lo, exec_lo, s8
	v_mov_b64_e32 v[48:49], 0
	s_and_saveexec_b32 s8, s9
	s_cbranch_execz .LBB63_2564
.LBB63_2563:
	v_and_b32_e32 v3, 0xffff, v1
	s_delay_alu instid0(VALU_DEP_1) | instskip(SKIP_1) | instid1(VALU_DEP_2)
	v_dual_lshlrev_b32 v1, 24, v1 :: v_dual_bitop2_b32 v5, 3, v3 bitop3:0x40
	v_bfe_u32 v15, v3, 2, 5
	v_and_b32_e32 v1, 0x80000000, v1
	s_delay_alu instid0(VALU_DEP_3) | instskip(NEXT) | instid1(VALU_DEP_3)
	v_clz_i32_u32_e32 v7, v5
	v_cmp_eq_u32_e32 vcc_lo, 0, v15
	s_delay_alu instid0(VALU_DEP_2) | instskip(NEXT) | instid1(VALU_DEP_1)
	v_min_u32_e32 v7, 32, v7
	v_subrev_nc_u32_e32 v11, 29, v7
	v_sub_nc_u32_e32 v7, 30, v7
	s_delay_alu instid0(VALU_DEP_2) | instskip(NEXT) | instid1(VALU_DEP_2)
	v_lshlrev_b32_e32 v3, v11, v3
	v_cndmask_b32_e32 v7, v15, v7, vcc_lo
	s_delay_alu instid0(VALU_DEP_2) | instskip(NEXT) | instid1(VALU_DEP_1)
	v_and_b32_e32 v3, 3, v3
	v_cndmask_b32_e32 v3, v5, v3, vcc_lo
	s_delay_alu instid0(VALU_DEP_3) | instskip(NEXT) | instid1(VALU_DEP_2)
	v_lshl_add_u32 v5, v7, 23, 0x37800000
	v_lshlrev_b32_e32 v3, 21, v3
	s_delay_alu instid0(VALU_DEP_1) | instskip(NEXT) | instid1(VALU_DEP_1)
	v_or3_b32 v1, v1, v5, v3
	v_trunc_f32_e32 v1, v1
	s_delay_alu instid0(VALU_DEP_1) | instskip(SKIP_1) | instid1(VALU_DEP_2)
	v_mul_f32_e64 v3, 0x2f800000, |v1|
	v_ashrrev_i32_e32 v48, 31, v1
	v_floor_f32_e32 v3, v3
	s_delay_alu instid0(VALU_DEP_2) | instskip(NEXT) | instid1(VALU_DEP_2)
	v_mov_b32_e32 v49, v48
	v_fma_f32 v5, 0xcf800000, v3, |v1|
	v_cvt_u32_f32_e32 v1, v3
	s_delay_alu instid0(VALU_DEP_2) | instskip(NEXT) | instid1(VALU_DEP_2)
	v_cvt_u32_f32_e32 v3, v5
	v_xor_b32_e32 v51, v1, v48
	s_delay_alu instid0(VALU_DEP_2) | instskip(NEXT) | instid1(VALU_DEP_1)
	v_xor_b32_e32 v50, v3, v48
	v_sub_nc_u64_e32 v[48:49], v[50:51], v[48:49]
.LBB63_2564:
	s_or_b32 exec_lo, exec_lo, s8
	s_mov_b32 s8, 0
	s_branch .LBB63_2570
.LBB63_2565:
	s_mov_b32 s8, -1
                                        ; implicit-def: $vgpr48_vgpr49
	s_branch .LBB63_2576
.LBB63_2566:
	s_and_not1_saveexec_b32 s9, s9
	s_cbranch_execz .LBB63_2551
.LBB63_2567:
	v_cmp_ne_u16_e32 vcc_lo, 0, v1
	s_and_not1_b32 s18, s18, exec_lo
	s_and_b32 s19, vcc_lo, exec_lo
	s_delay_alu instid0(SALU_CYCLE_1)
	s_or_b32 s18, s18, s19
	s_or_b32 exec_lo, exec_lo, s9
	v_mov_b64_e32 v[48:49], 0
	s_and_saveexec_b32 s9, s18
	s_cbranch_execnz .LBB63_2552
	s_branch .LBB63_2553
.LBB63_2568:
	s_mov_b32 s8, -1
                                        ; implicit-def: $vgpr48_vgpr49
	s_branch .LBB63_2573
.LBB63_2569:
	s_mov_b32 s8, -1
                                        ; implicit-def: $vgpr48_vgpr49
.LBB63_2570:
	s_delay_alu instid0(SALU_CYCLE_1)
	s_and_b32 vcc_lo, exec_lo, s8
	s_cbranch_vccz .LBB63_2572
; %bb.2571:
	global_load_u8 v1, v[42:43], off
	s_wait_loadcnt 0x0
	v_lshlrev_b32_e32 v1, 24, v1
	s_delay_alu instid0(VALU_DEP_1) | instskip(NEXT) | instid1(VALU_DEP_1)
	v_and_b32_e32 v3, 0x7f000000, v1
	v_clz_i32_u32_e32 v5, v3
	v_add_nc_u32_e32 v11, 0x1000000, v3
	v_cmp_ne_u32_e32 vcc_lo, 0, v3
	s_delay_alu instid0(VALU_DEP_3) | instskip(NEXT) | instid1(VALU_DEP_1)
	v_min_u32_e32 v5, 32, v5
	v_sub_nc_u32_e64 v5, v5, 4 clamp
	s_delay_alu instid0(VALU_DEP_1) | instskip(NEXT) | instid1(VALU_DEP_1)
	v_dual_lshlrev_b32 v7, v5, v3 :: v_dual_lshlrev_b32 v5, 23, v5
	v_lshrrev_b32_e32 v7, 4, v7
	s_delay_alu instid0(VALU_DEP_1) | instskip(NEXT) | instid1(VALU_DEP_1)
	v_dual_sub_nc_u32 v5, v7, v5 :: v_dual_ashrrev_i32 v7, 8, v11
	v_add_nc_u32_e32 v5, 0x3c000000, v5
	s_delay_alu instid0(VALU_DEP_1) | instskip(NEXT) | instid1(VALU_DEP_1)
	v_and_or_b32 v5, 0x7f800000, v7, v5
	v_cndmask_b32_e32 v3, 0, v5, vcc_lo
	s_delay_alu instid0(VALU_DEP_1) | instskip(NEXT) | instid1(VALU_DEP_1)
	v_and_or_b32 v1, 0x80000000, v1, v3
	v_trunc_f32_e32 v1, v1
	s_delay_alu instid0(VALU_DEP_1) | instskip(SKIP_1) | instid1(VALU_DEP_2)
	v_mul_f32_e64 v3, 0x2f800000, |v1|
	v_ashrrev_i32_e32 v48, 31, v1
	v_floor_f32_e32 v3, v3
	s_delay_alu instid0(VALU_DEP_2) | instskip(NEXT) | instid1(VALU_DEP_2)
	v_mov_b32_e32 v49, v48
	v_fma_f32 v5, 0xcf800000, v3, |v1|
	v_cvt_u32_f32_e32 v1, v3
	s_delay_alu instid0(VALU_DEP_2) | instskip(NEXT) | instid1(VALU_DEP_2)
	v_cvt_u32_f32_e32 v3, v5
	v_xor_b32_e32 v51, v1, v48
	s_delay_alu instid0(VALU_DEP_2) | instskip(NEXT) | instid1(VALU_DEP_1)
	v_xor_b32_e32 v50, v3, v48
	v_sub_nc_u64_e32 v[48:49], v[50:51], v[48:49]
.LBB63_2572:
	s_mov_b32 s8, 0
.LBB63_2573:
	s_delay_alu instid0(SALU_CYCLE_1)
	s_and_not1_b32 vcc_lo, exec_lo, s8
	s_cbranch_vccnz .LBB63_2575
; %bb.2574:
	global_load_u8 v1, v[42:43], off
	s_wait_loadcnt 0x0
	v_lshlrev_b32_e32 v3, 25, v1
	v_lshlrev_b16 v1, 8, v1
	s_delay_alu instid0(VALU_DEP_1) | instskip(SKIP_1) | instid1(VALU_DEP_2)
	v_and_or_b32 v7, 0x7f00, v1, 0.5
	v_bfe_i32 v1, v1, 0, 16
	v_add_f32_e32 v7, -0.5, v7
	v_lshrrev_b32_e32 v5, 4, v3
	v_cmp_gt_u32_e32 vcc_lo, 0x8000000, v3
	s_delay_alu instid0(VALU_DEP_2) | instskip(NEXT) | instid1(VALU_DEP_1)
	v_or_b32_e32 v5, 0x70000000, v5
	v_mul_f32_e32 v5, 0x7800000, v5
	s_delay_alu instid0(VALU_DEP_1) | instskip(NEXT) | instid1(VALU_DEP_1)
	v_cndmask_b32_e32 v3, v5, v7, vcc_lo
	v_and_or_b32 v1, 0x80000000, v1, v3
	s_delay_alu instid0(VALU_DEP_1) | instskip(NEXT) | instid1(VALU_DEP_1)
	v_trunc_f32_e32 v1, v1
	v_mul_f32_e64 v3, 0x2f800000, |v1|
	v_ashrrev_i32_e32 v48, 31, v1
	s_delay_alu instid0(VALU_DEP_2) | instskip(NEXT) | instid1(VALU_DEP_2)
	v_floor_f32_e32 v3, v3
	v_mov_b32_e32 v49, v48
	s_delay_alu instid0(VALU_DEP_2) | instskip(SKIP_1) | instid1(VALU_DEP_2)
	v_fma_f32 v5, 0xcf800000, v3, |v1|
	v_cvt_u32_f32_e32 v1, v3
	v_cvt_u32_f32_e32 v3, v5
	s_delay_alu instid0(VALU_DEP_2) | instskip(NEXT) | instid1(VALU_DEP_2)
	v_xor_b32_e32 v51, v1, v48
	v_xor_b32_e32 v50, v3, v48
	s_delay_alu instid0(VALU_DEP_1)
	v_sub_nc_u64_e32 v[48:49], v[50:51], v[48:49]
.LBB63_2575:
	s_mov_b32 s8, 0
	s_mov_b32 s9, -1
.LBB63_2576:
	s_and_not1_b32 vcc_lo, exec_lo, s8
	s_mov_b32 s8, 0
	s_cbranch_vccnz .LBB63_2587
; %bb.2577:
	s_cmp_gt_i32 s0, 14
	s_cbranch_scc0 .LBB63_2580
; %bb.2578:
	s_cmp_eq_u32 s0, 15
	s_cbranch_scc0 .LBB63_2583
; %bb.2579:
	global_load_u16 v1, v[42:43], off
	s_mov_b32 s1, 0
	s_mov_b32 s9, -1
	s_wait_loadcnt 0x0
	v_lshlrev_b32_e32 v1, 16, v1
	s_delay_alu instid0(VALU_DEP_1) | instskip(NEXT) | instid1(VALU_DEP_1)
	v_trunc_f32_e32 v1, v1
	v_mul_f32_e64 v3, 0x2f800000, |v1|
	v_ashrrev_i32_e32 v48, 31, v1
	s_delay_alu instid0(VALU_DEP_2) | instskip(NEXT) | instid1(VALU_DEP_2)
	v_floor_f32_e32 v3, v3
	v_mov_b32_e32 v49, v48
	s_delay_alu instid0(VALU_DEP_2) | instskip(SKIP_1) | instid1(VALU_DEP_2)
	v_fma_f32 v5, 0xcf800000, v3, |v1|
	v_cvt_u32_f32_e32 v1, v3
	v_cvt_u32_f32_e32 v3, v5
	s_delay_alu instid0(VALU_DEP_2) | instskip(NEXT) | instid1(VALU_DEP_2)
	v_xor_b32_e32 v51, v1, v48
	v_xor_b32_e32 v50, v3, v48
	s_delay_alu instid0(VALU_DEP_1)
	v_sub_nc_u64_e32 v[48:49], v[50:51], v[48:49]
	s_branch .LBB63_2585
.LBB63_2580:
	s_mov_b32 s8, -1
	s_branch .LBB63_2584
.LBB63_2581:
	s_and_not1_saveexec_b32 s8, s8
	s_cbranch_execz .LBB63_2562
.LBB63_2582:
	v_cmp_ne_u16_e32 vcc_lo, 0, v1
	s_and_not1_b32 s9, s9, exec_lo
	s_and_b32 s18, vcc_lo, exec_lo
	s_delay_alu instid0(SALU_CYCLE_1)
	s_or_b32 s9, s9, s18
	s_or_b32 exec_lo, exec_lo, s8
	v_mov_b64_e32 v[48:49], 0
	s_and_saveexec_b32 s8, s9
	s_cbranch_execnz .LBB63_2563
	s_branch .LBB63_2564
.LBB63_2583:
	s_mov_b32 s1, -1
.LBB63_2584:
                                        ; implicit-def: $vgpr48_vgpr49
.LBB63_2585:
	s_and_b32 vcc_lo, exec_lo, s8
	s_mov_b32 s8, 0
	s_cbranch_vccz .LBB63_2587
; %bb.2586:
	s_cmp_lg_u32 s0, 11
	s_mov_b32 s8, -1
	s_cselect_b32 s1, -1, 0
.LBB63_2587:
	s_delay_alu instid0(SALU_CYCLE_1)
	s_and_b32 vcc_lo, exec_lo, s1
	s_cbranch_vccnz .LBB63_2714
; %bb.2588:
	s_and_not1_b32 vcc_lo, exec_lo, s8
	s_cbranch_vccnz .LBB63_2590
.LBB63_2589:
	global_load_u8 v1, v[42:43], off
	s_mov_b32 s0, 0
	s_mov_b32 s9, -1
	s_wait_loadcnt 0x1
	v_mov_b32_e32 v49, s0
	s_wait_loadcnt 0x0
	v_cmp_ne_u16_e32 vcc_lo, 0, v1
	v_cndmask_b32_e64 v48, 0, 1, vcc_lo
.LBB63_2590:
	s_mov_b32 s0, 0
.LBB63_2591:
	s_delay_alu instid0(SALU_CYCLE_1)
	s_and_b32 vcc_lo, exec_lo, s0
	s_cbranch_vccz .LBB63_2640
; %bb.2592:
	s_and_b32 s0, 0xffff, s51
	s_delay_alu instid0(SALU_CYCLE_1)
	s_cmp_lt_i32 s0, 5
	s_cbranch_scc1 .LBB63_2597
; %bb.2593:
	s_cmp_lt_i32 s0, 8
	s_cbranch_scc1 .LBB63_2598
; %bb.2594:
	;; [unrolled: 3-line block ×3, first 2 shown]
	s_cmp_gt_i32 s0, 9
	s_cbranch_scc0 .LBB63_2600
; %bb.2596:
	s_wait_loadcnt 0x0
	global_load_b64 v[48:49], v[42:43], off
	s_mov_b32 s1, 0
	s_wait_loadcnt 0x0
	v_trunc_f64_e32 v[48:49], v[48:49]
	s_delay_alu instid0(VALU_DEP_1) | instskip(NEXT) | instid1(VALU_DEP_1)
	v_ldexp_f64 v[50:51], v[48:49], 0xffffffe0
	v_floor_f64_e32 v[50:51], v[50:51]
	s_delay_alu instid0(VALU_DEP_1) | instskip(SKIP_1) | instid1(VALU_DEP_2)
	v_fmamk_f64 v[52:53], v[50:51], 0xc1f00000, v[48:49]
	v_cvt_i32_f64_e32 v49, v[50:51]
	v_cvt_u32_f64_e32 v48, v[52:53]
	s_branch .LBB63_2601
.LBB63_2597:
	s_mov_b32 s1, -1
                                        ; implicit-def: $vgpr48_vgpr49
	s_branch .LBB63_2619
.LBB63_2598:
	s_mov_b32 s1, -1
                                        ; implicit-def: $vgpr48_vgpr49
	s_branch .LBB63_2607
.LBB63_2599:
	s_mov_b32 s1, -1
                                        ; implicit-def: $vgpr48_vgpr49
	s_branch .LBB63_2604
.LBB63_2600:
	s_mov_b32 s1, -1
                                        ; implicit-def: $vgpr48_vgpr49
.LBB63_2601:
	s_delay_alu instid0(SALU_CYCLE_1)
	s_and_not1_b32 vcc_lo, exec_lo, s1
	s_cbranch_vccnz .LBB63_2603
; %bb.2602:
	global_load_b32 v1, v[42:43], off
	s_wait_loadcnt 0x0
	v_trunc_f32_e32 v1, v1
	s_delay_alu instid0(VALU_DEP_1) | instskip(SKIP_1) | instid1(VALU_DEP_2)
	v_mul_f32_e64 v3, 0x2f800000, |v1|
	v_ashrrev_i32_e32 v48, 31, v1
	v_floor_f32_e32 v3, v3
	s_delay_alu instid0(VALU_DEP_1) | instskip(SKIP_1) | instid1(VALU_DEP_4)
	v_fma_f32 v5, 0xcf800000, v3, |v1|
	v_cvt_u32_f32_e32 v1, v3
	v_mov_b32_e32 v49, v48
	s_delay_alu instid0(VALU_DEP_3) | instskip(NEXT) | instid1(VALU_DEP_3)
	v_cvt_u32_f32_e32 v3, v5
	v_xor_b32_e32 v51, v1, v48
	s_delay_alu instid0(VALU_DEP_2) | instskip(NEXT) | instid1(VALU_DEP_1)
	v_xor_b32_e32 v50, v3, v48
	v_sub_nc_u64_e32 v[48:49], v[50:51], v[48:49]
.LBB63_2603:
	s_mov_b32 s1, 0
.LBB63_2604:
	s_delay_alu instid0(SALU_CYCLE_1)
	s_and_not1_b32 vcc_lo, exec_lo, s1
	s_cbranch_vccnz .LBB63_2606
; %bb.2605:
	global_load_b32 v1, v[42:43], off
	s_wait_loadcnt 0x0
	v_cvt_f32_f16_e32 v1, v1
	s_delay_alu instid0(VALU_DEP_1) | instskip(NEXT) | instid1(VALU_DEP_1)
	v_cvt_i32_f32_e32 v48, v1
	v_ashrrev_i32_e32 v49, 31, v48
.LBB63_2606:
	s_mov_b32 s1, 0
.LBB63_2607:
	s_delay_alu instid0(SALU_CYCLE_1)
	s_and_not1_b32 vcc_lo, exec_lo, s1
	s_cbranch_vccnz .LBB63_2618
; %bb.2608:
	s_cmp_lt_i32 s0, 6
	s_cbranch_scc1 .LBB63_2611
; %bb.2609:
	s_cmp_gt_i32 s0, 6
	s_cbranch_scc0 .LBB63_2612
; %bb.2610:
	s_wait_loadcnt 0x0
	global_load_b64 v[48:49], v[42:43], off
	s_mov_b32 s1, 0
	s_wait_loadcnt 0x0
	v_trunc_f64_e32 v[48:49], v[48:49]
	s_delay_alu instid0(VALU_DEP_1) | instskip(NEXT) | instid1(VALU_DEP_1)
	v_ldexp_f64 v[50:51], v[48:49], 0xffffffe0
	v_floor_f64_e32 v[50:51], v[50:51]
	s_delay_alu instid0(VALU_DEP_1) | instskip(SKIP_1) | instid1(VALU_DEP_2)
	v_fmamk_f64 v[52:53], v[50:51], 0xc1f00000, v[48:49]
	v_cvt_i32_f64_e32 v49, v[50:51]
	v_cvt_u32_f64_e32 v48, v[52:53]
	s_branch .LBB63_2613
.LBB63_2611:
	s_mov_b32 s1, -1
                                        ; implicit-def: $vgpr48_vgpr49
	s_branch .LBB63_2616
.LBB63_2612:
	s_mov_b32 s1, -1
                                        ; implicit-def: $vgpr48_vgpr49
.LBB63_2613:
	s_delay_alu instid0(SALU_CYCLE_1)
	s_and_not1_b32 vcc_lo, exec_lo, s1
	s_cbranch_vccnz .LBB63_2615
; %bb.2614:
	global_load_b32 v1, v[42:43], off
	s_wait_loadcnt 0x0
	v_trunc_f32_e32 v1, v1
	s_delay_alu instid0(VALU_DEP_1) | instskip(SKIP_1) | instid1(VALU_DEP_2)
	v_mul_f32_e64 v3, 0x2f800000, |v1|
	v_ashrrev_i32_e32 v48, 31, v1
	v_floor_f32_e32 v3, v3
	s_delay_alu instid0(VALU_DEP_1) | instskip(SKIP_1) | instid1(VALU_DEP_4)
	v_fma_f32 v5, 0xcf800000, v3, |v1|
	v_cvt_u32_f32_e32 v1, v3
	v_mov_b32_e32 v49, v48
	s_delay_alu instid0(VALU_DEP_3) | instskip(NEXT) | instid1(VALU_DEP_3)
	v_cvt_u32_f32_e32 v3, v5
	v_xor_b32_e32 v51, v1, v48
	s_delay_alu instid0(VALU_DEP_2) | instskip(NEXT) | instid1(VALU_DEP_1)
	v_xor_b32_e32 v50, v3, v48
	v_sub_nc_u64_e32 v[48:49], v[50:51], v[48:49]
.LBB63_2615:
	s_mov_b32 s1, 0
.LBB63_2616:
	s_delay_alu instid0(SALU_CYCLE_1)
	s_and_not1_b32 vcc_lo, exec_lo, s1
	s_cbranch_vccnz .LBB63_2618
; %bb.2617:
	global_load_u16 v1, v[42:43], off
	s_wait_loadcnt 0x0
	v_cvt_f32_f16_e32 v1, v1
	s_delay_alu instid0(VALU_DEP_1) | instskip(NEXT) | instid1(VALU_DEP_1)
	v_cvt_i32_f32_e32 v48, v1
	v_ashrrev_i32_e32 v49, 31, v48
.LBB63_2618:
	s_mov_b32 s1, 0
.LBB63_2619:
	s_delay_alu instid0(SALU_CYCLE_1)
	s_and_not1_b32 vcc_lo, exec_lo, s1
	s_cbranch_vccnz .LBB63_2639
; %bb.2620:
	s_cmp_lt_i32 s0, 2
	s_cbranch_scc1 .LBB63_2624
; %bb.2621:
	s_cmp_lt_i32 s0, 3
	s_cbranch_scc1 .LBB63_2625
; %bb.2622:
	s_cmp_gt_i32 s0, 3
	s_cbranch_scc0 .LBB63_2626
; %bb.2623:
	s_wait_loadcnt 0x0
	global_load_b64 v[48:49], v[42:43], off
	s_mov_b32 s1, 0
	s_branch .LBB63_2627
.LBB63_2624:
	s_mov_b32 s1, -1
                                        ; implicit-def: $vgpr48_vgpr49
	s_branch .LBB63_2633
.LBB63_2625:
	s_mov_b32 s1, -1
                                        ; implicit-def: $vgpr48_vgpr49
	s_branch .LBB63_2630
.LBB63_2626:
	s_mov_b32 s1, -1
                                        ; implicit-def: $vgpr48_vgpr49
.LBB63_2627:
	s_delay_alu instid0(SALU_CYCLE_1)
	s_and_not1_b32 vcc_lo, exec_lo, s1
	s_cbranch_vccnz .LBB63_2629
; %bb.2628:
	s_wait_loadcnt 0x0
	global_load_b32 v48, v[42:43], off
	s_wait_loadcnt 0x0
	v_ashrrev_i32_e32 v49, 31, v48
.LBB63_2629:
	s_mov_b32 s1, 0
.LBB63_2630:
	s_delay_alu instid0(SALU_CYCLE_1)
	s_and_not1_b32 vcc_lo, exec_lo, s1
	s_cbranch_vccnz .LBB63_2632
; %bb.2631:
	global_load_u16 v1, v[42:43], off
	s_wait_loadcnt 0x0
	v_bfe_i32 v48, v1, 0, 16
	s_delay_alu instid0(VALU_DEP_1)
	v_ashrrev_i32_e32 v49, 31, v48
.LBB63_2632:
	s_mov_b32 s1, 0
.LBB63_2633:
	s_delay_alu instid0(SALU_CYCLE_1)
	s_and_not1_b32 vcc_lo, exec_lo, s1
	s_cbranch_vccnz .LBB63_2639
; %bb.2634:
	s_cmp_gt_i32 s0, 0
	s_mov_b32 s0, 0
	s_cbranch_scc0 .LBB63_2636
; %bb.2635:
	global_load_i8 v1, v[42:43], off
	s_wait_loadcnt 0x0
	v_bfe_i32 v48, v1, 0, 16
	s_delay_alu instid0(VALU_DEP_1)
	v_ashrrev_i32_e32 v49, 31, v48
	s_branch .LBB63_2637
.LBB63_2636:
	s_mov_b32 s0, -1
                                        ; implicit-def: $vgpr48_vgpr49
.LBB63_2637:
	s_delay_alu instid0(SALU_CYCLE_1)
	s_and_not1_b32 vcc_lo, exec_lo, s0
	s_cbranch_vccnz .LBB63_2639
; %bb.2638:
	global_load_u8 v1, v[42:43], off
	s_mov_b32 s0, 0
	s_wait_loadcnt 0x1
	v_mov_b32_e32 v49, s0
	s_wait_loadcnt 0x0
	v_and_b32_e32 v48, 0xffff, v1
.LBB63_2639:
	s_mov_b32 s9, -1
.LBB63_2640:
	s_delay_alu instid0(SALU_CYCLE_1)
	s_and_not1_b32 vcc_lo, exec_lo, s9
	s_cbranch_vccnz .LBB63_2649
; %bb.2641:
	s_load_b64 s[0:1], s[2:3], 0x278
	s_get_pc_i64 s[8:9]
	s_add_nc_u64 s[8:9], s[8:9], .str.1@rel64+4
	s_delay_alu instid0(SALU_CYCLE_1) | instskip(SKIP_3) | instid1(SALU_CYCLE_1)
	s_cmp_eq_u64 s[8:9], 0
	s_wait_kmcnt 0x0
	v_cmp_ne_u64_e32 vcc_lo, s[0:1], v[8:9]
	s_cselect_b32 s0, -1, 0
	s_or_b32 s0, s0, vcc_lo
	s_delay_alu instid0(SALU_CYCLE_1) | instskip(NEXT) | instid1(SALU_CYCLE_1)
	s_and_saveexec_b32 s1, s0
	s_xor_b32 s0, exec_lo, s1
	s_cbranch_execnz .LBB63_3915
.LBB63_2642:
	s_or_saveexec_b32 s38, s0
	s_mov_b32 s1, 0
	s_mov_b32 s8, 0
                                        ; implicit-def: $vgpr42_vgpr43
                                        ; implicit-def: $sgpr0
	s_xor_b32 exec_lo, exec_lo, s38
	s_cbranch_execz .LBB63_4429
; %bb.2643:
	s_load_b64 s[0:1], s[2:3], 0x288
	s_get_pc_i64 s[8:9]
	s_add_nc_u64 s[8:9], s[8:9], .str.2@rel64+4
	s_mov_b32 s39, s33
	s_cmp_eq_u64 s[8:9], 0
	s_wait_kmcnt 0x0
	v_cmp_ne_u64_e32 vcc_lo, s[0:1], v[12:13]
	s_cselect_b32 s0, -1, 0
	s_delay_alu instid0(SALU_CYCLE_1) | instskip(NEXT) | instid1(SALU_CYCLE_1)
	s_or_b32 s0, s0, vcc_lo
	s_and_saveexec_b32 s1, s0
	s_delay_alu instid0(SALU_CYCLE_1)
	s_xor_b32 s0, exec_lo, s1
	s_cbranch_execnz .LBB63_4043
.LBB63_2644:
	s_or_saveexec_b32 s40, s0
	s_mov_b32 s1, 0
	s_mov_b32 s8, 0
                                        ; implicit-def: $vgpr42_vgpr43
                                        ; implicit-def: $sgpr0
	s_xor_b32 exec_lo, exec_lo, s40
	s_cbranch_execz .LBB63_4428
; %bb.2645:
	s_load_b64 s[18:19], s[2:3], 0x280
	v_sub_nc_u64_e32 v[42:43], v[44:45], v[46:47]
	s_get_pc_i64 s[8:9]
	s_add_nc_u64 s[8:9], s[8:9], .str.3@rel64+4
	s_mov_b32 s41, s39
	s_delay_alu instid0(VALU_DEP_1)
	v_cmp_gt_i64_e32 vcc_lo, v[8:9], v[42:43]
	s_wait_kmcnt 0x0
	v_cmp_lt_i64_e64 s0, s[18:19], v[42:43]
	s_or_b32 s0, vcc_lo, s0
	s_cmp_eq_u64 s[8:9], 0
	s_cselect_b32 s1, -1, 0
	s_delay_alu instid0(SALU_CYCLE_1) | instskip(NEXT) | instid1(SALU_CYCLE_1)
	s_or_b32 s0, s1, s0
	s_and_saveexec_b32 s1, s0
	s_delay_alu instid0(SALU_CYCLE_1)
	s_xor_b32 s0, exec_lo, s1
	s_cbranch_execnz .LBB63_4172
.LBB63_2646:
	s_or_saveexec_b32 s42, s0
	s_mov_b32 s1, 0
	s_mov_b32 s8, 0
                                        ; implicit-def: $vgpr42_vgpr43
                                        ; implicit-def: $sgpr0
	s_xor_b32 exec_lo, exec_lo, s42
	s_cbranch_execz .LBB63_4427
; %bb.2647:
	s_load_b32 s46, s[2:3], 0x290
	v_cmp_lt_i64_e32 vcc_lo, 0, v[12:13]
	v_mov_b64_e32 v[42:43], 0
	s_wait_kmcnt 0x0
	s_add_co_i32 s8, s46, -1
	s_delay_alu instid0(SALU_CYCLE_1) | instskip(SKIP_1) | instid1(SALU_CYCLE_1)
	s_cmp_gt_i32 s8, -1
	s_cselect_b32 s0, -1, 0
	s_and_b32 s48, vcc_lo, s0
	s_delay_alu instid0(SALU_CYCLE_1)
	s_and_saveexec_b32 s43, s48
	s_cbranch_execz .LBB63_2699
; %bb.2648:
	s_wait_loadcnt 0x0
	v_mul_u64_e32 v[48:49], v[48:49], v[12:13]
	s_load_b128 s[24:27], s[2:3], 0x298
	v_mov_b64_e32 v[42:43], 0
	s_mov_b32 s9, s1
	v_mov_b32_e32 v50, 0
	s_lshl_b64 s[28:29], s[8:9], 3
	s_mov_b64 s[20:21], 0xffffffff
	s_mov_b32 s9, s46
	s_wait_kmcnt 0x0
	s_add_nc_u64 s[22:23], s[24:25], s[28:29]
	s_add_nc_u64 s[24:25], s[26:27], s[28:29]
	s_branch .LBB63_2695
.LBB63_2649:
	s_mov_b32 s1, 0
	s_mov_b32 s8, 0
                                        ; implicit-def: $vgpr42_vgpr43
                                        ; implicit-def: $sgpr0
.LBB63_2650:
	s_wait_xcnt 0x0
	s_and_not1_b32 s2, s36, exec_lo
	s_and_b32 s3, s33, exec_lo
	s_and_b32 s4, s8, exec_lo
	;; [unrolled: 1-line block ×3, first 2 shown]
	s_or_b32 s36, s2, s3
.LBB63_2651:
	s_or_b32 exec_lo, exec_lo, s37
	s_and_saveexec_b32 s1, s36
	s_cbranch_execz .LBB63_2654
; %bb.2652:
	; divergent unreachable
	s_or_b32 exec_lo, exec_lo, s1
	s_and_saveexec_b32 s1, s73
	s_delay_alu instid0(SALU_CYCLE_1)
	s_xor_b32 s1, exec_lo, s1
	s_cbranch_execnz .LBB63_2655
.LBB63_2653:
	s_or_b32 exec_lo, exec_lo, s1
	s_and_saveexec_b32 s1, s4
	s_cbranch_execnz .LBB63_2656
	s_branch .LBB63_2693
.LBB63_2654:
	s_or_b32 exec_lo, exec_lo, s1
	s_and_saveexec_b32 s1, s73
	s_delay_alu instid0(SALU_CYCLE_1)
	s_xor_b32 s1, exec_lo, s1
	s_cbranch_execz .LBB63_2653
.LBB63_2655:
	s_wait_loadcnt 0x0
	v_mov_b32_e32 v0, 0
	global_store_b8 v[42:43], v0, off
	s_wait_xcnt 0x0
	s_or_b32 exec_lo, exec_lo, s1
	s_and_saveexec_b32 s1, s4
	s_cbranch_execz .LBB63_2693
.LBB63_2656:
	s_sext_i32_i16 s2, s0
	s_mov_b32 s1, -1
	s_cmp_lt_i32 s2, 5
	s_cbranch_scc1 .LBB63_2677
; %bb.2657:
	s_cmp_lt_i32 s2, 8
	s_cbranch_scc1 .LBB63_2667
; %bb.2658:
	;; [unrolled: 3-line block ×3, first 2 shown]
	s_cmp_gt_i32 s2, 9
	s_cbranch_scc0 .LBB63_2661
; %bb.2660:
	s_wait_loadcnt 0x0
	v_mov_b32_e32 v0, 0
	s_mov_b32 s1, 0
	s_delay_alu instid0(VALU_DEP_1)
	v_dual_mov_b32 v1, v0 :: v_dual_mov_b32 v2, v0
	v_mov_b32_e32 v3, v0
	global_store_b128 v[42:43], v[0:3], off
.LBB63_2661:
	s_and_not1_b32 vcc_lo, exec_lo, s1
	s_cbranch_vccnz .LBB63_2663
; %bb.2662:
	s_wait_loadcnt 0x0
	v_mov_b64_e32 v[0:1], 0
	global_store_b64 v[42:43], v[0:1], off
.LBB63_2663:
	s_mov_b32 s1, 0
.LBB63_2664:
	s_delay_alu instid0(SALU_CYCLE_1)
	s_and_not1_b32 vcc_lo, exec_lo, s1
	s_cbranch_vccnz .LBB63_2666
; %bb.2665:
	s_wait_loadcnt 0x0
	v_mov_b32_e32 v0, 0
	global_store_b32 v[42:43], v0, off
.LBB63_2666:
	s_mov_b32 s1, 0
.LBB63_2667:
	s_delay_alu instid0(SALU_CYCLE_1)
	s_and_not1_b32 vcc_lo, exec_lo, s1
	s_cbranch_vccnz .LBB63_2676
; %bb.2668:
	s_sext_i32_i16 s2, s0
	s_mov_b32 s1, -1
	s_cmp_lt_i32 s2, 6
	s_cbranch_scc1 .LBB63_2674
; %bb.2669:
	s_cmp_gt_i32 s2, 6
	s_cbranch_scc0 .LBB63_2671
; %bb.2670:
	s_wait_loadcnt 0x0
	v_mov_b64_e32 v[0:1], 0
	s_mov_b32 s1, 0
	global_store_b64 v[42:43], v[0:1], off
.LBB63_2671:
	s_and_not1_b32 vcc_lo, exec_lo, s1
	s_cbranch_vccnz .LBB63_2673
; %bb.2672:
	s_wait_loadcnt 0x0
	v_mov_b32_e32 v0, 0
	global_store_b32 v[42:43], v0, off
.LBB63_2673:
	s_mov_b32 s1, 0
.LBB63_2674:
	s_delay_alu instid0(SALU_CYCLE_1)
	s_and_not1_b32 vcc_lo, exec_lo, s1
	s_cbranch_vccnz .LBB63_2676
; %bb.2675:
	s_wait_loadcnt 0x0
	v_mov_b32_e32 v0, 0
	global_store_b16 v[42:43], v0, off
.LBB63_2676:
	s_mov_b32 s1, 0
.LBB63_2677:
	s_delay_alu instid0(SALU_CYCLE_1)
	s_and_not1_b32 vcc_lo, exec_lo, s1
	s_cbranch_vccnz .LBB63_2693
; %bb.2678:
	s_sext_i32_i16 s2, s0
	s_mov_b32 s1, -1
	s_cmp_lt_i32 s2, 2
	s_cbranch_scc1 .LBB63_2688
; %bb.2679:
	s_cmp_lt_i32 s2, 3
	s_cbranch_scc1 .LBB63_2685
; %bb.2680:
	s_cmp_gt_i32 s2, 3
	s_cbranch_scc0 .LBB63_2682
; %bb.2681:
	s_wait_loadcnt 0x0
	v_mov_b64_e32 v[0:1], 0
	s_mov_b32 s1, 0
	global_store_b64 v[42:43], v[0:1], off
.LBB63_2682:
	s_and_not1_b32 vcc_lo, exec_lo, s1
	s_cbranch_vccnz .LBB63_2684
; %bb.2683:
	s_wait_loadcnt 0x0
	v_mov_b32_e32 v0, 0
	global_store_b32 v[42:43], v0, off
.LBB63_2684:
	s_mov_b32 s1, 0
.LBB63_2685:
	s_delay_alu instid0(SALU_CYCLE_1)
	s_and_not1_b32 vcc_lo, exec_lo, s1
	s_cbranch_vccnz .LBB63_2687
; %bb.2686:
	s_wait_loadcnt 0x0
	v_mov_b32_e32 v0, 0
	global_store_b16 v[42:43], v0, off
.LBB63_2687:
	s_mov_b32 s1, 0
.LBB63_2688:
	s_delay_alu instid0(SALU_CYCLE_1)
	s_and_not1_b32 vcc_lo, exec_lo, s1
	s_cbranch_vccnz .LBB63_2693
; %bb.2689:
	s_sext_i32_i16 s0, s0
	s_delay_alu instid0(SALU_CYCLE_1)
	s_cmp_gt_i32 s0, 0
	s_mov_b32 s0, -1
	s_cbranch_scc0 .LBB63_2691
; %bb.2690:
	s_wait_loadcnt 0x0
	v_mov_b32_e32 v0, 0
	s_mov_b32 s0, 0
	global_store_b8 v[42:43], v0, off
.LBB63_2691:
	s_and_not1_b32 vcc_lo, exec_lo, s0
	s_cbranch_vccnz .LBB63_2693
; %bb.2692:
	s_wait_loadcnt 0x0
	v_mov_b32_e32 v0, 0
	global_store_b8 v[42:43], v0, off
	s_sendmsg sendmsg(MSG_DEALLOC_VGPRS)
	s_endpgm
.LBB63_2693:
	s_sendmsg sendmsg(MSG_DEALLOC_VGPRS)
	s_endpgm
.LBB63_2694:                            ;   in Loop: Header=BB63_2695 Depth=1
	s_or_b32 exec_lo, exec_lo, s0
	global_load_b64 v[54:55], v50, s[24:25]
	v_mul_u64_e32 v[56:57], s[26:27], v[52:53]
	s_add_co_i32 s9, s9, -1
	s_add_nc_u64 s[22:23], s[22:23], -8
	s_cmp_eq_u32 s9, 0
	s_wait_xcnt 0x0
	s_add_nc_u64 s[24:25], s[24:25], -8
	s_delay_alu instid0(VALU_DEP_1) | instskip(SKIP_1) | instid1(VALU_DEP_1)
	v_sub_nc_u64_e32 v[48:49], v[48:49], v[56:57]
	s_wait_loadcnt 0x0
	v_mad_nc_u64_u32 v[42:43], v48, v54, v[42:43]
	s_delay_alu instid0(VALU_DEP_1) | instskip(NEXT) | instid1(VALU_DEP_1)
	v_mad_u32 v1, v49, v54, v43
	v_mad_u32 v43, v48, v55, v1
	v_mov_b64_e32 v[48:49], v[52:53]
	s_cbranch_scc1 .LBB63_2699
.LBB63_2695:                            ; =>This Inner Loop Header: Depth=1
	global_load_b64 v[52:53], v50, s[22:23]
	s_mov_b32 s0, exec_lo
	s_wait_loadcnt 0x0
	v_or_b32_e32 v51, v49, v53
	v_readfirstlane_b32 s26, v52
	v_readfirstlane_b32 s27, v53
                                        ; implicit-def: $vgpr52_vgpr53
	s_wait_xcnt 0x0
	s_delay_alu instid0(VALU_DEP_3)
	v_cmpx_ne_u64_e32 0, v[50:51]
	s_xor_b32 s44, exec_lo, s0
	s_cbranch_execz .LBB63_2697
; %bb.2696:                             ;   in Loop: Header=BB63_2695 Depth=1
	s_ashr_i32 s28, s27, 31
	v_dual_mov_b32 v57, v50 :: v_dual_ashrrev_i32 v52, 31, v49
	s_mov_b32 s29, s28
	s_delay_alu instid0(SALU_CYCLE_1) | instskip(NEXT) | instid1(VALU_DEP_1)
	s_add_nc_u64 s[30:31], s[26:27], s[28:29]
	v_mov_b32_e32 v53, v52
	s_xor_b64 s[30:31], s[30:31], s[28:29]
	s_delay_alu instid0(SALU_CYCLE_1)
	s_cvt_f32_u32 s0, s30
	s_cvt_f32_u32 s29, s31
	s_sub_nc_u64 s[54:55], 0, s[30:31]
	v_add_nc_u64_e32 v[54:55], v[48:49], v[52:53]
	v_mov_b32_e32 v61, v50
	s_fmamk_f32 s0, s29, 0x4f800000, s0
	s_delay_alu instid0(SALU_CYCLE_3) | instskip(NEXT) | instid1(VALU_DEP_2)
	v_s_rcp_f32 s0, s0
	v_xor_b32_e32 v56, v54, v52
	s_delay_alu instid0(VALU_DEP_3) | instskip(SKIP_1) | instid1(TRANS32_DEP_1)
	v_dual_mov_b32 v65, v50 :: v_dual_bitop2_b32 v60, v55, v52 bitop3:0x14
	v_xor_b32_e32 v52, s28, v52
	s_mul_f32 s0, s0, 0x5f7ffffc
	s_delay_alu instid0(VALU_DEP_1) | instskip(NEXT) | instid1(SALU_CYCLE_2)
	v_mov_b32_e32 v53, v52
	s_mul_f32 s29, s0, 0x2f800000
	s_delay_alu instid0(SALU_CYCLE_3) | instskip(NEXT) | instid1(SALU_CYCLE_3)
	s_trunc_f32 s29, s29
	s_fmamk_f32 s0, s29, 0xcf800000, s0
	s_cvt_u32_f32 s53, s29
	s_delay_alu instid0(SALU_CYCLE_2) | instskip(NEXT) | instid1(SALU_CYCLE_3)
	s_cvt_u32_f32 s52, s0
	s_mul_u64 s[56:57], s[54:55], s[52:53]
	s_delay_alu instid0(SALU_CYCLE_1)
	s_mul_hi_u32 s59, s52, s57
	s_mul_i32 s58, s52, s57
	s_mul_hi_u32 s0, s52, s56
	s_mul_i32 s45, s53, s56
	s_add_nc_u64 s[58:59], s[0:1], s[58:59]
	s_mul_hi_u32 s29, s53, s56
	s_mul_hi_u32 s47, s53, s57
	s_add_co_u32 s0, s58, s45
	s_add_co_ci_u32 s0, s59, s29
	s_mul_i32 s56, s53, s57
	s_add_co_ci_u32 s57, s47, 0
	s_delay_alu instid0(SALU_CYCLE_1) | instskip(NEXT) | instid1(SALU_CYCLE_1)
	s_add_nc_u64 s[56:57], s[0:1], s[56:57]
	s_add_co_u32 s52, s52, s56
	s_cselect_b32 s0, -1, 0
	s_delay_alu instid0(SALU_CYCLE_1) | instskip(SKIP_1) | instid1(SALU_CYCLE_1)
	s_cmp_lg_u32 s0, 0
	s_add_co_ci_u32 s53, s53, s57
	s_mul_u64 s[54:55], s[54:55], s[52:53]
	s_delay_alu instid0(SALU_CYCLE_1)
	s_mul_hi_u32 s57, s52, s55
	s_mul_i32 s56, s52, s55
	s_mul_hi_u32 s0, s52, s54
	s_mul_i32 s45, s53, s54
	s_add_nc_u64 s[56:57], s[0:1], s[56:57]
	s_mul_hi_u32 s29, s53, s54
	s_mul_hi_u32 s47, s53, s55
	s_add_co_u32 s0, s56, s45
	s_add_co_ci_u32 s0, s57, s29
	s_mul_i32 s54, s53, s55
	s_add_co_ci_u32 s55, s47, 0
	s_delay_alu instid0(SALU_CYCLE_1) | instskip(NEXT) | instid1(SALU_CYCLE_1)
	s_add_nc_u64 s[54:55], s[0:1], s[54:55]
	s_add_co_u32 s52, s52, s54
	s_cselect_b32 s0, -1, 0
	v_mul_hi_u32 v64, v56, s52
	s_cmp_lg_u32 s0, 0
	s_add_co_ci_u32 s0, s53, s55
	s_and_b64 s[54:55], s[52:53], s[20:21]
	v_mul_u64_e32 v[58:59], s[0:1], v[56:57]
	v_mul_u64_e32 v[54:55], s[54:55], v[60:61]
	v_mul_u64_e32 v[62:63], s[0:1], v[60:61]
	s_delay_alu instid0(VALU_DEP_3) | instskip(NEXT) | instid1(VALU_DEP_1)
	v_add_nc_u64_e32 v[58:59], v[64:65], v[58:59]
	v_add_co_u32 v1, vcc_lo, v58, v54
	s_delay_alu instid0(VALU_DEP_2) | instskip(NEXT) | instid1(VALU_DEP_4)
	v_add_co_ci_u32_e32 v64, vcc_lo, v59, v55, vcc_lo
	v_add_co_ci_u32_e32 v63, vcc_lo, 0, v63, vcc_lo
	s_delay_alu instid0(VALU_DEP_1) | instskip(NEXT) | instid1(VALU_DEP_1)
	v_add_nc_u64_e32 v[54:55], v[64:65], v[62:63]
	v_mul_u64_e32 v[58:59], s[30:31], v[54:55]
	s_delay_alu instid0(VALU_DEP_1) | instskip(NEXT) | instid1(VALU_DEP_2)
	v_sub_nc_u32_e32 v1, v60, v59
	v_sub_co_u32 v3, vcc_lo, v56, v58
	s_delay_alu instid0(VALU_DEP_1) | instskip(NEXT) | instid1(VALU_DEP_3)
	v_sub_co_ci_u32_e64 v7, null, v60, v59, vcc_lo
	v_subrev_co_ci_u32_e64 v1, null, s31, v1, vcc_lo
	s_delay_alu instid0(VALU_DEP_3) | instskip(SKIP_1) | instid1(VALU_DEP_3)
	v_sub_co_u32 v5, s0, v3, s30
	v_add_nc_u64_e32 v[56:57], 2, v[54:55]
	v_subrev_co_ci_u32_e64 v1, null, 0, v1, s0
	s_delay_alu instid0(VALU_DEP_3) | instskip(SKIP_2) | instid1(VALU_DEP_4)
	v_cmp_le_u32_e32 vcc_lo, s30, v5
	v_add_nc_u64_e32 v[58:59], 1, v[54:55]
	v_cndmask_b32_e64 v5, 0, -1, vcc_lo
	v_cmp_le_u32_e32 vcc_lo, s31, v1
	v_cndmask_b32_e64 v11, 0, -1, vcc_lo
	v_cmp_le_u32_e32 vcc_lo, s30, v3
	;; [unrolled: 2-line block ×3, first 2 shown]
	v_cndmask_b32_e64 v15, 0, -1, vcc_lo
	v_cmp_eq_u32_e32 vcc_lo, s31, v1
	v_cndmask_b32_e32 v1, v11, v5, vcc_lo
	v_cmp_eq_u32_e32 vcc_lo, s31, v7
	s_delay_alu instid0(VALU_DEP_4) | instskip(NEXT) | instid1(VALU_DEP_3)
	v_cndmask_b32_e32 v3, v15, v3, vcc_lo
	v_cmp_ne_u32_e32 vcc_lo, 0, v1
	s_delay_alu instid0(VALU_DEP_2) | instskip(SKIP_1) | instid1(VALU_DEP_1)
	v_cmp_ne_u32_e64 s0, 0, v3
	v_dual_cndmask_b32 v3, v58, v56, vcc_lo :: v_dual_cndmask_b32 v1, v59, v57, vcc_lo
	v_dual_cndmask_b32 v3, v54, v3, s0 :: v_dual_cndmask_b32 v1, v55, v1, s0
	s_delay_alu instid0(VALU_DEP_1) | instskip(NEXT) | instid1(VALU_DEP_2)
	v_xor_b32_e32 v54, v3, v52
	v_xor_b32_e32 v55, v1, v52
	s_delay_alu instid0(VALU_DEP_1)
	v_sub_nc_u64_e32 v[52:53], v[54:55], v[52:53]
.LBB63_2697:                            ;   in Loop: Header=BB63_2695 Depth=1
	s_and_not1_saveexec_b32 s0, s44
	s_cbranch_execz .LBB63_2694
; %bb.2698:                             ;   in Loop: Header=BB63_2695 Depth=1
	v_cvt_f32_u32_e32 v1, s26
	s_sub_co_i32 s28, 0, s26
	v_mov_b32_e32 v53, v50
	s_delay_alu instid0(VALU_DEP_2) | instskip(SKIP_1) | instid1(TRANS32_DEP_1)
	v_rcp_iflag_f32_e32 v1, v1
	v_nop
	v_mul_f32_e32 v1, 0x4f7ffffe, v1
	s_delay_alu instid0(VALU_DEP_1) | instskip(NEXT) | instid1(VALU_DEP_1)
	v_cvt_u32_f32_e32 v1, v1
	v_mul_lo_u32 v3, s28, v1
	s_delay_alu instid0(VALU_DEP_1) | instskip(NEXT) | instid1(VALU_DEP_1)
	v_mul_hi_u32 v3, v1, v3
	v_add_nc_u32_e32 v1, v1, v3
	s_delay_alu instid0(VALU_DEP_1) | instskip(NEXT) | instid1(VALU_DEP_1)
	v_mul_hi_u32 v1, v48, v1
	v_mul_lo_u32 v3, v1, s26
	s_delay_alu instid0(VALU_DEP_1) | instskip(NEXT) | instid1(VALU_DEP_1)
	v_sub_nc_u32_e32 v3, v48, v3
	v_subrev_nc_u32_e32 v7, s26, v3
	v_cmp_le_u32_e32 vcc_lo, s26, v3
	s_delay_alu instid0(VALU_DEP_2) | instskip(NEXT) | instid1(VALU_DEP_1)
	v_dual_add_nc_u32 v5, 1, v1 :: v_dual_cndmask_b32 v3, v3, v7, vcc_lo
	v_cndmask_b32_e32 v1, v1, v5, vcc_lo
	s_delay_alu instid0(VALU_DEP_2) | instskip(NEXT) | instid1(VALU_DEP_2)
	v_cmp_le_u32_e32 vcc_lo, s26, v3
	v_add_nc_u32_e32 v5, 1, v1
	s_delay_alu instid0(VALU_DEP_1)
	v_cndmask_b32_e32 v52, v1, v5, vcc_lo
	s_branch .LBB63_2694
.LBB63_2699:
	s_or_b32 exec_lo, exec_lo, s43
	s_load_b64 s[20:21], s[2:3], 0x2a8
	s_get_pc_i64 s[0:1]
	s_add_nc_u64 s[0:1], s[0:1], .str.4@rel64+4
	s_mov_b32 s22, -1
	s_cmp_lg_u64 s[0:1], 0
	s_mov_b32 s43, s41
	s_cselect_b32 s47, -1, 0
	s_mov_b32 s0, exec_lo
	v_cmpx_gt_i64_e64 v[44:45], v[46:47]
	s_cbranch_execz .LBB63_2706
; %bb.2700:
	v_lshlrev_b64_e32 v[42:43], 3, v[42:43]
	s_mov_b32 s9, 0
	s_xor_b32 s22, s47, -1
                                        ; implicit-def: $sgpr1
                                        ; implicit-def: $sgpr24
                                        ; implicit-def: $sgpr23
	s_delay_alu instid0(VALU_DEP_1) | instskip(SKIP_3) | instid1(VALU_DEP_2)
	v_lshl_add_u64 v[46:47], v[46:47], 3, v[42:43]
	s_wait_loadcnt 0x0
	s_wait_kmcnt 0x0
	v_add_nc_u64_e32 v[48:49], s[20:21], v[42:43]
	v_add_nc_u64_e32 v[46:47], s[20:21], v[46:47]
	s_delay_alu instid0(VALU_DEP_2) | instskip(NEXT) | instid1(VALU_DEP_2)
	v_lshl_add_u64 v[44:45], v[44:45], 3, v[48:49]
	v_add_nc_u64_e32 v[42:43], 8, v[46:47]
	s_branch .LBB63_2702
.LBB63_2701:                            ;   in Loop: Header=BB63_2702 Depth=1
	s_or_b32 exec_lo, exec_lo, s25
	s_xor_b32 s25, s23, -1
	s_and_b32 s26, exec_lo, s24
	s_delay_alu instid0(SALU_CYCLE_1) | instskip(SKIP_2) | instid1(SALU_CYCLE_1)
	s_or_b32 s9, s26, s9
	s_and_not1_b32 s1, s1, exec_lo
	s_and_b32 s25, s25, exec_lo
	s_or_b32 s1, s1, s25
	s_and_not1_b32 exec_lo, exec_lo, s9
	s_cbranch_execz .LBB63_2704
.LBB63_2702:                            ; =>This Inner Loop Header: Depth=1
	s_or_b32 s23, s23, exec_lo
	s_or_b32 s24, s24, exec_lo
	s_mov_b32 s25, exec_lo
	s_delay_alu instid0(VALU_DEP_1)
	v_cmpx_lt_u64_e64 v[42:43], v[44:45]
	s_cbranch_execz .LBB63_2701
; %bb.2703:                             ;   in Loop: Header=BB63_2702 Depth=1
	global_load_b128 v[46:49], v[42:43], off offset:-8
	s_wait_xcnt 0x0
	v_add_nc_u64_e32 v[42:43], 8, v[42:43]
	s_and_not1_b32 s24, s24, exec_lo
	s_and_not1_b32 s23, s23, exec_lo
	s_wait_loadcnt 0x0
	v_cmp_ge_i64_e32 vcc_lo, v[46:47], v[48:49]
	s_or_b32 s26, s22, vcc_lo
	s_delay_alu instid0(SALU_CYCLE_1) | instskip(NEXT) | instid1(SALU_CYCLE_1)
	s_and_b32 s26, s26, exec_lo
	s_or_b32 s24, s24, s26
	s_branch .LBB63_2701
.LBB63_2704:
	s_or_b32 exec_lo, exec_lo, s9
	s_mov_b32 s9, -1
	s_mov_b32 s22, s41
	s_and_saveexec_b32 s23, s1
	s_delay_alu instid0(SALU_CYCLE_1)
	s_xor_b32 s1, exec_lo, s23
	s_cbranch_execnz .LBB63_3697
.LBB63_2705:
	s_or_b32 exec_lo, exec_lo, s1
	s_delay_alu instid0(SALU_CYCLE_1) | instskip(SKIP_1) | instid1(SALU_CYCLE_1)
	s_and_not1_b32 s1, s41, exec_lo
	s_and_b32 s22, s22, exec_lo
	s_or_b32 s43, s1, s22
	s_or_not1_b32 s22, s9, exec_lo
.LBB63_2706:
	s_or_b32 exec_lo, exec_lo, s0
	s_mov_b32 s1, 0
	s_mov_b32 s9, 0
                                        ; implicit-def: $vgpr42_vgpr43
                                        ; implicit-def: $sgpr0
	s_and_saveexec_b32 s44, s22
	s_cbranch_execz .LBB63_4426
; %bb.2707:
	v_mov_b32_e32 v41, 0
	s_and_b32 s57, 0xffff, s34
	s_delay_alu instid0(SALU_CYCLE_1) | instskip(NEXT) | instid1(VALU_DEP_1)
	s_cmp_lt_i32 s57, 11
	v_add_nc_u64_e32 v[42:43], s[6:7], v[40:41]
	s_cbranch_scc1 .LBB63_2715
; %bb.2708:
	s_cmp_gt_i32 s57, 25
	s_cbranch_scc0 .LBB63_2731
; %bb.2709:
	s_cmp_gt_i32 s57, 28
	s_cbranch_scc0 .LBB63_3111
	;; [unrolled: 3-line block ×4, first 2 shown]
; %bb.2712:
	s_cmp_eq_u32 s57, 46
	s_mov_b32 s22, 0
	s_cbranch_scc0 .LBB63_3788
; %bb.2713:
	global_load_b32 v1, v[42:43], off
	s_mov_b32 s0, 0
	s_mov_b32 s9, -1
	s_wait_loadcnt 0x0
	v_lshlrev_b32_e32 v1, 16, v1
	s_delay_alu instid0(VALU_DEP_1) | instskip(NEXT) | instid1(VALU_DEP_1)
	v_trunc_f32_e32 v1, v1
	v_mul_f32_e64 v3, 0x2f800000, |v1|
	v_ashrrev_i32_e32 v40, 31, v1
	s_delay_alu instid0(VALU_DEP_2) | instskip(NEXT) | instid1(VALU_DEP_2)
	v_floor_f32_e32 v3, v3
	v_mov_b32_e32 v41, v40
	s_delay_alu instid0(VALU_DEP_2) | instskip(SKIP_1) | instid1(VALU_DEP_2)
	v_fma_f32 v5, 0xcf800000, v3, |v1|
	v_cvt_u32_f32_e32 v1, v3
	v_cvt_u32_f32_e32 v3, v5
	s_delay_alu instid0(VALU_DEP_2) | instskip(NEXT) | instid1(VALU_DEP_2)
	v_xor_b32_e32 v45, v1, v40
	v_xor_b32_e32 v44, v3, v40
	s_delay_alu instid0(VALU_DEP_1)
	v_sub_nc_u64_e32 v[40:41], v[44:45], v[40:41]
	s_branch .LBB63_3790
.LBB63_2714:
	s_or_b32 s33, s33, exec_lo
	s_trap 2
	s_cbranch_execz .LBB63_2589
	s_branch .LBB63_2590
.LBB63_2715:
	s_mov_b32 s0, -1
	s_mov_b32 s45, s43
                                        ; implicit-def: $vgpr40_vgpr41
	s_branch .LBB63_3852
.LBB63_2716:
	s_mov_b32 s88, -1
.LBB63_2717:
	s_mov_b32 s58, 0
                                        ; implicit-def: $vgpr14_vgpr15
.LBB63_2718:
	s_and_b32 vcc_lo, exec_lo, s1
	s_cbranch_vccz .LBB63_2733
; %bb.2719:
	s_cmp_eq_u32 s35, 44
	s_cbranch_scc0 .LBB63_2732
; %bb.2720:
	global_load_u8 v1, v[6:7], off
	s_mov_b32 s88, 0
	s_mov_b32 s58, -1
	s_wait_loadcnt 0x0
	v_lshlrev_b32_e32 v3, 23, v1
	v_cmp_ne_u32_e32 vcc_lo, 0, v1
	s_delay_alu instid0(VALU_DEP_2) | instskip(NEXT) | instid1(VALU_DEP_1)
	v_trunc_f32_e32 v3, v3
	v_mul_f32_e64 v14, 0x2f800000, |v3|
	s_delay_alu instid0(VALU_DEP_1) | instskip(SKIP_1) | instid1(VALU_DEP_2)
	v_floor_f32_e32 v15, v14
	v_ashrrev_i32_e32 v14, 31, v3
	v_fma_f32 v16, 0xcf800000, v15, |v3|
	v_cvt_u32_f32_e32 v3, v15
	s_delay_alu instid0(VALU_DEP_3) | instskip(NEXT) | instid1(VALU_DEP_3)
	v_mov_b32_e32 v15, v14
	v_cvt_u32_f32_e32 v16, v16
	s_delay_alu instid0(VALU_DEP_3) | instskip(NEXT) | instid1(VALU_DEP_2)
	v_xor_b32_e32 v17, v3, v14
	v_xor_b32_e32 v16, v16, v14
	s_delay_alu instid0(VALU_DEP_1) | instskip(NEXT) | instid1(VALU_DEP_1)
	v_sub_nc_u64_e32 v[14:15], v[16:17], v[14:15]
	v_dual_cndmask_b32 v15, 0, v15 :: v_dual_cndmask_b32 v14, 0, v14
	s_branch .LBB63_2733
.LBB63_2721:
	s_mov_b32 s47, -1
	s_mov_b32 s58, 0
.LBB63_2722:
                                        ; implicit-def: $vgpr10_vgpr11
.LBB63_2723:
	s_and_b32 vcc_lo, exec_lo, s1
	s_cbranch_vccz .LBB63_2869
; %bb.2724:
	s_cmp_eq_u32 s35, 44
	s_cbranch_scc0 .LBB63_2868
; %bb.2725:
	global_load_u8 v1, v[14:15], off
	s_mov_b32 s47, 0
	s_mov_b32 s58, -1
	s_wait_loadcnt 0x0
	v_lshlrev_b32_e32 v3, 23, v1
	v_cmp_ne_u32_e32 vcc_lo, 0, v1
	s_delay_alu instid0(VALU_DEP_2) | instskip(NEXT) | instid1(VALU_DEP_1)
	v_trunc_f32_e32 v3, v3
	v_mul_f32_e64 v7, 0x2f800000, |v3|
	v_ashrrev_i32_e32 v10, 31, v3
	s_delay_alu instid0(VALU_DEP_2) | instskip(NEXT) | instid1(VALU_DEP_1)
	v_floor_f32_e32 v7, v7
	v_fma_f32 v11, 0xcf800000, v7, |v3|
	v_cvt_u32_f32_e32 v3, v7
	s_delay_alu instid0(VALU_DEP_2) | instskip(NEXT) | instid1(VALU_DEP_2)
	v_cvt_u32_f32_e32 v7, v11
	v_dual_mov_b32 v11, v10 :: v_dual_bitop2_b32 v17, v3, v10 bitop3:0x14
	s_delay_alu instid0(VALU_DEP_2) | instskip(NEXT) | instid1(VALU_DEP_1)
	v_xor_b32_e32 v16, v7, v10
	v_sub_nc_u64_e32 v[10:11], v[16:17], v[10:11]
	s_delay_alu instid0(VALU_DEP_1)
	v_dual_cndmask_b32 v11, 0, v11 :: v_dual_cndmask_b32 v10, 0, v10
	s_branch .LBB63_2869
.LBB63_2726:
	s_mov_b32 s47, -1
	s_mov_b32 s45, 0
.LBB63_2727:
                                        ; implicit-def: $vgpr12_vgpr13
.LBB63_2728:
	s_and_b32 vcc_lo, exec_lo, s1
	s_cbranch_vccz .LBB63_2989
; %bb.2729:
	s_cmp_eq_u32 s35, 44
	s_cbranch_scc0 .LBB63_2988
; %bb.2730:
	global_load_u8 v1, v[14:15], off
	s_mov_b32 s47, 0
	s_mov_b32 s45, -1
	s_wait_loadcnt 0x0
	v_lshlrev_b32_e32 v3, 23, v1
	v_cmp_ne_u32_e32 vcc_lo, 0, v1
	s_delay_alu instid0(VALU_DEP_2) | instskip(NEXT) | instid1(VALU_DEP_1)
	v_trunc_f32_e32 v3, v3
	v_mul_f32_e64 v7, 0x2f800000, |v3|
	v_ashrrev_i32_e32 v12, 31, v3
	s_delay_alu instid0(VALU_DEP_2) | instskip(NEXT) | instid1(VALU_DEP_2)
	v_floor_f32_e32 v7, v7
	v_mov_b32_e32 v13, v12
	s_delay_alu instid0(VALU_DEP_2) | instskip(SKIP_1) | instid1(VALU_DEP_2)
	v_fma_f32 v11, 0xcf800000, v7, |v3|
	v_cvt_u32_f32_e32 v3, v7
	v_cvt_u32_f32_e32 v7, v11
	s_delay_alu instid0(VALU_DEP_2) | instskip(NEXT) | instid1(VALU_DEP_2)
	v_xor_b32_e32 v17, v3, v12
	v_xor_b32_e32 v16, v7, v12
	s_delay_alu instid0(VALU_DEP_1) | instskip(NEXT) | instid1(VALU_DEP_1)
	v_sub_nc_u64_e32 v[12:13], v[16:17], v[12:13]
	v_dual_cndmask_b32 v13, 0, v13 :: v_dual_cndmask_b32 v12, 0, v12
	s_branch .LBB63_2989
.LBB63_2731:
	s_mov_b32 s22, -1
	s_mov_b32 s0, 0
                                        ; implicit-def: $vgpr40_vgpr41
	s_branch .LBB63_3817
.LBB63_2732:
	s_mov_b32 s88, -1
                                        ; implicit-def: $vgpr14_vgpr15
.LBB63_2733:
	s_mov_b32 s1, 0
.LBB63_2734:
	s_delay_alu instid0(SALU_CYCLE_1)
	s_and_b32 vcc_lo, exec_lo, s1
	s_cbranch_vccz .LBB63_2738
; %bb.2735:
	s_cmp_eq_u32 s35, 29
	s_cbranch_scc0 .LBB63_2737
; %bb.2736:
	global_load_b64 v[14:15], v[6:7], off
	s_mov_b32 s58, -1
	s_mov_b32 s88, 0
	s_branch .LBB63_2738
.LBB63_2737:
	s_mov_b32 s88, -1
                                        ; implicit-def: $vgpr14_vgpr15
.LBB63_2738:
	s_mov_b32 s1, 0
.LBB63_2739:
	s_delay_alu instid0(SALU_CYCLE_1)
	s_and_b32 vcc_lo, exec_lo, s1
	s_cbranch_vccz .LBB63_2755
; %bb.2740:
	s_cmp_lt_i32 s35, 27
	s_cbranch_scc1 .LBB63_2743
; %bb.2741:
	s_cmp_gt_i32 s35, 27
	s_cbranch_scc0 .LBB63_2744
; %bb.2742:
	s_wait_loadcnt 0x0
	global_load_b32 v14, v[6:7], off
	v_mov_b32_e32 v15, 0
	s_mov_b32 s1, 0
	s_branch .LBB63_2745
.LBB63_2743:
	s_mov_b32 s1, -1
                                        ; implicit-def: $vgpr14_vgpr15
	s_branch .LBB63_2748
.LBB63_2744:
	s_mov_b32 s1, -1
                                        ; implicit-def: $vgpr14_vgpr15
.LBB63_2745:
	s_delay_alu instid0(SALU_CYCLE_1)
	s_and_not1_b32 vcc_lo, exec_lo, s1
	s_cbranch_vccnz .LBB63_2747
; %bb.2746:
	global_load_u16 v1, v[6:7], off
	s_mov_b32 s1, 0
	s_wait_loadcnt 0x1
	v_mov_b32_e32 v15, s1
	s_wait_loadcnt 0x0
	v_and_b32_e32 v14, 0xffff, v1
.LBB63_2747:
	s_mov_b32 s1, 0
.LBB63_2748:
	s_delay_alu instid0(SALU_CYCLE_1)
	s_and_not1_b32 vcc_lo, exec_lo, s1
	s_cbranch_vccnz .LBB63_2754
; %bb.2749:
	global_load_u8 v1, v[6:7], off
	s_mov_b32 s58, 0
	s_mov_b32 s1, exec_lo
	s_wait_loadcnt 0x0
	v_cmpx_lt_i16_e32 0x7f, v1
	s_xor_b32 s1, exec_lo, s1
	s_cbranch_execz .LBB63_2766
; %bb.2750:
	v_cmp_ne_u16_e32 vcc_lo, 0x80, v1
	s_and_b32 s58, vcc_lo, exec_lo
	s_and_not1_saveexec_b32 s1, s1
	s_cbranch_execnz .LBB63_2767
.LBB63_2751:
	s_or_b32 exec_lo, exec_lo, s1
	v_mov_b64_e32 v[14:15], 0
	s_and_saveexec_b32 s1, s58
	s_cbranch_execz .LBB63_2753
.LBB63_2752:
	v_and_b32_e32 v3, 0xffff, v1
	s_delay_alu instid0(VALU_DEP_1) | instskip(SKIP_1) | instid1(VALU_DEP_2)
	v_dual_lshlrev_b32 v1, 24, v1 :: v_dual_bitop2_b32 v14, 7, v3 bitop3:0x40
	v_bfe_u32 v17, v3, 3, 4
	v_and_b32_e32 v1, 0x80000000, v1
	s_delay_alu instid0(VALU_DEP_3) | instskip(NEXT) | instid1(VALU_DEP_3)
	v_clz_i32_u32_e32 v15, v14
	v_cmp_eq_u32_e32 vcc_lo, 0, v17
	s_delay_alu instid0(VALU_DEP_2) | instskip(NEXT) | instid1(VALU_DEP_1)
	v_min_u32_e32 v15, 32, v15
	v_subrev_nc_u32_e32 v16, 28, v15
	v_sub_nc_u32_e32 v15, 29, v15
	s_delay_alu instid0(VALU_DEP_2) | instskip(NEXT) | instid1(VALU_DEP_2)
	v_lshlrev_b32_e32 v3, v16, v3
	v_cndmask_b32_e32 v15, v17, v15, vcc_lo
	s_delay_alu instid0(VALU_DEP_2) | instskip(NEXT) | instid1(VALU_DEP_1)
	v_and_b32_e32 v3, 7, v3
	v_cndmask_b32_e32 v3, v14, v3, vcc_lo
	s_delay_alu instid0(VALU_DEP_3) | instskip(NEXT) | instid1(VALU_DEP_2)
	v_lshl_add_u32 v14, v15, 23, 0x3b800000
	v_lshlrev_b32_e32 v3, 20, v3
	s_delay_alu instid0(VALU_DEP_1) | instskip(NEXT) | instid1(VALU_DEP_1)
	v_or3_b32 v1, v1, v14, v3
	v_trunc_f32_e32 v1, v1
	s_delay_alu instid0(VALU_DEP_1) | instskip(SKIP_1) | instid1(VALU_DEP_2)
	v_mul_f32_e64 v3, 0x2f800000, |v1|
	v_ashrrev_i32_e32 v14, 31, v1
	v_floor_f32_e32 v3, v3
	s_delay_alu instid0(VALU_DEP_1) | instskip(SKIP_1) | instid1(VALU_DEP_2)
	v_fma_f32 v15, 0xcf800000, v3, |v1|
	v_cvt_u32_f32_e32 v1, v3
	v_cvt_u32_f32_e32 v3, v15
	s_delay_alu instid0(VALU_DEP_2) | instskip(NEXT) | instid1(VALU_DEP_2)
	v_dual_mov_b32 v15, v14 :: v_dual_bitop2_b32 v17, v1, v14 bitop3:0x14
	v_xor_b32_e32 v16, v3, v14
	s_delay_alu instid0(VALU_DEP_1)
	v_sub_nc_u64_e32 v[14:15], v[16:17], v[14:15]
.LBB63_2753:
	s_or_b32 exec_lo, exec_lo, s1
.LBB63_2754:
	s_mov_b32 s58, -1
.LBB63_2755:
	s_mov_b32 s1, 0
.LBB63_2756:
	s_delay_alu instid0(SALU_CYCLE_1)
	s_and_b32 vcc_lo, exec_lo, s1
	s_cbranch_vccz .LBB63_2789
; %bb.2757:
	s_cmp_gt_i32 s35, 22
	s_cbranch_scc0 .LBB63_2765
; %bb.2758:
	s_cmp_lt_i32 s35, 24
	s_cbranch_scc1 .LBB63_2768
; %bb.2759:
	s_cmp_gt_i32 s35, 24
	s_cbranch_scc0 .LBB63_2769
; %bb.2760:
	global_load_u8 v1, v[6:7], off
	s_mov_b32 s58, 0
	s_mov_b32 s1, exec_lo
	s_wait_loadcnt 0x0
	v_cmpx_lt_i16_e32 0x7f, v1
	s_xor_b32 s1, exec_lo, s1
	s_cbranch_execz .LBB63_2781
; %bb.2761:
	v_cmp_ne_u16_e32 vcc_lo, 0x80, v1
	s_and_b32 s58, vcc_lo, exec_lo
	s_and_not1_saveexec_b32 s1, s1
	s_cbranch_execnz .LBB63_2782
.LBB63_2762:
	s_or_b32 exec_lo, exec_lo, s1
	v_mov_b64_e32 v[14:15], 0
	s_and_saveexec_b32 s1, s58
	s_cbranch_execz .LBB63_2764
.LBB63_2763:
	v_and_b32_e32 v3, 0xffff, v1
	s_delay_alu instid0(VALU_DEP_1) | instskip(SKIP_1) | instid1(VALU_DEP_2)
	v_dual_lshlrev_b32 v1, 24, v1 :: v_dual_bitop2_b32 v14, 3, v3 bitop3:0x40
	v_bfe_u32 v17, v3, 2, 5
	v_and_b32_e32 v1, 0x80000000, v1
	s_delay_alu instid0(VALU_DEP_3) | instskip(NEXT) | instid1(VALU_DEP_3)
	v_clz_i32_u32_e32 v15, v14
	v_cmp_eq_u32_e32 vcc_lo, 0, v17
	s_delay_alu instid0(VALU_DEP_2) | instskip(NEXT) | instid1(VALU_DEP_1)
	v_min_u32_e32 v15, 32, v15
	v_subrev_nc_u32_e32 v16, 29, v15
	v_sub_nc_u32_e32 v15, 30, v15
	s_delay_alu instid0(VALU_DEP_2) | instskip(NEXT) | instid1(VALU_DEP_2)
	v_lshlrev_b32_e32 v3, v16, v3
	v_cndmask_b32_e32 v15, v17, v15, vcc_lo
	s_delay_alu instid0(VALU_DEP_2) | instskip(NEXT) | instid1(VALU_DEP_1)
	v_and_b32_e32 v3, 3, v3
	v_cndmask_b32_e32 v3, v14, v3, vcc_lo
	s_delay_alu instid0(VALU_DEP_3) | instskip(NEXT) | instid1(VALU_DEP_2)
	v_lshl_add_u32 v14, v15, 23, 0x37800000
	v_lshlrev_b32_e32 v3, 21, v3
	s_delay_alu instid0(VALU_DEP_1) | instskip(NEXT) | instid1(VALU_DEP_1)
	v_or3_b32 v1, v1, v14, v3
	v_trunc_f32_e32 v1, v1
	s_delay_alu instid0(VALU_DEP_1) | instskip(SKIP_1) | instid1(VALU_DEP_2)
	v_mul_f32_e64 v3, 0x2f800000, |v1|
	v_ashrrev_i32_e32 v14, 31, v1
	v_floor_f32_e32 v3, v3
	s_delay_alu instid0(VALU_DEP_1) | instskip(SKIP_1) | instid1(VALU_DEP_2)
	v_fma_f32 v15, 0xcf800000, v3, |v1|
	v_cvt_u32_f32_e32 v1, v3
	v_cvt_u32_f32_e32 v3, v15
	s_delay_alu instid0(VALU_DEP_2) | instskip(NEXT) | instid1(VALU_DEP_2)
	v_dual_mov_b32 v15, v14 :: v_dual_bitop2_b32 v17, v1, v14 bitop3:0x14
	v_xor_b32_e32 v16, v3, v14
	s_delay_alu instid0(VALU_DEP_1)
	v_sub_nc_u64_e32 v[14:15], v[16:17], v[14:15]
.LBB63_2764:
	s_or_b32 exec_lo, exec_lo, s1
	s_mov_b32 s1, 0
	s_branch .LBB63_2770
.LBB63_2765:
	s_mov_b32 s1, -1
                                        ; implicit-def: $vgpr14_vgpr15
	s_branch .LBB63_2776
.LBB63_2766:
	s_and_not1_saveexec_b32 s1, s1
	s_cbranch_execz .LBB63_2751
.LBB63_2767:
	v_cmp_ne_u16_e32 vcc_lo, 0, v1
	s_and_not1_b32 s36, s58, exec_lo
	s_and_b32 s37, vcc_lo, exec_lo
	s_delay_alu instid0(SALU_CYCLE_1)
	s_or_b32 s58, s36, s37
	s_or_b32 exec_lo, exec_lo, s1
	v_mov_b64_e32 v[14:15], 0
	s_and_saveexec_b32 s1, s58
	s_cbranch_execnz .LBB63_2752
	s_branch .LBB63_2753
.LBB63_2768:
	s_mov_b32 s1, -1
                                        ; implicit-def: $vgpr14_vgpr15
	s_branch .LBB63_2773
.LBB63_2769:
	s_mov_b32 s1, -1
                                        ; implicit-def: $vgpr14_vgpr15
.LBB63_2770:
	s_delay_alu instid0(SALU_CYCLE_1)
	s_and_b32 vcc_lo, exec_lo, s1
	s_cbranch_vccz .LBB63_2772
; %bb.2771:
	global_load_u8 v1, v[6:7], off
	s_wait_loadcnt 0x0
	v_lshlrev_b32_e32 v1, 24, v1
	s_delay_alu instid0(VALU_DEP_1) | instskip(NEXT) | instid1(VALU_DEP_1)
	v_and_b32_e32 v3, 0x7f000000, v1
	v_clz_i32_u32_e32 v14, v3
	v_cmp_ne_u32_e32 vcc_lo, 0, v3
	v_add_nc_u32_e32 v16, 0x1000000, v3
	s_delay_alu instid0(VALU_DEP_3) | instskip(NEXT) | instid1(VALU_DEP_1)
	v_min_u32_e32 v14, 32, v14
	v_sub_nc_u32_e64 v14, v14, 4 clamp
	s_delay_alu instid0(VALU_DEP_1) | instskip(NEXT) | instid1(VALU_DEP_1)
	v_dual_lshlrev_b32 v15, v14, v3 :: v_dual_lshlrev_b32 v14, 23, v14
	v_lshrrev_b32_e32 v15, 4, v15
	s_delay_alu instid0(VALU_DEP_1) | instskip(NEXT) | instid1(VALU_DEP_1)
	v_dual_sub_nc_u32 v14, v15, v14 :: v_dual_ashrrev_i32 v15, 8, v16
	v_add_nc_u32_e32 v14, 0x3c000000, v14
	s_delay_alu instid0(VALU_DEP_1) | instskip(NEXT) | instid1(VALU_DEP_1)
	v_and_or_b32 v14, 0x7f800000, v15, v14
	v_cndmask_b32_e32 v3, 0, v14, vcc_lo
	s_delay_alu instid0(VALU_DEP_1) | instskip(NEXT) | instid1(VALU_DEP_1)
	v_and_or_b32 v1, 0x80000000, v1, v3
	v_trunc_f32_e32 v1, v1
	s_delay_alu instid0(VALU_DEP_1) | instskip(SKIP_1) | instid1(VALU_DEP_2)
	v_mul_f32_e64 v3, 0x2f800000, |v1|
	v_ashrrev_i32_e32 v14, 31, v1
	v_floor_f32_e32 v3, v3
	s_delay_alu instid0(VALU_DEP_1) | instskip(SKIP_1) | instid1(VALU_DEP_2)
	v_fma_f32 v15, 0xcf800000, v3, |v1|
	v_cvt_u32_f32_e32 v1, v3
	v_cvt_u32_f32_e32 v3, v15
	s_delay_alu instid0(VALU_DEP_2) | instskip(NEXT) | instid1(VALU_DEP_2)
	v_dual_mov_b32 v15, v14 :: v_dual_bitop2_b32 v17, v1, v14 bitop3:0x14
	v_xor_b32_e32 v16, v3, v14
	s_delay_alu instid0(VALU_DEP_1)
	v_sub_nc_u64_e32 v[14:15], v[16:17], v[14:15]
.LBB63_2772:
	s_mov_b32 s1, 0
.LBB63_2773:
	s_delay_alu instid0(SALU_CYCLE_1)
	s_and_not1_b32 vcc_lo, exec_lo, s1
	s_cbranch_vccnz .LBB63_2775
; %bb.2774:
	global_load_u8 v1, v[6:7], off
	s_wait_loadcnt 0x0
	v_lshlrev_b32_e32 v3, 25, v1
	v_lshlrev_b16 v1, 8, v1
	s_delay_alu instid0(VALU_DEP_1) | instskip(SKIP_1) | instid1(VALU_DEP_2)
	v_and_or_b32 v15, 0x7f00, v1, 0.5
	v_bfe_i32 v1, v1, 0, 16
	v_add_f32_e32 v15, -0.5, v15
	v_lshrrev_b32_e32 v14, 4, v3
	v_cmp_gt_u32_e32 vcc_lo, 0x8000000, v3
	s_delay_alu instid0(VALU_DEP_2) | instskip(NEXT) | instid1(VALU_DEP_1)
	v_or_b32_e32 v14, 0x70000000, v14
	v_mul_f32_e32 v14, 0x7800000, v14
	s_delay_alu instid0(VALU_DEP_1) | instskip(NEXT) | instid1(VALU_DEP_1)
	v_cndmask_b32_e32 v3, v14, v15, vcc_lo
	v_and_or_b32 v1, 0x80000000, v1, v3
	s_delay_alu instid0(VALU_DEP_1) | instskip(NEXT) | instid1(VALU_DEP_1)
	v_trunc_f32_e32 v1, v1
	v_mul_f32_e64 v3, 0x2f800000, |v1|
	v_ashrrev_i32_e32 v14, 31, v1
	s_delay_alu instid0(VALU_DEP_2) | instskip(NEXT) | instid1(VALU_DEP_1)
	v_floor_f32_e32 v3, v3
	v_fma_f32 v15, 0xcf800000, v3, |v1|
	v_cvt_u32_f32_e32 v1, v3
	s_delay_alu instid0(VALU_DEP_2) | instskip(NEXT) | instid1(VALU_DEP_2)
	v_cvt_u32_f32_e32 v3, v15
	v_dual_mov_b32 v15, v14 :: v_dual_bitop2_b32 v17, v1, v14 bitop3:0x14
	s_delay_alu instid0(VALU_DEP_2) | instskip(NEXT) | instid1(VALU_DEP_1)
	v_xor_b32_e32 v16, v3, v14
	v_sub_nc_u64_e32 v[14:15], v[16:17], v[14:15]
.LBB63_2775:
	s_mov_b32 s1, 0
	s_mov_b32 s58, -1
.LBB63_2776:
	s_and_not1_b32 vcc_lo, exec_lo, s1
	s_cbranch_vccnz .LBB63_2789
; %bb.2777:
	s_cmp_gt_i32 s35, 14
	s_cbranch_scc0 .LBB63_2780
; %bb.2778:
	s_cmp_eq_u32 s35, 15
	s_cbranch_scc0 .LBB63_2783
; %bb.2779:
	global_load_u16 v1, v[6:7], off
	s_mov_b32 s58, -1
	s_mov_b32 s88, 0
	s_wait_loadcnt 0x0
	v_lshlrev_b32_e32 v1, 16, v1
	s_delay_alu instid0(VALU_DEP_1) | instskip(NEXT) | instid1(VALU_DEP_1)
	v_trunc_f32_e32 v1, v1
	v_mul_f32_e64 v3, 0x2f800000, |v1|
	v_ashrrev_i32_e32 v14, 31, v1
	s_delay_alu instid0(VALU_DEP_2) | instskip(NEXT) | instid1(VALU_DEP_1)
	v_floor_f32_e32 v3, v3
	v_fma_f32 v15, 0xcf800000, v3, |v1|
	v_cvt_u32_f32_e32 v1, v3
	s_delay_alu instid0(VALU_DEP_2) | instskip(NEXT) | instid1(VALU_DEP_2)
	v_cvt_u32_f32_e32 v3, v15
	v_dual_mov_b32 v15, v14 :: v_dual_bitop2_b32 v17, v1, v14 bitop3:0x14
	s_delay_alu instid0(VALU_DEP_2) | instskip(NEXT) | instid1(VALU_DEP_1)
	v_xor_b32_e32 v16, v3, v14
	v_sub_nc_u64_e32 v[14:15], v[16:17], v[14:15]
	s_branch .LBB63_2784
.LBB63_2780:
	s_mov_b32 s1, -1
                                        ; implicit-def: $vgpr14_vgpr15
	s_branch .LBB63_2785
.LBB63_2781:
	s_and_not1_saveexec_b32 s1, s1
	s_cbranch_execz .LBB63_2762
.LBB63_2782:
	v_cmp_ne_u16_e32 vcc_lo, 0, v1
	s_and_not1_b32 s36, s58, exec_lo
	s_and_b32 s37, vcc_lo, exec_lo
	s_delay_alu instid0(SALU_CYCLE_1)
	s_or_b32 s58, s36, s37
	s_or_b32 exec_lo, exec_lo, s1
	v_mov_b64_e32 v[14:15], 0
	s_and_saveexec_b32 s1, s58
	s_cbranch_execnz .LBB63_2763
	s_branch .LBB63_2764
.LBB63_2783:
	s_mov_b32 s88, -1
                                        ; implicit-def: $vgpr14_vgpr15
.LBB63_2784:
	s_mov_b32 s1, 0
.LBB63_2785:
	s_delay_alu instid0(SALU_CYCLE_1)
	s_and_b32 vcc_lo, exec_lo, s1
	s_cbranch_vccz .LBB63_2789
; %bb.2786:
	s_cmp_eq_u32 s35, 11
	s_cbranch_scc0 .LBB63_2788
; %bb.2787:
	global_load_u8 v1, v[6:7], off
	s_mov_b32 s88, 0
	s_mov_b32 s58, -1
	s_wait_loadcnt 0x1
	v_mov_b32_e32 v15, s88
	s_wait_loadcnt 0x0
	v_cmp_ne_u16_e32 vcc_lo, 0, v1
	v_cndmask_b32_e64 v14, 0, 1, vcc_lo
	s_branch .LBB63_2789
.LBB63_2788:
	s_mov_b32 s88, -1
                                        ; implicit-def: $vgpr14_vgpr15
.LBB63_2789:
	s_mov_b32 s1, 0
.LBB63_2790:
	s_delay_alu instid0(SALU_CYCLE_1)
	s_and_b32 vcc_lo, exec_lo, s1
	s_cbranch_vccz .LBB63_2839
; %bb.2791:
	s_and_b32 s0, 0xffff, s0
	s_delay_alu instid0(SALU_CYCLE_1)
	s_cmp_lt_i32 s0, 5
	s_cbranch_scc1 .LBB63_2796
; %bb.2792:
	s_cmp_lt_i32 s0, 8
	s_cbranch_scc1 .LBB63_2797
; %bb.2793:
	;; [unrolled: 3-line block ×3, first 2 shown]
	s_cmp_gt_i32 s0, 9
	s_cbranch_scc0 .LBB63_2799
; %bb.2795:
	s_wait_loadcnt 0x0
	global_load_b64 v[14:15], v[6:7], off
	s_mov_b32 s1, 0
	s_wait_loadcnt 0x0
	v_trunc_f64_e32 v[14:15], v[14:15]
	s_delay_alu instid0(VALU_DEP_1) | instskip(NEXT) | instid1(VALU_DEP_1)
	v_ldexp_f64 v[16:17], v[14:15], 0xffffffe0
	v_floor_f64_e32 v[16:17], v[16:17]
	s_delay_alu instid0(VALU_DEP_1) | instskip(SKIP_1) | instid1(VALU_DEP_2)
	v_fmamk_f64 v[18:19], v[16:17], 0xc1f00000, v[14:15]
	v_cvt_i32_f64_e32 v15, v[16:17]
	v_cvt_u32_f64_e32 v14, v[18:19]
	s_branch .LBB63_2800
.LBB63_2796:
	s_mov_b32 s1, -1
                                        ; implicit-def: $vgpr14_vgpr15
	s_branch .LBB63_2818
.LBB63_2797:
	s_mov_b32 s1, -1
                                        ; implicit-def: $vgpr14_vgpr15
	s_branch .LBB63_2806
.LBB63_2798:
	s_mov_b32 s1, -1
                                        ; implicit-def: $vgpr14_vgpr15
	s_branch .LBB63_2803
.LBB63_2799:
	s_mov_b32 s1, -1
                                        ; implicit-def: $vgpr14_vgpr15
.LBB63_2800:
	s_delay_alu instid0(SALU_CYCLE_1)
	s_and_not1_b32 vcc_lo, exec_lo, s1
	s_cbranch_vccnz .LBB63_2802
; %bb.2801:
	global_load_b32 v1, v[6:7], off
	s_wait_loadcnt 0x0
	v_trunc_f32_e32 v1, v1
	s_delay_alu instid0(VALU_DEP_1) | instskip(SKIP_1) | instid1(VALU_DEP_2)
	v_mul_f32_e64 v3, 0x2f800000, |v1|
	v_ashrrev_i32_e32 v14, 31, v1
	v_floor_f32_e32 v3, v3
	s_delay_alu instid0(VALU_DEP_1) | instskip(SKIP_1) | instid1(VALU_DEP_2)
	v_fma_f32 v15, 0xcf800000, v3, |v1|
	v_cvt_u32_f32_e32 v1, v3
	v_cvt_u32_f32_e32 v3, v15
	s_delay_alu instid0(VALU_DEP_2) | instskip(NEXT) | instid1(VALU_DEP_2)
	v_dual_mov_b32 v15, v14 :: v_dual_bitop2_b32 v17, v1, v14 bitop3:0x14
	v_xor_b32_e32 v16, v3, v14
	s_delay_alu instid0(VALU_DEP_1)
	v_sub_nc_u64_e32 v[14:15], v[16:17], v[14:15]
.LBB63_2802:
	s_mov_b32 s1, 0
.LBB63_2803:
	s_delay_alu instid0(SALU_CYCLE_1)
	s_and_not1_b32 vcc_lo, exec_lo, s1
	s_cbranch_vccnz .LBB63_2805
; %bb.2804:
	global_load_b32 v1, v[6:7], off
	s_wait_loadcnt 0x0
	v_cvt_f32_f16_e32 v1, v1
	s_delay_alu instid0(VALU_DEP_1) | instskip(NEXT) | instid1(VALU_DEP_1)
	v_cvt_i32_f32_e32 v14, v1
	v_ashrrev_i32_e32 v15, 31, v14
.LBB63_2805:
	s_mov_b32 s1, 0
.LBB63_2806:
	s_delay_alu instid0(SALU_CYCLE_1)
	s_and_not1_b32 vcc_lo, exec_lo, s1
	s_cbranch_vccnz .LBB63_2817
; %bb.2807:
	s_cmp_lt_i32 s0, 6
	s_cbranch_scc1 .LBB63_2810
; %bb.2808:
	s_cmp_gt_i32 s0, 6
	s_cbranch_scc0 .LBB63_2811
; %bb.2809:
	s_wait_loadcnt 0x0
	global_load_b64 v[14:15], v[6:7], off
	s_mov_b32 s1, 0
	s_wait_loadcnt 0x0
	v_trunc_f64_e32 v[14:15], v[14:15]
	s_delay_alu instid0(VALU_DEP_1) | instskip(NEXT) | instid1(VALU_DEP_1)
	v_ldexp_f64 v[16:17], v[14:15], 0xffffffe0
	v_floor_f64_e32 v[16:17], v[16:17]
	s_delay_alu instid0(VALU_DEP_1) | instskip(SKIP_1) | instid1(VALU_DEP_2)
	v_fmamk_f64 v[18:19], v[16:17], 0xc1f00000, v[14:15]
	v_cvt_i32_f64_e32 v15, v[16:17]
	v_cvt_u32_f64_e32 v14, v[18:19]
	s_branch .LBB63_2812
.LBB63_2810:
	s_mov_b32 s1, -1
                                        ; implicit-def: $vgpr14_vgpr15
	s_branch .LBB63_2815
.LBB63_2811:
	s_mov_b32 s1, -1
                                        ; implicit-def: $vgpr14_vgpr15
.LBB63_2812:
	s_delay_alu instid0(SALU_CYCLE_1)
	s_and_not1_b32 vcc_lo, exec_lo, s1
	s_cbranch_vccnz .LBB63_2814
; %bb.2813:
	global_load_b32 v1, v[6:7], off
	s_wait_loadcnt 0x0
	v_trunc_f32_e32 v1, v1
	s_delay_alu instid0(VALU_DEP_1) | instskip(SKIP_1) | instid1(VALU_DEP_2)
	v_mul_f32_e64 v3, 0x2f800000, |v1|
	v_ashrrev_i32_e32 v14, 31, v1
	v_floor_f32_e32 v3, v3
	s_delay_alu instid0(VALU_DEP_1) | instskip(SKIP_1) | instid1(VALU_DEP_2)
	v_fma_f32 v15, 0xcf800000, v3, |v1|
	v_cvt_u32_f32_e32 v1, v3
	v_cvt_u32_f32_e32 v3, v15
	s_delay_alu instid0(VALU_DEP_2) | instskip(NEXT) | instid1(VALU_DEP_2)
	v_dual_mov_b32 v15, v14 :: v_dual_bitop2_b32 v17, v1, v14 bitop3:0x14
	v_xor_b32_e32 v16, v3, v14
	s_delay_alu instid0(VALU_DEP_1)
	v_sub_nc_u64_e32 v[14:15], v[16:17], v[14:15]
.LBB63_2814:
	s_mov_b32 s1, 0
.LBB63_2815:
	s_delay_alu instid0(SALU_CYCLE_1)
	s_and_not1_b32 vcc_lo, exec_lo, s1
	s_cbranch_vccnz .LBB63_2817
; %bb.2816:
	global_load_u16 v1, v[6:7], off
	s_wait_loadcnt 0x0
	v_cvt_f32_f16_e32 v1, v1
	s_delay_alu instid0(VALU_DEP_1) | instskip(NEXT) | instid1(VALU_DEP_1)
	v_cvt_i32_f32_e32 v14, v1
	v_ashrrev_i32_e32 v15, 31, v14
.LBB63_2817:
	s_mov_b32 s1, 0
.LBB63_2818:
	s_delay_alu instid0(SALU_CYCLE_1)
	s_and_not1_b32 vcc_lo, exec_lo, s1
	s_cbranch_vccnz .LBB63_2838
; %bb.2819:
	s_cmp_lt_i32 s0, 2
	s_cbranch_scc1 .LBB63_2823
; %bb.2820:
	s_cmp_lt_i32 s0, 3
	s_cbranch_scc1 .LBB63_2824
; %bb.2821:
	s_cmp_gt_i32 s0, 3
	s_cbranch_scc0 .LBB63_2825
; %bb.2822:
	s_wait_loadcnt 0x0
	global_load_b64 v[14:15], v[6:7], off
	s_mov_b32 s1, 0
	s_branch .LBB63_2826
.LBB63_2823:
	s_mov_b32 s1, -1
                                        ; implicit-def: $vgpr14_vgpr15
	s_branch .LBB63_2832
.LBB63_2824:
	s_mov_b32 s1, -1
                                        ; implicit-def: $vgpr14_vgpr15
	s_branch .LBB63_2829
.LBB63_2825:
	s_mov_b32 s1, -1
                                        ; implicit-def: $vgpr14_vgpr15
.LBB63_2826:
	s_delay_alu instid0(SALU_CYCLE_1)
	s_and_not1_b32 vcc_lo, exec_lo, s1
	s_cbranch_vccnz .LBB63_2828
; %bb.2827:
	s_wait_loadcnt 0x0
	global_load_b32 v14, v[6:7], off
	s_wait_loadcnt 0x0
	v_ashrrev_i32_e32 v15, 31, v14
.LBB63_2828:
	s_mov_b32 s1, 0
.LBB63_2829:
	s_delay_alu instid0(SALU_CYCLE_1)
	s_and_not1_b32 vcc_lo, exec_lo, s1
	s_cbranch_vccnz .LBB63_2831
; %bb.2830:
	global_load_u16 v1, v[6:7], off
	s_wait_loadcnt 0x0
	v_bfe_i32 v14, v1, 0, 16
	s_delay_alu instid0(VALU_DEP_1)
	v_ashrrev_i32_e32 v15, 31, v14
.LBB63_2831:
	s_mov_b32 s1, 0
.LBB63_2832:
	s_delay_alu instid0(SALU_CYCLE_1)
	s_and_not1_b32 vcc_lo, exec_lo, s1
	s_cbranch_vccnz .LBB63_2838
; %bb.2833:
	s_cmp_gt_i32 s0, 0
	s_mov_b32 s0, 0
	s_cbranch_scc0 .LBB63_2835
; %bb.2834:
	global_load_i8 v1, v[6:7], off
	s_wait_loadcnt 0x0
	v_bfe_i32 v14, v1, 0, 16
	s_delay_alu instid0(VALU_DEP_1)
	v_ashrrev_i32_e32 v15, 31, v14
	s_branch .LBB63_2836
.LBB63_2835:
	s_mov_b32 s0, -1
                                        ; implicit-def: $vgpr14_vgpr15
.LBB63_2836:
	s_delay_alu instid0(SALU_CYCLE_1)
	s_and_not1_b32 vcc_lo, exec_lo, s0
	s_cbranch_vccnz .LBB63_2838
; %bb.2837:
	global_load_u8 v1, v[6:7], off
	s_mov_b32 s0, 0
	s_wait_loadcnt 0x1
	v_mov_b32_e32 v15, s0
	s_wait_loadcnt 0x0
	v_and_b32_e32 v14, 0xffff, v1
.LBB63_2838:
	s_mov_b32 s58, -1
.LBB63_2839:
	s_delay_alu instid0(SALU_CYCLE_1)
	s_and_not1_b32 vcc_lo, exec_lo, s58
	s_cbranch_vccnz .LBB63_2850
; %bb.2840:
	s_load_b512 s[4:19], s[2:3], 0x248
	s_wait_kmcnt 0x0
	s_mov_b64 s[14:15], s[94:95]
	s_mov_b32 s12, s92
	s_mov_b32 s1, -1
	s_mov_b32 s0, 0
	s_mov_b32 s35, 0
	;; [unrolled: 1-line block ×5, first 2 shown]
	s_wait_loadcnt 0x0
	v_cmp_eq_u64_e32 vcc_lo, s[16:17], v[4:5]
	s_and_b32 s36, s81, vcc_lo
	s_delay_alu instid0(SALU_CYCLE_1)
	s_and_saveexec_b32 s85, s36
	s_cbranch_execz .LBB63_4044
; %bb.2841:
	v_cmp_eq_u64_e32 vcc_lo, s[20:21], v[8:9]
	s_and_b32 s35, s52, vcc_lo
	s_delay_alu instid0(SALU_CYCLE_1)
	s_and_saveexec_b32 s86, s35
	s_cbranch_execz .LBB63_3464
; %bb.2842:
	s_load_b512 s[4:19], s[2:3], 0x248
	v_sub_nc_u64_e32 v[4:5], v[10:11], v[12:13]
	s_mov_b32 s58, -1
	s_mov_b32 s35, 0
	s_wait_kmcnt 0x0
	s_delay_alu instid0(VALU_DEP_1) | instskip(SKIP_4) | instid1(SALU_CYCLE_1)
	v_cmp_le_i64_e32 vcc_lo, s[16:17], v[4:5]
	v_cmp_ge_i64_e64 s0, s[18:19], v[4:5]
	s_and_b32 s1, vcc_lo, s0
	s_mov_b32 s0, 0
	s_and_b32 s1, s77, s1
	s_and_saveexec_b32 s87, s1
	s_cbranch_execz .LBB63_3463
; %bb.2843:
	v_cmp_lt_i64_e64 s0, s[20:21], 1
	v_mov_b64_e32 v[4:5], 0
	s_xor_b32 s1, s76, -1
	s_delay_alu instid0(SALU_CYCLE_1) | instskip(NEXT) | instid1(SALU_CYCLE_1)
	s_or_b32 s0, s0, s1
	s_and_b32 vcc_lo, exec_lo, s0
	s_cbranch_vccnz .LBB63_2851
; %bb.2844:
	v_mul_u64_e32 v[8:9], s[20:21], v[14:15]
	v_mov_b64_e32 v[4:5], 0
	s_mov_b32 s35, s59
	v_mov_b32_e32 v6, 0
	s_lshl_b64 s[0:1], s[34:35], 3
	s_mov_b64 s[60:61], 0xffffffff
	s_add_nc_u64 s[62:63], s[24:25], s[0:1]
	s_add_nc_u64 s[64:65], s[26:27], s[0:1]
	s_mov_b32 s35, s22
	s_branch .LBB63_2846
.LBB63_2845:                            ;   in Loop: Header=BB63_2846 Depth=1
	s_or_b32 exec_lo, exec_lo, s0
	s_delay_alu instid0(VALU_DEP_1)
	v_mul_u64_e32 v[16:17], s[66:67], v[14:15]
	s_load_b64 s[0:1], s[64:65], 0x0
	s_add_co_i32 s35, s35, -1
	s_add_nc_u64 s[62:63], s[62:63], -8
	s_cmp_eq_u32 s35, 0
	s_wait_xcnt 0x0
	s_add_nc_u64 s[64:65], s[64:65], -8
	s_delay_alu instid0(VALU_DEP_1) | instskip(SKIP_1) | instid1(VALU_DEP_1)
	v_sub_nc_u64_e32 v[8:9], v[8:9], v[16:17]
	s_wait_kmcnt 0x0
	v_mad_nc_u64_u32 v[4:5], v8, s0, v[4:5]
	s_delay_alu instid0(VALU_DEP_1) | instskip(NEXT) | instid1(VALU_DEP_1)
	v_mad_u32 v1, v9, s0, v5
	v_mad_u32 v5, v8, s1, v1
	v_mov_b64_e32 v[8:9], v[14:15]
	s_cbranch_scc1 .LBB63_2851
.LBB63_2846:                            ; =>This Inner Loop Header: Depth=1
	s_load_b64 s[66:67], s[62:63], 0x0
                                        ; implicit-def: $vgpr14_vgpr15
	s_mov_b32 s0, exec_lo
	s_wait_kmcnt 0x0
	s_delay_alu instid0(VALU_DEP_1) | instskip(NEXT) | instid1(VALU_DEP_1)
	v_or_b32_e32 v7, s67, v9
	v_cmpx_ne_u64_e32 0, v[6:7]
	s_xor_b32 s1, exec_lo, s0
	s_cbranch_execz .LBB63_2848
; %bb.2847:                             ;   in Loop: Header=BB63_2846 Depth=1
	s_mov_b32 s9, s68
	s_ashr_i32 s68, s67, 31
	s_mov_b32 s0, s69
	s_mov_b32 s69, s68
	s_mov_b64 s[4:5], s[40:41]
	s_add_nc_u64 s[36:37], s[66:67], s[68:69]
	s_mov_b64 s[6:7], s[42:43]
	s_xor_b64 s[70:71], s[36:37], s[68:69]
	s_mov_b32 s69, s0
	s_cvt_f32_u32 s0, s70
	s_cvt_f32_u32 s36, s71
	s_sub_nc_u64 s[38:39], 0, s[70:71]
	s_mov_b32 s8, s48
	v_dual_mov_b32 v19, v6 :: v_dual_ashrrev_i32 v14, 31, v9
	s_fmamk_f32 s0, s36, 0x4f800000, s0
	s_delay_alu instid0(VALU_DEP_1) | instskip(NEXT) | instid1(SALU_CYCLE_2)
	v_dual_mov_b32 v27, v6 :: v_dual_mov_b32 v15, v14
	v_s_rcp_f32 s0, s0
	s_delay_alu instid0(VALU_DEP_1) | instskip(SKIP_1) | instid1(TRANS32_DEP_1)
	v_add_nc_u64_e32 v[16:17], v[8:9], v[14:15]
	v_mov_b32_e32 v23, v6
	s_mul_f32 s0, s0, 0x5f7ffffc
	s_delay_alu instid0(VALU_DEP_2) | instskip(NEXT) | instid1(SALU_CYCLE_2)
	v_xor_b32_e32 v18, v16, v14
	s_mul_f32 s36, s0, 0x2f800000
	s_delay_alu instid0(VALU_DEP_3) | instskip(NEXT) | instid1(SALU_CYCLE_2)
	v_xor_b32_e32 v22, v17, v14
	s_trunc_f32 s36, s36
	s_delay_alu instid0(SALU_CYCLE_3) | instskip(SKIP_1) | instid1(SALU_CYCLE_2)
	s_fmamk_f32 s0, s36, 0xcf800000, s0
	s_cvt_u32_f32 s37, s36
	s_cvt_u32_f32 s36, s0
	s_delay_alu instid0(SALU_CYCLE_3) | instskip(NEXT) | instid1(SALU_CYCLE_1)
	s_mul_u64 s[40:41], s[38:39], s[36:37]
	s_mul_hi_u32 s43, s36, s41
	s_mul_i32 s42, s36, s41
	s_mul_hi_u32 s58, s36, s40
	s_mul_i32 s48, s37, s40
	s_add_nc_u64 s[42:43], s[58:59], s[42:43]
	s_mul_hi_u32 s0, s37, s40
	s_mul_hi_u32 s49, s37, s41
	s_mul_i32 s40, s37, s41
	s_add_co_u32 s41, s42, s48
	s_add_co_ci_u32 s58, s43, s0
	s_add_co_ci_u32 s41, s49, 0
	s_mov_b32 s48, s8
	s_add_nc_u64 s[40:41], s[58:59], s[40:41]
	s_delay_alu instid0(SALU_CYCLE_1) | instskip(SKIP_1) | instid1(SALU_CYCLE_1)
	s_add_co_u32 s36, s36, s40
	s_cselect_b32 s0, -1, 0
	s_cmp_lg_u32 s0, 0
	s_add_co_ci_u32 s37, s37, s41
	s_delay_alu instid0(SALU_CYCLE_1) | instskip(NEXT) | instid1(SALU_CYCLE_1)
	s_mul_u64 s[38:39], s[38:39], s[36:37]
	s_mul_hi_u32 s41, s36, s39
	s_mul_i32 s40, s36, s39
	s_mul_hi_u32 s58, s36, s38
	s_mul_i32 s42, s37, s38
	s_add_nc_u64 s[40:41], s[58:59], s[40:41]
	s_mul_hi_u32 s0, s37, s38
	s_mul_hi_u32 s43, s37, s39
	s_mul_i32 s38, s37, s39
	s_add_co_u32 s39, s40, s42
	s_add_co_ci_u32 s58, s41, s0
	s_add_co_ci_u32 s39, s43, 0
	s_mov_b64 s[42:43], s[6:7]
	s_add_nc_u64 s[38:39], s[58:59], s[38:39]
	s_mov_b64 s[40:41], s[4:5]
	s_add_co_u32 s0, s36, s38
	s_cselect_b32 s36, -1, 0
	v_mul_hi_u32 v26, v18, s0
	s_cmp_lg_u32 s36, 0
	s_add_co_ci_u32 s58, s37, s39
	s_and_b64 s[36:37], s[0:1], s[60:61]
	v_mul_u64_e32 v[20:21], s[58:59], v[18:19]
	v_mul_u64_e32 v[16:17], s[36:37], v[22:23]
	;; [unrolled: 1-line block ×3, first 2 shown]
	s_delay_alu instid0(VALU_DEP_3) | instskip(NEXT) | instid1(VALU_DEP_1)
	v_add_nc_u64_e32 v[20:21], v[26:27], v[20:21]
	v_add_co_u32 v1, vcc_lo, v20, v16
	s_delay_alu instid0(VALU_DEP_2) | instskip(NEXT) | instid1(VALU_DEP_4)
	v_add_co_ci_u32_e32 v26, vcc_lo, v21, v17, vcc_lo
	v_add_co_ci_u32_e32 v25, vcc_lo, 0, v25, vcc_lo
	s_delay_alu instid0(VALU_DEP_1) | instskip(NEXT) | instid1(VALU_DEP_1)
	v_add_nc_u64_e32 v[16:17], v[26:27], v[24:25]
	v_mul_u64_e32 v[20:21], s[70:71], v[16:17]
	s_delay_alu instid0(VALU_DEP_1) | instskip(NEXT) | instid1(VALU_DEP_2)
	v_sub_nc_u32_e32 v1, v22, v21
	v_sub_co_u32 v3, vcc_lo, v18, v20
	s_delay_alu instid0(VALU_DEP_1) | instskip(NEXT) | instid1(VALU_DEP_3)
	v_sub_co_ci_u32_e64 v15, null, v22, v21, vcc_lo
	v_subrev_co_ci_u32_e64 v1, null, s71, v1, vcc_lo
	s_delay_alu instid0(VALU_DEP_3) | instskip(SKIP_1) | instid1(VALU_DEP_3)
	v_sub_co_u32 v7, s0, v3, s70
	v_add_nc_u64_e32 v[20:21], 1, v[16:17]
	v_subrev_co_ci_u32_e64 v1, null, 0, v1, s0
	s_delay_alu instid0(VALU_DEP_3) | instskip(SKIP_1) | instid1(VALU_DEP_3)
	v_cmp_le_u32_e32 vcc_lo, s70, v7
	v_cndmask_b32_e64 v7, 0, -1, vcc_lo
	v_cmp_le_u32_e32 vcc_lo, s71, v1
	v_cndmask_b32_e64 v18, 0, -1, vcc_lo
	;; [unrolled: 2-line block ×4, first 2 shown]
	v_cmp_eq_u32_e32 vcc_lo, s71, v1
	v_cndmask_b32_e32 v1, v18, v7, vcc_lo
	v_cmp_eq_u32_e32 vcc_lo, s71, v15
	v_add_nc_u64_e32 v[18:19], 2, v[16:17]
	v_cndmask_b32_e32 v3, v22, v3, vcc_lo
	s_delay_alu instid0(VALU_DEP_4) | instskip(NEXT) | instid1(VALU_DEP_2)
	v_cmp_ne_u32_e32 vcc_lo, 0, v1
	v_cmp_ne_u32_e64 s0, 0, v3
	s_delay_alu instid0(VALU_DEP_4) | instskip(SKIP_2) | instid1(VALU_DEP_2)
	v_dual_cndmask_b32 v1, v21, v19, vcc_lo :: v_dual_cndmask_b32 v3, v20, v18, vcc_lo
	v_xor_b32_e32 v14, s68, v14
	s_mov_b32 s68, s9
	v_dual_cndmask_b32 v1, v17, v1, s0 :: v_dual_cndmask_b32 v3, v16, v3, s0
	s_delay_alu instid0(VALU_DEP_1) | instskip(NEXT) | instid1(VALU_DEP_2)
	v_dual_mov_b32 v15, v14 :: v_dual_bitop2_b32 v17, v1, v14 bitop3:0x14
	v_xor_b32_e32 v16, v3, v14
	s_delay_alu instid0(VALU_DEP_1)
	v_sub_nc_u64_e32 v[14:15], v[16:17], v[14:15]
.LBB63_2848:                            ;   in Loop: Header=BB63_2846 Depth=1
	s_and_not1_saveexec_b32 s0, s1
	s_cbranch_execz .LBB63_2845
; %bb.2849:                             ;   in Loop: Header=BB63_2846 Depth=1
	v_cvt_f32_u32_e32 v1, s66
	s_sub_co_i32 s1, 0, s66
	v_mov_b32_e32 v15, v6
	s_delay_alu instid0(VALU_DEP_2) | instskip(SKIP_1) | instid1(TRANS32_DEP_1)
	v_rcp_iflag_f32_e32 v1, v1
	v_nop
	v_mul_f32_e32 v1, 0x4f7ffffe, v1
	s_delay_alu instid0(VALU_DEP_1) | instskip(NEXT) | instid1(VALU_DEP_1)
	v_cvt_u32_f32_e32 v1, v1
	v_mul_lo_u32 v3, s1, v1
	s_delay_alu instid0(VALU_DEP_1) | instskip(NEXT) | instid1(VALU_DEP_1)
	v_mul_hi_u32 v3, v1, v3
	v_add_nc_u32_e32 v1, v1, v3
	s_delay_alu instid0(VALU_DEP_1) | instskip(NEXT) | instid1(VALU_DEP_1)
	v_mul_hi_u32 v1, v8, v1
	v_mul_lo_u32 v3, v1, s66
	s_delay_alu instid0(VALU_DEP_1) | instskip(NEXT) | instid1(VALU_DEP_1)
	v_sub_nc_u32_e32 v3, v8, v3
	v_subrev_nc_u32_e32 v14, s66, v3
	v_cmp_le_u32_e32 vcc_lo, s66, v3
	s_delay_alu instid0(VALU_DEP_2) | instskip(NEXT) | instid1(VALU_DEP_1)
	v_dual_add_nc_u32 v7, 1, v1 :: v_dual_cndmask_b32 v3, v3, v14, vcc_lo
	v_cndmask_b32_e32 v1, v1, v7, vcc_lo
	s_delay_alu instid0(VALU_DEP_2) | instskip(NEXT) | instid1(VALU_DEP_2)
	v_cmp_le_u32_e32 vcc_lo, s66, v3
	v_add_nc_u32_e32 v7, 1, v1
	s_delay_alu instid0(VALU_DEP_1)
	v_cndmask_b32_e32 v14, v1, v7, vcc_lo
	s_branch .LBB63_2845
.LBB63_2850:
	s_mov_b32 s0, 0
	s_mov_b32 s1, 0
	;; [unrolled: 1-line block ×6, first 2 shown]
	s_branch .LBB63_521
.LBB63_2851:
	s_mov_b32 s59, -1
	s_mov_b32 s1, 0
	s_mov_b32 s0, 0
	s_mov_b32 s35, exec_lo
	v_cmpx_gt_i64_e64 v[10:11], v[12:13]
	s_cbranch_execz .LBB63_2857
; %bb.2852:
	s_delay_alu instid0(VALU_DEP_2) | instskip(SKIP_1) | instid1(VALU_DEP_1)
	v_lshlrev_b64_e32 v[4:5], 3, v[4:5]
	s_xor_b32 s59, s69, -1
                                        ; implicit-def: $sgpr58
                                        ; implicit-def: $sgpr61
                                        ; implicit-def: $sgpr60
	v_lshl_add_u64 v[6:7], v[12:13], 3, v[4:5]
	v_add_nc_u64_e32 v[8:9], s[28:29], v[4:5]
	s_delay_alu instid0(VALU_DEP_2) | instskip(NEXT) | instid1(VALU_DEP_1)
	v_add_nc_u64_e32 v[6:7], s[28:29], v[6:7]
	v_add_nc_u64_e32 v[4:5], 8, v[6:7]
	s_delay_alu instid0(VALU_DEP_3)
	v_lshl_add_u64 v[6:7], v[10:11], 3, v[8:9]
	s_branch .LBB63_2854
.LBB63_2853:                            ;   in Loop: Header=BB63_2854 Depth=1
	s_or_b32 exec_lo, exec_lo, s62
	s_delay_alu instid0(SALU_CYCLE_1) | instskip(NEXT) | instid1(SALU_CYCLE_1)
	s_and_b32 s36, exec_lo, s61
	s_or_b32 s0, s36, s0
	s_and_not1_b32 s36, s58, exec_lo
	s_and_b32 s37, s60, exec_lo
	s_delay_alu instid0(SALU_CYCLE_1)
	s_or_b32 s58, s36, s37
	s_and_not1_b32 exec_lo, exec_lo, s0
	s_cbranch_execz .LBB63_2856
.LBB63_2854:                            ; =>This Inner Loop Header: Depth=1
	s_or_b32 s60, s60, exec_lo
	s_or_b32 s61, s61, exec_lo
	s_mov_b32 s62, exec_lo
	s_delay_alu instid0(VALU_DEP_2)
	v_cmpx_lt_u64_e64 v[4:5], v[6:7]
	s_cbranch_execz .LBB63_2853
; %bb.2855:                             ;   in Loop: Header=BB63_2854 Depth=1
	global_load_b128 v[8:11], v[4:5], off offset:-8
	s_wait_xcnt 0x0
	v_add_nc_u64_e32 v[4:5], 8, v[4:5]
	s_and_not1_b32 s37, s61, exec_lo
	s_and_not1_b32 s60, s60, exec_lo
	s_wait_loadcnt 0x0
	v_cmp_ge_i64_e32 vcc_lo, v[8:9], v[10:11]
	s_or_b32 s36, s59, vcc_lo
	s_delay_alu instid0(SALU_CYCLE_1) | instskip(NEXT) | instid1(SALU_CYCLE_1)
	s_and_b32 s36, s36, exec_lo
	s_or_b32 s61, s37, s36
	s_branch .LBB63_2853
.LBB63_2856:
	s_or_b32 exec_lo, exec_lo, s0
	s_delay_alu instid0(SALU_CYCLE_1)
	s_mov_b32 s0, exec_lo
	s_or_not1_b32 s59, s58, exec_lo
.LBB63_2857:
	s_or_b32 exec_lo, exec_lo, s35
	s_mov_b32 s58, 0
	s_and_saveexec_b32 s35, s59
	s_cbranch_execz .LBB63_3462
; %bb.2858:
	s_load_b512 s[4:19], s[2:3], 0x248
	v_mov_b32_e32 v3, 0
	s_and_b32 s59, s30, 0xff
	s_delay_alu instid0(SALU_CYCLE_1) | instskip(SKIP_1) | instid1(VALU_DEP_1)
	s_cmp_lt_i32 s59, 11
	s_wait_kmcnt 0x0
	v_add_nc_u64_e32 v[2:3], s[4:5], v[2:3]
	s_cbranch_scc1 .LBB63_2865
; %bb.2859:
	s_and_b32 s60, 0xffff, s59
	s_delay_alu instid0(SALU_CYCLE_1)
	s_cmp_gt_i32 s60, 25
	s_cbranch_scc0 .LBB63_2866
; %bb.2860:
	s_cmp_gt_i32 s60, 28
	s_cbranch_scc0 .LBB63_2867
; %bb.2861:
	;; [unrolled: 3-line block ×3, first 2 shown]
	s_mov_b32 s7, s79
	s_mov_b32 s79, s53
	s_mov_b32 s4, s52
	s_mov_b32 s53, s76
	s_mov_b32 s52, s69
	s_cmp_gt_i32 s60, 45
	s_cbranch_scc0 .LBB63_3379
; %bb.2863:
	s_mov_b32 s1, 0
	s_mov_b32 s58, -1
	s_cmp_eq_u32 s60, 46
	s_mov_b32 s61, 0
	s_cbranch_scc0 .LBB63_3380
; %bb.2864:
	v_mov_b32_e32 v1, 0
	s_mov_b32 s61, -1
	s_mov_b32 s58, 0
	global_store_b32 v[2:3], v1, off
	s_branch .LBB63_3380
.LBB63_2865:
	s_mov_b32 s1, -1
	s_mov_b32 s61, 0
	s_branch .LBB63_3419
.LBB63_2866:
	s_mov_b32 s1, -1
	s_mov_b32 s61, 0
	s_branch .LBB63_3399
.LBB63_2867:
	s_mov_b32 s1, -1
	s_mov_b32 s61, 0
	s_branch .LBB63_3388
.LBB63_2868:
	s_mov_b32 s47, -1
                                        ; implicit-def: $vgpr10_vgpr11
.LBB63_2869:
	s_mov_b32 s1, 0
.LBB63_2870:
	s_delay_alu instid0(SALU_CYCLE_1)
	s_and_b32 vcc_lo, exec_lo, s1
	s_cbranch_vccz .LBB63_2874
; %bb.2871:
	s_cmp_eq_u32 s35, 29
	s_cbranch_scc0 .LBB63_2873
; %bb.2872:
	global_load_b64 v[10:11], v[14:15], off
	s_mov_b32 s58, -1
	s_mov_b32 s47, 0
	s_branch .LBB63_2874
.LBB63_2873:
	s_mov_b32 s47, -1
                                        ; implicit-def: $vgpr10_vgpr11
.LBB63_2874:
	s_mov_b32 s1, 0
.LBB63_2875:
	s_delay_alu instid0(SALU_CYCLE_1)
	s_and_b32 vcc_lo, exec_lo, s1
	s_cbranch_vccz .LBB63_2891
; %bb.2876:
	s_cmp_lt_i32 s35, 27
	s_cbranch_scc1 .LBB63_2879
; %bb.2877:
	s_cmp_gt_i32 s35, 27
	s_cbranch_scc0 .LBB63_2880
; %bb.2878:
	s_wait_loadcnt 0x0
	global_load_b32 v10, v[14:15], off
	v_mov_b32_e32 v11, 0
	s_mov_b32 s1, 0
	s_branch .LBB63_2881
.LBB63_2879:
	s_mov_b32 s1, -1
                                        ; implicit-def: $vgpr10_vgpr11
	s_branch .LBB63_2884
.LBB63_2880:
	s_mov_b32 s1, -1
                                        ; implicit-def: $vgpr10_vgpr11
.LBB63_2881:
	s_delay_alu instid0(SALU_CYCLE_1)
	s_and_not1_b32 vcc_lo, exec_lo, s1
	s_cbranch_vccnz .LBB63_2883
; %bb.2882:
	global_load_u16 v1, v[14:15], off
	s_mov_b32 s1, 0
	s_wait_loadcnt 0x1
	v_mov_b32_e32 v11, s1
	s_wait_loadcnt 0x0
	v_and_b32_e32 v10, 0xffff, v1
.LBB63_2883:
	s_mov_b32 s1, 0
.LBB63_2884:
	s_delay_alu instid0(SALU_CYCLE_1)
	s_and_not1_b32 vcc_lo, exec_lo, s1
	s_cbranch_vccnz .LBB63_2890
; %bb.2885:
	global_load_u8 v1, v[14:15], off
	s_mov_b32 s58, 0
	s_mov_b32 s1, exec_lo
	s_wait_loadcnt 0x0
	v_cmpx_lt_i16_e32 0x7f, v1
	s_xor_b32 s1, exec_lo, s1
	s_cbranch_execz .LBB63_2902
; %bb.2886:
	v_cmp_ne_u16_e32 vcc_lo, 0x80, v1
	s_and_b32 s58, vcc_lo, exec_lo
	s_and_not1_saveexec_b32 s1, s1
	s_cbranch_execnz .LBB63_2903
.LBB63_2887:
	s_or_b32 exec_lo, exec_lo, s1
	v_mov_b64_e32 v[10:11], 0
	s_and_saveexec_b32 s1, s58
	s_cbranch_execz .LBB63_2889
.LBB63_2888:
	v_and_b32_e32 v3, 0xffff, v1
	s_delay_alu instid0(VALU_DEP_1) | instskip(SKIP_1) | instid1(VALU_DEP_2)
	v_and_b32_e32 v7, 7, v3
	v_bfe_u32 v16, v3, 3, 4
	v_clz_i32_u32_e32 v10, v7
	s_delay_alu instid0(VALU_DEP_2) | instskip(NEXT) | instid1(VALU_DEP_2)
	v_cmp_eq_u32_e32 vcc_lo, 0, v16
	v_min_u32_e32 v10, 32, v10
	s_delay_alu instid0(VALU_DEP_1) | instskip(NEXT) | instid1(VALU_DEP_1)
	v_subrev_nc_u32_e32 v11, 28, v10
	v_dual_lshlrev_b32 v3, v11, v3 :: v_dual_sub_nc_u32 v10, 29, v10
	s_delay_alu instid0(VALU_DEP_1) | instskip(NEXT) | instid1(VALU_DEP_1)
	v_dual_lshlrev_b32 v1, 24, v1 :: v_dual_bitop2_b32 v3, 7, v3 bitop3:0x40
	v_dual_cndmask_b32 v10, v16, v10 :: v_dual_cndmask_b32 v3, v7, v3
	s_delay_alu instid0(VALU_DEP_2) | instskip(NEXT) | instid1(VALU_DEP_2)
	v_and_b32_e32 v1, 0x80000000, v1
	v_lshl_add_u32 v7, v10, 23, 0x3b800000
	s_delay_alu instid0(VALU_DEP_3) | instskip(NEXT) | instid1(VALU_DEP_1)
	v_lshlrev_b32_e32 v3, 20, v3
	v_or3_b32 v1, v1, v7, v3
	s_delay_alu instid0(VALU_DEP_1) | instskip(NEXT) | instid1(VALU_DEP_1)
	v_trunc_f32_e32 v1, v1
	v_mul_f32_e64 v3, 0x2f800000, |v1|
	v_ashrrev_i32_e32 v10, 31, v1
	s_delay_alu instid0(VALU_DEP_2) | instskip(NEXT) | instid1(VALU_DEP_2)
	v_floor_f32_e32 v3, v3
	v_mov_b32_e32 v11, v10
	s_delay_alu instid0(VALU_DEP_2) | instskip(SKIP_1) | instid1(VALU_DEP_2)
	v_fma_f32 v7, 0xcf800000, v3, |v1|
	v_cvt_u32_f32_e32 v1, v3
	v_cvt_u32_f32_e32 v3, v7
	s_delay_alu instid0(VALU_DEP_2) | instskip(NEXT) | instid1(VALU_DEP_2)
	v_xor_b32_e32 v17, v1, v10
	v_xor_b32_e32 v16, v3, v10
	s_delay_alu instid0(VALU_DEP_1)
	v_sub_nc_u64_e32 v[10:11], v[16:17], v[10:11]
.LBB63_2889:
	s_or_b32 exec_lo, exec_lo, s1
.LBB63_2890:
	s_mov_b32 s58, -1
.LBB63_2891:
	s_mov_b32 s1, 0
.LBB63_2892:
	s_delay_alu instid0(SALU_CYCLE_1)
	s_and_b32 vcc_lo, exec_lo, s1
	s_cbranch_vccz .LBB63_2925
; %bb.2893:
	s_cmp_gt_i32 s35, 22
	s_cbranch_scc0 .LBB63_2901
; %bb.2894:
	s_cmp_lt_i32 s35, 24
	s_cbranch_scc1 .LBB63_2904
; %bb.2895:
	s_cmp_gt_i32 s35, 24
	s_cbranch_scc0 .LBB63_2905
; %bb.2896:
	global_load_u8 v1, v[14:15], off
	s_mov_b32 s58, 0
	s_mov_b32 s1, exec_lo
	s_wait_loadcnt 0x0
	v_cmpx_lt_i16_e32 0x7f, v1
	s_xor_b32 s1, exec_lo, s1
	s_cbranch_execz .LBB63_2917
; %bb.2897:
	v_cmp_ne_u16_e32 vcc_lo, 0x80, v1
	s_and_b32 s58, vcc_lo, exec_lo
	s_and_not1_saveexec_b32 s1, s1
	s_cbranch_execnz .LBB63_2918
.LBB63_2898:
	s_or_b32 exec_lo, exec_lo, s1
	v_mov_b64_e32 v[10:11], 0
	s_and_saveexec_b32 s1, s58
	s_cbranch_execz .LBB63_2900
.LBB63_2899:
	v_and_b32_e32 v3, 0xffff, v1
	s_delay_alu instid0(VALU_DEP_1) | instskip(SKIP_1) | instid1(VALU_DEP_2)
	v_and_b32_e32 v7, 3, v3
	v_bfe_u32 v16, v3, 2, 5
	v_clz_i32_u32_e32 v10, v7
	s_delay_alu instid0(VALU_DEP_2) | instskip(NEXT) | instid1(VALU_DEP_2)
	v_cmp_eq_u32_e32 vcc_lo, 0, v16
	v_min_u32_e32 v10, 32, v10
	s_delay_alu instid0(VALU_DEP_1) | instskip(NEXT) | instid1(VALU_DEP_1)
	v_subrev_nc_u32_e32 v11, 29, v10
	v_dual_lshlrev_b32 v3, v11, v3 :: v_dual_sub_nc_u32 v10, 30, v10
	s_delay_alu instid0(VALU_DEP_1) | instskip(NEXT) | instid1(VALU_DEP_1)
	v_dual_lshlrev_b32 v1, 24, v1 :: v_dual_bitop2_b32 v3, 3, v3 bitop3:0x40
	v_dual_cndmask_b32 v10, v16, v10 :: v_dual_cndmask_b32 v3, v7, v3
	s_delay_alu instid0(VALU_DEP_2) | instskip(NEXT) | instid1(VALU_DEP_2)
	v_and_b32_e32 v1, 0x80000000, v1
	v_lshl_add_u32 v7, v10, 23, 0x37800000
	s_delay_alu instid0(VALU_DEP_3) | instskip(NEXT) | instid1(VALU_DEP_1)
	v_lshlrev_b32_e32 v3, 21, v3
	v_or3_b32 v1, v1, v7, v3
	s_delay_alu instid0(VALU_DEP_1) | instskip(NEXT) | instid1(VALU_DEP_1)
	v_trunc_f32_e32 v1, v1
	v_mul_f32_e64 v3, 0x2f800000, |v1|
	v_ashrrev_i32_e32 v10, 31, v1
	s_delay_alu instid0(VALU_DEP_2) | instskip(NEXT) | instid1(VALU_DEP_2)
	v_floor_f32_e32 v3, v3
	v_mov_b32_e32 v11, v10
	s_delay_alu instid0(VALU_DEP_2) | instskip(SKIP_1) | instid1(VALU_DEP_2)
	v_fma_f32 v7, 0xcf800000, v3, |v1|
	v_cvt_u32_f32_e32 v1, v3
	v_cvt_u32_f32_e32 v3, v7
	s_delay_alu instid0(VALU_DEP_2) | instskip(NEXT) | instid1(VALU_DEP_2)
	v_xor_b32_e32 v17, v1, v10
	v_xor_b32_e32 v16, v3, v10
	s_delay_alu instid0(VALU_DEP_1)
	v_sub_nc_u64_e32 v[10:11], v[16:17], v[10:11]
.LBB63_2900:
	s_or_b32 exec_lo, exec_lo, s1
	s_mov_b32 s1, 0
	s_branch .LBB63_2906
.LBB63_2901:
	s_mov_b32 s1, -1
                                        ; implicit-def: $vgpr10_vgpr11
	s_branch .LBB63_2912
.LBB63_2902:
	s_and_not1_saveexec_b32 s1, s1
	s_cbranch_execz .LBB63_2887
.LBB63_2903:
	v_cmp_ne_u16_e32 vcc_lo, 0, v1
	s_and_not1_b32 s36, s58, exec_lo
	s_and_b32 s37, vcc_lo, exec_lo
	s_delay_alu instid0(SALU_CYCLE_1)
	s_or_b32 s58, s36, s37
	s_or_b32 exec_lo, exec_lo, s1
	v_mov_b64_e32 v[10:11], 0
	s_and_saveexec_b32 s1, s58
	s_cbranch_execnz .LBB63_2888
	s_branch .LBB63_2889
.LBB63_2904:
	s_mov_b32 s1, -1
                                        ; implicit-def: $vgpr10_vgpr11
	s_branch .LBB63_2909
.LBB63_2905:
	s_mov_b32 s1, -1
                                        ; implicit-def: $vgpr10_vgpr11
.LBB63_2906:
	s_delay_alu instid0(SALU_CYCLE_1)
	s_and_b32 vcc_lo, exec_lo, s1
	s_cbranch_vccz .LBB63_2908
; %bb.2907:
	global_load_u8 v1, v[14:15], off
	s_wait_loadcnt 0x0
	v_lshlrev_b32_e32 v1, 24, v1
	s_delay_alu instid0(VALU_DEP_1) | instskip(NEXT) | instid1(VALU_DEP_1)
	v_and_b32_e32 v3, 0x7f000000, v1
	v_clz_i32_u32_e32 v7, v3
	v_add_nc_u32_e32 v11, 0x1000000, v3
	v_cmp_ne_u32_e32 vcc_lo, 0, v3
	s_delay_alu instid0(VALU_DEP_3) | instskip(NEXT) | instid1(VALU_DEP_1)
	v_min_u32_e32 v7, 32, v7
	v_sub_nc_u32_e64 v7, v7, 4 clamp
	s_delay_alu instid0(VALU_DEP_1) | instskip(NEXT) | instid1(VALU_DEP_1)
	v_lshlrev_b32_e32 v10, v7, v3
	v_dual_lshlrev_b32 v7, 23, v7 :: v_dual_lshrrev_b32 v10, 4, v10
	s_delay_alu instid0(VALU_DEP_1) | instskip(SKIP_1) | instid1(VALU_DEP_2)
	v_sub_nc_u32_e32 v7, v10, v7
	v_ashrrev_i32_e32 v10, 8, v11
	v_add_nc_u32_e32 v7, 0x3c000000, v7
	s_delay_alu instid0(VALU_DEP_1) | instskip(NEXT) | instid1(VALU_DEP_1)
	v_and_or_b32 v7, 0x7f800000, v10, v7
	v_cndmask_b32_e32 v3, 0, v7, vcc_lo
	s_delay_alu instid0(VALU_DEP_1) | instskip(NEXT) | instid1(VALU_DEP_1)
	v_and_or_b32 v1, 0x80000000, v1, v3
	v_trunc_f32_e32 v1, v1
	s_delay_alu instid0(VALU_DEP_1) | instskip(SKIP_1) | instid1(VALU_DEP_2)
	v_mul_f32_e64 v3, 0x2f800000, |v1|
	v_ashrrev_i32_e32 v10, 31, v1
	v_floor_f32_e32 v3, v3
	s_delay_alu instid0(VALU_DEP_2) | instskip(NEXT) | instid1(VALU_DEP_2)
	v_mov_b32_e32 v11, v10
	v_fma_f32 v7, 0xcf800000, v3, |v1|
	v_cvt_u32_f32_e32 v1, v3
	s_delay_alu instid0(VALU_DEP_2) | instskip(NEXT) | instid1(VALU_DEP_2)
	v_cvt_u32_f32_e32 v3, v7
	v_xor_b32_e32 v17, v1, v10
	s_delay_alu instid0(VALU_DEP_2) | instskip(NEXT) | instid1(VALU_DEP_1)
	v_xor_b32_e32 v16, v3, v10
	v_sub_nc_u64_e32 v[10:11], v[16:17], v[10:11]
.LBB63_2908:
	s_mov_b32 s1, 0
.LBB63_2909:
	s_delay_alu instid0(SALU_CYCLE_1)
	s_and_not1_b32 vcc_lo, exec_lo, s1
	s_cbranch_vccnz .LBB63_2911
; %bb.2910:
	global_load_u8 v1, v[14:15], off
	s_wait_loadcnt 0x0
	v_lshlrev_b32_e32 v3, 25, v1
	v_lshlrev_b16 v1, 8, v1
	s_delay_alu instid0(VALU_DEP_1) | instskip(SKIP_1) | instid1(VALU_DEP_2)
	v_and_or_b32 v10, 0x7f00, v1, 0.5
	v_bfe_i32 v1, v1, 0, 16
	v_dual_add_f32 v10, -0.5, v10 :: v_dual_lshrrev_b32 v7, 4, v3
	v_cmp_gt_u32_e32 vcc_lo, 0x8000000, v3
	s_delay_alu instid0(VALU_DEP_2) | instskip(NEXT) | instid1(VALU_DEP_1)
	v_or_b32_e32 v7, 0x70000000, v7
	v_mul_f32_e32 v7, 0x7800000, v7
	s_delay_alu instid0(VALU_DEP_1) | instskip(NEXT) | instid1(VALU_DEP_1)
	v_cndmask_b32_e32 v3, v7, v10, vcc_lo
	v_and_or_b32 v1, 0x80000000, v1, v3
	s_delay_alu instid0(VALU_DEP_1) | instskip(NEXT) | instid1(VALU_DEP_1)
	v_trunc_f32_e32 v1, v1
	v_mul_f32_e64 v3, 0x2f800000, |v1|
	v_ashrrev_i32_e32 v10, 31, v1
	s_delay_alu instid0(VALU_DEP_2) | instskip(NEXT) | instid1(VALU_DEP_2)
	v_floor_f32_e32 v3, v3
	v_mov_b32_e32 v11, v10
	s_delay_alu instid0(VALU_DEP_2) | instskip(SKIP_1) | instid1(VALU_DEP_2)
	v_fma_f32 v7, 0xcf800000, v3, |v1|
	v_cvt_u32_f32_e32 v1, v3
	v_cvt_u32_f32_e32 v3, v7
	s_delay_alu instid0(VALU_DEP_2) | instskip(NEXT) | instid1(VALU_DEP_2)
	v_xor_b32_e32 v17, v1, v10
	v_xor_b32_e32 v16, v3, v10
	s_delay_alu instid0(VALU_DEP_1)
	v_sub_nc_u64_e32 v[10:11], v[16:17], v[10:11]
.LBB63_2911:
	s_mov_b32 s1, 0
	s_mov_b32 s58, -1
.LBB63_2912:
	s_and_not1_b32 vcc_lo, exec_lo, s1
	s_cbranch_vccnz .LBB63_2925
; %bb.2913:
	s_cmp_gt_i32 s35, 14
	s_cbranch_scc0 .LBB63_2916
; %bb.2914:
	s_cmp_eq_u32 s35, 15
	s_cbranch_scc0 .LBB63_2919
; %bb.2915:
	global_load_u16 v1, v[14:15], off
	s_mov_b32 s58, -1
	s_mov_b32 s47, 0
	s_wait_loadcnt 0x0
	v_lshlrev_b32_e32 v1, 16, v1
	s_delay_alu instid0(VALU_DEP_1) | instskip(NEXT) | instid1(VALU_DEP_1)
	v_trunc_f32_e32 v1, v1
	v_mul_f32_e64 v3, 0x2f800000, |v1|
	v_ashrrev_i32_e32 v10, 31, v1
	s_delay_alu instid0(VALU_DEP_2) | instskip(NEXT) | instid1(VALU_DEP_2)
	v_floor_f32_e32 v3, v3
	v_mov_b32_e32 v11, v10
	s_delay_alu instid0(VALU_DEP_2) | instskip(SKIP_1) | instid1(VALU_DEP_2)
	v_fma_f32 v7, 0xcf800000, v3, |v1|
	v_cvt_u32_f32_e32 v1, v3
	v_cvt_u32_f32_e32 v3, v7
	s_delay_alu instid0(VALU_DEP_2) | instskip(NEXT) | instid1(VALU_DEP_2)
	v_xor_b32_e32 v17, v1, v10
	v_xor_b32_e32 v16, v3, v10
	s_delay_alu instid0(VALU_DEP_1)
	v_sub_nc_u64_e32 v[10:11], v[16:17], v[10:11]
	s_branch .LBB63_2920
.LBB63_2916:
	s_mov_b32 s1, -1
                                        ; implicit-def: $vgpr10_vgpr11
	s_branch .LBB63_2921
.LBB63_2917:
	s_and_not1_saveexec_b32 s1, s1
	s_cbranch_execz .LBB63_2898
.LBB63_2918:
	v_cmp_ne_u16_e32 vcc_lo, 0, v1
	s_and_not1_b32 s36, s58, exec_lo
	s_and_b32 s37, vcc_lo, exec_lo
	s_delay_alu instid0(SALU_CYCLE_1)
	s_or_b32 s58, s36, s37
	s_or_b32 exec_lo, exec_lo, s1
	v_mov_b64_e32 v[10:11], 0
	s_and_saveexec_b32 s1, s58
	s_cbranch_execnz .LBB63_2899
	s_branch .LBB63_2900
.LBB63_2919:
	s_mov_b32 s47, -1
                                        ; implicit-def: $vgpr10_vgpr11
.LBB63_2920:
	s_mov_b32 s1, 0
.LBB63_2921:
	s_delay_alu instid0(SALU_CYCLE_1)
	s_and_b32 vcc_lo, exec_lo, s1
	s_cbranch_vccz .LBB63_2925
; %bb.2922:
	s_cmp_eq_u32 s35, 11
	s_cbranch_scc0 .LBB63_2924
; %bb.2923:
	global_load_u8 v1, v[14:15], off
	s_mov_b32 s47, 0
	s_mov_b32 s58, -1
	s_wait_loadcnt 0x1
	v_mov_b32_e32 v11, s47
	s_wait_loadcnt 0x0
	v_cmp_ne_u16_e32 vcc_lo, 0, v1
	v_cndmask_b32_e64 v10, 0, 1, vcc_lo
	s_branch .LBB63_2925
.LBB63_2924:
	s_mov_b32 s47, -1
                                        ; implicit-def: $vgpr10_vgpr11
.LBB63_2925:
	s_mov_b32 s1, 0
.LBB63_2926:
	s_delay_alu instid0(SALU_CYCLE_1)
	s_and_b32 vcc_lo, exec_lo, s1
	s_cbranch_vccz .LBB63_2975
; %bb.2927:
	s_and_b32 s0, 0xffff, s0
	s_delay_alu instid0(SALU_CYCLE_1)
	s_cmp_lt_i32 s0, 5
	s_cbranch_scc1 .LBB63_2932
; %bb.2928:
	s_cmp_lt_i32 s0, 8
	s_cbranch_scc1 .LBB63_2933
; %bb.2929:
	;; [unrolled: 3-line block ×3, first 2 shown]
	s_cmp_gt_i32 s0, 9
	s_cbranch_scc0 .LBB63_2935
; %bb.2931:
	s_wait_loadcnt 0x0
	global_load_b64 v[10:11], v[14:15], off
	s_mov_b32 s1, 0
	s_wait_loadcnt 0x0
	v_trunc_f64_e32 v[10:11], v[10:11]
	s_delay_alu instid0(VALU_DEP_1) | instskip(NEXT) | instid1(VALU_DEP_1)
	v_ldexp_f64 v[16:17], v[10:11], 0xffffffe0
	v_floor_f64_e32 v[16:17], v[16:17]
	s_delay_alu instid0(VALU_DEP_1) | instskip(SKIP_1) | instid1(VALU_DEP_2)
	v_fmamk_f64 v[18:19], v[16:17], 0xc1f00000, v[10:11]
	v_cvt_i32_f64_e32 v11, v[16:17]
	v_cvt_u32_f64_e32 v10, v[18:19]
	s_branch .LBB63_2936
.LBB63_2932:
	s_mov_b32 s1, -1
                                        ; implicit-def: $vgpr10_vgpr11
	s_branch .LBB63_2954
.LBB63_2933:
	s_mov_b32 s1, -1
                                        ; implicit-def: $vgpr10_vgpr11
	s_branch .LBB63_2942
.LBB63_2934:
	s_mov_b32 s1, -1
                                        ; implicit-def: $vgpr10_vgpr11
	s_branch .LBB63_2939
.LBB63_2935:
	s_mov_b32 s1, -1
                                        ; implicit-def: $vgpr10_vgpr11
.LBB63_2936:
	s_delay_alu instid0(SALU_CYCLE_1)
	s_and_not1_b32 vcc_lo, exec_lo, s1
	s_cbranch_vccnz .LBB63_2938
; %bb.2937:
	global_load_b32 v1, v[14:15], off
	s_wait_loadcnt 0x0
	v_trunc_f32_e32 v1, v1
	s_delay_alu instid0(VALU_DEP_1) | instskip(SKIP_1) | instid1(VALU_DEP_2)
	v_mul_f32_e64 v3, 0x2f800000, |v1|
	v_ashrrev_i32_e32 v10, 31, v1
	v_floor_f32_e32 v3, v3
	s_delay_alu instid0(VALU_DEP_1) | instskip(SKIP_1) | instid1(VALU_DEP_4)
	v_fma_f32 v7, 0xcf800000, v3, |v1|
	v_cvt_u32_f32_e32 v1, v3
	v_mov_b32_e32 v11, v10
	s_delay_alu instid0(VALU_DEP_3) | instskip(NEXT) | instid1(VALU_DEP_3)
	v_cvt_u32_f32_e32 v3, v7
	v_xor_b32_e32 v17, v1, v10
	s_delay_alu instid0(VALU_DEP_2) | instskip(NEXT) | instid1(VALU_DEP_1)
	v_xor_b32_e32 v16, v3, v10
	v_sub_nc_u64_e32 v[10:11], v[16:17], v[10:11]
.LBB63_2938:
	s_mov_b32 s1, 0
.LBB63_2939:
	s_delay_alu instid0(SALU_CYCLE_1)
	s_and_not1_b32 vcc_lo, exec_lo, s1
	s_cbranch_vccnz .LBB63_2941
; %bb.2940:
	global_load_b32 v1, v[14:15], off
	s_wait_loadcnt 0x0
	v_cvt_f32_f16_e32 v1, v1
	s_delay_alu instid0(VALU_DEP_1) | instskip(NEXT) | instid1(VALU_DEP_1)
	v_cvt_i32_f32_e32 v10, v1
	v_ashrrev_i32_e32 v11, 31, v10
.LBB63_2941:
	s_mov_b32 s1, 0
.LBB63_2942:
	s_delay_alu instid0(SALU_CYCLE_1)
	s_and_not1_b32 vcc_lo, exec_lo, s1
	s_cbranch_vccnz .LBB63_2953
; %bb.2943:
	s_cmp_lt_i32 s0, 6
	s_cbranch_scc1 .LBB63_2946
; %bb.2944:
	s_cmp_gt_i32 s0, 6
	s_cbranch_scc0 .LBB63_2947
; %bb.2945:
	s_wait_loadcnt 0x0
	global_load_b64 v[10:11], v[14:15], off
	s_mov_b32 s1, 0
	s_wait_loadcnt 0x0
	v_trunc_f64_e32 v[10:11], v[10:11]
	s_delay_alu instid0(VALU_DEP_1) | instskip(NEXT) | instid1(VALU_DEP_1)
	v_ldexp_f64 v[16:17], v[10:11], 0xffffffe0
	v_floor_f64_e32 v[16:17], v[16:17]
	s_delay_alu instid0(VALU_DEP_1) | instskip(SKIP_1) | instid1(VALU_DEP_2)
	v_fmamk_f64 v[18:19], v[16:17], 0xc1f00000, v[10:11]
	v_cvt_i32_f64_e32 v11, v[16:17]
	v_cvt_u32_f64_e32 v10, v[18:19]
	s_branch .LBB63_2948
.LBB63_2946:
	s_mov_b32 s1, -1
                                        ; implicit-def: $vgpr10_vgpr11
	s_branch .LBB63_2951
.LBB63_2947:
	s_mov_b32 s1, -1
                                        ; implicit-def: $vgpr10_vgpr11
.LBB63_2948:
	s_delay_alu instid0(SALU_CYCLE_1)
	s_and_not1_b32 vcc_lo, exec_lo, s1
	s_cbranch_vccnz .LBB63_2950
; %bb.2949:
	global_load_b32 v1, v[14:15], off
	s_wait_loadcnt 0x0
	v_trunc_f32_e32 v1, v1
	s_delay_alu instid0(VALU_DEP_1) | instskip(SKIP_1) | instid1(VALU_DEP_2)
	v_mul_f32_e64 v3, 0x2f800000, |v1|
	v_ashrrev_i32_e32 v10, 31, v1
	v_floor_f32_e32 v3, v3
	s_delay_alu instid0(VALU_DEP_1) | instskip(SKIP_1) | instid1(VALU_DEP_4)
	v_fma_f32 v7, 0xcf800000, v3, |v1|
	v_cvt_u32_f32_e32 v1, v3
	v_mov_b32_e32 v11, v10
	s_delay_alu instid0(VALU_DEP_3) | instskip(NEXT) | instid1(VALU_DEP_3)
	v_cvt_u32_f32_e32 v3, v7
	v_xor_b32_e32 v17, v1, v10
	s_delay_alu instid0(VALU_DEP_2) | instskip(NEXT) | instid1(VALU_DEP_1)
	v_xor_b32_e32 v16, v3, v10
	v_sub_nc_u64_e32 v[10:11], v[16:17], v[10:11]
.LBB63_2950:
	s_mov_b32 s1, 0
.LBB63_2951:
	s_delay_alu instid0(SALU_CYCLE_1)
	s_and_not1_b32 vcc_lo, exec_lo, s1
	s_cbranch_vccnz .LBB63_2953
; %bb.2952:
	global_load_u16 v1, v[14:15], off
	s_wait_loadcnt 0x0
	v_cvt_f32_f16_e32 v1, v1
	s_delay_alu instid0(VALU_DEP_1) | instskip(NEXT) | instid1(VALU_DEP_1)
	v_cvt_i32_f32_e32 v10, v1
	v_ashrrev_i32_e32 v11, 31, v10
.LBB63_2953:
	s_mov_b32 s1, 0
.LBB63_2954:
	s_delay_alu instid0(SALU_CYCLE_1)
	s_and_not1_b32 vcc_lo, exec_lo, s1
	s_cbranch_vccnz .LBB63_2974
; %bb.2955:
	s_cmp_lt_i32 s0, 2
	s_cbranch_scc1 .LBB63_2959
; %bb.2956:
	s_cmp_lt_i32 s0, 3
	s_cbranch_scc1 .LBB63_2960
; %bb.2957:
	s_cmp_gt_i32 s0, 3
	s_cbranch_scc0 .LBB63_2961
; %bb.2958:
	s_wait_loadcnt 0x0
	global_load_b64 v[10:11], v[14:15], off
	s_mov_b32 s1, 0
	s_branch .LBB63_2962
.LBB63_2959:
	s_mov_b32 s1, -1
                                        ; implicit-def: $vgpr10_vgpr11
	s_branch .LBB63_2968
.LBB63_2960:
	s_mov_b32 s1, -1
                                        ; implicit-def: $vgpr10_vgpr11
	s_branch .LBB63_2965
.LBB63_2961:
	s_mov_b32 s1, -1
                                        ; implicit-def: $vgpr10_vgpr11
.LBB63_2962:
	s_delay_alu instid0(SALU_CYCLE_1)
	s_and_not1_b32 vcc_lo, exec_lo, s1
	s_cbranch_vccnz .LBB63_2964
; %bb.2963:
	s_wait_loadcnt 0x0
	global_load_b32 v10, v[14:15], off
	s_wait_loadcnt 0x0
	v_ashrrev_i32_e32 v11, 31, v10
.LBB63_2964:
	s_mov_b32 s1, 0
.LBB63_2965:
	s_delay_alu instid0(SALU_CYCLE_1)
	s_and_not1_b32 vcc_lo, exec_lo, s1
	s_cbranch_vccnz .LBB63_2967
; %bb.2966:
	global_load_u16 v1, v[14:15], off
	s_wait_loadcnt 0x0
	v_bfe_i32 v10, v1, 0, 16
	s_delay_alu instid0(VALU_DEP_1)
	v_ashrrev_i32_e32 v11, 31, v10
.LBB63_2967:
	s_mov_b32 s1, 0
.LBB63_2968:
	s_delay_alu instid0(SALU_CYCLE_1)
	s_and_not1_b32 vcc_lo, exec_lo, s1
	s_cbranch_vccnz .LBB63_2974
; %bb.2969:
	s_cmp_gt_i32 s0, 0
	s_mov_b32 s0, 0
	s_cbranch_scc0 .LBB63_2971
; %bb.2970:
	global_load_i8 v1, v[14:15], off
	s_wait_loadcnt 0x0
	v_bfe_i32 v10, v1, 0, 16
	s_delay_alu instid0(VALU_DEP_1)
	v_ashrrev_i32_e32 v11, 31, v10
	s_branch .LBB63_2972
.LBB63_2971:
	s_mov_b32 s0, -1
                                        ; implicit-def: $vgpr10_vgpr11
.LBB63_2972:
	s_delay_alu instid0(SALU_CYCLE_1)
	s_and_not1_b32 vcc_lo, exec_lo, s0
	s_cbranch_vccnz .LBB63_2974
; %bb.2973:
	global_load_u8 v1, v[14:15], off
	s_mov_b32 s0, 0
	s_wait_loadcnt 0x1
	v_mov_b32_e32 v11, s0
	s_wait_loadcnt 0x0
	v_and_b32_e32 v10, 0xffff, v1
.LBB63_2974:
	s_mov_b32 s58, -1
.LBB63_2975:
	s_delay_alu instid0(SALU_CYCLE_1)
	s_and_not1_b32 vcc_lo, exec_lo, s58
	s_cbranch_vccnz .LBB63_2983
; %bb.2976:
	s_load_b512 s[4:19], s[2:3], 0x248
	v_mov_b32_e32 v7, 0
	s_and_b32 s0, s53, 0xff
	s_delay_alu instid0(SALU_CYCLE_1) | instskip(SKIP_1) | instid1(VALU_DEP_1)
	s_cmp_lt_i32 s0, 11
	s_wait_kmcnt 0x0
	v_add_nc_u64_e32 v[6:7], s[14:15], v[6:7]
	s_cbranch_scc1 .LBB63_2984
; %bb.2977:
	s_and_b32 s35, 0xffff, s0
	s_delay_alu instid0(SALU_CYCLE_1)
	s_cmp_gt_i32 s35, 25
	s_cbranch_scc0 .LBB63_2985
; %bb.2978:
	s_cmp_gt_i32 s35, 28
	s_cbranch_scc0 .LBB63_2986
; %bb.2979:
	;; [unrolled: 3-line block ×4, first 2 shown]
	s_cmp_eq_u32 s35, 46
	s_mov_b32 s1, 0
	s_cbranch_scc0 .LBB63_3112
; %bb.2982:
	global_load_b32 v1, v[6:7], off
	s_mov_b32 s58, -1
	s_mov_b32 s94, 0
	s_wait_loadcnt 0x0
	v_lshlrev_b32_e32 v1, 16, v1
	s_delay_alu instid0(VALU_DEP_1) | instskip(NEXT) | instid1(VALU_DEP_1)
	v_trunc_f32_e32 v1, v1
	v_mul_f32_e64 v3, 0x2f800000, |v1|
	v_ashrrev_i32_e32 v14, 31, v1
	s_delay_alu instid0(VALU_DEP_2) | instskip(NEXT) | instid1(VALU_DEP_1)
	v_floor_f32_e32 v3, v3
	v_fma_f32 v15, 0xcf800000, v3, |v1|
	v_cvt_u32_f32_e32 v1, v3
	s_delay_alu instid0(VALU_DEP_2) | instskip(NEXT) | instid1(VALU_DEP_2)
	v_cvt_u32_f32_e32 v3, v15
	v_dual_mov_b32 v15, v14 :: v_dual_bitop2_b32 v17, v1, v14 bitop3:0x14
	s_delay_alu instid0(VALU_DEP_2) | instskip(NEXT) | instid1(VALU_DEP_1)
	v_xor_b32_e32 v16, v3, v14
	v_sub_nc_u64_e32 v[14:15], v[16:17], v[14:15]
	s_branch .LBB63_3114
.LBB63_2983:
	s_mov_b32 s0, 0
	s_mov_b32 s1, s70
	;; [unrolled: 1-line block ×7, first 2 shown]
	s_branch .LBB63_679
.LBB63_2984:
	s_mov_b32 s1, -1
	s_mov_b32 s58, 0
	s_mov_b32 s94, s88
                                        ; implicit-def: $vgpr14_vgpr15
	s_branch .LBB63_3180
.LBB63_2985:
	s_mov_b32 s1, -1
	s_mov_b32 s58, 0
	s_mov_b32 s94, s88
                                        ; implicit-def: $vgpr14_vgpr15
	s_branch .LBB63_3146
.LBB63_2986:
	s_mov_b32 s1, -1
	s_mov_b32 s58, 0
	s_mov_b32 s94, s88
                                        ; implicit-def: $vgpr14_vgpr15
	s_branch .LBB63_3129
.LBB63_2987:
	s_mov_b32 s1, -1
	s_mov_b32 s58, 0
	s_mov_b32 s94, s88
                                        ; implicit-def: $vgpr14_vgpr15
	s_branch .LBB63_3124
.LBB63_2988:
	s_mov_b32 s47, -1
                                        ; implicit-def: $vgpr12_vgpr13
.LBB63_2989:
	s_mov_b32 s1, 0
.LBB63_2990:
	s_delay_alu instid0(SALU_CYCLE_1)
	s_and_b32 vcc_lo, exec_lo, s1
	s_cbranch_vccz .LBB63_2994
; %bb.2991:
	s_cmp_eq_u32 s35, 29
	s_cbranch_scc0 .LBB63_2993
; %bb.2992:
	global_load_b64 v[12:13], v[14:15], off
	s_mov_b32 s45, -1
	s_mov_b32 s47, 0
	s_branch .LBB63_2994
.LBB63_2993:
	s_mov_b32 s47, -1
                                        ; implicit-def: $vgpr12_vgpr13
.LBB63_2994:
	s_mov_b32 s1, 0
.LBB63_2995:
	s_delay_alu instid0(SALU_CYCLE_1)
	s_and_b32 vcc_lo, exec_lo, s1
	s_cbranch_vccz .LBB63_3011
; %bb.2996:
	s_cmp_lt_i32 s35, 27
	s_cbranch_scc1 .LBB63_2999
; %bb.2997:
	s_cmp_gt_i32 s35, 27
	s_cbranch_scc0 .LBB63_3000
; %bb.2998:
	s_wait_loadcnt 0x0
	global_load_b32 v12, v[14:15], off
	v_mov_b32_e32 v13, 0
	s_mov_b32 s1, 0
	s_branch .LBB63_3001
.LBB63_2999:
	s_mov_b32 s1, -1
                                        ; implicit-def: $vgpr12_vgpr13
	s_branch .LBB63_3004
.LBB63_3000:
	s_mov_b32 s1, -1
                                        ; implicit-def: $vgpr12_vgpr13
.LBB63_3001:
	s_delay_alu instid0(SALU_CYCLE_1)
	s_and_not1_b32 vcc_lo, exec_lo, s1
	s_cbranch_vccnz .LBB63_3003
; %bb.3002:
	global_load_u16 v1, v[14:15], off
	s_mov_b32 s1, 0
	s_wait_loadcnt 0x1
	v_mov_b32_e32 v13, s1
	s_wait_loadcnt 0x0
	v_and_b32_e32 v12, 0xffff, v1
.LBB63_3003:
	s_mov_b32 s1, 0
.LBB63_3004:
	s_delay_alu instid0(SALU_CYCLE_1)
	s_and_not1_b32 vcc_lo, exec_lo, s1
	s_cbranch_vccnz .LBB63_3010
; %bb.3005:
	global_load_u8 v1, v[14:15], off
	s_mov_b32 s45, 0
	s_mov_b32 s1, exec_lo
	s_wait_loadcnt 0x0
	v_cmpx_lt_i16_e32 0x7f, v1
	s_xor_b32 s1, exec_lo, s1
	s_cbranch_execz .LBB63_3022
; %bb.3006:
	v_cmp_ne_u16_e32 vcc_lo, 0x80, v1
	s_and_b32 s45, vcc_lo, exec_lo
	s_and_not1_saveexec_b32 s1, s1
	s_cbranch_execnz .LBB63_3023
.LBB63_3007:
	s_or_b32 exec_lo, exec_lo, s1
	v_mov_b64_e32 v[12:13], 0
	s_and_saveexec_b32 s1, s45
	s_cbranch_execz .LBB63_3009
.LBB63_3008:
	v_and_b32_e32 v3, 0xffff, v1
	s_delay_alu instid0(VALU_DEP_1) | instskip(SKIP_1) | instid1(VALU_DEP_2)
	v_dual_lshlrev_b32 v1, 24, v1 :: v_dual_bitop2_b32 v7, 7, v3 bitop3:0x40
	v_bfe_u32 v13, v3, 3, 4
	v_and_b32_e32 v1, 0x80000000, v1
	s_delay_alu instid0(VALU_DEP_3) | instskip(NEXT) | instid1(VALU_DEP_3)
	v_clz_i32_u32_e32 v11, v7
	v_cmp_eq_u32_e32 vcc_lo, 0, v13
	s_delay_alu instid0(VALU_DEP_2) | instskip(NEXT) | instid1(VALU_DEP_1)
	v_min_u32_e32 v11, 32, v11
	v_subrev_nc_u32_e32 v12, 28, v11
	v_sub_nc_u32_e32 v11, 29, v11
	s_delay_alu instid0(VALU_DEP_2) | instskip(NEXT) | instid1(VALU_DEP_2)
	v_lshlrev_b32_e32 v3, v12, v3
	v_cndmask_b32_e32 v11, v13, v11, vcc_lo
	s_delay_alu instid0(VALU_DEP_2) | instskip(NEXT) | instid1(VALU_DEP_1)
	v_and_b32_e32 v3, 7, v3
	v_cndmask_b32_e32 v3, v7, v3, vcc_lo
	s_delay_alu instid0(VALU_DEP_3) | instskip(NEXT) | instid1(VALU_DEP_2)
	v_lshl_add_u32 v7, v11, 23, 0x3b800000
	v_lshlrev_b32_e32 v3, 20, v3
	s_delay_alu instid0(VALU_DEP_1) | instskip(NEXT) | instid1(VALU_DEP_1)
	v_or3_b32 v1, v1, v7, v3
	v_trunc_f32_e32 v1, v1
	s_delay_alu instid0(VALU_DEP_1) | instskip(SKIP_1) | instid1(VALU_DEP_2)
	v_mul_f32_e64 v3, 0x2f800000, |v1|
	v_ashrrev_i32_e32 v12, 31, v1
	v_floor_f32_e32 v3, v3
	s_delay_alu instid0(VALU_DEP_2) | instskip(NEXT) | instid1(VALU_DEP_2)
	v_mov_b32_e32 v13, v12
	v_fma_f32 v7, 0xcf800000, v3, |v1|
	v_cvt_u32_f32_e32 v1, v3
	s_delay_alu instid0(VALU_DEP_2) | instskip(NEXT) | instid1(VALU_DEP_2)
	v_cvt_u32_f32_e32 v3, v7
	v_xor_b32_e32 v17, v1, v12
	s_delay_alu instid0(VALU_DEP_2) | instskip(NEXT) | instid1(VALU_DEP_1)
	v_xor_b32_e32 v16, v3, v12
	v_sub_nc_u64_e32 v[12:13], v[16:17], v[12:13]
.LBB63_3009:
	s_or_b32 exec_lo, exec_lo, s1
.LBB63_3010:
	s_mov_b32 s45, -1
.LBB63_3011:
	s_mov_b32 s1, 0
.LBB63_3012:
	s_delay_alu instid0(SALU_CYCLE_1)
	s_and_b32 vcc_lo, exec_lo, s1
	s_cbranch_vccz .LBB63_3045
; %bb.3013:
	s_cmp_gt_i32 s35, 22
	s_cbranch_scc0 .LBB63_3021
; %bb.3014:
	s_cmp_lt_i32 s35, 24
	s_cbranch_scc1 .LBB63_3024
; %bb.3015:
	s_cmp_gt_i32 s35, 24
	s_cbranch_scc0 .LBB63_3025
; %bb.3016:
	global_load_u8 v1, v[14:15], off
	s_mov_b32 s45, 0
	s_mov_b32 s1, exec_lo
	s_wait_loadcnt 0x0
	v_cmpx_lt_i16_e32 0x7f, v1
	s_xor_b32 s1, exec_lo, s1
	s_cbranch_execz .LBB63_3037
; %bb.3017:
	v_cmp_ne_u16_e32 vcc_lo, 0x80, v1
	s_and_b32 s45, vcc_lo, exec_lo
	s_and_not1_saveexec_b32 s1, s1
	s_cbranch_execnz .LBB63_3038
.LBB63_3018:
	s_or_b32 exec_lo, exec_lo, s1
	v_mov_b64_e32 v[12:13], 0
	s_and_saveexec_b32 s1, s45
	s_cbranch_execz .LBB63_3020
.LBB63_3019:
	v_and_b32_e32 v3, 0xffff, v1
	s_delay_alu instid0(VALU_DEP_1) | instskip(SKIP_1) | instid1(VALU_DEP_2)
	v_dual_lshlrev_b32 v1, 24, v1 :: v_dual_bitop2_b32 v7, 3, v3 bitop3:0x40
	v_bfe_u32 v13, v3, 2, 5
	v_and_b32_e32 v1, 0x80000000, v1
	s_delay_alu instid0(VALU_DEP_3) | instskip(NEXT) | instid1(VALU_DEP_3)
	v_clz_i32_u32_e32 v11, v7
	v_cmp_eq_u32_e32 vcc_lo, 0, v13
	s_delay_alu instid0(VALU_DEP_2) | instskip(NEXT) | instid1(VALU_DEP_1)
	v_min_u32_e32 v11, 32, v11
	v_subrev_nc_u32_e32 v12, 29, v11
	v_sub_nc_u32_e32 v11, 30, v11
	s_delay_alu instid0(VALU_DEP_2) | instskip(NEXT) | instid1(VALU_DEP_2)
	v_lshlrev_b32_e32 v3, v12, v3
	v_cndmask_b32_e32 v11, v13, v11, vcc_lo
	s_delay_alu instid0(VALU_DEP_2) | instskip(NEXT) | instid1(VALU_DEP_1)
	v_and_b32_e32 v3, 3, v3
	v_cndmask_b32_e32 v3, v7, v3, vcc_lo
	s_delay_alu instid0(VALU_DEP_3) | instskip(NEXT) | instid1(VALU_DEP_2)
	v_lshl_add_u32 v7, v11, 23, 0x37800000
	v_lshlrev_b32_e32 v3, 21, v3
	s_delay_alu instid0(VALU_DEP_1) | instskip(NEXT) | instid1(VALU_DEP_1)
	v_or3_b32 v1, v1, v7, v3
	v_trunc_f32_e32 v1, v1
	s_delay_alu instid0(VALU_DEP_1) | instskip(SKIP_1) | instid1(VALU_DEP_2)
	v_mul_f32_e64 v3, 0x2f800000, |v1|
	v_ashrrev_i32_e32 v12, 31, v1
	v_floor_f32_e32 v3, v3
	s_delay_alu instid0(VALU_DEP_2) | instskip(NEXT) | instid1(VALU_DEP_2)
	v_mov_b32_e32 v13, v12
	v_fma_f32 v7, 0xcf800000, v3, |v1|
	v_cvt_u32_f32_e32 v1, v3
	s_delay_alu instid0(VALU_DEP_2) | instskip(NEXT) | instid1(VALU_DEP_2)
	v_cvt_u32_f32_e32 v3, v7
	v_xor_b32_e32 v17, v1, v12
	s_delay_alu instid0(VALU_DEP_2) | instskip(NEXT) | instid1(VALU_DEP_1)
	v_xor_b32_e32 v16, v3, v12
	v_sub_nc_u64_e32 v[12:13], v[16:17], v[12:13]
.LBB63_3020:
	s_or_b32 exec_lo, exec_lo, s1
	s_mov_b32 s1, 0
	s_branch .LBB63_3026
.LBB63_3021:
	s_mov_b32 s1, -1
                                        ; implicit-def: $vgpr12_vgpr13
	s_branch .LBB63_3032
.LBB63_3022:
	s_and_not1_saveexec_b32 s1, s1
	s_cbranch_execz .LBB63_3007
.LBB63_3023:
	v_cmp_ne_u16_e32 vcc_lo, 0, v1
	s_and_not1_b32 s36, s45, exec_lo
	s_and_b32 s37, vcc_lo, exec_lo
	s_delay_alu instid0(SALU_CYCLE_1)
	s_or_b32 s45, s36, s37
	s_or_b32 exec_lo, exec_lo, s1
	v_mov_b64_e32 v[12:13], 0
	s_and_saveexec_b32 s1, s45
	s_cbranch_execnz .LBB63_3008
	s_branch .LBB63_3009
.LBB63_3024:
	s_mov_b32 s1, -1
                                        ; implicit-def: $vgpr12_vgpr13
	s_branch .LBB63_3029
.LBB63_3025:
	s_mov_b32 s1, -1
                                        ; implicit-def: $vgpr12_vgpr13
.LBB63_3026:
	s_delay_alu instid0(SALU_CYCLE_1)
	s_and_b32 vcc_lo, exec_lo, s1
	s_cbranch_vccz .LBB63_3028
; %bb.3027:
	global_load_u8 v1, v[14:15], off
	s_wait_loadcnt 0x0
	v_lshlrev_b32_e32 v1, 24, v1
	s_delay_alu instid0(VALU_DEP_1) | instskip(NEXT) | instid1(VALU_DEP_1)
	v_and_b32_e32 v3, 0x7f000000, v1
	v_clz_i32_u32_e32 v7, v3
	v_add_nc_u32_e32 v12, 0x1000000, v3
	v_cmp_ne_u32_e32 vcc_lo, 0, v3
	s_delay_alu instid0(VALU_DEP_3) | instskip(NEXT) | instid1(VALU_DEP_1)
	v_min_u32_e32 v7, 32, v7
	v_sub_nc_u32_e64 v7, v7, 4 clamp
	s_delay_alu instid0(VALU_DEP_1) | instskip(SKIP_1) | instid1(VALU_DEP_2)
	v_lshlrev_b32_e32 v11, v7, v3
	v_lshlrev_b32_e32 v7, 23, v7
	v_lshrrev_b32_e32 v11, 4, v11
	s_delay_alu instid0(VALU_DEP_1) | instskip(NEXT) | instid1(VALU_DEP_1)
	v_dual_sub_nc_u32 v7, v11, v7 :: v_dual_ashrrev_i32 v11, 8, v12
	v_add_nc_u32_e32 v7, 0x3c000000, v7
	s_delay_alu instid0(VALU_DEP_1) | instskip(NEXT) | instid1(VALU_DEP_1)
	v_and_or_b32 v7, 0x7f800000, v11, v7
	v_cndmask_b32_e32 v3, 0, v7, vcc_lo
	s_delay_alu instid0(VALU_DEP_1) | instskip(NEXT) | instid1(VALU_DEP_1)
	v_and_or_b32 v1, 0x80000000, v1, v3
	v_trunc_f32_e32 v1, v1
	s_delay_alu instid0(VALU_DEP_1) | instskip(SKIP_1) | instid1(VALU_DEP_2)
	v_mul_f32_e64 v3, 0x2f800000, |v1|
	v_ashrrev_i32_e32 v12, 31, v1
	v_floor_f32_e32 v3, v3
	s_delay_alu instid0(VALU_DEP_2) | instskip(NEXT) | instid1(VALU_DEP_2)
	v_mov_b32_e32 v13, v12
	v_fma_f32 v7, 0xcf800000, v3, |v1|
	v_cvt_u32_f32_e32 v1, v3
	s_delay_alu instid0(VALU_DEP_2) | instskip(NEXT) | instid1(VALU_DEP_2)
	v_cvt_u32_f32_e32 v3, v7
	v_xor_b32_e32 v17, v1, v12
	s_delay_alu instid0(VALU_DEP_2) | instskip(NEXT) | instid1(VALU_DEP_1)
	v_xor_b32_e32 v16, v3, v12
	v_sub_nc_u64_e32 v[12:13], v[16:17], v[12:13]
.LBB63_3028:
	s_mov_b32 s1, 0
.LBB63_3029:
	s_delay_alu instid0(SALU_CYCLE_1)
	s_and_not1_b32 vcc_lo, exec_lo, s1
	s_cbranch_vccnz .LBB63_3031
; %bb.3030:
	global_load_u8 v1, v[14:15], off
	s_wait_loadcnt 0x0
	v_lshlrev_b32_e32 v3, 25, v1
	v_lshlrev_b16 v1, 8, v1
	s_delay_alu instid0(VALU_DEP_1) | instskip(SKIP_1) | instid1(VALU_DEP_2)
	v_and_or_b32 v11, 0x7f00, v1, 0.5
	v_bfe_i32 v1, v1, 0, 16
	v_add_f32_e32 v11, -0.5, v11
	v_lshrrev_b32_e32 v7, 4, v3
	v_cmp_gt_u32_e32 vcc_lo, 0x8000000, v3
	s_delay_alu instid0(VALU_DEP_2) | instskip(NEXT) | instid1(VALU_DEP_1)
	v_or_b32_e32 v7, 0x70000000, v7
	v_mul_f32_e32 v7, 0x7800000, v7
	s_delay_alu instid0(VALU_DEP_1) | instskip(NEXT) | instid1(VALU_DEP_1)
	v_cndmask_b32_e32 v3, v7, v11, vcc_lo
	v_and_or_b32 v1, 0x80000000, v1, v3
	s_delay_alu instid0(VALU_DEP_1) | instskip(NEXT) | instid1(VALU_DEP_1)
	v_trunc_f32_e32 v1, v1
	v_mul_f32_e64 v3, 0x2f800000, |v1|
	v_ashrrev_i32_e32 v12, 31, v1
	s_delay_alu instid0(VALU_DEP_2) | instskip(NEXT) | instid1(VALU_DEP_2)
	v_floor_f32_e32 v3, v3
	v_mov_b32_e32 v13, v12
	s_delay_alu instid0(VALU_DEP_2) | instskip(SKIP_1) | instid1(VALU_DEP_2)
	v_fma_f32 v7, 0xcf800000, v3, |v1|
	v_cvt_u32_f32_e32 v1, v3
	v_cvt_u32_f32_e32 v3, v7
	s_delay_alu instid0(VALU_DEP_2) | instskip(NEXT) | instid1(VALU_DEP_2)
	v_xor_b32_e32 v17, v1, v12
	v_xor_b32_e32 v16, v3, v12
	s_delay_alu instid0(VALU_DEP_1)
	v_sub_nc_u64_e32 v[12:13], v[16:17], v[12:13]
.LBB63_3031:
	s_mov_b32 s1, 0
	s_mov_b32 s45, -1
.LBB63_3032:
	s_and_not1_b32 vcc_lo, exec_lo, s1
	s_cbranch_vccnz .LBB63_3045
; %bb.3033:
	s_cmp_gt_i32 s35, 14
	s_cbranch_scc0 .LBB63_3036
; %bb.3034:
	s_cmp_eq_u32 s35, 15
	s_cbranch_scc0 .LBB63_3039
; %bb.3035:
	global_load_u16 v1, v[14:15], off
	s_mov_b32 s45, -1
	s_mov_b32 s47, 0
	s_wait_loadcnt 0x0
	v_lshlrev_b32_e32 v1, 16, v1
	s_delay_alu instid0(VALU_DEP_1) | instskip(NEXT) | instid1(VALU_DEP_1)
	v_trunc_f32_e32 v1, v1
	v_mul_f32_e64 v3, 0x2f800000, |v1|
	v_ashrrev_i32_e32 v12, 31, v1
	s_delay_alu instid0(VALU_DEP_2) | instskip(NEXT) | instid1(VALU_DEP_2)
	v_floor_f32_e32 v3, v3
	v_mov_b32_e32 v13, v12
	s_delay_alu instid0(VALU_DEP_2) | instskip(SKIP_1) | instid1(VALU_DEP_2)
	v_fma_f32 v7, 0xcf800000, v3, |v1|
	v_cvt_u32_f32_e32 v1, v3
	v_cvt_u32_f32_e32 v3, v7
	s_delay_alu instid0(VALU_DEP_2) | instskip(NEXT) | instid1(VALU_DEP_2)
	v_xor_b32_e32 v17, v1, v12
	v_xor_b32_e32 v16, v3, v12
	s_delay_alu instid0(VALU_DEP_1)
	v_sub_nc_u64_e32 v[12:13], v[16:17], v[12:13]
	s_branch .LBB63_3040
.LBB63_3036:
	s_mov_b32 s1, -1
                                        ; implicit-def: $vgpr12_vgpr13
	s_branch .LBB63_3041
.LBB63_3037:
	s_and_not1_saveexec_b32 s1, s1
	s_cbranch_execz .LBB63_3018
.LBB63_3038:
	v_cmp_ne_u16_e32 vcc_lo, 0, v1
	s_and_not1_b32 s36, s45, exec_lo
	s_and_b32 s37, vcc_lo, exec_lo
	s_delay_alu instid0(SALU_CYCLE_1)
	s_or_b32 s45, s36, s37
	s_or_b32 exec_lo, exec_lo, s1
	v_mov_b64_e32 v[12:13], 0
	s_and_saveexec_b32 s1, s45
	s_cbranch_execnz .LBB63_3019
	s_branch .LBB63_3020
.LBB63_3039:
	s_mov_b32 s47, -1
                                        ; implicit-def: $vgpr12_vgpr13
.LBB63_3040:
	s_mov_b32 s1, 0
.LBB63_3041:
	s_delay_alu instid0(SALU_CYCLE_1)
	s_and_b32 vcc_lo, exec_lo, s1
	s_cbranch_vccz .LBB63_3045
; %bb.3042:
	s_cmp_eq_u32 s35, 11
	s_cbranch_scc0 .LBB63_3044
; %bb.3043:
	global_load_u8 v1, v[14:15], off
	s_mov_b32 s47, 0
	s_mov_b32 s45, -1
	s_wait_loadcnt 0x1
	v_mov_b32_e32 v13, s47
	s_wait_loadcnt 0x0
	v_cmp_ne_u16_e32 vcc_lo, 0, v1
	v_cndmask_b32_e64 v12, 0, 1, vcc_lo
	s_branch .LBB63_3045
.LBB63_3044:
	s_mov_b32 s47, -1
                                        ; implicit-def: $vgpr12_vgpr13
.LBB63_3045:
	s_mov_b32 s1, 0
.LBB63_3046:
	s_delay_alu instid0(SALU_CYCLE_1)
	s_and_b32 vcc_lo, exec_lo, s1
	s_cbranch_vccz .LBB63_3095
; %bb.3047:
	s_and_b32 s0, 0xffff, s0
	s_delay_alu instid0(SALU_CYCLE_1)
	s_cmp_lt_i32 s0, 5
	s_cbranch_scc1 .LBB63_3052
; %bb.3048:
	s_cmp_lt_i32 s0, 8
	s_cbranch_scc1 .LBB63_3053
; %bb.3049:
	;; [unrolled: 3-line block ×3, first 2 shown]
	s_cmp_gt_i32 s0, 9
	s_cbranch_scc0 .LBB63_3055
; %bb.3051:
	s_wait_loadcnt 0x0
	global_load_b64 v[12:13], v[14:15], off
	s_mov_b32 s1, 0
	s_wait_loadcnt 0x0
	v_trunc_f64_e32 v[12:13], v[12:13]
	s_delay_alu instid0(VALU_DEP_1) | instskip(NEXT) | instid1(VALU_DEP_1)
	v_ldexp_f64 v[16:17], v[12:13], 0xffffffe0
	v_floor_f64_e32 v[16:17], v[16:17]
	s_delay_alu instid0(VALU_DEP_1) | instskip(SKIP_1) | instid1(VALU_DEP_2)
	v_fmamk_f64 v[18:19], v[16:17], 0xc1f00000, v[12:13]
	v_cvt_i32_f64_e32 v13, v[16:17]
	v_cvt_u32_f64_e32 v12, v[18:19]
	s_branch .LBB63_3056
.LBB63_3052:
	s_mov_b32 s1, -1
                                        ; implicit-def: $vgpr12_vgpr13
	s_branch .LBB63_3074
.LBB63_3053:
	s_mov_b32 s1, -1
                                        ; implicit-def: $vgpr12_vgpr13
	s_branch .LBB63_3062
.LBB63_3054:
	s_mov_b32 s1, -1
                                        ; implicit-def: $vgpr12_vgpr13
	s_branch .LBB63_3059
.LBB63_3055:
	s_mov_b32 s1, -1
                                        ; implicit-def: $vgpr12_vgpr13
.LBB63_3056:
	s_delay_alu instid0(SALU_CYCLE_1)
	s_and_not1_b32 vcc_lo, exec_lo, s1
	s_cbranch_vccnz .LBB63_3058
; %bb.3057:
	global_load_b32 v1, v[14:15], off
	s_wait_loadcnt 0x0
	v_trunc_f32_e32 v1, v1
	s_delay_alu instid0(VALU_DEP_1) | instskip(SKIP_1) | instid1(VALU_DEP_2)
	v_mul_f32_e64 v3, 0x2f800000, |v1|
	v_ashrrev_i32_e32 v12, 31, v1
	v_floor_f32_e32 v3, v3
	s_delay_alu instid0(VALU_DEP_1) | instskip(SKIP_1) | instid1(VALU_DEP_4)
	v_fma_f32 v7, 0xcf800000, v3, |v1|
	v_cvt_u32_f32_e32 v1, v3
	v_mov_b32_e32 v13, v12
	s_delay_alu instid0(VALU_DEP_3) | instskip(NEXT) | instid1(VALU_DEP_3)
	v_cvt_u32_f32_e32 v3, v7
	v_xor_b32_e32 v17, v1, v12
	s_delay_alu instid0(VALU_DEP_2) | instskip(NEXT) | instid1(VALU_DEP_1)
	v_xor_b32_e32 v16, v3, v12
	v_sub_nc_u64_e32 v[12:13], v[16:17], v[12:13]
.LBB63_3058:
	s_mov_b32 s1, 0
.LBB63_3059:
	s_delay_alu instid0(SALU_CYCLE_1)
	s_and_not1_b32 vcc_lo, exec_lo, s1
	s_cbranch_vccnz .LBB63_3061
; %bb.3060:
	global_load_b32 v1, v[14:15], off
	s_wait_loadcnt 0x0
	v_cvt_f32_f16_e32 v1, v1
	s_delay_alu instid0(VALU_DEP_1) | instskip(NEXT) | instid1(VALU_DEP_1)
	v_cvt_i32_f32_e32 v12, v1
	v_ashrrev_i32_e32 v13, 31, v12
.LBB63_3061:
	s_mov_b32 s1, 0
.LBB63_3062:
	s_delay_alu instid0(SALU_CYCLE_1)
	s_and_not1_b32 vcc_lo, exec_lo, s1
	s_cbranch_vccnz .LBB63_3073
; %bb.3063:
	s_cmp_lt_i32 s0, 6
	s_cbranch_scc1 .LBB63_3066
; %bb.3064:
	s_cmp_gt_i32 s0, 6
	s_cbranch_scc0 .LBB63_3067
; %bb.3065:
	s_wait_loadcnt 0x0
	global_load_b64 v[12:13], v[14:15], off
	s_mov_b32 s1, 0
	s_wait_loadcnt 0x0
	v_trunc_f64_e32 v[12:13], v[12:13]
	s_delay_alu instid0(VALU_DEP_1) | instskip(NEXT) | instid1(VALU_DEP_1)
	v_ldexp_f64 v[16:17], v[12:13], 0xffffffe0
	v_floor_f64_e32 v[16:17], v[16:17]
	s_delay_alu instid0(VALU_DEP_1) | instskip(SKIP_1) | instid1(VALU_DEP_2)
	v_fmamk_f64 v[18:19], v[16:17], 0xc1f00000, v[12:13]
	v_cvt_i32_f64_e32 v13, v[16:17]
	v_cvt_u32_f64_e32 v12, v[18:19]
	s_branch .LBB63_3068
.LBB63_3066:
	s_mov_b32 s1, -1
                                        ; implicit-def: $vgpr12_vgpr13
	s_branch .LBB63_3071
.LBB63_3067:
	s_mov_b32 s1, -1
                                        ; implicit-def: $vgpr12_vgpr13
.LBB63_3068:
	s_delay_alu instid0(SALU_CYCLE_1)
	s_and_not1_b32 vcc_lo, exec_lo, s1
	s_cbranch_vccnz .LBB63_3070
; %bb.3069:
	global_load_b32 v1, v[14:15], off
	s_wait_loadcnt 0x0
	v_trunc_f32_e32 v1, v1
	s_delay_alu instid0(VALU_DEP_1) | instskip(SKIP_1) | instid1(VALU_DEP_2)
	v_mul_f32_e64 v3, 0x2f800000, |v1|
	v_ashrrev_i32_e32 v12, 31, v1
	v_floor_f32_e32 v3, v3
	s_delay_alu instid0(VALU_DEP_1) | instskip(SKIP_1) | instid1(VALU_DEP_4)
	v_fma_f32 v7, 0xcf800000, v3, |v1|
	v_cvt_u32_f32_e32 v1, v3
	v_mov_b32_e32 v13, v12
	s_delay_alu instid0(VALU_DEP_3) | instskip(NEXT) | instid1(VALU_DEP_3)
	v_cvt_u32_f32_e32 v3, v7
	v_xor_b32_e32 v17, v1, v12
	s_delay_alu instid0(VALU_DEP_2) | instskip(NEXT) | instid1(VALU_DEP_1)
	v_xor_b32_e32 v16, v3, v12
	v_sub_nc_u64_e32 v[12:13], v[16:17], v[12:13]
.LBB63_3070:
	s_mov_b32 s1, 0
.LBB63_3071:
	s_delay_alu instid0(SALU_CYCLE_1)
	s_and_not1_b32 vcc_lo, exec_lo, s1
	s_cbranch_vccnz .LBB63_3073
; %bb.3072:
	global_load_u16 v1, v[14:15], off
	s_wait_loadcnt 0x0
	v_cvt_f32_f16_e32 v1, v1
	s_delay_alu instid0(VALU_DEP_1) | instskip(NEXT) | instid1(VALU_DEP_1)
	v_cvt_i32_f32_e32 v12, v1
	v_ashrrev_i32_e32 v13, 31, v12
.LBB63_3073:
	s_mov_b32 s1, 0
.LBB63_3074:
	s_delay_alu instid0(SALU_CYCLE_1)
	s_and_not1_b32 vcc_lo, exec_lo, s1
	s_cbranch_vccnz .LBB63_3094
; %bb.3075:
	s_cmp_lt_i32 s0, 2
	s_cbranch_scc1 .LBB63_3079
; %bb.3076:
	s_cmp_lt_i32 s0, 3
	s_cbranch_scc1 .LBB63_3080
; %bb.3077:
	s_cmp_gt_i32 s0, 3
	s_cbranch_scc0 .LBB63_3081
; %bb.3078:
	s_wait_loadcnt 0x0
	global_load_b64 v[12:13], v[14:15], off
	s_mov_b32 s1, 0
	s_branch .LBB63_3082
.LBB63_3079:
	s_mov_b32 s1, -1
                                        ; implicit-def: $vgpr12_vgpr13
	s_branch .LBB63_3088
.LBB63_3080:
	s_mov_b32 s1, -1
                                        ; implicit-def: $vgpr12_vgpr13
	s_branch .LBB63_3085
.LBB63_3081:
	s_mov_b32 s1, -1
                                        ; implicit-def: $vgpr12_vgpr13
.LBB63_3082:
	s_delay_alu instid0(SALU_CYCLE_1)
	s_and_not1_b32 vcc_lo, exec_lo, s1
	s_cbranch_vccnz .LBB63_3084
; %bb.3083:
	s_wait_loadcnt 0x0
	global_load_b32 v12, v[14:15], off
	s_wait_loadcnt 0x0
	v_ashrrev_i32_e32 v13, 31, v12
.LBB63_3084:
	s_mov_b32 s1, 0
.LBB63_3085:
	s_delay_alu instid0(SALU_CYCLE_1)
	s_and_not1_b32 vcc_lo, exec_lo, s1
	s_cbranch_vccnz .LBB63_3087
; %bb.3086:
	global_load_u16 v1, v[14:15], off
	s_wait_loadcnt 0x0
	v_bfe_i32 v12, v1, 0, 16
	s_delay_alu instid0(VALU_DEP_1)
	v_ashrrev_i32_e32 v13, 31, v12
.LBB63_3087:
	s_mov_b32 s1, 0
.LBB63_3088:
	s_delay_alu instid0(SALU_CYCLE_1)
	s_and_not1_b32 vcc_lo, exec_lo, s1
	s_cbranch_vccnz .LBB63_3094
; %bb.3089:
	s_cmp_gt_i32 s0, 0
	s_mov_b32 s0, 0
	s_cbranch_scc0 .LBB63_3091
; %bb.3090:
	global_load_i8 v1, v[14:15], off
	s_wait_loadcnt 0x0
	v_bfe_i32 v12, v1, 0, 16
	s_delay_alu instid0(VALU_DEP_1)
	v_ashrrev_i32_e32 v13, 31, v12
	s_branch .LBB63_3092
.LBB63_3091:
	s_mov_b32 s0, -1
                                        ; implicit-def: $vgpr12_vgpr13
.LBB63_3092:
	s_delay_alu instid0(SALU_CYCLE_1)
	s_and_not1_b32 vcc_lo, exec_lo, s0
	s_cbranch_vccnz .LBB63_3094
; %bb.3093:
	global_load_u8 v1, v[14:15], off
	s_mov_b32 s0, 0
	s_wait_loadcnt 0x1
	v_mov_b32_e32 v13, s0
	s_wait_loadcnt 0x0
	v_and_b32_e32 v12, 0xffff, v1
.LBB63_3094:
	s_mov_b32 s45, -1
.LBB63_3095:
	s_delay_alu instid0(SALU_CYCLE_1)
	s_and_not1_b32 vcc_lo, exec_lo, s45
	s_cbranch_vccnz .LBB63_3103
; %bb.3096:
	s_load_b512 s[4:19], s[2:3], 0x248
	v_mov_b32_e32 v11, 0
	s_and_b32 s0, s31, 0xff
	s_delay_alu instid0(SALU_CYCLE_1) | instskip(SKIP_1) | instid1(VALU_DEP_1)
	s_cmp_lt_i32 s0, 11
	s_wait_kmcnt 0x0
	v_add_nc_u64_e32 v[14:15], s[12:13], v[10:11]
	s_cbranch_scc1 .LBB63_3104
; %bb.3097:
	s_and_b32 s35, 0xffff, s0
	s_delay_alu instid0(SALU_CYCLE_1)
	s_cmp_gt_i32 s35, 25
	s_cbranch_scc0 .LBB63_3105
; %bb.3098:
	s_cmp_gt_i32 s35, 28
	s_cbranch_scc0 .LBB63_3106
; %bb.3099:
	;; [unrolled: 3-line block ×4, first 2 shown]
	s_cmp_eq_u32 s35, 46
	s_mov_b32 s1, 0
	s_cbranch_scc0 .LBB63_3117
; %bb.3102:
	global_load_b32 v1, v[14:15], off
	s_mov_b32 s46, -1
	s_mov_b32 s45, 0
	s_wait_loadcnt 0x0
	v_lshlrev_b32_e32 v1, 16, v1
	s_delay_alu instid0(VALU_DEP_1) | instskip(NEXT) | instid1(VALU_DEP_1)
	v_trunc_f32_e32 v1, v1
	v_mul_f32_e64 v3, 0x2f800000, |v1|
	v_ashrrev_i32_e32 v10, 31, v1
	s_delay_alu instid0(VALU_DEP_2) | instskip(NEXT) | instid1(VALU_DEP_2)
	v_floor_f32_e32 v3, v3
	v_mov_b32_e32 v11, v10
	s_delay_alu instid0(VALU_DEP_2) | instskip(SKIP_1) | instid1(VALU_DEP_2)
	v_fma_f32 v7, 0xcf800000, v3, |v1|
	v_cvt_u32_f32_e32 v1, v3
	v_cvt_u32_f32_e32 v3, v7
	s_delay_alu instid0(VALU_DEP_2) | instskip(NEXT) | instid1(VALU_DEP_2)
	v_xor_b32_e32 v17, v1, v10
	v_xor_b32_e32 v16, v3, v10
	s_delay_alu instid0(VALU_DEP_1)
	v_sub_nc_u64_e32 v[10:11], v[16:17], v[10:11]
	s_branch .LBB63_3119
.LBB63_3103:
	s_mov_b32 s0, 0
	s_mov_b32 s1, s101
	;; [unrolled: 1-line block ×3, first 2 shown]
	s_mov_b32 s58, vcc_hi
	s_mov_b32 s60, s99
	s_mov_b32 s59, s100
	s_mov_b32 s46, s97
	s_mov_b32 s45, s98
	s_branch .LBB63_957
.LBB63_3104:
	s_mov_b32 s1, -1
	s_mov_b32 s46, 0
	s_mov_b32 s45, s98
                                        ; implicit-def: $vgpr10_vgpr11
	s_branch .LBB63_3316
.LBB63_3105:
	s_mov_b32 s1, -1
	s_mov_b32 s46, 0
	s_mov_b32 s45, s98
                                        ; implicit-def: $vgpr10_vgpr11
	s_branch .LBB63_3282
.LBB63_3106:
	s_mov_b32 s1, -1
	s_mov_b32 s46, 0
	s_mov_b32 s45, s98
                                        ; implicit-def: $vgpr10_vgpr11
	s_branch .LBB63_3265
.LBB63_3107:
	s_mov_b32 s1, -1
	s_mov_b32 s46, 0
	s_mov_b32 s45, s98
                                        ; implicit-def: $vgpr10_vgpr11
	s_branch .LBB63_3260
.LBB63_3108:
	s_mov_b32 s1, -1
	s_mov_b32 s58, 0
	s_mov_b32 s94, s88
	s_branch .LBB63_3113
.LBB63_3109:
	s_mov_b32 s1, -1
	s_mov_b32 s46, 0
	s_mov_b32 s45, s98
	s_branch .LBB63_3118
.LBB63_3110:
	s_mov_b32 s1, -1
	s_mov_b32 s61, 0
	s_branch .LBB63_3384
.LBB63_3111:
	s_mov_b32 s22, -1
	s_mov_b32 s0, 0
                                        ; implicit-def: $vgpr40_vgpr41
	s_branch .LBB63_3800
.LBB63_3112:
	s_mov_b32 s94, -1
	s_mov_b32 s58, 0
.LBB63_3113:
                                        ; implicit-def: $vgpr14_vgpr15
.LBB63_3114:
	s_and_b32 vcc_lo, exec_lo, s1
	s_cbranch_vccz .LBB63_3123
; %bb.3115:
	s_cmp_eq_u32 s35, 44
	s_cbranch_scc0 .LBB63_3122
; %bb.3116:
	global_load_u8 v1, v[6:7], off
	s_mov_b32 s94, 0
	s_mov_b32 s58, -1
	s_wait_loadcnt 0x0
	v_lshlrev_b32_e32 v3, 23, v1
	v_cmp_ne_u32_e32 vcc_lo, 0, v1
	s_delay_alu instid0(VALU_DEP_2) | instskip(NEXT) | instid1(VALU_DEP_1)
	v_trunc_f32_e32 v3, v3
	v_mul_f32_e64 v14, 0x2f800000, |v3|
	s_delay_alu instid0(VALU_DEP_1) | instskip(SKIP_1) | instid1(VALU_DEP_2)
	v_floor_f32_e32 v15, v14
	v_ashrrev_i32_e32 v14, 31, v3
	v_fma_f32 v16, 0xcf800000, v15, |v3|
	v_cvt_u32_f32_e32 v3, v15
	s_delay_alu instid0(VALU_DEP_3) | instskip(NEXT) | instid1(VALU_DEP_3)
	v_mov_b32_e32 v15, v14
	v_cvt_u32_f32_e32 v16, v16
	s_delay_alu instid0(VALU_DEP_3) | instskip(NEXT) | instid1(VALU_DEP_2)
	v_xor_b32_e32 v17, v3, v14
	v_xor_b32_e32 v16, v16, v14
	s_delay_alu instid0(VALU_DEP_1) | instskip(NEXT) | instid1(VALU_DEP_1)
	v_sub_nc_u64_e32 v[14:15], v[16:17], v[14:15]
	v_dual_cndmask_b32 v15, 0, v15 :: v_dual_cndmask_b32 v14, 0, v14
	s_branch .LBB63_3123
.LBB63_3117:
	s_mov_b32 s45, -1
	s_mov_b32 s46, 0
.LBB63_3118:
                                        ; implicit-def: $vgpr10_vgpr11
.LBB63_3119:
	s_and_b32 vcc_lo, exec_lo, s1
	s_cbranch_vccz .LBB63_3259
; %bb.3120:
	s_cmp_eq_u32 s35, 44
	s_cbranch_scc0 .LBB63_3258
; %bb.3121:
	global_load_u8 v1, v[14:15], off
	s_mov_b32 s45, 0
	s_mov_b32 s46, -1
	s_wait_loadcnt 0x0
	v_lshlrev_b32_e32 v3, 23, v1
	v_cmp_ne_u32_e32 vcc_lo, 0, v1
	s_delay_alu instid0(VALU_DEP_2) | instskip(NEXT) | instid1(VALU_DEP_1)
	v_trunc_f32_e32 v3, v3
	v_mul_f32_e64 v7, 0x2f800000, |v3|
	v_ashrrev_i32_e32 v10, 31, v3
	s_delay_alu instid0(VALU_DEP_2) | instskip(NEXT) | instid1(VALU_DEP_1)
	v_floor_f32_e32 v7, v7
	v_fma_f32 v11, 0xcf800000, v7, |v3|
	v_cvt_u32_f32_e32 v3, v7
	s_delay_alu instid0(VALU_DEP_2) | instskip(NEXT) | instid1(VALU_DEP_2)
	v_cvt_u32_f32_e32 v7, v11
	v_dual_mov_b32 v11, v10 :: v_dual_bitop2_b32 v17, v3, v10 bitop3:0x14
	s_delay_alu instid0(VALU_DEP_2) | instskip(NEXT) | instid1(VALU_DEP_1)
	v_xor_b32_e32 v16, v7, v10
	v_sub_nc_u64_e32 v[10:11], v[16:17], v[10:11]
	s_delay_alu instid0(VALU_DEP_1)
	v_dual_cndmask_b32 v11, 0, v11 :: v_dual_cndmask_b32 v10, 0, v10
	s_branch .LBB63_3259
.LBB63_3122:
	s_mov_b32 s94, -1
                                        ; implicit-def: $vgpr14_vgpr15
.LBB63_3123:
	s_mov_b32 s1, 0
.LBB63_3124:
	s_delay_alu instid0(SALU_CYCLE_1)
	s_and_b32 vcc_lo, exec_lo, s1
	s_cbranch_vccz .LBB63_3128
; %bb.3125:
	s_cmp_eq_u32 s35, 29
	s_cbranch_scc0 .LBB63_3127
; %bb.3126:
	global_load_b64 v[14:15], v[6:7], off
	s_mov_b32 s58, -1
	s_mov_b32 s94, 0
	s_branch .LBB63_3128
.LBB63_3127:
	s_mov_b32 s94, -1
                                        ; implicit-def: $vgpr14_vgpr15
.LBB63_3128:
	s_mov_b32 s1, 0
.LBB63_3129:
	s_delay_alu instid0(SALU_CYCLE_1)
	s_and_b32 vcc_lo, exec_lo, s1
	s_cbranch_vccz .LBB63_3145
; %bb.3130:
	s_cmp_lt_i32 s35, 27
	s_cbranch_scc1 .LBB63_3133
; %bb.3131:
	s_cmp_gt_i32 s35, 27
	s_cbranch_scc0 .LBB63_3134
; %bb.3132:
	s_wait_loadcnt 0x0
	global_load_b32 v14, v[6:7], off
	v_mov_b32_e32 v15, 0
	s_mov_b32 s1, 0
	s_branch .LBB63_3135
.LBB63_3133:
	s_mov_b32 s1, -1
                                        ; implicit-def: $vgpr14_vgpr15
	s_branch .LBB63_3138
.LBB63_3134:
	s_mov_b32 s1, -1
                                        ; implicit-def: $vgpr14_vgpr15
.LBB63_3135:
	s_delay_alu instid0(SALU_CYCLE_1)
	s_and_not1_b32 vcc_lo, exec_lo, s1
	s_cbranch_vccnz .LBB63_3137
; %bb.3136:
	global_load_u16 v1, v[6:7], off
	s_mov_b32 s1, 0
	s_wait_loadcnt 0x1
	v_mov_b32_e32 v15, s1
	s_wait_loadcnt 0x0
	v_and_b32_e32 v14, 0xffff, v1
.LBB63_3137:
	s_mov_b32 s1, 0
.LBB63_3138:
	s_delay_alu instid0(SALU_CYCLE_1)
	s_and_not1_b32 vcc_lo, exec_lo, s1
	s_cbranch_vccnz .LBB63_3144
; %bb.3139:
	global_load_u8 v1, v[6:7], off
	s_mov_b32 s58, 0
	s_mov_b32 s1, exec_lo
	s_wait_loadcnt 0x0
	v_cmpx_lt_i16_e32 0x7f, v1
	s_xor_b32 s1, exec_lo, s1
	s_cbranch_execz .LBB63_3156
; %bb.3140:
	v_cmp_ne_u16_e32 vcc_lo, 0x80, v1
	s_and_b32 s58, vcc_lo, exec_lo
	s_and_not1_saveexec_b32 s1, s1
	s_cbranch_execnz .LBB63_3157
.LBB63_3141:
	s_or_b32 exec_lo, exec_lo, s1
	v_mov_b64_e32 v[14:15], 0
	s_and_saveexec_b32 s1, s58
	s_cbranch_execz .LBB63_3143
.LBB63_3142:
	v_and_b32_e32 v3, 0xffff, v1
	s_delay_alu instid0(VALU_DEP_1) | instskip(SKIP_1) | instid1(VALU_DEP_2)
	v_dual_lshlrev_b32 v1, 24, v1 :: v_dual_bitop2_b32 v14, 7, v3 bitop3:0x40
	v_bfe_u32 v17, v3, 3, 4
	v_and_b32_e32 v1, 0x80000000, v1
	s_delay_alu instid0(VALU_DEP_3) | instskip(NEXT) | instid1(VALU_DEP_3)
	v_clz_i32_u32_e32 v15, v14
	v_cmp_eq_u32_e32 vcc_lo, 0, v17
	s_delay_alu instid0(VALU_DEP_2) | instskip(NEXT) | instid1(VALU_DEP_1)
	v_min_u32_e32 v15, 32, v15
	v_subrev_nc_u32_e32 v16, 28, v15
	v_sub_nc_u32_e32 v15, 29, v15
	s_delay_alu instid0(VALU_DEP_2) | instskip(NEXT) | instid1(VALU_DEP_2)
	v_lshlrev_b32_e32 v3, v16, v3
	v_cndmask_b32_e32 v15, v17, v15, vcc_lo
	s_delay_alu instid0(VALU_DEP_2) | instskip(NEXT) | instid1(VALU_DEP_1)
	v_and_b32_e32 v3, 7, v3
	v_cndmask_b32_e32 v3, v14, v3, vcc_lo
	s_delay_alu instid0(VALU_DEP_3) | instskip(NEXT) | instid1(VALU_DEP_2)
	v_lshl_add_u32 v14, v15, 23, 0x3b800000
	v_lshlrev_b32_e32 v3, 20, v3
	s_delay_alu instid0(VALU_DEP_1) | instskip(NEXT) | instid1(VALU_DEP_1)
	v_or3_b32 v1, v1, v14, v3
	v_trunc_f32_e32 v1, v1
	s_delay_alu instid0(VALU_DEP_1) | instskip(SKIP_1) | instid1(VALU_DEP_2)
	v_mul_f32_e64 v3, 0x2f800000, |v1|
	v_ashrrev_i32_e32 v14, 31, v1
	v_floor_f32_e32 v3, v3
	s_delay_alu instid0(VALU_DEP_1) | instskip(SKIP_1) | instid1(VALU_DEP_2)
	v_fma_f32 v15, 0xcf800000, v3, |v1|
	v_cvt_u32_f32_e32 v1, v3
	v_cvt_u32_f32_e32 v3, v15
	s_delay_alu instid0(VALU_DEP_2) | instskip(NEXT) | instid1(VALU_DEP_2)
	v_dual_mov_b32 v15, v14 :: v_dual_bitop2_b32 v17, v1, v14 bitop3:0x14
	v_xor_b32_e32 v16, v3, v14
	s_delay_alu instid0(VALU_DEP_1)
	v_sub_nc_u64_e32 v[14:15], v[16:17], v[14:15]
.LBB63_3143:
	s_or_b32 exec_lo, exec_lo, s1
.LBB63_3144:
	s_mov_b32 s58, -1
.LBB63_3145:
	s_mov_b32 s1, 0
.LBB63_3146:
	s_delay_alu instid0(SALU_CYCLE_1)
	s_and_b32 vcc_lo, exec_lo, s1
	s_cbranch_vccz .LBB63_3179
; %bb.3147:
	s_cmp_gt_i32 s35, 22
	s_cbranch_scc0 .LBB63_3155
; %bb.3148:
	s_cmp_lt_i32 s35, 24
	s_cbranch_scc1 .LBB63_3158
; %bb.3149:
	s_cmp_gt_i32 s35, 24
	s_cbranch_scc0 .LBB63_3159
; %bb.3150:
	global_load_u8 v1, v[6:7], off
	s_mov_b32 s58, 0
	s_mov_b32 s1, exec_lo
	s_wait_loadcnt 0x0
	v_cmpx_lt_i16_e32 0x7f, v1
	s_xor_b32 s1, exec_lo, s1
	s_cbranch_execz .LBB63_3171
; %bb.3151:
	v_cmp_ne_u16_e32 vcc_lo, 0x80, v1
	s_and_b32 s58, vcc_lo, exec_lo
	s_and_not1_saveexec_b32 s1, s1
	s_cbranch_execnz .LBB63_3172
.LBB63_3152:
	s_or_b32 exec_lo, exec_lo, s1
	v_mov_b64_e32 v[14:15], 0
	s_and_saveexec_b32 s1, s58
	s_cbranch_execz .LBB63_3154
.LBB63_3153:
	v_and_b32_e32 v3, 0xffff, v1
	s_delay_alu instid0(VALU_DEP_1) | instskip(SKIP_1) | instid1(VALU_DEP_2)
	v_dual_lshlrev_b32 v1, 24, v1 :: v_dual_bitop2_b32 v14, 3, v3 bitop3:0x40
	v_bfe_u32 v17, v3, 2, 5
	v_and_b32_e32 v1, 0x80000000, v1
	s_delay_alu instid0(VALU_DEP_3) | instskip(NEXT) | instid1(VALU_DEP_3)
	v_clz_i32_u32_e32 v15, v14
	v_cmp_eq_u32_e32 vcc_lo, 0, v17
	s_delay_alu instid0(VALU_DEP_2) | instskip(NEXT) | instid1(VALU_DEP_1)
	v_min_u32_e32 v15, 32, v15
	v_subrev_nc_u32_e32 v16, 29, v15
	v_sub_nc_u32_e32 v15, 30, v15
	s_delay_alu instid0(VALU_DEP_2) | instskip(NEXT) | instid1(VALU_DEP_2)
	v_lshlrev_b32_e32 v3, v16, v3
	v_cndmask_b32_e32 v15, v17, v15, vcc_lo
	s_delay_alu instid0(VALU_DEP_2) | instskip(NEXT) | instid1(VALU_DEP_1)
	v_and_b32_e32 v3, 3, v3
	v_cndmask_b32_e32 v3, v14, v3, vcc_lo
	s_delay_alu instid0(VALU_DEP_3) | instskip(NEXT) | instid1(VALU_DEP_2)
	v_lshl_add_u32 v14, v15, 23, 0x37800000
	v_lshlrev_b32_e32 v3, 21, v3
	s_delay_alu instid0(VALU_DEP_1) | instskip(NEXT) | instid1(VALU_DEP_1)
	v_or3_b32 v1, v1, v14, v3
	v_trunc_f32_e32 v1, v1
	s_delay_alu instid0(VALU_DEP_1) | instskip(SKIP_1) | instid1(VALU_DEP_2)
	v_mul_f32_e64 v3, 0x2f800000, |v1|
	v_ashrrev_i32_e32 v14, 31, v1
	v_floor_f32_e32 v3, v3
	s_delay_alu instid0(VALU_DEP_1) | instskip(SKIP_1) | instid1(VALU_DEP_2)
	v_fma_f32 v15, 0xcf800000, v3, |v1|
	v_cvt_u32_f32_e32 v1, v3
	v_cvt_u32_f32_e32 v3, v15
	s_delay_alu instid0(VALU_DEP_2) | instskip(NEXT) | instid1(VALU_DEP_2)
	v_dual_mov_b32 v15, v14 :: v_dual_bitop2_b32 v17, v1, v14 bitop3:0x14
	v_xor_b32_e32 v16, v3, v14
	s_delay_alu instid0(VALU_DEP_1)
	v_sub_nc_u64_e32 v[14:15], v[16:17], v[14:15]
.LBB63_3154:
	s_or_b32 exec_lo, exec_lo, s1
	s_mov_b32 s1, 0
	s_branch .LBB63_3160
.LBB63_3155:
	s_mov_b32 s1, -1
                                        ; implicit-def: $vgpr14_vgpr15
	s_branch .LBB63_3166
.LBB63_3156:
	s_and_not1_saveexec_b32 s1, s1
	s_cbranch_execz .LBB63_3141
.LBB63_3157:
	v_cmp_ne_u16_e32 vcc_lo, 0, v1
	s_and_not1_b32 s36, s58, exec_lo
	s_and_b32 s37, vcc_lo, exec_lo
	s_delay_alu instid0(SALU_CYCLE_1)
	s_or_b32 s58, s36, s37
	s_or_b32 exec_lo, exec_lo, s1
	v_mov_b64_e32 v[14:15], 0
	s_and_saveexec_b32 s1, s58
	s_cbranch_execnz .LBB63_3142
	s_branch .LBB63_3143
.LBB63_3158:
	s_mov_b32 s1, -1
                                        ; implicit-def: $vgpr14_vgpr15
	s_branch .LBB63_3163
.LBB63_3159:
	s_mov_b32 s1, -1
                                        ; implicit-def: $vgpr14_vgpr15
.LBB63_3160:
	s_delay_alu instid0(SALU_CYCLE_1)
	s_and_b32 vcc_lo, exec_lo, s1
	s_cbranch_vccz .LBB63_3162
; %bb.3161:
	global_load_u8 v1, v[6:7], off
	s_wait_loadcnt 0x0
	v_lshlrev_b32_e32 v1, 24, v1
	s_delay_alu instid0(VALU_DEP_1) | instskip(NEXT) | instid1(VALU_DEP_1)
	v_and_b32_e32 v3, 0x7f000000, v1
	v_clz_i32_u32_e32 v14, v3
	v_cmp_ne_u32_e32 vcc_lo, 0, v3
	v_add_nc_u32_e32 v16, 0x1000000, v3
	s_delay_alu instid0(VALU_DEP_3) | instskip(NEXT) | instid1(VALU_DEP_1)
	v_min_u32_e32 v14, 32, v14
	v_sub_nc_u32_e64 v14, v14, 4 clamp
	s_delay_alu instid0(VALU_DEP_1) | instskip(NEXT) | instid1(VALU_DEP_1)
	v_dual_lshlrev_b32 v15, v14, v3 :: v_dual_lshlrev_b32 v14, 23, v14
	v_lshrrev_b32_e32 v15, 4, v15
	s_delay_alu instid0(VALU_DEP_1) | instskip(NEXT) | instid1(VALU_DEP_1)
	v_dual_sub_nc_u32 v14, v15, v14 :: v_dual_ashrrev_i32 v15, 8, v16
	v_add_nc_u32_e32 v14, 0x3c000000, v14
	s_delay_alu instid0(VALU_DEP_1) | instskip(NEXT) | instid1(VALU_DEP_1)
	v_and_or_b32 v14, 0x7f800000, v15, v14
	v_cndmask_b32_e32 v3, 0, v14, vcc_lo
	s_delay_alu instid0(VALU_DEP_1) | instskip(NEXT) | instid1(VALU_DEP_1)
	v_and_or_b32 v1, 0x80000000, v1, v3
	v_trunc_f32_e32 v1, v1
	s_delay_alu instid0(VALU_DEP_1) | instskip(SKIP_1) | instid1(VALU_DEP_2)
	v_mul_f32_e64 v3, 0x2f800000, |v1|
	v_ashrrev_i32_e32 v14, 31, v1
	v_floor_f32_e32 v3, v3
	s_delay_alu instid0(VALU_DEP_1) | instskip(SKIP_1) | instid1(VALU_DEP_2)
	v_fma_f32 v15, 0xcf800000, v3, |v1|
	v_cvt_u32_f32_e32 v1, v3
	v_cvt_u32_f32_e32 v3, v15
	s_delay_alu instid0(VALU_DEP_2) | instskip(NEXT) | instid1(VALU_DEP_2)
	v_dual_mov_b32 v15, v14 :: v_dual_bitop2_b32 v17, v1, v14 bitop3:0x14
	v_xor_b32_e32 v16, v3, v14
	s_delay_alu instid0(VALU_DEP_1)
	v_sub_nc_u64_e32 v[14:15], v[16:17], v[14:15]
.LBB63_3162:
	s_mov_b32 s1, 0
.LBB63_3163:
	s_delay_alu instid0(SALU_CYCLE_1)
	s_and_not1_b32 vcc_lo, exec_lo, s1
	s_cbranch_vccnz .LBB63_3165
; %bb.3164:
	global_load_u8 v1, v[6:7], off
	s_wait_loadcnt 0x0
	v_lshlrev_b32_e32 v3, 25, v1
	v_lshlrev_b16 v1, 8, v1
	s_delay_alu instid0(VALU_DEP_1) | instskip(SKIP_1) | instid1(VALU_DEP_2)
	v_and_or_b32 v15, 0x7f00, v1, 0.5
	v_bfe_i32 v1, v1, 0, 16
	v_add_f32_e32 v15, -0.5, v15
	v_lshrrev_b32_e32 v14, 4, v3
	v_cmp_gt_u32_e32 vcc_lo, 0x8000000, v3
	s_delay_alu instid0(VALU_DEP_2) | instskip(NEXT) | instid1(VALU_DEP_1)
	v_or_b32_e32 v14, 0x70000000, v14
	v_mul_f32_e32 v14, 0x7800000, v14
	s_delay_alu instid0(VALU_DEP_1) | instskip(NEXT) | instid1(VALU_DEP_1)
	v_cndmask_b32_e32 v3, v14, v15, vcc_lo
	v_and_or_b32 v1, 0x80000000, v1, v3
	s_delay_alu instid0(VALU_DEP_1) | instskip(NEXT) | instid1(VALU_DEP_1)
	v_trunc_f32_e32 v1, v1
	v_mul_f32_e64 v3, 0x2f800000, |v1|
	v_ashrrev_i32_e32 v14, 31, v1
	s_delay_alu instid0(VALU_DEP_2) | instskip(NEXT) | instid1(VALU_DEP_1)
	v_floor_f32_e32 v3, v3
	v_fma_f32 v15, 0xcf800000, v3, |v1|
	v_cvt_u32_f32_e32 v1, v3
	s_delay_alu instid0(VALU_DEP_2) | instskip(NEXT) | instid1(VALU_DEP_2)
	v_cvt_u32_f32_e32 v3, v15
	v_dual_mov_b32 v15, v14 :: v_dual_bitop2_b32 v17, v1, v14 bitop3:0x14
	s_delay_alu instid0(VALU_DEP_2) | instskip(NEXT) | instid1(VALU_DEP_1)
	v_xor_b32_e32 v16, v3, v14
	v_sub_nc_u64_e32 v[14:15], v[16:17], v[14:15]
.LBB63_3165:
	s_mov_b32 s1, 0
	s_mov_b32 s58, -1
.LBB63_3166:
	s_and_not1_b32 vcc_lo, exec_lo, s1
	s_cbranch_vccnz .LBB63_3179
; %bb.3167:
	s_cmp_gt_i32 s35, 14
	s_cbranch_scc0 .LBB63_3170
; %bb.3168:
	s_cmp_eq_u32 s35, 15
	s_cbranch_scc0 .LBB63_3173
; %bb.3169:
	global_load_u16 v1, v[6:7], off
	s_mov_b32 s58, -1
	s_mov_b32 s94, 0
	s_wait_loadcnt 0x0
	v_lshlrev_b32_e32 v1, 16, v1
	s_delay_alu instid0(VALU_DEP_1) | instskip(NEXT) | instid1(VALU_DEP_1)
	v_trunc_f32_e32 v1, v1
	v_mul_f32_e64 v3, 0x2f800000, |v1|
	v_ashrrev_i32_e32 v14, 31, v1
	s_delay_alu instid0(VALU_DEP_2) | instskip(NEXT) | instid1(VALU_DEP_1)
	v_floor_f32_e32 v3, v3
	v_fma_f32 v15, 0xcf800000, v3, |v1|
	v_cvt_u32_f32_e32 v1, v3
	s_delay_alu instid0(VALU_DEP_2) | instskip(NEXT) | instid1(VALU_DEP_2)
	v_cvt_u32_f32_e32 v3, v15
	v_dual_mov_b32 v15, v14 :: v_dual_bitop2_b32 v17, v1, v14 bitop3:0x14
	s_delay_alu instid0(VALU_DEP_2) | instskip(NEXT) | instid1(VALU_DEP_1)
	v_xor_b32_e32 v16, v3, v14
	v_sub_nc_u64_e32 v[14:15], v[16:17], v[14:15]
	s_branch .LBB63_3174
.LBB63_3170:
	s_mov_b32 s1, -1
                                        ; implicit-def: $vgpr14_vgpr15
	s_branch .LBB63_3175
.LBB63_3171:
	s_and_not1_saveexec_b32 s1, s1
	s_cbranch_execz .LBB63_3152
.LBB63_3172:
	v_cmp_ne_u16_e32 vcc_lo, 0, v1
	s_and_not1_b32 s36, s58, exec_lo
	s_and_b32 s37, vcc_lo, exec_lo
	s_delay_alu instid0(SALU_CYCLE_1)
	s_or_b32 s58, s36, s37
	s_or_b32 exec_lo, exec_lo, s1
	v_mov_b64_e32 v[14:15], 0
	s_and_saveexec_b32 s1, s58
	s_cbranch_execnz .LBB63_3153
	s_branch .LBB63_3154
.LBB63_3173:
	s_mov_b32 s94, -1
                                        ; implicit-def: $vgpr14_vgpr15
.LBB63_3174:
	s_mov_b32 s1, 0
.LBB63_3175:
	s_delay_alu instid0(SALU_CYCLE_1)
	s_and_b32 vcc_lo, exec_lo, s1
	s_cbranch_vccz .LBB63_3179
; %bb.3176:
	s_cmp_eq_u32 s35, 11
	s_cbranch_scc0 .LBB63_3178
; %bb.3177:
	global_load_u8 v1, v[6:7], off
	s_mov_b32 s94, 0
	s_mov_b32 s58, -1
	s_wait_loadcnt 0x1
	v_mov_b32_e32 v15, s94
	s_wait_loadcnt 0x0
	v_cmp_ne_u16_e32 vcc_lo, 0, v1
	v_cndmask_b32_e64 v14, 0, 1, vcc_lo
	s_branch .LBB63_3179
.LBB63_3178:
	s_mov_b32 s94, -1
                                        ; implicit-def: $vgpr14_vgpr15
.LBB63_3179:
	s_mov_b32 s1, 0
.LBB63_3180:
	s_delay_alu instid0(SALU_CYCLE_1)
	s_and_b32 vcc_lo, exec_lo, s1
	s_cbranch_vccz .LBB63_3229
; %bb.3181:
	s_and_b32 s0, 0xffff, s0
	s_delay_alu instid0(SALU_CYCLE_1)
	s_cmp_lt_i32 s0, 5
	s_cbranch_scc1 .LBB63_3186
; %bb.3182:
	s_cmp_lt_i32 s0, 8
	s_cbranch_scc1 .LBB63_3187
; %bb.3183:
	;; [unrolled: 3-line block ×3, first 2 shown]
	s_cmp_gt_i32 s0, 9
	s_cbranch_scc0 .LBB63_3189
; %bb.3185:
	s_wait_loadcnt 0x0
	global_load_b64 v[14:15], v[6:7], off
	s_mov_b32 s1, 0
	s_wait_loadcnt 0x0
	v_trunc_f64_e32 v[14:15], v[14:15]
	s_delay_alu instid0(VALU_DEP_1) | instskip(NEXT) | instid1(VALU_DEP_1)
	v_ldexp_f64 v[16:17], v[14:15], 0xffffffe0
	v_floor_f64_e32 v[16:17], v[16:17]
	s_delay_alu instid0(VALU_DEP_1) | instskip(SKIP_1) | instid1(VALU_DEP_2)
	v_fmamk_f64 v[18:19], v[16:17], 0xc1f00000, v[14:15]
	v_cvt_i32_f64_e32 v15, v[16:17]
	v_cvt_u32_f64_e32 v14, v[18:19]
	s_branch .LBB63_3190
.LBB63_3186:
	s_mov_b32 s1, -1
                                        ; implicit-def: $vgpr14_vgpr15
	s_branch .LBB63_3208
.LBB63_3187:
	s_mov_b32 s1, -1
                                        ; implicit-def: $vgpr14_vgpr15
	s_branch .LBB63_3196
.LBB63_3188:
	s_mov_b32 s1, -1
                                        ; implicit-def: $vgpr14_vgpr15
	s_branch .LBB63_3193
.LBB63_3189:
	s_mov_b32 s1, -1
                                        ; implicit-def: $vgpr14_vgpr15
.LBB63_3190:
	s_delay_alu instid0(SALU_CYCLE_1)
	s_and_not1_b32 vcc_lo, exec_lo, s1
	s_cbranch_vccnz .LBB63_3192
; %bb.3191:
	global_load_b32 v1, v[6:7], off
	s_wait_loadcnt 0x0
	v_trunc_f32_e32 v1, v1
	s_delay_alu instid0(VALU_DEP_1) | instskip(SKIP_1) | instid1(VALU_DEP_2)
	v_mul_f32_e64 v3, 0x2f800000, |v1|
	v_ashrrev_i32_e32 v14, 31, v1
	v_floor_f32_e32 v3, v3
	s_delay_alu instid0(VALU_DEP_1) | instskip(SKIP_1) | instid1(VALU_DEP_2)
	v_fma_f32 v15, 0xcf800000, v3, |v1|
	v_cvt_u32_f32_e32 v1, v3
	v_cvt_u32_f32_e32 v3, v15
	s_delay_alu instid0(VALU_DEP_2) | instskip(NEXT) | instid1(VALU_DEP_2)
	v_dual_mov_b32 v15, v14 :: v_dual_bitop2_b32 v17, v1, v14 bitop3:0x14
	v_xor_b32_e32 v16, v3, v14
	s_delay_alu instid0(VALU_DEP_1)
	v_sub_nc_u64_e32 v[14:15], v[16:17], v[14:15]
.LBB63_3192:
	s_mov_b32 s1, 0
.LBB63_3193:
	s_delay_alu instid0(SALU_CYCLE_1)
	s_and_not1_b32 vcc_lo, exec_lo, s1
	s_cbranch_vccnz .LBB63_3195
; %bb.3194:
	global_load_b32 v1, v[6:7], off
	s_wait_loadcnt 0x0
	v_cvt_f32_f16_e32 v1, v1
	s_delay_alu instid0(VALU_DEP_1) | instskip(NEXT) | instid1(VALU_DEP_1)
	v_cvt_i32_f32_e32 v14, v1
	v_ashrrev_i32_e32 v15, 31, v14
.LBB63_3195:
	s_mov_b32 s1, 0
.LBB63_3196:
	s_delay_alu instid0(SALU_CYCLE_1)
	s_and_not1_b32 vcc_lo, exec_lo, s1
	s_cbranch_vccnz .LBB63_3207
; %bb.3197:
	s_cmp_lt_i32 s0, 6
	s_cbranch_scc1 .LBB63_3200
; %bb.3198:
	s_cmp_gt_i32 s0, 6
	s_cbranch_scc0 .LBB63_3201
; %bb.3199:
	s_wait_loadcnt 0x0
	global_load_b64 v[14:15], v[6:7], off
	s_mov_b32 s1, 0
	s_wait_loadcnt 0x0
	v_trunc_f64_e32 v[14:15], v[14:15]
	s_delay_alu instid0(VALU_DEP_1) | instskip(NEXT) | instid1(VALU_DEP_1)
	v_ldexp_f64 v[16:17], v[14:15], 0xffffffe0
	v_floor_f64_e32 v[16:17], v[16:17]
	s_delay_alu instid0(VALU_DEP_1) | instskip(SKIP_1) | instid1(VALU_DEP_2)
	v_fmamk_f64 v[18:19], v[16:17], 0xc1f00000, v[14:15]
	v_cvt_i32_f64_e32 v15, v[16:17]
	v_cvt_u32_f64_e32 v14, v[18:19]
	s_branch .LBB63_3202
.LBB63_3200:
	s_mov_b32 s1, -1
                                        ; implicit-def: $vgpr14_vgpr15
	s_branch .LBB63_3205
.LBB63_3201:
	s_mov_b32 s1, -1
                                        ; implicit-def: $vgpr14_vgpr15
.LBB63_3202:
	s_delay_alu instid0(SALU_CYCLE_1)
	s_and_not1_b32 vcc_lo, exec_lo, s1
	s_cbranch_vccnz .LBB63_3204
; %bb.3203:
	global_load_b32 v1, v[6:7], off
	s_wait_loadcnt 0x0
	v_trunc_f32_e32 v1, v1
	s_delay_alu instid0(VALU_DEP_1) | instskip(SKIP_1) | instid1(VALU_DEP_2)
	v_mul_f32_e64 v3, 0x2f800000, |v1|
	v_ashrrev_i32_e32 v14, 31, v1
	v_floor_f32_e32 v3, v3
	s_delay_alu instid0(VALU_DEP_1) | instskip(SKIP_1) | instid1(VALU_DEP_2)
	v_fma_f32 v15, 0xcf800000, v3, |v1|
	v_cvt_u32_f32_e32 v1, v3
	v_cvt_u32_f32_e32 v3, v15
	s_delay_alu instid0(VALU_DEP_2) | instskip(NEXT) | instid1(VALU_DEP_2)
	v_dual_mov_b32 v15, v14 :: v_dual_bitop2_b32 v17, v1, v14 bitop3:0x14
	v_xor_b32_e32 v16, v3, v14
	s_delay_alu instid0(VALU_DEP_1)
	v_sub_nc_u64_e32 v[14:15], v[16:17], v[14:15]
.LBB63_3204:
	s_mov_b32 s1, 0
.LBB63_3205:
	s_delay_alu instid0(SALU_CYCLE_1)
	s_and_not1_b32 vcc_lo, exec_lo, s1
	s_cbranch_vccnz .LBB63_3207
; %bb.3206:
	global_load_u16 v1, v[6:7], off
	s_wait_loadcnt 0x0
	v_cvt_f32_f16_e32 v1, v1
	s_delay_alu instid0(VALU_DEP_1) | instskip(NEXT) | instid1(VALU_DEP_1)
	v_cvt_i32_f32_e32 v14, v1
	v_ashrrev_i32_e32 v15, 31, v14
.LBB63_3207:
	s_mov_b32 s1, 0
.LBB63_3208:
	s_delay_alu instid0(SALU_CYCLE_1)
	s_and_not1_b32 vcc_lo, exec_lo, s1
	s_cbranch_vccnz .LBB63_3228
; %bb.3209:
	s_cmp_lt_i32 s0, 2
	s_cbranch_scc1 .LBB63_3213
; %bb.3210:
	s_cmp_lt_i32 s0, 3
	s_cbranch_scc1 .LBB63_3214
; %bb.3211:
	s_cmp_gt_i32 s0, 3
	s_cbranch_scc0 .LBB63_3215
; %bb.3212:
	s_wait_loadcnt 0x0
	global_load_b64 v[14:15], v[6:7], off
	s_mov_b32 s1, 0
	s_branch .LBB63_3216
.LBB63_3213:
	s_mov_b32 s1, -1
                                        ; implicit-def: $vgpr14_vgpr15
	s_branch .LBB63_3222
.LBB63_3214:
	s_mov_b32 s1, -1
                                        ; implicit-def: $vgpr14_vgpr15
	s_branch .LBB63_3219
.LBB63_3215:
	s_mov_b32 s1, -1
                                        ; implicit-def: $vgpr14_vgpr15
.LBB63_3216:
	s_delay_alu instid0(SALU_CYCLE_1)
	s_and_not1_b32 vcc_lo, exec_lo, s1
	s_cbranch_vccnz .LBB63_3218
; %bb.3217:
	s_wait_loadcnt 0x0
	global_load_b32 v14, v[6:7], off
	s_wait_loadcnt 0x0
	v_ashrrev_i32_e32 v15, 31, v14
.LBB63_3218:
	s_mov_b32 s1, 0
.LBB63_3219:
	s_delay_alu instid0(SALU_CYCLE_1)
	s_and_not1_b32 vcc_lo, exec_lo, s1
	s_cbranch_vccnz .LBB63_3221
; %bb.3220:
	global_load_u16 v1, v[6:7], off
	s_wait_loadcnt 0x0
	v_bfe_i32 v14, v1, 0, 16
	s_delay_alu instid0(VALU_DEP_1)
	v_ashrrev_i32_e32 v15, 31, v14
.LBB63_3221:
	s_mov_b32 s1, 0
.LBB63_3222:
	s_delay_alu instid0(SALU_CYCLE_1)
	s_and_not1_b32 vcc_lo, exec_lo, s1
	s_cbranch_vccnz .LBB63_3228
; %bb.3223:
	s_cmp_gt_i32 s0, 0
	s_mov_b32 s0, 0
	s_cbranch_scc0 .LBB63_3225
; %bb.3224:
	global_load_i8 v1, v[6:7], off
	s_wait_loadcnt 0x0
	v_bfe_i32 v14, v1, 0, 16
	s_delay_alu instid0(VALU_DEP_1)
	v_ashrrev_i32_e32 v15, 31, v14
	s_branch .LBB63_3226
.LBB63_3225:
	s_mov_b32 s0, -1
                                        ; implicit-def: $vgpr14_vgpr15
.LBB63_3226:
	s_delay_alu instid0(SALU_CYCLE_1)
	s_and_not1_b32 vcc_lo, exec_lo, s0
	s_cbranch_vccnz .LBB63_3228
; %bb.3227:
	global_load_u8 v1, v[6:7], off
	s_mov_b32 s0, 0
	s_wait_loadcnt 0x1
	v_mov_b32_e32 v15, s0
	s_wait_loadcnt 0x0
	v_and_b32_e32 v14, 0xffff, v1
.LBB63_3228:
	s_mov_b32 s58, -1
.LBB63_3229:
	s_delay_alu instid0(SALU_CYCLE_1)
	s_and_not1_b32 vcc_lo, exec_lo, s58
	s_cbranch_vccnz .LBB63_3240
; %bb.3230:
	s_load_b512 s[4:19], s[2:3], 0x248
	s_mov_b32 s0, 0
	s_mov_b32 s59, -1
	s_mov_b32 s60, s86
	s_mov_b32 s58, s85
	;; [unrolled: 1-line block ×4, first 2 shown]
	s_wait_loadcnt 0x0
	s_wait_kmcnt 0x0
	v_cmp_eq_u64_e32 vcc_lo, s[16:17], v[4:5]
	s_and_b32 s36, s81, vcc_lo
	s_delay_alu instid0(SALU_CYCLE_1)
	s_and_saveexec_b32 s95, s36
	s_mov_b64 s[14:15], s[78:79]
	s_mov_b32 s12, s76
	s_cbranch_execz .LBB63_4173
; %bb.3231:
	v_cmp_eq_u64_e32 vcc_lo, s[20:21], v[8:9]
	s_mov_b32 s58, -1
	s_mov_b32 s59, s85
	s_mov_b32 s35, s71
	;; [unrolled: 1-line block ×3, first 2 shown]
	s_and_b32 s1, s52, vcc_lo
	s_delay_alu instid0(SALU_CYCLE_1)
	s_and_saveexec_b32 s96, s1
	s_cbranch_execz .LBB63_3695
; %bb.3232:
	s_load_b512 s[4:19], s[2:3], 0x248
	v_sub_nc_u64_e32 v[4:5], v[10:11], v[12:13]
	s_mov_b32 s1, 0
	s_mov_b32 s35, -1
	s_mov_b32 s58, s70
	s_wait_kmcnt 0x0
	s_delay_alu instid0(VALU_DEP_1) | instskip(SKIP_4) | instid1(SALU_CYCLE_1)
	v_cmp_le_i64_e32 vcc_lo, s[16:17], v[4:5]
	v_cmp_ge_i64_e64 s0, s[18:19], v[4:5]
	s_and_b32 s36, vcc_lo, s0
	s_mov_b32 s0, s71
	s_and_b32 s36, s77, s36
	s_and_saveexec_b32 s97, s36
	s_cbranch_execz .LBB63_3694
; %bb.3233:
	v_cmp_lt_i64_e64 s0, s[20:21], 1
	v_mov_b64_e32 v[4:5], 0
	s_xor_b32 s1, s49, -1
	s_delay_alu instid0(SALU_CYCLE_1) | instskip(NEXT) | instid1(SALU_CYCLE_1)
	s_or_b32 s0, s0, s1
	s_and_b32 vcc_lo, exec_lo, s0
	s_cbranch_vccnz .LBB63_3241
; %bb.3234:
	v_mul_u64_e32 v[8:9], s[20:21], v[14:15]
	s_mov_b32 s59, 0
	v_mov_b64_e32 v[4:5], 0
	s_mov_b32 s35, s59
	v_mov_b32_e32 v6, 0
	s_lshl_b64 s[0:1], s[34:35], 3
	s_mov_b32 s35, s22
	s_add_nc_u64 s[60:61], s[24:25], s[0:1]
	s_add_nc_u64 s[62:63], s[26:27], s[0:1]
	s_branch .LBB63_3236
.LBB63_3235:                            ;   in Loop: Header=BB63_3236 Depth=1
	s_or_b32 exec_lo, exec_lo, s0
	global_load_b64 v[16:17], v6, s[62:63]
	v_mul_u64_e32 v[18:19], s[64:65], v[14:15]
	s_add_co_i32 s35, s35, -1
	s_add_nc_u64 s[60:61], s[60:61], -8
	s_cmp_lg_u32 s35, 0
	s_wait_xcnt 0x0
	s_add_nc_u64 s[62:63], s[62:63], -8
	s_delay_alu instid0(VALU_DEP_1) | instskip(SKIP_1) | instid1(VALU_DEP_1)
	v_sub_nc_u64_e32 v[8:9], v[8:9], v[18:19]
	s_wait_loadcnt 0x0
	v_mad_nc_u64_u32 v[4:5], v8, v16, v[4:5]
	s_delay_alu instid0(VALU_DEP_1) | instskip(NEXT) | instid1(VALU_DEP_1)
	v_mad_u32 v1, v9, v16, v5
	v_mad_u32 v5, v8, v17, v1
	v_mov_b64_e32 v[8:9], v[14:15]
	s_cbranch_scc0 .LBB63_3241
.LBB63_3236:                            ; =>This Inner Loop Header: Depth=1
	global_load_b64 v[14:15], v6, s[60:61]
	s_mov_b32 s0, exec_lo
	s_wait_loadcnt 0x0
	v_or_b32_e32 v7, v9, v15
	v_readfirstlane_b32 s64, v14
	v_readfirstlane_b32 s65, v15
                                        ; implicit-def: $vgpr14_vgpr15
	s_wait_xcnt 0x0
	s_delay_alu instid0(VALU_DEP_3)
	v_cmpx_ne_u64_e32 0, v[6:7]
	s_xor_b32 s98, exec_lo, s0
	s_cbranch_execz .LBB63_3238
; %bb.3237:                             ;   in Loop: Header=BB63_3236 Depth=1
	s_ashr_i32 s66, s65, 31
	s_mov_b32 s8, s69
	s_mov_b32 s67, s66
	;; [unrolled: 1-line block ×3, first 2 shown]
	s_add_nc_u64 s[0:1], s[64:65], s[66:67]
	s_mov_b64 s[4:5], s[40:41]
	s_xor_b64 s[68:69], s[0:1], s[66:67]
	s_mov_b64 s[6:7], s[42:43]
	s_cvt_f32_u32 s0, s68
	s_cvt_f32_u32 s1, s69
	s_sub_nc_u64 s[36:37], 0, s[68:69]
	s_mov_b32 s9, s48
	v_dual_mov_b32 v19, v6 :: v_dual_ashrrev_i32 v14, 31, v9
	s_fmamk_f32 s0, s1, 0x4f800000, s0
	s_delay_alu instid0(VALU_DEP_1) | instskip(NEXT) | instid1(SALU_CYCLE_2)
	v_mov_b32_e32 v15, v14
	v_s_rcp_f32 s0, s0
	s_delay_alu instid0(VALU_DEP_1) | instskip(SKIP_1) | instid1(TRANS32_DEP_1)
	v_add_nc_u64_e32 v[16:17], v[8:9], v[14:15]
	v_mov_b32_e32 v21, v6
	s_mul_f32 s0, s0, 0x5f7ffffc
	s_delay_alu instid0(VALU_DEP_2) | instskip(NEXT) | instid1(SALU_CYCLE_2)
	v_xor_b32_e32 v18, v16, v14
	s_mul_f32 s1, s0, 0x2f800000
	s_delay_alu instid0(VALU_DEP_3) | instskip(SKIP_1) | instid1(SALU_CYCLE_1)
	v_dual_mov_b32 v27, v6 :: v_dual_bitop2_b32 v20, v17, v14 bitop3:0x14
	v_xor_b32_e32 v14, s66, v14
	s_trunc_f32 s1, s1
	s_delay_alu instid0(SALU_CYCLE_3) | instskip(SKIP_1) | instid1(SALU_CYCLE_2)
	s_fmamk_f32 s0, s1, 0xcf800000, s0
	s_cvt_u32_f32 s1, s1
	s_cvt_u32_f32 s0, s0
	s_delay_alu instid0(SALU_CYCLE_3) | instskip(NEXT) | instid1(SALU_CYCLE_1)
	s_mul_u64 s[38:39], s[36:37], s[0:1]
	s_mul_hi_u32 s41, s0, s39
	s_mul_i32 s40, s0, s39
	s_mul_hi_u32 s58, s0, s38
	s_mul_i32 s43, s1, s38
	s_add_nc_u64 s[40:41], s[58:59], s[40:41]
	s_mul_hi_u32 s42, s1, s38
	s_mul_hi_u32 s48, s1, s39
	s_mul_i32 s38, s1, s39
	s_add_co_u32 s39, s40, s43
	s_add_co_ci_u32 s58, s41, s42
	s_add_co_ci_u32 s39, s48, 0
	s_mov_b32 s48, s9
	s_add_nc_u64 s[38:39], s[58:59], s[38:39]
	s_delay_alu instid0(SALU_CYCLE_1) | instskip(SKIP_1) | instid1(SALU_CYCLE_1)
	s_add_co_u32 s0, s0, s38
	s_cselect_b32 s38, -1, 0
	s_cmp_lg_u32 s38, 0
	s_add_co_ci_u32 s1, s1, s39
	s_delay_alu instid0(SALU_CYCLE_1) | instskip(NEXT) | instid1(SALU_CYCLE_1)
	s_mul_u64 s[36:37], s[36:37], s[0:1]
	s_mul_hi_u32 s39, s0, s37
	s_mul_i32 s38, s0, s37
	s_mul_hi_u32 s58, s0, s36
	s_mul_i32 s41, s1, s36
	s_add_nc_u64 s[38:39], s[58:59], s[38:39]
	s_mul_hi_u32 s40, s1, s36
	s_mul_hi_u32 s42, s1, s37
	s_mul_i32 s36, s1, s37
	s_add_co_u32 s37, s38, s41
	s_add_co_ci_u32 s58, s39, s40
	s_add_co_ci_u32 s37, s42, 0
	s_mov_b64 s[42:43], s[6:7]
	s_add_nc_u64 s[36:37], s[58:59], s[36:37]
	s_mov_b64 s[40:41], s[4:5]
	s_add_co_u32 s0, s0, s36
	s_cselect_b32 s36, -1, 0
	v_mul_hi_u32 v26, v18, s0
	s_cmp_lg_u32 s36, 0
	s_add_co_ci_u32 s58, s1, s37
	s_mov_b64 s[36:37], 0xffffffff
	v_mul_u64_e32 v[22:23], s[58:59], v[18:19]
	s_and_b64 s[36:37], s[0:1], s[36:37]
	v_mul_u64_e32 v[24:25], s[58:59], v[20:21]
	v_mul_u64_e32 v[16:17], s[36:37], v[20:21]
	s_delay_alu instid0(VALU_DEP_3) | instskip(NEXT) | instid1(VALU_DEP_1)
	v_add_nc_u64_e32 v[22:23], v[26:27], v[22:23]
	v_add_co_u32 v1, vcc_lo, v22, v16
	s_delay_alu instid0(VALU_DEP_2) | instskip(SKIP_1) | instid1(VALU_DEP_1)
	v_add_co_ci_u32_e32 v26, vcc_lo, v23, v17, vcc_lo
	v_add_co_ci_u32_e32 v25, vcc_lo, 0, v25, vcc_lo
	v_add_nc_u64_e32 v[16:17], v[26:27], v[24:25]
	s_delay_alu instid0(VALU_DEP_1) | instskip(NEXT) | instid1(VALU_DEP_1)
	v_mul_u64_e32 v[22:23], s[68:69], v[16:17]
	v_sub_nc_u32_e32 v1, v20, v23
	s_delay_alu instid0(VALU_DEP_2) | instskip(NEXT) | instid1(VALU_DEP_1)
	v_sub_co_u32 v3, vcc_lo, v18, v22
	v_sub_co_ci_u32_e64 v15, null, v20, v23, vcc_lo
	s_delay_alu instid0(VALU_DEP_3) | instskip(NEXT) | instid1(VALU_DEP_3)
	v_subrev_co_ci_u32_e64 v1, null, s69, v1, vcc_lo
	v_sub_co_u32 v7, s0, v3, s68
	v_add_nc_u64_e32 v[20:21], 1, v[16:17]
	s_delay_alu instid0(VALU_DEP_3) | instskip(NEXT) | instid1(VALU_DEP_3)
	v_subrev_co_ci_u32_e64 v1, null, 0, v1, s0
	v_cmp_le_u32_e32 vcc_lo, s68, v7
	v_cndmask_b32_e64 v7, 0, -1, vcc_lo
	s_delay_alu instid0(VALU_DEP_3)
	v_cmp_le_u32_e32 vcc_lo, s69, v1
	v_cndmask_b32_e64 v18, 0, -1, vcc_lo
	v_cmp_le_u32_e32 vcc_lo, s68, v3
	s_mov_b32 s68, s10
	v_cndmask_b32_e64 v3, 0, -1, vcc_lo
	v_cmp_le_u32_e32 vcc_lo, s69, v15
	v_cndmask_b32_e64 v22, 0, -1, vcc_lo
	v_cmp_eq_u32_e32 vcc_lo, s69, v1
	v_cndmask_b32_e32 v1, v18, v7, vcc_lo
	v_cmp_eq_u32_e32 vcc_lo, s69, v15
	v_add_nc_u64_e32 v[18:19], 2, v[16:17]
	v_mov_b32_e32 v15, v14
	s_mov_b32 s69, s8
	v_cndmask_b32_e32 v3, v22, v3, vcc_lo
	v_cmp_ne_u32_e32 vcc_lo, 0, v1
	s_delay_alu instid0(VALU_DEP_2) | instskip(SKIP_1) | instid1(VALU_DEP_1)
	v_cmp_ne_u32_e64 s0, 0, v3
	v_dual_cndmask_b32 v1, v21, v19, vcc_lo :: v_dual_cndmask_b32 v3, v20, v18, vcc_lo
	v_dual_cndmask_b32 v1, v17, v1, s0 :: v_dual_cndmask_b32 v3, v16, v3, s0
	s_delay_alu instid0(VALU_DEP_1) | instskip(NEXT) | instid1(VALU_DEP_2)
	v_xor_b32_e32 v17, v1, v14
	v_xor_b32_e32 v16, v3, v14
	s_delay_alu instid0(VALU_DEP_1)
	v_sub_nc_u64_e32 v[14:15], v[16:17], v[14:15]
.LBB63_3238:                            ;   in Loop: Header=BB63_3236 Depth=1
	s_and_not1_saveexec_b32 s0, s98
	s_cbranch_execz .LBB63_3235
; %bb.3239:                             ;   in Loop: Header=BB63_3236 Depth=1
	v_cvt_f32_u32_e32 v1, s64
	s_sub_co_i32 s1, 0, s64
	v_mov_b32_e32 v15, v6
	s_delay_alu instid0(VALU_DEP_2) | instskip(SKIP_1) | instid1(TRANS32_DEP_1)
	v_rcp_iflag_f32_e32 v1, v1
	v_nop
	v_mul_f32_e32 v1, 0x4f7ffffe, v1
	s_delay_alu instid0(VALU_DEP_1) | instskip(NEXT) | instid1(VALU_DEP_1)
	v_cvt_u32_f32_e32 v1, v1
	v_mul_lo_u32 v3, s1, v1
	s_delay_alu instid0(VALU_DEP_1) | instskip(NEXT) | instid1(VALU_DEP_1)
	v_mul_hi_u32 v3, v1, v3
	v_add_nc_u32_e32 v1, v1, v3
	s_delay_alu instid0(VALU_DEP_1) | instskip(NEXT) | instid1(VALU_DEP_1)
	v_mul_hi_u32 v1, v8, v1
	v_mul_lo_u32 v3, v1, s64
	s_delay_alu instid0(VALU_DEP_1) | instskip(NEXT) | instid1(VALU_DEP_1)
	v_sub_nc_u32_e32 v3, v8, v3
	v_subrev_nc_u32_e32 v14, s64, v3
	v_cmp_le_u32_e32 vcc_lo, s64, v3
	s_delay_alu instid0(VALU_DEP_2) | instskip(NEXT) | instid1(VALU_DEP_1)
	v_dual_add_nc_u32 v7, 1, v1 :: v_dual_cndmask_b32 v3, v3, v14, vcc_lo
	v_cndmask_b32_e32 v1, v1, v7, vcc_lo
	s_delay_alu instid0(VALU_DEP_2) | instskip(NEXT) | instid1(VALU_DEP_2)
	v_cmp_le_u32_e32 vcc_lo, s64, v3
	v_add_nc_u32_e32 v7, 1, v1
	s_delay_alu instid0(VALU_DEP_1)
	v_cndmask_b32_e32 v14, v1, v7, vcc_lo
	s_branch .LBB63_3235
.LBB63_3240:
	s_mov_b32 s0, 0
	s_mov_b32 s1, s70
	;; [unrolled: 1-line block ×6, first 2 shown]
	s_branch .LBB63_679
.LBB63_3241:
	s_mov_b32 s59, -1
	s_mov_b32 s0, s71
	s_mov_b32 s1, exec_lo
	v_cmpx_gt_i64_e64 v[10:11], v[12:13]
	s_cbranch_execz .LBB63_3247
; %bb.3242:
	s_delay_alu instid0(VALU_DEP_2) | instskip(SKIP_2) | instid1(VALU_DEP_1)
	v_lshlrev_b64_e32 v[4:5], 3, v[4:5]
	s_mov_b32 s0, 0
	s_xor_b32 s58, s69, -1
                                        ; implicit-def: $sgpr35
                                        ; implicit-def: $sgpr60
                                        ; implicit-def: $sgpr59
	v_lshl_add_u64 v[6:7], v[12:13], 3, v[4:5]
	v_add_nc_u64_e32 v[8:9], s[28:29], v[4:5]
	s_delay_alu instid0(VALU_DEP_2) | instskip(NEXT) | instid1(VALU_DEP_1)
	v_add_nc_u64_e32 v[6:7], s[28:29], v[6:7]
	v_add_nc_u64_e32 v[4:5], 8, v[6:7]
	s_delay_alu instid0(VALU_DEP_3)
	v_lshl_add_u64 v[6:7], v[10:11], 3, v[8:9]
	s_branch .LBB63_3244
.LBB63_3243:                            ;   in Loop: Header=BB63_3244 Depth=1
	s_or_b32 exec_lo, exec_lo, s61
	s_delay_alu instid0(SALU_CYCLE_1) | instskip(NEXT) | instid1(SALU_CYCLE_1)
	s_and_b32 s36, exec_lo, s60
	s_or_b32 s0, s36, s0
	s_and_not1_b32 s35, s35, exec_lo
	s_and_b32 s36, s59, exec_lo
	s_delay_alu instid0(SALU_CYCLE_1)
	s_or_b32 s35, s35, s36
	s_and_not1_b32 exec_lo, exec_lo, s0
	s_cbranch_execz .LBB63_3246
.LBB63_3244:                            ; =>This Inner Loop Header: Depth=1
	s_or_b32 s59, s59, exec_lo
	s_or_b32 s60, s60, exec_lo
	s_mov_b32 s61, exec_lo
	s_delay_alu instid0(VALU_DEP_2)
	v_cmpx_lt_u64_e64 v[4:5], v[6:7]
	s_cbranch_execz .LBB63_3243
; %bb.3245:                             ;   in Loop: Header=BB63_3244 Depth=1
	global_load_b128 v[8:11], v[4:5], off offset:-8
	s_wait_xcnt 0x0
	v_add_nc_u64_e32 v[4:5], 8, v[4:5]
	s_and_not1_b32 s37, s60, exec_lo
	s_and_not1_b32 s59, s59, exec_lo
	s_wait_loadcnt 0x0
	v_cmp_ge_i64_e32 vcc_lo, v[8:9], v[10:11]
	s_or_b32 s36, s58, vcc_lo
	s_delay_alu instid0(SALU_CYCLE_1) | instskip(NEXT) | instid1(SALU_CYCLE_1)
	s_and_b32 s36, s36, exec_lo
	s_or_b32 s60, s37, s36
	s_branch .LBB63_3243
.LBB63_3246:
	s_or_b32 exec_lo, exec_lo, s0
	s_delay_alu instid0(SALU_CYCLE_1)
	s_or_b32 s0, s71, exec_lo
	s_or_not1_b32 s59, s35, exec_lo
.LBB63_3247:
	s_or_b32 exec_lo, exec_lo, s1
	s_mov_b32 s1, 0
	s_mov_b32 s58, s70
	s_and_saveexec_b32 s35, s59
	s_cbranch_execz .LBB63_3693
; %bb.3248:
	s_load_b512 s[4:19], s[2:3], 0x248
	v_mov_b32_e32 v3, 0
	s_and_b32 s59, s30, 0xff
	s_delay_alu instid0(SALU_CYCLE_1) | instskip(SKIP_1) | instid1(VALU_DEP_1)
	s_cmp_lt_i32 s59, 11
	s_wait_kmcnt 0x0
	v_add_nc_u64_e32 v[2:3], s[4:5], v[2:3]
	s_cbranch_scc1 .LBB63_3255
; %bb.3249:
	s_and_b32 s60, 0xffff, s59
	s_delay_alu instid0(SALU_CYCLE_1)
	s_cmp_gt_i32 s60, 25
	s_cbranch_scc0 .LBB63_3256
; %bb.3250:
	s_cmp_gt_i32 s60, 28
	s_cbranch_scc0 .LBB63_3257
; %bb.3251:
	s_mov_b32 s4, s53
	s_mov_b32 s5, s52
	;; [unrolled: 1-line block ×4, first 2 shown]
	s_cmp_gt_i32 s60, 43
	s_cbranch_scc0 .LBB63_3465
; %bb.3252:
	s_cmp_gt_i32 s60, 45
	s_cbranch_scc0 .LBB63_3609
; %bb.3253:
	s_mov_b32 s58, -1
	s_cmp_eq_u32 s60, 46
	s_mov_b32 s61, 0
	s_cbranch_scc0 .LBB63_3610
; %bb.3254:
	v_mov_b32_e32 v1, 0
	s_mov_b32 s61, -1
	s_mov_b32 s58, 0
	global_store_b32 v[2:3], v1, off
	s_branch .LBB63_3610
.LBB63_3255:
	s_mov_b32 s1, -1
	s_mov_b32 s61, 0
	s_mov_b32 s58, s70
	s_branch .LBB63_3650
.LBB63_3256:
	s_mov_b32 s1, -1
	s_mov_b32 s61, 0
	s_mov_b32 s58, s70
	s_branch .LBB63_3629
.LBB63_3257:
	s_mov_b32 s1, -1
	s_mov_b32 s61, 0
	s_mov_b32 s58, s70
	s_branch .LBB63_3618
.LBB63_3258:
	s_mov_b32 s45, -1
                                        ; implicit-def: $vgpr10_vgpr11
.LBB63_3259:
	s_mov_b32 s1, 0
.LBB63_3260:
	s_delay_alu instid0(SALU_CYCLE_1)
	s_and_b32 vcc_lo, exec_lo, s1
	s_cbranch_vccz .LBB63_3264
; %bb.3261:
	s_cmp_eq_u32 s35, 29
	s_cbranch_scc0 .LBB63_3263
; %bb.3262:
	global_load_b64 v[10:11], v[14:15], off
	s_mov_b32 s46, -1
	s_mov_b32 s45, 0
	s_branch .LBB63_3264
.LBB63_3263:
	s_mov_b32 s45, -1
                                        ; implicit-def: $vgpr10_vgpr11
.LBB63_3264:
	s_mov_b32 s1, 0
.LBB63_3265:
	s_delay_alu instid0(SALU_CYCLE_1)
	s_and_b32 vcc_lo, exec_lo, s1
	s_cbranch_vccz .LBB63_3281
; %bb.3266:
	s_cmp_lt_i32 s35, 27
	s_cbranch_scc1 .LBB63_3269
; %bb.3267:
	s_cmp_gt_i32 s35, 27
	s_cbranch_scc0 .LBB63_3270
; %bb.3268:
	s_wait_loadcnt 0x0
	global_load_b32 v10, v[14:15], off
	v_mov_b32_e32 v11, 0
	s_mov_b32 s1, 0
	s_branch .LBB63_3271
.LBB63_3269:
	s_mov_b32 s1, -1
                                        ; implicit-def: $vgpr10_vgpr11
	s_branch .LBB63_3274
.LBB63_3270:
	s_mov_b32 s1, -1
                                        ; implicit-def: $vgpr10_vgpr11
.LBB63_3271:
	s_delay_alu instid0(SALU_CYCLE_1)
	s_and_not1_b32 vcc_lo, exec_lo, s1
	s_cbranch_vccnz .LBB63_3273
; %bb.3272:
	global_load_u16 v1, v[14:15], off
	s_mov_b32 s1, 0
	s_wait_loadcnt 0x1
	v_mov_b32_e32 v11, s1
	s_wait_loadcnt 0x0
	v_and_b32_e32 v10, 0xffff, v1
.LBB63_3273:
	s_mov_b32 s1, 0
.LBB63_3274:
	s_delay_alu instid0(SALU_CYCLE_1)
	s_and_not1_b32 vcc_lo, exec_lo, s1
	s_cbranch_vccnz .LBB63_3280
; %bb.3275:
	global_load_u8 v1, v[14:15], off
	s_mov_b32 s46, 0
	s_mov_b32 s1, exec_lo
	s_wait_loadcnt 0x0
	v_cmpx_lt_i16_e32 0x7f, v1
	s_xor_b32 s1, exec_lo, s1
	s_cbranch_execz .LBB63_3292
; %bb.3276:
	v_cmp_ne_u16_e32 vcc_lo, 0x80, v1
	s_and_b32 s46, vcc_lo, exec_lo
	s_and_not1_saveexec_b32 s1, s1
	s_cbranch_execnz .LBB63_3293
.LBB63_3277:
	s_or_b32 exec_lo, exec_lo, s1
	v_mov_b64_e32 v[10:11], 0
	s_and_saveexec_b32 s1, s46
	s_cbranch_execz .LBB63_3279
.LBB63_3278:
	v_and_b32_e32 v3, 0xffff, v1
	s_delay_alu instid0(VALU_DEP_1) | instskip(SKIP_1) | instid1(VALU_DEP_2)
	v_and_b32_e32 v7, 7, v3
	v_bfe_u32 v16, v3, 3, 4
	v_clz_i32_u32_e32 v10, v7
	s_delay_alu instid0(VALU_DEP_2) | instskip(NEXT) | instid1(VALU_DEP_2)
	v_cmp_eq_u32_e32 vcc_lo, 0, v16
	v_min_u32_e32 v10, 32, v10
	s_delay_alu instid0(VALU_DEP_1) | instskip(NEXT) | instid1(VALU_DEP_1)
	v_subrev_nc_u32_e32 v11, 28, v10
	v_dual_lshlrev_b32 v3, v11, v3 :: v_dual_sub_nc_u32 v10, 29, v10
	s_delay_alu instid0(VALU_DEP_1) | instskip(NEXT) | instid1(VALU_DEP_1)
	v_dual_lshlrev_b32 v1, 24, v1 :: v_dual_bitop2_b32 v3, 7, v3 bitop3:0x40
	v_dual_cndmask_b32 v10, v16, v10 :: v_dual_cndmask_b32 v3, v7, v3
	s_delay_alu instid0(VALU_DEP_2) | instskip(NEXT) | instid1(VALU_DEP_2)
	v_and_b32_e32 v1, 0x80000000, v1
	v_lshl_add_u32 v7, v10, 23, 0x3b800000
	s_delay_alu instid0(VALU_DEP_3) | instskip(NEXT) | instid1(VALU_DEP_1)
	v_lshlrev_b32_e32 v3, 20, v3
	v_or3_b32 v1, v1, v7, v3
	s_delay_alu instid0(VALU_DEP_1) | instskip(NEXT) | instid1(VALU_DEP_1)
	v_trunc_f32_e32 v1, v1
	v_mul_f32_e64 v3, 0x2f800000, |v1|
	v_ashrrev_i32_e32 v10, 31, v1
	s_delay_alu instid0(VALU_DEP_2) | instskip(NEXT) | instid1(VALU_DEP_2)
	v_floor_f32_e32 v3, v3
	v_mov_b32_e32 v11, v10
	s_delay_alu instid0(VALU_DEP_2) | instskip(SKIP_1) | instid1(VALU_DEP_2)
	v_fma_f32 v7, 0xcf800000, v3, |v1|
	v_cvt_u32_f32_e32 v1, v3
	v_cvt_u32_f32_e32 v3, v7
	s_delay_alu instid0(VALU_DEP_2) | instskip(NEXT) | instid1(VALU_DEP_2)
	v_xor_b32_e32 v17, v1, v10
	v_xor_b32_e32 v16, v3, v10
	s_delay_alu instid0(VALU_DEP_1)
	v_sub_nc_u64_e32 v[10:11], v[16:17], v[10:11]
.LBB63_3279:
	s_or_b32 exec_lo, exec_lo, s1
.LBB63_3280:
	s_mov_b32 s46, -1
.LBB63_3281:
	s_mov_b32 s1, 0
.LBB63_3282:
	s_delay_alu instid0(SALU_CYCLE_1)
	s_and_b32 vcc_lo, exec_lo, s1
	s_cbranch_vccz .LBB63_3315
; %bb.3283:
	s_cmp_gt_i32 s35, 22
	s_cbranch_scc0 .LBB63_3291
; %bb.3284:
	s_cmp_lt_i32 s35, 24
	s_cbranch_scc1 .LBB63_3294
; %bb.3285:
	s_cmp_gt_i32 s35, 24
	s_cbranch_scc0 .LBB63_3295
; %bb.3286:
	global_load_u8 v1, v[14:15], off
	s_mov_b32 s46, 0
	s_mov_b32 s1, exec_lo
	s_wait_loadcnt 0x0
	v_cmpx_lt_i16_e32 0x7f, v1
	s_xor_b32 s1, exec_lo, s1
	s_cbranch_execz .LBB63_3307
; %bb.3287:
	v_cmp_ne_u16_e32 vcc_lo, 0x80, v1
	s_and_b32 s46, vcc_lo, exec_lo
	s_and_not1_saveexec_b32 s1, s1
	s_cbranch_execnz .LBB63_3308
.LBB63_3288:
	s_or_b32 exec_lo, exec_lo, s1
	v_mov_b64_e32 v[10:11], 0
	s_and_saveexec_b32 s1, s46
	s_cbranch_execz .LBB63_3290
.LBB63_3289:
	v_and_b32_e32 v3, 0xffff, v1
	s_delay_alu instid0(VALU_DEP_1) | instskip(SKIP_1) | instid1(VALU_DEP_2)
	v_and_b32_e32 v7, 3, v3
	v_bfe_u32 v16, v3, 2, 5
	v_clz_i32_u32_e32 v10, v7
	s_delay_alu instid0(VALU_DEP_2) | instskip(NEXT) | instid1(VALU_DEP_2)
	v_cmp_eq_u32_e32 vcc_lo, 0, v16
	v_min_u32_e32 v10, 32, v10
	s_delay_alu instid0(VALU_DEP_1) | instskip(NEXT) | instid1(VALU_DEP_1)
	v_subrev_nc_u32_e32 v11, 29, v10
	v_dual_lshlrev_b32 v3, v11, v3 :: v_dual_sub_nc_u32 v10, 30, v10
	s_delay_alu instid0(VALU_DEP_1) | instskip(NEXT) | instid1(VALU_DEP_1)
	v_dual_lshlrev_b32 v1, 24, v1 :: v_dual_bitop2_b32 v3, 3, v3 bitop3:0x40
	v_dual_cndmask_b32 v10, v16, v10 :: v_dual_cndmask_b32 v3, v7, v3
	s_delay_alu instid0(VALU_DEP_2) | instskip(NEXT) | instid1(VALU_DEP_2)
	v_and_b32_e32 v1, 0x80000000, v1
	v_lshl_add_u32 v7, v10, 23, 0x37800000
	s_delay_alu instid0(VALU_DEP_3) | instskip(NEXT) | instid1(VALU_DEP_1)
	v_lshlrev_b32_e32 v3, 21, v3
	v_or3_b32 v1, v1, v7, v3
	s_delay_alu instid0(VALU_DEP_1) | instskip(NEXT) | instid1(VALU_DEP_1)
	v_trunc_f32_e32 v1, v1
	v_mul_f32_e64 v3, 0x2f800000, |v1|
	v_ashrrev_i32_e32 v10, 31, v1
	s_delay_alu instid0(VALU_DEP_2) | instskip(NEXT) | instid1(VALU_DEP_2)
	v_floor_f32_e32 v3, v3
	v_mov_b32_e32 v11, v10
	s_delay_alu instid0(VALU_DEP_2) | instskip(SKIP_1) | instid1(VALU_DEP_2)
	v_fma_f32 v7, 0xcf800000, v3, |v1|
	v_cvt_u32_f32_e32 v1, v3
	v_cvt_u32_f32_e32 v3, v7
	s_delay_alu instid0(VALU_DEP_2) | instskip(NEXT) | instid1(VALU_DEP_2)
	v_xor_b32_e32 v17, v1, v10
	v_xor_b32_e32 v16, v3, v10
	s_delay_alu instid0(VALU_DEP_1)
	v_sub_nc_u64_e32 v[10:11], v[16:17], v[10:11]
.LBB63_3290:
	s_or_b32 exec_lo, exec_lo, s1
	s_mov_b32 s1, 0
	s_branch .LBB63_3296
.LBB63_3291:
	s_mov_b32 s1, -1
                                        ; implicit-def: $vgpr10_vgpr11
	s_branch .LBB63_3302
.LBB63_3292:
	s_and_not1_saveexec_b32 s1, s1
	s_cbranch_execz .LBB63_3277
.LBB63_3293:
	v_cmp_ne_u16_e32 vcc_lo, 0, v1
	s_and_not1_b32 s36, s46, exec_lo
	s_and_b32 s37, vcc_lo, exec_lo
	s_delay_alu instid0(SALU_CYCLE_1)
	s_or_b32 s46, s36, s37
	s_or_b32 exec_lo, exec_lo, s1
	v_mov_b64_e32 v[10:11], 0
	s_and_saveexec_b32 s1, s46
	s_cbranch_execnz .LBB63_3278
	s_branch .LBB63_3279
.LBB63_3294:
	s_mov_b32 s1, -1
                                        ; implicit-def: $vgpr10_vgpr11
	s_branch .LBB63_3299
.LBB63_3295:
	s_mov_b32 s1, -1
                                        ; implicit-def: $vgpr10_vgpr11
.LBB63_3296:
	s_delay_alu instid0(SALU_CYCLE_1)
	s_and_b32 vcc_lo, exec_lo, s1
	s_cbranch_vccz .LBB63_3298
; %bb.3297:
	global_load_u8 v1, v[14:15], off
	s_wait_loadcnt 0x0
	v_lshlrev_b32_e32 v1, 24, v1
	s_delay_alu instid0(VALU_DEP_1) | instskip(NEXT) | instid1(VALU_DEP_1)
	v_and_b32_e32 v3, 0x7f000000, v1
	v_clz_i32_u32_e32 v7, v3
	v_add_nc_u32_e32 v11, 0x1000000, v3
	v_cmp_ne_u32_e32 vcc_lo, 0, v3
	s_delay_alu instid0(VALU_DEP_3) | instskip(NEXT) | instid1(VALU_DEP_1)
	v_min_u32_e32 v7, 32, v7
	v_sub_nc_u32_e64 v7, v7, 4 clamp
	s_delay_alu instid0(VALU_DEP_1) | instskip(NEXT) | instid1(VALU_DEP_1)
	v_lshlrev_b32_e32 v10, v7, v3
	v_dual_lshlrev_b32 v7, 23, v7 :: v_dual_lshrrev_b32 v10, 4, v10
	s_delay_alu instid0(VALU_DEP_1) | instskip(SKIP_1) | instid1(VALU_DEP_2)
	v_sub_nc_u32_e32 v7, v10, v7
	v_ashrrev_i32_e32 v10, 8, v11
	v_add_nc_u32_e32 v7, 0x3c000000, v7
	s_delay_alu instid0(VALU_DEP_1) | instskip(NEXT) | instid1(VALU_DEP_1)
	v_and_or_b32 v7, 0x7f800000, v10, v7
	v_cndmask_b32_e32 v3, 0, v7, vcc_lo
	s_delay_alu instid0(VALU_DEP_1) | instskip(NEXT) | instid1(VALU_DEP_1)
	v_and_or_b32 v1, 0x80000000, v1, v3
	v_trunc_f32_e32 v1, v1
	s_delay_alu instid0(VALU_DEP_1) | instskip(SKIP_1) | instid1(VALU_DEP_2)
	v_mul_f32_e64 v3, 0x2f800000, |v1|
	v_ashrrev_i32_e32 v10, 31, v1
	v_floor_f32_e32 v3, v3
	s_delay_alu instid0(VALU_DEP_2) | instskip(NEXT) | instid1(VALU_DEP_2)
	v_mov_b32_e32 v11, v10
	v_fma_f32 v7, 0xcf800000, v3, |v1|
	v_cvt_u32_f32_e32 v1, v3
	s_delay_alu instid0(VALU_DEP_2) | instskip(NEXT) | instid1(VALU_DEP_2)
	v_cvt_u32_f32_e32 v3, v7
	v_xor_b32_e32 v17, v1, v10
	s_delay_alu instid0(VALU_DEP_2) | instskip(NEXT) | instid1(VALU_DEP_1)
	v_xor_b32_e32 v16, v3, v10
	v_sub_nc_u64_e32 v[10:11], v[16:17], v[10:11]
.LBB63_3298:
	s_mov_b32 s1, 0
.LBB63_3299:
	s_delay_alu instid0(SALU_CYCLE_1)
	s_and_not1_b32 vcc_lo, exec_lo, s1
	s_cbranch_vccnz .LBB63_3301
; %bb.3300:
	global_load_u8 v1, v[14:15], off
	s_wait_loadcnt 0x0
	v_lshlrev_b32_e32 v3, 25, v1
	v_lshlrev_b16 v1, 8, v1
	s_delay_alu instid0(VALU_DEP_1) | instskip(SKIP_1) | instid1(VALU_DEP_2)
	v_and_or_b32 v10, 0x7f00, v1, 0.5
	v_bfe_i32 v1, v1, 0, 16
	v_dual_add_f32 v10, -0.5, v10 :: v_dual_lshrrev_b32 v7, 4, v3
	v_cmp_gt_u32_e32 vcc_lo, 0x8000000, v3
	s_delay_alu instid0(VALU_DEP_2) | instskip(NEXT) | instid1(VALU_DEP_1)
	v_or_b32_e32 v7, 0x70000000, v7
	v_mul_f32_e32 v7, 0x7800000, v7
	s_delay_alu instid0(VALU_DEP_1) | instskip(NEXT) | instid1(VALU_DEP_1)
	v_cndmask_b32_e32 v3, v7, v10, vcc_lo
	v_and_or_b32 v1, 0x80000000, v1, v3
	s_delay_alu instid0(VALU_DEP_1) | instskip(NEXT) | instid1(VALU_DEP_1)
	v_trunc_f32_e32 v1, v1
	v_mul_f32_e64 v3, 0x2f800000, |v1|
	v_ashrrev_i32_e32 v10, 31, v1
	s_delay_alu instid0(VALU_DEP_2) | instskip(NEXT) | instid1(VALU_DEP_2)
	v_floor_f32_e32 v3, v3
	v_mov_b32_e32 v11, v10
	s_delay_alu instid0(VALU_DEP_2) | instskip(SKIP_1) | instid1(VALU_DEP_2)
	v_fma_f32 v7, 0xcf800000, v3, |v1|
	v_cvt_u32_f32_e32 v1, v3
	v_cvt_u32_f32_e32 v3, v7
	s_delay_alu instid0(VALU_DEP_2) | instskip(NEXT) | instid1(VALU_DEP_2)
	v_xor_b32_e32 v17, v1, v10
	v_xor_b32_e32 v16, v3, v10
	s_delay_alu instid0(VALU_DEP_1)
	v_sub_nc_u64_e32 v[10:11], v[16:17], v[10:11]
.LBB63_3301:
	s_mov_b32 s1, 0
	s_mov_b32 s46, -1
.LBB63_3302:
	s_and_not1_b32 vcc_lo, exec_lo, s1
	s_cbranch_vccnz .LBB63_3315
; %bb.3303:
	s_cmp_gt_i32 s35, 14
	s_cbranch_scc0 .LBB63_3306
; %bb.3304:
	s_cmp_eq_u32 s35, 15
	s_cbranch_scc0 .LBB63_3309
; %bb.3305:
	global_load_u16 v1, v[14:15], off
	s_mov_b32 s46, -1
	s_mov_b32 s45, 0
	s_wait_loadcnt 0x0
	v_lshlrev_b32_e32 v1, 16, v1
	s_delay_alu instid0(VALU_DEP_1) | instskip(NEXT) | instid1(VALU_DEP_1)
	v_trunc_f32_e32 v1, v1
	v_mul_f32_e64 v3, 0x2f800000, |v1|
	v_ashrrev_i32_e32 v10, 31, v1
	s_delay_alu instid0(VALU_DEP_2) | instskip(NEXT) | instid1(VALU_DEP_2)
	v_floor_f32_e32 v3, v3
	v_mov_b32_e32 v11, v10
	s_delay_alu instid0(VALU_DEP_2) | instskip(SKIP_1) | instid1(VALU_DEP_2)
	v_fma_f32 v7, 0xcf800000, v3, |v1|
	v_cvt_u32_f32_e32 v1, v3
	v_cvt_u32_f32_e32 v3, v7
	s_delay_alu instid0(VALU_DEP_2) | instskip(NEXT) | instid1(VALU_DEP_2)
	v_xor_b32_e32 v17, v1, v10
	v_xor_b32_e32 v16, v3, v10
	s_delay_alu instid0(VALU_DEP_1)
	v_sub_nc_u64_e32 v[10:11], v[16:17], v[10:11]
	s_branch .LBB63_3310
.LBB63_3306:
	s_mov_b32 s1, -1
                                        ; implicit-def: $vgpr10_vgpr11
	s_branch .LBB63_3311
.LBB63_3307:
	s_and_not1_saveexec_b32 s1, s1
	s_cbranch_execz .LBB63_3288
.LBB63_3308:
	v_cmp_ne_u16_e32 vcc_lo, 0, v1
	s_and_not1_b32 s36, s46, exec_lo
	s_and_b32 s37, vcc_lo, exec_lo
	s_delay_alu instid0(SALU_CYCLE_1)
	s_or_b32 s46, s36, s37
	s_or_b32 exec_lo, exec_lo, s1
	v_mov_b64_e32 v[10:11], 0
	s_and_saveexec_b32 s1, s46
	s_cbranch_execnz .LBB63_3289
	s_branch .LBB63_3290
.LBB63_3309:
	s_mov_b32 s45, -1
                                        ; implicit-def: $vgpr10_vgpr11
.LBB63_3310:
	s_mov_b32 s1, 0
.LBB63_3311:
	s_delay_alu instid0(SALU_CYCLE_1)
	s_and_b32 vcc_lo, exec_lo, s1
	s_cbranch_vccz .LBB63_3315
; %bb.3312:
	s_cmp_eq_u32 s35, 11
	s_cbranch_scc0 .LBB63_3314
; %bb.3313:
	global_load_u8 v1, v[14:15], off
	s_mov_b32 s45, 0
	s_mov_b32 s46, -1
	s_wait_loadcnt 0x1
	v_mov_b32_e32 v11, s45
	s_wait_loadcnt 0x0
	v_cmp_ne_u16_e32 vcc_lo, 0, v1
	v_cndmask_b32_e64 v10, 0, 1, vcc_lo
	s_branch .LBB63_3315
.LBB63_3314:
	s_mov_b32 s45, -1
                                        ; implicit-def: $vgpr10_vgpr11
.LBB63_3315:
	s_mov_b32 s1, 0
.LBB63_3316:
	s_delay_alu instid0(SALU_CYCLE_1)
	s_and_b32 vcc_lo, exec_lo, s1
	s_cbranch_vccz .LBB63_3365
; %bb.3317:
	s_and_b32 s0, 0xffff, s0
	s_delay_alu instid0(SALU_CYCLE_1)
	s_cmp_lt_i32 s0, 5
	s_cbranch_scc1 .LBB63_3322
; %bb.3318:
	s_cmp_lt_i32 s0, 8
	s_cbranch_scc1 .LBB63_3323
; %bb.3319:
	;; [unrolled: 3-line block ×3, first 2 shown]
	s_cmp_gt_i32 s0, 9
	s_cbranch_scc0 .LBB63_3325
; %bb.3321:
	s_wait_loadcnt 0x0
	global_load_b64 v[10:11], v[14:15], off
	s_mov_b32 s1, 0
	s_wait_loadcnt 0x0
	v_trunc_f64_e32 v[10:11], v[10:11]
	s_delay_alu instid0(VALU_DEP_1) | instskip(NEXT) | instid1(VALU_DEP_1)
	v_ldexp_f64 v[16:17], v[10:11], 0xffffffe0
	v_floor_f64_e32 v[16:17], v[16:17]
	s_delay_alu instid0(VALU_DEP_1) | instskip(SKIP_1) | instid1(VALU_DEP_2)
	v_fmamk_f64 v[18:19], v[16:17], 0xc1f00000, v[10:11]
	v_cvt_i32_f64_e32 v11, v[16:17]
	v_cvt_u32_f64_e32 v10, v[18:19]
	s_branch .LBB63_3326
.LBB63_3322:
	s_mov_b32 s1, -1
                                        ; implicit-def: $vgpr10_vgpr11
	s_branch .LBB63_3344
.LBB63_3323:
	s_mov_b32 s1, -1
                                        ; implicit-def: $vgpr10_vgpr11
	s_branch .LBB63_3332
.LBB63_3324:
	s_mov_b32 s1, -1
                                        ; implicit-def: $vgpr10_vgpr11
	s_branch .LBB63_3329
.LBB63_3325:
	s_mov_b32 s1, -1
                                        ; implicit-def: $vgpr10_vgpr11
.LBB63_3326:
	s_delay_alu instid0(SALU_CYCLE_1)
	s_and_not1_b32 vcc_lo, exec_lo, s1
	s_cbranch_vccnz .LBB63_3328
; %bb.3327:
	global_load_b32 v1, v[14:15], off
	s_wait_loadcnt 0x0
	v_trunc_f32_e32 v1, v1
	s_delay_alu instid0(VALU_DEP_1) | instskip(SKIP_1) | instid1(VALU_DEP_2)
	v_mul_f32_e64 v3, 0x2f800000, |v1|
	v_ashrrev_i32_e32 v10, 31, v1
	v_floor_f32_e32 v3, v3
	s_delay_alu instid0(VALU_DEP_1) | instskip(SKIP_1) | instid1(VALU_DEP_4)
	v_fma_f32 v7, 0xcf800000, v3, |v1|
	v_cvt_u32_f32_e32 v1, v3
	v_mov_b32_e32 v11, v10
	s_delay_alu instid0(VALU_DEP_3) | instskip(NEXT) | instid1(VALU_DEP_3)
	v_cvt_u32_f32_e32 v3, v7
	v_xor_b32_e32 v17, v1, v10
	s_delay_alu instid0(VALU_DEP_2) | instskip(NEXT) | instid1(VALU_DEP_1)
	v_xor_b32_e32 v16, v3, v10
	v_sub_nc_u64_e32 v[10:11], v[16:17], v[10:11]
.LBB63_3328:
	s_mov_b32 s1, 0
.LBB63_3329:
	s_delay_alu instid0(SALU_CYCLE_1)
	s_and_not1_b32 vcc_lo, exec_lo, s1
	s_cbranch_vccnz .LBB63_3331
; %bb.3330:
	global_load_b32 v1, v[14:15], off
	s_wait_loadcnt 0x0
	v_cvt_f32_f16_e32 v1, v1
	s_delay_alu instid0(VALU_DEP_1) | instskip(NEXT) | instid1(VALU_DEP_1)
	v_cvt_i32_f32_e32 v10, v1
	v_ashrrev_i32_e32 v11, 31, v10
.LBB63_3331:
	s_mov_b32 s1, 0
.LBB63_3332:
	s_delay_alu instid0(SALU_CYCLE_1)
	s_and_not1_b32 vcc_lo, exec_lo, s1
	s_cbranch_vccnz .LBB63_3343
; %bb.3333:
	s_cmp_lt_i32 s0, 6
	s_cbranch_scc1 .LBB63_3336
; %bb.3334:
	s_cmp_gt_i32 s0, 6
	s_cbranch_scc0 .LBB63_3337
; %bb.3335:
	s_wait_loadcnt 0x0
	global_load_b64 v[10:11], v[14:15], off
	s_mov_b32 s1, 0
	s_wait_loadcnt 0x0
	v_trunc_f64_e32 v[10:11], v[10:11]
	s_delay_alu instid0(VALU_DEP_1) | instskip(NEXT) | instid1(VALU_DEP_1)
	v_ldexp_f64 v[16:17], v[10:11], 0xffffffe0
	v_floor_f64_e32 v[16:17], v[16:17]
	s_delay_alu instid0(VALU_DEP_1) | instskip(SKIP_1) | instid1(VALU_DEP_2)
	v_fmamk_f64 v[18:19], v[16:17], 0xc1f00000, v[10:11]
	v_cvt_i32_f64_e32 v11, v[16:17]
	v_cvt_u32_f64_e32 v10, v[18:19]
	s_branch .LBB63_3338
.LBB63_3336:
	s_mov_b32 s1, -1
                                        ; implicit-def: $vgpr10_vgpr11
	s_branch .LBB63_3341
.LBB63_3337:
	s_mov_b32 s1, -1
                                        ; implicit-def: $vgpr10_vgpr11
.LBB63_3338:
	s_delay_alu instid0(SALU_CYCLE_1)
	s_and_not1_b32 vcc_lo, exec_lo, s1
	s_cbranch_vccnz .LBB63_3340
; %bb.3339:
	global_load_b32 v1, v[14:15], off
	s_wait_loadcnt 0x0
	v_trunc_f32_e32 v1, v1
	s_delay_alu instid0(VALU_DEP_1) | instskip(SKIP_1) | instid1(VALU_DEP_2)
	v_mul_f32_e64 v3, 0x2f800000, |v1|
	v_ashrrev_i32_e32 v10, 31, v1
	v_floor_f32_e32 v3, v3
	s_delay_alu instid0(VALU_DEP_1) | instskip(SKIP_1) | instid1(VALU_DEP_4)
	v_fma_f32 v7, 0xcf800000, v3, |v1|
	v_cvt_u32_f32_e32 v1, v3
	v_mov_b32_e32 v11, v10
	s_delay_alu instid0(VALU_DEP_3) | instskip(NEXT) | instid1(VALU_DEP_3)
	v_cvt_u32_f32_e32 v3, v7
	v_xor_b32_e32 v17, v1, v10
	s_delay_alu instid0(VALU_DEP_2) | instskip(NEXT) | instid1(VALU_DEP_1)
	v_xor_b32_e32 v16, v3, v10
	v_sub_nc_u64_e32 v[10:11], v[16:17], v[10:11]
.LBB63_3340:
	s_mov_b32 s1, 0
.LBB63_3341:
	s_delay_alu instid0(SALU_CYCLE_1)
	s_and_not1_b32 vcc_lo, exec_lo, s1
	s_cbranch_vccnz .LBB63_3343
; %bb.3342:
	global_load_u16 v1, v[14:15], off
	s_wait_loadcnt 0x0
	v_cvt_f32_f16_e32 v1, v1
	s_delay_alu instid0(VALU_DEP_1) | instskip(NEXT) | instid1(VALU_DEP_1)
	v_cvt_i32_f32_e32 v10, v1
	v_ashrrev_i32_e32 v11, 31, v10
.LBB63_3343:
	s_mov_b32 s1, 0
.LBB63_3344:
	s_delay_alu instid0(SALU_CYCLE_1)
	s_and_not1_b32 vcc_lo, exec_lo, s1
	s_cbranch_vccnz .LBB63_3364
; %bb.3345:
	s_cmp_lt_i32 s0, 2
	s_cbranch_scc1 .LBB63_3349
; %bb.3346:
	s_cmp_lt_i32 s0, 3
	s_cbranch_scc1 .LBB63_3350
; %bb.3347:
	s_cmp_gt_i32 s0, 3
	s_cbranch_scc0 .LBB63_3351
; %bb.3348:
	s_wait_loadcnt 0x0
	global_load_b64 v[10:11], v[14:15], off
	s_mov_b32 s1, 0
	s_branch .LBB63_3352
.LBB63_3349:
	s_mov_b32 s1, -1
                                        ; implicit-def: $vgpr10_vgpr11
	s_branch .LBB63_3358
.LBB63_3350:
	s_mov_b32 s1, -1
                                        ; implicit-def: $vgpr10_vgpr11
	s_branch .LBB63_3355
.LBB63_3351:
	s_mov_b32 s1, -1
                                        ; implicit-def: $vgpr10_vgpr11
.LBB63_3352:
	s_delay_alu instid0(SALU_CYCLE_1)
	s_and_not1_b32 vcc_lo, exec_lo, s1
	s_cbranch_vccnz .LBB63_3354
; %bb.3353:
	s_wait_loadcnt 0x0
	global_load_b32 v10, v[14:15], off
	s_wait_loadcnt 0x0
	v_ashrrev_i32_e32 v11, 31, v10
.LBB63_3354:
	s_mov_b32 s1, 0
.LBB63_3355:
	s_delay_alu instid0(SALU_CYCLE_1)
	s_and_not1_b32 vcc_lo, exec_lo, s1
	s_cbranch_vccnz .LBB63_3357
; %bb.3356:
	global_load_u16 v1, v[14:15], off
	s_wait_loadcnt 0x0
	v_bfe_i32 v10, v1, 0, 16
	s_delay_alu instid0(VALU_DEP_1)
	v_ashrrev_i32_e32 v11, 31, v10
.LBB63_3357:
	s_mov_b32 s1, 0
.LBB63_3358:
	s_delay_alu instid0(SALU_CYCLE_1)
	s_and_not1_b32 vcc_lo, exec_lo, s1
	s_cbranch_vccnz .LBB63_3364
; %bb.3359:
	s_cmp_gt_i32 s0, 0
	s_mov_b32 s0, 0
	s_cbranch_scc0 .LBB63_3361
; %bb.3360:
	global_load_i8 v1, v[14:15], off
	s_wait_loadcnt 0x0
	v_bfe_i32 v10, v1, 0, 16
	s_delay_alu instid0(VALU_DEP_1)
	v_ashrrev_i32_e32 v11, 31, v10
	s_branch .LBB63_3362
.LBB63_3361:
	s_mov_b32 s0, -1
                                        ; implicit-def: $vgpr10_vgpr11
.LBB63_3362:
	s_delay_alu instid0(SALU_CYCLE_1)
	s_and_not1_b32 vcc_lo, exec_lo, s0
	s_cbranch_vccnz .LBB63_3364
; %bb.3363:
	global_load_u8 v1, v[14:15], off
	s_mov_b32 s0, 0
	s_wait_loadcnt 0x1
	v_mov_b32_e32 v11, s0
	s_wait_loadcnt 0x0
	v_and_b32_e32 v10, 0xffff, v1
.LBB63_3364:
	s_mov_b32 s46, -1
.LBB63_3365:
	s_delay_alu instid0(SALU_CYCLE_1)
	s_and_not1_b32 vcc_lo, exec_lo, s46
	s_cbranch_vccnz .LBB63_3373
; %bb.3366:
	s_load_b512 s[4:19], s[2:3], 0x248
	v_mov_b32_e32 v7, 0
	s_and_b32 s0, s53, 0xff
	s_delay_alu instid0(SALU_CYCLE_1) | instskip(SKIP_1) | instid1(VALU_DEP_1)
	s_cmp_lt_i32 s0, 11
	s_wait_kmcnt 0x0
	v_add_nc_u64_e32 v[6:7], s[14:15], v[6:7]
	s_cbranch_scc1 .LBB63_3374
; %bb.3367:
	s_and_b32 s35, 0xffff, s0
	s_delay_alu instid0(SALU_CYCLE_1)
	s_cmp_gt_i32 s35, 25
	s_cbranch_scc0 .LBB63_3375
; %bb.3368:
	s_cmp_gt_i32 s35, 28
	s_cbranch_scc0 .LBB63_3376
; %bb.3369:
	;; [unrolled: 3-line block ×4, first 2 shown]
	s_cmp_eq_u32 s35, 46
	s_mov_b32 s1, 0
	s_cbranch_scc0 .LBB63_3467
; %bb.3372:
	global_load_b32 v1, v[6:7], off
	s_mov_b32 s58, -1
	s_mov_b32 s46, 0
	s_wait_loadcnt 0x0
	v_lshlrev_b32_e32 v1, 16, v1
	s_delay_alu instid0(VALU_DEP_1) | instskip(NEXT) | instid1(VALU_DEP_1)
	v_trunc_f32_e32 v1, v1
	v_mul_f32_e64 v3, 0x2f800000, |v1|
	v_ashrrev_i32_e32 v14, 31, v1
	s_delay_alu instid0(VALU_DEP_2) | instskip(NEXT) | instid1(VALU_DEP_1)
	v_floor_f32_e32 v3, v3
	v_fma_f32 v15, 0xcf800000, v3, |v1|
	v_cvt_u32_f32_e32 v1, v3
	s_delay_alu instid0(VALU_DEP_2) | instskip(NEXT) | instid1(VALU_DEP_2)
	v_cvt_u32_f32_e32 v3, v15
	v_dual_mov_b32 v15, v14 :: v_dual_bitop2_b32 v17, v1, v14 bitop3:0x14
	s_delay_alu instid0(VALU_DEP_2) | instskip(NEXT) | instid1(VALU_DEP_1)
	v_xor_b32_e32 v16, v3, v14
	v_sub_nc_u64_e32 v[14:15], v[16:17], v[14:15]
	s_branch .LBB63_3469
.LBB63_3373:
	s_mov_b64 s[14:15], s[78:79]
	s_load_b64 s[78:79], s[2:3], 0x14
	s_mov_b32 s0, 0
	s_mov_b32 s1, s101
	s_mov_b32 s35, s104
	s_mov_b32 s58, vcc_hi
	s_mov_b32 s60, s99
	s_mov_b32 s59, s100
	;; [unrolled: 1-line block ×3, first 2 shown]
                                        ; implicit-def: $vgpr0
	s_mov_b32 s12, s76
	s_mov_b32 s76, s51
	v_readlane_b32 s4, v66, 0
	s_branch .LBB63_1212
.LBB63_3374:
	s_mov_b32 s1, -1
	s_mov_b32 s58, 0
	s_mov_b32 s46, s97
                                        ; implicit-def: $vgpr14_vgpr15
	s_branch .LBB63_3530
.LBB63_3375:
	s_mov_b32 s1, -1
	s_mov_b32 s58, 0
	s_mov_b32 s46, s97
                                        ; implicit-def: $vgpr14_vgpr15
	s_branch .LBB63_3496
.LBB63_3376:
	s_mov_b32 s1, -1
	s_mov_b32 s58, 0
	s_mov_b32 s46, s97
                                        ; implicit-def: $vgpr14_vgpr15
	s_branch .LBB63_3479
.LBB63_3377:
	s_mov_b32 s1, -1
	s_mov_b32 s58, 0
	s_mov_b32 s46, s97
                                        ; implicit-def: $vgpr14_vgpr15
	s_branch .LBB63_3474
.LBB63_3378:
	s_mov_b32 s1, -1
	s_mov_b32 s58, 0
	s_mov_b32 s46, s97
	s_branch .LBB63_3468
.LBB63_3379:
	s_mov_b32 s1, -1
	s_mov_b32 s61, 0
.LBB63_3380:
	s_and_b32 vcc_lo, exec_lo, s1
	s_cbranch_vccz .LBB63_3383
; %bb.3381:
	s_cmp_eq_u32 s60, 44
	s_mov_b32 s58, -1
	s_cbranch_scc0 .LBB63_3383
; %bb.3382:
	s_wait_xcnt 0x0
	v_mov_b32_e32 v1, 0
	s_mov_b32 s61, -1
	s_mov_b32 s58, 0
	global_store_b8 v[2:3], v1, off
.LBB63_3383:
	s_mov_b32 s5, s53
	s_mov_b32 s69, s52
	s_mov_b32 s52, s4
	s_mov_b32 s53, s79
	s_mov_b32 s1, 0
	s_mov_b32 s76, s5
	s_mov_b32 s79, s7
.LBB63_3384:
	s_and_b32 vcc_lo, exec_lo, s1
	s_cbranch_vccz .LBB63_3387
; %bb.3385:
	s_cmp_eq_u32 s60, 29
	s_mov_b32 s58, -1
	s_cbranch_scc0 .LBB63_3387
; %bb.3386:
	v_mov_b64_e32 v[4:5], 0
	s_mov_b32 s61, -1
	s_mov_b32 s58, 0
	s_mov_b32 s1, 0
	global_store_b64 v[2:3], v[4:5], off
	s_branch .LBB63_3388
.LBB63_3387:
	s_mov_b32 s1, 0
.LBB63_3388:
	s_delay_alu instid0(SALU_CYCLE_1)
	s_and_b32 vcc_lo, exec_lo, s1
	s_cbranch_vccz .LBB63_3398
; %bb.3389:
	s_cmp_lt_i32 s60, 27
	s_mov_b32 s1, -1
	s_cbranch_scc1 .LBB63_3395
; %bb.3390:
	s_cmp_gt_i32 s60, 27
	s_cbranch_scc0 .LBB63_3392
; %bb.3391:
	s_wait_xcnt 0x0
	v_mov_b32_e32 v1, 0
	s_mov_b32 s1, 0
	global_store_b32 v[2:3], v1, off
.LBB63_3392:
	s_and_not1_b32 vcc_lo, exec_lo, s1
	s_cbranch_vccnz .LBB63_3394
; %bb.3393:
	s_wait_xcnt 0x0
	v_mov_b32_e32 v1, 0
	global_store_b16 v[2:3], v1, off
.LBB63_3394:
	s_mov_b32 s1, 0
.LBB63_3395:
	s_delay_alu instid0(SALU_CYCLE_1)
	s_and_not1_b32 vcc_lo, exec_lo, s1
	s_cbranch_vccnz .LBB63_3397
; %bb.3396:
	s_wait_xcnt 0x0
	v_mov_b32_e32 v1, 0
	global_store_b8 v[2:3], v1, off
.LBB63_3397:
	s_mov_b32 s61, -1
.LBB63_3398:
	s_mov_b32 s1, 0
.LBB63_3399:
	s_delay_alu instid0(SALU_CYCLE_1)
	s_and_b32 vcc_lo, exec_lo, s1
	s_cbranch_vccz .LBB63_3418
; %bb.3400:
	s_cmp_gt_i32 s60, 22
	s_mov_b32 s1, -1
	s_cbranch_scc0 .LBB63_3410
; %bb.3401:
	s_cmp_lt_i32 s60, 24
	s_cbranch_scc1 .LBB63_3407
; %bb.3402:
	s_cmp_gt_i32 s60, 24
	s_cbranch_scc0 .LBB63_3404
; %bb.3403:
	s_wait_xcnt 0x0
	v_mov_b32_e32 v1, 0
	s_mov_b32 s1, 0
	global_store_b8 v[2:3], v1, off
.LBB63_3404:
	s_and_not1_b32 vcc_lo, exec_lo, s1
	s_cbranch_vccnz .LBB63_3406
; %bb.3405:
	s_wait_xcnt 0x0
	v_mov_b32_e32 v1, 0
	global_store_b8 v[2:3], v1, off
.LBB63_3406:
	s_mov_b32 s1, 0
.LBB63_3407:
	s_delay_alu instid0(SALU_CYCLE_1)
	s_and_not1_b32 vcc_lo, exec_lo, s1
	s_cbranch_vccnz .LBB63_3409
; %bb.3408:
	s_wait_xcnt 0x0
	v_mov_b32_e32 v1, 0
	global_store_b8 v[2:3], v1, off
.LBB63_3409:
	s_mov_b32 s1, 0
	s_mov_b32 s61, -1
.LBB63_3410:
	s_and_not1_b32 vcc_lo, exec_lo, s1
	s_cbranch_vccnz .LBB63_3418
; %bb.3411:
	s_cmp_gt_i32 s60, 14
	s_mov_b32 s1, -1
	s_cbranch_scc0 .LBB63_3415
; %bb.3412:
	s_cmp_eq_u32 s60, 15
	s_mov_b32 s58, -1
	s_cbranch_scc0 .LBB63_3414
; %bb.3413:
	s_wait_xcnt 0x0
	v_mov_b32_e32 v1, 0
	s_mov_b32 s61, -1
	s_mov_b32 s58, 0
	global_store_b16 v[2:3], v1, off
.LBB63_3414:
	s_mov_b32 s1, 0
.LBB63_3415:
	s_delay_alu instid0(SALU_CYCLE_1)
	s_and_b32 vcc_lo, exec_lo, s1
	s_cbranch_vccz .LBB63_3418
; %bb.3416:
	s_cmp_eq_u32 s60, 11
	s_mov_b32 s58, -1
	s_cbranch_scc0 .LBB63_3418
; %bb.3417:
	s_wait_xcnt 0x0
	v_mov_b32_e32 v1, 0
	s_mov_b32 s61, -1
	s_mov_b32 s58, 0
	global_store_b8 v[2:3], v1, off
.LBB63_3418:
	s_mov_b32 s1, 0
.LBB63_3419:
	s_delay_alu instid0(SALU_CYCLE_1)
	s_and_b32 vcc_lo, exec_lo, s1
	s_cbranch_vccz .LBB63_3458
; %bb.3420:
	s_and_b32 s1, 0xffff, s59
	s_mov_b32 s59, -1
	s_cmp_lt_i32 s1, 5
	s_cbranch_scc1 .LBB63_3441
; %bb.3421:
	s_cmp_lt_i32 s1, 8
	s_cbranch_scc1 .LBB63_3431
; %bb.3422:
	;; [unrolled: 3-line block ×3, first 2 shown]
	s_cmp_gt_i32 s1, 9
	s_cbranch_scc0 .LBB63_3425
; %bb.3424:
	s_wait_xcnt 0x0
	v_mov_b32_e32 v4, 0
	s_mov_b32 s59, 0
	s_delay_alu instid0(VALU_DEP_1)
	v_dual_mov_b32 v5, v4 :: v_dual_mov_b32 v6, v4
	v_mov_b32_e32 v7, v4
	global_store_b128 v[2:3], v[4:7], off
.LBB63_3425:
	s_and_not1_b32 vcc_lo, exec_lo, s59
	s_cbranch_vccnz .LBB63_3427
; %bb.3426:
	s_wait_xcnt 0x0
	v_mov_b64_e32 v[4:5], 0
	global_store_b64 v[2:3], v[4:5], off
.LBB63_3427:
	s_mov_b32 s59, 0
.LBB63_3428:
	s_delay_alu instid0(SALU_CYCLE_1)
	s_and_not1_b32 vcc_lo, exec_lo, s59
	s_cbranch_vccnz .LBB63_3430
; %bb.3429:
	s_wait_xcnt 0x0
	v_mov_b32_e32 v1, 0
	global_store_b32 v[2:3], v1, off
.LBB63_3430:
	s_mov_b32 s59, 0
.LBB63_3431:
	s_delay_alu instid0(SALU_CYCLE_1)
	s_and_not1_b32 vcc_lo, exec_lo, s59
	s_cbranch_vccnz .LBB63_3440
; %bb.3432:
	s_cmp_lt_i32 s1, 6
	s_mov_b32 s59, -1
	s_cbranch_scc1 .LBB63_3438
; %bb.3433:
	s_cmp_gt_i32 s1, 6
	s_cbranch_scc0 .LBB63_3435
; %bb.3434:
	s_wait_xcnt 0x0
	v_mov_b64_e32 v[4:5], 0
	s_mov_b32 s59, 0
	global_store_b64 v[2:3], v[4:5], off
.LBB63_3435:
	s_and_not1_b32 vcc_lo, exec_lo, s59
	s_cbranch_vccnz .LBB63_3437
; %bb.3436:
	s_wait_xcnt 0x0
	v_mov_b32_e32 v1, 0
	global_store_b32 v[2:3], v1, off
.LBB63_3437:
	s_mov_b32 s59, 0
.LBB63_3438:
	s_delay_alu instid0(SALU_CYCLE_1)
	s_and_not1_b32 vcc_lo, exec_lo, s59
	s_cbranch_vccnz .LBB63_3440
; %bb.3439:
	s_wait_xcnt 0x0
	v_mov_b32_e32 v1, 0
	global_store_b16 v[2:3], v1, off
.LBB63_3440:
	s_mov_b32 s59, 0
.LBB63_3441:
	s_delay_alu instid0(SALU_CYCLE_1)
	s_and_not1_b32 vcc_lo, exec_lo, s59
	s_cbranch_vccnz .LBB63_3457
; %bb.3442:
	s_cmp_lt_i32 s1, 2
	s_mov_b32 s59, -1
	s_cbranch_scc1 .LBB63_3452
; %bb.3443:
	s_cmp_lt_i32 s1, 3
	s_cbranch_scc1 .LBB63_3449
; %bb.3444:
	s_cmp_gt_i32 s1, 3
	s_cbranch_scc0 .LBB63_3446
; %bb.3445:
	s_wait_xcnt 0x0
	v_mov_b64_e32 v[4:5], 0
	s_mov_b32 s59, 0
	global_store_b64 v[2:3], v[4:5], off
.LBB63_3446:
	s_and_not1_b32 vcc_lo, exec_lo, s59
	s_cbranch_vccnz .LBB63_3448
; %bb.3447:
	s_wait_xcnt 0x0
	v_mov_b32_e32 v1, 0
	global_store_b32 v[2:3], v1, off
.LBB63_3448:
	s_mov_b32 s59, 0
.LBB63_3449:
	s_delay_alu instid0(SALU_CYCLE_1)
	s_and_not1_b32 vcc_lo, exec_lo, s59
	s_cbranch_vccnz .LBB63_3451
; %bb.3450:
	s_wait_xcnt 0x0
	v_mov_b32_e32 v1, 0
	global_store_b16 v[2:3], v1, off
.LBB63_3451:
	s_mov_b32 s59, 0
.LBB63_3452:
	s_delay_alu instid0(SALU_CYCLE_1)
	s_and_not1_b32 vcc_lo, exec_lo, s59
	s_cbranch_vccnz .LBB63_3457
; %bb.3453:
	s_cmp_gt_i32 s1, 0
	s_mov_b32 s1, -1
	s_cbranch_scc0 .LBB63_3455
; %bb.3454:
	s_wait_xcnt 0x0
	v_mov_b32_e32 v1, 0
	s_mov_b32 s1, 0
	global_store_b8 v[2:3], v1, off
.LBB63_3455:
	s_and_not1_b32 vcc_lo, exec_lo, s1
	s_cbranch_vccnz .LBB63_3457
; %bb.3456:
	s_wait_xcnt 0x0
	v_mov_b32_e32 v1, 0
	global_store_b8 v[2:3], v1, off
.LBB63_3457:
	s_mov_b32 s61, -1
.LBB63_3458:
	s_delay_alu instid0(SALU_CYCLE_1)
	s_and_not1_b32 vcc_lo, exec_lo, s61
	s_cbranch_vccnz .LBB63_3460
; %bb.3459:
	v_add_nc_u32_e32 v0, 0x80, v0
	s_mov_b32 s1, -1
	s_branch .LBB63_3461
.LBB63_3460:
	s_mov_b32 s1, 0
                                        ; implicit-def: $vgpr0
.LBB63_3461:
	s_and_b32 s58, s58, exec_lo
	s_and_not1_b32 s0, s0, exec_lo
	s_and_b32 s1, s1, exec_lo
.LBB63_3462:
	s_wait_xcnt 0x0
	s_or_b32 exec_lo, exec_lo, s35
	s_delay_alu instid0(SALU_CYCLE_1)
	s_and_b32 s59, s58, exec_lo
	s_and_b32 s0, s0, exec_lo
	s_xor_b32 s58, exec_lo, -1
	s_and_b32 s35, s1, exec_lo
.LBB63_3463:
	s_or_b32 exec_lo, exec_lo, s87
	s_delay_alu instid0(SALU_CYCLE_1)
	s_and_b32 s60, s59, exec_lo
	s_and_b32 s59, s0, exec_lo
	;; [unrolled: 1-line block ×3, first 2 shown]
	s_xor_b32 s1, exec_lo, -1
	s_and_b32 s0, s35, exec_lo
	s_mov_b64 s[14:15], s[94:95]
	s_mov_b32 s12, s92
.LBB63_3464:
	s_or_b32 exec_lo, exec_lo, s86
	s_delay_alu instid0(SALU_CYCLE_1)
	s_and_b32 s60, s60, exec_lo
	s_and_b32 s59, s59, exec_lo
	;; [unrolled: 1-line block ×4, first 2 shown]
	s_xor_b32 s1, exec_lo, -1
	s_and_b32 s0, s0, exec_lo
	s_or_b32 exec_lo, exec_lo, s85
	s_branch .LBB63_522
.LBB63_3465:
	s_mov_b32 s1, -1
	s_mov_b32 s61, 0
	s_mov_b32 s58, s70
	s_branch .LBB63_3614
.LBB63_3466:
	s_mov_b32 s22, -1
	s_mov_b32 s0, 0
                                        ; implicit-def: $vgpr40_vgpr41
	s_branch .LBB63_3795
.LBB63_3467:
	s_mov_b32 s46, -1
	s_mov_b32 s58, 0
.LBB63_3468:
                                        ; implicit-def: $vgpr14_vgpr15
.LBB63_3469:
	s_and_b32 vcc_lo, exec_lo, s1
	s_cbranch_vccz .LBB63_3473
; %bb.3470:
	s_cmp_eq_u32 s35, 44
	s_cbranch_scc0 .LBB63_3472
; %bb.3471:
	global_load_u8 v1, v[6:7], off
	s_mov_b32 s46, 0
	s_mov_b32 s58, -1
	s_wait_loadcnt 0x0
	v_lshlrev_b32_e32 v3, 23, v1
	v_cmp_ne_u32_e32 vcc_lo, 0, v1
	s_delay_alu instid0(VALU_DEP_2) | instskip(NEXT) | instid1(VALU_DEP_1)
	v_trunc_f32_e32 v3, v3
	v_mul_f32_e64 v14, 0x2f800000, |v3|
	s_delay_alu instid0(VALU_DEP_1) | instskip(SKIP_1) | instid1(VALU_DEP_2)
	v_floor_f32_e32 v15, v14
	v_ashrrev_i32_e32 v14, 31, v3
	v_fma_f32 v16, 0xcf800000, v15, |v3|
	v_cvt_u32_f32_e32 v3, v15
	s_delay_alu instid0(VALU_DEP_3) | instskip(NEXT) | instid1(VALU_DEP_3)
	v_mov_b32_e32 v15, v14
	v_cvt_u32_f32_e32 v16, v16
	s_delay_alu instid0(VALU_DEP_3) | instskip(NEXT) | instid1(VALU_DEP_2)
	v_xor_b32_e32 v17, v3, v14
	v_xor_b32_e32 v16, v16, v14
	s_delay_alu instid0(VALU_DEP_1) | instskip(NEXT) | instid1(VALU_DEP_1)
	v_sub_nc_u64_e32 v[14:15], v[16:17], v[14:15]
	v_dual_cndmask_b32 v15, 0, v15 :: v_dual_cndmask_b32 v14, 0, v14
	s_branch .LBB63_3473
.LBB63_3472:
	s_mov_b32 s46, -1
                                        ; implicit-def: $vgpr14_vgpr15
.LBB63_3473:
	s_mov_b32 s1, 0
.LBB63_3474:
	s_delay_alu instid0(SALU_CYCLE_1)
	s_and_b32 vcc_lo, exec_lo, s1
	s_cbranch_vccz .LBB63_3478
; %bb.3475:
	s_cmp_eq_u32 s35, 29
	s_cbranch_scc0 .LBB63_3477
; %bb.3476:
	global_load_b64 v[14:15], v[6:7], off
	s_mov_b32 s58, -1
	s_mov_b32 s46, 0
	s_branch .LBB63_3478
.LBB63_3477:
	s_mov_b32 s46, -1
                                        ; implicit-def: $vgpr14_vgpr15
.LBB63_3478:
	s_mov_b32 s1, 0
.LBB63_3479:
	s_delay_alu instid0(SALU_CYCLE_1)
	s_and_b32 vcc_lo, exec_lo, s1
	s_cbranch_vccz .LBB63_3495
; %bb.3480:
	s_cmp_lt_i32 s35, 27
	s_cbranch_scc1 .LBB63_3483
; %bb.3481:
	s_cmp_gt_i32 s35, 27
	s_cbranch_scc0 .LBB63_3484
; %bb.3482:
	s_wait_loadcnt 0x0
	global_load_b32 v14, v[6:7], off
	v_mov_b32_e32 v15, 0
	s_mov_b32 s1, 0
	s_branch .LBB63_3485
.LBB63_3483:
	s_mov_b32 s1, -1
                                        ; implicit-def: $vgpr14_vgpr15
	s_branch .LBB63_3488
.LBB63_3484:
	s_mov_b32 s1, -1
                                        ; implicit-def: $vgpr14_vgpr15
.LBB63_3485:
	s_delay_alu instid0(SALU_CYCLE_1)
	s_and_not1_b32 vcc_lo, exec_lo, s1
	s_cbranch_vccnz .LBB63_3487
; %bb.3486:
	global_load_u16 v1, v[6:7], off
	s_mov_b32 s1, 0
	s_wait_loadcnt 0x1
	v_mov_b32_e32 v15, s1
	s_wait_loadcnt 0x0
	v_and_b32_e32 v14, 0xffff, v1
.LBB63_3487:
	s_mov_b32 s1, 0
.LBB63_3488:
	s_delay_alu instid0(SALU_CYCLE_1)
	s_and_not1_b32 vcc_lo, exec_lo, s1
	s_cbranch_vccnz .LBB63_3494
; %bb.3489:
	global_load_u8 v1, v[6:7], off
	s_mov_b32 s58, 0
	s_mov_b32 s1, exec_lo
	s_wait_loadcnt 0x0
	v_cmpx_lt_i16_e32 0x7f, v1
	s_xor_b32 s1, exec_lo, s1
	s_cbranch_execz .LBB63_3506
; %bb.3490:
	v_cmp_ne_u16_e32 vcc_lo, 0x80, v1
	s_and_b32 s58, vcc_lo, exec_lo
	s_and_not1_saveexec_b32 s1, s1
	s_cbranch_execnz .LBB63_3507
.LBB63_3491:
	s_or_b32 exec_lo, exec_lo, s1
	v_mov_b64_e32 v[14:15], 0
	s_and_saveexec_b32 s1, s58
	s_cbranch_execz .LBB63_3493
.LBB63_3492:
	v_and_b32_e32 v3, 0xffff, v1
	s_delay_alu instid0(VALU_DEP_1) | instskip(SKIP_1) | instid1(VALU_DEP_2)
	v_dual_lshlrev_b32 v1, 24, v1 :: v_dual_bitop2_b32 v14, 7, v3 bitop3:0x40
	v_bfe_u32 v17, v3, 3, 4
	v_and_b32_e32 v1, 0x80000000, v1
	s_delay_alu instid0(VALU_DEP_3) | instskip(NEXT) | instid1(VALU_DEP_3)
	v_clz_i32_u32_e32 v15, v14
	v_cmp_eq_u32_e32 vcc_lo, 0, v17
	s_delay_alu instid0(VALU_DEP_2) | instskip(NEXT) | instid1(VALU_DEP_1)
	v_min_u32_e32 v15, 32, v15
	v_subrev_nc_u32_e32 v16, 28, v15
	v_sub_nc_u32_e32 v15, 29, v15
	s_delay_alu instid0(VALU_DEP_2) | instskip(NEXT) | instid1(VALU_DEP_2)
	v_lshlrev_b32_e32 v3, v16, v3
	v_cndmask_b32_e32 v15, v17, v15, vcc_lo
	s_delay_alu instid0(VALU_DEP_2) | instskip(NEXT) | instid1(VALU_DEP_1)
	v_and_b32_e32 v3, 7, v3
	v_cndmask_b32_e32 v3, v14, v3, vcc_lo
	s_delay_alu instid0(VALU_DEP_3) | instskip(NEXT) | instid1(VALU_DEP_2)
	v_lshl_add_u32 v14, v15, 23, 0x3b800000
	v_lshlrev_b32_e32 v3, 20, v3
	s_delay_alu instid0(VALU_DEP_1) | instskip(NEXT) | instid1(VALU_DEP_1)
	v_or3_b32 v1, v1, v14, v3
	v_trunc_f32_e32 v1, v1
	s_delay_alu instid0(VALU_DEP_1) | instskip(SKIP_1) | instid1(VALU_DEP_2)
	v_mul_f32_e64 v3, 0x2f800000, |v1|
	v_ashrrev_i32_e32 v14, 31, v1
	v_floor_f32_e32 v3, v3
	s_delay_alu instid0(VALU_DEP_1) | instskip(SKIP_1) | instid1(VALU_DEP_2)
	v_fma_f32 v15, 0xcf800000, v3, |v1|
	v_cvt_u32_f32_e32 v1, v3
	v_cvt_u32_f32_e32 v3, v15
	s_delay_alu instid0(VALU_DEP_2) | instskip(NEXT) | instid1(VALU_DEP_2)
	v_dual_mov_b32 v15, v14 :: v_dual_bitop2_b32 v17, v1, v14 bitop3:0x14
	v_xor_b32_e32 v16, v3, v14
	s_delay_alu instid0(VALU_DEP_1)
	v_sub_nc_u64_e32 v[14:15], v[16:17], v[14:15]
.LBB63_3493:
	s_or_b32 exec_lo, exec_lo, s1
.LBB63_3494:
	s_mov_b32 s58, -1
.LBB63_3495:
	s_mov_b32 s1, 0
.LBB63_3496:
	s_delay_alu instid0(SALU_CYCLE_1)
	s_and_b32 vcc_lo, exec_lo, s1
	s_cbranch_vccz .LBB63_3529
; %bb.3497:
	s_cmp_gt_i32 s35, 22
	s_cbranch_scc0 .LBB63_3505
; %bb.3498:
	s_cmp_lt_i32 s35, 24
	s_cbranch_scc1 .LBB63_3508
; %bb.3499:
	s_cmp_gt_i32 s35, 24
	s_cbranch_scc0 .LBB63_3509
; %bb.3500:
	global_load_u8 v1, v[6:7], off
	s_mov_b32 s58, 0
	s_mov_b32 s1, exec_lo
	s_wait_loadcnt 0x0
	v_cmpx_lt_i16_e32 0x7f, v1
	s_xor_b32 s1, exec_lo, s1
	s_cbranch_execz .LBB63_3521
; %bb.3501:
	v_cmp_ne_u16_e32 vcc_lo, 0x80, v1
	s_and_b32 s58, vcc_lo, exec_lo
	s_and_not1_saveexec_b32 s1, s1
	s_cbranch_execnz .LBB63_3522
.LBB63_3502:
	s_or_b32 exec_lo, exec_lo, s1
	v_mov_b64_e32 v[14:15], 0
	s_and_saveexec_b32 s1, s58
	s_cbranch_execz .LBB63_3504
.LBB63_3503:
	v_and_b32_e32 v3, 0xffff, v1
	s_delay_alu instid0(VALU_DEP_1) | instskip(SKIP_1) | instid1(VALU_DEP_2)
	v_dual_lshlrev_b32 v1, 24, v1 :: v_dual_bitop2_b32 v14, 3, v3 bitop3:0x40
	v_bfe_u32 v17, v3, 2, 5
	v_and_b32_e32 v1, 0x80000000, v1
	s_delay_alu instid0(VALU_DEP_3) | instskip(NEXT) | instid1(VALU_DEP_3)
	v_clz_i32_u32_e32 v15, v14
	v_cmp_eq_u32_e32 vcc_lo, 0, v17
	s_delay_alu instid0(VALU_DEP_2) | instskip(NEXT) | instid1(VALU_DEP_1)
	v_min_u32_e32 v15, 32, v15
	v_subrev_nc_u32_e32 v16, 29, v15
	v_sub_nc_u32_e32 v15, 30, v15
	s_delay_alu instid0(VALU_DEP_2) | instskip(NEXT) | instid1(VALU_DEP_2)
	v_lshlrev_b32_e32 v3, v16, v3
	v_cndmask_b32_e32 v15, v17, v15, vcc_lo
	s_delay_alu instid0(VALU_DEP_2) | instskip(NEXT) | instid1(VALU_DEP_1)
	v_and_b32_e32 v3, 3, v3
	v_cndmask_b32_e32 v3, v14, v3, vcc_lo
	s_delay_alu instid0(VALU_DEP_3) | instskip(NEXT) | instid1(VALU_DEP_2)
	v_lshl_add_u32 v14, v15, 23, 0x37800000
	v_lshlrev_b32_e32 v3, 21, v3
	s_delay_alu instid0(VALU_DEP_1) | instskip(NEXT) | instid1(VALU_DEP_1)
	v_or3_b32 v1, v1, v14, v3
	v_trunc_f32_e32 v1, v1
	s_delay_alu instid0(VALU_DEP_1) | instskip(SKIP_1) | instid1(VALU_DEP_2)
	v_mul_f32_e64 v3, 0x2f800000, |v1|
	v_ashrrev_i32_e32 v14, 31, v1
	v_floor_f32_e32 v3, v3
	s_delay_alu instid0(VALU_DEP_1) | instskip(SKIP_1) | instid1(VALU_DEP_2)
	v_fma_f32 v15, 0xcf800000, v3, |v1|
	v_cvt_u32_f32_e32 v1, v3
	v_cvt_u32_f32_e32 v3, v15
	s_delay_alu instid0(VALU_DEP_2) | instskip(NEXT) | instid1(VALU_DEP_2)
	v_dual_mov_b32 v15, v14 :: v_dual_bitop2_b32 v17, v1, v14 bitop3:0x14
	v_xor_b32_e32 v16, v3, v14
	s_delay_alu instid0(VALU_DEP_1)
	v_sub_nc_u64_e32 v[14:15], v[16:17], v[14:15]
.LBB63_3504:
	s_or_b32 exec_lo, exec_lo, s1
	s_mov_b32 s1, 0
	s_branch .LBB63_3510
.LBB63_3505:
	s_mov_b32 s1, -1
                                        ; implicit-def: $vgpr14_vgpr15
	s_branch .LBB63_3516
.LBB63_3506:
	s_and_not1_saveexec_b32 s1, s1
	s_cbranch_execz .LBB63_3491
.LBB63_3507:
	v_cmp_ne_u16_e32 vcc_lo, 0, v1
	s_and_not1_b32 s36, s58, exec_lo
	s_and_b32 s37, vcc_lo, exec_lo
	s_delay_alu instid0(SALU_CYCLE_1)
	s_or_b32 s58, s36, s37
	s_or_b32 exec_lo, exec_lo, s1
	v_mov_b64_e32 v[14:15], 0
	s_and_saveexec_b32 s1, s58
	s_cbranch_execnz .LBB63_3492
	s_branch .LBB63_3493
.LBB63_3508:
	s_mov_b32 s1, -1
                                        ; implicit-def: $vgpr14_vgpr15
	s_branch .LBB63_3513
.LBB63_3509:
	s_mov_b32 s1, -1
                                        ; implicit-def: $vgpr14_vgpr15
.LBB63_3510:
	s_delay_alu instid0(SALU_CYCLE_1)
	s_and_b32 vcc_lo, exec_lo, s1
	s_cbranch_vccz .LBB63_3512
; %bb.3511:
	global_load_u8 v1, v[6:7], off
	s_wait_loadcnt 0x0
	v_lshlrev_b32_e32 v1, 24, v1
	s_delay_alu instid0(VALU_DEP_1) | instskip(NEXT) | instid1(VALU_DEP_1)
	v_and_b32_e32 v3, 0x7f000000, v1
	v_clz_i32_u32_e32 v14, v3
	v_cmp_ne_u32_e32 vcc_lo, 0, v3
	v_add_nc_u32_e32 v16, 0x1000000, v3
	s_delay_alu instid0(VALU_DEP_3) | instskip(NEXT) | instid1(VALU_DEP_1)
	v_min_u32_e32 v14, 32, v14
	v_sub_nc_u32_e64 v14, v14, 4 clamp
	s_delay_alu instid0(VALU_DEP_1) | instskip(NEXT) | instid1(VALU_DEP_1)
	v_dual_lshlrev_b32 v15, v14, v3 :: v_dual_lshlrev_b32 v14, 23, v14
	v_lshrrev_b32_e32 v15, 4, v15
	s_delay_alu instid0(VALU_DEP_1) | instskip(NEXT) | instid1(VALU_DEP_1)
	v_dual_sub_nc_u32 v14, v15, v14 :: v_dual_ashrrev_i32 v15, 8, v16
	v_add_nc_u32_e32 v14, 0x3c000000, v14
	s_delay_alu instid0(VALU_DEP_1) | instskip(NEXT) | instid1(VALU_DEP_1)
	v_and_or_b32 v14, 0x7f800000, v15, v14
	v_cndmask_b32_e32 v3, 0, v14, vcc_lo
	s_delay_alu instid0(VALU_DEP_1) | instskip(NEXT) | instid1(VALU_DEP_1)
	v_and_or_b32 v1, 0x80000000, v1, v3
	v_trunc_f32_e32 v1, v1
	s_delay_alu instid0(VALU_DEP_1) | instskip(SKIP_1) | instid1(VALU_DEP_2)
	v_mul_f32_e64 v3, 0x2f800000, |v1|
	v_ashrrev_i32_e32 v14, 31, v1
	v_floor_f32_e32 v3, v3
	s_delay_alu instid0(VALU_DEP_1) | instskip(SKIP_1) | instid1(VALU_DEP_2)
	v_fma_f32 v15, 0xcf800000, v3, |v1|
	v_cvt_u32_f32_e32 v1, v3
	v_cvt_u32_f32_e32 v3, v15
	s_delay_alu instid0(VALU_DEP_2) | instskip(NEXT) | instid1(VALU_DEP_2)
	v_dual_mov_b32 v15, v14 :: v_dual_bitop2_b32 v17, v1, v14 bitop3:0x14
	v_xor_b32_e32 v16, v3, v14
	s_delay_alu instid0(VALU_DEP_1)
	v_sub_nc_u64_e32 v[14:15], v[16:17], v[14:15]
.LBB63_3512:
	s_mov_b32 s1, 0
.LBB63_3513:
	s_delay_alu instid0(SALU_CYCLE_1)
	s_and_not1_b32 vcc_lo, exec_lo, s1
	s_cbranch_vccnz .LBB63_3515
; %bb.3514:
	global_load_u8 v1, v[6:7], off
	s_wait_loadcnt 0x0
	v_lshlrev_b32_e32 v3, 25, v1
	v_lshlrev_b16 v1, 8, v1
	s_delay_alu instid0(VALU_DEP_1) | instskip(SKIP_1) | instid1(VALU_DEP_2)
	v_and_or_b32 v15, 0x7f00, v1, 0.5
	v_bfe_i32 v1, v1, 0, 16
	v_add_f32_e32 v15, -0.5, v15
	v_lshrrev_b32_e32 v14, 4, v3
	v_cmp_gt_u32_e32 vcc_lo, 0x8000000, v3
	s_delay_alu instid0(VALU_DEP_2) | instskip(NEXT) | instid1(VALU_DEP_1)
	v_or_b32_e32 v14, 0x70000000, v14
	v_mul_f32_e32 v14, 0x7800000, v14
	s_delay_alu instid0(VALU_DEP_1) | instskip(NEXT) | instid1(VALU_DEP_1)
	v_cndmask_b32_e32 v3, v14, v15, vcc_lo
	v_and_or_b32 v1, 0x80000000, v1, v3
	s_delay_alu instid0(VALU_DEP_1) | instskip(NEXT) | instid1(VALU_DEP_1)
	v_trunc_f32_e32 v1, v1
	v_mul_f32_e64 v3, 0x2f800000, |v1|
	v_ashrrev_i32_e32 v14, 31, v1
	s_delay_alu instid0(VALU_DEP_2) | instskip(NEXT) | instid1(VALU_DEP_1)
	v_floor_f32_e32 v3, v3
	v_fma_f32 v15, 0xcf800000, v3, |v1|
	v_cvt_u32_f32_e32 v1, v3
	s_delay_alu instid0(VALU_DEP_2) | instskip(NEXT) | instid1(VALU_DEP_2)
	v_cvt_u32_f32_e32 v3, v15
	v_dual_mov_b32 v15, v14 :: v_dual_bitop2_b32 v17, v1, v14 bitop3:0x14
	s_delay_alu instid0(VALU_DEP_2) | instskip(NEXT) | instid1(VALU_DEP_1)
	v_xor_b32_e32 v16, v3, v14
	v_sub_nc_u64_e32 v[14:15], v[16:17], v[14:15]
.LBB63_3515:
	s_mov_b32 s1, 0
	s_mov_b32 s58, -1
.LBB63_3516:
	s_and_not1_b32 vcc_lo, exec_lo, s1
	s_cbranch_vccnz .LBB63_3529
; %bb.3517:
	s_cmp_gt_i32 s35, 14
	s_cbranch_scc0 .LBB63_3520
; %bb.3518:
	s_cmp_eq_u32 s35, 15
	s_cbranch_scc0 .LBB63_3523
; %bb.3519:
	global_load_u16 v1, v[6:7], off
	s_mov_b32 s58, -1
	s_mov_b32 s46, 0
	s_wait_loadcnt 0x0
	v_lshlrev_b32_e32 v1, 16, v1
	s_delay_alu instid0(VALU_DEP_1) | instskip(NEXT) | instid1(VALU_DEP_1)
	v_trunc_f32_e32 v1, v1
	v_mul_f32_e64 v3, 0x2f800000, |v1|
	v_ashrrev_i32_e32 v14, 31, v1
	s_delay_alu instid0(VALU_DEP_2) | instskip(NEXT) | instid1(VALU_DEP_1)
	v_floor_f32_e32 v3, v3
	v_fma_f32 v15, 0xcf800000, v3, |v1|
	v_cvt_u32_f32_e32 v1, v3
	s_delay_alu instid0(VALU_DEP_2) | instskip(NEXT) | instid1(VALU_DEP_2)
	v_cvt_u32_f32_e32 v3, v15
	v_dual_mov_b32 v15, v14 :: v_dual_bitop2_b32 v17, v1, v14 bitop3:0x14
	s_delay_alu instid0(VALU_DEP_2) | instskip(NEXT) | instid1(VALU_DEP_1)
	v_xor_b32_e32 v16, v3, v14
	v_sub_nc_u64_e32 v[14:15], v[16:17], v[14:15]
	s_branch .LBB63_3524
.LBB63_3520:
	s_mov_b32 s1, -1
                                        ; implicit-def: $vgpr14_vgpr15
	s_branch .LBB63_3525
.LBB63_3521:
	s_and_not1_saveexec_b32 s1, s1
	s_cbranch_execz .LBB63_3502
.LBB63_3522:
	v_cmp_ne_u16_e32 vcc_lo, 0, v1
	s_and_not1_b32 s36, s58, exec_lo
	s_and_b32 s37, vcc_lo, exec_lo
	s_delay_alu instid0(SALU_CYCLE_1)
	s_or_b32 s58, s36, s37
	s_or_b32 exec_lo, exec_lo, s1
	v_mov_b64_e32 v[14:15], 0
	s_and_saveexec_b32 s1, s58
	s_cbranch_execnz .LBB63_3503
	s_branch .LBB63_3504
.LBB63_3523:
	s_mov_b32 s46, -1
                                        ; implicit-def: $vgpr14_vgpr15
.LBB63_3524:
	s_mov_b32 s1, 0
.LBB63_3525:
	s_delay_alu instid0(SALU_CYCLE_1)
	s_and_b32 vcc_lo, exec_lo, s1
	s_cbranch_vccz .LBB63_3529
; %bb.3526:
	s_cmp_eq_u32 s35, 11
	s_cbranch_scc0 .LBB63_3528
; %bb.3527:
	global_load_u8 v1, v[6:7], off
	s_mov_b32 s46, 0
	s_mov_b32 s58, -1
	s_wait_loadcnt 0x1
	v_mov_b32_e32 v15, s46
	s_wait_loadcnt 0x0
	v_cmp_ne_u16_e32 vcc_lo, 0, v1
	v_cndmask_b32_e64 v14, 0, 1, vcc_lo
	s_branch .LBB63_3529
.LBB63_3528:
	s_mov_b32 s46, -1
                                        ; implicit-def: $vgpr14_vgpr15
.LBB63_3529:
	s_mov_b32 s1, 0
.LBB63_3530:
	s_delay_alu instid0(SALU_CYCLE_1)
	s_and_b32 vcc_lo, exec_lo, s1
	s_cbranch_vccz .LBB63_3579
; %bb.3531:
	s_and_b32 s0, 0xffff, s0
	s_delay_alu instid0(SALU_CYCLE_1)
	s_cmp_lt_i32 s0, 5
	s_cbranch_scc1 .LBB63_3536
; %bb.3532:
	s_cmp_lt_i32 s0, 8
	s_cbranch_scc1 .LBB63_3537
; %bb.3533:
	;; [unrolled: 3-line block ×3, first 2 shown]
	s_cmp_gt_i32 s0, 9
	s_cbranch_scc0 .LBB63_3539
; %bb.3535:
	s_wait_loadcnt 0x0
	global_load_b64 v[14:15], v[6:7], off
	s_mov_b32 s1, 0
	s_wait_loadcnt 0x0
	v_trunc_f64_e32 v[14:15], v[14:15]
	s_delay_alu instid0(VALU_DEP_1) | instskip(NEXT) | instid1(VALU_DEP_1)
	v_ldexp_f64 v[16:17], v[14:15], 0xffffffe0
	v_floor_f64_e32 v[16:17], v[16:17]
	s_delay_alu instid0(VALU_DEP_1) | instskip(SKIP_1) | instid1(VALU_DEP_2)
	v_fmamk_f64 v[18:19], v[16:17], 0xc1f00000, v[14:15]
	v_cvt_i32_f64_e32 v15, v[16:17]
	v_cvt_u32_f64_e32 v14, v[18:19]
	s_branch .LBB63_3540
.LBB63_3536:
	s_mov_b32 s1, -1
                                        ; implicit-def: $vgpr14_vgpr15
	s_branch .LBB63_3558
.LBB63_3537:
	s_mov_b32 s1, -1
                                        ; implicit-def: $vgpr14_vgpr15
	s_branch .LBB63_3546
.LBB63_3538:
	s_mov_b32 s1, -1
                                        ; implicit-def: $vgpr14_vgpr15
	s_branch .LBB63_3543
.LBB63_3539:
	s_mov_b32 s1, -1
                                        ; implicit-def: $vgpr14_vgpr15
.LBB63_3540:
	s_delay_alu instid0(SALU_CYCLE_1)
	s_and_not1_b32 vcc_lo, exec_lo, s1
	s_cbranch_vccnz .LBB63_3542
; %bb.3541:
	global_load_b32 v1, v[6:7], off
	s_wait_loadcnt 0x0
	v_trunc_f32_e32 v1, v1
	s_delay_alu instid0(VALU_DEP_1) | instskip(SKIP_1) | instid1(VALU_DEP_2)
	v_mul_f32_e64 v3, 0x2f800000, |v1|
	v_ashrrev_i32_e32 v14, 31, v1
	v_floor_f32_e32 v3, v3
	s_delay_alu instid0(VALU_DEP_1) | instskip(SKIP_1) | instid1(VALU_DEP_2)
	v_fma_f32 v15, 0xcf800000, v3, |v1|
	v_cvt_u32_f32_e32 v1, v3
	v_cvt_u32_f32_e32 v3, v15
	s_delay_alu instid0(VALU_DEP_2) | instskip(NEXT) | instid1(VALU_DEP_2)
	v_dual_mov_b32 v15, v14 :: v_dual_bitop2_b32 v17, v1, v14 bitop3:0x14
	v_xor_b32_e32 v16, v3, v14
	s_delay_alu instid0(VALU_DEP_1)
	v_sub_nc_u64_e32 v[14:15], v[16:17], v[14:15]
.LBB63_3542:
	s_mov_b32 s1, 0
.LBB63_3543:
	s_delay_alu instid0(SALU_CYCLE_1)
	s_and_not1_b32 vcc_lo, exec_lo, s1
	s_cbranch_vccnz .LBB63_3545
; %bb.3544:
	global_load_b32 v1, v[6:7], off
	s_wait_loadcnt 0x0
	v_cvt_f32_f16_e32 v1, v1
	s_delay_alu instid0(VALU_DEP_1) | instskip(NEXT) | instid1(VALU_DEP_1)
	v_cvt_i32_f32_e32 v14, v1
	v_ashrrev_i32_e32 v15, 31, v14
.LBB63_3545:
	s_mov_b32 s1, 0
.LBB63_3546:
	s_delay_alu instid0(SALU_CYCLE_1)
	s_and_not1_b32 vcc_lo, exec_lo, s1
	s_cbranch_vccnz .LBB63_3557
; %bb.3547:
	s_cmp_lt_i32 s0, 6
	s_cbranch_scc1 .LBB63_3550
; %bb.3548:
	s_cmp_gt_i32 s0, 6
	s_cbranch_scc0 .LBB63_3551
; %bb.3549:
	s_wait_loadcnt 0x0
	global_load_b64 v[14:15], v[6:7], off
	s_mov_b32 s1, 0
	s_wait_loadcnt 0x0
	v_trunc_f64_e32 v[14:15], v[14:15]
	s_delay_alu instid0(VALU_DEP_1) | instskip(NEXT) | instid1(VALU_DEP_1)
	v_ldexp_f64 v[16:17], v[14:15], 0xffffffe0
	v_floor_f64_e32 v[16:17], v[16:17]
	s_delay_alu instid0(VALU_DEP_1) | instskip(SKIP_1) | instid1(VALU_DEP_2)
	v_fmamk_f64 v[18:19], v[16:17], 0xc1f00000, v[14:15]
	v_cvt_i32_f64_e32 v15, v[16:17]
	v_cvt_u32_f64_e32 v14, v[18:19]
	s_branch .LBB63_3552
.LBB63_3550:
	s_mov_b32 s1, -1
                                        ; implicit-def: $vgpr14_vgpr15
	s_branch .LBB63_3555
.LBB63_3551:
	s_mov_b32 s1, -1
                                        ; implicit-def: $vgpr14_vgpr15
.LBB63_3552:
	s_delay_alu instid0(SALU_CYCLE_1)
	s_and_not1_b32 vcc_lo, exec_lo, s1
	s_cbranch_vccnz .LBB63_3554
; %bb.3553:
	global_load_b32 v1, v[6:7], off
	s_wait_loadcnt 0x0
	v_trunc_f32_e32 v1, v1
	s_delay_alu instid0(VALU_DEP_1) | instskip(SKIP_1) | instid1(VALU_DEP_2)
	v_mul_f32_e64 v3, 0x2f800000, |v1|
	v_ashrrev_i32_e32 v14, 31, v1
	v_floor_f32_e32 v3, v3
	s_delay_alu instid0(VALU_DEP_1) | instskip(SKIP_1) | instid1(VALU_DEP_2)
	v_fma_f32 v15, 0xcf800000, v3, |v1|
	v_cvt_u32_f32_e32 v1, v3
	v_cvt_u32_f32_e32 v3, v15
	s_delay_alu instid0(VALU_DEP_2) | instskip(NEXT) | instid1(VALU_DEP_2)
	v_dual_mov_b32 v15, v14 :: v_dual_bitop2_b32 v17, v1, v14 bitop3:0x14
	v_xor_b32_e32 v16, v3, v14
	s_delay_alu instid0(VALU_DEP_1)
	v_sub_nc_u64_e32 v[14:15], v[16:17], v[14:15]
.LBB63_3554:
	s_mov_b32 s1, 0
.LBB63_3555:
	s_delay_alu instid0(SALU_CYCLE_1)
	s_and_not1_b32 vcc_lo, exec_lo, s1
	s_cbranch_vccnz .LBB63_3557
; %bb.3556:
	global_load_u16 v1, v[6:7], off
	s_wait_loadcnt 0x0
	v_cvt_f32_f16_e32 v1, v1
	s_delay_alu instid0(VALU_DEP_1) | instskip(NEXT) | instid1(VALU_DEP_1)
	v_cvt_i32_f32_e32 v14, v1
	v_ashrrev_i32_e32 v15, 31, v14
.LBB63_3557:
	s_mov_b32 s1, 0
.LBB63_3558:
	s_delay_alu instid0(SALU_CYCLE_1)
	s_and_not1_b32 vcc_lo, exec_lo, s1
	s_cbranch_vccnz .LBB63_3578
; %bb.3559:
	s_cmp_lt_i32 s0, 2
	s_cbranch_scc1 .LBB63_3563
; %bb.3560:
	s_cmp_lt_i32 s0, 3
	s_cbranch_scc1 .LBB63_3564
; %bb.3561:
	s_cmp_gt_i32 s0, 3
	s_cbranch_scc0 .LBB63_3565
; %bb.3562:
	s_wait_loadcnt 0x0
	global_load_b64 v[14:15], v[6:7], off
	s_mov_b32 s1, 0
	s_branch .LBB63_3566
.LBB63_3563:
	s_mov_b32 s1, -1
                                        ; implicit-def: $vgpr14_vgpr15
	s_branch .LBB63_3572
.LBB63_3564:
	s_mov_b32 s1, -1
                                        ; implicit-def: $vgpr14_vgpr15
	s_branch .LBB63_3569
.LBB63_3565:
	s_mov_b32 s1, -1
                                        ; implicit-def: $vgpr14_vgpr15
.LBB63_3566:
	s_delay_alu instid0(SALU_CYCLE_1)
	s_and_not1_b32 vcc_lo, exec_lo, s1
	s_cbranch_vccnz .LBB63_3568
; %bb.3567:
	s_wait_loadcnt 0x0
	global_load_b32 v14, v[6:7], off
	s_wait_loadcnt 0x0
	v_ashrrev_i32_e32 v15, 31, v14
.LBB63_3568:
	s_mov_b32 s1, 0
.LBB63_3569:
	s_delay_alu instid0(SALU_CYCLE_1)
	s_and_not1_b32 vcc_lo, exec_lo, s1
	s_cbranch_vccnz .LBB63_3571
; %bb.3570:
	global_load_u16 v1, v[6:7], off
	s_wait_loadcnt 0x0
	v_bfe_i32 v14, v1, 0, 16
	s_delay_alu instid0(VALU_DEP_1)
	v_ashrrev_i32_e32 v15, 31, v14
.LBB63_3571:
	s_mov_b32 s1, 0
.LBB63_3572:
	s_delay_alu instid0(SALU_CYCLE_1)
	s_and_not1_b32 vcc_lo, exec_lo, s1
	s_cbranch_vccnz .LBB63_3578
; %bb.3573:
	s_cmp_gt_i32 s0, 0
	s_mov_b32 s0, 0
	s_cbranch_scc0 .LBB63_3575
; %bb.3574:
	global_load_i8 v1, v[6:7], off
	s_wait_loadcnt 0x0
	v_bfe_i32 v14, v1, 0, 16
	s_delay_alu instid0(VALU_DEP_1)
	v_ashrrev_i32_e32 v15, 31, v14
	s_branch .LBB63_3576
.LBB63_3575:
	s_mov_b32 s0, -1
                                        ; implicit-def: $vgpr14_vgpr15
.LBB63_3576:
	s_delay_alu instid0(SALU_CYCLE_1)
	s_and_not1_b32 vcc_lo, exec_lo, s0
	s_cbranch_vccnz .LBB63_3578
; %bb.3577:
	global_load_u8 v1, v[6:7], off
	s_mov_b32 s0, 0
	s_wait_loadcnt 0x1
	v_mov_b32_e32 v15, s0
	s_wait_loadcnt 0x0
	v_and_b32_e32 v14, 0xffff, v1
.LBB63_3578:
	s_mov_b32 s58, -1
.LBB63_3579:
	s_delay_alu instid0(SALU_CYCLE_1)
	s_and_not1_b32 vcc_lo, exec_lo, s58
	s_cbranch_vccnz .LBB63_3590
; %bb.3580:
	s_load_b512 s[4:19], s[2:3], 0x248
	s_mov_b32 s0, 0
	s_mov_b32 s59, -1
	s_mov_b32 s60, s99
	s_mov_b32 s58, vcc_hi
	s_mov_b32 s35, s104
	s_mov_b32 s1, s101
	s_wait_loadcnt 0x0
	s_wait_kmcnt 0x0
	v_cmp_eq_u64_e32 vcc_lo, s[16:17], v[4:5]
	s_and_b32 s36, s81, vcc_lo
	s_delay_alu instid0(SALU_CYCLE_1)
	s_and_saveexec_b32 s62, s36
	v_readlane_b32 s4, v66, 0
	s_mov_b64 s[14:15], s[78:79]
	s_mov_b32 s12, s76
	s_cbranch_execz .LBB63_4301
; %bb.3581:
	v_cmp_eq_u64_e32 vcc_lo, s[20:21], v[8:9]
	s_mov_b32 s58, -1
	s_mov_b32 s59, vcc_hi
	s_mov_b32 s35, s104
	s_mov_b32 s60, s101
	s_and_b32 s1, s52, vcc_lo
	s_delay_alu instid0(SALU_CYCLE_1)
	s_and_saveexec_b32 s39, s1
	s_cbranch_execz .LBB63_3787
; %bb.3582:
	s_load_b512 s[4:19], s[2:3], 0x248
	v_sub_nc_u64_e32 v[4:5], v[10:11], v[12:13]
	s_mov_b32 s1, 0
	s_mov_b32 s35, -1
	s_mov_b32 s58, s101
	s_wait_kmcnt 0x0
	s_delay_alu instid0(VALU_DEP_1) | instskip(SKIP_4) | instid1(SALU_CYCLE_1)
	v_cmp_le_i64_e32 vcc_lo, s[16:17], v[4:5]
	v_cmp_ge_i64_e64 s0, s[18:19], v[4:5]
	s_and_b32 s36, vcc_lo, s0
	s_mov_b32 s0, s104
	s_and_b32 s36, s77, s36
	s_and_saveexec_b32 s14, s36
	s_cbranch_execz .LBB63_3786
; %bb.3583:
	v_cmp_lt_i64_e64 s0, s[20:21], 1
	v_mov_b64_e32 v[4:5], 0
	s_xor_b32 s1, s51, -1
	s_delay_alu instid0(SALU_CYCLE_1) | instskip(NEXT) | instid1(SALU_CYCLE_1)
	s_or_b32 s0, s0, s1
	s_and_b32 vcc_lo, exec_lo, s0
	s_cbranch_vccnz .LBB63_3592
; %bb.3584:
	v_mul_u64_e32 v[8:9], s[20:21], v[14:15]
	s_mov_b32 s59, 0
	v_mov_b64_e32 v[4:5], 0
	s_mov_b32 s35, s59
	v_mov_b32_e32 v6, 0
	s_lshl_b64 s[0:1], s[34:35], 3
	s_mov_b32 s13, s39
	s_mov_b32 s12, s62
	s_add_nc_u64 s[60:61], s[24:25], s[0:1]
	s_add_nc_u64 s[62:63], s[26:27], s[0:1]
	s_mov_b32 s35, s22
	s_branch .LBB63_3586
.LBB63_3585:                            ;   in Loop: Header=BB63_3586 Depth=1
	s_or_b32 exec_lo, exec_lo, s0
	global_load_b64 v[16:17], v6, s[62:63]
	v_mul_u64_e32 v[18:19], s[64:65], v[14:15]
	s_add_co_i32 s35, s35, -1
	s_add_nc_u64 s[60:61], s[60:61], -8
	s_cmp_lg_u32 s35, 0
	s_wait_xcnt 0x0
	s_add_nc_u64 s[62:63], s[62:63], -8
	s_delay_alu instid0(VALU_DEP_1) | instskip(SKIP_1) | instid1(VALU_DEP_1)
	v_sub_nc_u64_e32 v[8:9], v[8:9], v[18:19]
	s_wait_loadcnt 0x0
	v_mad_nc_u64_u32 v[4:5], v8, v16, v[4:5]
	s_delay_alu instid0(VALU_DEP_1) | instskip(NEXT) | instid1(VALU_DEP_1)
	v_mad_u32 v1, v9, v16, v5
	v_mad_u32 v5, v8, v17, v1
	v_mov_b64_e32 v[8:9], v[14:15]
	s_cbranch_scc0 .LBB63_3591
.LBB63_3586:                            ; =>This Inner Loop Header: Depth=1
	global_load_b64 v[14:15], v6, s[60:61]
	s_mov_b32 s0, exec_lo
	s_wait_loadcnt 0x0
	v_or_b32_e32 v7, v9, v15
	v_readfirstlane_b32 s64, v14
	v_readfirstlane_b32 s65, v15
                                        ; implicit-def: $vgpr14_vgpr15
	s_wait_xcnt 0x0
	s_delay_alu instid0(VALU_DEP_3)
	v_cmpx_ne_u64_e32 0, v[6:7]
	s_xor_b32 s1, exec_lo, s0
	s_cbranch_execz .LBB63_3588
; %bb.3587:                             ;   in Loop: Header=BB63_3586 Depth=1
	s_ashr_i32 s66, s65, 31
	s_mov_b32 s8, s69
	s_mov_b32 s67, s66
	s_mov_b32 s10, s68
	s_add_nc_u64 s[36:37], s[64:65], s[66:67]
	s_mov_b64 s[4:5], s[40:41]
	s_xor_b64 s[68:69], s[36:37], s[66:67]
	s_mov_b64 s[6:7], s[42:43]
	s_cvt_f32_u32 s0, s68
	s_cvt_f32_u32 s36, s69
	s_sub_nc_u64 s[38:39], 0, s[68:69]
	s_mov_b32 s9, s48
	s_mov_b32 s11, s49
	s_fmamk_f32 s0, s36, 0x4f800000, s0
	v_dual_mov_b32 v19, v6 :: v_dual_ashrrev_i32 v14, 31, v9
	s_delay_alu instid0(SALU_CYCLE_2) | instskip(NEXT) | instid1(VALU_DEP_1)
	v_s_rcp_f32 s0, s0
	v_mov_b32_e32 v15, v14
	s_delay_alu instid0(VALU_DEP_1) | instskip(NEXT) | instid1(TRANS32_DEP_1)
	v_add_nc_u64_e32 v[16:17], v[8:9], v[14:15]
	s_mul_f32 s0, s0, 0x5f7ffffc
	v_mov_b32_e32 v21, v6
	s_delay_alu instid0(SALU_CYCLE_2) | instskip(NEXT) | instid1(VALU_DEP_2)
	s_mul_f32 s36, s0, 0x2f800000
	v_xor_b32_e32 v18, v16, v14
	s_delay_alu instid0(VALU_DEP_3) | instskip(NEXT) | instid1(SALU_CYCLE_1)
	v_xor_b32_e32 v20, v17, v14
	s_trunc_f32 s36, s36
	v_dual_mov_b32 v27, v6 :: v_dual_bitop2_b32 v14, s66, v14 bitop3:0x14
	s_delay_alu instid0(SALU_CYCLE_2) | instskip(SKIP_1) | instid1(SALU_CYCLE_2)
	s_fmamk_f32 s0, s36, 0xcf800000, s0
	s_cvt_u32_f32 s37, s36
	s_cvt_u32_f32 s36, s0
	s_delay_alu instid0(SALU_CYCLE_3) | instskip(NEXT) | instid1(SALU_CYCLE_1)
	s_mul_u64 s[40:41], s[38:39], s[36:37]
	s_mul_hi_u32 s43, s36, s41
	s_mul_i32 s42, s36, s41
	s_mul_hi_u32 s58, s36, s40
	s_mul_i32 s48, s37, s40
	s_add_nc_u64 s[42:43], s[58:59], s[42:43]
	s_mul_hi_u32 s0, s37, s40
	s_mul_hi_u32 s49, s37, s41
	s_mul_i32 s40, s37, s41
	s_add_co_u32 s41, s42, s48
	s_add_co_ci_u32 s58, s43, s0
	s_add_co_ci_u32 s41, s49, 0
	s_mov_b32 s48, s9
	s_add_nc_u64 s[40:41], s[58:59], s[40:41]
	s_mov_b32 s49, s11
	s_add_co_u32 s36, s36, s40
	s_cselect_b32 s0, -1, 0
	s_delay_alu instid0(SALU_CYCLE_1) | instskip(SKIP_1) | instid1(SALU_CYCLE_1)
	s_cmp_lg_u32 s0, 0
	s_add_co_ci_u32 s37, s37, s41
	s_mul_u64 s[38:39], s[38:39], s[36:37]
	s_delay_alu instid0(SALU_CYCLE_1)
	s_mul_hi_u32 s41, s36, s39
	s_mul_i32 s40, s36, s39
	s_mul_hi_u32 s58, s36, s38
	s_mul_i32 s42, s37, s38
	s_add_nc_u64 s[40:41], s[58:59], s[40:41]
	s_mul_hi_u32 s0, s37, s38
	s_mul_hi_u32 s43, s37, s39
	s_mul_i32 s38, s37, s39
	s_add_co_u32 s39, s40, s42
	s_add_co_ci_u32 s58, s41, s0
	s_add_co_ci_u32 s39, s43, 0
	s_mov_b64 s[42:43], s[6:7]
	s_add_nc_u64 s[38:39], s[58:59], s[38:39]
	s_mov_b64 s[40:41], s[4:5]
	s_add_co_u32 s0, s36, s38
	s_cselect_b32 s36, -1, 0
	v_mul_hi_u32 v26, v18, s0
	s_cmp_lg_u32 s36, 0
	s_add_co_ci_u32 s58, s37, s39
	s_mov_b64 s[36:37], 0xffffffff
	v_mul_u64_e32 v[22:23], s[58:59], v[18:19]
	s_and_b64 s[36:37], s[0:1], s[36:37]
	v_mul_u64_e32 v[24:25], s[58:59], v[20:21]
	v_mul_u64_e32 v[16:17], s[36:37], v[20:21]
	s_delay_alu instid0(VALU_DEP_3) | instskip(NEXT) | instid1(VALU_DEP_1)
	v_add_nc_u64_e32 v[22:23], v[26:27], v[22:23]
	v_add_co_u32 v1, vcc_lo, v22, v16
	s_delay_alu instid0(VALU_DEP_2) | instskip(SKIP_1) | instid1(VALU_DEP_1)
	v_add_co_ci_u32_e32 v26, vcc_lo, v23, v17, vcc_lo
	v_add_co_ci_u32_e32 v25, vcc_lo, 0, v25, vcc_lo
	v_add_nc_u64_e32 v[16:17], v[26:27], v[24:25]
	s_delay_alu instid0(VALU_DEP_1) | instskip(NEXT) | instid1(VALU_DEP_1)
	v_mul_u64_e32 v[22:23], s[68:69], v[16:17]
	v_sub_nc_u32_e32 v1, v20, v23
	s_delay_alu instid0(VALU_DEP_2) | instskip(NEXT) | instid1(VALU_DEP_1)
	v_sub_co_u32 v3, vcc_lo, v18, v22
	v_sub_co_ci_u32_e64 v15, null, v20, v23, vcc_lo
	s_delay_alu instid0(VALU_DEP_3) | instskip(NEXT) | instid1(VALU_DEP_3)
	v_subrev_co_ci_u32_e64 v1, null, s69, v1, vcc_lo
	v_sub_co_u32 v7, s0, v3, s68
	v_add_nc_u64_e32 v[20:21], 1, v[16:17]
	s_delay_alu instid0(VALU_DEP_3) | instskip(NEXT) | instid1(VALU_DEP_3)
	v_subrev_co_ci_u32_e64 v1, null, 0, v1, s0
	v_cmp_le_u32_e32 vcc_lo, s68, v7
	v_cndmask_b32_e64 v7, 0, -1, vcc_lo
	s_delay_alu instid0(VALU_DEP_3)
	v_cmp_le_u32_e32 vcc_lo, s69, v1
	v_cndmask_b32_e64 v18, 0, -1, vcc_lo
	v_cmp_le_u32_e32 vcc_lo, s68, v3
	s_mov_b32 s68, s10
	v_cndmask_b32_e64 v3, 0, -1, vcc_lo
	v_cmp_le_u32_e32 vcc_lo, s69, v15
	v_cndmask_b32_e64 v22, 0, -1, vcc_lo
	v_cmp_eq_u32_e32 vcc_lo, s69, v1
	v_cndmask_b32_e32 v1, v18, v7, vcc_lo
	v_cmp_eq_u32_e32 vcc_lo, s69, v15
	v_add_nc_u64_e32 v[18:19], 2, v[16:17]
	v_mov_b32_e32 v15, v14
	s_mov_b32 s69, s8
	v_cndmask_b32_e32 v3, v22, v3, vcc_lo
	v_cmp_ne_u32_e32 vcc_lo, 0, v1
	s_delay_alu instid0(VALU_DEP_2) | instskip(SKIP_1) | instid1(VALU_DEP_1)
	v_cmp_ne_u32_e64 s0, 0, v3
	v_dual_cndmask_b32 v1, v21, v19, vcc_lo :: v_dual_cndmask_b32 v3, v20, v18, vcc_lo
	v_dual_cndmask_b32 v1, v17, v1, s0 :: v_dual_cndmask_b32 v3, v16, v3, s0
	s_delay_alu instid0(VALU_DEP_1) | instskip(NEXT) | instid1(VALU_DEP_2)
	v_xor_b32_e32 v17, v1, v14
	v_xor_b32_e32 v16, v3, v14
	s_delay_alu instid0(VALU_DEP_1)
	v_sub_nc_u64_e32 v[14:15], v[16:17], v[14:15]
.LBB63_3588:                            ;   in Loop: Header=BB63_3586 Depth=1
	s_and_not1_saveexec_b32 s0, s1
	s_cbranch_execz .LBB63_3585
; %bb.3589:                             ;   in Loop: Header=BB63_3586 Depth=1
	v_cvt_f32_u32_e32 v1, s64
	s_sub_co_i32 s1, 0, s64
	v_mov_b32_e32 v15, v6
	s_delay_alu instid0(VALU_DEP_2) | instskip(SKIP_1) | instid1(TRANS32_DEP_1)
	v_rcp_iflag_f32_e32 v1, v1
	v_nop
	v_mul_f32_e32 v1, 0x4f7ffffe, v1
	s_delay_alu instid0(VALU_DEP_1) | instskip(NEXT) | instid1(VALU_DEP_1)
	v_cvt_u32_f32_e32 v1, v1
	v_mul_lo_u32 v3, s1, v1
	s_delay_alu instid0(VALU_DEP_1) | instskip(NEXT) | instid1(VALU_DEP_1)
	v_mul_hi_u32 v3, v1, v3
	v_add_nc_u32_e32 v1, v1, v3
	s_delay_alu instid0(VALU_DEP_1) | instskip(NEXT) | instid1(VALU_DEP_1)
	v_mul_hi_u32 v1, v8, v1
	v_mul_lo_u32 v3, v1, s64
	s_delay_alu instid0(VALU_DEP_1) | instskip(NEXT) | instid1(VALU_DEP_1)
	v_sub_nc_u32_e32 v3, v8, v3
	v_subrev_nc_u32_e32 v14, s64, v3
	v_cmp_le_u32_e32 vcc_lo, s64, v3
	s_delay_alu instid0(VALU_DEP_2) | instskip(NEXT) | instid1(VALU_DEP_1)
	v_dual_add_nc_u32 v7, 1, v1 :: v_dual_cndmask_b32 v3, v3, v14, vcc_lo
	v_cndmask_b32_e32 v1, v1, v7, vcc_lo
	s_delay_alu instid0(VALU_DEP_2) | instskip(NEXT) | instid1(VALU_DEP_2)
	v_cmp_le_u32_e32 vcc_lo, s64, v3
	v_add_nc_u32_e32 v7, 1, v1
	s_delay_alu instid0(VALU_DEP_1)
	v_cndmask_b32_e32 v14, v1, v7, vcc_lo
	s_branch .LBB63_3585
.LBB63_3590:
	s_mov_b32 s0, 0
	s_mov_b32 s1, s101
	;; [unrolled: 1-line block ×3, first 2 shown]
	s_mov_b32 s58, vcc_hi
	s_mov_b32 s60, s99
	s_mov_b32 s59, s100
                                        ; implicit-def: $vgpr0
	s_mov_b64 s[14:15], s[78:79]
	s_mov_b32 s12, s76
	v_readlane_b32 s4, v66, 0
	s_branch .LBB63_1211
.LBB63_3591:
	s_mov_b32 s62, s12
	s_mov_b32 s39, s13
.LBB63_3592:
	s_mov_b32 s59, -1
	s_mov_b32 s0, s104
	s_mov_b32 s1, exec_lo
	v_cmpx_gt_i64_e64 v[10:11], v[12:13]
	s_cbranch_execz .LBB63_3598
; %bb.3593:
	s_delay_alu instid0(VALU_DEP_2) | instskip(SKIP_2) | instid1(VALU_DEP_1)
	v_lshlrev_b64_e32 v[4:5], 3, v[4:5]
	s_mov_b32 s0, 0
	s_xor_b32 s58, s69, -1
                                        ; implicit-def: $sgpr35
                                        ; implicit-def: $sgpr60
                                        ; implicit-def: $sgpr59
	v_lshl_add_u64 v[6:7], v[12:13], 3, v[4:5]
	v_add_nc_u64_e32 v[8:9], s[28:29], v[4:5]
	s_delay_alu instid0(VALU_DEP_2) | instskip(NEXT) | instid1(VALU_DEP_1)
	v_add_nc_u64_e32 v[6:7], s[28:29], v[6:7]
	v_add_nc_u64_e32 v[4:5], 8, v[6:7]
	s_delay_alu instid0(VALU_DEP_3)
	v_lshl_add_u64 v[6:7], v[10:11], 3, v[8:9]
	s_branch .LBB63_3595
.LBB63_3594:                            ;   in Loop: Header=BB63_3595 Depth=1
	s_or_b32 exec_lo, exec_lo, s61
	s_delay_alu instid0(SALU_CYCLE_1) | instskip(NEXT) | instid1(SALU_CYCLE_1)
	s_and_b32 s36, exec_lo, s60
	s_or_b32 s0, s36, s0
	s_and_not1_b32 s35, s35, exec_lo
	s_and_b32 s36, s59, exec_lo
	s_delay_alu instid0(SALU_CYCLE_1)
	s_or_b32 s35, s35, s36
	s_and_not1_b32 exec_lo, exec_lo, s0
	s_cbranch_execz .LBB63_3597
.LBB63_3595:                            ; =>This Inner Loop Header: Depth=1
	s_or_b32 s59, s59, exec_lo
	s_or_b32 s60, s60, exec_lo
	s_mov_b32 s61, exec_lo
	s_delay_alu instid0(VALU_DEP_2)
	v_cmpx_lt_u64_e64 v[4:5], v[6:7]
	s_cbranch_execz .LBB63_3594
; %bb.3596:                             ;   in Loop: Header=BB63_3595 Depth=1
	global_load_b128 v[8:11], v[4:5], off offset:-8
	s_wait_xcnt 0x0
	v_add_nc_u64_e32 v[4:5], 8, v[4:5]
	s_and_not1_b32 s37, s60, exec_lo
	s_and_not1_b32 s59, s59, exec_lo
	s_wait_loadcnt 0x0
	v_cmp_ge_i64_e32 vcc_lo, v[8:9], v[10:11]
	s_or_b32 s36, s58, vcc_lo
	s_delay_alu instid0(SALU_CYCLE_1) | instskip(NEXT) | instid1(SALU_CYCLE_1)
	s_and_b32 s36, s36, exec_lo
	s_or_b32 s60, s37, s36
	s_branch .LBB63_3594
.LBB63_3597:
	s_or_b32 exec_lo, exec_lo, s0
	s_delay_alu instid0(SALU_CYCLE_1)
	s_or_b32 s0, s104, exec_lo
	s_or_not1_b32 s59, s35, exec_lo
.LBB63_3598:
	s_or_b32 exec_lo, exec_lo, s1
	s_mov_b32 s1, 0
	s_mov_b32 s58, s101
	s_and_saveexec_b32 s35, s59
	s_cbranch_execz .LBB63_3785
; %bb.3599:
	s_mov_b32 s36, s14
	s_load_b512 s[4:19], s[2:3], 0x248
	v_mov_b32_e32 v3, 0
	s_and_b32 s59, s30, 0xff
	s_delay_alu instid0(SALU_CYCLE_1) | instskip(SKIP_1) | instid1(VALU_DEP_1)
	s_cmp_lt_i32 s59, 11
	s_wait_kmcnt 0x0
	v_add_nc_u64_e32 v[2:3], s[4:5], v[2:3]
	s_cbranch_scc1 .LBB63_3606
; %bb.3600:
	s_and_b32 s60, 0xffff, s59
	s_delay_alu instid0(SALU_CYCLE_1)
	s_cmp_gt_i32 s60, 25
	s_cbranch_scc0 .LBB63_3607
; %bb.3601:
	s_cmp_gt_i32 s60, 28
	s_cbranch_scc0 .LBB63_3608
; %bb.3602:
	s_mov_b32 s4, s53
	s_mov_b32 s5, s52
	;; [unrolled: 1-line block ×4, first 2 shown]
	s_cmp_gt_i32 s60, 43
	s_cbranch_scc0 .LBB63_3696
; %bb.3603:
	s_cmp_gt_i32 s60, 45
	s_cbranch_scc0 .LBB63_3699
; %bb.3604:
	s_mov_b32 s58, -1
	s_cmp_eq_u32 s60, 46
	s_mov_b32 s61, 0
	s_cbranch_scc0 .LBB63_3700
; %bb.3605:
	v_mov_b32_e32 v1, 0
	s_mov_b32 s61, -1
	s_mov_b32 s58, 0
	global_store_b32 v[2:3], v1, off
	s_branch .LBB63_3700
.LBB63_3606:
	s_mov_b32 s1, -1
	s_mov_b32 s61, 0
	s_mov_b32 s58, s101
	s_mov_b32 s14, s36
	s_branch .LBB63_3740
.LBB63_3607:
	s_mov_b32 s1, -1
	s_mov_b32 s61, 0
	s_mov_b32 s58, s101
	;; [unrolled: 1-line block ×3, first 2 shown]
	s_branch .LBB63_3719
.LBB63_3608:
	s_mov_b32 s1, -1
	s_mov_b32 s61, 0
	s_mov_b32 s58, s101
	s_branch .LBB63_3708
.LBB63_3609:
	s_mov_b32 s1, -1
	s_mov_b32 s61, 0
	s_mov_b32 s58, s70
.LBB63_3610:
	s_and_b32 vcc_lo, exec_lo, s1
	s_cbranch_vccz .LBB63_3613
; %bb.3611:
	s_cmp_eq_u32 s60, 44
	s_mov_b32 s58, -1
	s_cbranch_scc0 .LBB63_3613
; %bb.3612:
	s_wait_xcnt 0x0
	v_mov_b32_e32 v1, 0
	s_mov_b32 s61, -1
	s_mov_b32 s58, 0
	global_store_b8 v[2:3], v1, off
.LBB63_3613:
	s_mov_b32 s1, 0
.LBB63_3614:
	s_delay_alu instid0(SALU_CYCLE_1)
	s_and_b32 vcc_lo, exec_lo, s1
	s_cbranch_vccz .LBB63_3617
; %bb.3615:
	s_cmp_eq_u32 s60, 29
	s_mov_b32 s58, -1
	s_cbranch_scc0 .LBB63_3617
; %bb.3616:
	v_mov_b64_e32 v[4:5], 0
	s_mov_b32 s61, -1
	s_mov_b32 s58, 0
	global_store_b64 v[2:3], v[4:5], off
.LBB63_3617:
	s_mov_b32 s69, s52
	s_mov_b32 s49, s53
	;; [unrolled: 1-line block ×5, first 2 shown]
.LBB63_3618:
	s_delay_alu instid0(SALU_CYCLE_1)
	s_and_b32 vcc_lo, exec_lo, s1
	s_cbranch_vccz .LBB63_3628
; %bb.3619:
	s_cmp_lt_i32 s60, 27
	s_mov_b32 s1, -1
	s_cbranch_scc1 .LBB63_3625
; %bb.3620:
	s_mov_b32 s4, s53
	s_mov_b32 s5, s52
	;; [unrolled: 1-line block ×4, first 2 shown]
	s_cmp_gt_i32 s60, 27
	s_cbranch_scc0 .LBB63_3622
; %bb.3621:
	s_wait_xcnt 0x0
	v_mov_b32_e32 v1, 0
	s_mov_b32 s1, 0
	global_store_b32 v[2:3], v1, off
.LBB63_3622:
	s_and_not1_b32 vcc_lo, exec_lo, s1
	s_cbranch_vccnz .LBB63_3624
; %bb.3623:
	s_wait_xcnt 0x0
	v_mov_b32_e32 v1, 0
	global_store_b16 v[2:3], v1, off
.LBB63_3624:
	s_mov_b32 s1, 0
	s_mov_b32 s69, s52
	;; [unrolled: 1-line block ×5, first 2 shown]
.LBB63_3625:
	s_and_not1_b32 vcc_lo, exec_lo, s1
	s_cbranch_vccnz .LBB63_3627
; %bb.3626:
	s_wait_xcnt 0x0
	v_mov_b32_e32 v1, 0
	global_store_b8 v[2:3], v1, off
.LBB63_3627:
	s_mov_b32 s61, -1
.LBB63_3628:
	s_mov_b32 s1, 0
.LBB63_3629:
	s_delay_alu instid0(SALU_CYCLE_1)
	s_and_b32 vcc_lo, exec_lo, s1
	s_cbranch_vccz .LBB63_3649
; %bb.3630:
	s_cmp_gt_i32 s60, 22
	s_mov_b32 s1, -1
	s_cbranch_scc0 .LBB63_3640
; %bb.3631:
	s_cmp_lt_i32 s60, 24
	s_cbranch_scc1 .LBB63_3637
; %bb.3632:
	s_mov_b32 s4, s53
	s_mov_b32 s5, s52
	s_mov_b32 s53, s49
	s_mov_b32 s52, s69
	s_cmp_gt_i32 s60, 24
	s_cbranch_scc0 .LBB63_3634
; %bb.3633:
	s_wait_xcnt 0x0
	v_mov_b32_e32 v1, 0
	s_mov_b32 s1, 0
	global_store_b8 v[2:3], v1, off
.LBB63_3634:
	s_and_not1_b32 vcc_lo, exec_lo, s1
	s_cbranch_vccnz .LBB63_3636
; %bb.3635:
	s_wait_xcnt 0x0
	v_mov_b32_e32 v1, 0
	global_store_b8 v[2:3], v1, off
.LBB63_3636:
	s_mov_b32 s1, 0
	s_mov_b32 s69, s52
	;; [unrolled: 1-line block ×5, first 2 shown]
.LBB63_3637:
	s_and_not1_b32 vcc_lo, exec_lo, s1
	s_cbranch_vccnz .LBB63_3639
; %bb.3638:
	s_wait_xcnt 0x0
	v_mov_b32_e32 v1, 0
	global_store_b8 v[2:3], v1, off
.LBB63_3639:
	s_mov_b32 s1, 0
	s_mov_b32 s61, -1
.LBB63_3640:
	s_and_not1_b32 vcc_lo, exec_lo, s1
	s_cbranch_vccnz .LBB63_3649
; %bb.3641:
	s_cmp_gt_i32 s60, 14
	s_mov_b32 s1, -1
	s_mov_b32 s4, s53
	s_mov_b32 s5, s52
	;; [unrolled: 1-line block ×4, first 2 shown]
	s_cbranch_scc0 .LBB63_3645
; %bb.3642:
	s_cmp_eq_u32 s60, 15
	s_mov_b32 s58, -1
	s_cbranch_scc0 .LBB63_3644
; %bb.3643:
	s_wait_xcnt 0x0
	v_mov_b32_e32 v1, 0
	s_mov_b32 s61, -1
	s_mov_b32 s58, 0
	global_store_b16 v[2:3], v1, off
.LBB63_3644:
	s_mov_b32 s1, 0
.LBB63_3645:
	s_delay_alu instid0(SALU_CYCLE_1)
	s_and_b32 vcc_lo, exec_lo, s1
	s_cbranch_vccz .LBB63_3648
; %bb.3646:
	s_cmp_eq_u32 s60, 11
	s_mov_b32 s58, -1
	s_cbranch_scc0 .LBB63_3648
; %bb.3647:
	s_wait_xcnt 0x0
	v_mov_b32_e32 v1, 0
	s_mov_b32 s61, -1
	s_mov_b32 s58, 0
	global_store_b8 v[2:3], v1, off
.LBB63_3648:
	s_mov_b32 s69, s52
	s_mov_b32 s49, s53
	;; [unrolled: 1-line block ×4, first 2 shown]
.LBB63_3649:
	s_mov_b32 s1, 0
.LBB63_3650:
	s_delay_alu instid0(SALU_CYCLE_1)
	s_and_b32 vcc_lo, exec_lo, s1
	s_cbranch_vccz .LBB63_3689
; %bb.3651:
	s_and_b32 s1, 0xffff, s59
	s_mov_b32 s59, -1
	s_cmp_lt_i32 s1, 5
	s_cbranch_scc1 .LBB63_3672
; %bb.3652:
	s_cmp_lt_i32 s1, 8
	s_cbranch_scc1 .LBB63_3662
; %bb.3653:
	;; [unrolled: 3-line block ×3, first 2 shown]
	s_mov_b32 s4, s53
	s_mov_b32 s5, s52
	;; [unrolled: 1-line block ×4, first 2 shown]
	s_cmp_gt_i32 s1, 9
	s_cbranch_scc0 .LBB63_3656
; %bb.3655:
	s_wait_xcnt 0x0
	v_mov_b32_e32 v4, 0
	s_mov_b32 s59, 0
	s_delay_alu instid0(VALU_DEP_1)
	v_dual_mov_b32 v5, v4 :: v_dual_mov_b32 v6, v4
	v_mov_b32_e32 v7, v4
	global_store_b128 v[2:3], v[4:7], off
.LBB63_3656:
	s_and_not1_b32 vcc_lo, exec_lo, s59
	s_cbranch_vccnz .LBB63_3658
; %bb.3657:
	s_wait_xcnt 0x0
	v_mov_b64_e32 v[4:5], 0
	global_store_b64 v[2:3], v[4:5], off
.LBB63_3658:
	s_mov_b32 s59, 0
	s_mov_b32 s69, s52
	;; [unrolled: 1-line block ×5, first 2 shown]
.LBB63_3659:
	s_and_not1_b32 vcc_lo, exec_lo, s59
	s_cbranch_vccnz .LBB63_3661
; %bb.3660:
	s_wait_xcnt 0x0
	v_mov_b32_e32 v1, 0
	global_store_b32 v[2:3], v1, off
.LBB63_3661:
	s_mov_b32 s59, 0
.LBB63_3662:
	s_delay_alu instid0(SALU_CYCLE_1)
	s_and_not1_b32 vcc_lo, exec_lo, s59
	s_cbranch_vccnz .LBB63_3671
; %bb.3663:
	s_cmp_lt_i32 s1, 6
	s_mov_b32 s59, -1
	s_cbranch_scc1 .LBB63_3669
; %bb.3664:
	s_mov_b32 s4, s53
	s_mov_b32 s5, s52
	;; [unrolled: 1-line block ×4, first 2 shown]
	s_cmp_gt_i32 s1, 6
	s_cbranch_scc0 .LBB63_3666
; %bb.3665:
	s_wait_xcnt 0x0
	v_mov_b64_e32 v[4:5], 0
	s_mov_b32 s59, 0
	global_store_b64 v[2:3], v[4:5], off
.LBB63_3666:
	s_and_not1_b32 vcc_lo, exec_lo, s59
	s_cbranch_vccnz .LBB63_3668
; %bb.3667:
	s_wait_xcnt 0x0
	v_mov_b32_e32 v1, 0
	global_store_b32 v[2:3], v1, off
.LBB63_3668:
	s_mov_b32 s59, 0
	s_mov_b32 s69, s52
	;; [unrolled: 1-line block ×5, first 2 shown]
.LBB63_3669:
	s_and_not1_b32 vcc_lo, exec_lo, s59
	s_cbranch_vccnz .LBB63_3671
; %bb.3670:
	s_wait_xcnt 0x0
	v_mov_b32_e32 v1, 0
	global_store_b16 v[2:3], v1, off
.LBB63_3671:
	s_mov_b32 s59, 0
.LBB63_3672:
	s_delay_alu instid0(SALU_CYCLE_1)
	s_and_not1_b32 vcc_lo, exec_lo, s59
	s_cbranch_vccnz .LBB63_3688
; %bb.3673:
	s_cmp_lt_i32 s1, 2
	s_mov_b32 s59, -1
	s_cbranch_scc1 .LBB63_3683
; %bb.3674:
	s_cmp_lt_i32 s1, 3
	s_cbranch_scc1 .LBB63_3680
; %bb.3675:
	s_mov_b32 s4, s53
	s_mov_b32 s5, s52
	;; [unrolled: 1-line block ×4, first 2 shown]
	s_cmp_gt_i32 s1, 3
	s_cbranch_scc0 .LBB63_3677
; %bb.3676:
	s_wait_xcnt 0x0
	v_mov_b64_e32 v[4:5], 0
	s_mov_b32 s59, 0
	global_store_b64 v[2:3], v[4:5], off
.LBB63_3677:
	s_and_not1_b32 vcc_lo, exec_lo, s59
	s_cbranch_vccnz .LBB63_3679
; %bb.3678:
	s_wait_xcnt 0x0
	v_mov_b32_e32 v1, 0
	global_store_b32 v[2:3], v1, off
.LBB63_3679:
	s_mov_b32 s59, 0
	s_mov_b32 s69, s52
	;; [unrolled: 1-line block ×5, first 2 shown]
.LBB63_3680:
	s_and_not1_b32 vcc_lo, exec_lo, s59
	s_cbranch_vccnz .LBB63_3682
; %bb.3681:
	s_wait_xcnt 0x0
	v_mov_b32_e32 v1, 0
	global_store_b16 v[2:3], v1, off
.LBB63_3682:
	s_mov_b32 s59, 0
.LBB63_3683:
	s_delay_alu instid0(SALU_CYCLE_1)
	s_and_not1_b32 vcc_lo, exec_lo, s59
	s_cbranch_vccnz .LBB63_3688
; %bb.3684:
	s_cmp_gt_i32 s1, 0
	s_mov_b32 s1, -1
	s_cbranch_scc0 .LBB63_3686
; %bb.3685:
	s_wait_xcnt 0x0
	v_mov_b32_e32 v1, 0
	s_mov_b32 s1, 0
	global_store_b8 v[2:3], v1, off
.LBB63_3686:
	s_and_not1_b32 vcc_lo, exec_lo, s1
	s_cbranch_vccnz .LBB63_3688
; %bb.3687:
	s_wait_xcnt 0x0
	v_mov_b32_e32 v1, 0
	global_store_b8 v[2:3], v1, off
.LBB63_3688:
	s_mov_b32 s61, -1
.LBB63_3689:
	s_delay_alu instid0(SALU_CYCLE_1)
	s_and_not1_b32 vcc_lo, exec_lo, s61
	s_cbranch_vccnz .LBB63_3691
; %bb.3690:
	v_add_nc_u32_e32 v0, 0x80, v0
	s_mov_b32 s1, -1
	s_branch .LBB63_3692
.LBB63_3691:
	s_mov_b32 s1, 0
                                        ; implicit-def: $vgpr0
.LBB63_3692:
	s_and_not1_b32 s36, s70, exec_lo
	s_and_b32 s37, s58, exec_lo
	s_and_not1_b32 s0, s0, exec_lo
	s_or_b32 s58, s36, s37
	s_and_b32 s1, s1, exec_lo
.LBB63_3693:
	s_wait_xcnt 0x0
	s_or_b32 exec_lo, exec_lo, s35
	s_delay_alu instid0(SALU_CYCLE_1)
	s_and_not1_b32 s35, s70, exec_lo
	s_and_b32 s36, s58, exec_lo
	s_and_not1_b32 s37, s71, exec_lo
	s_and_b32 s0, s0, exec_lo
	s_or_b32 s58, s35, s36
	s_or_b32 s0, s37, s0
	s_xor_b32 s35, exec_lo, -1
	s_and_b32 s1, s1, exec_lo
.LBB63_3694:
	s_or_b32 exec_lo, exec_lo, s97
	s_delay_alu instid0(SALU_CYCLE_1)
	s_and_not1_b32 s36, s70, exec_lo
	s_and_b32 s37, s58, exec_lo
	s_and_b32 s0, s0, exec_lo
	s_or_b32 s60, s36, s37
	s_and_not1_b32 s36, s71, exec_lo
	s_and_not1_b32 s37, s85, exec_lo
	s_and_b32 s38, s35, exec_lo
	s_or_b32 s35, s36, s0
	s_or_b32 s59, s37, s38
	s_xor_b32 s58, exec_lo, -1
	s_and_b32 s0, s1, exec_lo
	s_mov_b64 s[14:15], s[78:79]
	s_mov_b32 s12, s76
.LBB63_3695:
	s_or_b32 exec_lo, exec_lo, s96
	s_delay_alu instid0(SALU_CYCLE_1)
	s_and_not1_b32 s1, s70, exec_lo
	s_and_b32 s36, s60, exec_lo
	s_and_not1_b32 s37, s71, exec_lo
	s_and_b32 s35, s35, exec_lo
	s_or_b32 s1, s1, s36
	s_or_b32 s35, s37, s35
	s_and_not1_b32 s36, s85, exec_lo
	s_and_b32 s37, s59, exec_lo
	s_and_not1_b32 s38, s86, exec_lo
	s_and_b32 s39, s58, exec_lo
	s_or_b32 s58, s36, s37
	s_or_b32 s60, s38, s39
	s_xor_b32 s59, exec_lo, -1
	s_and_b32 s0, s0, exec_lo
	s_or_b32 exec_lo, exec_lo, s95
	s_branch .LBB63_803
.LBB63_3696:
	s_mov_b32 s1, -1
	s_mov_b32 s61, 0
	s_mov_b32 s58, s101
	s_branch .LBB63_3704
.LBB63_3697:
	s_or_b32 s22, s41, exec_lo
	s_xor_b32 s9, exec_lo, -1
	s_trap 2
	s_branch .LBB63_2705
.LBB63_3698:
	s_mov_b32 s22, -1
	s_mov_b32 s0, 0
	s_branch .LBB63_3789
.LBB63_3699:
	s_mov_b32 s1, -1
	s_mov_b32 s61, 0
	s_mov_b32 s58, s101
.LBB63_3700:
	s_and_b32 vcc_lo, exec_lo, s1
	s_cbranch_vccz .LBB63_3703
; %bb.3701:
	s_cmp_eq_u32 s60, 44
	s_mov_b32 s58, -1
	s_cbranch_scc0 .LBB63_3703
; %bb.3702:
	s_wait_xcnt 0x0
	v_mov_b32_e32 v1, 0
	s_mov_b32 s61, -1
	s_mov_b32 s58, 0
	global_store_b8 v[2:3], v1, off
.LBB63_3703:
	s_mov_b32 s1, 0
.LBB63_3704:
	s_delay_alu instid0(SALU_CYCLE_1)
	s_and_b32 vcc_lo, exec_lo, s1
	s_cbranch_vccz .LBB63_3707
; %bb.3705:
	s_cmp_eq_u32 s60, 29
	s_mov_b32 s58, -1
	s_cbranch_scc0 .LBB63_3707
; %bb.3706:
	v_mov_b64_e32 v[4:5], 0
	s_mov_b32 s61, -1
	s_mov_b32 s58, 0
	global_store_b64 v[2:3], v[4:5], off
.LBB63_3707:
	s_mov_b32 s1, 0
	s_mov_b32 s69, s52
	;; [unrolled: 1-line block ×5, first 2 shown]
.LBB63_3708:
	s_mov_b32 s14, s36
	s_and_b32 vcc_lo, exec_lo, s1
	s_cbranch_vccz .LBB63_3718
; %bb.3709:
	s_mov_b32 s4, s53
	s_mov_b32 s5, s52
	;; [unrolled: 1-line block ×4, first 2 shown]
	s_cmp_lt_i32 s60, 27
	s_mov_b32 s1, -1
	s_cbranch_scc1 .LBB63_3715
; %bb.3710:
	s_cmp_gt_i32 s60, 27
	s_cbranch_scc0 .LBB63_3712
; %bb.3711:
	s_wait_xcnt 0x0
	v_mov_b32_e32 v1, 0
	s_mov_b32 s1, 0
	global_store_b32 v[2:3], v1, off
.LBB63_3712:
	s_and_not1_b32 vcc_lo, exec_lo, s1
	s_cbranch_vccnz .LBB63_3714
; %bb.3713:
	s_wait_xcnt 0x0
	v_mov_b32_e32 v1, 0
	global_store_b16 v[2:3], v1, off
.LBB63_3714:
	s_mov_b32 s1, 0
.LBB63_3715:
	s_delay_alu instid0(SALU_CYCLE_1)
	s_and_not1_b32 vcc_lo, exec_lo, s1
	s_cbranch_vccnz .LBB63_3717
; %bb.3716:
	s_wait_xcnt 0x0
	v_mov_b32_e32 v1, 0
	global_store_b8 v[2:3], v1, off
.LBB63_3717:
	s_mov_b32 s61, -1
	s_mov_b32 s69, s52
	s_mov_b32 s51, s53
	;; [unrolled: 1-line block ×5, first 2 shown]
.LBB63_3718:
	s_mov_b32 s1, 0
.LBB63_3719:
	s_delay_alu instid0(SALU_CYCLE_1)
	s_and_b32 vcc_lo, exec_lo, s1
	s_cbranch_vccz .LBB63_3739
; %bb.3720:
	s_cmp_gt_i32 s60, 22
	s_mov_b32 s1, -1
	s_cbranch_scc0 .LBB63_3730
; %bb.3721:
	s_mov_b32 s4, s53
	s_mov_b32 s5, s52
	;; [unrolled: 1-line block ×4, first 2 shown]
	s_cmp_lt_i32 s60, 24
	s_cbranch_scc1 .LBB63_3727
; %bb.3722:
	s_cmp_gt_i32 s60, 24
	s_cbranch_scc0 .LBB63_3724
; %bb.3723:
	s_wait_xcnt 0x0
	v_mov_b32_e32 v1, 0
	s_mov_b32 s1, 0
	global_store_b8 v[2:3], v1, off
.LBB63_3724:
	s_and_not1_b32 vcc_lo, exec_lo, s1
	s_cbranch_vccnz .LBB63_3726
; %bb.3725:
	s_wait_xcnt 0x0
	v_mov_b32_e32 v1, 0
	global_store_b8 v[2:3], v1, off
.LBB63_3726:
	s_mov_b32 s1, 0
.LBB63_3727:
	s_delay_alu instid0(SALU_CYCLE_1)
	s_and_not1_b32 vcc_lo, exec_lo, s1
	s_cbranch_vccnz .LBB63_3729
; %bb.3728:
	s_wait_xcnt 0x0
	v_mov_b32_e32 v1, 0
	global_store_b8 v[2:3], v1, off
.LBB63_3729:
	s_mov_b32 s1, 0
	s_mov_b32 s61, -1
	s_mov_b32 s69, s52
	s_mov_b32 s51, s53
	;; [unrolled: 1-line block ×5, first 2 shown]
.LBB63_3730:
	s_and_not1_b32 vcc_lo, exec_lo, s1
	s_cbranch_vccnz .LBB63_3739
; %bb.3731:
	s_mov_b32 s4, s53
	s_mov_b32 s5, s52
	;; [unrolled: 1-line block ×4, first 2 shown]
	s_cmp_gt_i32 s60, 14
	s_mov_b32 s1, -1
	s_cbranch_scc0 .LBB63_3735
; %bb.3732:
	s_cmp_eq_u32 s60, 15
	s_mov_b32 s58, -1
	s_cbranch_scc0 .LBB63_3734
; %bb.3733:
	s_wait_xcnt 0x0
	v_mov_b32_e32 v1, 0
	s_mov_b32 s61, -1
	s_mov_b32 s58, 0
	global_store_b16 v[2:3], v1, off
.LBB63_3734:
	s_mov_b32 s1, 0
.LBB63_3735:
	s_delay_alu instid0(SALU_CYCLE_1)
	s_and_b32 vcc_lo, exec_lo, s1
	s_cbranch_vccz .LBB63_3738
; %bb.3736:
	s_cmp_eq_u32 s60, 11
	s_mov_b32 s58, -1
	s_cbranch_scc0 .LBB63_3738
; %bb.3737:
	s_wait_xcnt 0x0
	v_mov_b32_e32 v1, 0
	s_mov_b32 s61, -1
	s_mov_b32 s58, 0
	global_store_b8 v[2:3], v1, off
.LBB63_3738:
	s_mov_b32 s69, s52
	s_mov_b32 s51, s53
	s_mov_b32 s52, s5
	s_mov_b32 s53, s4
	s_mov_b32 s14, s36
.LBB63_3739:
	s_mov_b32 s1, 0
.LBB63_3740:
	s_delay_alu instid0(SALU_CYCLE_1)
	s_and_b32 vcc_lo, exec_lo, s1
	s_cbranch_vccz .LBB63_3781
; %bb.3741:
	s_and_b32 s1, 0xffff, s59
	s_mov_b32 s59, -1
	s_cmp_lt_i32 s1, 5
	s_cbranch_scc1 .LBB63_3763
; %bb.3742:
	s_cmp_lt_i32 s1, 8
	s_cbranch_scc1 .LBB63_3752
; %bb.3743:
	s_mov_b32 s4, s53
	s_mov_b32 s5, s52
	;; [unrolled: 1-line block ×4, first 2 shown]
	s_cmp_lt_i32 s1, 9
	s_cbranch_scc1 .LBB63_3749
; %bb.3744:
	s_cmp_gt_i32 s1, 9
	s_cbranch_scc0 .LBB63_3746
; %bb.3745:
	s_wait_xcnt 0x0
	v_mov_b32_e32 v4, 0
	s_mov_b32 s59, 0
	s_delay_alu instid0(VALU_DEP_1)
	v_dual_mov_b32 v5, v4 :: v_dual_mov_b32 v6, v4
	v_mov_b32_e32 v7, v4
	global_store_b128 v[2:3], v[4:7], off
.LBB63_3746:
	s_and_not1_b32 vcc_lo, exec_lo, s59
	s_cbranch_vccnz .LBB63_3748
; %bb.3747:
	s_wait_xcnt 0x0
	v_mov_b64_e32 v[4:5], 0
	global_store_b64 v[2:3], v[4:5], off
.LBB63_3748:
	s_mov_b32 s59, 0
.LBB63_3749:
	s_delay_alu instid0(SALU_CYCLE_1)
	s_and_not1_b32 vcc_lo, exec_lo, s59
	s_cbranch_vccnz .LBB63_3751
; %bb.3750:
	s_wait_xcnt 0x0
	v_mov_b32_e32 v1, 0
	global_store_b32 v[2:3], v1, off
.LBB63_3751:
	s_mov_b32 s59, 0
	s_mov_b32 s69, s52
	;; [unrolled: 1-line block ×6, first 2 shown]
.LBB63_3752:
	s_and_not1_b32 vcc_lo, exec_lo, s59
	s_cbranch_vccnz .LBB63_3762
; %bb.3753:
	s_mov_b32 s4, s53
	s_mov_b32 s5, s52
	;; [unrolled: 1-line block ×4, first 2 shown]
	s_cmp_lt_i32 s1, 6
	s_mov_b32 s59, -1
	s_cbranch_scc1 .LBB63_3759
; %bb.3754:
	s_cmp_gt_i32 s1, 6
	s_cbranch_scc0 .LBB63_3756
; %bb.3755:
	s_wait_xcnt 0x0
	v_mov_b64_e32 v[4:5], 0
	s_mov_b32 s59, 0
	global_store_b64 v[2:3], v[4:5], off
.LBB63_3756:
	s_and_not1_b32 vcc_lo, exec_lo, s59
	s_cbranch_vccnz .LBB63_3758
; %bb.3757:
	s_wait_xcnt 0x0
	v_mov_b32_e32 v1, 0
	global_store_b32 v[2:3], v1, off
.LBB63_3758:
	s_mov_b32 s59, 0
.LBB63_3759:
	s_delay_alu instid0(SALU_CYCLE_1)
	s_and_not1_b32 vcc_lo, exec_lo, s59
	s_cbranch_vccnz .LBB63_3761
; %bb.3760:
	s_wait_xcnt 0x0
	v_mov_b32_e32 v1, 0
	global_store_b16 v[2:3], v1, off
.LBB63_3761:
	s_mov_b32 s69, s52
	s_mov_b32 s51, s53
	;; [unrolled: 1-line block ×5, first 2 shown]
.LBB63_3762:
	s_mov_b32 s59, 0
.LBB63_3763:
	s_delay_alu instid0(SALU_CYCLE_1)
	s_and_not1_b32 vcc_lo, exec_lo, s59
	s_cbranch_vccnz .LBB63_3780
; %bb.3764:
	s_cmp_lt_i32 s1, 2
	s_mov_b32 s59, -1
	s_cbranch_scc1 .LBB63_3774
; %bb.3765:
	s_mov_b32 s4, s53
	s_mov_b32 s5, s52
	;; [unrolled: 1-line block ×4, first 2 shown]
	s_cmp_lt_i32 s1, 3
	s_cbranch_scc1 .LBB63_3771
; %bb.3766:
	s_cmp_gt_i32 s1, 3
	s_cbranch_scc0 .LBB63_3768
; %bb.3767:
	s_wait_xcnt 0x0
	v_mov_b64_e32 v[4:5], 0
	s_mov_b32 s59, 0
	global_store_b64 v[2:3], v[4:5], off
.LBB63_3768:
	s_and_not1_b32 vcc_lo, exec_lo, s59
	s_cbranch_vccnz .LBB63_3770
; %bb.3769:
	s_wait_xcnt 0x0
	v_mov_b32_e32 v1, 0
	global_store_b32 v[2:3], v1, off
.LBB63_3770:
	s_mov_b32 s59, 0
.LBB63_3771:
	s_delay_alu instid0(SALU_CYCLE_1)
	s_and_not1_b32 vcc_lo, exec_lo, s59
	s_cbranch_vccnz .LBB63_3773
; %bb.3772:
	s_wait_xcnt 0x0
	v_mov_b32_e32 v1, 0
	global_store_b16 v[2:3], v1, off
.LBB63_3773:
	s_mov_b32 s59, 0
	s_mov_b32 s69, s52
	;; [unrolled: 1-line block ×6, first 2 shown]
.LBB63_3774:
	s_and_not1_b32 vcc_lo, exec_lo, s59
	s_cbranch_vccnz .LBB63_3780
; %bb.3775:
	s_mov_b32 s4, s53
	s_mov_b32 s5, s52
	;; [unrolled: 1-line block ×4, first 2 shown]
	s_cmp_gt_i32 s1, 0
	s_mov_b32 s1, -1
	s_cbranch_scc0 .LBB63_3777
; %bb.3776:
	s_wait_xcnt 0x0
	v_mov_b32_e32 v1, 0
	s_mov_b32 s1, 0
	global_store_b8 v[2:3], v1, off
.LBB63_3777:
	s_and_not1_b32 vcc_lo, exec_lo, s1
	s_cbranch_vccnz .LBB63_3779
; %bb.3778:
	s_wait_xcnt 0x0
	v_mov_b32_e32 v1, 0
	global_store_b8 v[2:3], v1, off
.LBB63_3779:
	s_mov_b32 s69, s52
	s_mov_b32 s51, s53
	;; [unrolled: 1-line block ×5, first 2 shown]
.LBB63_3780:
	s_mov_b32 s61, -1
.LBB63_3781:
	s_delay_alu instid0(SALU_CYCLE_1)
	s_and_not1_b32 vcc_lo, exec_lo, s61
	s_cbranch_vccnz .LBB63_3783
; %bb.3782:
	v_add_nc_u32_e32 v0, 0x80, v0
	s_mov_b32 s1, -1
	s_branch .LBB63_3784
.LBB63_3783:
	s_mov_b32 s1, 0
                                        ; implicit-def: $vgpr0
.LBB63_3784:
	s_and_not1_b32 s36, s101, exec_lo
	s_and_b32 s37, s58, exec_lo
	s_and_not1_b32 s0, s0, exec_lo
	s_or_b32 s58, s36, s37
	s_and_b32 s1, s1, exec_lo
.LBB63_3785:
	s_wait_xcnt 0x0
	s_or_b32 exec_lo, exec_lo, s35
	s_delay_alu instid0(SALU_CYCLE_1)
	s_and_not1_b32 s35, s101, exec_lo
	s_and_b32 s36, s58, exec_lo
	s_and_not1_b32 s37, s104, exec_lo
	s_and_b32 s0, s0, exec_lo
	s_or_b32 s58, s35, s36
	s_or_b32 s0, s37, s0
	s_xor_b32 s35, exec_lo, -1
	s_and_b32 s1, s1, exec_lo
.LBB63_3786:
	s_or_b32 exec_lo, exec_lo, s14
	s_delay_alu instid0(SALU_CYCLE_1)
	s_and_not1_b32 s36, s101, exec_lo
	s_and_b32 s37, s58, exec_lo
	s_and_b32 s0, s0, exec_lo
	s_or_b32 s60, s36, s37
	s_and_not1_b32 s36, s104, exec_lo
	s_and_not1_b32 s37, vcc_hi, exec_lo
	s_and_b32 s38, s35, exec_lo
	s_or_b32 s35, s36, s0
	s_or_b32 s59, s37, s38
	s_xor_b32 s58, exec_lo, -1
	s_and_b32 s0, s1, exec_lo
	s_mov_b64 s[14:15], s[78:79]
	s_mov_b32 s12, s76
	v_readlane_b32 s4, v66, 0
.LBB63_3787:
	s_or_b32 exec_lo, exec_lo, s39
	s_delay_alu instid0(SALU_CYCLE_1)
	s_and_not1_b32 s1, s101, exec_lo
	s_and_b32 s36, s60, exec_lo
	s_and_not1_b32 s37, s104, exec_lo
	s_and_b32 s35, s35, exec_lo
	s_or_b32 s1, s1, s36
	s_or_b32 s35, s37, s35
	s_and_not1_b32 s36, vcc_hi, exec_lo
	s_and_b32 s37, s59, exec_lo
	s_and_not1_b32 s38, s99, exec_lo
	s_and_b32 s39, s58, exec_lo
	s_or_b32 s58, s36, s37
	s_or_b32 s60, s38, s39
	s_xor_b32 s59, exec_lo, -1
	s_and_b32 s0, s0, exec_lo
	s_or_b32 exec_lo, exec_lo, s62
	s_branch .LBB63_1211
.LBB63_3788:
	s_mov_b32 s0, -1
.LBB63_3789:
                                        ; implicit-def: $vgpr40_vgpr41
.LBB63_3790:
	s_and_b32 vcc_lo, exec_lo, s22
	s_cbranch_vccz .LBB63_3794
; %bb.3791:
	s_cmp_eq_u32 s57, 44
	s_cbranch_scc0 .LBB63_3793
; %bb.3792:
	global_load_u8 v1, v[42:43], off
	s_mov_b32 s0, 0
	s_mov_b32 s9, -1
	s_wait_loadcnt 0x0
	v_lshlrev_b32_e32 v3, 23, v1
	v_cmp_ne_u32_e32 vcc_lo, 0, v1
	s_delay_alu instid0(VALU_DEP_2) | instskip(NEXT) | instid1(VALU_DEP_1)
	v_trunc_f32_e32 v3, v3
	v_mul_f32_e64 v5, 0x2f800000, |v3|
	v_ashrrev_i32_e32 v40, 31, v3
	s_delay_alu instid0(VALU_DEP_2) | instskip(NEXT) | instid1(VALU_DEP_2)
	v_floor_f32_e32 v5, v5
	v_mov_b32_e32 v41, v40
	s_delay_alu instid0(VALU_DEP_2) | instskip(SKIP_1) | instid1(VALU_DEP_2)
	v_fma_f32 v7, 0xcf800000, v5, |v3|
	v_cvt_u32_f32_e32 v3, v5
	v_cvt_u32_f32_e32 v5, v7
	s_delay_alu instid0(VALU_DEP_2) | instskip(NEXT) | instid1(VALU_DEP_2)
	v_xor_b32_e32 v45, v3, v40
	v_xor_b32_e32 v44, v5, v40
	s_delay_alu instid0(VALU_DEP_1) | instskip(NEXT) | instid1(VALU_DEP_1)
	v_sub_nc_u64_e32 v[40:41], v[44:45], v[40:41]
	v_dual_cndmask_b32 v41, 0, v41 :: v_dual_cndmask_b32 v40, 0, v40
	s_branch .LBB63_3794
.LBB63_3793:
	s_mov_b32 s0, -1
                                        ; implicit-def: $vgpr40_vgpr41
.LBB63_3794:
	s_mov_b32 s22, 0
.LBB63_3795:
	s_delay_alu instid0(SALU_CYCLE_1)
	s_and_b32 vcc_lo, exec_lo, s22
	s_cbranch_vccz .LBB63_3799
; %bb.3796:
	s_cmp_eq_u32 s57, 29
	s_cbranch_scc0 .LBB63_3798
; %bb.3797:
	global_load_b64 v[40:41], v[42:43], off
	s_mov_b32 s0, 0
	s_mov_b32 s9, -1
	s_branch .LBB63_3799
.LBB63_3798:
	s_mov_b32 s0, -1
                                        ; implicit-def: $vgpr40_vgpr41
.LBB63_3799:
	s_mov_b32 s22, 0
.LBB63_3800:
	s_delay_alu instid0(SALU_CYCLE_1)
	s_and_b32 vcc_lo, exec_lo, s22
	s_cbranch_vccz .LBB63_3816
; %bb.3801:
	s_cmp_lt_i32 s57, 27
	s_cbranch_scc1 .LBB63_3804
; %bb.3802:
	s_cmp_gt_i32 s57, 27
	s_cbranch_scc0 .LBB63_3805
; %bb.3803:
	s_wait_loadcnt 0x0
	global_load_b32 v40, v[42:43], off
	v_mov_b32_e32 v41, 0
	s_mov_b32 s9, 0
	s_branch .LBB63_3806
.LBB63_3804:
	s_mov_b32 s9, -1
                                        ; implicit-def: $vgpr40_vgpr41
	s_branch .LBB63_3809
.LBB63_3805:
	s_mov_b32 s9, -1
                                        ; implicit-def: $vgpr40_vgpr41
.LBB63_3806:
	s_delay_alu instid0(SALU_CYCLE_1)
	s_and_not1_b32 vcc_lo, exec_lo, s9
	s_cbranch_vccnz .LBB63_3808
; %bb.3807:
	global_load_u16 v1, v[42:43], off
	s_mov_b32 s9, 0
	s_wait_loadcnt 0x1
	v_mov_b32_e32 v41, s9
	s_wait_loadcnt 0x0
	v_and_b32_e32 v40, 0xffff, v1
.LBB63_3808:
	s_mov_b32 s9, 0
.LBB63_3809:
	s_delay_alu instid0(SALU_CYCLE_1)
	s_and_not1_b32 vcc_lo, exec_lo, s9
	s_cbranch_vccnz .LBB63_3815
; %bb.3810:
	global_load_u8 v1, v[42:43], off
	s_mov_b32 s22, 0
	s_mov_b32 s9, exec_lo
	s_wait_loadcnt 0x0
	v_cmpx_lt_i16_e32 0x7f, v1
	s_xor_b32 s9, exec_lo, s9
	s_cbranch_execz .LBB63_3827
; %bb.3811:
	v_cmp_ne_u16_e32 vcc_lo, 0x80, v1
	s_and_b32 s22, vcc_lo, exec_lo
	s_and_not1_saveexec_b32 s9, s9
	s_cbranch_execnz .LBB63_3828
.LBB63_3812:
	s_or_b32 exec_lo, exec_lo, s9
	v_mov_b64_e32 v[40:41], 0
	s_and_saveexec_b32 s9, s22
	s_cbranch_execz .LBB63_3814
.LBB63_3813:
	v_and_b32_e32 v3, 0xffff, v1
	s_delay_alu instid0(VALU_DEP_1) | instskip(SKIP_1) | instid1(VALU_DEP_2)
	v_dual_lshlrev_b32 v1, 24, v1 :: v_dual_bitop2_b32 v5, 7, v3 bitop3:0x40
	v_bfe_u32 v15, v3, 3, 4
	v_and_b32_e32 v1, 0x80000000, v1
	s_delay_alu instid0(VALU_DEP_3) | instskip(NEXT) | instid1(VALU_DEP_3)
	v_clz_i32_u32_e32 v7, v5
	v_cmp_eq_u32_e32 vcc_lo, 0, v15
	s_delay_alu instid0(VALU_DEP_2) | instskip(NEXT) | instid1(VALU_DEP_1)
	v_min_u32_e32 v7, 32, v7
	v_subrev_nc_u32_e32 v11, 28, v7
	v_sub_nc_u32_e32 v7, 29, v7
	s_delay_alu instid0(VALU_DEP_2) | instskip(NEXT) | instid1(VALU_DEP_2)
	v_lshlrev_b32_e32 v3, v11, v3
	v_cndmask_b32_e32 v7, v15, v7, vcc_lo
	s_delay_alu instid0(VALU_DEP_2) | instskip(NEXT) | instid1(VALU_DEP_1)
	v_and_b32_e32 v3, 7, v3
	v_cndmask_b32_e32 v3, v5, v3, vcc_lo
	s_delay_alu instid0(VALU_DEP_3) | instskip(NEXT) | instid1(VALU_DEP_2)
	v_lshl_add_u32 v5, v7, 23, 0x3b800000
	v_lshlrev_b32_e32 v3, 20, v3
	s_delay_alu instid0(VALU_DEP_1) | instskip(NEXT) | instid1(VALU_DEP_1)
	v_or3_b32 v1, v1, v5, v3
	v_trunc_f32_e32 v1, v1
	s_delay_alu instid0(VALU_DEP_1) | instskip(SKIP_1) | instid1(VALU_DEP_2)
	v_mul_f32_e64 v3, 0x2f800000, |v1|
	v_ashrrev_i32_e32 v40, 31, v1
	v_floor_f32_e32 v3, v3
	s_delay_alu instid0(VALU_DEP_2) | instskip(NEXT) | instid1(VALU_DEP_2)
	v_mov_b32_e32 v41, v40
	v_fma_f32 v5, 0xcf800000, v3, |v1|
	v_cvt_u32_f32_e32 v1, v3
	s_delay_alu instid0(VALU_DEP_2) | instskip(NEXT) | instid1(VALU_DEP_2)
	v_cvt_u32_f32_e32 v3, v5
	v_xor_b32_e32 v45, v1, v40
	s_delay_alu instid0(VALU_DEP_2) | instskip(NEXT) | instid1(VALU_DEP_1)
	v_xor_b32_e32 v44, v3, v40
	v_sub_nc_u64_e32 v[40:41], v[44:45], v[40:41]
.LBB63_3814:
	s_or_b32 exec_lo, exec_lo, s9
.LBB63_3815:
	s_mov_b32 s9, -1
.LBB63_3816:
	s_mov_b32 s22, 0
.LBB63_3817:
	s_delay_alu instid0(SALU_CYCLE_1)
	s_and_b32 vcc_lo, exec_lo, s22
	s_cbranch_vccz .LBB63_3848
; %bb.3818:
	s_cmp_gt_i32 s57, 22
	s_cbranch_scc0 .LBB63_3826
; %bb.3819:
	s_cmp_lt_i32 s57, 24
	s_cbranch_scc1 .LBB63_3829
; %bb.3820:
	s_cmp_gt_i32 s57, 24
	s_cbranch_scc0 .LBB63_3830
; %bb.3821:
	global_load_u8 v1, v[42:43], off
	s_mov_b32 s9, 0
	s_mov_b32 s1, exec_lo
	s_wait_loadcnt 0x0
	v_cmpx_lt_i16_e32 0x7f, v1
	s_xor_b32 s1, exec_lo, s1
	s_cbranch_execz .LBB63_3842
; %bb.3822:
	v_cmp_ne_u16_e32 vcc_lo, 0x80, v1
	s_and_b32 s9, vcc_lo, exec_lo
	s_and_not1_saveexec_b32 s1, s1
	s_cbranch_execnz .LBB63_3843
.LBB63_3823:
	s_or_b32 exec_lo, exec_lo, s1
	v_mov_b64_e32 v[40:41], 0
	s_and_saveexec_b32 s1, s9
	s_cbranch_execz .LBB63_3825
.LBB63_3824:
	v_and_b32_e32 v3, 0xffff, v1
	s_delay_alu instid0(VALU_DEP_1) | instskip(SKIP_1) | instid1(VALU_DEP_2)
	v_dual_lshlrev_b32 v1, 24, v1 :: v_dual_bitop2_b32 v5, 3, v3 bitop3:0x40
	v_bfe_u32 v15, v3, 2, 5
	v_and_b32_e32 v1, 0x80000000, v1
	s_delay_alu instid0(VALU_DEP_3) | instskip(NEXT) | instid1(VALU_DEP_3)
	v_clz_i32_u32_e32 v7, v5
	v_cmp_eq_u32_e32 vcc_lo, 0, v15
	s_delay_alu instid0(VALU_DEP_2) | instskip(NEXT) | instid1(VALU_DEP_1)
	v_min_u32_e32 v7, 32, v7
	v_subrev_nc_u32_e32 v11, 29, v7
	v_sub_nc_u32_e32 v7, 30, v7
	s_delay_alu instid0(VALU_DEP_2) | instskip(NEXT) | instid1(VALU_DEP_2)
	v_lshlrev_b32_e32 v3, v11, v3
	v_cndmask_b32_e32 v7, v15, v7, vcc_lo
	s_delay_alu instid0(VALU_DEP_2) | instskip(NEXT) | instid1(VALU_DEP_1)
	v_and_b32_e32 v3, 3, v3
	v_cndmask_b32_e32 v3, v5, v3, vcc_lo
	s_delay_alu instid0(VALU_DEP_3) | instskip(NEXT) | instid1(VALU_DEP_2)
	v_lshl_add_u32 v5, v7, 23, 0x37800000
	v_lshlrev_b32_e32 v3, 21, v3
	s_delay_alu instid0(VALU_DEP_1) | instskip(NEXT) | instid1(VALU_DEP_1)
	v_or3_b32 v1, v1, v5, v3
	v_trunc_f32_e32 v1, v1
	s_delay_alu instid0(VALU_DEP_1) | instskip(SKIP_1) | instid1(VALU_DEP_2)
	v_mul_f32_e64 v3, 0x2f800000, |v1|
	v_ashrrev_i32_e32 v40, 31, v1
	v_floor_f32_e32 v3, v3
	s_delay_alu instid0(VALU_DEP_2) | instskip(NEXT) | instid1(VALU_DEP_2)
	v_mov_b32_e32 v41, v40
	v_fma_f32 v5, 0xcf800000, v3, |v1|
	v_cvt_u32_f32_e32 v1, v3
	s_delay_alu instid0(VALU_DEP_2) | instskip(NEXT) | instid1(VALU_DEP_2)
	v_cvt_u32_f32_e32 v3, v5
	v_xor_b32_e32 v45, v1, v40
	s_delay_alu instid0(VALU_DEP_2) | instskip(NEXT) | instid1(VALU_DEP_1)
	v_xor_b32_e32 v44, v3, v40
	v_sub_nc_u64_e32 v[40:41], v[44:45], v[40:41]
.LBB63_3825:
	s_or_b32 exec_lo, exec_lo, s1
	s_mov_b32 s1, 0
	s_branch .LBB63_3831
.LBB63_3826:
	s_mov_b32 s1, -1
                                        ; implicit-def: $vgpr40_vgpr41
	s_branch .LBB63_3837
.LBB63_3827:
	s_and_not1_saveexec_b32 s9, s9
	s_cbranch_execz .LBB63_3812
.LBB63_3828:
	v_cmp_ne_u16_e32 vcc_lo, 0, v1
	s_and_not1_b32 s22, s22, exec_lo
	s_and_b32 s23, vcc_lo, exec_lo
	s_delay_alu instid0(SALU_CYCLE_1)
	s_or_b32 s22, s22, s23
	s_or_b32 exec_lo, exec_lo, s9
	v_mov_b64_e32 v[40:41], 0
	s_and_saveexec_b32 s9, s22
	s_cbranch_execnz .LBB63_3813
	s_branch .LBB63_3814
.LBB63_3829:
	s_mov_b32 s1, -1
                                        ; implicit-def: $vgpr40_vgpr41
	s_branch .LBB63_3834
.LBB63_3830:
	s_mov_b32 s1, -1
                                        ; implicit-def: $vgpr40_vgpr41
.LBB63_3831:
	s_delay_alu instid0(SALU_CYCLE_1)
	s_and_b32 vcc_lo, exec_lo, s1
	s_cbranch_vccz .LBB63_3833
; %bb.3832:
	global_load_u8 v1, v[42:43], off
	s_wait_loadcnt 0x0
	v_lshlrev_b32_e32 v1, 24, v1
	s_delay_alu instid0(VALU_DEP_1) | instskip(NEXT) | instid1(VALU_DEP_1)
	v_and_b32_e32 v3, 0x7f000000, v1
	v_clz_i32_u32_e32 v5, v3
	v_add_nc_u32_e32 v11, 0x1000000, v3
	v_cmp_ne_u32_e32 vcc_lo, 0, v3
	s_delay_alu instid0(VALU_DEP_3) | instskip(NEXT) | instid1(VALU_DEP_1)
	v_min_u32_e32 v5, 32, v5
	v_sub_nc_u32_e64 v5, v5, 4 clamp
	s_delay_alu instid0(VALU_DEP_1) | instskip(NEXT) | instid1(VALU_DEP_1)
	v_dual_lshlrev_b32 v7, v5, v3 :: v_dual_lshlrev_b32 v5, 23, v5
	v_lshrrev_b32_e32 v7, 4, v7
	s_delay_alu instid0(VALU_DEP_1) | instskip(NEXT) | instid1(VALU_DEP_1)
	v_dual_sub_nc_u32 v5, v7, v5 :: v_dual_ashrrev_i32 v7, 8, v11
	v_add_nc_u32_e32 v5, 0x3c000000, v5
	s_delay_alu instid0(VALU_DEP_1) | instskip(NEXT) | instid1(VALU_DEP_1)
	v_and_or_b32 v5, 0x7f800000, v7, v5
	v_cndmask_b32_e32 v3, 0, v5, vcc_lo
	s_delay_alu instid0(VALU_DEP_1) | instskip(NEXT) | instid1(VALU_DEP_1)
	v_and_or_b32 v1, 0x80000000, v1, v3
	v_trunc_f32_e32 v1, v1
	s_delay_alu instid0(VALU_DEP_1) | instskip(SKIP_1) | instid1(VALU_DEP_2)
	v_mul_f32_e64 v3, 0x2f800000, |v1|
	v_ashrrev_i32_e32 v40, 31, v1
	v_floor_f32_e32 v3, v3
	s_delay_alu instid0(VALU_DEP_2) | instskip(NEXT) | instid1(VALU_DEP_2)
	v_mov_b32_e32 v41, v40
	v_fma_f32 v5, 0xcf800000, v3, |v1|
	v_cvt_u32_f32_e32 v1, v3
	s_delay_alu instid0(VALU_DEP_2) | instskip(NEXT) | instid1(VALU_DEP_2)
	v_cvt_u32_f32_e32 v3, v5
	v_xor_b32_e32 v45, v1, v40
	s_delay_alu instid0(VALU_DEP_2) | instskip(NEXT) | instid1(VALU_DEP_1)
	v_xor_b32_e32 v44, v3, v40
	v_sub_nc_u64_e32 v[40:41], v[44:45], v[40:41]
.LBB63_3833:
	s_mov_b32 s1, 0
.LBB63_3834:
	s_delay_alu instid0(SALU_CYCLE_1)
	s_and_not1_b32 vcc_lo, exec_lo, s1
	s_cbranch_vccnz .LBB63_3836
; %bb.3835:
	global_load_u8 v1, v[42:43], off
	s_wait_loadcnt 0x0
	v_lshlrev_b32_e32 v3, 25, v1
	v_lshlrev_b16 v1, 8, v1
	s_delay_alu instid0(VALU_DEP_1) | instskip(SKIP_1) | instid1(VALU_DEP_2)
	v_and_or_b32 v7, 0x7f00, v1, 0.5
	v_bfe_i32 v1, v1, 0, 16
	v_add_f32_e32 v7, -0.5, v7
	v_lshrrev_b32_e32 v5, 4, v3
	v_cmp_gt_u32_e32 vcc_lo, 0x8000000, v3
	s_delay_alu instid0(VALU_DEP_2) | instskip(NEXT) | instid1(VALU_DEP_1)
	v_or_b32_e32 v5, 0x70000000, v5
	v_mul_f32_e32 v5, 0x7800000, v5
	s_delay_alu instid0(VALU_DEP_1) | instskip(NEXT) | instid1(VALU_DEP_1)
	v_cndmask_b32_e32 v3, v5, v7, vcc_lo
	v_and_or_b32 v1, 0x80000000, v1, v3
	s_delay_alu instid0(VALU_DEP_1) | instskip(NEXT) | instid1(VALU_DEP_1)
	v_trunc_f32_e32 v1, v1
	v_mul_f32_e64 v3, 0x2f800000, |v1|
	v_ashrrev_i32_e32 v40, 31, v1
	s_delay_alu instid0(VALU_DEP_2) | instskip(NEXT) | instid1(VALU_DEP_2)
	v_floor_f32_e32 v3, v3
	v_mov_b32_e32 v41, v40
	s_delay_alu instid0(VALU_DEP_2) | instskip(SKIP_1) | instid1(VALU_DEP_2)
	v_fma_f32 v5, 0xcf800000, v3, |v1|
	v_cvt_u32_f32_e32 v1, v3
	v_cvt_u32_f32_e32 v3, v5
	s_delay_alu instid0(VALU_DEP_2) | instskip(NEXT) | instid1(VALU_DEP_2)
	v_xor_b32_e32 v45, v1, v40
	v_xor_b32_e32 v44, v3, v40
	s_delay_alu instid0(VALU_DEP_1)
	v_sub_nc_u64_e32 v[40:41], v[44:45], v[40:41]
.LBB63_3836:
	s_mov_b32 s1, 0
	s_mov_b32 s9, -1
.LBB63_3837:
	s_and_not1_b32 vcc_lo, exec_lo, s1
	s_mov_b32 s1, 0
	s_cbranch_vccnz .LBB63_3848
; %bb.3838:
	s_cmp_gt_i32 s57, 14
	s_cbranch_scc0 .LBB63_3841
; %bb.3839:
	s_cmp_eq_u32 s57, 15
	s_cbranch_scc0 .LBB63_3844
; %bb.3840:
	global_load_u16 v1, v[42:43], off
	s_mov_b32 s0, 0
	s_mov_b32 s9, -1
	s_wait_loadcnt 0x0
	v_lshlrev_b32_e32 v1, 16, v1
	s_delay_alu instid0(VALU_DEP_1) | instskip(NEXT) | instid1(VALU_DEP_1)
	v_trunc_f32_e32 v1, v1
	v_mul_f32_e64 v3, 0x2f800000, |v1|
	v_ashrrev_i32_e32 v40, 31, v1
	s_delay_alu instid0(VALU_DEP_2) | instskip(NEXT) | instid1(VALU_DEP_2)
	v_floor_f32_e32 v3, v3
	v_mov_b32_e32 v41, v40
	s_delay_alu instid0(VALU_DEP_2) | instskip(SKIP_1) | instid1(VALU_DEP_2)
	v_fma_f32 v5, 0xcf800000, v3, |v1|
	v_cvt_u32_f32_e32 v1, v3
	v_cvt_u32_f32_e32 v3, v5
	s_delay_alu instid0(VALU_DEP_2) | instskip(NEXT) | instid1(VALU_DEP_2)
	v_xor_b32_e32 v45, v1, v40
	v_xor_b32_e32 v44, v3, v40
	s_delay_alu instid0(VALU_DEP_1)
	v_sub_nc_u64_e32 v[40:41], v[44:45], v[40:41]
	s_branch .LBB63_3846
.LBB63_3841:
	s_mov_b32 s1, -1
	s_branch .LBB63_3845
.LBB63_3842:
	s_and_not1_saveexec_b32 s1, s1
	s_cbranch_execz .LBB63_3823
.LBB63_3843:
	v_cmp_ne_u16_e32 vcc_lo, 0, v1
	s_and_not1_b32 s9, s9, exec_lo
	s_and_b32 s22, vcc_lo, exec_lo
	s_delay_alu instid0(SALU_CYCLE_1)
	s_or_b32 s9, s9, s22
	s_or_b32 exec_lo, exec_lo, s1
	v_mov_b64_e32 v[40:41], 0
	s_and_saveexec_b32 s1, s9
	s_cbranch_execnz .LBB63_3824
	s_branch .LBB63_3825
.LBB63_3844:
	s_mov_b32 s0, -1
.LBB63_3845:
                                        ; implicit-def: $vgpr40_vgpr41
.LBB63_3846:
	s_and_b32 vcc_lo, exec_lo, s1
	s_mov_b32 s1, 0
	s_cbranch_vccz .LBB63_3848
; %bb.3847:
	s_cmp_lg_u32 s57, 11
	s_mov_b32 s1, -1
	s_cselect_b32 s0, -1, 0
.LBB63_3848:
	s_delay_alu instid0(SALU_CYCLE_1)
	s_and_b32 vcc_lo, exec_lo, s0
	s_mov_b32 s45, s43
	s_cbranch_vccnz .LBB63_3913
; %bb.3849:
	s_and_not1_b32 vcc_lo, exec_lo, s1
	s_cbranch_vccnz .LBB63_3851
.LBB63_3850:
	global_load_u8 v1, v[42:43], off
	s_mov_b32 s0, 0
	s_mov_b32 s9, -1
	s_wait_loadcnt 0x1
	v_mov_b32_e32 v41, s0
	s_wait_loadcnt 0x0
	v_cmp_ne_u16_e32 vcc_lo, 0, v1
	v_cndmask_b32_e64 v40, 0, 1, vcc_lo
.LBB63_3851:
	s_mov_b32 s0, 0
.LBB63_3852:
	s_delay_alu instid0(SALU_CYCLE_1)
	s_and_b32 vcc_lo, exec_lo, s0
	s_cbranch_vccz .LBB63_3901
; %bb.3853:
	s_cmp_lt_i32 s57, 5
	s_cbranch_scc1 .LBB63_3858
; %bb.3854:
	s_cmp_lt_i32 s57, 8
	s_cbranch_scc1 .LBB63_3859
	;; [unrolled: 3-line block ×3, first 2 shown]
; %bb.3856:
	s_cmp_gt_i32 s57, 9
	s_cbranch_scc0 .LBB63_3861
; %bb.3857:
	s_wait_loadcnt 0x0
	global_load_b64 v[40:41], v[42:43], off
	s_mov_b32 s0, 0
	s_wait_loadcnt 0x0
	v_trunc_f64_e32 v[40:41], v[40:41]
	s_delay_alu instid0(VALU_DEP_1) | instskip(NEXT) | instid1(VALU_DEP_1)
	v_ldexp_f64 v[44:45], v[40:41], 0xffffffe0
	v_floor_f64_e32 v[44:45], v[44:45]
	s_delay_alu instid0(VALU_DEP_1) | instskip(SKIP_1) | instid1(VALU_DEP_2)
	v_fmamk_f64 v[46:47], v[44:45], 0xc1f00000, v[40:41]
	v_cvt_i32_f64_e32 v41, v[44:45]
	v_cvt_u32_f64_e32 v40, v[46:47]
	s_branch .LBB63_3862
.LBB63_3858:
	s_mov_b32 s0, -1
                                        ; implicit-def: $vgpr40_vgpr41
	s_branch .LBB63_3880
.LBB63_3859:
	s_mov_b32 s0, -1
                                        ; implicit-def: $vgpr40_vgpr41
	s_branch .LBB63_3868
.LBB63_3860:
	s_mov_b32 s0, -1
                                        ; implicit-def: $vgpr40_vgpr41
	s_branch .LBB63_3865
.LBB63_3861:
	s_mov_b32 s0, -1
                                        ; implicit-def: $vgpr40_vgpr41
.LBB63_3862:
	s_delay_alu instid0(SALU_CYCLE_1)
	s_and_not1_b32 vcc_lo, exec_lo, s0
	s_cbranch_vccnz .LBB63_3864
; %bb.3863:
	global_load_b32 v1, v[42:43], off
	s_wait_loadcnt 0x0
	v_trunc_f32_e32 v1, v1
	s_delay_alu instid0(VALU_DEP_1) | instskip(SKIP_1) | instid1(VALU_DEP_2)
	v_mul_f32_e64 v3, 0x2f800000, |v1|
	v_ashrrev_i32_e32 v40, 31, v1
	v_floor_f32_e32 v3, v3
	s_delay_alu instid0(VALU_DEP_1) | instskip(SKIP_1) | instid1(VALU_DEP_4)
	v_fma_f32 v5, 0xcf800000, v3, |v1|
	v_cvt_u32_f32_e32 v1, v3
	v_mov_b32_e32 v41, v40
	s_delay_alu instid0(VALU_DEP_3) | instskip(NEXT) | instid1(VALU_DEP_3)
	v_cvt_u32_f32_e32 v3, v5
	v_xor_b32_e32 v45, v1, v40
	s_delay_alu instid0(VALU_DEP_2) | instskip(NEXT) | instid1(VALU_DEP_1)
	v_xor_b32_e32 v44, v3, v40
	v_sub_nc_u64_e32 v[40:41], v[44:45], v[40:41]
.LBB63_3864:
	s_mov_b32 s0, 0
.LBB63_3865:
	s_delay_alu instid0(SALU_CYCLE_1)
	s_and_not1_b32 vcc_lo, exec_lo, s0
	s_cbranch_vccnz .LBB63_3867
; %bb.3866:
	global_load_b32 v1, v[42:43], off
	s_wait_loadcnt 0x0
	v_cvt_f32_f16_e32 v1, v1
	s_delay_alu instid0(VALU_DEP_1) | instskip(NEXT) | instid1(VALU_DEP_1)
	v_cvt_i32_f32_e32 v40, v1
	v_ashrrev_i32_e32 v41, 31, v40
.LBB63_3867:
	s_mov_b32 s0, 0
.LBB63_3868:
	s_delay_alu instid0(SALU_CYCLE_1)
	s_and_not1_b32 vcc_lo, exec_lo, s0
	s_cbranch_vccnz .LBB63_3879
; %bb.3869:
	s_cmp_lt_i32 s57, 6
	s_cbranch_scc1 .LBB63_3872
; %bb.3870:
	s_cmp_gt_i32 s57, 6
	s_cbranch_scc0 .LBB63_3873
; %bb.3871:
	s_wait_loadcnt 0x0
	global_load_b64 v[40:41], v[42:43], off
	s_mov_b32 s0, 0
	s_wait_loadcnt 0x0
	v_trunc_f64_e32 v[40:41], v[40:41]
	s_delay_alu instid0(VALU_DEP_1) | instskip(NEXT) | instid1(VALU_DEP_1)
	v_ldexp_f64 v[44:45], v[40:41], 0xffffffe0
	v_floor_f64_e32 v[44:45], v[44:45]
	s_delay_alu instid0(VALU_DEP_1) | instskip(SKIP_1) | instid1(VALU_DEP_2)
	v_fmamk_f64 v[46:47], v[44:45], 0xc1f00000, v[40:41]
	v_cvt_i32_f64_e32 v41, v[44:45]
	v_cvt_u32_f64_e32 v40, v[46:47]
	s_branch .LBB63_3874
.LBB63_3872:
	s_mov_b32 s0, -1
                                        ; implicit-def: $vgpr40_vgpr41
	s_branch .LBB63_3877
.LBB63_3873:
	s_mov_b32 s0, -1
                                        ; implicit-def: $vgpr40_vgpr41
.LBB63_3874:
	s_delay_alu instid0(SALU_CYCLE_1)
	s_and_not1_b32 vcc_lo, exec_lo, s0
	s_cbranch_vccnz .LBB63_3876
; %bb.3875:
	global_load_b32 v1, v[42:43], off
	s_wait_loadcnt 0x0
	v_trunc_f32_e32 v1, v1
	s_delay_alu instid0(VALU_DEP_1) | instskip(SKIP_1) | instid1(VALU_DEP_2)
	v_mul_f32_e64 v3, 0x2f800000, |v1|
	v_ashrrev_i32_e32 v40, 31, v1
	v_floor_f32_e32 v3, v3
	s_delay_alu instid0(VALU_DEP_1) | instskip(SKIP_1) | instid1(VALU_DEP_4)
	v_fma_f32 v5, 0xcf800000, v3, |v1|
	v_cvt_u32_f32_e32 v1, v3
	v_mov_b32_e32 v41, v40
	s_delay_alu instid0(VALU_DEP_3) | instskip(NEXT) | instid1(VALU_DEP_3)
	v_cvt_u32_f32_e32 v3, v5
	v_xor_b32_e32 v45, v1, v40
	s_delay_alu instid0(VALU_DEP_2) | instskip(NEXT) | instid1(VALU_DEP_1)
	v_xor_b32_e32 v44, v3, v40
	v_sub_nc_u64_e32 v[40:41], v[44:45], v[40:41]
.LBB63_3876:
	s_mov_b32 s0, 0
.LBB63_3877:
	s_delay_alu instid0(SALU_CYCLE_1)
	s_and_not1_b32 vcc_lo, exec_lo, s0
	s_cbranch_vccnz .LBB63_3879
; %bb.3878:
	global_load_u16 v1, v[42:43], off
	s_wait_loadcnt 0x0
	v_cvt_f32_f16_e32 v1, v1
	s_delay_alu instid0(VALU_DEP_1) | instskip(NEXT) | instid1(VALU_DEP_1)
	v_cvt_i32_f32_e32 v40, v1
	v_ashrrev_i32_e32 v41, 31, v40
.LBB63_3879:
	s_mov_b32 s0, 0
.LBB63_3880:
	s_delay_alu instid0(SALU_CYCLE_1)
	s_and_not1_b32 vcc_lo, exec_lo, s0
	s_cbranch_vccnz .LBB63_3900
; %bb.3881:
	s_cmp_lt_i32 s57, 2
	s_cbranch_scc1 .LBB63_3885
; %bb.3882:
	s_cmp_lt_i32 s57, 3
	s_cbranch_scc1 .LBB63_3886
; %bb.3883:
	s_cmp_gt_i32 s57, 3
	s_cbranch_scc0 .LBB63_3887
; %bb.3884:
	s_wait_loadcnt 0x0
	global_load_b64 v[40:41], v[42:43], off
	s_mov_b32 s0, 0
	s_branch .LBB63_3888
.LBB63_3885:
	s_mov_b32 s0, -1
                                        ; implicit-def: $vgpr40_vgpr41
	s_branch .LBB63_3894
.LBB63_3886:
	s_mov_b32 s0, -1
                                        ; implicit-def: $vgpr40_vgpr41
	s_branch .LBB63_3891
.LBB63_3887:
	s_mov_b32 s0, -1
                                        ; implicit-def: $vgpr40_vgpr41
.LBB63_3888:
	s_delay_alu instid0(SALU_CYCLE_1)
	s_and_not1_b32 vcc_lo, exec_lo, s0
	s_cbranch_vccnz .LBB63_3890
; %bb.3889:
	s_wait_loadcnt 0x0
	global_load_b32 v40, v[42:43], off
	s_wait_loadcnt 0x0
	v_ashrrev_i32_e32 v41, 31, v40
.LBB63_3890:
	s_mov_b32 s0, 0
.LBB63_3891:
	s_delay_alu instid0(SALU_CYCLE_1)
	s_and_not1_b32 vcc_lo, exec_lo, s0
	s_cbranch_vccnz .LBB63_3893
; %bb.3892:
	global_load_u16 v1, v[42:43], off
	s_wait_loadcnt 0x0
	v_bfe_i32 v40, v1, 0, 16
	s_delay_alu instid0(VALU_DEP_1)
	v_ashrrev_i32_e32 v41, 31, v40
.LBB63_3893:
	s_mov_b32 s0, 0
.LBB63_3894:
	s_delay_alu instid0(SALU_CYCLE_1)
	s_and_not1_b32 vcc_lo, exec_lo, s0
	s_cbranch_vccnz .LBB63_3900
; %bb.3895:
	s_cmp_gt_i32 s57, 0
	s_mov_b32 s0, 0
	s_cbranch_scc0 .LBB63_3897
; %bb.3896:
	global_load_i8 v1, v[42:43], off
	s_wait_loadcnt 0x0
	v_bfe_i32 v40, v1, 0, 16
	s_delay_alu instid0(VALU_DEP_1)
	v_ashrrev_i32_e32 v41, 31, v40
	s_branch .LBB63_3898
.LBB63_3897:
	s_mov_b32 s0, -1
                                        ; implicit-def: $vgpr40_vgpr41
.LBB63_3898:
	s_delay_alu instid0(SALU_CYCLE_1)
	s_and_not1_b32 vcc_lo, exec_lo, s0
	s_cbranch_vccnz .LBB63_3900
; %bb.3899:
	global_load_u8 v1, v[42:43], off
	s_mov_b32 s0, 0
	s_wait_loadcnt 0x1
	v_mov_b32_e32 v41, s0
	s_wait_loadcnt 0x0
	v_and_b32_e32 v40, 0xffff, v1
.LBB63_3900:
	s_mov_b32 s9, -1
.LBB63_3901:
	s_delay_alu instid0(SALU_CYCLE_1)
	s_and_not1_b32 vcc_lo, exec_lo, s9
	s_cbranch_vccnz .LBB63_4424
; %bb.3902:
	v_mov_b32_e32 v39, 0
	s_and_b32 s58, 0xffff, s35
	s_delay_alu instid0(SALU_CYCLE_1) | instskip(SKIP_1) | instid1(VALU_DEP_1)
	s_cmp_lt_i32 s58, 11
	s_wait_xcnt 0x0
	v_add_nc_u64_e32 v[42:43], s[10:11], v[38:39]
	s_cbranch_scc1 .LBB63_3909
; %bb.3903:
	s_cmp_gt_i32 s58, 25
	s_mov_b32 s1, 0
	s_cbranch_scc0 .LBB63_3910
; %bb.3904:
	s_cmp_gt_i32 s58, 28
	s_cbranch_scc0 .LBB63_3911
; %bb.3905:
	s_cmp_gt_i32 s58, 43
	;; [unrolled: 3-line block ×3, first 2 shown]
	s_cbranch_scc0 .LBB63_3914
; %bb.3907:
	s_cmp_eq_u32 s58, 46
	s_mov_b32 s22, 0
	s_cbranch_scc0 .LBB63_3916
; %bb.3908:
	global_load_b32 v1, v[42:43], off
	s_mov_b32 s0, 0
	s_mov_b32 s9, -1
	s_wait_loadcnt 0x0
	v_lshlrev_b32_e32 v1, 16, v1
	s_delay_alu instid0(VALU_DEP_1) | instskip(NEXT) | instid1(VALU_DEP_1)
	v_trunc_f32_e32 v1, v1
	v_mul_f32_e64 v3, 0x2f800000, |v1|
	v_ashrrev_i32_e32 v38, 31, v1
	s_delay_alu instid0(VALU_DEP_2) | instskip(NEXT) | instid1(VALU_DEP_2)
	v_floor_f32_e32 v3, v3
	v_mov_b32_e32 v39, v38
	s_delay_alu instid0(VALU_DEP_2) | instskip(SKIP_1) | instid1(VALU_DEP_2)
	v_fma_f32 v5, 0xcf800000, v3, |v1|
	v_cvt_u32_f32_e32 v1, v3
	v_cvt_u32_f32_e32 v3, v5
	s_delay_alu instid0(VALU_DEP_2) | instskip(NEXT) | instid1(VALU_DEP_2)
	v_xor_b32_e32 v45, v1, v38
	v_xor_b32_e32 v44, v3, v38
	s_delay_alu instid0(VALU_DEP_1)
	v_sub_nc_u64_e32 v[38:39], v[44:45], v[38:39]
	s_branch .LBB63_3918
.LBB63_3909:
	s_mov_b32 s0, -1
	s_mov_b32 s9, 0
                                        ; implicit-def: $vgpr38_vgpr39
	s_branch .LBB63_3980
.LBB63_3910:
	s_mov_b32 s22, -1
	s_mov_b32 s9, 0
	s_mov_b32 s0, 0
                                        ; implicit-def: $vgpr38_vgpr39
	s_branch .LBB63_3945
.LBB63_3911:
	s_mov_b32 s22, -1
	s_mov_b32 s9, 0
	s_mov_b32 s0, 0
                                        ; implicit-def: $vgpr38_vgpr39
	s_branch .LBB63_3928
.LBB63_3912:
	s_mov_b32 s22, -1
	s_mov_b32 s9, 0
	s_mov_b32 s0, 0
                                        ; implicit-def: $vgpr38_vgpr39
	s_branch .LBB63_3923
.LBB63_3913:
	s_or_b32 s45, s43, exec_lo
	s_trap 2
	s_cbranch_execz .LBB63_3850
	s_branch .LBB63_3851
.LBB63_3914:
	s_mov_b32 s22, -1
	s_mov_b32 s9, 0
	s_mov_b32 s0, 0
	s_branch .LBB63_3917
.LBB63_3915:
	s_or_b32 s33, s33, exec_lo
	s_trap 2
                                        ; implicit-def: $vgpr6
                                        ; implicit-def: $vgpr34
                                        ; implicit-def: $vgpr32
                                        ; implicit-def: $vgpr38
                                        ; implicit-def: $vgpr36
                                        ; implicit-def: $vgpr4
                                        ; implicit-def: $vgpr40
                                        ; implicit-def: $vgpr24
                                        ; implicit-def: $vgpr22
                                        ; implicit-def: $vgpr28
                                        ; implicit-def: $vgpr26
                                        ; implicit-def: $vgpr2
                                        ; implicit-def: $vgpr30
                                        ; implicit-def: $vgpr14
                                        ; implicit-def: $vgpr10
                                        ; implicit-def: $vgpr18
                                        ; implicit-def: $vgpr16
                                        ; implicit-def: $vgpr0
                                        ; implicit-def: $vgpr20
                                        ; implicit-def: $vgpr8_vgpr9
                                        ; implicit-def: $vgpr12_vgpr13
                                        ; implicit-def: $vgpr46_vgpr47
                                        ; implicit-def: $vgpr44_vgpr45
                                        ; implicit-def: $vgpr48_vgpr49
	s_branch .LBB63_2642
.LBB63_3916:
	s_mov_b32 s0, -1
	s_mov_b32 s9, 0
.LBB63_3917:
                                        ; implicit-def: $vgpr38_vgpr39
.LBB63_3918:
	s_and_b32 vcc_lo, exec_lo, s22
	s_cbranch_vccz .LBB63_3922
; %bb.3919:
	s_cmp_eq_u32 s58, 44
	s_cbranch_scc0 .LBB63_3921
; %bb.3920:
	global_load_u8 v1, v[42:43], off
	s_mov_b32 s0, 0
	s_mov_b32 s9, -1
	s_wait_loadcnt 0x0
	v_lshlrev_b32_e32 v3, 23, v1
	v_cmp_ne_u32_e32 vcc_lo, 0, v1
	s_delay_alu instid0(VALU_DEP_2) | instskip(NEXT) | instid1(VALU_DEP_1)
	v_trunc_f32_e32 v3, v3
	v_mul_f32_e64 v5, 0x2f800000, |v3|
	v_ashrrev_i32_e32 v38, 31, v3
	s_delay_alu instid0(VALU_DEP_2) | instskip(NEXT) | instid1(VALU_DEP_2)
	v_floor_f32_e32 v5, v5
	v_mov_b32_e32 v39, v38
	s_delay_alu instid0(VALU_DEP_2) | instskip(SKIP_1) | instid1(VALU_DEP_2)
	v_fma_f32 v7, 0xcf800000, v5, |v3|
	v_cvt_u32_f32_e32 v3, v5
	v_cvt_u32_f32_e32 v5, v7
	s_delay_alu instid0(VALU_DEP_2) | instskip(NEXT) | instid1(VALU_DEP_2)
	v_xor_b32_e32 v45, v3, v38
	v_xor_b32_e32 v44, v5, v38
	s_delay_alu instid0(VALU_DEP_1) | instskip(NEXT) | instid1(VALU_DEP_1)
	v_sub_nc_u64_e32 v[38:39], v[44:45], v[38:39]
	v_dual_cndmask_b32 v39, 0, v39 :: v_dual_cndmask_b32 v38, 0, v38
	s_branch .LBB63_3922
.LBB63_3921:
	s_mov_b32 s0, -1
                                        ; implicit-def: $vgpr38_vgpr39
.LBB63_3922:
	s_mov_b32 s22, 0
.LBB63_3923:
	s_delay_alu instid0(SALU_CYCLE_1)
	s_and_b32 vcc_lo, exec_lo, s22
	s_cbranch_vccz .LBB63_3927
; %bb.3924:
	s_cmp_eq_u32 s58, 29
	s_cbranch_scc0 .LBB63_3926
; %bb.3925:
	global_load_b64 v[38:39], v[42:43], off
	s_mov_b32 s0, 0
	s_mov_b32 s9, -1
	s_branch .LBB63_3927
.LBB63_3926:
	s_mov_b32 s0, -1
                                        ; implicit-def: $vgpr38_vgpr39
.LBB63_3927:
	s_mov_b32 s22, 0
.LBB63_3928:
	s_delay_alu instid0(SALU_CYCLE_1)
	s_and_b32 vcc_lo, exec_lo, s22
	s_cbranch_vccz .LBB63_3944
; %bb.3929:
	s_cmp_lt_i32 s58, 27
	s_cbranch_scc1 .LBB63_3932
; %bb.3930:
	s_cmp_gt_i32 s58, 27
	s_cbranch_scc0 .LBB63_3933
; %bb.3931:
	s_wait_loadcnt 0x0
	global_load_b32 v38, v[42:43], off
	v_mov_b32_e32 v39, 0
	s_mov_b32 s9, 0
	s_branch .LBB63_3934
.LBB63_3932:
	s_mov_b32 s9, -1
                                        ; implicit-def: $vgpr38_vgpr39
	s_branch .LBB63_3937
.LBB63_3933:
	s_mov_b32 s9, -1
                                        ; implicit-def: $vgpr38_vgpr39
.LBB63_3934:
	s_delay_alu instid0(SALU_CYCLE_1)
	s_and_not1_b32 vcc_lo, exec_lo, s9
	s_cbranch_vccnz .LBB63_3936
; %bb.3935:
	global_load_u16 v1, v[42:43], off
	s_mov_b32 s9, 0
	s_wait_loadcnt 0x1
	v_mov_b32_e32 v39, s9
	s_wait_loadcnt 0x0
	v_and_b32_e32 v38, 0xffff, v1
.LBB63_3936:
	s_mov_b32 s9, 0
.LBB63_3937:
	s_delay_alu instid0(SALU_CYCLE_1)
	s_and_not1_b32 vcc_lo, exec_lo, s9
	s_cbranch_vccnz .LBB63_3943
; %bb.3938:
	global_load_u8 v1, v[42:43], off
	s_mov_b32 s22, 0
	s_mov_b32 s9, exec_lo
	s_wait_loadcnt 0x0
	v_cmpx_lt_i16_e32 0x7f, v1
	s_xor_b32 s9, exec_lo, s9
	s_cbranch_execz .LBB63_3955
; %bb.3939:
	v_cmp_ne_u16_e32 vcc_lo, 0x80, v1
	s_and_b32 s22, vcc_lo, exec_lo
	s_and_not1_saveexec_b32 s9, s9
	s_cbranch_execnz .LBB63_3956
.LBB63_3940:
	s_or_b32 exec_lo, exec_lo, s9
	v_mov_b64_e32 v[38:39], 0
	s_and_saveexec_b32 s9, s22
	s_cbranch_execz .LBB63_3942
.LBB63_3941:
	v_and_b32_e32 v3, 0xffff, v1
	s_delay_alu instid0(VALU_DEP_1) | instskip(SKIP_1) | instid1(VALU_DEP_2)
	v_dual_lshlrev_b32 v1, 24, v1 :: v_dual_bitop2_b32 v5, 7, v3 bitop3:0x40
	v_bfe_u32 v15, v3, 3, 4
	v_and_b32_e32 v1, 0x80000000, v1
	s_delay_alu instid0(VALU_DEP_3) | instskip(NEXT) | instid1(VALU_DEP_3)
	v_clz_i32_u32_e32 v7, v5
	v_cmp_eq_u32_e32 vcc_lo, 0, v15
	s_delay_alu instid0(VALU_DEP_2) | instskip(NEXT) | instid1(VALU_DEP_1)
	v_min_u32_e32 v7, 32, v7
	v_subrev_nc_u32_e32 v11, 28, v7
	v_sub_nc_u32_e32 v7, 29, v7
	s_delay_alu instid0(VALU_DEP_2) | instskip(NEXT) | instid1(VALU_DEP_2)
	v_lshlrev_b32_e32 v3, v11, v3
	v_cndmask_b32_e32 v7, v15, v7, vcc_lo
	s_delay_alu instid0(VALU_DEP_2) | instskip(NEXT) | instid1(VALU_DEP_1)
	v_and_b32_e32 v3, 7, v3
	v_cndmask_b32_e32 v3, v5, v3, vcc_lo
	s_delay_alu instid0(VALU_DEP_3) | instskip(NEXT) | instid1(VALU_DEP_2)
	v_lshl_add_u32 v5, v7, 23, 0x3b800000
	v_lshlrev_b32_e32 v3, 20, v3
	s_delay_alu instid0(VALU_DEP_1) | instskip(NEXT) | instid1(VALU_DEP_1)
	v_or3_b32 v1, v1, v5, v3
	v_trunc_f32_e32 v1, v1
	s_delay_alu instid0(VALU_DEP_1) | instskip(SKIP_1) | instid1(VALU_DEP_2)
	v_mul_f32_e64 v3, 0x2f800000, |v1|
	v_ashrrev_i32_e32 v38, 31, v1
	v_floor_f32_e32 v3, v3
	s_delay_alu instid0(VALU_DEP_2) | instskip(NEXT) | instid1(VALU_DEP_2)
	v_mov_b32_e32 v39, v38
	v_fma_f32 v5, 0xcf800000, v3, |v1|
	v_cvt_u32_f32_e32 v1, v3
	s_delay_alu instid0(VALU_DEP_2) | instskip(NEXT) | instid1(VALU_DEP_2)
	v_cvt_u32_f32_e32 v3, v5
	v_xor_b32_e32 v45, v1, v38
	s_delay_alu instid0(VALU_DEP_2) | instskip(NEXT) | instid1(VALU_DEP_1)
	v_xor_b32_e32 v44, v3, v38
	v_sub_nc_u64_e32 v[38:39], v[44:45], v[38:39]
.LBB63_3942:
	s_or_b32 exec_lo, exec_lo, s9
.LBB63_3943:
	s_mov_b32 s9, -1
.LBB63_3944:
	s_mov_b32 s22, 0
.LBB63_3945:
	s_delay_alu instid0(SALU_CYCLE_1)
	s_and_b32 vcc_lo, exec_lo, s22
	s_cbranch_vccz .LBB63_3976
; %bb.3946:
	s_cmp_gt_i32 s58, 22
	s_cbranch_scc0 .LBB63_3954
; %bb.3947:
	s_cmp_lt_i32 s58, 24
	s_cbranch_scc1 .LBB63_3957
; %bb.3948:
	s_cmp_gt_i32 s58, 24
	s_cbranch_scc0 .LBB63_3958
; %bb.3949:
	global_load_u8 v1, v[42:43], off
	s_mov_b32 s9, 0
	s_mov_b32 s1, exec_lo
	s_wait_loadcnt 0x0
	v_cmpx_lt_i16_e32 0x7f, v1
	s_xor_b32 s1, exec_lo, s1
	s_cbranch_execz .LBB63_3970
; %bb.3950:
	v_cmp_ne_u16_e32 vcc_lo, 0x80, v1
	s_and_b32 s9, vcc_lo, exec_lo
	s_and_not1_saveexec_b32 s1, s1
	s_cbranch_execnz .LBB63_3971
.LBB63_3951:
	s_or_b32 exec_lo, exec_lo, s1
	v_mov_b64_e32 v[38:39], 0
	s_and_saveexec_b32 s1, s9
	s_cbranch_execz .LBB63_3953
.LBB63_3952:
	v_and_b32_e32 v3, 0xffff, v1
	s_delay_alu instid0(VALU_DEP_1) | instskip(SKIP_1) | instid1(VALU_DEP_2)
	v_dual_lshlrev_b32 v1, 24, v1 :: v_dual_bitop2_b32 v5, 3, v3 bitop3:0x40
	v_bfe_u32 v15, v3, 2, 5
	v_and_b32_e32 v1, 0x80000000, v1
	s_delay_alu instid0(VALU_DEP_3) | instskip(NEXT) | instid1(VALU_DEP_3)
	v_clz_i32_u32_e32 v7, v5
	v_cmp_eq_u32_e32 vcc_lo, 0, v15
	s_delay_alu instid0(VALU_DEP_2) | instskip(NEXT) | instid1(VALU_DEP_1)
	v_min_u32_e32 v7, 32, v7
	v_subrev_nc_u32_e32 v11, 29, v7
	v_sub_nc_u32_e32 v7, 30, v7
	s_delay_alu instid0(VALU_DEP_2) | instskip(NEXT) | instid1(VALU_DEP_2)
	v_lshlrev_b32_e32 v3, v11, v3
	v_cndmask_b32_e32 v7, v15, v7, vcc_lo
	s_delay_alu instid0(VALU_DEP_2) | instskip(NEXT) | instid1(VALU_DEP_1)
	v_and_b32_e32 v3, 3, v3
	v_cndmask_b32_e32 v3, v5, v3, vcc_lo
	s_delay_alu instid0(VALU_DEP_3) | instskip(NEXT) | instid1(VALU_DEP_2)
	v_lshl_add_u32 v5, v7, 23, 0x37800000
	v_lshlrev_b32_e32 v3, 21, v3
	s_delay_alu instid0(VALU_DEP_1) | instskip(NEXT) | instid1(VALU_DEP_1)
	v_or3_b32 v1, v1, v5, v3
	v_trunc_f32_e32 v1, v1
	s_delay_alu instid0(VALU_DEP_1) | instskip(SKIP_1) | instid1(VALU_DEP_2)
	v_mul_f32_e64 v3, 0x2f800000, |v1|
	v_ashrrev_i32_e32 v38, 31, v1
	v_floor_f32_e32 v3, v3
	s_delay_alu instid0(VALU_DEP_2) | instskip(NEXT) | instid1(VALU_DEP_2)
	v_mov_b32_e32 v39, v38
	v_fma_f32 v5, 0xcf800000, v3, |v1|
	v_cvt_u32_f32_e32 v1, v3
	s_delay_alu instid0(VALU_DEP_2) | instskip(NEXT) | instid1(VALU_DEP_2)
	v_cvt_u32_f32_e32 v3, v5
	v_xor_b32_e32 v45, v1, v38
	s_delay_alu instid0(VALU_DEP_2) | instskip(NEXT) | instid1(VALU_DEP_1)
	v_xor_b32_e32 v44, v3, v38
	v_sub_nc_u64_e32 v[38:39], v[44:45], v[38:39]
.LBB63_3953:
	s_or_b32 exec_lo, exec_lo, s1
	s_mov_b32 s1, 0
	s_branch .LBB63_3959
.LBB63_3954:
	s_mov_b32 s1, -1
                                        ; implicit-def: $vgpr38_vgpr39
	s_branch .LBB63_3965
.LBB63_3955:
	s_and_not1_saveexec_b32 s9, s9
	s_cbranch_execz .LBB63_3940
.LBB63_3956:
	v_cmp_ne_u16_e32 vcc_lo, 0, v1
	s_and_not1_b32 s22, s22, exec_lo
	s_and_b32 s23, vcc_lo, exec_lo
	s_delay_alu instid0(SALU_CYCLE_1)
	s_or_b32 s22, s22, s23
	s_or_b32 exec_lo, exec_lo, s9
	v_mov_b64_e32 v[38:39], 0
	s_and_saveexec_b32 s9, s22
	s_cbranch_execnz .LBB63_3941
	s_branch .LBB63_3942
.LBB63_3957:
	s_mov_b32 s1, -1
                                        ; implicit-def: $vgpr38_vgpr39
	s_branch .LBB63_3962
.LBB63_3958:
	s_mov_b32 s1, -1
                                        ; implicit-def: $vgpr38_vgpr39
.LBB63_3959:
	s_delay_alu instid0(SALU_CYCLE_1)
	s_and_b32 vcc_lo, exec_lo, s1
	s_cbranch_vccz .LBB63_3961
; %bb.3960:
	global_load_u8 v1, v[42:43], off
	s_wait_loadcnt 0x0
	v_lshlrev_b32_e32 v1, 24, v1
	s_delay_alu instid0(VALU_DEP_1) | instskip(NEXT) | instid1(VALU_DEP_1)
	v_and_b32_e32 v3, 0x7f000000, v1
	v_clz_i32_u32_e32 v5, v3
	v_add_nc_u32_e32 v11, 0x1000000, v3
	v_cmp_ne_u32_e32 vcc_lo, 0, v3
	s_delay_alu instid0(VALU_DEP_3) | instskip(NEXT) | instid1(VALU_DEP_1)
	v_min_u32_e32 v5, 32, v5
	v_sub_nc_u32_e64 v5, v5, 4 clamp
	s_delay_alu instid0(VALU_DEP_1) | instskip(NEXT) | instid1(VALU_DEP_1)
	v_dual_lshlrev_b32 v7, v5, v3 :: v_dual_lshlrev_b32 v5, 23, v5
	v_lshrrev_b32_e32 v7, 4, v7
	s_delay_alu instid0(VALU_DEP_1) | instskip(NEXT) | instid1(VALU_DEP_1)
	v_dual_sub_nc_u32 v5, v7, v5 :: v_dual_ashrrev_i32 v7, 8, v11
	v_add_nc_u32_e32 v5, 0x3c000000, v5
	s_delay_alu instid0(VALU_DEP_1) | instskip(NEXT) | instid1(VALU_DEP_1)
	v_and_or_b32 v5, 0x7f800000, v7, v5
	v_cndmask_b32_e32 v3, 0, v5, vcc_lo
	s_delay_alu instid0(VALU_DEP_1) | instskip(NEXT) | instid1(VALU_DEP_1)
	v_and_or_b32 v1, 0x80000000, v1, v3
	v_trunc_f32_e32 v1, v1
	s_delay_alu instid0(VALU_DEP_1) | instskip(SKIP_1) | instid1(VALU_DEP_2)
	v_mul_f32_e64 v3, 0x2f800000, |v1|
	v_ashrrev_i32_e32 v38, 31, v1
	v_floor_f32_e32 v3, v3
	s_delay_alu instid0(VALU_DEP_2) | instskip(NEXT) | instid1(VALU_DEP_2)
	v_mov_b32_e32 v39, v38
	v_fma_f32 v5, 0xcf800000, v3, |v1|
	v_cvt_u32_f32_e32 v1, v3
	s_delay_alu instid0(VALU_DEP_2) | instskip(NEXT) | instid1(VALU_DEP_2)
	v_cvt_u32_f32_e32 v3, v5
	v_xor_b32_e32 v45, v1, v38
	s_delay_alu instid0(VALU_DEP_2) | instskip(NEXT) | instid1(VALU_DEP_1)
	v_xor_b32_e32 v44, v3, v38
	v_sub_nc_u64_e32 v[38:39], v[44:45], v[38:39]
.LBB63_3961:
	s_mov_b32 s1, 0
.LBB63_3962:
	s_delay_alu instid0(SALU_CYCLE_1)
	s_and_not1_b32 vcc_lo, exec_lo, s1
	s_cbranch_vccnz .LBB63_3964
; %bb.3963:
	global_load_u8 v1, v[42:43], off
	s_wait_loadcnt 0x0
	v_lshlrev_b32_e32 v3, 25, v1
	v_lshlrev_b16 v1, 8, v1
	s_delay_alu instid0(VALU_DEP_1) | instskip(SKIP_1) | instid1(VALU_DEP_2)
	v_and_or_b32 v7, 0x7f00, v1, 0.5
	v_bfe_i32 v1, v1, 0, 16
	v_add_f32_e32 v7, -0.5, v7
	v_lshrrev_b32_e32 v5, 4, v3
	v_cmp_gt_u32_e32 vcc_lo, 0x8000000, v3
	s_delay_alu instid0(VALU_DEP_2) | instskip(NEXT) | instid1(VALU_DEP_1)
	v_or_b32_e32 v5, 0x70000000, v5
	v_mul_f32_e32 v5, 0x7800000, v5
	s_delay_alu instid0(VALU_DEP_1) | instskip(NEXT) | instid1(VALU_DEP_1)
	v_cndmask_b32_e32 v3, v5, v7, vcc_lo
	v_and_or_b32 v1, 0x80000000, v1, v3
	s_delay_alu instid0(VALU_DEP_1) | instskip(NEXT) | instid1(VALU_DEP_1)
	v_trunc_f32_e32 v1, v1
	v_mul_f32_e64 v3, 0x2f800000, |v1|
	v_ashrrev_i32_e32 v38, 31, v1
	s_delay_alu instid0(VALU_DEP_2) | instskip(NEXT) | instid1(VALU_DEP_2)
	v_floor_f32_e32 v3, v3
	v_mov_b32_e32 v39, v38
	s_delay_alu instid0(VALU_DEP_2) | instskip(SKIP_1) | instid1(VALU_DEP_2)
	v_fma_f32 v5, 0xcf800000, v3, |v1|
	v_cvt_u32_f32_e32 v1, v3
	v_cvt_u32_f32_e32 v3, v5
	s_delay_alu instid0(VALU_DEP_2) | instskip(NEXT) | instid1(VALU_DEP_2)
	v_xor_b32_e32 v45, v1, v38
	v_xor_b32_e32 v44, v3, v38
	s_delay_alu instid0(VALU_DEP_1)
	v_sub_nc_u64_e32 v[38:39], v[44:45], v[38:39]
.LBB63_3964:
	s_mov_b32 s1, 0
	s_mov_b32 s9, -1
.LBB63_3965:
	s_and_not1_b32 vcc_lo, exec_lo, s1
	s_mov_b32 s1, 0
	s_cbranch_vccnz .LBB63_3976
; %bb.3966:
	s_cmp_gt_i32 s58, 14
	s_cbranch_scc0 .LBB63_3969
; %bb.3967:
	s_cmp_eq_u32 s58, 15
	s_cbranch_scc0 .LBB63_3972
; %bb.3968:
	global_load_u16 v1, v[42:43], off
	s_mov_b32 s0, 0
	s_mov_b32 s9, -1
	s_wait_loadcnt 0x0
	v_lshlrev_b32_e32 v1, 16, v1
	s_delay_alu instid0(VALU_DEP_1) | instskip(NEXT) | instid1(VALU_DEP_1)
	v_trunc_f32_e32 v1, v1
	v_mul_f32_e64 v3, 0x2f800000, |v1|
	v_ashrrev_i32_e32 v38, 31, v1
	s_delay_alu instid0(VALU_DEP_2) | instskip(NEXT) | instid1(VALU_DEP_2)
	v_floor_f32_e32 v3, v3
	v_mov_b32_e32 v39, v38
	s_delay_alu instid0(VALU_DEP_2) | instskip(SKIP_1) | instid1(VALU_DEP_2)
	v_fma_f32 v5, 0xcf800000, v3, |v1|
	v_cvt_u32_f32_e32 v1, v3
	v_cvt_u32_f32_e32 v3, v5
	s_delay_alu instid0(VALU_DEP_2) | instskip(NEXT) | instid1(VALU_DEP_2)
	v_xor_b32_e32 v45, v1, v38
	v_xor_b32_e32 v44, v3, v38
	s_delay_alu instid0(VALU_DEP_1)
	v_sub_nc_u64_e32 v[38:39], v[44:45], v[38:39]
	s_branch .LBB63_3974
.LBB63_3969:
	s_mov_b32 s1, -1
	s_branch .LBB63_3973
.LBB63_3970:
	s_and_not1_saveexec_b32 s1, s1
	s_cbranch_execz .LBB63_3951
.LBB63_3971:
	v_cmp_ne_u16_e32 vcc_lo, 0, v1
	s_and_not1_b32 s9, s9, exec_lo
	s_and_b32 s22, vcc_lo, exec_lo
	s_delay_alu instid0(SALU_CYCLE_1)
	s_or_b32 s9, s9, s22
	s_or_b32 exec_lo, exec_lo, s1
	v_mov_b64_e32 v[38:39], 0
	s_and_saveexec_b32 s1, s9
	s_cbranch_execnz .LBB63_3952
	s_branch .LBB63_3953
.LBB63_3972:
	s_mov_b32 s0, -1
.LBB63_3973:
                                        ; implicit-def: $vgpr38_vgpr39
.LBB63_3974:
	s_and_b32 vcc_lo, exec_lo, s1
	s_mov_b32 s1, 0
	s_cbranch_vccz .LBB63_3976
; %bb.3975:
	s_cmp_lg_u32 s58, 11
	s_mov_b32 s1, -1
	s_cselect_b32 s0, -1, 0
.LBB63_3976:
	s_delay_alu instid0(SALU_CYCLE_1)
	s_and_b32 vcc_lo, exec_lo, s0
	s_cbranch_vccnz .LBB63_4041
; %bb.3977:
	s_and_not1_b32 vcc_lo, exec_lo, s1
	s_cbranch_vccnz .LBB63_3979
.LBB63_3978:
	global_load_u8 v1, v[42:43], off
	s_mov_b32 s0, 0
	s_mov_b32 s9, -1
	s_wait_loadcnt 0x1
	v_mov_b32_e32 v39, s0
	s_wait_loadcnt 0x0
	v_cmp_ne_u16_e32 vcc_lo, 0, v1
	v_cndmask_b32_e64 v38, 0, 1, vcc_lo
.LBB63_3979:
	s_mov_b32 s0, 0
.LBB63_3980:
	s_delay_alu instid0(SALU_CYCLE_1)
	s_and_b32 vcc_lo, exec_lo, s0
	s_cbranch_vccz .LBB63_4029
; %bb.3981:
	s_cmp_lt_i32 s58, 5
	s_cbranch_scc1 .LBB63_3986
; %bb.3982:
	s_cmp_lt_i32 s58, 8
	s_cbranch_scc1 .LBB63_3987
	;; [unrolled: 3-line block ×3, first 2 shown]
; %bb.3984:
	s_cmp_gt_i32 s58, 9
	s_cbranch_scc0 .LBB63_3989
; %bb.3985:
	s_wait_loadcnt 0x0
	global_load_b64 v[38:39], v[42:43], off
	s_mov_b32 s0, 0
	s_wait_loadcnt 0x0
	v_trunc_f64_e32 v[38:39], v[38:39]
	s_delay_alu instid0(VALU_DEP_1) | instskip(NEXT) | instid1(VALU_DEP_1)
	v_ldexp_f64 v[44:45], v[38:39], 0xffffffe0
	v_floor_f64_e32 v[44:45], v[44:45]
	s_delay_alu instid0(VALU_DEP_1) | instskip(SKIP_1) | instid1(VALU_DEP_2)
	v_fmamk_f64 v[46:47], v[44:45], 0xc1f00000, v[38:39]
	v_cvt_i32_f64_e32 v39, v[44:45]
	v_cvt_u32_f64_e32 v38, v[46:47]
	s_branch .LBB63_3990
.LBB63_3986:
	s_mov_b32 s0, -1
                                        ; implicit-def: $vgpr38_vgpr39
	s_branch .LBB63_4008
.LBB63_3987:
	s_mov_b32 s0, -1
                                        ; implicit-def: $vgpr38_vgpr39
	s_branch .LBB63_3996
.LBB63_3988:
	s_mov_b32 s0, -1
                                        ; implicit-def: $vgpr38_vgpr39
	s_branch .LBB63_3993
.LBB63_3989:
	s_mov_b32 s0, -1
                                        ; implicit-def: $vgpr38_vgpr39
.LBB63_3990:
	s_delay_alu instid0(SALU_CYCLE_1)
	s_and_not1_b32 vcc_lo, exec_lo, s0
	s_cbranch_vccnz .LBB63_3992
; %bb.3991:
	global_load_b32 v1, v[42:43], off
	s_wait_loadcnt 0x0
	v_trunc_f32_e32 v1, v1
	s_delay_alu instid0(VALU_DEP_1) | instskip(SKIP_1) | instid1(VALU_DEP_2)
	v_mul_f32_e64 v3, 0x2f800000, |v1|
	v_ashrrev_i32_e32 v38, 31, v1
	v_floor_f32_e32 v3, v3
	s_delay_alu instid0(VALU_DEP_1) | instskip(SKIP_1) | instid1(VALU_DEP_4)
	v_fma_f32 v5, 0xcf800000, v3, |v1|
	v_cvt_u32_f32_e32 v1, v3
	v_mov_b32_e32 v39, v38
	s_delay_alu instid0(VALU_DEP_3) | instskip(NEXT) | instid1(VALU_DEP_3)
	v_cvt_u32_f32_e32 v3, v5
	v_xor_b32_e32 v45, v1, v38
	s_delay_alu instid0(VALU_DEP_2) | instskip(NEXT) | instid1(VALU_DEP_1)
	v_xor_b32_e32 v44, v3, v38
	v_sub_nc_u64_e32 v[38:39], v[44:45], v[38:39]
.LBB63_3992:
	s_mov_b32 s0, 0
.LBB63_3993:
	s_delay_alu instid0(SALU_CYCLE_1)
	s_and_not1_b32 vcc_lo, exec_lo, s0
	s_cbranch_vccnz .LBB63_3995
; %bb.3994:
	global_load_b32 v1, v[42:43], off
	s_wait_loadcnt 0x0
	v_cvt_f32_f16_e32 v1, v1
	s_delay_alu instid0(VALU_DEP_1) | instskip(NEXT) | instid1(VALU_DEP_1)
	v_cvt_i32_f32_e32 v38, v1
	v_ashrrev_i32_e32 v39, 31, v38
.LBB63_3995:
	s_mov_b32 s0, 0
.LBB63_3996:
	s_delay_alu instid0(SALU_CYCLE_1)
	s_and_not1_b32 vcc_lo, exec_lo, s0
	s_cbranch_vccnz .LBB63_4007
; %bb.3997:
	s_cmp_lt_i32 s58, 6
	s_cbranch_scc1 .LBB63_4000
; %bb.3998:
	s_cmp_gt_i32 s58, 6
	s_cbranch_scc0 .LBB63_4001
; %bb.3999:
	s_wait_loadcnt 0x0
	global_load_b64 v[38:39], v[42:43], off
	s_mov_b32 s0, 0
	s_wait_loadcnt 0x0
	v_trunc_f64_e32 v[38:39], v[38:39]
	s_delay_alu instid0(VALU_DEP_1) | instskip(NEXT) | instid1(VALU_DEP_1)
	v_ldexp_f64 v[44:45], v[38:39], 0xffffffe0
	v_floor_f64_e32 v[44:45], v[44:45]
	s_delay_alu instid0(VALU_DEP_1) | instskip(SKIP_1) | instid1(VALU_DEP_2)
	v_fmamk_f64 v[46:47], v[44:45], 0xc1f00000, v[38:39]
	v_cvt_i32_f64_e32 v39, v[44:45]
	v_cvt_u32_f64_e32 v38, v[46:47]
	s_branch .LBB63_4002
.LBB63_4000:
	s_mov_b32 s0, -1
                                        ; implicit-def: $vgpr38_vgpr39
	s_branch .LBB63_4005
.LBB63_4001:
	s_mov_b32 s0, -1
                                        ; implicit-def: $vgpr38_vgpr39
.LBB63_4002:
	s_delay_alu instid0(SALU_CYCLE_1)
	s_and_not1_b32 vcc_lo, exec_lo, s0
	s_cbranch_vccnz .LBB63_4004
; %bb.4003:
	global_load_b32 v1, v[42:43], off
	s_wait_loadcnt 0x0
	v_trunc_f32_e32 v1, v1
	s_delay_alu instid0(VALU_DEP_1) | instskip(SKIP_1) | instid1(VALU_DEP_2)
	v_mul_f32_e64 v3, 0x2f800000, |v1|
	v_ashrrev_i32_e32 v38, 31, v1
	v_floor_f32_e32 v3, v3
	s_delay_alu instid0(VALU_DEP_1) | instskip(SKIP_1) | instid1(VALU_DEP_4)
	v_fma_f32 v5, 0xcf800000, v3, |v1|
	v_cvt_u32_f32_e32 v1, v3
	v_mov_b32_e32 v39, v38
	s_delay_alu instid0(VALU_DEP_3) | instskip(NEXT) | instid1(VALU_DEP_3)
	v_cvt_u32_f32_e32 v3, v5
	v_xor_b32_e32 v45, v1, v38
	s_delay_alu instid0(VALU_DEP_2) | instskip(NEXT) | instid1(VALU_DEP_1)
	v_xor_b32_e32 v44, v3, v38
	v_sub_nc_u64_e32 v[38:39], v[44:45], v[38:39]
.LBB63_4004:
	s_mov_b32 s0, 0
.LBB63_4005:
	s_delay_alu instid0(SALU_CYCLE_1)
	s_and_not1_b32 vcc_lo, exec_lo, s0
	s_cbranch_vccnz .LBB63_4007
; %bb.4006:
	global_load_u16 v1, v[42:43], off
	s_wait_loadcnt 0x0
	v_cvt_f32_f16_e32 v1, v1
	s_delay_alu instid0(VALU_DEP_1) | instskip(NEXT) | instid1(VALU_DEP_1)
	v_cvt_i32_f32_e32 v38, v1
	v_ashrrev_i32_e32 v39, 31, v38
.LBB63_4007:
	s_mov_b32 s0, 0
.LBB63_4008:
	s_delay_alu instid0(SALU_CYCLE_1)
	s_and_not1_b32 vcc_lo, exec_lo, s0
	s_cbranch_vccnz .LBB63_4028
; %bb.4009:
	s_cmp_lt_i32 s58, 2
	s_cbranch_scc1 .LBB63_4013
; %bb.4010:
	s_cmp_lt_i32 s58, 3
	s_cbranch_scc1 .LBB63_4014
; %bb.4011:
	s_cmp_gt_i32 s58, 3
	s_cbranch_scc0 .LBB63_4015
; %bb.4012:
	s_wait_loadcnt 0x0
	global_load_b64 v[38:39], v[42:43], off
	s_mov_b32 s0, 0
	s_branch .LBB63_4016
.LBB63_4013:
	s_mov_b32 s0, -1
                                        ; implicit-def: $vgpr38_vgpr39
	s_branch .LBB63_4022
.LBB63_4014:
	s_mov_b32 s0, -1
                                        ; implicit-def: $vgpr38_vgpr39
	s_branch .LBB63_4019
.LBB63_4015:
	s_mov_b32 s0, -1
                                        ; implicit-def: $vgpr38_vgpr39
.LBB63_4016:
	s_delay_alu instid0(SALU_CYCLE_1)
	s_and_not1_b32 vcc_lo, exec_lo, s0
	s_cbranch_vccnz .LBB63_4018
; %bb.4017:
	s_wait_loadcnt 0x0
	global_load_b32 v38, v[42:43], off
	s_wait_loadcnt 0x0
	v_ashrrev_i32_e32 v39, 31, v38
.LBB63_4018:
	s_mov_b32 s0, 0
.LBB63_4019:
	s_delay_alu instid0(SALU_CYCLE_1)
	s_and_not1_b32 vcc_lo, exec_lo, s0
	s_cbranch_vccnz .LBB63_4021
; %bb.4020:
	global_load_u16 v1, v[42:43], off
	s_wait_loadcnt 0x0
	v_bfe_i32 v38, v1, 0, 16
	s_delay_alu instid0(VALU_DEP_1)
	v_ashrrev_i32_e32 v39, 31, v38
.LBB63_4021:
	s_mov_b32 s0, 0
.LBB63_4022:
	s_delay_alu instid0(SALU_CYCLE_1)
	s_and_not1_b32 vcc_lo, exec_lo, s0
	s_cbranch_vccnz .LBB63_4028
; %bb.4023:
	s_cmp_gt_i32 s58, 0
	s_mov_b32 s0, 0
	s_cbranch_scc0 .LBB63_4025
; %bb.4024:
	global_load_i8 v1, v[42:43], off
	s_wait_loadcnt 0x0
	v_bfe_i32 v38, v1, 0, 16
	s_delay_alu instid0(VALU_DEP_1)
	v_ashrrev_i32_e32 v39, 31, v38
	s_branch .LBB63_4026
.LBB63_4025:
	s_mov_b32 s0, -1
                                        ; implicit-def: $vgpr38_vgpr39
.LBB63_4026:
	s_delay_alu instid0(SALU_CYCLE_1)
	s_and_not1_b32 vcc_lo, exec_lo, s0
	s_cbranch_vccnz .LBB63_4028
; %bb.4027:
	global_load_u8 v1, v[42:43], off
	s_mov_b32 s0, 0
	s_wait_loadcnt 0x1
	v_mov_b32_e32 v39, s0
	s_wait_loadcnt 0x0
	v_and_b32_e32 v38, 0xffff, v1
.LBB63_4028:
	s_mov_b32 s9, -1
.LBB63_4029:
	s_delay_alu instid0(SALU_CYCLE_1)
	s_and_not1_b32 vcc_lo, exec_lo, s9
	s_cbranch_vccnz .LBB63_4424
; %bb.4030:
	v_mov_b32_e32 v37, 0
	s_and_b32 s59, 0xffff, s49
	s_delay_alu instid0(SALU_CYCLE_1) | instskip(SKIP_1) | instid1(VALU_DEP_1)
	s_cmp_lt_i32 s59, 11
	s_wait_xcnt 0x0
	v_add_nc_u64_e32 v[42:43], s[12:13], v[36:37]
	s_cbranch_scc1 .LBB63_4037
; %bb.4031:
	s_cmp_gt_i32 s59, 25
	s_mov_b32 s1, 0
	s_cbranch_scc0 .LBB63_4038
; %bb.4032:
	s_cmp_gt_i32 s59, 28
	s_cbranch_scc0 .LBB63_4039
; %bb.4033:
	s_cmp_gt_i32 s59, 43
	;; [unrolled: 3-line block ×3, first 2 shown]
	s_cbranch_scc0 .LBB63_4042
; %bb.4035:
	s_cmp_eq_u32 s59, 46
	s_mov_b32 s22, 0
	s_cbranch_scc0 .LBB63_4045
; %bb.4036:
	global_load_b32 v1, v[42:43], off
	s_mov_b32 s0, 0
	s_mov_b32 s9, -1
	s_wait_loadcnt 0x0
	v_lshlrev_b32_e32 v1, 16, v1
	s_delay_alu instid0(VALU_DEP_1) | instskip(NEXT) | instid1(VALU_DEP_1)
	v_trunc_f32_e32 v1, v1
	v_mul_f32_e64 v3, 0x2f800000, |v1|
	v_ashrrev_i32_e32 v36, 31, v1
	s_delay_alu instid0(VALU_DEP_2) | instskip(NEXT) | instid1(VALU_DEP_2)
	v_floor_f32_e32 v3, v3
	v_mov_b32_e32 v37, v36
	s_delay_alu instid0(VALU_DEP_2) | instskip(SKIP_1) | instid1(VALU_DEP_2)
	v_fma_f32 v5, 0xcf800000, v3, |v1|
	v_cvt_u32_f32_e32 v1, v3
	v_cvt_u32_f32_e32 v3, v5
	s_delay_alu instid0(VALU_DEP_2) | instskip(NEXT) | instid1(VALU_DEP_2)
	v_xor_b32_e32 v45, v1, v36
	v_xor_b32_e32 v44, v3, v36
	s_delay_alu instid0(VALU_DEP_1)
	v_sub_nc_u64_e32 v[36:37], v[44:45], v[36:37]
	s_branch .LBB63_4047
.LBB63_4037:
	s_mov_b32 s0, -1
	s_mov_b32 s9, 0
                                        ; implicit-def: $vgpr36_vgpr37
	s_branch .LBB63_4109
.LBB63_4038:
	s_mov_b32 s22, -1
	s_mov_b32 s9, 0
	s_mov_b32 s0, 0
                                        ; implicit-def: $vgpr36_vgpr37
	s_branch .LBB63_4074
.LBB63_4039:
	s_mov_b32 s22, -1
	s_mov_b32 s9, 0
	s_mov_b32 s0, 0
                                        ; implicit-def: $vgpr36_vgpr37
	s_branch .LBB63_4057
.LBB63_4040:
	s_mov_b32 s22, -1
	s_mov_b32 s9, 0
	s_mov_b32 s0, 0
                                        ; implicit-def: $vgpr36_vgpr37
	s_branch .LBB63_4052
.LBB63_4041:
	s_or_b32 s45, s45, exec_lo
	s_trap 2
	s_cbranch_execz .LBB63_3978
	s_branch .LBB63_3979
.LBB63_4042:
	s_mov_b32 s22, -1
	s_mov_b32 s9, 0
	s_mov_b32 s0, 0
	s_branch .LBB63_4046
.LBB63_4043:
	s_or_b32 s39, s33, exec_lo
	s_trap 2
                                        ; implicit-def: $vgpr6
                                        ; implicit-def: $vgpr34
                                        ; implicit-def: $vgpr32
                                        ; implicit-def: $vgpr38
                                        ; implicit-def: $vgpr36
                                        ; implicit-def: $vgpr4
                                        ; implicit-def: $vgpr40
                                        ; implicit-def: $vgpr24
                                        ; implicit-def: $vgpr22
                                        ; implicit-def: $vgpr28
                                        ; implicit-def: $vgpr26
                                        ; implicit-def: $vgpr2
                                        ; implicit-def: $vgpr30
                                        ; implicit-def: $vgpr14
                                        ; implicit-def: $vgpr10
                                        ; implicit-def: $vgpr18
                                        ; implicit-def: $vgpr16
                                        ; implicit-def: $vgpr0
                                        ; implicit-def: $vgpr20
                                        ; implicit-def: $vgpr8_vgpr9
                                        ; implicit-def: $vgpr12_vgpr13
                                        ; implicit-def: $vgpr46_vgpr47
                                        ; implicit-def: $vgpr44_vgpr45
                                        ; implicit-def: $vgpr48_vgpr49
	s_branch .LBB63_2644
.LBB63_4044:
	s_or_b32 exec_lo, exec_lo, s85
	s_branch .LBB63_522
.LBB63_4045:
	s_mov_b32 s0, -1
	s_mov_b32 s9, 0
.LBB63_4046:
                                        ; implicit-def: $vgpr36_vgpr37
.LBB63_4047:
	s_and_b32 vcc_lo, exec_lo, s22
	s_cbranch_vccz .LBB63_4051
; %bb.4048:
	s_cmp_eq_u32 s59, 44
	s_cbranch_scc0 .LBB63_4050
; %bb.4049:
	global_load_u8 v1, v[42:43], off
	s_mov_b32 s0, 0
	s_mov_b32 s9, -1
	s_wait_loadcnt 0x0
	v_lshlrev_b32_e32 v3, 23, v1
	v_cmp_ne_u32_e32 vcc_lo, 0, v1
	s_delay_alu instid0(VALU_DEP_2) | instskip(NEXT) | instid1(VALU_DEP_1)
	v_trunc_f32_e32 v3, v3
	v_mul_f32_e64 v5, 0x2f800000, |v3|
	v_ashrrev_i32_e32 v36, 31, v3
	s_delay_alu instid0(VALU_DEP_2) | instskip(NEXT) | instid1(VALU_DEP_2)
	v_floor_f32_e32 v5, v5
	v_mov_b32_e32 v37, v36
	s_delay_alu instid0(VALU_DEP_2) | instskip(SKIP_1) | instid1(VALU_DEP_2)
	v_fma_f32 v7, 0xcf800000, v5, |v3|
	v_cvt_u32_f32_e32 v3, v5
	v_cvt_u32_f32_e32 v5, v7
	s_delay_alu instid0(VALU_DEP_2) | instskip(NEXT) | instid1(VALU_DEP_2)
	v_xor_b32_e32 v45, v3, v36
	v_xor_b32_e32 v44, v5, v36
	s_delay_alu instid0(VALU_DEP_1) | instskip(NEXT) | instid1(VALU_DEP_1)
	v_sub_nc_u64_e32 v[36:37], v[44:45], v[36:37]
	v_dual_cndmask_b32 v37, 0, v37 :: v_dual_cndmask_b32 v36, 0, v36
	s_branch .LBB63_4051
.LBB63_4050:
	s_mov_b32 s0, -1
                                        ; implicit-def: $vgpr36_vgpr37
.LBB63_4051:
	s_mov_b32 s22, 0
.LBB63_4052:
	s_delay_alu instid0(SALU_CYCLE_1)
	s_and_b32 vcc_lo, exec_lo, s22
	s_cbranch_vccz .LBB63_4056
; %bb.4053:
	s_cmp_eq_u32 s59, 29
	s_cbranch_scc0 .LBB63_4055
; %bb.4054:
	global_load_b64 v[36:37], v[42:43], off
	s_mov_b32 s0, 0
	s_mov_b32 s9, -1
	s_branch .LBB63_4056
.LBB63_4055:
	s_mov_b32 s0, -1
                                        ; implicit-def: $vgpr36_vgpr37
.LBB63_4056:
	s_mov_b32 s22, 0
.LBB63_4057:
	s_delay_alu instid0(SALU_CYCLE_1)
	s_and_b32 vcc_lo, exec_lo, s22
	s_cbranch_vccz .LBB63_4073
; %bb.4058:
	s_cmp_lt_i32 s59, 27
	s_cbranch_scc1 .LBB63_4061
; %bb.4059:
	s_cmp_gt_i32 s59, 27
	s_cbranch_scc0 .LBB63_4062
; %bb.4060:
	s_wait_loadcnt 0x0
	global_load_b32 v36, v[42:43], off
	v_mov_b32_e32 v37, 0
	s_mov_b32 s9, 0
	s_branch .LBB63_4063
.LBB63_4061:
	s_mov_b32 s9, -1
                                        ; implicit-def: $vgpr36_vgpr37
	s_branch .LBB63_4066
.LBB63_4062:
	s_mov_b32 s9, -1
                                        ; implicit-def: $vgpr36_vgpr37
.LBB63_4063:
	s_delay_alu instid0(SALU_CYCLE_1)
	s_and_not1_b32 vcc_lo, exec_lo, s9
	s_cbranch_vccnz .LBB63_4065
; %bb.4064:
	global_load_u16 v1, v[42:43], off
	s_mov_b32 s9, 0
	s_wait_loadcnt 0x1
	v_mov_b32_e32 v37, s9
	s_wait_loadcnt 0x0
	v_and_b32_e32 v36, 0xffff, v1
.LBB63_4065:
	s_mov_b32 s9, 0
.LBB63_4066:
	s_delay_alu instid0(SALU_CYCLE_1)
	s_and_not1_b32 vcc_lo, exec_lo, s9
	s_cbranch_vccnz .LBB63_4072
; %bb.4067:
	global_load_u8 v1, v[42:43], off
	s_mov_b32 s22, 0
	s_mov_b32 s9, exec_lo
	s_wait_loadcnt 0x0
	v_cmpx_lt_i16_e32 0x7f, v1
	s_xor_b32 s9, exec_lo, s9
	s_cbranch_execz .LBB63_4084
; %bb.4068:
	v_cmp_ne_u16_e32 vcc_lo, 0x80, v1
	s_and_b32 s22, vcc_lo, exec_lo
	s_and_not1_saveexec_b32 s9, s9
	s_cbranch_execnz .LBB63_4085
.LBB63_4069:
	s_or_b32 exec_lo, exec_lo, s9
	v_mov_b64_e32 v[36:37], 0
	s_and_saveexec_b32 s9, s22
	s_cbranch_execz .LBB63_4071
.LBB63_4070:
	v_and_b32_e32 v3, 0xffff, v1
	s_delay_alu instid0(VALU_DEP_1) | instskip(SKIP_1) | instid1(VALU_DEP_2)
	v_dual_lshlrev_b32 v1, 24, v1 :: v_dual_bitop2_b32 v5, 7, v3 bitop3:0x40
	v_bfe_u32 v15, v3, 3, 4
	v_and_b32_e32 v1, 0x80000000, v1
	s_delay_alu instid0(VALU_DEP_3) | instskip(NEXT) | instid1(VALU_DEP_3)
	v_clz_i32_u32_e32 v7, v5
	v_cmp_eq_u32_e32 vcc_lo, 0, v15
	s_delay_alu instid0(VALU_DEP_2) | instskip(NEXT) | instid1(VALU_DEP_1)
	v_min_u32_e32 v7, 32, v7
	v_subrev_nc_u32_e32 v11, 28, v7
	v_sub_nc_u32_e32 v7, 29, v7
	s_delay_alu instid0(VALU_DEP_2) | instskip(NEXT) | instid1(VALU_DEP_2)
	v_lshlrev_b32_e32 v3, v11, v3
	v_cndmask_b32_e32 v7, v15, v7, vcc_lo
	s_delay_alu instid0(VALU_DEP_2) | instskip(NEXT) | instid1(VALU_DEP_1)
	v_and_b32_e32 v3, 7, v3
	v_cndmask_b32_e32 v3, v5, v3, vcc_lo
	s_delay_alu instid0(VALU_DEP_3) | instskip(NEXT) | instid1(VALU_DEP_2)
	v_lshl_add_u32 v5, v7, 23, 0x3b800000
	v_lshlrev_b32_e32 v3, 20, v3
	s_delay_alu instid0(VALU_DEP_1) | instskip(NEXT) | instid1(VALU_DEP_1)
	v_or3_b32 v1, v1, v5, v3
	v_trunc_f32_e32 v1, v1
	s_delay_alu instid0(VALU_DEP_1) | instskip(SKIP_1) | instid1(VALU_DEP_2)
	v_mul_f32_e64 v3, 0x2f800000, |v1|
	v_ashrrev_i32_e32 v36, 31, v1
	v_floor_f32_e32 v3, v3
	s_delay_alu instid0(VALU_DEP_2) | instskip(NEXT) | instid1(VALU_DEP_2)
	v_mov_b32_e32 v37, v36
	v_fma_f32 v5, 0xcf800000, v3, |v1|
	v_cvt_u32_f32_e32 v1, v3
	s_delay_alu instid0(VALU_DEP_2) | instskip(NEXT) | instid1(VALU_DEP_2)
	v_cvt_u32_f32_e32 v3, v5
	v_xor_b32_e32 v45, v1, v36
	s_delay_alu instid0(VALU_DEP_2) | instskip(NEXT) | instid1(VALU_DEP_1)
	v_xor_b32_e32 v44, v3, v36
	v_sub_nc_u64_e32 v[36:37], v[44:45], v[36:37]
.LBB63_4071:
	s_or_b32 exec_lo, exec_lo, s9
.LBB63_4072:
	s_mov_b32 s9, -1
.LBB63_4073:
	s_mov_b32 s22, 0
.LBB63_4074:
	s_delay_alu instid0(SALU_CYCLE_1)
	s_and_b32 vcc_lo, exec_lo, s22
	s_cbranch_vccz .LBB63_4105
; %bb.4075:
	s_cmp_gt_i32 s59, 22
	s_cbranch_scc0 .LBB63_4083
; %bb.4076:
	s_cmp_lt_i32 s59, 24
	s_cbranch_scc1 .LBB63_4086
; %bb.4077:
	s_cmp_gt_i32 s59, 24
	s_cbranch_scc0 .LBB63_4087
; %bb.4078:
	global_load_u8 v1, v[42:43], off
	s_mov_b32 s9, 0
	s_mov_b32 s1, exec_lo
	s_wait_loadcnt 0x0
	v_cmpx_lt_i16_e32 0x7f, v1
	s_xor_b32 s1, exec_lo, s1
	s_cbranch_execz .LBB63_4099
; %bb.4079:
	v_cmp_ne_u16_e32 vcc_lo, 0x80, v1
	s_and_b32 s9, vcc_lo, exec_lo
	s_and_not1_saveexec_b32 s1, s1
	s_cbranch_execnz .LBB63_4100
.LBB63_4080:
	s_or_b32 exec_lo, exec_lo, s1
	v_mov_b64_e32 v[36:37], 0
	s_and_saveexec_b32 s1, s9
	s_cbranch_execz .LBB63_4082
.LBB63_4081:
	v_and_b32_e32 v3, 0xffff, v1
	s_delay_alu instid0(VALU_DEP_1) | instskip(SKIP_1) | instid1(VALU_DEP_2)
	v_dual_lshlrev_b32 v1, 24, v1 :: v_dual_bitop2_b32 v5, 3, v3 bitop3:0x40
	v_bfe_u32 v15, v3, 2, 5
	v_and_b32_e32 v1, 0x80000000, v1
	s_delay_alu instid0(VALU_DEP_3) | instskip(NEXT) | instid1(VALU_DEP_3)
	v_clz_i32_u32_e32 v7, v5
	v_cmp_eq_u32_e32 vcc_lo, 0, v15
	s_delay_alu instid0(VALU_DEP_2) | instskip(NEXT) | instid1(VALU_DEP_1)
	v_min_u32_e32 v7, 32, v7
	v_subrev_nc_u32_e32 v11, 29, v7
	v_sub_nc_u32_e32 v7, 30, v7
	s_delay_alu instid0(VALU_DEP_2) | instskip(NEXT) | instid1(VALU_DEP_2)
	v_lshlrev_b32_e32 v3, v11, v3
	v_cndmask_b32_e32 v7, v15, v7, vcc_lo
	s_delay_alu instid0(VALU_DEP_2) | instskip(NEXT) | instid1(VALU_DEP_1)
	v_and_b32_e32 v3, 3, v3
	v_cndmask_b32_e32 v3, v5, v3, vcc_lo
	s_delay_alu instid0(VALU_DEP_3) | instskip(NEXT) | instid1(VALU_DEP_2)
	v_lshl_add_u32 v5, v7, 23, 0x37800000
	v_lshlrev_b32_e32 v3, 21, v3
	s_delay_alu instid0(VALU_DEP_1) | instskip(NEXT) | instid1(VALU_DEP_1)
	v_or3_b32 v1, v1, v5, v3
	v_trunc_f32_e32 v1, v1
	s_delay_alu instid0(VALU_DEP_1) | instskip(SKIP_1) | instid1(VALU_DEP_2)
	v_mul_f32_e64 v3, 0x2f800000, |v1|
	v_ashrrev_i32_e32 v36, 31, v1
	v_floor_f32_e32 v3, v3
	s_delay_alu instid0(VALU_DEP_2) | instskip(NEXT) | instid1(VALU_DEP_2)
	v_mov_b32_e32 v37, v36
	v_fma_f32 v5, 0xcf800000, v3, |v1|
	v_cvt_u32_f32_e32 v1, v3
	s_delay_alu instid0(VALU_DEP_2) | instskip(NEXT) | instid1(VALU_DEP_2)
	v_cvt_u32_f32_e32 v3, v5
	v_xor_b32_e32 v45, v1, v36
	s_delay_alu instid0(VALU_DEP_2) | instskip(NEXT) | instid1(VALU_DEP_1)
	v_xor_b32_e32 v44, v3, v36
	v_sub_nc_u64_e32 v[36:37], v[44:45], v[36:37]
.LBB63_4082:
	s_or_b32 exec_lo, exec_lo, s1
	s_mov_b32 s1, 0
	s_branch .LBB63_4088
.LBB63_4083:
	s_mov_b32 s1, -1
                                        ; implicit-def: $vgpr36_vgpr37
	s_branch .LBB63_4094
.LBB63_4084:
	s_and_not1_saveexec_b32 s9, s9
	s_cbranch_execz .LBB63_4069
.LBB63_4085:
	v_cmp_ne_u16_e32 vcc_lo, 0, v1
	s_and_not1_b32 s22, s22, exec_lo
	s_and_b32 s23, vcc_lo, exec_lo
	s_delay_alu instid0(SALU_CYCLE_1)
	s_or_b32 s22, s22, s23
	s_or_b32 exec_lo, exec_lo, s9
	v_mov_b64_e32 v[36:37], 0
	s_and_saveexec_b32 s9, s22
	s_cbranch_execnz .LBB63_4070
	s_branch .LBB63_4071
.LBB63_4086:
	s_mov_b32 s1, -1
                                        ; implicit-def: $vgpr36_vgpr37
	s_branch .LBB63_4091
.LBB63_4087:
	s_mov_b32 s1, -1
                                        ; implicit-def: $vgpr36_vgpr37
.LBB63_4088:
	s_delay_alu instid0(SALU_CYCLE_1)
	s_and_b32 vcc_lo, exec_lo, s1
	s_cbranch_vccz .LBB63_4090
; %bb.4089:
	global_load_u8 v1, v[42:43], off
	s_wait_loadcnt 0x0
	v_lshlrev_b32_e32 v1, 24, v1
	s_delay_alu instid0(VALU_DEP_1) | instskip(NEXT) | instid1(VALU_DEP_1)
	v_and_b32_e32 v3, 0x7f000000, v1
	v_clz_i32_u32_e32 v5, v3
	v_add_nc_u32_e32 v11, 0x1000000, v3
	v_cmp_ne_u32_e32 vcc_lo, 0, v3
	s_delay_alu instid0(VALU_DEP_3) | instskip(NEXT) | instid1(VALU_DEP_1)
	v_min_u32_e32 v5, 32, v5
	v_sub_nc_u32_e64 v5, v5, 4 clamp
	s_delay_alu instid0(VALU_DEP_1) | instskip(NEXT) | instid1(VALU_DEP_1)
	v_dual_lshlrev_b32 v7, v5, v3 :: v_dual_lshlrev_b32 v5, 23, v5
	v_lshrrev_b32_e32 v7, 4, v7
	s_delay_alu instid0(VALU_DEP_1) | instskip(NEXT) | instid1(VALU_DEP_1)
	v_dual_sub_nc_u32 v5, v7, v5 :: v_dual_ashrrev_i32 v7, 8, v11
	v_add_nc_u32_e32 v5, 0x3c000000, v5
	s_delay_alu instid0(VALU_DEP_1) | instskip(NEXT) | instid1(VALU_DEP_1)
	v_and_or_b32 v5, 0x7f800000, v7, v5
	v_cndmask_b32_e32 v3, 0, v5, vcc_lo
	s_delay_alu instid0(VALU_DEP_1) | instskip(NEXT) | instid1(VALU_DEP_1)
	v_and_or_b32 v1, 0x80000000, v1, v3
	v_trunc_f32_e32 v1, v1
	s_delay_alu instid0(VALU_DEP_1) | instskip(SKIP_1) | instid1(VALU_DEP_2)
	v_mul_f32_e64 v3, 0x2f800000, |v1|
	v_ashrrev_i32_e32 v36, 31, v1
	v_floor_f32_e32 v3, v3
	s_delay_alu instid0(VALU_DEP_2) | instskip(NEXT) | instid1(VALU_DEP_2)
	v_mov_b32_e32 v37, v36
	v_fma_f32 v5, 0xcf800000, v3, |v1|
	v_cvt_u32_f32_e32 v1, v3
	s_delay_alu instid0(VALU_DEP_2) | instskip(NEXT) | instid1(VALU_DEP_2)
	v_cvt_u32_f32_e32 v3, v5
	v_xor_b32_e32 v45, v1, v36
	s_delay_alu instid0(VALU_DEP_2) | instskip(NEXT) | instid1(VALU_DEP_1)
	v_xor_b32_e32 v44, v3, v36
	v_sub_nc_u64_e32 v[36:37], v[44:45], v[36:37]
.LBB63_4090:
	s_mov_b32 s1, 0
.LBB63_4091:
	s_delay_alu instid0(SALU_CYCLE_1)
	s_and_not1_b32 vcc_lo, exec_lo, s1
	s_cbranch_vccnz .LBB63_4093
; %bb.4092:
	global_load_u8 v1, v[42:43], off
	s_wait_loadcnt 0x0
	v_lshlrev_b32_e32 v3, 25, v1
	v_lshlrev_b16 v1, 8, v1
	s_delay_alu instid0(VALU_DEP_1) | instskip(SKIP_1) | instid1(VALU_DEP_2)
	v_and_or_b32 v7, 0x7f00, v1, 0.5
	v_bfe_i32 v1, v1, 0, 16
	v_add_f32_e32 v7, -0.5, v7
	v_lshrrev_b32_e32 v5, 4, v3
	v_cmp_gt_u32_e32 vcc_lo, 0x8000000, v3
	s_delay_alu instid0(VALU_DEP_2) | instskip(NEXT) | instid1(VALU_DEP_1)
	v_or_b32_e32 v5, 0x70000000, v5
	v_mul_f32_e32 v5, 0x7800000, v5
	s_delay_alu instid0(VALU_DEP_1) | instskip(NEXT) | instid1(VALU_DEP_1)
	v_cndmask_b32_e32 v3, v5, v7, vcc_lo
	v_and_or_b32 v1, 0x80000000, v1, v3
	s_delay_alu instid0(VALU_DEP_1) | instskip(NEXT) | instid1(VALU_DEP_1)
	v_trunc_f32_e32 v1, v1
	v_mul_f32_e64 v3, 0x2f800000, |v1|
	v_ashrrev_i32_e32 v36, 31, v1
	s_delay_alu instid0(VALU_DEP_2) | instskip(NEXT) | instid1(VALU_DEP_2)
	v_floor_f32_e32 v3, v3
	v_mov_b32_e32 v37, v36
	s_delay_alu instid0(VALU_DEP_2) | instskip(SKIP_1) | instid1(VALU_DEP_2)
	v_fma_f32 v5, 0xcf800000, v3, |v1|
	v_cvt_u32_f32_e32 v1, v3
	v_cvt_u32_f32_e32 v3, v5
	s_delay_alu instid0(VALU_DEP_2) | instskip(NEXT) | instid1(VALU_DEP_2)
	v_xor_b32_e32 v45, v1, v36
	v_xor_b32_e32 v44, v3, v36
	s_delay_alu instid0(VALU_DEP_1)
	v_sub_nc_u64_e32 v[36:37], v[44:45], v[36:37]
.LBB63_4093:
	s_mov_b32 s1, 0
	s_mov_b32 s9, -1
.LBB63_4094:
	s_and_not1_b32 vcc_lo, exec_lo, s1
	s_mov_b32 s1, 0
	s_cbranch_vccnz .LBB63_4105
; %bb.4095:
	s_cmp_gt_i32 s59, 14
	s_cbranch_scc0 .LBB63_4098
; %bb.4096:
	s_cmp_eq_u32 s59, 15
	s_cbranch_scc0 .LBB63_4101
; %bb.4097:
	global_load_u16 v1, v[42:43], off
	s_mov_b32 s0, 0
	s_mov_b32 s9, -1
	s_wait_loadcnt 0x0
	v_lshlrev_b32_e32 v1, 16, v1
	s_delay_alu instid0(VALU_DEP_1) | instskip(NEXT) | instid1(VALU_DEP_1)
	v_trunc_f32_e32 v1, v1
	v_mul_f32_e64 v3, 0x2f800000, |v1|
	v_ashrrev_i32_e32 v36, 31, v1
	s_delay_alu instid0(VALU_DEP_2) | instskip(NEXT) | instid1(VALU_DEP_2)
	v_floor_f32_e32 v3, v3
	v_mov_b32_e32 v37, v36
	s_delay_alu instid0(VALU_DEP_2) | instskip(SKIP_1) | instid1(VALU_DEP_2)
	v_fma_f32 v5, 0xcf800000, v3, |v1|
	v_cvt_u32_f32_e32 v1, v3
	v_cvt_u32_f32_e32 v3, v5
	s_delay_alu instid0(VALU_DEP_2) | instskip(NEXT) | instid1(VALU_DEP_2)
	v_xor_b32_e32 v45, v1, v36
	v_xor_b32_e32 v44, v3, v36
	s_delay_alu instid0(VALU_DEP_1)
	v_sub_nc_u64_e32 v[36:37], v[44:45], v[36:37]
	s_branch .LBB63_4103
.LBB63_4098:
	s_mov_b32 s1, -1
	s_branch .LBB63_4102
.LBB63_4099:
	s_and_not1_saveexec_b32 s1, s1
	s_cbranch_execz .LBB63_4080
.LBB63_4100:
	v_cmp_ne_u16_e32 vcc_lo, 0, v1
	s_and_not1_b32 s9, s9, exec_lo
	s_and_b32 s22, vcc_lo, exec_lo
	s_delay_alu instid0(SALU_CYCLE_1)
	s_or_b32 s9, s9, s22
	s_or_b32 exec_lo, exec_lo, s1
	v_mov_b64_e32 v[36:37], 0
	s_and_saveexec_b32 s1, s9
	s_cbranch_execnz .LBB63_4081
	s_branch .LBB63_4082
.LBB63_4101:
	s_mov_b32 s0, -1
.LBB63_4102:
                                        ; implicit-def: $vgpr36_vgpr37
.LBB63_4103:
	s_and_b32 vcc_lo, exec_lo, s1
	s_mov_b32 s1, 0
	s_cbranch_vccz .LBB63_4105
; %bb.4104:
	s_cmp_lg_u32 s59, 11
	s_mov_b32 s1, -1
	s_cselect_b32 s0, -1, 0
.LBB63_4105:
	s_delay_alu instid0(SALU_CYCLE_1)
	s_and_b32 vcc_lo, exec_lo, s0
	s_cbranch_vccnz .LBB63_4170
; %bb.4106:
	s_and_not1_b32 vcc_lo, exec_lo, s1
	s_cbranch_vccnz .LBB63_4108
.LBB63_4107:
	global_load_u8 v1, v[42:43], off
	s_mov_b32 s0, 0
	s_mov_b32 s9, -1
	s_wait_loadcnt 0x1
	v_mov_b32_e32 v37, s0
	s_wait_loadcnt 0x0
	v_cmp_ne_u16_e32 vcc_lo, 0, v1
	v_cndmask_b32_e64 v36, 0, 1, vcc_lo
.LBB63_4108:
	s_mov_b32 s0, 0
.LBB63_4109:
	s_delay_alu instid0(SALU_CYCLE_1)
	s_and_b32 vcc_lo, exec_lo, s0
	s_cbranch_vccz .LBB63_4158
; %bb.4110:
	s_cmp_lt_i32 s59, 5
	s_cbranch_scc1 .LBB63_4115
; %bb.4111:
	s_cmp_lt_i32 s59, 8
	s_cbranch_scc1 .LBB63_4116
	;; [unrolled: 3-line block ×3, first 2 shown]
; %bb.4113:
	s_cmp_gt_i32 s59, 9
	s_cbranch_scc0 .LBB63_4118
; %bb.4114:
	s_wait_loadcnt 0x0
	global_load_b64 v[36:37], v[42:43], off
	s_mov_b32 s0, 0
	s_wait_loadcnt 0x0
	v_trunc_f64_e32 v[36:37], v[36:37]
	s_delay_alu instid0(VALU_DEP_1) | instskip(NEXT) | instid1(VALU_DEP_1)
	v_ldexp_f64 v[44:45], v[36:37], 0xffffffe0
	v_floor_f64_e32 v[44:45], v[44:45]
	s_delay_alu instid0(VALU_DEP_1) | instskip(SKIP_1) | instid1(VALU_DEP_2)
	v_fmamk_f64 v[46:47], v[44:45], 0xc1f00000, v[36:37]
	v_cvt_i32_f64_e32 v37, v[44:45]
	v_cvt_u32_f64_e32 v36, v[46:47]
	s_branch .LBB63_4119
.LBB63_4115:
	s_mov_b32 s0, -1
                                        ; implicit-def: $vgpr36_vgpr37
	s_branch .LBB63_4137
.LBB63_4116:
	s_mov_b32 s0, -1
                                        ; implicit-def: $vgpr36_vgpr37
	s_branch .LBB63_4125
.LBB63_4117:
	s_mov_b32 s0, -1
                                        ; implicit-def: $vgpr36_vgpr37
	s_branch .LBB63_4122
.LBB63_4118:
	s_mov_b32 s0, -1
                                        ; implicit-def: $vgpr36_vgpr37
.LBB63_4119:
	s_delay_alu instid0(SALU_CYCLE_1)
	s_and_not1_b32 vcc_lo, exec_lo, s0
	s_cbranch_vccnz .LBB63_4121
; %bb.4120:
	global_load_b32 v1, v[42:43], off
	s_wait_loadcnt 0x0
	v_trunc_f32_e32 v1, v1
	s_delay_alu instid0(VALU_DEP_1) | instskip(SKIP_1) | instid1(VALU_DEP_2)
	v_mul_f32_e64 v3, 0x2f800000, |v1|
	v_ashrrev_i32_e32 v36, 31, v1
	v_floor_f32_e32 v3, v3
	s_delay_alu instid0(VALU_DEP_1) | instskip(SKIP_1) | instid1(VALU_DEP_4)
	v_fma_f32 v5, 0xcf800000, v3, |v1|
	v_cvt_u32_f32_e32 v1, v3
	v_mov_b32_e32 v37, v36
	s_delay_alu instid0(VALU_DEP_3) | instskip(NEXT) | instid1(VALU_DEP_3)
	v_cvt_u32_f32_e32 v3, v5
	v_xor_b32_e32 v45, v1, v36
	s_delay_alu instid0(VALU_DEP_2) | instskip(NEXT) | instid1(VALU_DEP_1)
	v_xor_b32_e32 v44, v3, v36
	v_sub_nc_u64_e32 v[36:37], v[44:45], v[36:37]
.LBB63_4121:
	s_mov_b32 s0, 0
.LBB63_4122:
	s_delay_alu instid0(SALU_CYCLE_1)
	s_and_not1_b32 vcc_lo, exec_lo, s0
	s_cbranch_vccnz .LBB63_4124
; %bb.4123:
	global_load_b32 v1, v[42:43], off
	s_wait_loadcnt 0x0
	v_cvt_f32_f16_e32 v1, v1
	s_delay_alu instid0(VALU_DEP_1) | instskip(NEXT) | instid1(VALU_DEP_1)
	v_cvt_i32_f32_e32 v36, v1
	v_ashrrev_i32_e32 v37, 31, v36
.LBB63_4124:
	s_mov_b32 s0, 0
.LBB63_4125:
	s_delay_alu instid0(SALU_CYCLE_1)
	s_and_not1_b32 vcc_lo, exec_lo, s0
	s_cbranch_vccnz .LBB63_4136
; %bb.4126:
	s_cmp_lt_i32 s59, 6
	s_cbranch_scc1 .LBB63_4129
; %bb.4127:
	s_cmp_gt_i32 s59, 6
	s_cbranch_scc0 .LBB63_4130
; %bb.4128:
	s_wait_loadcnt 0x0
	global_load_b64 v[36:37], v[42:43], off
	s_mov_b32 s0, 0
	s_wait_loadcnt 0x0
	v_trunc_f64_e32 v[36:37], v[36:37]
	s_delay_alu instid0(VALU_DEP_1) | instskip(NEXT) | instid1(VALU_DEP_1)
	v_ldexp_f64 v[44:45], v[36:37], 0xffffffe0
	v_floor_f64_e32 v[44:45], v[44:45]
	s_delay_alu instid0(VALU_DEP_1) | instskip(SKIP_1) | instid1(VALU_DEP_2)
	v_fmamk_f64 v[46:47], v[44:45], 0xc1f00000, v[36:37]
	v_cvt_i32_f64_e32 v37, v[44:45]
	v_cvt_u32_f64_e32 v36, v[46:47]
	s_branch .LBB63_4131
.LBB63_4129:
	s_mov_b32 s0, -1
                                        ; implicit-def: $vgpr36_vgpr37
	s_branch .LBB63_4134
.LBB63_4130:
	s_mov_b32 s0, -1
                                        ; implicit-def: $vgpr36_vgpr37
.LBB63_4131:
	s_delay_alu instid0(SALU_CYCLE_1)
	s_and_not1_b32 vcc_lo, exec_lo, s0
	s_cbranch_vccnz .LBB63_4133
; %bb.4132:
	global_load_b32 v1, v[42:43], off
	s_wait_loadcnt 0x0
	v_trunc_f32_e32 v1, v1
	s_delay_alu instid0(VALU_DEP_1) | instskip(SKIP_1) | instid1(VALU_DEP_2)
	v_mul_f32_e64 v3, 0x2f800000, |v1|
	v_ashrrev_i32_e32 v36, 31, v1
	v_floor_f32_e32 v3, v3
	s_delay_alu instid0(VALU_DEP_1) | instskip(SKIP_1) | instid1(VALU_DEP_4)
	v_fma_f32 v5, 0xcf800000, v3, |v1|
	v_cvt_u32_f32_e32 v1, v3
	v_mov_b32_e32 v37, v36
	s_delay_alu instid0(VALU_DEP_3) | instskip(NEXT) | instid1(VALU_DEP_3)
	v_cvt_u32_f32_e32 v3, v5
	v_xor_b32_e32 v45, v1, v36
	s_delay_alu instid0(VALU_DEP_2) | instskip(NEXT) | instid1(VALU_DEP_1)
	v_xor_b32_e32 v44, v3, v36
	v_sub_nc_u64_e32 v[36:37], v[44:45], v[36:37]
.LBB63_4133:
	s_mov_b32 s0, 0
.LBB63_4134:
	s_delay_alu instid0(SALU_CYCLE_1)
	s_and_not1_b32 vcc_lo, exec_lo, s0
	s_cbranch_vccnz .LBB63_4136
; %bb.4135:
	global_load_u16 v1, v[42:43], off
	s_wait_loadcnt 0x0
	v_cvt_f32_f16_e32 v1, v1
	s_delay_alu instid0(VALU_DEP_1) | instskip(NEXT) | instid1(VALU_DEP_1)
	v_cvt_i32_f32_e32 v36, v1
	v_ashrrev_i32_e32 v37, 31, v36
.LBB63_4136:
	s_mov_b32 s0, 0
.LBB63_4137:
	s_delay_alu instid0(SALU_CYCLE_1)
	s_and_not1_b32 vcc_lo, exec_lo, s0
	s_cbranch_vccnz .LBB63_4157
; %bb.4138:
	s_cmp_lt_i32 s59, 2
	s_cbranch_scc1 .LBB63_4142
; %bb.4139:
	s_cmp_lt_i32 s59, 3
	s_cbranch_scc1 .LBB63_4143
; %bb.4140:
	s_cmp_gt_i32 s59, 3
	s_cbranch_scc0 .LBB63_4144
; %bb.4141:
	s_wait_loadcnt 0x0
	global_load_b64 v[36:37], v[42:43], off
	s_mov_b32 s0, 0
	s_branch .LBB63_4145
.LBB63_4142:
	s_mov_b32 s0, -1
                                        ; implicit-def: $vgpr36_vgpr37
	s_branch .LBB63_4151
.LBB63_4143:
	s_mov_b32 s0, -1
                                        ; implicit-def: $vgpr36_vgpr37
	s_branch .LBB63_4148
.LBB63_4144:
	s_mov_b32 s0, -1
                                        ; implicit-def: $vgpr36_vgpr37
.LBB63_4145:
	s_delay_alu instid0(SALU_CYCLE_1)
	s_and_not1_b32 vcc_lo, exec_lo, s0
	s_cbranch_vccnz .LBB63_4147
; %bb.4146:
	s_wait_loadcnt 0x0
	global_load_b32 v36, v[42:43], off
	s_wait_loadcnt 0x0
	v_ashrrev_i32_e32 v37, 31, v36
.LBB63_4147:
	s_mov_b32 s0, 0
.LBB63_4148:
	s_delay_alu instid0(SALU_CYCLE_1)
	s_and_not1_b32 vcc_lo, exec_lo, s0
	s_cbranch_vccnz .LBB63_4150
; %bb.4149:
	global_load_u16 v1, v[42:43], off
	s_wait_loadcnt 0x0
	v_bfe_i32 v36, v1, 0, 16
	s_delay_alu instid0(VALU_DEP_1)
	v_ashrrev_i32_e32 v37, 31, v36
.LBB63_4150:
	s_mov_b32 s0, 0
.LBB63_4151:
	s_delay_alu instid0(SALU_CYCLE_1)
	s_and_not1_b32 vcc_lo, exec_lo, s0
	s_cbranch_vccnz .LBB63_4157
; %bb.4152:
	s_cmp_gt_i32 s59, 0
	s_mov_b32 s0, 0
	s_cbranch_scc0 .LBB63_4154
; %bb.4153:
	global_load_i8 v1, v[42:43], off
	s_wait_loadcnt 0x0
	v_bfe_i32 v36, v1, 0, 16
	s_delay_alu instid0(VALU_DEP_1)
	v_ashrrev_i32_e32 v37, 31, v36
	s_branch .LBB63_4155
.LBB63_4154:
	s_mov_b32 s0, -1
                                        ; implicit-def: $vgpr36_vgpr37
.LBB63_4155:
	s_delay_alu instid0(SALU_CYCLE_1)
	s_and_not1_b32 vcc_lo, exec_lo, s0
	s_cbranch_vccnz .LBB63_4157
; %bb.4156:
	global_load_u8 v1, v[42:43], off
	s_mov_b32 s0, 0
	s_wait_loadcnt 0x1
	v_mov_b32_e32 v37, s0
	s_wait_loadcnt 0x0
	v_and_b32_e32 v36, 0xffff, v1
.LBB63_4157:
	s_mov_b32 s9, -1
.LBB63_4158:
	s_delay_alu instid0(SALU_CYCLE_1)
	s_and_not1_b32 vcc_lo, exec_lo, s9
	s_cbranch_vccnz .LBB63_4424
; %bb.4159:
	v_mov_b32_e32 v35, 0
	s_and_b32 s60, 0xffff, s50
	s_delay_alu instid0(SALU_CYCLE_1) | instskip(SKIP_1) | instid1(VALU_DEP_1)
	s_cmp_lt_i32 s60, 11
	s_wait_xcnt 0x0
	v_add_nc_u64_e32 v[42:43], s[14:15], v[34:35]
	s_cbranch_scc1 .LBB63_4166
; %bb.4160:
	s_cmp_gt_i32 s60, 25
	s_mov_b32 s1, 0
	s_cbranch_scc0 .LBB63_4167
; %bb.4161:
	s_cmp_gt_i32 s60, 28
	s_cbranch_scc0 .LBB63_4168
; %bb.4162:
	s_cmp_gt_i32 s60, 43
	;; [unrolled: 3-line block ×3, first 2 shown]
	s_cbranch_scc0 .LBB63_4171
; %bb.4164:
	s_cmp_eq_u32 s60, 46
	s_mov_b32 s22, 0
	s_cbranch_scc0 .LBB63_4174
; %bb.4165:
	global_load_b32 v1, v[42:43], off
	s_mov_b32 s0, 0
	s_mov_b32 s9, -1
	s_wait_loadcnt 0x0
	v_lshlrev_b32_e32 v1, 16, v1
	s_delay_alu instid0(VALU_DEP_1) | instskip(NEXT) | instid1(VALU_DEP_1)
	v_trunc_f32_e32 v1, v1
	v_mul_f32_e64 v3, 0x2f800000, |v1|
	v_ashrrev_i32_e32 v34, 31, v1
	s_delay_alu instid0(VALU_DEP_2) | instskip(NEXT) | instid1(VALU_DEP_2)
	v_floor_f32_e32 v3, v3
	v_mov_b32_e32 v35, v34
	s_delay_alu instid0(VALU_DEP_2) | instskip(SKIP_1) | instid1(VALU_DEP_2)
	v_fma_f32 v5, 0xcf800000, v3, |v1|
	v_cvt_u32_f32_e32 v1, v3
	v_cvt_u32_f32_e32 v3, v5
	s_delay_alu instid0(VALU_DEP_2) | instskip(NEXT) | instid1(VALU_DEP_2)
	v_xor_b32_e32 v45, v1, v34
	v_xor_b32_e32 v44, v3, v34
	s_delay_alu instid0(VALU_DEP_1)
	v_sub_nc_u64_e32 v[34:35], v[44:45], v[34:35]
	s_branch .LBB63_4176
.LBB63_4166:
	s_mov_b32 s0, -1
	s_mov_b32 s9, 0
                                        ; implicit-def: $vgpr34_vgpr35
	s_branch .LBB63_4238
.LBB63_4167:
	s_mov_b32 s22, -1
	s_mov_b32 s9, 0
	s_mov_b32 s0, 0
                                        ; implicit-def: $vgpr34_vgpr35
	s_branch .LBB63_4203
.LBB63_4168:
	s_mov_b32 s22, -1
	s_mov_b32 s9, 0
	s_mov_b32 s0, 0
                                        ; implicit-def: $vgpr34_vgpr35
	s_branch .LBB63_4186
.LBB63_4169:
	s_mov_b32 s22, -1
	s_mov_b32 s9, 0
	s_mov_b32 s0, 0
                                        ; implicit-def: $vgpr34_vgpr35
	s_branch .LBB63_4181
.LBB63_4170:
	s_or_b32 s45, s45, exec_lo
	s_trap 2
	s_cbranch_execz .LBB63_4107
	s_branch .LBB63_4108
.LBB63_4171:
	s_mov_b32 s22, -1
	s_mov_b32 s9, 0
	s_mov_b32 s0, 0
	s_branch .LBB63_4175
.LBB63_4172:
	s_or_b32 s41, s39, exec_lo
	s_trap 2
                                        ; implicit-def: $vgpr6
                                        ; implicit-def: $vgpr34
                                        ; implicit-def: $vgpr32
                                        ; implicit-def: $vgpr38
                                        ; implicit-def: $vgpr36
                                        ; implicit-def: $vgpr4
                                        ; implicit-def: $vgpr40
                                        ; implicit-def: $vgpr24
                                        ; implicit-def: $vgpr22
                                        ; implicit-def: $vgpr28
                                        ; implicit-def: $vgpr26
                                        ; implicit-def: $vgpr2
                                        ; implicit-def: $vgpr30
                                        ; implicit-def: $vgpr14
                                        ; implicit-def: $vgpr10
                                        ; implicit-def: $vgpr18
                                        ; implicit-def: $vgpr16
                                        ; implicit-def: $vgpr0
                                        ; implicit-def: $vgpr20
                                        ; implicit-def: $vgpr8_vgpr9
                                        ; implicit-def: $vgpr12_vgpr13
                                        ; implicit-def: $vgpr46_vgpr47
                                        ; implicit-def: $vgpr44_vgpr45
                                        ; implicit-def: $vgpr48_vgpr49
	s_branch .LBB63_2646
.LBB63_4173:
	s_or_b32 exec_lo, exec_lo, s95
	s_branch .LBB63_803
.LBB63_4174:
	s_mov_b32 s0, -1
	s_mov_b32 s9, 0
.LBB63_4175:
                                        ; implicit-def: $vgpr34_vgpr35
.LBB63_4176:
	s_and_b32 vcc_lo, exec_lo, s22
	s_cbranch_vccz .LBB63_4180
; %bb.4177:
	s_cmp_eq_u32 s60, 44
	s_cbranch_scc0 .LBB63_4179
; %bb.4178:
	global_load_u8 v1, v[42:43], off
	s_mov_b32 s0, 0
	s_mov_b32 s9, -1
	s_wait_loadcnt 0x0
	v_lshlrev_b32_e32 v3, 23, v1
	v_cmp_ne_u32_e32 vcc_lo, 0, v1
	s_delay_alu instid0(VALU_DEP_2) | instskip(NEXT) | instid1(VALU_DEP_1)
	v_trunc_f32_e32 v3, v3
	v_mul_f32_e64 v5, 0x2f800000, |v3|
	v_ashrrev_i32_e32 v34, 31, v3
	s_delay_alu instid0(VALU_DEP_2) | instskip(NEXT) | instid1(VALU_DEP_2)
	v_floor_f32_e32 v5, v5
	v_mov_b32_e32 v35, v34
	s_delay_alu instid0(VALU_DEP_2) | instskip(SKIP_1) | instid1(VALU_DEP_2)
	v_fma_f32 v7, 0xcf800000, v5, |v3|
	v_cvt_u32_f32_e32 v3, v5
	v_cvt_u32_f32_e32 v5, v7
	s_delay_alu instid0(VALU_DEP_2) | instskip(NEXT) | instid1(VALU_DEP_2)
	v_xor_b32_e32 v45, v3, v34
	v_xor_b32_e32 v44, v5, v34
	s_delay_alu instid0(VALU_DEP_1) | instskip(NEXT) | instid1(VALU_DEP_1)
	v_sub_nc_u64_e32 v[34:35], v[44:45], v[34:35]
	v_dual_cndmask_b32 v35, 0, v35 :: v_dual_cndmask_b32 v34, 0, v34
	s_branch .LBB63_4180
.LBB63_4179:
	s_mov_b32 s0, -1
                                        ; implicit-def: $vgpr34_vgpr35
.LBB63_4180:
	s_mov_b32 s22, 0
.LBB63_4181:
	s_delay_alu instid0(SALU_CYCLE_1)
	s_and_b32 vcc_lo, exec_lo, s22
	s_cbranch_vccz .LBB63_4185
; %bb.4182:
	s_cmp_eq_u32 s60, 29
	s_cbranch_scc0 .LBB63_4184
; %bb.4183:
	global_load_b64 v[34:35], v[42:43], off
	s_mov_b32 s0, 0
	s_mov_b32 s9, -1
	s_branch .LBB63_4185
.LBB63_4184:
	s_mov_b32 s0, -1
                                        ; implicit-def: $vgpr34_vgpr35
.LBB63_4185:
	s_mov_b32 s22, 0
.LBB63_4186:
	s_delay_alu instid0(SALU_CYCLE_1)
	s_and_b32 vcc_lo, exec_lo, s22
	s_cbranch_vccz .LBB63_4202
; %bb.4187:
	s_cmp_lt_i32 s60, 27
	s_cbranch_scc1 .LBB63_4190
; %bb.4188:
	s_cmp_gt_i32 s60, 27
	s_cbranch_scc0 .LBB63_4191
; %bb.4189:
	s_wait_loadcnt 0x0
	global_load_b32 v34, v[42:43], off
	v_mov_b32_e32 v35, 0
	s_mov_b32 s9, 0
	s_branch .LBB63_4192
.LBB63_4190:
	s_mov_b32 s9, -1
                                        ; implicit-def: $vgpr34_vgpr35
	s_branch .LBB63_4195
.LBB63_4191:
	s_mov_b32 s9, -1
                                        ; implicit-def: $vgpr34_vgpr35
.LBB63_4192:
	s_delay_alu instid0(SALU_CYCLE_1)
	s_and_not1_b32 vcc_lo, exec_lo, s9
	s_cbranch_vccnz .LBB63_4194
; %bb.4193:
	global_load_u16 v1, v[42:43], off
	s_mov_b32 s9, 0
	s_wait_loadcnt 0x1
	v_mov_b32_e32 v35, s9
	s_wait_loadcnt 0x0
	v_and_b32_e32 v34, 0xffff, v1
.LBB63_4194:
	s_mov_b32 s9, 0
.LBB63_4195:
	s_delay_alu instid0(SALU_CYCLE_1)
	s_and_not1_b32 vcc_lo, exec_lo, s9
	s_cbranch_vccnz .LBB63_4201
; %bb.4196:
	global_load_u8 v1, v[42:43], off
	s_mov_b32 s22, 0
	s_mov_b32 s9, exec_lo
	s_wait_loadcnt 0x0
	v_cmpx_lt_i16_e32 0x7f, v1
	s_xor_b32 s9, exec_lo, s9
	s_cbranch_execz .LBB63_4213
; %bb.4197:
	v_cmp_ne_u16_e32 vcc_lo, 0x80, v1
	s_and_b32 s22, vcc_lo, exec_lo
	s_and_not1_saveexec_b32 s9, s9
	s_cbranch_execnz .LBB63_4214
.LBB63_4198:
	s_or_b32 exec_lo, exec_lo, s9
	v_mov_b64_e32 v[34:35], 0
	s_and_saveexec_b32 s9, s22
	s_cbranch_execz .LBB63_4200
.LBB63_4199:
	v_and_b32_e32 v3, 0xffff, v1
	s_delay_alu instid0(VALU_DEP_1) | instskip(SKIP_1) | instid1(VALU_DEP_2)
	v_dual_lshlrev_b32 v1, 24, v1 :: v_dual_bitop2_b32 v5, 7, v3 bitop3:0x40
	v_bfe_u32 v15, v3, 3, 4
	v_and_b32_e32 v1, 0x80000000, v1
	s_delay_alu instid0(VALU_DEP_3) | instskip(NEXT) | instid1(VALU_DEP_3)
	v_clz_i32_u32_e32 v7, v5
	v_cmp_eq_u32_e32 vcc_lo, 0, v15
	s_delay_alu instid0(VALU_DEP_2) | instskip(NEXT) | instid1(VALU_DEP_1)
	v_min_u32_e32 v7, 32, v7
	v_subrev_nc_u32_e32 v11, 28, v7
	v_sub_nc_u32_e32 v7, 29, v7
	s_delay_alu instid0(VALU_DEP_2) | instskip(NEXT) | instid1(VALU_DEP_2)
	v_lshlrev_b32_e32 v3, v11, v3
	v_cndmask_b32_e32 v7, v15, v7, vcc_lo
	s_delay_alu instid0(VALU_DEP_2) | instskip(NEXT) | instid1(VALU_DEP_1)
	v_and_b32_e32 v3, 7, v3
	v_cndmask_b32_e32 v3, v5, v3, vcc_lo
	s_delay_alu instid0(VALU_DEP_3) | instskip(NEXT) | instid1(VALU_DEP_2)
	v_lshl_add_u32 v5, v7, 23, 0x3b800000
	v_lshlrev_b32_e32 v3, 20, v3
	s_delay_alu instid0(VALU_DEP_1) | instskip(NEXT) | instid1(VALU_DEP_1)
	v_or3_b32 v1, v1, v5, v3
	v_trunc_f32_e32 v1, v1
	s_delay_alu instid0(VALU_DEP_1) | instskip(SKIP_1) | instid1(VALU_DEP_2)
	v_mul_f32_e64 v3, 0x2f800000, |v1|
	v_ashrrev_i32_e32 v34, 31, v1
	v_floor_f32_e32 v3, v3
	s_delay_alu instid0(VALU_DEP_2) | instskip(NEXT) | instid1(VALU_DEP_2)
	v_mov_b32_e32 v35, v34
	v_fma_f32 v5, 0xcf800000, v3, |v1|
	v_cvt_u32_f32_e32 v1, v3
	s_delay_alu instid0(VALU_DEP_2) | instskip(NEXT) | instid1(VALU_DEP_2)
	v_cvt_u32_f32_e32 v3, v5
	v_xor_b32_e32 v45, v1, v34
	s_delay_alu instid0(VALU_DEP_2) | instskip(NEXT) | instid1(VALU_DEP_1)
	v_xor_b32_e32 v44, v3, v34
	v_sub_nc_u64_e32 v[34:35], v[44:45], v[34:35]
.LBB63_4200:
	s_or_b32 exec_lo, exec_lo, s9
.LBB63_4201:
	s_mov_b32 s9, -1
.LBB63_4202:
	s_mov_b32 s22, 0
.LBB63_4203:
	s_delay_alu instid0(SALU_CYCLE_1)
	s_and_b32 vcc_lo, exec_lo, s22
	s_cbranch_vccz .LBB63_4234
; %bb.4204:
	s_cmp_gt_i32 s60, 22
	s_cbranch_scc0 .LBB63_4212
; %bb.4205:
	s_cmp_lt_i32 s60, 24
	s_cbranch_scc1 .LBB63_4215
; %bb.4206:
	s_cmp_gt_i32 s60, 24
	s_cbranch_scc0 .LBB63_4216
; %bb.4207:
	global_load_u8 v1, v[42:43], off
	s_mov_b32 s9, 0
	s_mov_b32 s1, exec_lo
	s_wait_loadcnt 0x0
	v_cmpx_lt_i16_e32 0x7f, v1
	s_xor_b32 s1, exec_lo, s1
	s_cbranch_execz .LBB63_4228
; %bb.4208:
	v_cmp_ne_u16_e32 vcc_lo, 0x80, v1
	s_and_b32 s9, vcc_lo, exec_lo
	s_and_not1_saveexec_b32 s1, s1
	s_cbranch_execnz .LBB63_4229
.LBB63_4209:
	s_or_b32 exec_lo, exec_lo, s1
	v_mov_b64_e32 v[34:35], 0
	s_and_saveexec_b32 s1, s9
	s_cbranch_execz .LBB63_4211
.LBB63_4210:
	v_and_b32_e32 v3, 0xffff, v1
	s_delay_alu instid0(VALU_DEP_1) | instskip(SKIP_1) | instid1(VALU_DEP_2)
	v_dual_lshlrev_b32 v1, 24, v1 :: v_dual_bitop2_b32 v5, 3, v3 bitop3:0x40
	v_bfe_u32 v15, v3, 2, 5
	v_and_b32_e32 v1, 0x80000000, v1
	s_delay_alu instid0(VALU_DEP_3) | instskip(NEXT) | instid1(VALU_DEP_3)
	v_clz_i32_u32_e32 v7, v5
	v_cmp_eq_u32_e32 vcc_lo, 0, v15
	s_delay_alu instid0(VALU_DEP_2) | instskip(NEXT) | instid1(VALU_DEP_1)
	v_min_u32_e32 v7, 32, v7
	v_subrev_nc_u32_e32 v11, 29, v7
	v_sub_nc_u32_e32 v7, 30, v7
	s_delay_alu instid0(VALU_DEP_2) | instskip(NEXT) | instid1(VALU_DEP_2)
	v_lshlrev_b32_e32 v3, v11, v3
	v_cndmask_b32_e32 v7, v15, v7, vcc_lo
	s_delay_alu instid0(VALU_DEP_2) | instskip(NEXT) | instid1(VALU_DEP_1)
	v_and_b32_e32 v3, 3, v3
	v_cndmask_b32_e32 v3, v5, v3, vcc_lo
	s_delay_alu instid0(VALU_DEP_3) | instskip(NEXT) | instid1(VALU_DEP_2)
	v_lshl_add_u32 v5, v7, 23, 0x37800000
	v_lshlrev_b32_e32 v3, 21, v3
	s_delay_alu instid0(VALU_DEP_1) | instskip(NEXT) | instid1(VALU_DEP_1)
	v_or3_b32 v1, v1, v5, v3
	v_trunc_f32_e32 v1, v1
	s_delay_alu instid0(VALU_DEP_1) | instskip(SKIP_1) | instid1(VALU_DEP_2)
	v_mul_f32_e64 v3, 0x2f800000, |v1|
	v_ashrrev_i32_e32 v34, 31, v1
	v_floor_f32_e32 v3, v3
	s_delay_alu instid0(VALU_DEP_2) | instskip(NEXT) | instid1(VALU_DEP_2)
	v_mov_b32_e32 v35, v34
	v_fma_f32 v5, 0xcf800000, v3, |v1|
	v_cvt_u32_f32_e32 v1, v3
	s_delay_alu instid0(VALU_DEP_2) | instskip(NEXT) | instid1(VALU_DEP_2)
	v_cvt_u32_f32_e32 v3, v5
	v_xor_b32_e32 v45, v1, v34
	s_delay_alu instid0(VALU_DEP_2) | instskip(NEXT) | instid1(VALU_DEP_1)
	v_xor_b32_e32 v44, v3, v34
	v_sub_nc_u64_e32 v[34:35], v[44:45], v[34:35]
.LBB63_4211:
	s_or_b32 exec_lo, exec_lo, s1
	s_mov_b32 s1, 0
	s_branch .LBB63_4217
.LBB63_4212:
	s_mov_b32 s1, -1
                                        ; implicit-def: $vgpr34_vgpr35
	s_branch .LBB63_4223
.LBB63_4213:
	s_and_not1_saveexec_b32 s9, s9
	s_cbranch_execz .LBB63_4198
.LBB63_4214:
	v_cmp_ne_u16_e32 vcc_lo, 0, v1
	s_and_not1_b32 s22, s22, exec_lo
	s_and_b32 s23, vcc_lo, exec_lo
	s_delay_alu instid0(SALU_CYCLE_1)
	s_or_b32 s22, s22, s23
	s_or_b32 exec_lo, exec_lo, s9
	v_mov_b64_e32 v[34:35], 0
	s_and_saveexec_b32 s9, s22
	s_cbranch_execnz .LBB63_4199
	s_branch .LBB63_4200
.LBB63_4215:
	s_mov_b32 s1, -1
                                        ; implicit-def: $vgpr34_vgpr35
	s_branch .LBB63_4220
.LBB63_4216:
	s_mov_b32 s1, -1
                                        ; implicit-def: $vgpr34_vgpr35
.LBB63_4217:
	s_delay_alu instid0(SALU_CYCLE_1)
	s_and_b32 vcc_lo, exec_lo, s1
	s_cbranch_vccz .LBB63_4219
; %bb.4218:
	global_load_u8 v1, v[42:43], off
	s_wait_loadcnt 0x0
	v_lshlrev_b32_e32 v1, 24, v1
	s_delay_alu instid0(VALU_DEP_1) | instskip(NEXT) | instid1(VALU_DEP_1)
	v_and_b32_e32 v3, 0x7f000000, v1
	v_clz_i32_u32_e32 v5, v3
	v_add_nc_u32_e32 v11, 0x1000000, v3
	v_cmp_ne_u32_e32 vcc_lo, 0, v3
	s_delay_alu instid0(VALU_DEP_3) | instskip(NEXT) | instid1(VALU_DEP_1)
	v_min_u32_e32 v5, 32, v5
	v_sub_nc_u32_e64 v5, v5, 4 clamp
	s_delay_alu instid0(VALU_DEP_1) | instskip(NEXT) | instid1(VALU_DEP_1)
	v_dual_lshlrev_b32 v7, v5, v3 :: v_dual_lshlrev_b32 v5, 23, v5
	v_lshrrev_b32_e32 v7, 4, v7
	s_delay_alu instid0(VALU_DEP_1) | instskip(NEXT) | instid1(VALU_DEP_1)
	v_dual_sub_nc_u32 v5, v7, v5 :: v_dual_ashrrev_i32 v7, 8, v11
	v_add_nc_u32_e32 v5, 0x3c000000, v5
	s_delay_alu instid0(VALU_DEP_1) | instskip(NEXT) | instid1(VALU_DEP_1)
	v_and_or_b32 v5, 0x7f800000, v7, v5
	v_cndmask_b32_e32 v3, 0, v5, vcc_lo
	s_delay_alu instid0(VALU_DEP_1) | instskip(NEXT) | instid1(VALU_DEP_1)
	v_and_or_b32 v1, 0x80000000, v1, v3
	v_trunc_f32_e32 v1, v1
	s_delay_alu instid0(VALU_DEP_1) | instskip(SKIP_1) | instid1(VALU_DEP_2)
	v_mul_f32_e64 v3, 0x2f800000, |v1|
	v_ashrrev_i32_e32 v34, 31, v1
	v_floor_f32_e32 v3, v3
	s_delay_alu instid0(VALU_DEP_2) | instskip(NEXT) | instid1(VALU_DEP_2)
	v_mov_b32_e32 v35, v34
	v_fma_f32 v5, 0xcf800000, v3, |v1|
	v_cvt_u32_f32_e32 v1, v3
	s_delay_alu instid0(VALU_DEP_2) | instskip(NEXT) | instid1(VALU_DEP_2)
	v_cvt_u32_f32_e32 v3, v5
	v_xor_b32_e32 v45, v1, v34
	s_delay_alu instid0(VALU_DEP_2) | instskip(NEXT) | instid1(VALU_DEP_1)
	v_xor_b32_e32 v44, v3, v34
	v_sub_nc_u64_e32 v[34:35], v[44:45], v[34:35]
.LBB63_4219:
	s_mov_b32 s1, 0
.LBB63_4220:
	s_delay_alu instid0(SALU_CYCLE_1)
	s_and_not1_b32 vcc_lo, exec_lo, s1
	s_cbranch_vccnz .LBB63_4222
; %bb.4221:
	global_load_u8 v1, v[42:43], off
	s_wait_loadcnt 0x0
	v_lshlrev_b32_e32 v3, 25, v1
	v_lshlrev_b16 v1, 8, v1
	s_delay_alu instid0(VALU_DEP_1) | instskip(SKIP_1) | instid1(VALU_DEP_2)
	v_and_or_b32 v7, 0x7f00, v1, 0.5
	v_bfe_i32 v1, v1, 0, 16
	v_add_f32_e32 v7, -0.5, v7
	v_lshrrev_b32_e32 v5, 4, v3
	v_cmp_gt_u32_e32 vcc_lo, 0x8000000, v3
	s_delay_alu instid0(VALU_DEP_2) | instskip(NEXT) | instid1(VALU_DEP_1)
	v_or_b32_e32 v5, 0x70000000, v5
	v_mul_f32_e32 v5, 0x7800000, v5
	s_delay_alu instid0(VALU_DEP_1) | instskip(NEXT) | instid1(VALU_DEP_1)
	v_cndmask_b32_e32 v3, v5, v7, vcc_lo
	v_and_or_b32 v1, 0x80000000, v1, v3
	s_delay_alu instid0(VALU_DEP_1) | instskip(NEXT) | instid1(VALU_DEP_1)
	v_trunc_f32_e32 v1, v1
	v_mul_f32_e64 v3, 0x2f800000, |v1|
	v_ashrrev_i32_e32 v34, 31, v1
	s_delay_alu instid0(VALU_DEP_2) | instskip(NEXT) | instid1(VALU_DEP_2)
	v_floor_f32_e32 v3, v3
	v_mov_b32_e32 v35, v34
	s_delay_alu instid0(VALU_DEP_2) | instskip(SKIP_1) | instid1(VALU_DEP_2)
	v_fma_f32 v5, 0xcf800000, v3, |v1|
	v_cvt_u32_f32_e32 v1, v3
	v_cvt_u32_f32_e32 v3, v5
	s_delay_alu instid0(VALU_DEP_2) | instskip(NEXT) | instid1(VALU_DEP_2)
	v_xor_b32_e32 v45, v1, v34
	v_xor_b32_e32 v44, v3, v34
	s_delay_alu instid0(VALU_DEP_1)
	v_sub_nc_u64_e32 v[34:35], v[44:45], v[34:35]
.LBB63_4222:
	s_mov_b32 s1, 0
	s_mov_b32 s9, -1
.LBB63_4223:
	s_and_not1_b32 vcc_lo, exec_lo, s1
	s_mov_b32 s1, 0
	s_cbranch_vccnz .LBB63_4234
; %bb.4224:
	s_cmp_gt_i32 s60, 14
	s_cbranch_scc0 .LBB63_4227
; %bb.4225:
	s_cmp_eq_u32 s60, 15
	s_cbranch_scc0 .LBB63_4230
; %bb.4226:
	global_load_u16 v1, v[42:43], off
	s_mov_b32 s0, 0
	s_mov_b32 s9, -1
	s_wait_loadcnt 0x0
	v_lshlrev_b32_e32 v1, 16, v1
	s_delay_alu instid0(VALU_DEP_1) | instskip(NEXT) | instid1(VALU_DEP_1)
	v_trunc_f32_e32 v1, v1
	v_mul_f32_e64 v3, 0x2f800000, |v1|
	v_ashrrev_i32_e32 v34, 31, v1
	s_delay_alu instid0(VALU_DEP_2) | instskip(NEXT) | instid1(VALU_DEP_2)
	v_floor_f32_e32 v3, v3
	v_mov_b32_e32 v35, v34
	s_delay_alu instid0(VALU_DEP_2) | instskip(SKIP_1) | instid1(VALU_DEP_2)
	v_fma_f32 v5, 0xcf800000, v3, |v1|
	v_cvt_u32_f32_e32 v1, v3
	v_cvt_u32_f32_e32 v3, v5
	s_delay_alu instid0(VALU_DEP_2) | instskip(NEXT) | instid1(VALU_DEP_2)
	v_xor_b32_e32 v45, v1, v34
	v_xor_b32_e32 v44, v3, v34
	s_delay_alu instid0(VALU_DEP_1)
	v_sub_nc_u64_e32 v[34:35], v[44:45], v[34:35]
	s_branch .LBB63_4232
.LBB63_4227:
	s_mov_b32 s1, -1
	s_branch .LBB63_4231
.LBB63_4228:
	s_and_not1_saveexec_b32 s1, s1
	s_cbranch_execz .LBB63_4209
.LBB63_4229:
	v_cmp_ne_u16_e32 vcc_lo, 0, v1
	s_and_not1_b32 s9, s9, exec_lo
	s_and_b32 s22, vcc_lo, exec_lo
	s_delay_alu instid0(SALU_CYCLE_1)
	s_or_b32 s9, s9, s22
	s_or_b32 exec_lo, exec_lo, s1
	v_mov_b64_e32 v[34:35], 0
	s_and_saveexec_b32 s1, s9
	s_cbranch_execnz .LBB63_4210
	s_branch .LBB63_4211
.LBB63_4230:
	s_mov_b32 s0, -1
.LBB63_4231:
                                        ; implicit-def: $vgpr34_vgpr35
.LBB63_4232:
	s_and_b32 vcc_lo, exec_lo, s1
	s_mov_b32 s1, 0
	s_cbranch_vccz .LBB63_4234
; %bb.4233:
	s_cmp_lg_u32 s60, 11
	s_mov_b32 s1, -1
	s_cselect_b32 s0, -1, 0
.LBB63_4234:
	s_delay_alu instid0(SALU_CYCLE_1)
	s_and_b32 vcc_lo, exec_lo, s0
	s_cbranch_vccnz .LBB63_4299
; %bb.4235:
	s_and_not1_b32 vcc_lo, exec_lo, s1
	s_cbranch_vccnz .LBB63_4237
.LBB63_4236:
	global_load_u8 v1, v[42:43], off
	s_mov_b32 s0, 0
	s_mov_b32 s9, -1
	s_wait_loadcnt 0x1
	v_mov_b32_e32 v35, s0
	s_wait_loadcnt 0x0
	v_cmp_ne_u16_e32 vcc_lo, 0, v1
	v_cndmask_b32_e64 v34, 0, 1, vcc_lo
.LBB63_4237:
	s_mov_b32 s0, 0
.LBB63_4238:
	s_delay_alu instid0(SALU_CYCLE_1)
	s_and_b32 vcc_lo, exec_lo, s0
	s_cbranch_vccz .LBB63_4287
; %bb.4239:
	s_cmp_lt_i32 s60, 5
	s_cbranch_scc1 .LBB63_4244
; %bb.4240:
	s_cmp_lt_i32 s60, 8
	s_cbranch_scc1 .LBB63_4245
	;; [unrolled: 3-line block ×3, first 2 shown]
; %bb.4242:
	s_cmp_gt_i32 s60, 9
	s_cbranch_scc0 .LBB63_4247
; %bb.4243:
	s_wait_loadcnt 0x0
	global_load_b64 v[34:35], v[42:43], off
	s_mov_b32 s0, 0
	s_wait_loadcnt 0x0
	v_trunc_f64_e32 v[34:35], v[34:35]
	s_delay_alu instid0(VALU_DEP_1) | instskip(NEXT) | instid1(VALU_DEP_1)
	v_ldexp_f64 v[44:45], v[34:35], 0xffffffe0
	v_floor_f64_e32 v[44:45], v[44:45]
	s_delay_alu instid0(VALU_DEP_1) | instskip(SKIP_1) | instid1(VALU_DEP_2)
	v_fmamk_f64 v[46:47], v[44:45], 0xc1f00000, v[34:35]
	v_cvt_i32_f64_e32 v35, v[44:45]
	v_cvt_u32_f64_e32 v34, v[46:47]
	s_branch .LBB63_4248
.LBB63_4244:
	s_mov_b32 s0, -1
                                        ; implicit-def: $vgpr34_vgpr35
	s_branch .LBB63_4266
.LBB63_4245:
	s_mov_b32 s0, -1
                                        ; implicit-def: $vgpr34_vgpr35
	s_branch .LBB63_4254
.LBB63_4246:
	s_mov_b32 s0, -1
                                        ; implicit-def: $vgpr34_vgpr35
	s_branch .LBB63_4251
.LBB63_4247:
	s_mov_b32 s0, -1
                                        ; implicit-def: $vgpr34_vgpr35
.LBB63_4248:
	s_delay_alu instid0(SALU_CYCLE_1)
	s_and_not1_b32 vcc_lo, exec_lo, s0
	s_cbranch_vccnz .LBB63_4250
; %bb.4249:
	global_load_b32 v1, v[42:43], off
	s_wait_loadcnt 0x0
	v_trunc_f32_e32 v1, v1
	s_delay_alu instid0(VALU_DEP_1) | instskip(SKIP_1) | instid1(VALU_DEP_2)
	v_mul_f32_e64 v3, 0x2f800000, |v1|
	v_ashrrev_i32_e32 v34, 31, v1
	v_floor_f32_e32 v3, v3
	s_delay_alu instid0(VALU_DEP_1) | instskip(SKIP_1) | instid1(VALU_DEP_4)
	v_fma_f32 v5, 0xcf800000, v3, |v1|
	v_cvt_u32_f32_e32 v1, v3
	v_mov_b32_e32 v35, v34
	s_delay_alu instid0(VALU_DEP_3) | instskip(NEXT) | instid1(VALU_DEP_3)
	v_cvt_u32_f32_e32 v3, v5
	v_xor_b32_e32 v45, v1, v34
	s_delay_alu instid0(VALU_DEP_2) | instskip(NEXT) | instid1(VALU_DEP_1)
	v_xor_b32_e32 v44, v3, v34
	v_sub_nc_u64_e32 v[34:35], v[44:45], v[34:35]
.LBB63_4250:
	s_mov_b32 s0, 0
.LBB63_4251:
	s_delay_alu instid0(SALU_CYCLE_1)
	s_and_not1_b32 vcc_lo, exec_lo, s0
	s_cbranch_vccnz .LBB63_4253
; %bb.4252:
	global_load_b32 v1, v[42:43], off
	s_wait_loadcnt 0x0
	v_cvt_f32_f16_e32 v1, v1
	s_delay_alu instid0(VALU_DEP_1) | instskip(NEXT) | instid1(VALU_DEP_1)
	v_cvt_i32_f32_e32 v34, v1
	v_ashrrev_i32_e32 v35, 31, v34
.LBB63_4253:
	s_mov_b32 s0, 0
.LBB63_4254:
	s_delay_alu instid0(SALU_CYCLE_1)
	s_and_not1_b32 vcc_lo, exec_lo, s0
	s_cbranch_vccnz .LBB63_4265
; %bb.4255:
	s_cmp_lt_i32 s60, 6
	s_cbranch_scc1 .LBB63_4258
; %bb.4256:
	s_cmp_gt_i32 s60, 6
	s_cbranch_scc0 .LBB63_4259
; %bb.4257:
	s_wait_loadcnt 0x0
	global_load_b64 v[34:35], v[42:43], off
	s_mov_b32 s0, 0
	s_wait_loadcnt 0x0
	v_trunc_f64_e32 v[34:35], v[34:35]
	s_delay_alu instid0(VALU_DEP_1) | instskip(NEXT) | instid1(VALU_DEP_1)
	v_ldexp_f64 v[44:45], v[34:35], 0xffffffe0
	v_floor_f64_e32 v[44:45], v[44:45]
	s_delay_alu instid0(VALU_DEP_1) | instskip(SKIP_1) | instid1(VALU_DEP_2)
	v_fmamk_f64 v[46:47], v[44:45], 0xc1f00000, v[34:35]
	v_cvt_i32_f64_e32 v35, v[44:45]
	v_cvt_u32_f64_e32 v34, v[46:47]
	s_branch .LBB63_4260
.LBB63_4258:
	s_mov_b32 s0, -1
                                        ; implicit-def: $vgpr34_vgpr35
	s_branch .LBB63_4263
.LBB63_4259:
	s_mov_b32 s0, -1
                                        ; implicit-def: $vgpr34_vgpr35
.LBB63_4260:
	s_delay_alu instid0(SALU_CYCLE_1)
	s_and_not1_b32 vcc_lo, exec_lo, s0
	s_cbranch_vccnz .LBB63_4262
; %bb.4261:
	global_load_b32 v1, v[42:43], off
	s_wait_loadcnt 0x0
	v_trunc_f32_e32 v1, v1
	s_delay_alu instid0(VALU_DEP_1) | instskip(SKIP_1) | instid1(VALU_DEP_2)
	v_mul_f32_e64 v3, 0x2f800000, |v1|
	v_ashrrev_i32_e32 v34, 31, v1
	v_floor_f32_e32 v3, v3
	s_delay_alu instid0(VALU_DEP_1) | instskip(SKIP_1) | instid1(VALU_DEP_4)
	v_fma_f32 v5, 0xcf800000, v3, |v1|
	v_cvt_u32_f32_e32 v1, v3
	v_mov_b32_e32 v35, v34
	s_delay_alu instid0(VALU_DEP_3) | instskip(NEXT) | instid1(VALU_DEP_3)
	v_cvt_u32_f32_e32 v3, v5
	v_xor_b32_e32 v45, v1, v34
	s_delay_alu instid0(VALU_DEP_2) | instskip(NEXT) | instid1(VALU_DEP_1)
	v_xor_b32_e32 v44, v3, v34
	v_sub_nc_u64_e32 v[34:35], v[44:45], v[34:35]
.LBB63_4262:
	s_mov_b32 s0, 0
.LBB63_4263:
	s_delay_alu instid0(SALU_CYCLE_1)
	s_and_not1_b32 vcc_lo, exec_lo, s0
	s_cbranch_vccnz .LBB63_4265
; %bb.4264:
	global_load_u16 v1, v[42:43], off
	s_wait_loadcnt 0x0
	v_cvt_f32_f16_e32 v1, v1
	s_delay_alu instid0(VALU_DEP_1) | instskip(NEXT) | instid1(VALU_DEP_1)
	v_cvt_i32_f32_e32 v34, v1
	v_ashrrev_i32_e32 v35, 31, v34
.LBB63_4265:
	s_mov_b32 s0, 0
.LBB63_4266:
	s_delay_alu instid0(SALU_CYCLE_1)
	s_and_not1_b32 vcc_lo, exec_lo, s0
	s_cbranch_vccnz .LBB63_4286
; %bb.4267:
	s_cmp_lt_i32 s60, 2
	s_cbranch_scc1 .LBB63_4271
; %bb.4268:
	s_cmp_lt_i32 s60, 3
	s_cbranch_scc1 .LBB63_4272
; %bb.4269:
	s_cmp_gt_i32 s60, 3
	s_cbranch_scc0 .LBB63_4273
; %bb.4270:
	s_wait_loadcnt 0x0
	global_load_b64 v[34:35], v[42:43], off
	s_mov_b32 s0, 0
	s_branch .LBB63_4274
.LBB63_4271:
	s_mov_b32 s0, -1
                                        ; implicit-def: $vgpr34_vgpr35
	s_branch .LBB63_4280
.LBB63_4272:
	s_mov_b32 s0, -1
                                        ; implicit-def: $vgpr34_vgpr35
	s_branch .LBB63_4277
.LBB63_4273:
	s_mov_b32 s0, -1
                                        ; implicit-def: $vgpr34_vgpr35
.LBB63_4274:
	s_delay_alu instid0(SALU_CYCLE_1)
	s_and_not1_b32 vcc_lo, exec_lo, s0
	s_cbranch_vccnz .LBB63_4276
; %bb.4275:
	s_wait_loadcnt 0x0
	global_load_b32 v34, v[42:43], off
	s_wait_loadcnt 0x0
	v_ashrrev_i32_e32 v35, 31, v34
.LBB63_4276:
	s_mov_b32 s0, 0
.LBB63_4277:
	s_delay_alu instid0(SALU_CYCLE_1)
	s_and_not1_b32 vcc_lo, exec_lo, s0
	s_cbranch_vccnz .LBB63_4279
; %bb.4278:
	global_load_u16 v1, v[42:43], off
	s_wait_loadcnt 0x0
	v_bfe_i32 v34, v1, 0, 16
	s_delay_alu instid0(VALU_DEP_1)
	v_ashrrev_i32_e32 v35, 31, v34
.LBB63_4279:
	s_mov_b32 s0, 0
.LBB63_4280:
	s_delay_alu instid0(SALU_CYCLE_1)
	s_and_not1_b32 vcc_lo, exec_lo, s0
	s_cbranch_vccnz .LBB63_4286
; %bb.4281:
	s_cmp_gt_i32 s60, 0
	s_mov_b32 s0, 0
	s_cbranch_scc0 .LBB63_4283
; %bb.4282:
	global_load_i8 v1, v[42:43], off
	s_wait_loadcnt 0x0
	v_bfe_i32 v34, v1, 0, 16
	s_delay_alu instid0(VALU_DEP_1)
	v_ashrrev_i32_e32 v35, 31, v34
	s_branch .LBB63_4284
.LBB63_4283:
	s_mov_b32 s0, -1
                                        ; implicit-def: $vgpr34_vgpr35
.LBB63_4284:
	s_delay_alu instid0(SALU_CYCLE_1)
	s_and_not1_b32 vcc_lo, exec_lo, s0
	s_cbranch_vccnz .LBB63_4286
; %bb.4285:
	global_load_u8 v1, v[42:43], off
	s_mov_b32 s0, 0
	s_wait_loadcnt 0x1
	v_mov_b32_e32 v35, s0
	s_wait_loadcnt 0x0
	v_and_b32_e32 v34, 0xffff, v1
.LBB63_4286:
	s_mov_b32 s9, -1
.LBB63_4287:
	s_delay_alu instid0(SALU_CYCLE_1)
	s_and_not1_b32 vcc_lo, exec_lo, s9
	s_cbranch_vccnz .LBB63_4424
; %bb.4288:
	v_mov_b32_e32 v33, 0
	s_and_b32 s61, 0xffff, s51
	s_delay_alu instid0(SALU_CYCLE_1) | instskip(NEXT) | instid1(VALU_DEP_1)
	s_cmp_lt_i32 s61, 11
	v_add_nc_u64_e32 v[32:33], s[16:17], v[32:33]
	s_cbranch_scc1 .LBB63_4295
; %bb.4289:
	s_cmp_gt_i32 s61, 25
	s_mov_b32 s1, 0
	s_cbranch_scc0 .LBB63_4296
; %bb.4290:
	s_cmp_gt_i32 s61, 28
	s_cbranch_scc0 .LBB63_4297
; %bb.4291:
	s_cmp_gt_i32 s61, 43
	;; [unrolled: 3-line block ×3, first 2 shown]
	s_cbranch_scc0 .LBB63_4300
; %bb.4293:
	s_cmp_eq_u32 s61, 46
	s_mov_b32 s22, 0
	s_cbranch_scc0 .LBB63_4302
; %bb.4294:
	global_load_b32 v1, v[32:33], off
	s_mov_b32 s0, 0
	s_mov_b32 s9, -1
	s_wait_loadcnt 0x0
	v_lshlrev_b32_e32 v1, 16, v1
	s_delay_alu instid0(VALU_DEP_1) | instskip(NEXT) | instid1(VALU_DEP_1)
	v_trunc_f32_e32 v1, v1
	v_mul_f32_e64 v3, 0x2f800000, |v1|
	s_wait_xcnt 0x1
	v_ashrrev_i32_e32 v42, 31, v1
	s_delay_alu instid0(VALU_DEP_2) | instskip(NEXT) | instid1(VALU_DEP_2)
	v_floor_f32_e32 v3, v3
	v_mov_b32_e32 v43, v42
	s_delay_alu instid0(VALU_DEP_2) | instskip(SKIP_1) | instid1(VALU_DEP_2)
	v_fma_f32 v5, 0xcf800000, v3, |v1|
	v_cvt_u32_f32_e32 v1, v3
	v_cvt_u32_f32_e32 v3, v5
	s_delay_alu instid0(VALU_DEP_2) | instskip(NEXT) | instid1(VALU_DEP_2)
	v_xor_b32_e32 v45, v1, v42
	v_xor_b32_e32 v44, v3, v42
	s_delay_alu instid0(VALU_DEP_1)
	v_sub_nc_u64_e32 v[44:45], v[44:45], v[42:43]
	s_branch .LBB63_4304
.LBB63_4295:
	s_mov_b32 s0, -1
	s_mov_b32 s9, 0
                                        ; implicit-def: $vgpr44_vgpr45
	s_branch .LBB63_4366
.LBB63_4296:
	s_mov_b32 s22, -1
	s_mov_b32 s9, 0
	s_mov_b32 s0, 0
                                        ; implicit-def: $vgpr44_vgpr45
	s_branch .LBB63_4331
.LBB63_4297:
	s_mov_b32 s22, -1
	s_mov_b32 s9, 0
	s_mov_b32 s0, 0
                                        ; implicit-def: $vgpr44_vgpr45
	s_branch .LBB63_4314
.LBB63_4298:
	s_mov_b32 s22, -1
	s_mov_b32 s9, 0
	s_mov_b32 s0, 0
                                        ; implicit-def: $vgpr44_vgpr45
	s_branch .LBB63_4309
.LBB63_4299:
	s_or_b32 s45, s45, exec_lo
	s_trap 2
	s_cbranch_execz .LBB63_4236
	s_branch .LBB63_4237
.LBB63_4300:
	s_mov_b32 s22, -1
	s_mov_b32 s9, 0
	s_mov_b32 s0, 0
	s_branch .LBB63_4303
.LBB63_4301:
	s_or_b32 exec_lo, exec_lo, s62
	s_branch .LBB63_1211
.LBB63_4302:
	s_mov_b32 s0, -1
	s_mov_b32 s9, 0
.LBB63_4303:
                                        ; implicit-def: $vgpr44_vgpr45
.LBB63_4304:
	s_and_b32 vcc_lo, exec_lo, s22
	s_cbranch_vccz .LBB63_4308
; %bb.4305:
	s_cmp_eq_u32 s61, 44
	s_cbranch_scc0 .LBB63_4307
; %bb.4306:
	global_load_u8 v1, v[32:33], off
	s_mov_b32 s0, 0
	s_mov_b32 s9, -1
	s_wait_loadcnt 0x0
	v_lshlrev_b32_e32 v3, 23, v1
	v_cmp_ne_u32_e32 vcc_lo, 0, v1
	s_delay_alu instid0(VALU_DEP_2) | instskip(NEXT) | instid1(VALU_DEP_1)
	v_trunc_f32_e32 v3, v3
	v_mul_f32_e64 v5, 0x2f800000, |v3|
	s_wait_xcnt 0x1
	v_ashrrev_i32_e32 v42, 31, v3
	s_delay_alu instid0(VALU_DEP_2) | instskip(NEXT) | instid1(VALU_DEP_2)
	v_floor_f32_e32 v5, v5
	v_mov_b32_e32 v43, v42
	s_delay_alu instid0(VALU_DEP_2) | instskip(SKIP_1) | instid1(VALU_DEP_2)
	v_fma_f32 v7, 0xcf800000, v5, |v3|
	v_cvt_u32_f32_e32 v3, v5
	v_cvt_u32_f32_e32 v5, v7
	s_delay_alu instid0(VALU_DEP_2) | instskip(NEXT) | instid1(VALU_DEP_2)
	v_xor_b32_e32 v45, v3, v42
	v_xor_b32_e32 v44, v5, v42
	s_delay_alu instid0(VALU_DEP_1) | instskip(NEXT) | instid1(VALU_DEP_1)
	v_sub_nc_u64_e32 v[42:43], v[44:45], v[42:43]
	v_dual_cndmask_b32 v45, 0, v43 :: v_dual_cndmask_b32 v44, 0, v42
	s_branch .LBB63_4308
.LBB63_4307:
	s_mov_b32 s0, -1
                                        ; implicit-def: $vgpr44_vgpr45
.LBB63_4308:
	s_mov_b32 s22, 0
.LBB63_4309:
	s_delay_alu instid0(SALU_CYCLE_1)
	s_and_b32 vcc_lo, exec_lo, s22
	s_cbranch_vccz .LBB63_4313
; %bb.4310:
	s_cmp_eq_u32 s61, 29
	s_cbranch_scc0 .LBB63_4312
; %bb.4311:
	global_load_b64 v[44:45], v[32:33], off
	s_mov_b32 s0, 0
	s_mov_b32 s9, -1
	s_branch .LBB63_4313
.LBB63_4312:
	s_mov_b32 s0, -1
                                        ; implicit-def: $vgpr44_vgpr45
.LBB63_4313:
	s_mov_b32 s22, 0
.LBB63_4314:
	s_delay_alu instid0(SALU_CYCLE_1)
	s_and_b32 vcc_lo, exec_lo, s22
	s_cbranch_vccz .LBB63_4330
; %bb.4315:
	s_cmp_lt_i32 s61, 27
	s_cbranch_scc1 .LBB63_4318
; %bb.4316:
	s_cmp_gt_i32 s61, 27
	s_cbranch_scc0 .LBB63_4319
; %bb.4317:
	s_wait_loadcnt 0x0
	global_load_b32 v44, v[32:33], off
	v_mov_b32_e32 v45, 0
	s_mov_b32 s9, 0
	s_branch .LBB63_4320
.LBB63_4318:
	s_mov_b32 s9, -1
                                        ; implicit-def: $vgpr44_vgpr45
	s_branch .LBB63_4323
.LBB63_4319:
	s_mov_b32 s9, -1
                                        ; implicit-def: $vgpr44_vgpr45
.LBB63_4320:
	s_delay_alu instid0(SALU_CYCLE_1)
	s_and_not1_b32 vcc_lo, exec_lo, s9
	s_cbranch_vccnz .LBB63_4322
; %bb.4321:
	global_load_u16 v1, v[32:33], off
	s_mov_b32 s9, 0
	s_wait_loadcnt 0x1
	v_mov_b32_e32 v45, s9
	s_wait_loadcnt 0x0
	v_and_b32_e32 v44, 0xffff, v1
.LBB63_4322:
	s_mov_b32 s9, 0
.LBB63_4323:
	s_delay_alu instid0(SALU_CYCLE_1)
	s_and_not1_b32 vcc_lo, exec_lo, s9
	s_cbranch_vccnz .LBB63_4329
; %bb.4324:
	global_load_u8 v1, v[32:33], off
	s_mov_b32 s22, 0
	s_mov_b32 s9, exec_lo
	s_wait_loadcnt 0x0
	v_cmpx_lt_i16_e32 0x7f, v1
	s_xor_b32 s9, exec_lo, s9
	s_cbranch_execz .LBB63_4341
; %bb.4325:
	v_cmp_ne_u16_e32 vcc_lo, 0x80, v1
	s_and_b32 s22, vcc_lo, exec_lo
	s_and_not1_saveexec_b32 s9, s9
	s_cbranch_execnz .LBB63_4342
.LBB63_4326:
	s_or_b32 exec_lo, exec_lo, s9
	v_mov_b64_e32 v[44:45], 0
	s_and_saveexec_b32 s9, s22
	s_cbranch_execz .LBB63_4328
.LBB63_4327:
	v_and_b32_e32 v3, 0xffff, v1
	s_delay_alu instid0(VALU_DEP_1) | instskip(SKIP_1) | instid1(VALU_DEP_2)
	v_dual_lshlrev_b32 v1, 24, v1 :: v_dual_bitop2_b32 v5, 7, v3 bitop3:0x40
	v_bfe_u32 v15, v3, 3, 4
	v_and_b32_e32 v1, 0x80000000, v1
	s_delay_alu instid0(VALU_DEP_3) | instskip(NEXT) | instid1(VALU_DEP_3)
	v_clz_i32_u32_e32 v7, v5
	v_cmp_eq_u32_e32 vcc_lo, 0, v15
	s_delay_alu instid0(VALU_DEP_2) | instskip(NEXT) | instid1(VALU_DEP_1)
	v_min_u32_e32 v7, 32, v7
	v_subrev_nc_u32_e32 v11, 28, v7
	v_sub_nc_u32_e32 v7, 29, v7
	s_delay_alu instid0(VALU_DEP_2) | instskip(NEXT) | instid1(VALU_DEP_2)
	v_lshlrev_b32_e32 v3, v11, v3
	v_cndmask_b32_e32 v7, v15, v7, vcc_lo
	s_delay_alu instid0(VALU_DEP_2) | instskip(NEXT) | instid1(VALU_DEP_1)
	v_and_b32_e32 v3, 7, v3
	v_cndmask_b32_e32 v3, v5, v3, vcc_lo
	s_delay_alu instid0(VALU_DEP_3) | instskip(NEXT) | instid1(VALU_DEP_2)
	v_lshl_add_u32 v5, v7, 23, 0x3b800000
	v_lshlrev_b32_e32 v3, 20, v3
	s_delay_alu instid0(VALU_DEP_1) | instskip(NEXT) | instid1(VALU_DEP_1)
	v_or3_b32 v1, v1, v5, v3
	v_trunc_f32_e32 v1, v1
	s_delay_alu instid0(VALU_DEP_1) | instskip(SKIP_1) | instid1(VALU_DEP_2)
	v_mul_f32_e64 v3, 0x2f800000, |v1|
	v_ashrrev_i32_e32 v42, 31, v1
	v_floor_f32_e32 v3, v3
	s_delay_alu instid0(VALU_DEP_2) | instskip(NEXT) | instid1(VALU_DEP_2)
	v_mov_b32_e32 v43, v42
	v_fma_f32 v5, 0xcf800000, v3, |v1|
	v_cvt_u32_f32_e32 v1, v3
	s_delay_alu instid0(VALU_DEP_2) | instskip(NEXT) | instid1(VALU_DEP_2)
	v_cvt_u32_f32_e32 v3, v5
	v_xor_b32_e32 v45, v1, v42
	s_delay_alu instid0(VALU_DEP_2) | instskip(NEXT) | instid1(VALU_DEP_1)
	v_xor_b32_e32 v44, v3, v42
	v_sub_nc_u64_e32 v[44:45], v[44:45], v[42:43]
.LBB63_4328:
	s_or_b32 exec_lo, exec_lo, s9
.LBB63_4329:
	s_mov_b32 s9, -1
.LBB63_4330:
	s_mov_b32 s22, 0
.LBB63_4331:
	s_delay_alu instid0(SALU_CYCLE_1)
	s_and_b32 vcc_lo, exec_lo, s22
	s_cbranch_vccz .LBB63_4362
; %bb.4332:
	s_cmp_gt_i32 s61, 22
	s_cbranch_scc0 .LBB63_4340
; %bb.4333:
	s_cmp_lt_i32 s61, 24
	s_cbranch_scc1 .LBB63_4343
; %bb.4334:
	s_cmp_gt_i32 s61, 24
	s_cbranch_scc0 .LBB63_4344
; %bb.4335:
	global_load_u8 v1, v[32:33], off
	s_mov_b32 s9, 0
	s_mov_b32 s1, exec_lo
	s_wait_loadcnt 0x0
	v_cmpx_lt_i16_e32 0x7f, v1
	s_xor_b32 s1, exec_lo, s1
	s_cbranch_execz .LBB63_4356
; %bb.4336:
	v_cmp_ne_u16_e32 vcc_lo, 0x80, v1
	s_and_b32 s9, vcc_lo, exec_lo
	s_and_not1_saveexec_b32 s1, s1
	s_cbranch_execnz .LBB63_4357
.LBB63_4337:
	s_or_b32 exec_lo, exec_lo, s1
	v_mov_b64_e32 v[44:45], 0
	s_and_saveexec_b32 s1, s9
	s_cbranch_execz .LBB63_4339
.LBB63_4338:
	v_and_b32_e32 v3, 0xffff, v1
	s_delay_alu instid0(VALU_DEP_1) | instskip(SKIP_1) | instid1(VALU_DEP_2)
	v_dual_lshlrev_b32 v1, 24, v1 :: v_dual_bitop2_b32 v5, 3, v3 bitop3:0x40
	v_bfe_u32 v15, v3, 2, 5
	v_and_b32_e32 v1, 0x80000000, v1
	s_delay_alu instid0(VALU_DEP_3) | instskip(NEXT) | instid1(VALU_DEP_3)
	v_clz_i32_u32_e32 v7, v5
	v_cmp_eq_u32_e32 vcc_lo, 0, v15
	s_delay_alu instid0(VALU_DEP_2) | instskip(NEXT) | instid1(VALU_DEP_1)
	v_min_u32_e32 v7, 32, v7
	v_subrev_nc_u32_e32 v11, 29, v7
	v_sub_nc_u32_e32 v7, 30, v7
	s_delay_alu instid0(VALU_DEP_2) | instskip(NEXT) | instid1(VALU_DEP_2)
	v_lshlrev_b32_e32 v3, v11, v3
	v_cndmask_b32_e32 v7, v15, v7, vcc_lo
	s_delay_alu instid0(VALU_DEP_2) | instskip(NEXT) | instid1(VALU_DEP_1)
	v_and_b32_e32 v3, 3, v3
	v_cndmask_b32_e32 v3, v5, v3, vcc_lo
	s_delay_alu instid0(VALU_DEP_3) | instskip(NEXT) | instid1(VALU_DEP_2)
	v_lshl_add_u32 v5, v7, 23, 0x37800000
	v_lshlrev_b32_e32 v3, 21, v3
	s_delay_alu instid0(VALU_DEP_1) | instskip(NEXT) | instid1(VALU_DEP_1)
	v_or3_b32 v1, v1, v5, v3
	v_trunc_f32_e32 v1, v1
	s_delay_alu instid0(VALU_DEP_1) | instskip(SKIP_1) | instid1(VALU_DEP_2)
	v_mul_f32_e64 v3, 0x2f800000, |v1|
	v_ashrrev_i32_e32 v42, 31, v1
	v_floor_f32_e32 v3, v3
	s_delay_alu instid0(VALU_DEP_2) | instskip(NEXT) | instid1(VALU_DEP_2)
	v_mov_b32_e32 v43, v42
	v_fma_f32 v5, 0xcf800000, v3, |v1|
	v_cvt_u32_f32_e32 v1, v3
	s_delay_alu instid0(VALU_DEP_2) | instskip(NEXT) | instid1(VALU_DEP_2)
	v_cvt_u32_f32_e32 v3, v5
	v_xor_b32_e32 v45, v1, v42
	s_delay_alu instid0(VALU_DEP_2) | instskip(NEXT) | instid1(VALU_DEP_1)
	v_xor_b32_e32 v44, v3, v42
	v_sub_nc_u64_e32 v[44:45], v[44:45], v[42:43]
.LBB63_4339:
	s_or_b32 exec_lo, exec_lo, s1
	s_mov_b32 s1, 0
	s_branch .LBB63_4345
.LBB63_4340:
	s_mov_b32 s1, -1
                                        ; implicit-def: $vgpr44_vgpr45
	s_branch .LBB63_4351
.LBB63_4341:
	s_and_not1_saveexec_b32 s9, s9
	s_cbranch_execz .LBB63_4326
.LBB63_4342:
	v_cmp_ne_u16_e32 vcc_lo, 0, v1
	s_and_not1_b32 s22, s22, exec_lo
	s_and_b32 s23, vcc_lo, exec_lo
	s_delay_alu instid0(SALU_CYCLE_1)
	s_or_b32 s22, s22, s23
	s_or_b32 exec_lo, exec_lo, s9
	v_mov_b64_e32 v[44:45], 0
	s_and_saveexec_b32 s9, s22
	s_cbranch_execnz .LBB63_4327
	s_branch .LBB63_4328
.LBB63_4343:
	s_mov_b32 s1, -1
                                        ; implicit-def: $vgpr44_vgpr45
	s_branch .LBB63_4348
.LBB63_4344:
	s_mov_b32 s1, -1
                                        ; implicit-def: $vgpr44_vgpr45
.LBB63_4345:
	s_delay_alu instid0(SALU_CYCLE_1)
	s_and_b32 vcc_lo, exec_lo, s1
	s_cbranch_vccz .LBB63_4347
; %bb.4346:
	global_load_u8 v1, v[32:33], off
	s_wait_loadcnt 0x0
	v_lshlrev_b32_e32 v1, 24, v1
	s_delay_alu instid0(VALU_DEP_1) | instskip(NEXT) | instid1(VALU_DEP_1)
	v_and_b32_e32 v3, 0x7f000000, v1
	v_clz_i32_u32_e32 v5, v3
	v_add_nc_u32_e32 v11, 0x1000000, v3
	v_cmp_ne_u32_e32 vcc_lo, 0, v3
	s_delay_alu instid0(VALU_DEP_3) | instskip(NEXT) | instid1(VALU_DEP_1)
	v_min_u32_e32 v5, 32, v5
	v_sub_nc_u32_e64 v5, v5, 4 clamp
	s_delay_alu instid0(VALU_DEP_1) | instskip(NEXT) | instid1(VALU_DEP_1)
	v_dual_lshlrev_b32 v7, v5, v3 :: v_dual_lshlrev_b32 v5, 23, v5
	v_lshrrev_b32_e32 v7, 4, v7
	s_delay_alu instid0(VALU_DEP_1) | instskip(NEXT) | instid1(VALU_DEP_1)
	v_dual_sub_nc_u32 v5, v7, v5 :: v_dual_ashrrev_i32 v7, 8, v11
	v_add_nc_u32_e32 v5, 0x3c000000, v5
	s_delay_alu instid0(VALU_DEP_1) | instskip(NEXT) | instid1(VALU_DEP_1)
	v_and_or_b32 v5, 0x7f800000, v7, v5
	v_cndmask_b32_e32 v3, 0, v5, vcc_lo
	s_delay_alu instid0(VALU_DEP_1) | instskip(NEXT) | instid1(VALU_DEP_1)
	v_and_or_b32 v1, 0x80000000, v1, v3
	v_trunc_f32_e32 v1, v1
	s_delay_alu instid0(VALU_DEP_1) | instskip(SKIP_2) | instid1(VALU_DEP_2)
	v_mul_f32_e64 v3, 0x2f800000, |v1|
	s_wait_xcnt 0x1
	v_ashrrev_i32_e32 v42, 31, v1
	v_floor_f32_e32 v3, v3
	s_delay_alu instid0(VALU_DEP_2) | instskip(NEXT) | instid1(VALU_DEP_2)
	v_mov_b32_e32 v43, v42
	v_fma_f32 v5, 0xcf800000, v3, |v1|
	v_cvt_u32_f32_e32 v1, v3
	s_delay_alu instid0(VALU_DEP_2) | instskip(NEXT) | instid1(VALU_DEP_2)
	v_cvt_u32_f32_e32 v3, v5
	v_xor_b32_e32 v45, v1, v42
	s_delay_alu instid0(VALU_DEP_2) | instskip(NEXT) | instid1(VALU_DEP_1)
	v_xor_b32_e32 v44, v3, v42
	v_sub_nc_u64_e32 v[44:45], v[44:45], v[42:43]
.LBB63_4347:
	s_mov_b32 s1, 0
.LBB63_4348:
	s_delay_alu instid0(SALU_CYCLE_1)
	s_and_not1_b32 vcc_lo, exec_lo, s1
	s_cbranch_vccnz .LBB63_4350
; %bb.4349:
	global_load_u8 v1, v[32:33], off
	s_wait_loadcnt 0x0
	v_lshlrev_b32_e32 v3, 25, v1
	v_lshlrev_b16 v1, 8, v1
	s_delay_alu instid0(VALU_DEP_1) | instskip(SKIP_1) | instid1(VALU_DEP_2)
	v_and_or_b32 v7, 0x7f00, v1, 0.5
	v_bfe_i32 v1, v1, 0, 16
	v_add_f32_e32 v7, -0.5, v7
	v_lshrrev_b32_e32 v5, 4, v3
	v_cmp_gt_u32_e32 vcc_lo, 0x8000000, v3
	s_delay_alu instid0(VALU_DEP_2) | instskip(NEXT) | instid1(VALU_DEP_1)
	v_or_b32_e32 v5, 0x70000000, v5
	v_mul_f32_e32 v5, 0x7800000, v5
	s_delay_alu instid0(VALU_DEP_1) | instskip(NEXT) | instid1(VALU_DEP_1)
	v_cndmask_b32_e32 v3, v5, v7, vcc_lo
	v_and_or_b32 v1, 0x80000000, v1, v3
	s_delay_alu instid0(VALU_DEP_1) | instskip(NEXT) | instid1(VALU_DEP_1)
	v_trunc_f32_e32 v1, v1
	v_mul_f32_e64 v3, 0x2f800000, |v1|
	s_wait_xcnt 0x1
	v_ashrrev_i32_e32 v42, 31, v1
	s_delay_alu instid0(VALU_DEP_2) | instskip(NEXT) | instid1(VALU_DEP_2)
	v_floor_f32_e32 v3, v3
	v_mov_b32_e32 v43, v42
	s_delay_alu instid0(VALU_DEP_2) | instskip(SKIP_1) | instid1(VALU_DEP_2)
	v_fma_f32 v5, 0xcf800000, v3, |v1|
	v_cvt_u32_f32_e32 v1, v3
	v_cvt_u32_f32_e32 v3, v5
	s_delay_alu instid0(VALU_DEP_2) | instskip(NEXT) | instid1(VALU_DEP_2)
	v_xor_b32_e32 v45, v1, v42
	v_xor_b32_e32 v44, v3, v42
	s_delay_alu instid0(VALU_DEP_1)
	v_sub_nc_u64_e32 v[44:45], v[44:45], v[42:43]
.LBB63_4350:
	s_mov_b32 s1, 0
	s_mov_b32 s9, -1
.LBB63_4351:
	s_and_not1_b32 vcc_lo, exec_lo, s1
	s_mov_b32 s1, 0
	s_cbranch_vccnz .LBB63_4362
; %bb.4352:
	s_cmp_gt_i32 s61, 14
	s_cbranch_scc0 .LBB63_4355
; %bb.4353:
	s_cmp_eq_u32 s61, 15
	s_cbranch_scc0 .LBB63_4358
; %bb.4354:
	global_load_u16 v1, v[32:33], off
	s_mov_b32 s0, 0
	s_mov_b32 s9, -1
	s_wait_loadcnt 0x0
	v_lshlrev_b32_e32 v1, 16, v1
	s_delay_alu instid0(VALU_DEP_1) | instskip(NEXT) | instid1(VALU_DEP_1)
	v_trunc_f32_e32 v1, v1
	v_mul_f32_e64 v3, 0x2f800000, |v1|
	s_wait_xcnt 0x1
	v_ashrrev_i32_e32 v42, 31, v1
	s_delay_alu instid0(VALU_DEP_2) | instskip(NEXT) | instid1(VALU_DEP_2)
	v_floor_f32_e32 v3, v3
	v_mov_b32_e32 v43, v42
	s_delay_alu instid0(VALU_DEP_2) | instskip(SKIP_1) | instid1(VALU_DEP_2)
	v_fma_f32 v5, 0xcf800000, v3, |v1|
	v_cvt_u32_f32_e32 v1, v3
	v_cvt_u32_f32_e32 v3, v5
	s_delay_alu instid0(VALU_DEP_2) | instskip(NEXT) | instid1(VALU_DEP_2)
	v_xor_b32_e32 v45, v1, v42
	v_xor_b32_e32 v44, v3, v42
	s_delay_alu instid0(VALU_DEP_1)
	v_sub_nc_u64_e32 v[44:45], v[44:45], v[42:43]
	s_branch .LBB63_4360
.LBB63_4355:
	s_mov_b32 s1, -1
	s_branch .LBB63_4359
.LBB63_4356:
	s_and_not1_saveexec_b32 s1, s1
	s_cbranch_execz .LBB63_4337
.LBB63_4357:
	v_cmp_ne_u16_e32 vcc_lo, 0, v1
	s_and_not1_b32 s9, s9, exec_lo
	s_and_b32 s22, vcc_lo, exec_lo
	s_delay_alu instid0(SALU_CYCLE_1)
	s_or_b32 s9, s9, s22
	s_or_b32 exec_lo, exec_lo, s1
	v_mov_b64_e32 v[44:45], 0
	s_and_saveexec_b32 s1, s9
	s_cbranch_execnz .LBB63_4338
	s_branch .LBB63_4339
.LBB63_4358:
	s_mov_b32 s0, -1
.LBB63_4359:
                                        ; implicit-def: $vgpr44_vgpr45
.LBB63_4360:
	s_and_b32 vcc_lo, exec_lo, s1
	s_mov_b32 s1, 0
	s_cbranch_vccz .LBB63_4362
; %bb.4361:
	s_cmp_lg_u32 s61, 11
	s_mov_b32 s1, -1
	s_cselect_b32 s0, -1, 0
.LBB63_4362:
	s_delay_alu instid0(SALU_CYCLE_1)
	s_and_b32 vcc_lo, exec_lo, s0
	s_cbranch_vccnz .LBB63_4450
; %bb.4363:
	s_and_not1_b32 vcc_lo, exec_lo, s1
	s_cbranch_vccnz .LBB63_4365
.LBB63_4364:
	global_load_u8 v1, v[32:33], off
	s_mov_b32 s0, 0
	s_mov_b32 s9, -1
	s_wait_loadcnt 0x1
	v_mov_b32_e32 v45, s0
	s_wait_loadcnt 0x0
	v_cmp_ne_u16_e32 vcc_lo, 0, v1
	v_cndmask_b32_e64 v44, 0, 1, vcc_lo
.LBB63_4365:
	s_mov_b32 s0, 0
.LBB63_4366:
	s_delay_alu instid0(SALU_CYCLE_1)
	s_and_b32 vcc_lo, exec_lo, s0
	s_cbranch_vccz .LBB63_4415
; %bb.4367:
	s_cmp_lt_i32 s61, 5
	s_cbranch_scc1 .LBB63_4372
; %bb.4368:
	s_cmp_lt_i32 s61, 8
	s_cbranch_scc1 .LBB63_4373
	;; [unrolled: 3-line block ×3, first 2 shown]
; %bb.4370:
	s_cmp_gt_i32 s61, 9
	s_cbranch_scc0 .LBB63_4375
; %bb.4371:
	global_load_b64 v[42:43], v[32:33], off
	s_mov_b32 s0, 0
	s_wait_loadcnt 0x0
	v_trunc_f64_e32 v[42:43], v[42:43]
	s_delay_alu instid0(VALU_DEP_1) | instskip(NEXT) | instid1(VALU_DEP_1)
	v_ldexp_f64 v[44:45], v[42:43], 0xffffffe0
	v_floor_f64_e32 v[44:45], v[44:45]
	s_delay_alu instid0(VALU_DEP_1) | instskip(SKIP_1) | instid1(VALU_DEP_2)
	v_fmamk_f64 v[42:43], v[44:45], 0xc1f00000, v[42:43]
	v_cvt_i32_f64_e32 v45, v[44:45]
	v_cvt_u32_f64_e32 v44, v[42:43]
	s_branch .LBB63_4376
.LBB63_4372:
	s_mov_b32 s0, -1
                                        ; implicit-def: $vgpr44_vgpr45
	s_branch .LBB63_4394
.LBB63_4373:
	s_mov_b32 s0, -1
                                        ; implicit-def: $vgpr44_vgpr45
	s_branch .LBB63_4382
.LBB63_4374:
	s_mov_b32 s0, -1
                                        ; implicit-def: $vgpr44_vgpr45
	s_branch .LBB63_4379
.LBB63_4375:
	s_mov_b32 s0, -1
                                        ; implicit-def: $vgpr44_vgpr45
.LBB63_4376:
	s_delay_alu instid0(SALU_CYCLE_1)
	s_and_not1_b32 vcc_lo, exec_lo, s0
	s_cbranch_vccnz .LBB63_4378
; %bb.4377:
	global_load_b32 v1, v[32:33], off
	s_wait_loadcnt 0x0
	v_trunc_f32_e32 v1, v1
	s_delay_alu instid0(VALU_DEP_1) | instskip(SKIP_2) | instid1(VALU_DEP_2)
	v_mul_f32_e64 v3, 0x2f800000, |v1|
	s_wait_xcnt 0x1
	v_ashrrev_i32_e32 v42, 31, v1
	v_floor_f32_e32 v3, v3
	s_delay_alu instid0(VALU_DEP_1) | instskip(SKIP_1) | instid1(VALU_DEP_4)
	v_fma_f32 v5, 0xcf800000, v3, |v1|
	v_cvt_u32_f32_e32 v1, v3
	v_mov_b32_e32 v43, v42
	s_delay_alu instid0(VALU_DEP_3) | instskip(NEXT) | instid1(VALU_DEP_3)
	v_cvt_u32_f32_e32 v3, v5
	v_xor_b32_e32 v45, v1, v42
	s_delay_alu instid0(VALU_DEP_2) | instskip(NEXT) | instid1(VALU_DEP_1)
	v_xor_b32_e32 v44, v3, v42
	v_sub_nc_u64_e32 v[44:45], v[44:45], v[42:43]
.LBB63_4378:
	s_mov_b32 s0, 0
.LBB63_4379:
	s_delay_alu instid0(SALU_CYCLE_1)
	s_and_not1_b32 vcc_lo, exec_lo, s0
	s_cbranch_vccnz .LBB63_4381
; %bb.4380:
	global_load_b32 v1, v[32:33], off
	s_wait_loadcnt 0x0
	v_cvt_f32_f16_e32 v1, v1
	s_delay_alu instid0(VALU_DEP_1) | instskip(NEXT) | instid1(VALU_DEP_1)
	v_cvt_i32_f32_e32 v44, v1
	v_ashrrev_i32_e32 v45, 31, v44
.LBB63_4381:
	s_mov_b32 s0, 0
.LBB63_4382:
	s_delay_alu instid0(SALU_CYCLE_1)
	s_and_not1_b32 vcc_lo, exec_lo, s0
	s_cbranch_vccnz .LBB63_4393
; %bb.4383:
	s_cmp_lt_i32 s61, 6
	s_cbranch_scc1 .LBB63_4386
; %bb.4384:
	s_cmp_gt_i32 s61, 6
	s_cbranch_scc0 .LBB63_4387
; %bb.4385:
	global_load_b64 v[42:43], v[32:33], off
	s_mov_b32 s0, 0
	s_wait_loadcnt 0x0
	v_trunc_f64_e32 v[42:43], v[42:43]
	s_delay_alu instid0(VALU_DEP_1) | instskip(NEXT) | instid1(VALU_DEP_1)
	v_ldexp_f64 v[44:45], v[42:43], 0xffffffe0
	v_floor_f64_e32 v[44:45], v[44:45]
	s_delay_alu instid0(VALU_DEP_1) | instskip(SKIP_1) | instid1(VALU_DEP_2)
	v_fmamk_f64 v[42:43], v[44:45], 0xc1f00000, v[42:43]
	v_cvt_i32_f64_e32 v45, v[44:45]
	v_cvt_u32_f64_e32 v44, v[42:43]
	s_branch .LBB63_4388
.LBB63_4386:
	s_mov_b32 s0, -1
                                        ; implicit-def: $vgpr44_vgpr45
	s_branch .LBB63_4391
.LBB63_4387:
	s_mov_b32 s0, -1
                                        ; implicit-def: $vgpr44_vgpr45
.LBB63_4388:
	s_delay_alu instid0(SALU_CYCLE_1)
	s_and_not1_b32 vcc_lo, exec_lo, s0
	s_cbranch_vccnz .LBB63_4390
; %bb.4389:
	global_load_b32 v1, v[32:33], off
	s_wait_loadcnt 0x0
	v_trunc_f32_e32 v1, v1
	s_delay_alu instid0(VALU_DEP_1) | instskip(SKIP_2) | instid1(VALU_DEP_2)
	v_mul_f32_e64 v3, 0x2f800000, |v1|
	s_wait_xcnt 0x1
	v_ashrrev_i32_e32 v42, 31, v1
	v_floor_f32_e32 v3, v3
	s_delay_alu instid0(VALU_DEP_1) | instskip(SKIP_1) | instid1(VALU_DEP_4)
	v_fma_f32 v5, 0xcf800000, v3, |v1|
	v_cvt_u32_f32_e32 v1, v3
	v_mov_b32_e32 v43, v42
	s_delay_alu instid0(VALU_DEP_3) | instskip(NEXT) | instid1(VALU_DEP_3)
	v_cvt_u32_f32_e32 v3, v5
	v_xor_b32_e32 v45, v1, v42
	s_delay_alu instid0(VALU_DEP_2) | instskip(NEXT) | instid1(VALU_DEP_1)
	v_xor_b32_e32 v44, v3, v42
	v_sub_nc_u64_e32 v[44:45], v[44:45], v[42:43]
.LBB63_4390:
	s_mov_b32 s0, 0
.LBB63_4391:
	s_delay_alu instid0(SALU_CYCLE_1)
	s_and_not1_b32 vcc_lo, exec_lo, s0
	s_cbranch_vccnz .LBB63_4393
; %bb.4392:
	global_load_u16 v1, v[32:33], off
	s_wait_loadcnt 0x0
	v_cvt_f32_f16_e32 v1, v1
	s_delay_alu instid0(VALU_DEP_1) | instskip(NEXT) | instid1(VALU_DEP_1)
	v_cvt_i32_f32_e32 v44, v1
	v_ashrrev_i32_e32 v45, 31, v44
.LBB63_4393:
	s_mov_b32 s0, 0
.LBB63_4394:
	s_delay_alu instid0(SALU_CYCLE_1)
	s_and_not1_b32 vcc_lo, exec_lo, s0
	s_cbranch_vccnz .LBB63_4414
; %bb.4395:
	s_cmp_lt_i32 s61, 2
	s_cbranch_scc1 .LBB63_4399
; %bb.4396:
	s_cmp_lt_i32 s61, 3
	s_cbranch_scc1 .LBB63_4400
; %bb.4397:
	s_cmp_gt_i32 s61, 3
	s_cbranch_scc0 .LBB63_4401
; %bb.4398:
	s_wait_loadcnt 0x0
	global_load_b64 v[44:45], v[32:33], off
	s_mov_b32 s0, 0
	s_branch .LBB63_4402
.LBB63_4399:
	s_mov_b32 s0, -1
                                        ; implicit-def: $vgpr44_vgpr45
	s_branch .LBB63_4408
.LBB63_4400:
	s_mov_b32 s0, -1
                                        ; implicit-def: $vgpr44_vgpr45
	s_branch .LBB63_4405
.LBB63_4401:
	s_mov_b32 s0, -1
                                        ; implicit-def: $vgpr44_vgpr45
.LBB63_4402:
	s_delay_alu instid0(SALU_CYCLE_1)
	s_and_not1_b32 vcc_lo, exec_lo, s0
	s_cbranch_vccnz .LBB63_4404
; %bb.4403:
	s_wait_loadcnt 0x0
	global_load_b32 v44, v[32:33], off
	s_wait_loadcnt 0x0
	v_ashrrev_i32_e32 v45, 31, v44
.LBB63_4404:
	s_mov_b32 s0, 0
.LBB63_4405:
	s_delay_alu instid0(SALU_CYCLE_1)
	s_and_not1_b32 vcc_lo, exec_lo, s0
	s_cbranch_vccnz .LBB63_4407
; %bb.4406:
	global_load_u16 v1, v[32:33], off
	s_wait_loadcnt 0x0
	v_bfe_i32 v44, v1, 0, 16
	s_delay_alu instid0(VALU_DEP_1)
	v_ashrrev_i32_e32 v45, 31, v44
.LBB63_4407:
	s_mov_b32 s0, 0
.LBB63_4408:
	s_delay_alu instid0(SALU_CYCLE_1)
	s_and_not1_b32 vcc_lo, exec_lo, s0
	s_cbranch_vccnz .LBB63_4414
; %bb.4409:
	s_cmp_gt_i32 s61, 0
	s_mov_b32 s0, 0
	s_cbranch_scc0 .LBB63_4411
; %bb.4410:
	global_load_i8 v1, v[32:33], off
	s_wait_loadcnt 0x0
	v_bfe_i32 v44, v1, 0, 16
	s_delay_alu instid0(VALU_DEP_1)
	v_ashrrev_i32_e32 v45, 31, v44
	s_branch .LBB63_4412
.LBB63_4411:
	s_mov_b32 s0, -1
                                        ; implicit-def: $vgpr44_vgpr45
.LBB63_4412:
	s_delay_alu instid0(SALU_CYCLE_1)
	s_and_not1_b32 vcc_lo, exec_lo, s0
	s_cbranch_vccnz .LBB63_4414
; %bb.4413:
	global_load_u8 v1, v[32:33], off
	s_mov_b32 s0, 0
	s_wait_loadcnt 0x1
	v_mov_b32_e32 v45, s0
	s_wait_loadcnt 0x0
	v_and_b32_e32 v44, 0xffff, v1
.LBB63_4414:
	s_mov_b32 s9, -1
.LBB63_4415:
	s_delay_alu instid0(SALU_CYCLE_1)
	s_and_not1_b32 vcc_lo, exec_lo, s9
	s_cbranch_vccnz .LBB63_4424
; %bb.4416:
	s_mov_b32 s0, exec_lo
	s_wait_loadcnt 0x0
	v_cmpx_ne_u64_e64 v[40:41], v[8:9]
	s_xor_b32 s0, exec_lo, s0
	s_cbranch_execnz .LBB63_4584
.LBB63_4417:
	s_or_saveexec_b32 s49, s0
	s_mov_b32 s1, 0
	s_mov_b32 s9, 0
                                        ; implicit-def: $vgpr42_vgpr43
                                        ; implicit-def: $sgpr0
	s_xor_b32 exec_lo, exec_lo, s49
	s_cbranch_execz .LBB63_5095
; %bb.4418:
	s_mov_b32 s50, s45
	s_mov_b32 s0, exec_lo
	v_cmpx_ne_u64_e64 v[38:39], v[12:13]
	s_xor_b32 s0, exec_lo, s0
	s_cbranch_execnz .LBB63_4712
; %bb.4419:
	s_or_saveexec_b32 s51, s0
                                        ; implicit-def: $vgpr42_vgpr43
                                        ; implicit-def: $sgpr0
	s_delay_alu instid0(SALU_CYCLE_1)
	s_xor_b32 exec_lo, exec_lo, s51
	s_cbranch_execz .LBB63_5094
.LBB63_4420:
	v_sub_nc_u64_e32 v[32:33], v[34:35], v[36:37]
	s_mov_b32 s52, s50
	s_delay_alu instid0(VALU_DEP_1) | instskip(SKIP_2) | instid1(SALU_CYCLE_1)
	v_cmp_gt_i64_e32 vcc_lo, v[8:9], v[32:33]
	v_cmp_lt_i64_e64 s0, s[18:19], v[32:33]
	s_or_b32 s0, vcc_lo, s0
	s_and_saveexec_b32 s1, s0
	s_delay_alu instid0(SALU_CYCLE_1)
	s_xor_b32 s0, exec_lo, s1
	s_cbranch_execnz .LBB63_4840
; %bb.4421:
	s_or_saveexec_b32 s53, s0
	s_mov_b32 s1, 0
                                        ; implicit-def: $vgpr42_vgpr43
                                        ; implicit-def: $sgpr0
	s_xor_b32 exec_lo, exec_lo, s53
	s_cbranch_execz .LBB63_5093
.LBB63_4422:
	v_mov_b64_e32 v[32:33], 0
	s_and_saveexec_b32 s54, s48
	s_cbranch_execz .LBB63_4435
; %bb.4423:
	v_mul_u64_e32 v[38:39], v[44:45], v[12:13]
	s_load_b128 s[24:27], s[2:3], 0x298
	v_mov_b64_e32 v[32:33], 0
	s_mov_b32 s9, s1
	v_mov_b32_e32 v40, 0
	s_lshl_b64 s[28:29], s[8:9], 3
	s_mov_b64 s[22:23], 0xffffffff
	s_mov_b32 s9, s46
	s_wait_kmcnt 0x0
	s_add_nc_u64 s[24:25], s[24:25], s[28:29]
	s_add_nc_u64 s[26:27], s[26:27], s[28:29]
	s_branch .LBB63_4431
.LBB63_4424:
	s_mov_b32 s1, 0
	s_mov_b32 s9, 0
                                        ; implicit-def: $vgpr42_vgpr43
                                        ; implicit-def: $sgpr0
.LBB63_4425:
	s_wait_xcnt 0x0
	s_and_not1_b32 s2, s43, exec_lo
	s_and_b32 s3, s45, exec_lo
	s_and_b32 s9, s9, exec_lo
	;; [unrolled: 1-line block ×3, first 2 shown]
	s_or_b32 s43, s2, s3
.LBB63_4426:
	s_or_b32 exec_lo, exec_lo, s44
	s_wait_xcnt 0x0
	s_and_not1_b32 s2, s41, exec_lo
	s_and_b32 s3, s43, exec_lo
	s_and_b32 s8, s9, exec_lo
	;; [unrolled: 1-line block ×3, first 2 shown]
	s_or_b32 s41, s2, s3
.LBB63_4427:
	s_or_b32 exec_lo, exec_lo, s42
	s_delay_alu instid0(SALU_CYCLE_1)
	s_and_not1_b32 s2, s39, exec_lo
	s_and_b32 s3, s41, exec_lo
	s_and_b32 s8, s8, exec_lo
	;; [unrolled: 1-line block ×3, first 2 shown]
	s_or_b32 s39, s2, s3
.LBB63_4428:
	s_or_b32 exec_lo, exec_lo, s40
	s_delay_alu instid0(SALU_CYCLE_1)
	s_and_not1_b32 s2, s33, exec_lo
	s_and_b32 s3, s39, exec_lo
	s_and_b32 s8, s8, exec_lo
	s_and_b32 s1, s1, exec_lo
	s_or_b32 s33, s2, s3
.LBB63_4429:
	s_or_b32 exec_lo, exec_lo, s38
	s_branch .LBB63_2650
.LBB63_4430:                            ;   in Loop: Header=BB63_4431 Depth=1
	s_or_b32 exec_lo, exec_lo, s0
	global_load_b64 v[44:45], v40, s[26:27]
	v_mul_u64_e32 v[46:47], s[28:29], v[42:43]
	s_add_co_i32 s9, s9, -1
	s_add_nc_u64 s[24:25], s[24:25], -8
	s_cmp_eq_u32 s9, 0
	s_wait_xcnt 0x0
	s_add_nc_u64 s[26:27], s[26:27], -8
	s_delay_alu instid0(VALU_DEP_1) | instskip(SKIP_1) | instid1(VALU_DEP_1)
	v_sub_nc_u64_e32 v[38:39], v[38:39], v[46:47]
	s_wait_loadcnt 0x0
	v_mad_nc_u64_u32 v[32:33], v38, v44, v[32:33]
	s_delay_alu instid0(VALU_DEP_1) | instskip(NEXT) | instid1(VALU_DEP_1)
	v_mad_u32 v1, v39, v44, v33
	v_mad_u32 v33, v38, v45, v1
	v_mov_b64_e32 v[38:39], v[42:43]
	s_cbranch_scc1 .LBB63_4435
.LBB63_4431:                            ; =>This Inner Loop Header: Depth=1
	global_load_b64 v[42:43], v40, s[24:25]
	s_mov_b32 s0, exec_lo
	s_wait_loadcnt 0x0
	v_or_b32_e32 v41, v39, v43
	v_readfirstlane_b32 s28, v42
	v_readfirstlane_b32 s29, v43
                                        ; implicit-def: $vgpr42_vgpr43
	s_wait_xcnt 0x0
	s_delay_alu instid0(VALU_DEP_3)
	v_cmpx_ne_u64_e32 0, v[40:41]
	s_xor_b32 s55, exec_lo, s0
	s_cbranch_execz .LBB63_4433
; %bb.4432:                             ;   in Loop: Header=BB63_4431 Depth=1
	s_ashr_i32 s30, s29, 31
	v_dual_mov_b32 v47, v40 :: v_dual_ashrrev_i32 v42, 31, v39
	s_mov_b32 s31, s30
	s_delay_alu instid0(SALU_CYCLE_1) | instskip(NEXT) | instid1(VALU_DEP_1)
	s_add_nc_u64 s[34:35], s[28:29], s[30:31]
	v_mov_b32_e32 v43, v42
	s_xor_b64 s[34:35], s[34:35], s[30:31]
	s_delay_alu instid0(SALU_CYCLE_1)
	s_cvt_f32_u32 s0, s34
	s_cvt_f32_u32 s31, s35
	s_sub_nc_u64 s[64:65], 0, s[34:35]
	v_add_nc_u64_e32 v[44:45], v[38:39], v[42:43]
	v_mov_b32_e32 v51, v40
	s_fmamk_f32 s0, s31, 0x4f800000, s0
	s_delay_alu instid0(SALU_CYCLE_3) | instskip(NEXT) | instid1(VALU_DEP_2)
	v_s_rcp_f32 s0, s0
	v_xor_b32_e32 v46, v44, v42
	s_delay_alu instid0(VALU_DEP_3) | instskip(SKIP_1) | instid1(TRANS32_DEP_1)
	v_dual_mov_b32 v55, v40 :: v_dual_bitop2_b32 v50, v45, v42 bitop3:0x14
	v_xor_b32_e32 v42, s30, v42
	s_mul_f32 s0, s0, 0x5f7ffffc
	s_delay_alu instid0(VALU_DEP_1) | instskip(NEXT) | instid1(SALU_CYCLE_2)
	v_mov_b32_e32 v43, v42
	s_mul_f32 s31, s0, 0x2f800000
	s_delay_alu instid0(SALU_CYCLE_3) | instskip(NEXT) | instid1(SALU_CYCLE_3)
	s_trunc_f32 s31, s31
	s_fmamk_f32 s0, s31, 0xcf800000, s0
	s_cvt_u32_f32 s63, s31
	s_delay_alu instid0(SALU_CYCLE_2) | instskip(NEXT) | instid1(SALU_CYCLE_3)
	s_cvt_u32_f32 s62, s0
	s_mul_u64 s[66:67], s[64:65], s[62:63]
	s_delay_alu instid0(SALU_CYCLE_1)
	s_mul_hi_u32 s69, s62, s67
	s_mul_i32 s68, s62, s67
	s_mul_hi_u32 s0, s62, s66
	s_mul_i32 s56, s63, s66
	s_add_nc_u64 s[68:69], s[0:1], s[68:69]
	s_mul_hi_u32 s31, s63, s66
	s_mul_hi_u32 s70, s63, s67
	s_add_co_u32 s0, s68, s56
	s_add_co_ci_u32 s0, s69, s31
	s_mul_i32 s66, s63, s67
	s_add_co_ci_u32 s67, s70, 0
	s_delay_alu instid0(SALU_CYCLE_1) | instskip(NEXT) | instid1(SALU_CYCLE_1)
	s_add_nc_u64 s[66:67], s[0:1], s[66:67]
	s_add_co_u32 s62, s62, s66
	s_cselect_b32 s0, -1, 0
	s_delay_alu instid0(SALU_CYCLE_1) | instskip(SKIP_1) | instid1(SALU_CYCLE_1)
	s_cmp_lg_u32 s0, 0
	s_add_co_ci_u32 s63, s63, s67
	s_mul_u64 s[64:65], s[64:65], s[62:63]
	s_delay_alu instid0(SALU_CYCLE_1)
	s_mul_hi_u32 s67, s62, s65
	s_mul_i32 s66, s62, s65
	s_mul_hi_u32 s0, s62, s64
	s_mul_i32 s56, s63, s64
	s_add_nc_u64 s[66:67], s[0:1], s[66:67]
	s_mul_hi_u32 s31, s63, s64
	s_mul_hi_u32 s68, s63, s65
	s_add_co_u32 s0, s66, s56
	s_add_co_ci_u32 s0, s67, s31
	s_mul_i32 s64, s63, s65
	s_add_co_ci_u32 s65, s68, 0
	s_delay_alu instid0(SALU_CYCLE_1) | instskip(NEXT) | instid1(SALU_CYCLE_1)
	s_add_nc_u64 s[64:65], s[0:1], s[64:65]
	s_add_co_u32 s56, s62, s64
	s_cselect_b32 s0, -1, 0
	v_mul_hi_u32 v54, v46, s56
	s_cmp_lg_u32 s0, 0
	s_add_co_ci_u32 s0, s63, s65
	s_and_b64 s[62:63], s[56:57], s[22:23]
	v_mul_u64_e32 v[48:49], s[0:1], v[46:47]
	v_mul_u64_e32 v[44:45], s[62:63], v[50:51]
	;; [unrolled: 1-line block ×3, first 2 shown]
	s_delay_alu instid0(VALU_DEP_3) | instskip(NEXT) | instid1(VALU_DEP_1)
	v_add_nc_u64_e32 v[48:49], v[54:55], v[48:49]
	v_add_co_u32 v1, vcc_lo, v48, v44
	s_delay_alu instid0(VALU_DEP_2) | instskip(NEXT) | instid1(VALU_DEP_4)
	v_add_co_ci_u32_e32 v54, vcc_lo, v49, v45, vcc_lo
	v_add_co_ci_u32_e32 v53, vcc_lo, 0, v53, vcc_lo
	s_delay_alu instid0(VALU_DEP_1) | instskip(NEXT) | instid1(VALU_DEP_1)
	v_add_nc_u64_e32 v[44:45], v[54:55], v[52:53]
	v_mul_u64_e32 v[48:49], s[34:35], v[44:45]
	s_delay_alu instid0(VALU_DEP_1) | instskip(NEXT) | instid1(VALU_DEP_2)
	v_sub_nc_u32_e32 v1, v50, v49
	v_sub_co_u32 v3, vcc_lo, v46, v48
	s_delay_alu instid0(VALU_DEP_1) | instskip(NEXT) | instid1(VALU_DEP_3)
	v_sub_co_ci_u32_e64 v7, null, v50, v49, vcc_lo
	v_subrev_co_ci_u32_e64 v1, null, s35, v1, vcc_lo
	s_delay_alu instid0(VALU_DEP_3) | instskip(SKIP_1) | instid1(VALU_DEP_3)
	v_sub_co_u32 v5, s0, v3, s34
	v_add_nc_u64_e32 v[46:47], 2, v[44:45]
	v_subrev_co_ci_u32_e64 v1, null, 0, v1, s0
	s_delay_alu instid0(VALU_DEP_3) | instskip(SKIP_2) | instid1(VALU_DEP_4)
	v_cmp_le_u32_e32 vcc_lo, s34, v5
	v_add_nc_u64_e32 v[48:49], 1, v[44:45]
	v_cndmask_b32_e64 v5, 0, -1, vcc_lo
	v_cmp_le_u32_e32 vcc_lo, s35, v1
	v_cndmask_b32_e64 v11, 0, -1, vcc_lo
	v_cmp_le_u32_e32 vcc_lo, s34, v3
	;; [unrolled: 2-line block ×3, first 2 shown]
	v_cndmask_b32_e64 v15, 0, -1, vcc_lo
	v_cmp_eq_u32_e32 vcc_lo, s35, v1
	v_cndmask_b32_e32 v1, v11, v5, vcc_lo
	v_cmp_eq_u32_e32 vcc_lo, s35, v7
	s_delay_alu instid0(VALU_DEP_4) | instskip(NEXT) | instid1(VALU_DEP_3)
	v_cndmask_b32_e32 v3, v15, v3, vcc_lo
	v_cmp_ne_u32_e32 vcc_lo, 0, v1
	s_delay_alu instid0(VALU_DEP_2) | instskip(SKIP_1) | instid1(VALU_DEP_1)
	v_cmp_ne_u32_e64 s0, 0, v3
	v_dual_cndmask_b32 v1, v49, v47, vcc_lo :: v_dual_cndmask_b32 v3, v48, v46, vcc_lo
	v_dual_cndmask_b32 v1, v45, v1, s0 :: v_dual_cndmask_b32 v3, v44, v3, s0
	s_delay_alu instid0(VALU_DEP_1) | instskip(NEXT) | instid1(VALU_DEP_2)
	v_xor_b32_e32 v45, v1, v42
	v_xor_b32_e32 v44, v3, v42
	s_delay_alu instid0(VALU_DEP_1)
	v_sub_nc_u64_e32 v[42:43], v[44:45], v[42:43]
.LBB63_4433:                            ;   in Loop: Header=BB63_4431 Depth=1
	s_and_not1_saveexec_b32 s0, s55
	s_cbranch_execz .LBB63_4430
; %bb.4434:                             ;   in Loop: Header=BB63_4431 Depth=1
	v_cvt_f32_u32_e32 v1, s28
	s_sub_co_i32 s30, 0, s28
	v_mov_b32_e32 v43, v40
	s_delay_alu instid0(VALU_DEP_2) | instskip(SKIP_1) | instid1(TRANS32_DEP_1)
	v_rcp_iflag_f32_e32 v1, v1
	v_nop
	v_mul_f32_e32 v1, 0x4f7ffffe, v1
	s_delay_alu instid0(VALU_DEP_1) | instskip(NEXT) | instid1(VALU_DEP_1)
	v_cvt_u32_f32_e32 v1, v1
	v_mul_lo_u32 v3, s30, v1
	s_delay_alu instid0(VALU_DEP_1) | instskip(NEXT) | instid1(VALU_DEP_1)
	v_mul_hi_u32 v3, v1, v3
	v_add_nc_u32_e32 v1, v1, v3
	s_delay_alu instid0(VALU_DEP_1) | instskip(NEXT) | instid1(VALU_DEP_1)
	v_mul_hi_u32 v1, v38, v1
	v_mul_lo_u32 v3, v1, s28
	s_delay_alu instid0(VALU_DEP_1) | instskip(NEXT) | instid1(VALU_DEP_1)
	v_sub_nc_u32_e32 v3, v38, v3
	v_subrev_nc_u32_e32 v7, s28, v3
	v_cmp_le_u32_e32 vcc_lo, s28, v3
	s_delay_alu instid0(VALU_DEP_2) | instskip(NEXT) | instid1(VALU_DEP_1)
	v_dual_add_nc_u32 v5, 1, v1 :: v_dual_cndmask_b32 v3, v3, v7, vcc_lo
	v_cndmask_b32_e32 v1, v1, v5, vcc_lo
	s_delay_alu instid0(VALU_DEP_2) | instskip(NEXT) | instid1(VALU_DEP_2)
	v_cmp_le_u32_e32 vcc_lo, s28, v3
	v_add_nc_u32_e32 v5, 1, v1
	s_delay_alu instid0(VALU_DEP_1)
	v_cndmask_b32_e32 v42, v1, v5, vcc_lo
	s_branch .LBB63_4430
.LBB63_4435:
	s_or_b32 exec_lo, exec_lo, s54
	s_mov_b32 s22, -1
	s_mov_b32 s54, s52
	s_mov_b32 s0, exec_lo
	v_cmpx_gt_i64_e64 v[34:35], v[36:37]
	s_cbranch_execz .LBB63_4442
; %bb.4436:
	s_delay_alu instid0(VALU_DEP_2) | instskip(SKIP_2) | instid1(VALU_DEP_1)
	v_lshlrev_b64_e32 v[32:33], 3, v[32:33]
	s_mov_b32 s9, 0
	s_xor_b32 s22, s47, -1
                                        ; implicit-def: $sgpr1
                                        ; implicit-def: $sgpr24
                                        ; implicit-def: $sgpr23
	v_lshl_add_u64 v[36:37], v[36:37], 3, v[32:33]
	s_wait_kmcnt 0x0
	v_add_nc_u64_e32 v[38:39], s[20:21], v[32:33]
	s_delay_alu instid0(VALU_DEP_2) | instskip(NEXT) | instid1(VALU_DEP_2)
	v_add_nc_u64_e32 v[36:37], s[20:21], v[36:37]
	v_lshl_add_u64 v[34:35], v[34:35], 3, v[38:39]
	s_delay_alu instid0(VALU_DEP_2)
	v_add_nc_u64_e32 v[32:33], 8, v[36:37]
	s_branch .LBB63_4438
.LBB63_4437:                            ;   in Loop: Header=BB63_4438 Depth=1
	s_or_b32 exec_lo, exec_lo, s25
	s_xor_b32 s25, s23, -1
	s_and_b32 s26, exec_lo, s24
	s_delay_alu instid0(SALU_CYCLE_1) | instskip(SKIP_2) | instid1(SALU_CYCLE_1)
	s_or_b32 s9, s26, s9
	s_and_not1_b32 s1, s1, exec_lo
	s_and_b32 s25, s25, exec_lo
	s_or_b32 s1, s1, s25
	s_and_not1_b32 exec_lo, exec_lo, s9
	s_cbranch_execz .LBB63_4440
.LBB63_4438:                            ; =>This Inner Loop Header: Depth=1
	s_or_b32 s23, s23, exec_lo
	s_or_b32 s24, s24, exec_lo
	s_mov_b32 s25, exec_lo
	s_delay_alu instid0(VALU_DEP_1)
	v_cmpx_lt_u64_e64 v[32:33], v[34:35]
	s_cbranch_execz .LBB63_4437
; %bb.4439:                             ;   in Loop: Header=BB63_4438 Depth=1
	global_load_b128 v[36:39], v[32:33], off offset:-8
	s_wait_xcnt 0x0
	v_add_nc_u64_e32 v[32:33], 8, v[32:33]
	s_and_not1_b32 s24, s24, exec_lo
	s_and_not1_b32 s23, s23, exec_lo
	s_wait_loadcnt 0x0
	v_cmp_ge_i64_e32 vcc_lo, v[36:37], v[38:39]
	s_or_b32 s26, s22, vcc_lo
	s_delay_alu instid0(SALU_CYCLE_1) | instskip(NEXT) | instid1(SALU_CYCLE_1)
	s_and_b32 s26, s26, exec_lo
	s_or_b32 s24, s24, s26
	s_branch .LBB63_4437
.LBB63_4440:
	s_or_b32 exec_lo, exec_lo, s9
	s_mov_b32 s9, -1
	s_mov_b32 s22, s52
	s_and_saveexec_b32 s23, s1
	s_delay_alu instid0(SALU_CYCLE_1)
	s_xor_b32 s1, exec_lo, s23
	s_cbranch_execnz .LBB63_4455
.LBB63_4441:
	s_or_b32 exec_lo, exec_lo, s1
	s_delay_alu instid0(SALU_CYCLE_1) | instskip(SKIP_1) | instid1(SALU_CYCLE_1)
	s_and_not1_b32 s1, s52, exec_lo
	s_and_b32 s22, s22, exec_lo
	s_or_b32 s54, s1, s22
	s_or_not1_b32 s22, s9, exec_lo
.LBB63_4442:
	s_or_b32 exec_lo, exec_lo, s0
	s_mov_b32 s1, 0
	s_mov_b32 s9, 0
                                        ; implicit-def: $vgpr42_vgpr43
                                        ; implicit-def: $sgpr0
	s_and_saveexec_b32 s55, s22
	s_cbranch_execz .LBB63_5092
; %bb.4443:
	v_mov_b32_e32 v31, 0
	s_cmp_lt_i32 s57, 11
	s_delay_alu instid0(VALU_DEP_1)
	v_add_nc_u64_e32 v[32:33], s[6:7], v[30:31]
	s_cbranch_scc1 .LBB63_4451
; %bb.4444:
	s_cmp_gt_i32 s57, 25
	s_cbranch_scc0 .LBB63_4452
; %bb.4445:
	s_cmp_gt_i32 s57, 28
	s_cbranch_scc0 .LBB63_4453
	;; [unrolled: 3-line block ×4, first 2 shown]
; %bb.4448:
	s_cmp_eq_u32 s57, 46
	s_mov_b32 s22, 0
	s_cbranch_scc0 .LBB63_4457
; %bb.4449:
	global_load_b32 v1, v[32:33], off
	s_mov_b32 s0, 0
	s_mov_b32 s9, -1
	s_wait_loadcnt 0x0
	v_lshlrev_b32_e32 v1, 16, v1
	s_delay_alu instid0(VALU_DEP_1) | instskip(NEXT) | instid1(VALU_DEP_1)
	v_trunc_f32_e32 v1, v1
	v_mul_f32_e64 v3, 0x2f800000, |v1|
	v_ashrrev_i32_e32 v30, 31, v1
	s_delay_alu instid0(VALU_DEP_2) | instskip(NEXT) | instid1(VALU_DEP_2)
	v_floor_f32_e32 v3, v3
	v_mov_b32_e32 v31, v30
	s_delay_alu instid0(VALU_DEP_2) | instskip(SKIP_1) | instid1(VALU_DEP_2)
	v_fma_f32 v5, 0xcf800000, v3, |v1|
	v_cvt_u32_f32_e32 v1, v3
	v_cvt_u32_f32_e32 v3, v5
	s_delay_alu instid0(VALU_DEP_2) | instskip(NEXT) | instid1(VALU_DEP_2)
	v_xor_b32_e32 v35, v1, v30
	v_xor_b32_e32 v34, v3, v30
	s_delay_alu instid0(VALU_DEP_1)
	v_sub_nc_u64_e32 v[30:31], v[34:35], v[30:31]
	s_branch .LBB63_4459
.LBB63_4450:
	s_or_b32 s45, s45, exec_lo
	s_trap 2
	s_cbranch_execz .LBB63_4364
	s_branch .LBB63_4365
.LBB63_4451:
	s_mov_b32 s0, -1
	s_mov_b32 s56, s54
                                        ; implicit-def: $vgpr30_vgpr31
	s_branch .LBB63_4521
.LBB63_4452:
	s_mov_b32 s22, -1
	s_mov_b32 s0, 0
                                        ; implicit-def: $vgpr30_vgpr31
	s_branch .LBB63_4486
.LBB63_4453:
	s_mov_b32 s22, -1
	s_mov_b32 s0, 0
                                        ; implicit-def: $vgpr30_vgpr31
	s_branch .LBB63_4469
.LBB63_4454:
	s_mov_b32 s22, -1
	s_mov_b32 s0, 0
                                        ; implicit-def: $vgpr30_vgpr31
	s_branch .LBB63_4464
.LBB63_4455:
	s_or_b32 s22, s52, exec_lo
	s_xor_b32 s9, exec_lo, -1
	s_trap 2
	s_branch .LBB63_4441
.LBB63_4456:
	s_mov_b32 s22, -1
	s_mov_b32 s0, 0
	s_branch .LBB63_4458
.LBB63_4457:
	s_mov_b32 s0, -1
.LBB63_4458:
                                        ; implicit-def: $vgpr30_vgpr31
.LBB63_4459:
	s_and_b32 vcc_lo, exec_lo, s22
	s_cbranch_vccz .LBB63_4463
; %bb.4460:
	s_cmp_eq_u32 s57, 44
	s_cbranch_scc0 .LBB63_4462
; %bb.4461:
	global_load_u8 v1, v[32:33], off
	s_mov_b32 s0, 0
	s_mov_b32 s9, -1
	s_wait_loadcnt 0x0
	v_lshlrev_b32_e32 v3, 23, v1
	v_cmp_ne_u32_e32 vcc_lo, 0, v1
	s_delay_alu instid0(VALU_DEP_2) | instskip(NEXT) | instid1(VALU_DEP_1)
	v_trunc_f32_e32 v3, v3
	v_mul_f32_e64 v5, 0x2f800000, |v3|
	v_ashrrev_i32_e32 v30, 31, v3
	s_delay_alu instid0(VALU_DEP_2) | instskip(NEXT) | instid1(VALU_DEP_2)
	v_floor_f32_e32 v5, v5
	v_mov_b32_e32 v31, v30
	s_delay_alu instid0(VALU_DEP_2) | instskip(SKIP_1) | instid1(VALU_DEP_2)
	v_fma_f32 v7, 0xcf800000, v5, |v3|
	v_cvt_u32_f32_e32 v3, v5
	v_cvt_u32_f32_e32 v5, v7
	s_delay_alu instid0(VALU_DEP_2) | instskip(NEXT) | instid1(VALU_DEP_2)
	v_xor_b32_e32 v35, v3, v30
	v_xor_b32_e32 v34, v5, v30
	s_delay_alu instid0(VALU_DEP_1) | instskip(NEXT) | instid1(VALU_DEP_1)
	v_sub_nc_u64_e32 v[30:31], v[34:35], v[30:31]
	v_dual_cndmask_b32 v31, 0, v31 :: v_dual_cndmask_b32 v30, 0, v30
	s_branch .LBB63_4463
.LBB63_4462:
	s_mov_b32 s0, -1
                                        ; implicit-def: $vgpr30_vgpr31
.LBB63_4463:
	s_mov_b32 s22, 0
.LBB63_4464:
	s_delay_alu instid0(SALU_CYCLE_1)
	s_and_b32 vcc_lo, exec_lo, s22
	s_cbranch_vccz .LBB63_4468
; %bb.4465:
	s_cmp_eq_u32 s57, 29
	s_cbranch_scc0 .LBB63_4467
; %bb.4466:
	global_load_b64 v[30:31], v[32:33], off
	s_mov_b32 s0, 0
	s_mov_b32 s9, -1
	s_branch .LBB63_4468
.LBB63_4467:
	s_mov_b32 s0, -1
                                        ; implicit-def: $vgpr30_vgpr31
.LBB63_4468:
	s_mov_b32 s22, 0
.LBB63_4469:
	s_delay_alu instid0(SALU_CYCLE_1)
	s_and_b32 vcc_lo, exec_lo, s22
	s_cbranch_vccz .LBB63_4485
; %bb.4470:
	s_cmp_lt_i32 s57, 27
	s_cbranch_scc1 .LBB63_4473
; %bb.4471:
	s_cmp_gt_i32 s57, 27
	s_cbranch_scc0 .LBB63_4474
; %bb.4472:
	s_wait_loadcnt 0x0
	global_load_b32 v30, v[32:33], off
	v_mov_b32_e32 v31, 0
	s_mov_b32 s9, 0
	s_branch .LBB63_4475
.LBB63_4473:
	s_mov_b32 s9, -1
                                        ; implicit-def: $vgpr30_vgpr31
	s_branch .LBB63_4478
.LBB63_4474:
	s_mov_b32 s9, -1
                                        ; implicit-def: $vgpr30_vgpr31
.LBB63_4475:
	s_delay_alu instid0(SALU_CYCLE_1)
	s_and_not1_b32 vcc_lo, exec_lo, s9
	s_cbranch_vccnz .LBB63_4477
; %bb.4476:
	global_load_u16 v1, v[32:33], off
	s_mov_b32 s9, 0
	s_wait_loadcnt 0x1
	v_mov_b32_e32 v31, s9
	s_wait_loadcnt 0x0
	v_and_b32_e32 v30, 0xffff, v1
.LBB63_4477:
	s_mov_b32 s9, 0
.LBB63_4478:
	s_delay_alu instid0(SALU_CYCLE_1)
	s_and_not1_b32 vcc_lo, exec_lo, s9
	s_cbranch_vccnz .LBB63_4484
; %bb.4479:
	global_load_u8 v1, v[32:33], off
	s_mov_b32 s22, 0
	s_mov_b32 s9, exec_lo
	s_wait_loadcnt 0x0
	v_cmpx_lt_i16_e32 0x7f, v1
	s_xor_b32 s9, exec_lo, s9
	s_cbranch_execz .LBB63_4496
; %bb.4480:
	v_cmp_ne_u16_e32 vcc_lo, 0x80, v1
	s_and_b32 s22, vcc_lo, exec_lo
	s_and_not1_saveexec_b32 s9, s9
	s_cbranch_execnz .LBB63_4497
.LBB63_4481:
	s_or_b32 exec_lo, exec_lo, s9
	v_mov_b64_e32 v[30:31], 0
	s_and_saveexec_b32 s9, s22
	s_cbranch_execz .LBB63_4483
.LBB63_4482:
	v_and_b32_e32 v3, 0xffff, v1
	s_delay_alu instid0(VALU_DEP_1) | instskip(SKIP_1) | instid1(VALU_DEP_2)
	v_dual_lshlrev_b32 v1, 24, v1 :: v_dual_bitop2_b32 v5, 7, v3 bitop3:0x40
	v_bfe_u32 v15, v3, 3, 4
	v_and_b32_e32 v1, 0x80000000, v1
	s_delay_alu instid0(VALU_DEP_3) | instskip(NEXT) | instid1(VALU_DEP_3)
	v_clz_i32_u32_e32 v7, v5
	v_cmp_eq_u32_e32 vcc_lo, 0, v15
	s_delay_alu instid0(VALU_DEP_2) | instskip(NEXT) | instid1(VALU_DEP_1)
	v_min_u32_e32 v7, 32, v7
	v_subrev_nc_u32_e32 v11, 28, v7
	v_sub_nc_u32_e32 v7, 29, v7
	s_delay_alu instid0(VALU_DEP_2) | instskip(NEXT) | instid1(VALU_DEP_2)
	v_lshlrev_b32_e32 v3, v11, v3
	v_cndmask_b32_e32 v7, v15, v7, vcc_lo
	s_delay_alu instid0(VALU_DEP_2) | instskip(NEXT) | instid1(VALU_DEP_1)
	v_and_b32_e32 v3, 7, v3
	v_cndmask_b32_e32 v3, v5, v3, vcc_lo
	s_delay_alu instid0(VALU_DEP_3) | instskip(NEXT) | instid1(VALU_DEP_2)
	v_lshl_add_u32 v5, v7, 23, 0x3b800000
	v_lshlrev_b32_e32 v3, 20, v3
	s_delay_alu instid0(VALU_DEP_1) | instskip(NEXT) | instid1(VALU_DEP_1)
	v_or3_b32 v1, v1, v5, v3
	v_trunc_f32_e32 v1, v1
	s_delay_alu instid0(VALU_DEP_1) | instskip(SKIP_1) | instid1(VALU_DEP_2)
	v_mul_f32_e64 v3, 0x2f800000, |v1|
	v_ashrrev_i32_e32 v30, 31, v1
	v_floor_f32_e32 v3, v3
	s_delay_alu instid0(VALU_DEP_2) | instskip(NEXT) | instid1(VALU_DEP_2)
	v_mov_b32_e32 v31, v30
	v_fma_f32 v5, 0xcf800000, v3, |v1|
	v_cvt_u32_f32_e32 v1, v3
	s_delay_alu instid0(VALU_DEP_2) | instskip(NEXT) | instid1(VALU_DEP_2)
	v_cvt_u32_f32_e32 v3, v5
	v_xor_b32_e32 v35, v1, v30
	s_delay_alu instid0(VALU_DEP_2) | instskip(NEXT) | instid1(VALU_DEP_1)
	v_xor_b32_e32 v34, v3, v30
	v_sub_nc_u64_e32 v[30:31], v[34:35], v[30:31]
.LBB63_4483:
	s_or_b32 exec_lo, exec_lo, s9
.LBB63_4484:
	s_mov_b32 s9, -1
.LBB63_4485:
	s_mov_b32 s22, 0
.LBB63_4486:
	s_delay_alu instid0(SALU_CYCLE_1)
	s_and_b32 vcc_lo, exec_lo, s22
	s_cbranch_vccz .LBB63_4517
; %bb.4487:
	s_cmp_gt_i32 s57, 22
	s_cbranch_scc0 .LBB63_4495
; %bb.4488:
	s_cmp_lt_i32 s57, 24
	s_cbranch_scc1 .LBB63_4498
; %bb.4489:
	s_cmp_gt_i32 s57, 24
	s_cbranch_scc0 .LBB63_4499
; %bb.4490:
	global_load_u8 v1, v[32:33], off
	s_mov_b32 s9, 0
	s_mov_b32 s1, exec_lo
	s_wait_loadcnt 0x0
	v_cmpx_lt_i16_e32 0x7f, v1
	s_xor_b32 s1, exec_lo, s1
	s_cbranch_execz .LBB63_4511
; %bb.4491:
	v_cmp_ne_u16_e32 vcc_lo, 0x80, v1
	s_and_b32 s9, vcc_lo, exec_lo
	s_and_not1_saveexec_b32 s1, s1
	s_cbranch_execnz .LBB63_4512
.LBB63_4492:
	s_or_b32 exec_lo, exec_lo, s1
	v_mov_b64_e32 v[30:31], 0
	s_and_saveexec_b32 s1, s9
	s_cbranch_execz .LBB63_4494
.LBB63_4493:
	v_and_b32_e32 v3, 0xffff, v1
	s_delay_alu instid0(VALU_DEP_1) | instskip(SKIP_1) | instid1(VALU_DEP_2)
	v_dual_lshlrev_b32 v1, 24, v1 :: v_dual_bitop2_b32 v5, 3, v3 bitop3:0x40
	v_bfe_u32 v15, v3, 2, 5
	v_and_b32_e32 v1, 0x80000000, v1
	s_delay_alu instid0(VALU_DEP_3) | instskip(NEXT) | instid1(VALU_DEP_3)
	v_clz_i32_u32_e32 v7, v5
	v_cmp_eq_u32_e32 vcc_lo, 0, v15
	s_delay_alu instid0(VALU_DEP_2) | instskip(NEXT) | instid1(VALU_DEP_1)
	v_min_u32_e32 v7, 32, v7
	v_subrev_nc_u32_e32 v11, 29, v7
	v_sub_nc_u32_e32 v7, 30, v7
	s_delay_alu instid0(VALU_DEP_2) | instskip(NEXT) | instid1(VALU_DEP_2)
	v_lshlrev_b32_e32 v3, v11, v3
	v_cndmask_b32_e32 v7, v15, v7, vcc_lo
	s_delay_alu instid0(VALU_DEP_2) | instskip(NEXT) | instid1(VALU_DEP_1)
	v_and_b32_e32 v3, 3, v3
	v_cndmask_b32_e32 v3, v5, v3, vcc_lo
	s_delay_alu instid0(VALU_DEP_3) | instskip(NEXT) | instid1(VALU_DEP_2)
	v_lshl_add_u32 v5, v7, 23, 0x37800000
	v_lshlrev_b32_e32 v3, 21, v3
	s_delay_alu instid0(VALU_DEP_1) | instskip(NEXT) | instid1(VALU_DEP_1)
	v_or3_b32 v1, v1, v5, v3
	v_trunc_f32_e32 v1, v1
	s_delay_alu instid0(VALU_DEP_1) | instskip(SKIP_1) | instid1(VALU_DEP_2)
	v_mul_f32_e64 v3, 0x2f800000, |v1|
	v_ashrrev_i32_e32 v30, 31, v1
	v_floor_f32_e32 v3, v3
	s_delay_alu instid0(VALU_DEP_2) | instskip(NEXT) | instid1(VALU_DEP_2)
	v_mov_b32_e32 v31, v30
	v_fma_f32 v5, 0xcf800000, v3, |v1|
	v_cvt_u32_f32_e32 v1, v3
	s_delay_alu instid0(VALU_DEP_2) | instskip(NEXT) | instid1(VALU_DEP_2)
	v_cvt_u32_f32_e32 v3, v5
	v_xor_b32_e32 v35, v1, v30
	s_delay_alu instid0(VALU_DEP_2) | instskip(NEXT) | instid1(VALU_DEP_1)
	v_xor_b32_e32 v34, v3, v30
	v_sub_nc_u64_e32 v[30:31], v[34:35], v[30:31]
.LBB63_4494:
	s_or_b32 exec_lo, exec_lo, s1
	s_mov_b32 s1, 0
	s_branch .LBB63_4500
.LBB63_4495:
	s_mov_b32 s1, -1
                                        ; implicit-def: $vgpr30_vgpr31
	s_branch .LBB63_4506
.LBB63_4496:
	s_and_not1_saveexec_b32 s9, s9
	s_cbranch_execz .LBB63_4481
.LBB63_4497:
	v_cmp_ne_u16_e32 vcc_lo, 0, v1
	s_and_not1_b32 s22, s22, exec_lo
	s_and_b32 s23, vcc_lo, exec_lo
	s_delay_alu instid0(SALU_CYCLE_1)
	s_or_b32 s22, s22, s23
	s_or_b32 exec_lo, exec_lo, s9
	v_mov_b64_e32 v[30:31], 0
	s_and_saveexec_b32 s9, s22
	s_cbranch_execnz .LBB63_4482
	s_branch .LBB63_4483
.LBB63_4498:
	s_mov_b32 s1, -1
                                        ; implicit-def: $vgpr30_vgpr31
	s_branch .LBB63_4503
.LBB63_4499:
	s_mov_b32 s1, -1
                                        ; implicit-def: $vgpr30_vgpr31
.LBB63_4500:
	s_delay_alu instid0(SALU_CYCLE_1)
	s_and_b32 vcc_lo, exec_lo, s1
	s_cbranch_vccz .LBB63_4502
; %bb.4501:
	global_load_u8 v1, v[32:33], off
	s_wait_loadcnt 0x0
	v_lshlrev_b32_e32 v1, 24, v1
	s_delay_alu instid0(VALU_DEP_1) | instskip(NEXT) | instid1(VALU_DEP_1)
	v_and_b32_e32 v3, 0x7f000000, v1
	v_clz_i32_u32_e32 v5, v3
	v_add_nc_u32_e32 v11, 0x1000000, v3
	v_cmp_ne_u32_e32 vcc_lo, 0, v3
	s_delay_alu instid0(VALU_DEP_3) | instskip(NEXT) | instid1(VALU_DEP_1)
	v_min_u32_e32 v5, 32, v5
	v_sub_nc_u32_e64 v5, v5, 4 clamp
	s_delay_alu instid0(VALU_DEP_1) | instskip(NEXT) | instid1(VALU_DEP_1)
	v_dual_lshlrev_b32 v7, v5, v3 :: v_dual_lshlrev_b32 v5, 23, v5
	v_lshrrev_b32_e32 v7, 4, v7
	s_delay_alu instid0(VALU_DEP_1) | instskip(NEXT) | instid1(VALU_DEP_1)
	v_dual_sub_nc_u32 v5, v7, v5 :: v_dual_ashrrev_i32 v7, 8, v11
	v_add_nc_u32_e32 v5, 0x3c000000, v5
	s_delay_alu instid0(VALU_DEP_1) | instskip(NEXT) | instid1(VALU_DEP_1)
	v_and_or_b32 v5, 0x7f800000, v7, v5
	v_cndmask_b32_e32 v3, 0, v5, vcc_lo
	s_delay_alu instid0(VALU_DEP_1) | instskip(NEXT) | instid1(VALU_DEP_1)
	v_and_or_b32 v1, 0x80000000, v1, v3
	v_trunc_f32_e32 v1, v1
	s_delay_alu instid0(VALU_DEP_1) | instskip(SKIP_1) | instid1(VALU_DEP_2)
	v_mul_f32_e64 v3, 0x2f800000, |v1|
	v_ashrrev_i32_e32 v30, 31, v1
	v_floor_f32_e32 v3, v3
	s_delay_alu instid0(VALU_DEP_2) | instskip(NEXT) | instid1(VALU_DEP_2)
	v_mov_b32_e32 v31, v30
	v_fma_f32 v5, 0xcf800000, v3, |v1|
	v_cvt_u32_f32_e32 v1, v3
	s_delay_alu instid0(VALU_DEP_2) | instskip(NEXT) | instid1(VALU_DEP_2)
	v_cvt_u32_f32_e32 v3, v5
	v_xor_b32_e32 v35, v1, v30
	s_delay_alu instid0(VALU_DEP_2) | instskip(NEXT) | instid1(VALU_DEP_1)
	v_xor_b32_e32 v34, v3, v30
	v_sub_nc_u64_e32 v[30:31], v[34:35], v[30:31]
.LBB63_4502:
	s_mov_b32 s1, 0
.LBB63_4503:
	s_delay_alu instid0(SALU_CYCLE_1)
	s_and_not1_b32 vcc_lo, exec_lo, s1
	s_cbranch_vccnz .LBB63_4505
; %bb.4504:
	global_load_u8 v1, v[32:33], off
	s_wait_loadcnt 0x0
	v_lshlrev_b32_e32 v3, 25, v1
	v_lshlrev_b16 v1, 8, v1
	s_delay_alu instid0(VALU_DEP_1) | instskip(SKIP_1) | instid1(VALU_DEP_2)
	v_and_or_b32 v7, 0x7f00, v1, 0.5
	v_bfe_i32 v1, v1, 0, 16
	v_add_f32_e32 v7, -0.5, v7
	v_lshrrev_b32_e32 v5, 4, v3
	v_cmp_gt_u32_e32 vcc_lo, 0x8000000, v3
	s_delay_alu instid0(VALU_DEP_2) | instskip(NEXT) | instid1(VALU_DEP_1)
	v_or_b32_e32 v5, 0x70000000, v5
	v_mul_f32_e32 v5, 0x7800000, v5
	s_delay_alu instid0(VALU_DEP_1) | instskip(NEXT) | instid1(VALU_DEP_1)
	v_cndmask_b32_e32 v3, v5, v7, vcc_lo
	v_and_or_b32 v1, 0x80000000, v1, v3
	s_delay_alu instid0(VALU_DEP_1) | instskip(NEXT) | instid1(VALU_DEP_1)
	v_trunc_f32_e32 v1, v1
	v_mul_f32_e64 v3, 0x2f800000, |v1|
	v_ashrrev_i32_e32 v30, 31, v1
	s_delay_alu instid0(VALU_DEP_2) | instskip(NEXT) | instid1(VALU_DEP_2)
	v_floor_f32_e32 v3, v3
	v_mov_b32_e32 v31, v30
	s_delay_alu instid0(VALU_DEP_2) | instskip(SKIP_1) | instid1(VALU_DEP_2)
	v_fma_f32 v5, 0xcf800000, v3, |v1|
	v_cvt_u32_f32_e32 v1, v3
	v_cvt_u32_f32_e32 v3, v5
	s_delay_alu instid0(VALU_DEP_2) | instskip(NEXT) | instid1(VALU_DEP_2)
	v_xor_b32_e32 v35, v1, v30
	v_xor_b32_e32 v34, v3, v30
	s_delay_alu instid0(VALU_DEP_1)
	v_sub_nc_u64_e32 v[30:31], v[34:35], v[30:31]
.LBB63_4505:
	s_mov_b32 s1, 0
	s_mov_b32 s9, -1
.LBB63_4506:
	s_and_not1_b32 vcc_lo, exec_lo, s1
	s_mov_b32 s1, 0
	s_cbranch_vccnz .LBB63_4517
; %bb.4507:
	s_cmp_gt_i32 s57, 14
	s_cbranch_scc0 .LBB63_4510
; %bb.4508:
	s_cmp_eq_u32 s57, 15
	s_cbranch_scc0 .LBB63_4513
; %bb.4509:
	global_load_u16 v1, v[32:33], off
	s_mov_b32 s0, 0
	s_mov_b32 s9, -1
	s_wait_loadcnt 0x0
	v_lshlrev_b32_e32 v1, 16, v1
	s_delay_alu instid0(VALU_DEP_1) | instskip(NEXT) | instid1(VALU_DEP_1)
	v_trunc_f32_e32 v1, v1
	v_mul_f32_e64 v3, 0x2f800000, |v1|
	v_ashrrev_i32_e32 v30, 31, v1
	s_delay_alu instid0(VALU_DEP_2) | instskip(NEXT) | instid1(VALU_DEP_2)
	v_floor_f32_e32 v3, v3
	v_mov_b32_e32 v31, v30
	s_delay_alu instid0(VALU_DEP_2) | instskip(SKIP_1) | instid1(VALU_DEP_2)
	v_fma_f32 v5, 0xcf800000, v3, |v1|
	v_cvt_u32_f32_e32 v1, v3
	v_cvt_u32_f32_e32 v3, v5
	s_delay_alu instid0(VALU_DEP_2) | instskip(NEXT) | instid1(VALU_DEP_2)
	v_xor_b32_e32 v35, v1, v30
	v_xor_b32_e32 v34, v3, v30
	s_delay_alu instid0(VALU_DEP_1)
	v_sub_nc_u64_e32 v[30:31], v[34:35], v[30:31]
	s_branch .LBB63_4515
.LBB63_4510:
	s_mov_b32 s1, -1
	s_branch .LBB63_4514
.LBB63_4511:
	s_and_not1_saveexec_b32 s1, s1
	s_cbranch_execz .LBB63_4492
.LBB63_4512:
	v_cmp_ne_u16_e32 vcc_lo, 0, v1
	s_and_not1_b32 s9, s9, exec_lo
	s_and_b32 s22, vcc_lo, exec_lo
	s_delay_alu instid0(SALU_CYCLE_1)
	s_or_b32 s9, s9, s22
	s_or_b32 exec_lo, exec_lo, s1
	v_mov_b64_e32 v[30:31], 0
	s_and_saveexec_b32 s1, s9
	s_cbranch_execnz .LBB63_4493
	s_branch .LBB63_4494
.LBB63_4513:
	s_mov_b32 s0, -1
.LBB63_4514:
                                        ; implicit-def: $vgpr30_vgpr31
.LBB63_4515:
	s_and_b32 vcc_lo, exec_lo, s1
	s_mov_b32 s1, 0
	s_cbranch_vccz .LBB63_4517
; %bb.4516:
	s_cmp_lg_u32 s57, 11
	s_mov_b32 s1, -1
	s_cselect_b32 s0, -1, 0
.LBB63_4517:
	s_delay_alu instid0(SALU_CYCLE_1)
	s_and_b32 vcc_lo, exec_lo, s0
	s_mov_b32 s56, s54
	s_cbranch_vccnz .LBB63_4582
; %bb.4518:
	s_and_not1_b32 vcc_lo, exec_lo, s1
	s_cbranch_vccnz .LBB63_4520
.LBB63_4519:
	global_load_u8 v1, v[32:33], off
	s_mov_b32 s0, 0
	s_mov_b32 s9, -1
	s_wait_loadcnt 0x1
	v_mov_b32_e32 v31, s0
	s_wait_loadcnt 0x0
	v_cmp_ne_u16_e32 vcc_lo, 0, v1
	v_cndmask_b32_e64 v30, 0, 1, vcc_lo
.LBB63_4520:
	s_mov_b32 s0, 0
.LBB63_4521:
	s_delay_alu instid0(SALU_CYCLE_1)
	s_and_b32 vcc_lo, exec_lo, s0
	s_cbranch_vccz .LBB63_4570
; %bb.4522:
	s_cmp_lt_i32 s57, 5
	s_cbranch_scc1 .LBB63_4527
; %bb.4523:
	s_cmp_lt_i32 s57, 8
	s_cbranch_scc1 .LBB63_4528
	;; [unrolled: 3-line block ×3, first 2 shown]
; %bb.4525:
	s_cmp_gt_i32 s57, 9
	s_cbranch_scc0 .LBB63_4530
; %bb.4526:
	s_wait_loadcnt 0x0
	global_load_b64 v[30:31], v[32:33], off
	s_mov_b32 s0, 0
	s_wait_loadcnt 0x0
	v_trunc_f64_e32 v[30:31], v[30:31]
	s_delay_alu instid0(VALU_DEP_1) | instskip(NEXT) | instid1(VALU_DEP_1)
	v_ldexp_f64 v[34:35], v[30:31], 0xffffffe0
	v_floor_f64_e32 v[34:35], v[34:35]
	s_delay_alu instid0(VALU_DEP_1) | instskip(SKIP_1) | instid1(VALU_DEP_2)
	v_fmamk_f64 v[36:37], v[34:35], 0xc1f00000, v[30:31]
	v_cvt_i32_f64_e32 v31, v[34:35]
	v_cvt_u32_f64_e32 v30, v[36:37]
	s_branch .LBB63_4531
.LBB63_4527:
	s_mov_b32 s0, -1
                                        ; implicit-def: $vgpr30_vgpr31
	s_branch .LBB63_4549
.LBB63_4528:
	s_mov_b32 s0, -1
                                        ; implicit-def: $vgpr30_vgpr31
	s_branch .LBB63_4537
.LBB63_4529:
	s_mov_b32 s0, -1
                                        ; implicit-def: $vgpr30_vgpr31
	s_branch .LBB63_4534
.LBB63_4530:
	s_mov_b32 s0, -1
                                        ; implicit-def: $vgpr30_vgpr31
.LBB63_4531:
	s_delay_alu instid0(SALU_CYCLE_1)
	s_and_not1_b32 vcc_lo, exec_lo, s0
	s_cbranch_vccnz .LBB63_4533
; %bb.4532:
	global_load_b32 v1, v[32:33], off
	s_wait_loadcnt 0x0
	v_trunc_f32_e32 v1, v1
	s_delay_alu instid0(VALU_DEP_1) | instskip(SKIP_1) | instid1(VALU_DEP_2)
	v_mul_f32_e64 v3, 0x2f800000, |v1|
	v_ashrrev_i32_e32 v30, 31, v1
	v_floor_f32_e32 v3, v3
	s_delay_alu instid0(VALU_DEP_1) | instskip(SKIP_1) | instid1(VALU_DEP_4)
	v_fma_f32 v5, 0xcf800000, v3, |v1|
	v_cvt_u32_f32_e32 v1, v3
	v_mov_b32_e32 v31, v30
	s_delay_alu instid0(VALU_DEP_3) | instskip(NEXT) | instid1(VALU_DEP_3)
	v_cvt_u32_f32_e32 v3, v5
	v_xor_b32_e32 v35, v1, v30
	s_delay_alu instid0(VALU_DEP_2) | instskip(NEXT) | instid1(VALU_DEP_1)
	v_xor_b32_e32 v34, v3, v30
	v_sub_nc_u64_e32 v[30:31], v[34:35], v[30:31]
.LBB63_4533:
	s_mov_b32 s0, 0
.LBB63_4534:
	s_delay_alu instid0(SALU_CYCLE_1)
	s_and_not1_b32 vcc_lo, exec_lo, s0
	s_cbranch_vccnz .LBB63_4536
; %bb.4535:
	global_load_b32 v1, v[32:33], off
	s_wait_loadcnt 0x0
	v_cvt_f32_f16_e32 v1, v1
	s_delay_alu instid0(VALU_DEP_1) | instskip(NEXT) | instid1(VALU_DEP_1)
	v_cvt_i32_f32_e32 v30, v1
	v_ashrrev_i32_e32 v31, 31, v30
.LBB63_4536:
	s_mov_b32 s0, 0
.LBB63_4537:
	s_delay_alu instid0(SALU_CYCLE_1)
	s_and_not1_b32 vcc_lo, exec_lo, s0
	s_cbranch_vccnz .LBB63_4548
; %bb.4538:
	s_cmp_lt_i32 s57, 6
	s_cbranch_scc1 .LBB63_4541
; %bb.4539:
	s_cmp_gt_i32 s57, 6
	s_cbranch_scc0 .LBB63_4542
; %bb.4540:
	s_wait_loadcnt 0x0
	global_load_b64 v[30:31], v[32:33], off
	s_mov_b32 s0, 0
	s_wait_loadcnt 0x0
	v_trunc_f64_e32 v[30:31], v[30:31]
	s_delay_alu instid0(VALU_DEP_1) | instskip(NEXT) | instid1(VALU_DEP_1)
	v_ldexp_f64 v[34:35], v[30:31], 0xffffffe0
	v_floor_f64_e32 v[34:35], v[34:35]
	s_delay_alu instid0(VALU_DEP_1) | instskip(SKIP_1) | instid1(VALU_DEP_2)
	v_fmamk_f64 v[36:37], v[34:35], 0xc1f00000, v[30:31]
	v_cvt_i32_f64_e32 v31, v[34:35]
	v_cvt_u32_f64_e32 v30, v[36:37]
	s_branch .LBB63_4543
.LBB63_4541:
	s_mov_b32 s0, -1
                                        ; implicit-def: $vgpr30_vgpr31
	s_branch .LBB63_4546
.LBB63_4542:
	s_mov_b32 s0, -1
                                        ; implicit-def: $vgpr30_vgpr31
.LBB63_4543:
	s_delay_alu instid0(SALU_CYCLE_1)
	s_and_not1_b32 vcc_lo, exec_lo, s0
	s_cbranch_vccnz .LBB63_4545
; %bb.4544:
	global_load_b32 v1, v[32:33], off
	s_wait_loadcnt 0x0
	v_trunc_f32_e32 v1, v1
	s_delay_alu instid0(VALU_DEP_1) | instskip(SKIP_1) | instid1(VALU_DEP_2)
	v_mul_f32_e64 v3, 0x2f800000, |v1|
	v_ashrrev_i32_e32 v30, 31, v1
	v_floor_f32_e32 v3, v3
	s_delay_alu instid0(VALU_DEP_1) | instskip(SKIP_1) | instid1(VALU_DEP_4)
	v_fma_f32 v5, 0xcf800000, v3, |v1|
	v_cvt_u32_f32_e32 v1, v3
	v_mov_b32_e32 v31, v30
	s_delay_alu instid0(VALU_DEP_3) | instskip(NEXT) | instid1(VALU_DEP_3)
	v_cvt_u32_f32_e32 v3, v5
	v_xor_b32_e32 v35, v1, v30
	s_delay_alu instid0(VALU_DEP_2) | instskip(NEXT) | instid1(VALU_DEP_1)
	v_xor_b32_e32 v34, v3, v30
	v_sub_nc_u64_e32 v[30:31], v[34:35], v[30:31]
.LBB63_4545:
	s_mov_b32 s0, 0
.LBB63_4546:
	s_delay_alu instid0(SALU_CYCLE_1)
	s_and_not1_b32 vcc_lo, exec_lo, s0
	s_cbranch_vccnz .LBB63_4548
; %bb.4547:
	global_load_u16 v1, v[32:33], off
	s_wait_loadcnt 0x0
	v_cvt_f32_f16_e32 v1, v1
	s_delay_alu instid0(VALU_DEP_1) | instskip(NEXT) | instid1(VALU_DEP_1)
	v_cvt_i32_f32_e32 v30, v1
	v_ashrrev_i32_e32 v31, 31, v30
.LBB63_4548:
	s_mov_b32 s0, 0
.LBB63_4549:
	s_delay_alu instid0(SALU_CYCLE_1)
	s_and_not1_b32 vcc_lo, exec_lo, s0
	s_cbranch_vccnz .LBB63_4569
; %bb.4550:
	s_cmp_lt_i32 s57, 2
	s_cbranch_scc1 .LBB63_4554
; %bb.4551:
	s_cmp_lt_i32 s57, 3
	s_cbranch_scc1 .LBB63_4555
; %bb.4552:
	s_cmp_gt_i32 s57, 3
	s_cbranch_scc0 .LBB63_4556
; %bb.4553:
	s_wait_loadcnt 0x0
	global_load_b64 v[30:31], v[32:33], off
	s_mov_b32 s0, 0
	s_branch .LBB63_4557
.LBB63_4554:
	s_mov_b32 s0, -1
                                        ; implicit-def: $vgpr30_vgpr31
	s_branch .LBB63_4563
.LBB63_4555:
	s_mov_b32 s0, -1
                                        ; implicit-def: $vgpr30_vgpr31
	s_branch .LBB63_4560
.LBB63_4556:
	s_mov_b32 s0, -1
                                        ; implicit-def: $vgpr30_vgpr31
.LBB63_4557:
	s_delay_alu instid0(SALU_CYCLE_1)
	s_and_not1_b32 vcc_lo, exec_lo, s0
	s_cbranch_vccnz .LBB63_4559
; %bb.4558:
	s_wait_loadcnt 0x0
	global_load_b32 v30, v[32:33], off
	s_wait_loadcnt 0x0
	v_ashrrev_i32_e32 v31, 31, v30
.LBB63_4559:
	s_mov_b32 s0, 0
.LBB63_4560:
	s_delay_alu instid0(SALU_CYCLE_1)
	s_and_not1_b32 vcc_lo, exec_lo, s0
	s_cbranch_vccnz .LBB63_4562
; %bb.4561:
	global_load_u16 v1, v[32:33], off
	s_wait_loadcnt 0x0
	v_bfe_i32 v30, v1, 0, 16
	s_delay_alu instid0(VALU_DEP_1)
	v_ashrrev_i32_e32 v31, 31, v30
.LBB63_4562:
	s_mov_b32 s0, 0
.LBB63_4563:
	s_delay_alu instid0(SALU_CYCLE_1)
	s_and_not1_b32 vcc_lo, exec_lo, s0
	s_cbranch_vccnz .LBB63_4569
; %bb.4564:
	s_cmp_gt_i32 s57, 0
	s_mov_b32 s0, 0
	s_cbranch_scc0 .LBB63_4566
; %bb.4565:
	global_load_i8 v1, v[32:33], off
	s_wait_loadcnt 0x0
	v_bfe_i32 v30, v1, 0, 16
	s_delay_alu instid0(VALU_DEP_1)
	v_ashrrev_i32_e32 v31, 31, v30
	s_branch .LBB63_4567
.LBB63_4566:
	s_mov_b32 s0, -1
                                        ; implicit-def: $vgpr30_vgpr31
.LBB63_4567:
	s_delay_alu instid0(SALU_CYCLE_1)
	s_and_not1_b32 vcc_lo, exec_lo, s0
	s_cbranch_vccnz .LBB63_4569
; %bb.4568:
	global_load_u8 v1, v[32:33], off
	s_mov_b32 s0, 0
	s_wait_loadcnt 0x1
	v_mov_b32_e32 v31, s0
	s_wait_loadcnt 0x0
	v_and_b32_e32 v30, 0xffff, v1
.LBB63_4569:
	s_mov_b32 s9, -1
.LBB63_4570:
	s_delay_alu instid0(SALU_CYCLE_1)
	s_and_not1_b32 vcc_lo, exec_lo, s9
	s_cbranch_vccnz .LBB63_5090
; %bb.4571:
	v_mov_b32_e32 v29, 0
	s_cmp_lt_i32 s58, 11
	s_wait_xcnt 0x0
	s_delay_alu instid0(VALU_DEP_1)
	v_add_nc_u64_e32 v[32:33], s[10:11], v[28:29]
	s_cbranch_scc1 .LBB63_4578
; %bb.4572:
	s_cmp_gt_i32 s58, 25
	s_mov_b32 s1, 0
	s_cbranch_scc0 .LBB63_4579
; %bb.4573:
	s_cmp_gt_i32 s58, 28
	s_cbranch_scc0 .LBB63_4580
; %bb.4574:
	s_cmp_gt_i32 s58, 43
	;; [unrolled: 3-line block ×3, first 2 shown]
	s_cbranch_scc0 .LBB63_4583
; %bb.4576:
	s_cmp_eq_u32 s58, 46
	s_mov_b32 s22, 0
	s_cbranch_scc0 .LBB63_4585
; %bb.4577:
	global_load_b32 v1, v[32:33], off
	s_mov_b32 s0, 0
	s_mov_b32 s9, -1
	s_wait_loadcnt 0x0
	v_lshlrev_b32_e32 v1, 16, v1
	s_delay_alu instid0(VALU_DEP_1) | instskip(NEXT) | instid1(VALU_DEP_1)
	v_trunc_f32_e32 v1, v1
	v_mul_f32_e64 v3, 0x2f800000, |v1|
	v_ashrrev_i32_e32 v28, 31, v1
	s_delay_alu instid0(VALU_DEP_2) | instskip(NEXT) | instid1(VALU_DEP_2)
	v_floor_f32_e32 v3, v3
	v_mov_b32_e32 v29, v28
	s_delay_alu instid0(VALU_DEP_2) | instskip(SKIP_1) | instid1(VALU_DEP_2)
	v_fma_f32 v5, 0xcf800000, v3, |v1|
	v_cvt_u32_f32_e32 v1, v3
	v_cvt_u32_f32_e32 v3, v5
	s_delay_alu instid0(VALU_DEP_2) | instskip(NEXT) | instid1(VALU_DEP_2)
	v_xor_b32_e32 v35, v1, v28
	v_xor_b32_e32 v34, v3, v28
	s_delay_alu instid0(VALU_DEP_1)
	v_sub_nc_u64_e32 v[28:29], v[34:35], v[28:29]
	s_branch .LBB63_4587
.LBB63_4578:
	s_mov_b32 s0, -1
	s_mov_b32 s9, 0
                                        ; implicit-def: $vgpr28_vgpr29
	s_branch .LBB63_4649
.LBB63_4579:
	s_mov_b32 s22, -1
	s_mov_b32 s9, 0
	s_mov_b32 s0, 0
                                        ; implicit-def: $vgpr28_vgpr29
	s_branch .LBB63_4614
.LBB63_4580:
	s_mov_b32 s22, -1
	s_mov_b32 s9, 0
	s_mov_b32 s0, 0
                                        ; implicit-def: $vgpr28_vgpr29
	s_branch .LBB63_4597
.LBB63_4581:
	s_mov_b32 s22, -1
	s_mov_b32 s9, 0
	s_mov_b32 s0, 0
                                        ; implicit-def: $vgpr28_vgpr29
	s_branch .LBB63_4592
.LBB63_4582:
	s_or_b32 s56, s54, exec_lo
	s_trap 2
	s_cbranch_execz .LBB63_4519
	s_branch .LBB63_4520
.LBB63_4583:
	s_mov_b32 s22, -1
	s_mov_b32 s9, 0
	s_mov_b32 s0, 0
	s_branch .LBB63_4586
.LBB63_4584:
	s_or_b32 s45, s45, exec_lo
	s_trap 2
                                        ; implicit-def: $vgpr38_vgpr39
                                        ; implicit-def: $vgpr36_vgpr37
                                        ; implicit-def: $vgpr34_vgpr35
                                        ; implicit-def: $vgpr44_vgpr45
                                        ; implicit-def: $vgpr6
                                        ; implicit-def: $vgpr4
                                        ; implicit-def: $vgpr24
                                        ; implicit-def: $vgpr22
                                        ; implicit-def: $vgpr28
                                        ; implicit-def: $vgpr26
                                        ; implicit-def: $vgpr2
                                        ; implicit-def: $vgpr30
                                        ; implicit-def: $vgpr14
                                        ; implicit-def: $vgpr10
                                        ; implicit-def: $vgpr18
                                        ; implicit-def: $vgpr16
                                        ; implicit-def: $vgpr0
                                        ; implicit-def: $vgpr20
                                        ; implicit-def: $vgpr8_vgpr9
                                        ; implicit-def: $vgpr12_vgpr13
	s_branch .LBB63_4417
.LBB63_4585:
	s_mov_b32 s0, -1
	s_mov_b32 s9, 0
.LBB63_4586:
                                        ; implicit-def: $vgpr28_vgpr29
.LBB63_4587:
	s_and_b32 vcc_lo, exec_lo, s22
	s_cbranch_vccz .LBB63_4591
; %bb.4588:
	s_cmp_eq_u32 s58, 44
	s_cbranch_scc0 .LBB63_4590
; %bb.4589:
	global_load_u8 v1, v[32:33], off
	s_mov_b32 s0, 0
	s_mov_b32 s9, -1
	s_wait_loadcnt 0x0
	v_lshlrev_b32_e32 v3, 23, v1
	v_cmp_ne_u32_e32 vcc_lo, 0, v1
	s_delay_alu instid0(VALU_DEP_2) | instskip(NEXT) | instid1(VALU_DEP_1)
	v_trunc_f32_e32 v3, v3
	v_mul_f32_e64 v5, 0x2f800000, |v3|
	v_ashrrev_i32_e32 v28, 31, v3
	s_delay_alu instid0(VALU_DEP_2) | instskip(NEXT) | instid1(VALU_DEP_2)
	v_floor_f32_e32 v5, v5
	v_mov_b32_e32 v29, v28
	s_delay_alu instid0(VALU_DEP_2) | instskip(SKIP_1) | instid1(VALU_DEP_2)
	v_fma_f32 v7, 0xcf800000, v5, |v3|
	v_cvt_u32_f32_e32 v3, v5
	v_cvt_u32_f32_e32 v5, v7
	s_delay_alu instid0(VALU_DEP_2) | instskip(NEXT) | instid1(VALU_DEP_2)
	v_xor_b32_e32 v35, v3, v28
	v_xor_b32_e32 v34, v5, v28
	s_delay_alu instid0(VALU_DEP_1) | instskip(NEXT) | instid1(VALU_DEP_1)
	v_sub_nc_u64_e32 v[28:29], v[34:35], v[28:29]
	v_dual_cndmask_b32 v29, 0, v29 :: v_dual_cndmask_b32 v28, 0, v28
	s_branch .LBB63_4591
.LBB63_4590:
	s_mov_b32 s0, -1
                                        ; implicit-def: $vgpr28_vgpr29
.LBB63_4591:
	s_mov_b32 s22, 0
.LBB63_4592:
	s_delay_alu instid0(SALU_CYCLE_1)
	s_and_b32 vcc_lo, exec_lo, s22
	s_cbranch_vccz .LBB63_4596
; %bb.4593:
	s_cmp_eq_u32 s58, 29
	s_cbranch_scc0 .LBB63_4595
; %bb.4594:
	global_load_b64 v[28:29], v[32:33], off
	s_mov_b32 s0, 0
	s_mov_b32 s9, -1
	s_branch .LBB63_4596
.LBB63_4595:
	s_mov_b32 s0, -1
                                        ; implicit-def: $vgpr28_vgpr29
.LBB63_4596:
	s_mov_b32 s22, 0
.LBB63_4597:
	s_delay_alu instid0(SALU_CYCLE_1)
	s_and_b32 vcc_lo, exec_lo, s22
	s_cbranch_vccz .LBB63_4613
; %bb.4598:
	s_cmp_lt_i32 s58, 27
	s_cbranch_scc1 .LBB63_4601
; %bb.4599:
	s_cmp_gt_i32 s58, 27
	s_cbranch_scc0 .LBB63_4602
; %bb.4600:
	s_wait_loadcnt 0x0
	global_load_b32 v28, v[32:33], off
	v_mov_b32_e32 v29, 0
	s_mov_b32 s9, 0
	s_branch .LBB63_4603
.LBB63_4601:
	s_mov_b32 s9, -1
                                        ; implicit-def: $vgpr28_vgpr29
	s_branch .LBB63_4606
.LBB63_4602:
	s_mov_b32 s9, -1
                                        ; implicit-def: $vgpr28_vgpr29
.LBB63_4603:
	s_delay_alu instid0(SALU_CYCLE_1)
	s_and_not1_b32 vcc_lo, exec_lo, s9
	s_cbranch_vccnz .LBB63_4605
; %bb.4604:
	global_load_u16 v1, v[32:33], off
	s_mov_b32 s9, 0
	s_wait_loadcnt 0x1
	v_mov_b32_e32 v29, s9
	s_wait_loadcnt 0x0
	v_and_b32_e32 v28, 0xffff, v1
.LBB63_4605:
	s_mov_b32 s9, 0
.LBB63_4606:
	s_delay_alu instid0(SALU_CYCLE_1)
	s_and_not1_b32 vcc_lo, exec_lo, s9
	s_cbranch_vccnz .LBB63_4612
; %bb.4607:
	global_load_u8 v1, v[32:33], off
	s_mov_b32 s22, 0
	s_mov_b32 s9, exec_lo
	s_wait_loadcnt 0x0
	v_cmpx_lt_i16_e32 0x7f, v1
	s_xor_b32 s9, exec_lo, s9
	s_cbranch_execz .LBB63_4624
; %bb.4608:
	v_cmp_ne_u16_e32 vcc_lo, 0x80, v1
	s_and_b32 s22, vcc_lo, exec_lo
	s_and_not1_saveexec_b32 s9, s9
	s_cbranch_execnz .LBB63_4625
.LBB63_4609:
	s_or_b32 exec_lo, exec_lo, s9
	v_mov_b64_e32 v[28:29], 0
	s_and_saveexec_b32 s9, s22
	s_cbranch_execz .LBB63_4611
.LBB63_4610:
	v_and_b32_e32 v3, 0xffff, v1
	s_delay_alu instid0(VALU_DEP_1) | instskip(SKIP_1) | instid1(VALU_DEP_2)
	v_dual_lshlrev_b32 v1, 24, v1 :: v_dual_bitop2_b32 v5, 7, v3 bitop3:0x40
	v_bfe_u32 v15, v3, 3, 4
	v_and_b32_e32 v1, 0x80000000, v1
	s_delay_alu instid0(VALU_DEP_3) | instskip(NEXT) | instid1(VALU_DEP_3)
	v_clz_i32_u32_e32 v7, v5
	v_cmp_eq_u32_e32 vcc_lo, 0, v15
	s_delay_alu instid0(VALU_DEP_2) | instskip(NEXT) | instid1(VALU_DEP_1)
	v_min_u32_e32 v7, 32, v7
	v_subrev_nc_u32_e32 v11, 28, v7
	v_sub_nc_u32_e32 v7, 29, v7
	s_delay_alu instid0(VALU_DEP_2) | instskip(NEXT) | instid1(VALU_DEP_2)
	v_lshlrev_b32_e32 v3, v11, v3
	v_cndmask_b32_e32 v7, v15, v7, vcc_lo
	s_delay_alu instid0(VALU_DEP_2) | instskip(NEXT) | instid1(VALU_DEP_1)
	v_and_b32_e32 v3, 7, v3
	v_cndmask_b32_e32 v3, v5, v3, vcc_lo
	s_delay_alu instid0(VALU_DEP_3) | instskip(NEXT) | instid1(VALU_DEP_2)
	v_lshl_add_u32 v5, v7, 23, 0x3b800000
	v_lshlrev_b32_e32 v3, 20, v3
	s_delay_alu instid0(VALU_DEP_1) | instskip(NEXT) | instid1(VALU_DEP_1)
	v_or3_b32 v1, v1, v5, v3
	v_trunc_f32_e32 v1, v1
	s_delay_alu instid0(VALU_DEP_1) | instskip(SKIP_1) | instid1(VALU_DEP_2)
	v_mul_f32_e64 v3, 0x2f800000, |v1|
	v_ashrrev_i32_e32 v28, 31, v1
	v_floor_f32_e32 v3, v3
	s_delay_alu instid0(VALU_DEP_2) | instskip(NEXT) | instid1(VALU_DEP_2)
	v_mov_b32_e32 v29, v28
	v_fma_f32 v5, 0xcf800000, v3, |v1|
	v_cvt_u32_f32_e32 v1, v3
	s_delay_alu instid0(VALU_DEP_2) | instskip(NEXT) | instid1(VALU_DEP_2)
	v_cvt_u32_f32_e32 v3, v5
	v_xor_b32_e32 v35, v1, v28
	s_delay_alu instid0(VALU_DEP_2) | instskip(NEXT) | instid1(VALU_DEP_1)
	v_xor_b32_e32 v34, v3, v28
	v_sub_nc_u64_e32 v[28:29], v[34:35], v[28:29]
.LBB63_4611:
	s_or_b32 exec_lo, exec_lo, s9
.LBB63_4612:
	s_mov_b32 s9, -1
.LBB63_4613:
	s_mov_b32 s22, 0
.LBB63_4614:
	s_delay_alu instid0(SALU_CYCLE_1)
	s_and_b32 vcc_lo, exec_lo, s22
	s_cbranch_vccz .LBB63_4645
; %bb.4615:
	s_cmp_gt_i32 s58, 22
	s_cbranch_scc0 .LBB63_4623
; %bb.4616:
	s_cmp_lt_i32 s58, 24
	s_cbranch_scc1 .LBB63_4626
; %bb.4617:
	s_cmp_gt_i32 s58, 24
	s_cbranch_scc0 .LBB63_4627
; %bb.4618:
	global_load_u8 v1, v[32:33], off
	s_mov_b32 s9, 0
	s_mov_b32 s1, exec_lo
	s_wait_loadcnt 0x0
	v_cmpx_lt_i16_e32 0x7f, v1
	s_xor_b32 s1, exec_lo, s1
	s_cbranch_execz .LBB63_4639
; %bb.4619:
	v_cmp_ne_u16_e32 vcc_lo, 0x80, v1
	s_and_b32 s9, vcc_lo, exec_lo
	s_and_not1_saveexec_b32 s1, s1
	s_cbranch_execnz .LBB63_4640
.LBB63_4620:
	s_or_b32 exec_lo, exec_lo, s1
	v_mov_b64_e32 v[28:29], 0
	s_and_saveexec_b32 s1, s9
	s_cbranch_execz .LBB63_4622
.LBB63_4621:
	v_and_b32_e32 v3, 0xffff, v1
	s_delay_alu instid0(VALU_DEP_1) | instskip(SKIP_1) | instid1(VALU_DEP_2)
	v_dual_lshlrev_b32 v1, 24, v1 :: v_dual_bitop2_b32 v5, 3, v3 bitop3:0x40
	v_bfe_u32 v15, v3, 2, 5
	v_and_b32_e32 v1, 0x80000000, v1
	s_delay_alu instid0(VALU_DEP_3) | instskip(NEXT) | instid1(VALU_DEP_3)
	v_clz_i32_u32_e32 v7, v5
	v_cmp_eq_u32_e32 vcc_lo, 0, v15
	s_delay_alu instid0(VALU_DEP_2) | instskip(NEXT) | instid1(VALU_DEP_1)
	v_min_u32_e32 v7, 32, v7
	v_subrev_nc_u32_e32 v11, 29, v7
	v_sub_nc_u32_e32 v7, 30, v7
	s_delay_alu instid0(VALU_DEP_2) | instskip(NEXT) | instid1(VALU_DEP_2)
	v_lshlrev_b32_e32 v3, v11, v3
	v_cndmask_b32_e32 v7, v15, v7, vcc_lo
	s_delay_alu instid0(VALU_DEP_2) | instskip(NEXT) | instid1(VALU_DEP_1)
	v_and_b32_e32 v3, 3, v3
	v_cndmask_b32_e32 v3, v5, v3, vcc_lo
	s_delay_alu instid0(VALU_DEP_3) | instskip(NEXT) | instid1(VALU_DEP_2)
	v_lshl_add_u32 v5, v7, 23, 0x37800000
	v_lshlrev_b32_e32 v3, 21, v3
	s_delay_alu instid0(VALU_DEP_1) | instskip(NEXT) | instid1(VALU_DEP_1)
	v_or3_b32 v1, v1, v5, v3
	v_trunc_f32_e32 v1, v1
	s_delay_alu instid0(VALU_DEP_1) | instskip(SKIP_1) | instid1(VALU_DEP_2)
	v_mul_f32_e64 v3, 0x2f800000, |v1|
	v_ashrrev_i32_e32 v28, 31, v1
	v_floor_f32_e32 v3, v3
	s_delay_alu instid0(VALU_DEP_2) | instskip(NEXT) | instid1(VALU_DEP_2)
	v_mov_b32_e32 v29, v28
	v_fma_f32 v5, 0xcf800000, v3, |v1|
	v_cvt_u32_f32_e32 v1, v3
	s_delay_alu instid0(VALU_DEP_2) | instskip(NEXT) | instid1(VALU_DEP_2)
	v_cvt_u32_f32_e32 v3, v5
	v_xor_b32_e32 v35, v1, v28
	s_delay_alu instid0(VALU_DEP_2) | instskip(NEXT) | instid1(VALU_DEP_1)
	v_xor_b32_e32 v34, v3, v28
	v_sub_nc_u64_e32 v[28:29], v[34:35], v[28:29]
.LBB63_4622:
	s_or_b32 exec_lo, exec_lo, s1
	s_mov_b32 s1, 0
	s_branch .LBB63_4628
.LBB63_4623:
	s_mov_b32 s1, -1
                                        ; implicit-def: $vgpr28_vgpr29
	s_branch .LBB63_4634
.LBB63_4624:
	s_and_not1_saveexec_b32 s9, s9
	s_cbranch_execz .LBB63_4609
.LBB63_4625:
	v_cmp_ne_u16_e32 vcc_lo, 0, v1
	s_and_not1_b32 s22, s22, exec_lo
	s_and_b32 s23, vcc_lo, exec_lo
	s_delay_alu instid0(SALU_CYCLE_1)
	s_or_b32 s22, s22, s23
	s_or_b32 exec_lo, exec_lo, s9
	v_mov_b64_e32 v[28:29], 0
	s_and_saveexec_b32 s9, s22
	s_cbranch_execnz .LBB63_4610
	s_branch .LBB63_4611
.LBB63_4626:
	s_mov_b32 s1, -1
                                        ; implicit-def: $vgpr28_vgpr29
	s_branch .LBB63_4631
.LBB63_4627:
	s_mov_b32 s1, -1
                                        ; implicit-def: $vgpr28_vgpr29
.LBB63_4628:
	s_delay_alu instid0(SALU_CYCLE_1)
	s_and_b32 vcc_lo, exec_lo, s1
	s_cbranch_vccz .LBB63_4630
; %bb.4629:
	global_load_u8 v1, v[32:33], off
	s_wait_loadcnt 0x0
	v_lshlrev_b32_e32 v1, 24, v1
	s_delay_alu instid0(VALU_DEP_1) | instskip(NEXT) | instid1(VALU_DEP_1)
	v_and_b32_e32 v3, 0x7f000000, v1
	v_clz_i32_u32_e32 v5, v3
	v_add_nc_u32_e32 v11, 0x1000000, v3
	v_cmp_ne_u32_e32 vcc_lo, 0, v3
	s_delay_alu instid0(VALU_DEP_3) | instskip(NEXT) | instid1(VALU_DEP_1)
	v_min_u32_e32 v5, 32, v5
	v_sub_nc_u32_e64 v5, v5, 4 clamp
	s_delay_alu instid0(VALU_DEP_1) | instskip(NEXT) | instid1(VALU_DEP_1)
	v_dual_lshlrev_b32 v7, v5, v3 :: v_dual_lshlrev_b32 v5, 23, v5
	v_lshrrev_b32_e32 v7, 4, v7
	s_delay_alu instid0(VALU_DEP_1) | instskip(NEXT) | instid1(VALU_DEP_1)
	v_dual_sub_nc_u32 v5, v7, v5 :: v_dual_ashrrev_i32 v7, 8, v11
	v_add_nc_u32_e32 v5, 0x3c000000, v5
	s_delay_alu instid0(VALU_DEP_1) | instskip(NEXT) | instid1(VALU_DEP_1)
	v_and_or_b32 v5, 0x7f800000, v7, v5
	v_cndmask_b32_e32 v3, 0, v5, vcc_lo
	s_delay_alu instid0(VALU_DEP_1) | instskip(NEXT) | instid1(VALU_DEP_1)
	v_and_or_b32 v1, 0x80000000, v1, v3
	v_trunc_f32_e32 v1, v1
	s_delay_alu instid0(VALU_DEP_1) | instskip(SKIP_1) | instid1(VALU_DEP_2)
	v_mul_f32_e64 v3, 0x2f800000, |v1|
	v_ashrrev_i32_e32 v28, 31, v1
	v_floor_f32_e32 v3, v3
	s_delay_alu instid0(VALU_DEP_2) | instskip(NEXT) | instid1(VALU_DEP_2)
	v_mov_b32_e32 v29, v28
	v_fma_f32 v5, 0xcf800000, v3, |v1|
	v_cvt_u32_f32_e32 v1, v3
	s_delay_alu instid0(VALU_DEP_2) | instskip(NEXT) | instid1(VALU_DEP_2)
	v_cvt_u32_f32_e32 v3, v5
	v_xor_b32_e32 v35, v1, v28
	s_delay_alu instid0(VALU_DEP_2) | instskip(NEXT) | instid1(VALU_DEP_1)
	v_xor_b32_e32 v34, v3, v28
	v_sub_nc_u64_e32 v[28:29], v[34:35], v[28:29]
.LBB63_4630:
	s_mov_b32 s1, 0
.LBB63_4631:
	s_delay_alu instid0(SALU_CYCLE_1)
	s_and_not1_b32 vcc_lo, exec_lo, s1
	s_cbranch_vccnz .LBB63_4633
; %bb.4632:
	global_load_u8 v1, v[32:33], off
	s_wait_loadcnt 0x0
	v_lshlrev_b32_e32 v3, 25, v1
	v_lshlrev_b16 v1, 8, v1
	s_delay_alu instid0(VALU_DEP_1) | instskip(SKIP_1) | instid1(VALU_DEP_2)
	v_and_or_b32 v7, 0x7f00, v1, 0.5
	v_bfe_i32 v1, v1, 0, 16
	v_add_f32_e32 v7, -0.5, v7
	v_lshrrev_b32_e32 v5, 4, v3
	v_cmp_gt_u32_e32 vcc_lo, 0x8000000, v3
	s_delay_alu instid0(VALU_DEP_2) | instskip(NEXT) | instid1(VALU_DEP_1)
	v_or_b32_e32 v5, 0x70000000, v5
	v_mul_f32_e32 v5, 0x7800000, v5
	s_delay_alu instid0(VALU_DEP_1) | instskip(NEXT) | instid1(VALU_DEP_1)
	v_cndmask_b32_e32 v3, v5, v7, vcc_lo
	v_and_or_b32 v1, 0x80000000, v1, v3
	s_delay_alu instid0(VALU_DEP_1) | instskip(NEXT) | instid1(VALU_DEP_1)
	v_trunc_f32_e32 v1, v1
	v_mul_f32_e64 v3, 0x2f800000, |v1|
	v_ashrrev_i32_e32 v28, 31, v1
	s_delay_alu instid0(VALU_DEP_2) | instskip(NEXT) | instid1(VALU_DEP_2)
	v_floor_f32_e32 v3, v3
	v_mov_b32_e32 v29, v28
	s_delay_alu instid0(VALU_DEP_2) | instskip(SKIP_1) | instid1(VALU_DEP_2)
	v_fma_f32 v5, 0xcf800000, v3, |v1|
	v_cvt_u32_f32_e32 v1, v3
	v_cvt_u32_f32_e32 v3, v5
	s_delay_alu instid0(VALU_DEP_2) | instskip(NEXT) | instid1(VALU_DEP_2)
	v_xor_b32_e32 v35, v1, v28
	v_xor_b32_e32 v34, v3, v28
	s_delay_alu instid0(VALU_DEP_1)
	v_sub_nc_u64_e32 v[28:29], v[34:35], v[28:29]
.LBB63_4633:
	s_mov_b32 s1, 0
	s_mov_b32 s9, -1
.LBB63_4634:
	s_and_not1_b32 vcc_lo, exec_lo, s1
	s_mov_b32 s1, 0
	s_cbranch_vccnz .LBB63_4645
; %bb.4635:
	s_cmp_gt_i32 s58, 14
	s_cbranch_scc0 .LBB63_4638
; %bb.4636:
	s_cmp_eq_u32 s58, 15
	s_cbranch_scc0 .LBB63_4641
; %bb.4637:
	global_load_u16 v1, v[32:33], off
	s_mov_b32 s0, 0
	s_mov_b32 s9, -1
	s_wait_loadcnt 0x0
	v_lshlrev_b32_e32 v1, 16, v1
	s_delay_alu instid0(VALU_DEP_1) | instskip(NEXT) | instid1(VALU_DEP_1)
	v_trunc_f32_e32 v1, v1
	v_mul_f32_e64 v3, 0x2f800000, |v1|
	v_ashrrev_i32_e32 v28, 31, v1
	s_delay_alu instid0(VALU_DEP_2) | instskip(NEXT) | instid1(VALU_DEP_2)
	v_floor_f32_e32 v3, v3
	v_mov_b32_e32 v29, v28
	s_delay_alu instid0(VALU_DEP_2) | instskip(SKIP_1) | instid1(VALU_DEP_2)
	v_fma_f32 v5, 0xcf800000, v3, |v1|
	v_cvt_u32_f32_e32 v1, v3
	v_cvt_u32_f32_e32 v3, v5
	s_delay_alu instid0(VALU_DEP_2) | instskip(NEXT) | instid1(VALU_DEP_2)
	v_xor_b32_e32 v35, v1, v28
	v_xor_b32_e32 v34, v3, v28
	s_delay_alu instid0(VALU_DEP_1)
	v_sub_nc_u64_e32 v[28:29], v[34:35], v[28:29]
	s_branch .LBB63_4643
.LBB63_4638:
	s_mov_b32 s1, -1
	s_branch .LBB63_4642
.LBB63_4639:
	s_and_not1_saveexec_b32 s1, s1
	s_cbranch_execz .LBB63_4620
.LBB63_4640:
	v_cmp_ne_u16_e32 vcc_lo, 0, v1
	s_and_not1_b32 s9, s9, exec_lo
	s_and_b32 s22, vcc_lo, exec_lo
	s_delay_alu instid0(SALU_CYCLE_1)
	s_or_b32 s9, s9, s22
	s_or_b32 exec_lo, exec_lo, s1
	v_mov_b64_e32 v[28:29], 0
	s_and_saveexec_b32 s1, s9
	s_cbranch_execnz .LBB63_4621
	s_branch .LBB63_4622
.LBB63_4641:
	s_mov_b32 s0, -1
.LBB63_4642:
                                        ; implicit-def: $vgpr28_vgpr29
.LBB63_4643:
	s_and_b32 vcc_lo, exec_lo, s1
	s_mov_b32 s1, 0
	s_cbranch_vccz .LBB63_4645
; %bb.4644:
	s_cmp_lg_u32 s58, 11
	s_mov_b32 s1, -1
	s_cselect_b32 s0, -1, 0
.LBB63_4645:
	s_delay_alu instid0(SALU_CYCLE_1)
	s_and_b32 vcc_lo, exec_lo, s0
	s_cbranch_vccnz .LBB63_4710
; %bb.4646:
	s_and_not1_b32 vcc_lo, exec_lo, s1
	s_cbranch_vccnz .LBB63_4648
.LBB63_4647:
	global_load_u8 v1, v[32:33], off
	s_mov_b32 s0, 0
	s_mov_b32 s9, -1
	s_wait_loadcnt 0x1
	v_mov_b32_e32 v29, s0
	s_wait_loadcnt 0x0
	v_cmp_ne_u16_e32 vcc_lo, 0, v1
	v_cndmask_b32_e64 v28, 0, 1, vcc_lo
.LBB63_4648:
	s_mov_b32 s0, 0
.LBB63_4649:
	s_delay_alu instid0(SALU_CYCLE_1)
	s_and_b32 vcc_lo, exec_lo, s0
	s_cbranch_vccz .LBB63_4698
; %bb.4650:
	s_cmp_lt_i32 s58, 5
	s_cbranch_scc1 .LBB63_4655
; %bb.4651:
	s_cmp_lt_i32 s58, 8
	s_cbranch_scc1 .LBB63_4656
	;; [unrolled: 3-line block ×3, first 2 shown]
; %bb.4653:
	s_cmp_gt_i32 s58, 9
	s_cbranch_scc0 .LBB63_4658
; %bb.4654:
	s_wait_loadcnt 0x0
	global_load_b64 v[28:29], v[32:33], off
	s_mov_b32 s0, 0
	s_wait_loadcnt 0x0
	v_trunc_f64_e32 v[28:29], v[28:29]
	s_delay_alu instid0(VALU_DEP_1) | instskip(NEXT) | instid1(VALU_DEP_1)
	v_ldexp_f64 v[34:35], v[28:29], 0xffffffe0
	v_floor_f64_e32 v[34:35], v[34:35]
	s_delay_alu instid0(VALU_DEP_1) | instskip(SKIP_1) | instid1(VALU_DEP_2)
	v_fmamk_f64 v[36:37], v[34:35], 0xc1f00000, v[28:29]
	v_cvt_i32_f64_e32 v29, v[34:35]
	v_cvt_u32_f64_e32 v28, v[36:37]
	s_branch .LBB63_4659
.LBB63_4655:
	s_mov_b32 s0, -1
                                        ; implicit-def: $vgpr28_vgpr29
	s_branch .LBB63_4677
.LBB63_4656:
	s_mov_b32 s0, -1
                                        ; implicit-def: $vgpr28_vgpr29
	s_branch .LBB63_4665
.LBB63_4657:
	s_mov_b32 s0, -1
                                        ; implicit-def: $vgpr28_vgpr29
	s_branch .LBB63_4662
.LBB63_4658:
	s_mov_b32 s0, -1
                                        ; implicit-def: $vgpr28_vgpr29
.LBB63_4659:
	s_delay_alu instid0(SALU_CYCLE_1)
	s_and_not1_b32 vcc_lo, exec_lo, s0
	s_cbranch_vccnz .LBB63_4661
; %bb.4660:
	global_load_b32 v1, v[32:33], off
	s_wait_loadcnt 0x0
	v_trunc_f32_e32 v1, v1
	s_delay_alu instid0(VALU_DEP_1) | instskip(SKIP_1) | instid1(VALU_DEP_2)
	v_mul_f32_e64 v3, 0x2f800000, |v1|
	v_ashrrev_i32_e32 v28, 31, v1
	v_floor_f32_e32 v3, v3
	s_delay_alu instid0(VALU_DEP_1) | instskip(SKIP_1) | instid1(VALU_DEP_4)
	v_fma_f32 v5, 0xcf800000, v3, |v1|
	v_cvt_u32_f32_e32 v1, v3
	v_mov_b32_e32 v29, v28
	s_delay_alu instid0(VALU_DEP_3) | instskip(NEXT) | instid1(VALU_DEP_3)
	v_cvt_u32_f32_e32 v3, v5
	v_xor_b32_e32 v35, v1, v28
	s_delay_alu instid0(VALU_DEP_2) | instskip(NEXT) | instid1(VALU_DEP_1)
	v_xor_b32_e32 v34, v3, v28
	v_sub_nc_u64_e32 v[28:29], v[34:35], v[28:29]
.LBB63_4661:
	s_mov_b32 s0, 0
.LBB63_4662:
	s_delay_alu instid0(SALU_CYCLE_1)
	s_and_not1_b32 vcc_lo, exec_lo, s0
	s_cbranch_vccnz .LBB63_4664
; %bb.4663:
	global_load_b32 v1, v[32:33], off
	s_wait_loadcnt 0x0
	v_cvt_f32_f16_e32 v1, v1
	s_delay_alu instid0(VALU_DEP_1) | instskip(NEXT) | instid1(VALU_DEP_1)
	v_cvt_i32_f32_e32 v28, v1
	v_ashrrev_i32_e32 v29, 31, v28
.LBB63_4664:
	s_mov_b32 s0, 0
.LBB63_4665:
	s_delay_alu instid0(SALU_CYCLE_1)
	s_and_not1_b32 vcc_lo, exec_lo, s0
	s_cbranch_vccnz .LBB63_4676
; %bb.4666:
	s_cmp_lt_i32 s58, 6
	s_cbranch_scc1 .LBB63_4669
; %bb.4667:
	s_cmp_gt_i32 s58, 6
	s_cbranch_scc0 .LBB63_4670
; %bb.4668:
	s_wait_loadcnt 0x0
	global_load_b64 v[28:29], v[32:33], off
	s_mov_b32 s0, 0
	s_wait_loadcnt 0x0
	v_trunc_f64_e32 v[28:29], v[28:29]
	s_delay_alu instid0(VALU_DEP_1) | instskip(NEXT) | instid1(VALU_DEP_1)
	v_ldexp_f64 v[34:35], v[28:29], 0xffffffe0
	v_floor_f64_e32 v[34:35], v[34:35]
	s_delay_alu instid0(VALU_DEP_1) | instskip(SKIP_1) | instid1(VALU_DEP_2)
	v_fmamk_f64 v[36:37], v[34:35], 0xc1f00000, v[28:29]
	v_cvt_i32_f64_e32 v29, v[34:35]
	v_cvt_u32_f64_e32 v28, v[36:37]
	s_branch .LBB63_4671
.LBB63_4669:
	s_mov_b32 s0, -1
                                        ; implicit-def: $vgpr28_vgpr29
	s_branch .LBB63_4674
.LBB63_4670:
	s_mov_b32 s0, -1
                                        ; implicit-def: $vgpr28_vgpr29
.LBB63_4671:
	s_delay_alu instid0(SALU_CYCLE_1)
	s_and_not1_b32 vcc_lo, exec_lo, s0
	s_cbranch_vccnz .LBB63_4673
; %bb.4672:
	global_load_b32 v1, v[32:33], off
	s_wait_loadcnt 0x0
	v_trunc_f32_e32 v1, v1
	s_delay_alu instid0(VALU_DEP_1) | instskip(SKIP_1) | instid1(VALU_DEP_2)
	v_mul_f32_e64 v3, 0x2f800000, |v1|
	v_ashrrev_i32_e32 v28, 31, v1
	v_floor_f32_e32 v3, v3
	s_delay_alu instid0(VALU_DEP_1) | instskip(SKIP_1) | instid1(VALU_DEP_4)
	v_fma_f32 v5, 0xcf800000, v3, |v1|
	v_cvt_u32_f32_e32 v1, v3
	v_mov_b32_e32 v29, v28
	s_delay_alu instid0(VALU_DEP_3) | instskip(NEXT) | instid1(VALU_DEP_3)
	v_cvt_u32_f32_e32 v3, v5
	v_xor_b32_e32 v35, v1, v28
	s_delay_alu instid0(VALU_DEP_2) | instskip(NEXT) | instid1(VALU_DEP_1)
	v_xor_b32_e32 v34, v3, v28
	v_sub_nc_u64_e32 v[28:29], v[34:35], v[28:29]
.LBB63_4673:
	s_mov_b32 s0, 0
.LBB63_4674:
	s_delay_alu instid0(SALU_CYCLE_1)
	s_and_not1_b32 vcc_lo, exec_lo, s0
	s_cbranch_vccnz .LBB63_4676
; %bb.4675:
	global_load_u16 v1, v[32:33], off
	s_wait_loadcnt 0x0
	v_cvt_f32_f16_e32 v1, v1
	s_delay_alu instid0(VALU_DEP_1) | instskip(NEXT) | instid1(VALU_DEP_1)
	v_cvt_i32_f32_e32 v28, v1
	v_ashrrev_i32_e32 v29, 31, v28
.LBB63_4676:
	s_mov_b32 s0, 0
.LBB63_4677:
	s_delay_alu instid0(SALU_CYCLE_1)
	s_and_not1_b32 vcc_lo, exec_lo, s0
	s_cbranch_vccnz .LBB63_4697
; %bb.4678:
	s_cmp_lt_i32 s58, 2
	s_cbranch_scc1 .LBB63_4682
; %bb.4679:
	s_cmp_lt_i32 s58, 3
	s_cbranch_scc1 .LBB63_4683
; %bb.4680:
	s_cmp_gt_i32 s58, 3
	s_cbranch_scc0 .LBB63_4684
; %bb.4681:
	s_wait_loadcnt 0x0
	global_load_b64 v[28:29], v[32:33], off
	s_mov_b32 s0, 0
	s_branch .LBB63_4685
.LBB63_4682:
	s_mov_b32 s0, -1
                                        ; implicit-def: $vgpr28_vgpr29
	s_branch .LBB63_4691
.LBB63_4683:
	s_mov_b32 s0, -1
                                        ; implicit-def: $vgpr28_vgpr29
	s_branch .LBB63_4688
.LBB63_4684:
	s_mov_b32 s0, -1
                                        ; implicit-def: $vgpr28_vgpr29
.LBB63_4685:
	s_delay_alu instid0(SALU_CYCLE_1)
	s_and_not1_b32 vcc_lo, exec_lo, s0
	s_cbranch_vccnz .LBB63_4687
; %bb.4686:
	s_wait_loadcnt 0x0
	global_load_b32 v28, v[32:33], off
	s_wait_loadcnt 0x0
	v_ashrrev_i32_e32 v29, 31, v28
.LBB63_4687:
	s_mov_b32 s0, 0
.LBB63_4688:
	s_delay_alu instid0(SALU_CYCLE_1)
	s_and_not1_b32 vcc_lo, exec_lo, s0
	s_cbranch_vccnz .LBB63_4690
; %bb.4689:
	global_load_u16 v1, v[32:33], off
	s_wait_loadcnt 0x0
	v_bfe_i32 v28, v1, 0, 16
	s_delay_alu instid0(VALU_DEP_1)
	v_ashrrev_i32_e32 v29, 31, v28
.LBB63_4690:
	s_mov_b32 s0, 0
.LBB63_4691:
	s_delay_alu instid0(SALU_CYCLE_1)
	s_and_not1_b32 vcc_lo, exec_lo, s0
	s_cbranch_vccnz .LBB63_4697
; %bb.4692:
	s_cmp_gt_i32 s58, 0
	s_mov_b32 s0, 0
	s_cbranch_scc0 .LBB63_4694
; %bb.4693:
	global_load_i8 v1, v[32:33], off
	s_wait_loadcnt 0x0
	v_bfe_i32 v28, v1, 0, 16
	s_delay_alu instid0(VALU_DEP_1)
	v_ashrrev_i32_e32 v29, 31, v28
	s_branch .LBB63_4695
.LBB63_4694:
	s_mov_b32 s0, -1
                                        ; implicit-def: $vgpr28_vgpr29
.LBB63_4695:
	s_delay_alu instid0(SALU_CYCLE_1)
	s_and_not1_b32 vcc_lo, exec_lo, s0
	s_cbranch_vccnz .LBB63_4697
; %bb.4696:
	global_load_u8 v1, v[32:33], off
	s_mov_b32 s0, 0
	s_wait_loadcnt 0x1
	v_mov_b32_e32 v29, s0
	s_wait_loadcnt 0x0
	v_and_b32_e32 v28, 0xffff, v1
.LBB63_4697:
	s_mov_b32 s9, -1
.LBB63_4698:
	s_delay_alu instid0(SALU_CYCLE_1)
	s_and_not1_b32 vcc_lo, exec_lo, s9
	s_cbranch_vccnz .LBB63_5090
; %bb.4699:
	v_mov_b32_e32 v27, 0
	s_cmp_lt_i32 s59, 11
	s_wait_xcnt 0x0
	s_delay_alu instid0(VALU_DEP_1)
	v_add_nc_u64_e32 v[32:33], s[12:13], v[26:27]
	s_cbranch_scc1 .LBB63_4706
; %bb.4700:
	s_cmp_gt_i32 s59, 25
	s_mov_b32 s1, 0
	s_cbranch_scc0 .LBB63_4707
; %bb.4701:
	s_cmp_gt_i32 s59, 28
	s_cbranch_scc0 .LBB63_4708
; %bb.4702:
	s_cmp_gt_i32 s59, 43
	;; [unrolled: 3-line block ×3, first 2 shown]
	s_cbranch_scc0 .LBB63_4711
; %bb.4704:
	s_cmp_eq_u32 s59, 46
	s_mov_b32 s22, 0
	s_cbranch_scc0 .LBB63_4713
; %bb.4705:
	global_load_b32 v1, v[32:33], off
	s_mov_b32 s0, 0
	s_mov_b32 s9, -1
	s_wait_loadcnt 0x0
	v_lshlrev_b32_e32 v1, 16, v1
	s_delay_alu instid0(VALU_DEP_1) | instskip(NEXT) | instid1(VALU_DEP_1)
	v_trunc_f32_e32 v1, v1
	v_mul_f32_e64 v3, 0x2f800000, |v1|
	v_ashrrev_i32_e32 v26, 31, v1
	s_delay_alu instid0(VALU_DEP_2) | instskip(NEXT) | instid1(VALU_DEP_2)
	v_floor_f32_e32 v3, v3
	v_mov_b32_e32 v27, v26
	s_delay_alu instid0(VALU_DEP_2) | instskip(SKIP_1) | instid1(VALU_DEP_2)
	v_fma_f32 v5, 0xcf800000, v3, |v1|
	v_cvt_u32_f32_e32 v1, v3
	v_cvt_u32_f32_e32 v3, v5
	s_delay_alu instid0(VALU_DEP_2) | instskip(NEXT) | instid1(VALU_DEP_2)
	v_xor_b32_e32 v35, v1, v26
	v_xor_b32_e32 v34, v3, v26
	s_delay_alu instid0(VALU_DEP_1)
	v_sub_nc_u64_e32 v[26:27], v[34:35], v[26:27]
	s_branch .LBB63_4715
.LBB63_4706:
	s_mov_b32 s0, -1
	s_mov_b32 s9, 0
                                        ; implicit-def: $vgpr26_vgpr27
	s_branch .LBB63_4777
.LBB63_4707:
	s_mov_b32 s22, -1
	s_mov_b32 s9, 0
	s_mov_b32 s0, 0
                                        ; implicit-def: $vgpr26_vgpr27
	s_branch .LBB63_4742
.LBB63_4708:
	s_mov_b32 s22, -1
	s_mov_b32 s9, 0
	s_mov_b32 s0, 0
                                        ; implicit-def: $vgpr26_vgpr27
	s_branch .LBB63_4725
.LBB63_4709:
	s_mov_b32 s22, -1
	s_mov_b32 s9, 0
	s_mov_b32 s0, 0
                                        ; implicit-def: $vgpr26_vgpr27
	s_branch .LBB63_4720
.LBB63_4710:
	s_or_b32 s56, s56, exec_lo
	s_trap 2
	s_cbranch_execz .LBB63_4647
	s_branch .LBB63_4648
.LBB63_4711:
	s_mov_b32 s22, -1
	s_mov_b32 s9, 0
	s_mov_b32 s0, 0
	s_branch .LBB63_4714
.LBB63_4712:
	s_or_b32 s50, s45, exec_lo
	s_trap 2
                                        ; implicit-def: $vgpr36_vgpr37
                                        ; implicit-def: $vgpr34_vgpr35
                                        ; implicit-def: $vgpr44_vgpr45
                                        ; implicit-def: $vgpr6
                                        ; implicit-def: $vgpr4
                                        ; implicit-def: $vgpr24
                                        ; implicit-def: $vgpr22
                                        ; implicit-def: $vgpr28
                                        ; implicit-def: $vgpr26
                                        ; implicit-def: $vgpr2
                                        ; implicit-def: $vgpr30
                                        ; implicit-def: $vgpr14
                                        ; implicit-def: $vgpr10
                                        ; implicit-def: $vgpr18
                                        ; implicit-def: $vgpr16
                                        ; implicit-def: $vgpr0
                                        ; implicit-def: $vgpr20
                                        ; implicit-def: $vgpr8_vgpr9
                                        ; implicit-def: $vgpr12_vgpr13
	s_or_saveexec_b32 s51, s0
                                        ; implicit-def: $vgpr42_vgpr43
                                        ; implicit-def: $sgpr0
	s_delay_alu instid0(SALU_CYCLE_1)
	s_xor_b32 exec_lo, exec_lo, s51
	s_cbranch_execz .LBB63_5094
	s_branch .LBB63_4420
.LBB63_4713:
	s_mov_b32 s0, -1
	s_mov_b32 s9, 0
.LBB63_4714:
                                        ; implicit-def: $vgpr26_vgpr27
.LBB63_4715:
	s_and_b32 vcc_lo, exec_lo, s22
	s_cbranch_vccz .LBB63_4719
; %bb.4716:
	s_cmp_eq_u32 s59, 44
	s_cbranch_scc0 .LBB63_4718
; %bb.4717:
	global_load_u8 v1, v[32:33], off
	s_mov_b32 s0, 0
	s_mov_b32 s9, -1
	s_wait_loadcnt 0x0
	v_lshlrev_b32_e32 v3, 23, v1
	v_cmp_ne_u32_e32 vcc_lo, 0, v1
	s_delay_alu instid0(VALU_DEP_2) | instskip(NEXT) | instid1(VALU_DEP_1)
	v_trunc_f32_e32 v3, v3
	v_mul_f32_e64 v5, 0x2f800000, |v3|
	v_ashrrev_i32_e32 v26, 31, v3
	s_delay_alu instid0(VALU_DEP_2) | instskip(NEXT) | instid1(VALU_DEP_2)
	v_floor_f32_e32 v5, v5
	v_mov_b32_e32 v27, v26
	s_delay_alu instid0(VALU_DEP_2) | instskip(SKIP_1) | instid1(VALU_DEP_2)
	v_fma_f32 v7, 0xcf800000, v5, |v3|
	v_cvt_u32_f32_e32 v3, v5
	v_cvt_u32_f32_e32 v5, v7
	s_delay_alu instid0(VALU_DEP_2) | instskip(NEXT) | instid1(VALU_DEP_2)
	v_xor_b32_e32 v35, v3, v26
	v_xor_b32_e32 v34, v5, v26
	s_delay_alu instid0(VALU_DEP_1) | instskip(NEXT) | instid1(VALU_DEP_1)
	v_sub_nc_u64_e32 v[26:27], v[34:35], v[26:27]
	v_dual_cndmask_b32 v27, 0, v27 :: v_dual_cndmask_b32 v26, 0, v26
	s_branch .LBB63_4719
.LBB63_4718:
	s_mov_b32 s0, -1
                                        ; implicit-def: $vgpr26_vgpr27
.LBB63_4719:
	s_mov_b32 s22, 0
.LBB63_4720:
	s_delay_alu instid0(SALU_CYCLE_1)
	s_and_b32 vcc_lo, exec_lo, s22
	s_cbranch_vccz .LBB63_4724
; %bb.4721:
	s_cmp_eq_u32 s59, 29
	s_cbranch_scc0 .LBB63_4723
; %bb.4722:
	global_load_b64 v[26:27], v[32:33], off
	s_mov_b32 s0, 0
	s_mov_b32 s9, -1
	s_branch .LBB63_4724
.LBB63_4723:
	s_mov_b32 s0, -1
                                        ; implicit-def: $vgpr26_vgpr27
.LBB63_4724:
	s_mov_b32 s22, 0
.LBB63_4725:
	s_delay_alu instid0(SALU_CYCLE_1)
	s_and_b32 vcc_lo, exec_lo, s22
	s_cbranch_vccz .LBB63_4741
; %bb.4726:
	s_cmp_lt_i32 s59, 27
	s_cbranch_scc1 .LBB63_4729
; %bb.4727:
	s_cmp_gt_i32 s59, 27
	s_cbranch_scc0 .LBB63_4730
; %bb.4728:
	s_wait_loadcnt 0x0
	global_load_b32 v26, v[32:33], off
	v_mov_b32_e32 v27, 0
	s_mov_b32 s9, 0
	s_branch .LBB63_4731
.LBB63_4729:
	s_mov_b32 s9, -1
                                        ; implicit-def: $vgpr26_vgpr27
	s_branch .LBB63_4734
.LBB63_4730:
	s_mov_b32 s9, -1
                                        ; implicit-def: $vgpr26_vgpr27
.LBB63_4731:
	s_delay_alu instid0(SALU_CYCLE_1)
	s_and_not1_b32 vcc_lo, exec_lo, s9
	s_cbranch_vccnz .LBB63_4733
; %bb.4732:
	global_load_u16 v1, v[32:33], off
	s_mov_b32 s9, 0
	s_wait_loadcnt 0x1
	v_mov_b32_e32 v27, s9
	s_wait_loadcnt 0x0
	v_and_b32_e32 v26, 0xffff, v1
.LBB63_4733:
	s_mov_b32 s9, 0
.LBB63_4734:
	s_delay_alu instid0(SALU_CYCLE_1)
	s_and_not1_b32 vcc_lo, exec_lo, s9
	s_cbranch_vccnz .LBB63_4740
; %bb.4735:
	global_load_u8 v1, v[32:33], off
	s_mov_b32 s22, 0
	s_mov_b32 s9, exec_lo
	s_wait_loadcnt 0x0
	v_cmpx_lt_i16_e32 0x7f, v1
	s_xor_b32 s9, exec_lo, s9
	s_cbranch_execz .LBB63_4752
; %bb.4736:
	v_cmp_ne_u16_e32 vcc_lo, 0x80, v1
	s_and_b32 s22, vcc_lo, exec_lo
	s_and_not1_saveexec_b32 s9, s9
	s_cbranch_execnz .LBB63_4753
.LBB63_4737:
	s_or_b32 exec_lo, exec_lo, s9
	v_mov_b64_e32 v[26:27], 0
	s_and_saveexec_b32 s9, s22
	s_cbranch_execz .LBB63_4739
.LBB63_4738:
	v_and_b32_e32 v3, 0xffff, v1
	s_delay_alu instid0(VALU_DEP_1) | instskip(SKIP_1) | instid1(VALU_DEP_2)
	v_dual_lshlrev_b32 v1, 24, v1 :: v_dual_bitop2_b32 v5, 7, v3 bitop3:0x40
	v_bfe_u32 v15, v3, 3, 4
	v_and_b32_e32 v1, 0x80000000, v1
	s_delay_alu instid0(VALU_DEP_3) | instskip(NEXT) | instid1(VALU_DEP_3)
	v_clz_i32_u32_e32 v7, v5
	v_cmp_eq_u32_e32 vcc_lo, 0, v15
	s_delay_alu instid0(VALU_DEP_2) | instskip(NEXT) | instid1(VALU_DEP_1)
	v_min_u32_e32 v7, 32, v7
	v_subrev_nc_u32_e32 v11, 28, v7
	v_sub_nc_u32_e32 v7, 29, v7
	s_delay_alu instid0(VALU_DEP_2) | instskip(NEXT) | instid1(VALU_DEP_2)
	v_lshlrev_b32_e32 v3, v11, v3
	v_cndmask_b32_e32 v7, v15, v7, vcc_lo
	s_delay_alu instid0(VALU_DEP_2) | instskip(NEXT) | instid1(VALU_DEP_1)
	v_and_b32_e32 v3, 7, v3
	v_cndmask_b32_e32 v3, v5, v3, vcc_lo
	s_delay_alu instid0(VALU_DEP_3) | instskip(NEXT) | instid1(VALU_DEP_2)
	v_lshl_add_u32 v5, v7, 23, 0x3b800000
	v_lshlrev_b32_e32 v3, 20, v3
	s_delay_alu instid0(VALU_DEP_1) | instskip(NEXT) | instid1(VALU_DEP_1)
	v_or3_b32 v1, v1, v5, v3
	v_trunc_f32_e32 v1, v1
	s_delay_alu instid0(VALU_DEP_1) | instskip(SKIP_1) | instid1(VALU_DEP_2)
	v_mul_f32_e64 v3, 0x2f800000, |v1|
	v_ashrrev_i32_e32 v26, 31, v1
	v_floor_f32_e32 v3, v3
	s_delay_alu instid0(VALU_DEP_2) | instskip(NEXT) | instid1(VALU_DEP_2)
	v_mov_b32_e32 v27, v26
	v_fma_f32 v5, 0xcf800000, v3, |v1|
	v_cvt_u32_f32_e32 v1, v3
	s_delay_alu instid0(VALU_DEP_2) | instskip(NEXT) | instid1(VALU_DEP_2)
	v_cvt_u32_f32_e32 v3, v5
	v_xor_b32_e32 v35, v1, v26
	s_delay_alu instid0(VALU_DEP_2) | instskip(NEXT) | instid1(VALU_DEP_1)
	v_xor_b32_e32 v34, v3, v26
	v_sub_nc_u64_e32 v[26:27], v[34:35], v[26:27]
.LBB63_4739:
	s_or_b32 exec_lo, exec_lo, s9
.LBB63_4740:
	s_mov_b32 s9, -1
.LBB63_4741:
	s_mov_b32 s22, 0
.LBB63_4742:
	s_delay_alu instid0(SALU_CYCLE_1)
	s_and_b32 vcc_lo, exec_lo, s22
	s_cbranch_vccz .LBB63_4773
; %bb.4743:
	s_cmp_gt_i32 s59, 22
	s_cbranch_scc0 .LBB63_4751
; %bb.4744:
	s_cmp_lt_i32 s59, 24
	s_cbranch_scc1 .LBB63_4754
; %bb.4745:
	s_cmp_gt_i32 s59, 24
	s_cbranch_scc0 .LBB63_4755
; %bb.4746:
	global_load_u8 v1, v[32:33], off
	s_mov_b32 s9, 0
	s_mov_b32 s1, exec_lo
	s_wait_loadcnt 0x0
	v_cmpx_lt_i16_e32 0x7f, v1
	s_xor_b32 s1, exec_lo, s1
	s_cbranch_execz .LBB63_4767
; %bb.4747:
	v_cmp_ne_u16_e32 vcc_lo, 0x80, v1
	s_and_b32 s9, vcc_lo, exec_lo
	s_and_not1_saveexec_b32 s1, s1
	s_cbranch_execnz .LBB63_4768
.LBB63_4748:
	s_or_b32 exec_lo, exec_lo, s1
	v_mov_b64_e32 v[26:27], 0
	s_and_saveexec_b32 s1, s9
	s_cbranch_execz .LBB63_4750
.LBB63_4749:
	v_and_b32_e32 v3, 0xffff, v1
	s_delay_alu instid0(VALU_DEP_1) | instskip(SKIP_1) | instid1(VALU_DEP_2)
	v_dual_lshlrev_b32 v1, 24, v1 :: v_dual_bitop2_b32 v5, 3, v3 bitop3:0x40
	v_bfe_u32 v15, v3, 2, 5
	v_and_b32_e32 v1, 0x80000000, v1
	s_delay_alu instid0(VALU_DEP_3) | instskip(NEXT) | instid1(VALU_DEP_3)
	v_clz_i32_u32_e32 v7, v5
	v_cmp_eq_u32_e32 vcc_lo, 0, v15
	s_delay_alu instid0(VALU_DEP_2) | instskip(NEXT) | instid1(VALU_DEP_1)
	v_min_u32_e32 v7, 32, v7
	v_subrev_nc_u32_e32 v11, 29, v7
	v_sub_nc_u32_e32 v7, 30, v7
	s_delay_alu instid0(VALU_DEP_2) | instskip(NEXT) | instid1(VALU_DEP_2)
	v_lshlrev_b32_e32 v3, v11, v3
	v_cndmask_b32_e32 v7, v15, v7, vcc_lo
	s_delay_alu instid0(VALU_DEP_2) | instskip(NEXT) | instid1(VALU_DEP_1)
	v_and_b32_e32 v3, 3, v3
	v_cndmask_b32_e32 v3, v5, v3, vcc_lo
	s_delay_alu instid0(VALU_DEP_3) | instskip(NEXT) | instid1(VALU_DEP_2)
	v_lshl_add_u32 v5, v7, 23, 0x37800000
	v_lshlrev_b32_e32 v3, 21, v3
	s_delay_alu instid0(VALU_DEP_1) | instskip(NEXT) | instid1(VALU_DEP_1)
	v_or3_b32 v1, v1, v5, v3
	v_trunc_f32_e32 v1, v1
	s_delay_alu instid0(VALU_DEP_1) | instskip(SKIP_1) | instid1(VALU_DEP_2)
	v_mul_f32_e64 v3, 0x2f800000, |v1|
	v_ashrrev_i32_e32 v26, 31, v1
	v_floor_f32_e32 v3, v3
	s_delay_alu instid0(VALU_DEP_2) | instskip(NEXT) | instid1(VALU_DEP_2)
	v_mov_b32_e32 v27, v26
	v_fma_f32 v5, 0xcf800000, v3, |v1|
	v_cvt_u32_f32_e32 v1, v3
	s_delay_alu instid0(VALU_DEP_2) | instskip(NEXT) | instid1(VALU_DEP_2)
	v_cvt_u32_f32_e32 v3, v5
	v_xor_b32_e32 v35, v1, v26
	s_delay_alu instid0(VALU_DEP_2) | instskip(NEXT) | instid1(VALU_DEP_1)
	v_xor_b32_e32 v34, v3, v26
	v_sub_nc_u64_e32 v[26:27], v[34:35], v[26:27]
.LBB63_4750:
	s_or_b32 exec_lo, exec_lo, s1
	s_mov_b32 s1, 0
	s_branch .LBB63_4756
.LBB63_4751:
	s_mov_b32 s1, -1
                                        ; implicit-def: $vgpr26_vgpr27
	s_branch .LBB63_4762
.LBB63_4752:
	s_and_not1_saveexec_b32 s9, s9
	s_cbranch_execz .LBB63_4737
.LBB63_4753:
	v_cmp_ne_u16_e32 vcc_lo, 0, v1
	s_and_not1_b32 s22, s22, exec_lo
	s_and_b32 s23, vcc_lo, exec_lo
	s_delay_alu instid0(SALU_CYCLE_1)
	s_or_b32 s22, s22, s23
	s_or_b32 exec_lo, exec_lo, s9
	v_mov_b64_e32 v[26:27], 0
	s_and_saveexec_b32 s9, s22
	s_cbranch_execnz .LBB63_4738
	s_branch .LBB63_4739
.LBB63_4754:
	s_mov_b32 s1, -1
                                        ; implicit-def: $vgpr26_vgpr27
	s_branch .LBB63_4759
.LBB63_4755:
	s_mov_b32 s1, -1
                                        ; implicit-def: $vgpr26_vgpr27
.LBB63_4756:
	s_delay_alu instid0(SALU_CYCLE_1)
	s_and_b32 vcc_lo, exec_lo, s1
	s_cbranch_vccz .LBB63_4758
; %bb.4757:
	global_load_u8 v1, v[32:33], off
	s_wait_loadcnt 0x0
	v_lshlrev_b32_e32 v1, 24, v1
	s_delay_alu instid0(VALU_DEP_1) | instskip(NEXT) | instid1(VALU_DEP_1)
	v_and_b32_e32 v3, 0x7f000000, v1
	v_clz_i32_u32_e32 v5, v3
	v_add_nc_u32_e32 v11, 0x1000000, v3
	v_cmp_ne_u32_e32 vcc_lo, 0, v3
	s_delay_alu instid0(VALU_DEP_3) | instskip(NEXT) | instid1(VALU_DEP_1)
	v_min_u32_e32 v5, 32, v5
	v_sub_nc_u32_e64 v5, v5, 4 clamp
	s_delay_alu instid0(VALU_DEP_1) | instskip(NEXT) | instid1(VALU_DEP_1)
	v_dual_lshlrev_b32 v7, v5, v3 :: v_dual_lshlrev_b32 v5, 23, v5
	v_lshrrev_b32_e32 v7, 4, v7
	s_delay_alu instid0(VALU_DEP_1) | instskip(NEXT) | instid1(VALU_DEP_1)
	v_dual_sub_nc_u32 v5, v7, v5 :: v_dual_ashrrev_i32 v7, 8, v11
	v_add_nc_u32_e32 v5, 0x3c000000, v5
	s_delay_alu instid0(VALU_DEP_1) | instskip(NEXT) | instid1(VALU_DEP_1)
	v_and_or_b32 v5, 0x7f800000, v7, v5
	v_cndmask_b32_e32 v3, 0, v5, vcc_lo
	s_delay_alu instid0(VALU_DEP_1) | instskip(NEXT) | instid1(VALU_DEP_1)
	v_and_or_b32 v1, 0x80000000, v1, v3
	v_trunc_f32_e32 v1, v1
	s_delay_alu instid0(VALU_DEP_1) | instskip(SKIP_1) | instid1(VALU_DEP_2)
	v_mul_f32_e64 v3, 0x2f800000, |v1|
	v_ashrrev_i32_e32 v26, 31, v1
	v_floor_f32_e32 v3, v3
	s_delay_alu instid0(VALU_DEP_2) | instskip(NEXT) | instid1(VALU_DEP_2)
	v_mov_b32_e32 v27, v26
	v_fma_f32 v5, 0xcf800000, v3, |v1|
	v_cvt_u32_f32_e32 v1, v3
	s_delay_alu instid0(VALU_DEP_2) | instskip(NEXT) | instid1(VALU_DEP_2)
	v_cvt_u32_f32_e32 v3, v5
	v_xor_b32_e32 v35, v1, v26
	s_delay_alu instid0(VALU_DEP_2) | instskip(NEXT) | instid1(VALU_DEP_1)
	v_xor_b32_e32 v34, v3, v26
	v_sub_nc_u64_e32 v[26:27], v[34:35], v[26:27]
.LBB63_4758:
	s_mov_b32 s1, 0
.LBB63_4759:
	s_delay_alu instid0(SALU_CYCLE_1)
	s_and_not1_b32 vcc_lo, exec_lo, s1
	s_cbranch_vccnz .LBB63_4761
; %bb.4760:
	global_load_u8 v1, v[32:33], off
	s_wait_loadcnt 0x0
	v_lshlrev_b32_e32 v3, 25, v1
	v_lshlrev_b16 v1, 8, v1
	s_delay_alu instid0(VALU_DEP_1) | instskip(SKIP_1) | instid1(VALU_DEP_2)
	v_and_or_b32 v7, 0x7f00, v1, 0.5
	v_bfe_i32 v1, v1, 0, 16
	v_add_f32_e32 v7, -0.5, v7
	v_lshrrev_b32_e32 v5, 4, v3
	v_cmp_gt_u32_e32 vcc_lo, 0x8000000, v3
	s_delay_alu instid0(VALU_DEP_2) | instskip(NEXT) | instid1(VALU_DEP_1)
	v_or_b32_e32 v5, 0x70000000, v5
	v_mul_f32_e32 v5, 0x7800000, v5
	s_delay_alu instid0(VALU_DEP_1) | instskip(NEXT) | instid1(VALU_DEP_1)
	v_cndmask_b32_e32 v3, v5, v7, vcc_lo
	v_and_or_b32 v1, 0x80000000, v1, v3
	s_delay_alu instid0(VALU_DEP_1) | instskip(NEXT) | instid1(VALU_DEP_1)
	v_trunc_f32_e32 v1, v1
	v_mul_f32_e64 v3, 0x2f800000, |v1|
	v_ashrrev_i32_e32 v26, 31, v1
	s_delay_alu instid0(VALU_DEP_2) | instskip(NEXT) | instid1(VALU_DEP_2)
	v_floor_f32_e32 v3, v3
	v_mov_b32_e32 v27, v26
	s_delay_alu instid0(VALU_DEP_2) | instskip(SKIP_1) | instid1(VALU_DEP_2)
	v_fma_f32 v5, 0xcf800000, v3, |v1|
	v_cvt_u32_f32_e32 v1, v3
	v_cvt_u32_f32_e32 v3, v5
	s_delay_alu instid0(VALU_DEP_2) | instskip(NEXT) | instid1(VALU_DEP_2)
	v_xor_b32_e32 v35, v1, v26
	v_xor_b32_e32 v34, v3, v26
	s_delay_alu instid0(VALU_DEP_1)
	v_sub_nc_u64_e32 v[26:27], v[34:35], v[26:27]
.LBB63_4761:
	s_mov_b32 s1, 0
	s_mov_b32 s9, -1
.LBB63_4762:
	s_and_not1_b32 vcc_lo, exec_lo, s1
	s_mov_b32 s1, 0
	s_cbranch_vccnz .LBB63_4773
; %bb.4763:
	s_cmp_gt_i32 s59, 14
	s_cbranch_scc0 .LBB63_4766
; %bb.4764:
	s_cmp_eq_u32 s59, 15
	s_cbranch_scc0 .LBB63_4769
; %bb.4765:
	global_load_u16 v1, v[32:33], off
	s_mov_b32 s0, 0
	s_mov_b32 s9, -1
	s_wait_loadcnt 0x0
	v_lshlrev_b32_e32 v1, 16, v1
	s_delay_alu instid0(VALU_DEP_1) | instskip(NEXT) | instid1(VALU_DEP_1)
	v_trunc_f32_e32 v1, v1
	v_mul_f32_e64 v3, 0x2f800000, |v1|
	v_ashrrev_i32_e32 v26, 31, v1
	s_delay_alu instid0(VALU_DEP_2) | instskip(NEXT) | instid1(VALU_DEP_2)
	v_floor_f32_e32 v3, v3
	v_mov_b32_e32 v27, v26
	s_delay_alu instid0(VALU_DEP_2) | instskip(SKIP_1) | instid1(VALU_DEP_2)
	v_fma_f32 v5, 0xcf800000, v3, |v1|
	v_cvt_u32_f32_e32 v1, v3
	v_cvt_u32_f32_e32 v3, v5
	s_delay_alu instid0(VALU_DEP_2) | instskip(NEXT) | instid1(VALU_DEP_2)
	v_xor_b32_e32 v35, v1, v26
	v_xor_b32_e32 v34, v3, v26
	s_delay_alu instid0(VALU_DEP_1)
	v_sub_nc_u64_e32 v[26:27], v[34:35], v[26:27]
	s_branch .LBB63_4771
.LBB63_4766:
	s_mov_b32 s1, -1
	s_branch .LBB63_4770
.LBB63_4767:
	s_and_not1_saveexec_b32 s1, s1
	s_cbranch_execz .LBB63_4748
.LBB63_4768:
	v_cmp_ne_u16_e32 vcc_lo, 0, v1
	s_and_not1_b32 s9, s9, exec_lo
	s_and_b32 s22, vcc_lo, exec_lo
	s_delay_alu instid0(SALU_CYCLE_1)
	s_or_b32 s9, s9, s22
	s_or_b32 exec_lo, exec_lo, s1
	v_mov_b64_e32 v[26:27], 0
	s_and_saveexec_b32 s1, s9
	s_cbranch_execnz .LBB63_4749
	s_branch .LBB63_4750
.LBB63_4769:
	s_mov_b32 s0, -1
.LBB63_4770:
                                        ; implicit-def: $vgpr26_vgpr27
.LBB63_4771:
	s_and_b32 vcc_lo, exec_lo, s1
	s_mov_b32 s1, 0
	s_cbranch_vccz .LBB63_4773
; %bb.4772:
	s_cmp_lg_u32 s59, 11
	s_mov_b32 s1, -1
	s_cselect_b32 s0, -1, 0
.LBB63_4773:
	s_delay_alu instid0(SALU_CYCLE_1)
	s_and_b32 vcc_lo, exec_lo, s0
	s_cbranch_vccnz .LBB63_4838
; %bb.4774:
	s_and_not1_b32 vcc_lo, exec_lo, s1
	s_cbranch_vccnz .LBB63_4776
.LBB63_4775:
	global_load_u8 v1, v[32:33], off
	s_mov_b32 s0, 0
	s_mov_b32 s9, -1
	s_wait_loadcnt 0x1
	v_mov_b32_e32 v27, s0
	s_wait_loadcnt 0x0
	v_cmp_ne_u16_e32 vcc_lo, 0, v1
	v_cndmask_b32_e64 v26, 0, 1, vcc_lo
.LBB63_4776:
	s_mov_b32 s0, 0
.LBB63_4777:
	s_delay_alu instid0(SALU_CYCLE_1)
	s_and_b32 vcc_lo, exec_lo, s0
	s_cbranch_vccz .LBB63_4826
; %bb.4778:
	s_cmp_lt_i32 s59, 5
	s_cbranch_scc1 .LBB63_4783
; %bb.4779:
	s_cmp_lt_i32 s59, 8
	s_cbranch_scc1 .LBB63_4784
	;; [unrolled: 3-line block ×3, first 2 shown]
; %bb.4781:
	s_cmp_gt_i32 s59, 9
	s_cbranch_scc0 .LBB63_4786
; %bb.4782:
	s_wait_loadcnt 0x0
	global_load_b64 v[26:27], v[32:33], off
	s_mov_b32 s0, 0
	s_wait_loadcnt 0x0
	v_trunc_f64_e32 v[26:27], v[26:27]
	s_delay_alu instid0(VALU_DEP_1) | instskip(NEXT) | instid1(VALU_DEP_1)
	v_ldexp_f64 v[34:35], v[26:27], 0xffffffe0
	v_floor_f64_e32 v[34:35], v[34:35]
	s_delay_alu instid0(VALU_DEP_1) | instskip(SKIP_1) | instid1(VALU_DEP_2)
	v_fmamk_f64 v[36:37], v[34:35], 0xc1f00000, v[26:27]
	v_cvt_i32_f64_e32 v27, v[34:35]
	v_cvt_u32_f64_e32 v26, v[36:37]
	s_branch .LBB63_4787
.LBB63_4783:
	s_mov_b32 s0, -1
                                        ; implicit-def: $vgpr26_vgpr27
	s_branch .LBB63_4805
.LBB63_4784:
	s_mov_b32 s0, -1
                                        ; implicit-def: $vgpr26_vgpr27
	s_branch .LBB63_4793
.LBB63_4785:
	s_mov_b32 s0, -1
                                        ; implicit-def: $vgpr26_vgpr27
	s_branch .LBB63_4790
.LBB63_4786:
	s_mov_b32 s0, -1
                                        ; implicit-def: $vgpr26_vgpr27
.LBB63_4787:
	s_delay_alu instid0(SALU_CYCLE_1)
	s_and_not1_b32 vcc_lo, exec_lo, s0
	s_cbranch_vccnz .LBB63_4789
; %bb.4788:
	global_load_b32 v1, v[32:33], off
	s_wait_loadcnt 0x0
	v_trunc_f32_e32 v1, v1
	s_delay_alu instid0(VALU_DEP_1) | instskip(SKIP_1) | instid1(VALU_DEP_2)
	v_mul_f32_e64 v3, 0x2f800000, |v1|
	v_ashrrev_i32_e32 v26, 31, v1
	v_floor_f32_e32 v3, v3
	s_delay_alu instid0(VALU_DEP_1) | instskip(SKIP_1) | instid1(VALU_DEP_4)
	v_fma_f32 v5, 0xcf800000, v3, |v1|
	v_cvt_u32_f32_e32 v1, v3
	v_mov_b32_e32 v27, v26
	s_delay_alu instid0(VALU_DEP_3) | instskip(NEXT) | instid1(VALU_DEP_3)
	v_cvt_u32_f32_e32 v3, v5
	v_xor_b32_e32 v35, v1, v26
	s_delay_alu instid0(VALU_DEP_2) | instskip(NEXT) | instid1(VALU_DEP_1)
	v_xor_b32_e32 v34, v3, v26
	v_sub_nc_u64_e32 v[26:27], v[34:35], v[26:27]
.LBB63_4789:
	s_mov_b32 s0, 0
.LBB63_4790:
	s_delay_alu instid0(SALU_CYCLE_1)
	s_and_not1_b32 vcc_lo, exec_lo, s0
	s_cbranch_vccnz .LBB63_4792
; %bb.4791:
	global_load_b32 v1, v[32:33], off
	s_wait_loadcnt 0x0
	v_cvt_f32_f16_e32 v1, v1
	s_delay_alu instid0(VALU_DEP_1) | instskip(NEXT) | instid1(VALU_DEP_1)
	v_cvt_i32_f32_e32 v26, v1
	v_ashrrev_i32_e32 v27, 31, v26
.LBB63_4792:
	s_mov_b32 s0, 0
.LBB63_4793:
	s_delay_alu instid0(SALU_CYCLE_1)
	s_and_not1_b32 vcc_lo, exec_lo, s0
	s_cbranch_vccnz .LBB63_4804
; %bb.4794:
	s_cmp_lt_i32 s59, 6
	s_cbranch_scc1 .LBB63_4797
; %bb.4795:
	s_cmp_gt_i32 s59, 6
	s_cbranch_scc0 .LBB63_4798
; %bb.4796:
	s_wait_loadcnt 0x0
	global_load_b64 v[26:27], v[32:33], off
	s_mov_b32 s0, 0
	s_wait_loadcnt 0x0
	v_trunc_f64_e32 v[26:27], v[26:27]
	s_delay_alu instid0(VALU_DEP_1) | instskip(NEXT) | instid1(VALU_DEP_1)
	v_ldexp_f64 v[34:35], v[26:27], 0xffffffe0
	v_floor_f64_e32 v[34:35], v[34:35]
	s_delay_alu instid0(VALU_DEP_1) | instskip(SKIP_1) | instid1(VALU_DEP_2)
	v_fmamk_f64 v[36:37], v[34:35], 0xc1f00000, v[26:27]
	v_cvt_i32_f64_e32 v27, v[34:35]
	v_cvt_u32_f64_e32 v26, v[36:37]
	s_branch .LBB63_4799
.LBB63_4797:
	s_mov_b32 s0, -1
                                        ; implicit-def: $vgpr26_vgpr27
	s_branch .LBB63_4802
.LBB63_4798:
	s_mov_b32 s0, -1
                                        ; implicit-def: $vgpr26_vgpr27
.LBB63_4799:
	s_delay_alu instid0(SALU_CYCLE_1)
	s_and_not1_b32 vcc_lo, exec_lo, s0
	s_cbranch_vccnz .LBB63_4801
; %bb.4800:
	global_load_b32 v1, v[32:33], off
	s_wait_loadcnt 0x0
	v_trunc_f32_e32 v1, v1
	s_delay_alu instid0(VALU_DEP_1) | instskip(SKIP_1) | instid1(VALU_DEP_2)
	v_mul_f32_e64 v3, 0x2f800000, |v1|
	v_ashrrev_i32_e32 v26, 31, v1
	v_floor_f32_e32 v3, v3
	s_delay_alu instid0(VALU_DEP_1) | instskip(SKIP_1) | instid1(VALU_DEP_4)
	v_fma_f32 v5, 0xcf800000, v3, |v1|
	v_cvt_u32_f32_e32 v1, v3
	v_mov_b32_e32 v27, v26
	s_delay_alu instid0(VALU_DEP_3) | instskip(NEXT) | instid1(VALU_DEP_3)
	v_cvt_u32_f32_e32 v3, v5
	v_xor_b32_e32 v35, v1, v26
	s_delay_alu instid0(VALU_DEP_2) | instskip(NEXT) | instid1(VALU_DEP_1)
	v_xor_b32_e32 v34, v3, v26
	v_sub_nc_u64_e32 v[26:27], v[34:35], v[26:27]
.LBB63_4801:
	s_mov_b32 s0, 0
.LBB63_4802:
	s_delay_alu instid0(SALU_CYCLE_1)
	s_and_not1_b32 vcc_lo, exec_lo, s0
	s_cbranch_vccnz .LBB63_4804
; %bb.4803:
	global_load_u16 v1, v[32:33], off
	s_wait_loadcnt 0x0
	v_cvt_f32_f16_e32 v1, v1
	s_delay_alu instid0(VALU_DEP_1) | instskip(NEXT) | instid1(VALU_DEP_1)
	v_cvt_i32_f32_e32 v26, v1
	v_ashrrev_i32_e32 v27, 31, v26
.LBB63_4804:
	s_mov_b32 s0, 0
.LBB63_4805:
	s_delay_alu instid0(SALU_CYCLE_1)
	s_and_not1_b32 vcc_lo, exec_lo, s0
	s_cbranch_vccnz .LBB63_4825
; %bb.4806:
	s_cmp_lt_i32 s59, 2
	s_cbranch_scc1 .LBB63_4810
; %bb.4807:
	s_cmp_lt_i32 s59, 3
	s_cbranch_scc1 .LBB63_4811
; %bb.4808:
	s_cmp_gt_i32 s59, 3
	s_cbranch_scc0 .LBB63_4812
; %bb.4809:
	s_wait_loadcnt 0x0
	global_load_b64 v[26:27], v[32:33], off
	s_mov_b32 s0, 0
	s_branch .LBB63_4813
.LBB63_4810:
	s_mov_b32 s0, -1
                                        ; implicit-def: $vgpr26_vgpr27
	s_branch .LBB63_4819
.LBB63_4811:
	s_mov_b32 s0, -1
                                        ; implicit-def: $vgpr26_vgpr27
	s_branch .LBB63_4816
.LBB63_4812:
	s_mov_b32 s0, -1
                                        ; implicit-def: $vgpr26_vgpr27
.LBB63_4813:
	s_delay_alu instid0(SALU_CYCLE_1)
	s_and_not1_b32 vcc_lo, exec_lo, s0
	s_cbranch_vccnz .LBB63_4815
; %bb.4814:
	s_wait_loadcnt 0x0
	global_load_b32 v26, v[32:33], off
	s_wait_loadcnt 0x0
	v_ashrrev_i32_e32 v27, 31, v26
.LBB63_4815:
	s_mov_b32 s0, 0
.LBB63_4816:
	s_delay_alu instid0(SALU_CYCLE_1)
	s_and_not1_b32 vcc_lo, exec_lo, s0
	s_cbranch_vccnz .LBB63_4818
; %bb.4817:
	global_load_u16 v1, v[32:33], off
	s_wait_loadcnt 0x0
	v_bfe_i32 v26, v1, 0, 16
	s_delay_alu instid0(VALU_DEP_1)
	v_ashrrev_i32_e32 v27, 31, v26
.LBB63_4818:
	s_mov_b32 s0, 0
.LBB63_4819:
	s_delay_alu instid0(SALU_CYCLE_1)
	s_and_not1_b32 vcc_lo, exec_lo, s0
	s_cbranch_vccnz .LBB63_4825
; %bb.4820:
	s_cmp_gt_i32 s59, 0
	s_mov_b32 s0, 0
	s_cbranch_scc0 .LBB63_4822
; %bb.4821:
	global_load_i8 v1, v[32:33], off
	s_wait_loadcnt 0x0
	v_bfe_i32 v26, v1, 0, 16
	s_delay_alu instid0(VALU_DEP_1)
	v_ashrrev_i32_e32 v27, 31, v26
	s_branch .LBB63_4823
.LBB63_4822:
	s_mov_b32 s0, -1
                                        ; implicit-def: $vgpr26_vgpr27
.LBB63_4823:
	s_delay_alu instid0(SALU_CYCLE_1)
	s_and_not1_b32 vcc_lo, exec_lo, s0
	s_cbranch_vccnz .LBB63_4825
; %bb.4824:
	global_load_u8 v1, v[32:33], off
	s_mov_b32 s0, 0
	s_wait_loadcnt 0x1
	v_mov_b32_e32 v27, s0
	s_wait_loadcnt 0x0
	v_and_b32_e32 v26, 0xffff, v1
.LBB63_4825:
	s_mov_b32 s9, -1
.LBB63_4826:
	s_delay_alu instid0(SALU_CYCLE_1)
	s_and_not1_b32 vcc_lo, exec_lo, s9
	s_cbranch_vccnz .LBB63_5090
; %bb.4827:
	v_mov_b32_e32 v25, 0
	s_cmp_lt_i32 s60, 11
	s_wait_xcnt 0x0
	s_delay_alu instid0(VALU_DEP_1)
	v_add_nc_u64_e32 v[32:33], s[14:15], v[24:25]
	s_cbranch_scc1 .LBB63_4834
; %bb.4828:
	s_cmp_gt_i32 s60, 25
	s_mov_b32 s1, 0
	s_cbranch_scc0 .LBB63_4835
; %bb.4829:
	s_cmp_gt_i32 s60, 28
	s_cbranch_scc0 .LBB63_4836
; %bb.4830:
	s_cmp_gt_i32 s60, 43
	;; [unrolled: 3-line block ×3, first 2 shown]
	s_cbranch_scc0 .LBB63_4839
; %bb.4832:
	s_cmp_eq_u32 s60, 46
	s_mov_b32 s22, 0
	s_cbranch_scc0 .LBB63_4841
; %bb.4833:
	global_load_b32 v1, v[32:33], off
	s_mov_b32 s0, 0
	s_mov_b32 s9, -1
	s_wait_loadcnt 0x0
	v_lshlrev_b32_e32 v1, 16, v1
	s_delay_alu instid0(VALU_DEP_1) | instskip(NEXT) | instid1(VALU_DEP_1)
	v_trunc_f32_e32 v1, v1
	v_mul_f32_e64 v3, 0x2f800000, |v1|
	v_ashrrev_i32_e32 v24, 31, v1
	s_delay_alu instid0(VALU_DEP_2) | instskip(NEXT) | instid1(VALU_DEP_2)
	v_floor_f32_e32 v3, v3
	v_mov_b32_e32 v25, v24
	s_delay_alu instid0(VALU_DEP_2) | instskip(SKIP_1) | instid1(VALU_DEP_2)
	v_fma_f32 v5, 0xcf800000, v3, |v1|
	v_cvt_u32_f32_e32 v1, v3
	v_cvt_u32_f32_e32 v3, v5
	s_delay_alu instid0(VALU_DEP_2) | instskip(NEXT) | instid1(VALU_DEP_2)
	v_xor_b32_e32 v35, v1, v24
	v_xor_b32_e32 v34, v3, v24
	s_delay_alu instid0(VALU_DEP_1)
	v_sub_nc_u64_e32 v[24:25], v[34:35], v[24:25]
	s_branch .LBB63_4843
.LBB63_4834:
	s_mov_b32 s0, -1
	s_mov_b32 s9, 0
                                        ; implicit-def: $vgpr24_vgpr25
	s_branch .LBB63_4905
.LBB63_4835:
	s_mov_b32 s22, -1
	s_mov_b32 s9, 0
	s_mov_b32 s0, 0
                                        ; implicit-def: $vgpr24_vgpr25
	s_branch .LBB63_4870
.LBB63_4836:
	s_mov_b32 s22, -1
	s_mov_b32 s9, 0
	s_mov_b32 s0, 0
                                        ; implicit-def: $vgpr24_vgpr25
	s_branch .LBB63_4853
.LBB63_4837:
	s_mov_b32 s22, -1
	s_mov_b32 s9, 0
	s_mov_b32 s0, 0
                                        ; implicit-def: $vgpr24_vgpr25
	s_branch .LBB63_4848
.LBB63_4838:
	s_or_b32 s56, s56, exec_lo
	s_trap 2
	s_cbranch_execz .LBB63_4775
	s_branch .LBB63_4776
.LBB63_4839:
	s_mov_b32 s22, -1
	s_mov_b32 s9, 0
	s_mov_b32 s0, 0
	s_branch .LBB63_4842
.LBB63_4840:
	s_or_b32 s52, s50, exec_lo
	s_trap 2
                                        ; implicit-def: $vgpr36_vgpr37
                                        ; implicit-def: $vgpr34_vgpr35
                                        ; implicit-def: $vgpr44_vgpr45
                                        ; implicit-def: $vgpr6
                                        ; implicit-def: $vgpr4
                                        ; implicit-def: $vgpr24
                                        ; implicit-def: $vgpr22
                                        ; implicit-def: $vgpr28
                                        ; implicit-def: $vgpr26
                                        ; implicit-def: $vgpr2
                                        ; implicit-def: $vgpr30
                                        ; implicit-def: $vgpr14
                                        ; implicit-def: $vgpr10
                                        ; implicit-def: $vgpr18
                                        ; implicit-def: $vgpr16
                                        ; implicit-def: $vgpr0
                                        ; implicit-def: $vgpr20
                                        ; implicit-def: $vgpr8_vgpr9
                                        ; implicit-def: $vgpr12_vgpr13
	s_or_saveexec_b32 s53, s0
	s_mov_b32 s1, 0
                                        ; implicit-def: $vgpr42_vgpr43
                                        ; implicit-def: $sgpr0
	s_xor_b32 exec_lo, exec_lo, s53
	s_cbranch_execz .LBB63_5093
	s_branch .LBB63_4422
.LBB63_4841:
	s_mov_b32 s0, -1
	s_mov_b32 s9, 0
.LBB63_4842:
                                        ; implicit-def: $vgpr24_vgpr25
.LBB63_4843:
	s_and_b32 vcc_lo, exec_lo, s22
	s_cbranch_vccz .LBB63_4847
; %bb.4844:
	s_cmp_eq_u32 s60, 44
	s_cbranch_scc0 .LBB63_4846
; %bb.4845:
	global_load_u8 v1, v[32:33], off
	s_mov_b32 s0, 0
	s_mov_b32 s9, -1
	s_wait_loadcnt 0x0
	v_lshlrev_b32_e32 v3, 23, v1
	v_cmp_ne_u32_e32 vcc_lo, 0, v1
	s_delay_alu instid0(VALU_DEP_2) | instskip(NEXT) | instid1(VALU_DEP_1)
	v_trunc_f32_e32 v3, v3
	v_mul_f32_e64 v5, 0x2f800000, |v3|
	v_ashrrev_i32_e32 v24, 31, v3
	s_delay_alu instid0(VALU_DEP_2) | instskip(NEXT) | instid1(VALU_DEP_2)
	v_floor_f32_e32 v5, v5
	v_mov_b32_e32 v25, v24
	s_delay_alu instid0(VALU_DEP_2) | instskip(SKIP_1) | instid1(VALU_DEP_2)
	v_fma_f32 v7, 0xcf800000, v5, |v3|
	v_cvt_u32_f32_e32 v3, v5
	v_cvt_u32_f32_e32 v5, v7
	s_delay_alu instid0(VALU_DEP_2) | instskip(NEXT) | instid1(VALU_DEP_2)
	v_xor_b32_e32 v35, v3, v24
	v_xor_b32_e32 v34, v5, v24
	s_delay_alu instid0(VALU_DEP_1) | instskip(NEXT) | instid1(VALU_DEP_1)
	v_sub_nc_u64_e32 v[24:25], v[34:35], v[24:25]
	v_dual_cndmask_b32 v25, 0, v25 :: v_dual_cndmask_b32 v24, 0, v24
	s_branch .LBB63_4847
.LBB63_4846:
	s_mov_b32 s0, -1
                                        ; implicit-def: $vgpr24_vgpr25
.LBB63_4847:
	s_mov_b32 s22, 0
.LBB63_4848:
	s_delay_alu instid0(SALU_CYCLE_1)
	s_and_b32 vcc_lo, exec_lo, s22
	s_cbranch_vccz .LBB63_4852
; %bb.4849:
	s_cmp_eq_u32 s60, 29
	s_cbranch_scc0 .LBB63_4851
; %bb.4850:
	global_load_b64 v[24:25], v[32:33], off
	s_mov_b32 s0, 0
	s_mov_b32 s9, -1
	s_branch .LBB63_4852
.LBB63_4851:
	s_mov_b32 s0, -1
                                        ; implicit-def: $vgpr24_vgpr25
.LBB63_4852:
	s_mov_b32 s22, 0
.LBB63_4853:
	s_delay_alu instid0(SALU_CYCLE_1)
	s_and_b32 vcc_lo, exec_lo, s22
	s_cbranch_vccz .LBB63_4869
; %bb.4854:
	s_cmp_lt_i32 s60, 27
	s_cbranch_scc1 .LBB63_4857
; %bb.4855:
	s_cmp_gt_i32 s60, 27
	s_cbranch_scc0 .LBB63_4858
; %bb.4856:
	s_wait_loadcnt 0x0
	global_load_b32 v24, v[32:33], off
	v_mov_b32_e32 v25, 0
	s_mov_b32 s9, 0
	s_branch .LBB63_4859
.LBB63_4857:
	s_mov_b32 s9, -1
                                        ; implicit-def: $vgpr24_vgpr25
	s_branch .LBB63_4862
.LBB63_4858:
	s_mov_b32 s9, -1
                                        ; implicit-def: $vgpr24_vgpr25
.LBB63_4859:
	s_delay_alu instid0(SALU_CYCLE_1)
	s_and_not1_b32 vcc_lo, exec_lo, s9
	s_cbranch_vccnz .LBB63_4861
; %bb.4860:
	global_load_u16 v1, v[32:33], off
	s_mov_b32 s9, 0
	s_wait_loadcnt 0x1
	v_mov_b32_e32 v25, s9
	s_wait_loadcnt 0x0
	v_and_b32_e32 v24, 0xffff, v1
.LBB63_4861:
	s_mov_b32 s9, 0
.LBB63_4862:
	s_delay_alu instid0(SALU_CYCLE_1)
	s_and_not1_b32 vcc_lo, exec_lo, s9
	s_cbranch_vccnz .LBB63_4868
; %bb.4863:
	global_load_u8 v1, v[32:33], off
	s_mov_b32 s22, 0
	s_mov_b32 s9, exec_lo
	s_wait_loadcnt 0x0
	v_cmpx_lt_i16_e32 0x7f, v1
	s_xor_b32 s9, exec_lo, s9
	s_cbranch_execz .LBB63_4880
; %bb.4864:
	v_cmp_ne_u16_e32 vcc_lo, 0x80, v1
	s_and_b32 s22, vcc_lo, exec_lo
	s_and_not1_saveexec_b32 s9, s9
	s_cbranch_execnz .LBB63_4881
.LBB63_4865:
	s_or_b32 exec_lo, exec_lo, s9
	v_mov_b64_e32 v[24:25], 0
	s_and_saveexec_b32 s9, s22
	s_cbranch_execz .LBB63_4867
.LBB63_4866:
	v_and_b32_e32 v3, 0xffff, v1
	s_delay_alu instid0(VALU_DEP_1) | instskip(SKIP_1) | instid1(VALU_DEP_2)
	v_dual_lshlrev_b32 v1, 24, v1 :: v_dual_bitop2_b32 v5, 7, v3 bitop3:0x40
	v_bfe_u32 v15, v3, 3, 4
	v_and_b32_e32 v1, 0x80000000, v1
	s_delay_alu instid0(VALU_DEP_3) | instskip(NEXT) | instid1(VALU_DEP_3)
	v_clz_i32_u32_e32 v7, v5
	v_cmp_eq_u32_e32 vcc_lo, 0, v15
	s_delay_alu instid0(VALU_DEP_2) | instskip(NEXT) | instid1(VALU_DEP_1)
	v_min_u32_e32 v7, 32, v7
	v_subrev_nc_u32_e32 v11, 28, v7
	v_sub_nc_u32_e32 v7, 29, v7
	s_delay_alu instid0(VALU_DEP_2) | instskip(NEXT) | instid1(VALU_DEP_2)
	v_lshlrev_b32_e32 v3, v11, v3
	v_cndmask_b32_e32 v7, v15, v7, vcc_lo
	s_delay_alu instid0(VALU_DEP_2) | instskip(NEXT) | instid1(VALU_DEP_1)
	v_and_b32_e32 v3, 7, v3
	v_cndmask_b32_e32 v3, v5, v3, vcc_lo
	s_delay_alu instid0(VALU_DEP_3) | instskip(NEXT) | instid1(VALU_DEP_2)
	v_lshl_add_u32 v5, v7, 23, 0x3b800000
	v_lshlrev_b32_e32 v3, 20, v3
	s_delay_alu instid0(VALU_DEP_1) | instskip(NEXT) | instid1(VALU_DEP_1)
	v_or3_b32 v1, v1, v5, v3
	v_trunc_f32_e32 v1, v1
	s_delay_alu instid0(VALU_DEP_1) | instskip(SKIP_1) | instid1(VALU_DEP_2)
	v_mul_f32_e64 v3, 0x2f800000, |v1|
	v_ashrrev_i32_e32 v24, 31, v1
	v_floor_f32_e32 v3, v3
	s_delay_alu instid0(VALU_DEP_2) | instskip(NEXT) | instid1(VALU_DEP_2)
	v_mov_b32_e32 v25, v24
	v_fma_f32 v5, 0xcf800000, v3, |v1|
	v_cvt_u32_f32_e32 v1, v3
	s_delay_alu instid0(VALU_DEP_2) | instskip(NEXT) | instid1(VALU_DEP_2)
	v_cvt_u32_f32_e32 v3, v5
	v_xor_b32_e32 v35, v1, v24
	s_delay_alu instid0(VALU_DEP_2) | instskip(NEXT) | instid1(VALU_DEP_1)
	v_xor_b32_e32 v34, v3, v24
	v_sub_nc_u64_e32 v[24:25], v[34:35], v[24:25]
.LBB63_4867:
	s_or_b32 exec_lo, exec_lo, s9
.LBB63_4868:
	s_mov_b32 s9, -1
.LBB63_4869:
	s_mov_b32 s22, 0
.LBB63_4870:
	s_delay_alu instid0(SALU_CYCLE_1)
	s_and_b32 vcc_lo, exec_lo, s22
	s_cbranch_vccz .LBB63_4901
; %bb.4871:
	s_cmp_gt_i32 s60, 22
	s_cbranch_scc0 .LBB63_4879
; %bb.4872:
	s_cmp_lt_i32 s60, 24
	s_cbranch_scc1 .LBB63_4882
; %bb.4873:
	s_cmp_gt_i32 s60, 24
	s_cbranch_scc0 .LBB63_4883
; %bb.4874:
	global_load_u8 v1, v[32:33], off
	s_mov_b32 s9, 0
	s_mov_b32 s1, exec_lo
	s_wait_loadcnt 0x0
	v_cmpx_lt_i16_e32 0x7f, v1
	s_xor_b32 s1, exec_lo, s1
	s_cbranch_execz .LBB63_4895
; %bb.4875:
	v_cmp_ne_u16_e32 vcc_lo, 0x80, v1
	s_and_b32 s9, vcc_lo, exec_lo
	s_and_not1_saveexec_b32 s1, s1
	s_cbranch_execnz .LBB63_4896
.LBB63_4876:
	s_or_b32 exec_lo, exec_lo, s1
	v_mov_b64_e32 v[24:25], 0
	s_and_saveexec_b32 s1, s9
	s_cbranch_execz .LBB63_4878
.LBB63_4877:
	v_and_b32_e32 v3, 0xffff, v1
	s_delay_alu instid0(VALU_DEP_1) | instskip(SKIP_1) | instid1(VALU_DEP_2)
	v_dual_lshlrev_b32 v1, 24, v1 :: v_dual_bitop2_b32 v5, 3, v3 bitop3:0x40
	v_bfe_u32 v15, v3, 2, 5
	v_and_b32_e32 v1, 0x80000000, v1
	s_delay_alu instid0(VALU_DEP_3) | instskip(NEXT) | instid1(VALU_DEP_3)
	v_clz_i32_u32_e32 v7, v5
	v_cmp_eq_u32_e32 vcc_lo, 0, v15
	s_delay_alu instid0(VALU_DEP_2) | instskip(NEXT) | instid1(VALU_DEP_1)
	v_min_u32_e32 v7, 32, v7
	v_subrev_nc_u32_e32 v11, 29, v7
	v_sub_nc_u32_e32 v7, 30, v7
	s_delay_alu instid0(VALU_DEP_2) | instskip(NEXT) | instid1(VALU_DEP_2)
	v_lshlrev_b32_e32 v3, v11, v3
	v_cndmask_b32_e32 v7, v15, v7, vcc_lo
	s_delay_alu instid0(VALU_DEP_2) | instskip(NEXT) | instid1(VALU_DEP_1)
	v_and_b32_e32 v3, 3, v3
	v_cndmask_b32_e32 v3, v5, v3, vcc_lo
	s_delay_alu instid0(VALU_DEP_3) | instskip(NEXT) | instid1(VALU_DEP_2)
	v_lshl_add_u32 v5, v7, 23, 0x37800000
	v_lshlrev_b32_e32 v3, 21, v3
	s_delay_alu instid0(VALU_DEP_1) | instskip(NEXT) | instid1(VALU_DEP_1)
	v_or3_b32 v1, v1, v5, v3
	v_trunc_f32_e32 v1, v1
	s_delay_alu instid0(VALU_DEP_1) | instskip(SKIP_1) | instid1(VALU_DEP_2)
	v_mul_f32_e64 v3, 0x2f800000, |v1|
	v_ashrrev_i32_e32 v24, 31, v1
	v_floor_f32_e32 v3, v3
	s_delay_alu instid0(VALU_DEP_2) | instskip(NEXT) | instid1(VALU_DEP_2)
	v_mov_b32_e32 v25, v24
	v_fma_f32 v5, 0xcf800000, v3, |v1|
	v_cvt_u32_f32_e32 v1, v3
	s_delay_alu instid0(VALU_DEP_2) | instskip(NEXT) | instid1(VALU_DEP_2)
	v_cvt_u32_f32_e32 v3, v5
	v_xor_b32_e32 v35, v1, v24
	s_delay_alu instid0(VALU_DEP_2) | instskip(NEXT) | instid1(VALU_DEP_1)
	v_xor_b32_e32 v34, v3, v24
	v_sub_nc_u64_e32 v[24:25], v[34:35], v[24:25]
.LBB63_4878:
	s_or_b32 exec_lo, exec_lo, s1
	s_mov_b32 s1, 0
	s_branch .LBB63_4884
.LBB63_4879:
	s_mov_b32 s1, -1
                                        ; implicit-def: $vgpr24_vgpr25
	s_branch .LBB63_4890
.LBB63_4880:
	s_and_not1_saveexec_b32 s9, s9
	s_cbranch_execz .LBB63_4865
.LBB63_4881:
	v_cmp_ne_u16_e32 vcc_lo, 0, v1
	s_and_not1_b32 s22, s22, exec_lo
	s_and_b32 s23, vcc_lo, exec_lo
	s_delay_alu instid0(SALU_CYCLE_1)
	s_or_b32 s22, s22, s23
	s_or_b32 exec_lo, exec_lo, s9
	v_mov_b64_e32 v[24:25], 0
	s_and_saveexec_b32 s9, s22
	s_cbranch_execnz .LBB63_4866
	s_branch .LBB63_4867
.LBB63_4882:
	s_mov_b32 s1, -1
                                        ; implicit-def: $vgpr24_vgpr25
	s_branch .LBB63_4887
.LBB63_4883:
	s_mov_b32 s1, -1
                                        ; implicit-def: $vgpr24_vgpr25
.LBB63_4884:
	s_delay_alu instid0(SALU_CYCLE_1)
	s_and_b32 vcc_lo, exec_lo, s1
	s_cbranch_vccz .LBB63_4886
; %bb.4885:
	global_load_u8 v1, v[32:33], off
	s_wait_loadcnt 0x0
	v_lshlrev_b32_e32 v1, 24, v1
	s_delay_alu instid0(VALU_DEP_1) | instskip(NEXT) | instid1(VALU_DEP_1)
	v_and_b32_e32 v3, 0x7f000000, v1
	v_clz_i32_u32_e32 v5, v3
	v_add_nc_u32_e32 v11, 0x1000000, v3
	v_cmp_ne_u32_e32 vcc_lo, 0, v3
	s_delay_alu instid0(VALU_DEP_3) | instskip(NEXT) | instid1(VALU_DEP_1)
	v_min_u32_e32 v5, 32, v5
	v_sub_nc_u32_e64 v5, v5, 4 clamp
	s_delay_alu instid0(VALU_DEP_1) | instskip(NEXT) | instid1(VALU_DEP_1)
	v_dual_lshlrev_b32 v7, v5, v3 :: v_dual_lshlrev_b32 v5, 23, v5
	v_lshrrev_b32_e32 v7, 4, v7
	s_delay_alu instid0(VALU_DEP_1) | instskip(NEXT) | instid1(VALU_DEP_1)
	v_dual_sub_nc_u32 v5, v7, v5 :: v_dual_ashrrev_i32 v7, 8, v11
	v_add_nc_u32_e32 v5, 0x3c000000, v5
	s_delay_alu instid0(VALU_DEP_1) | instskip(NEXT) | instid1(VALU_DEP_1)
	v_and_or_b32 v5, 0x7f800000, v7, v5
	v_cndmask_b32_e32 v3, 0, v5, vcc_lo
	s_delay_alu instid0(VALU_DEP_1) | instskip(NEXT) | instid1(VALU_DEP_1)
	v_and_or_b32 v1, 0x80000000, v1, v3
	v_trunc_f32_e32 v1, v1
	s_delay_alu instid0(VALU_DEP_1) | instskip(SKIP_1) | instid1(VALU_DEP_2)
	v_mul_f32_e64 v3, 0x2f800000, |v1|
	v_ashrrev_i32_e32 v24, 31, v1
	v_floor_f32_e32 v3, v3
	s_delay_alu instid0(VALU_DEP_2) | instskip(NEXT) | instid1(VALU_DEP_2)
	v_mov_b32_e32 v25, v24
	v_fma_f32 v5, 0xcf800000, v3, |v1|
	v_cvt_u32_f32_e32 v1, v3
	s_delay_alu instid0(VALU_DEP_2) | instskip(NEXT) | instid1(VALU_DEP_2)
	v_cvt_u32_f32_e32 v3, v5
	v_xor_b32_e32 v35, v1, v24
	s_delay_alu instid0(VALU_DEP_2) | instskip(NEXT) | instid1(VALU_DEP_1)
	v_xor_b32_e32 v34, v3, v24
	v_sub_nc_u64_e32 v[24:25], v[34:35], v[24:25]
.LBB63_4886:
	s_mov_b32 s1, 0
.LBB63_4887:
	s_delay_alu instid0(SALU_CYCLE_1)
	s_and_not1_b32 vcc_lo, exec_lo, s1
	s_cbranch_vccnz .LBB63_4889
; %bb.4888:
	global_load_u8 v1, v[32:33], off
	s_wait_loadcnt 0x0
	v_lshlrev_b32_e32 v3, 25, v1
	v_lshlrev_b16 v1, 8, v1
	s_delay_alu instid0(VALU_DEP_1) | instskip(SKIP_1) | instid1(VALU_DEP_2)
	v_and_or_b32 v7, 0x7f00, v1, 0.5
	v_bfe_i32 v1, v1, 0, 16
	v_add_f32_e32 v7, -0.5, v7
	v_lshrrev_b32_e32 v5, 4, v3
	v_cmp_gt_u32_e32 vcc_lo, 0x8000000, v3
	s_delay_alu instid0(VALU_DEP_2) | instskip(NEXT) | instid1(VALU_DEP_1)
	v_or_b32_e32 v5, 0x70000000, v5
	v_mul_f32_e32 v5, 0x7800000, v5
	s_delay_alu instid0(VALU_DEP_1) | instskip(NEXT) | instid1(VALU_DEP_1)
	v_cndmask_b32_e32 v3, v5, v7, vcc_lo
	v_and_or_b32 v1, 0x80000000, v1, v3
	s_delay_alu instid0(VALU_DEP_1) | instskip(NEXT) | instid1(VALU_DEP_1)
	v_trunc_f32_e32 v1, v1
	v_mul_f32_e64 v3, 0x2f800000, |v1|
	v_ashrrev_i32_e32 v24, 31, v1
	s_delay_alu instid0(VALU_DEP_2) | instskip(NEXT) | instid1(VALU_DEP_2)
	v_floor_f32_e32 v3, v3
	v_mov_b32_e32 v25, v24
	s_delay_alu instid0(VALU_DEP_2) | instskip(SKIP_1) | instid1(VALU_DEP_2)
	v_fma_f32 v5, 0xcf800000, v3, |v1|
	v_cvt_u32_f32_e32 v1, v3
	v_cvt_u32_f32_e32 v3, v5
	s_delay_alu instid0(VALU_DEP_2) | instskip(NEXT) | instid1(VALU_DEP_2)
	v_xor_b32_e32 v35, v1, v24
	v_xor_b32_e32 v34, v3, v24
	s_delay_alu instid0(VALU_DEP_1)
	v_sub_nc_u64_e32 v[24:25], v[34:35], v[24:25]
.LBB63_4889:
	s_mov_b32 s1, 0
	s_mov_b32 s9, -1
.LBB63_4890:
	s_and_not1_b32 vcc_lo, exec_lo, s1
	s_mov_b32 s1, 0
	s_cbranch_vccnz .LBB63_4901
; %bb.4891:
	s_cmp_gt_i32 s60, 14
	s_cbranch_scc0 .LBB63_4894
; %bb.4892:
	s_cmp_eq_u32 s60, 15
	s_cbranch_scc0 .LBB63_4897
; %bb.4893:
	global_load_u16 v1, v[32:33], off
	s_mov_b32 s0, 0
	s_mov_b32 s9, -1
	s_wait_loadcnt 0x0
	v_lshlrev_b32_e32 v1, 16, v1
	s_delay_alu instid0(VALU_DEP_1) | instskip(NEXT) | instid1(VALU_DEP_1)
	v_trunc_f32_e32 v1, v1
	v_mul_f32_e64 v3, 0x2f800000, |v1|
	v_ashrrev_i32_e32 v24, 31, v1
	s_delay_alu instid0(VALU_DEP_2) | instskip(NEXT) | instid1(VALU_DEP_2)
	v_floor_f32_e32 v3, v3
	v_mov_b32_e32 v25, v24
	s_delay_alu instid0(VALU_DEP_2) | instskip(SKIP_1) | instid1(VALU_DEP_2)
	v_fma_f32 v5, 0xcf800000, v3, |v1|
	v_cvt_u32_f32_e32 v1, v3
	v_cvt_u32_f32_e32 v3, v5
	s_delay_alu instid0(VALU_DEP_2) | instskip(NEXT) | instid1(VALU_DEP_2)
	v_xor_b32_e32 v35, v1, v24
	v_xor_b32_e32 v34, v3, v24
	s_delay_alu instid0(VALU_DEP_1)
	v_sub_nc_u64_e32 v[24:25], v[34:35], v[24:25]
	s_branch .LBB63_4899
.LBB63_4894:
	s_mov_b32 s1, -1
	s_branch .LBB63_4898
.LBB63_4895:
	s_and_not1_saveexec_b32 s1, s1
	s_cbranch_execz .LBB63_4876
.LBB63_4896:
	v_cmp_ne_u16_e32 vcc_lo, 0, v1
	s_and_not1_b32 s9, s9, exec_lo
	s_and_b32 s22, vcc_lo, exec_lo
	s_delay_alu instid0(SALU_CYCLE_1)
	s_or_b32 s9, s9, s22
	s_or_b32 exec_lo, exec_lo, s1
	v_mov_b64_e32 v[24:25], 0
	s_and_saveexec_b32 s1, s9
	s_cbranch_execnz .LBB63_4877
	s_branch .LBB63_4878
.LBB63_4897:
	s_mov_b32 s0, -1
.LBB63_4898:
                                        ; implicit-def: $vgpr24_vgpr25
.LBB63_4899:
	s_and_b32 vcc_lo, exec_lo, s1
	s_mov_b32 s1, 0
	s_cbranch_vccz .LBB63_4901
; %bb.4900:
	s_cmp_lg_u32 s60, 11
	s_mov_b32 s1, -1
	s_cselect_b32 s0, -1, 0
.LBB63_4901:
	s_delay_alu instid0(SALU_CYCLE_1)
	s_and_b32 vcc_lo, exec_lo, s0
	s_cbranch_vccnz .LBB63_4966
; %bb.4902:
	s_and_not1_b32 vcc_lo, exec_lo, s1
	s_cbranch_vccnz .LBB63_4904
.LBB63_4903:
	global_load_u8 v1, v[32:33], off
	s_mov_b32 s0, 0
	s_mov_b32 s9, -1
	s_wait_loadcnt 0x1
	v_mov_b32_e32 v25, s0
	s_wait_loadcnt 0x0
	v_cmp_ne_u16_e32 vcc_lo, 0, v1
	v_cndmask_b32_e64 v24, 0, 1, vcc_lo
.LBB63_4904:
	s_mov_b32 s0, 0
.LBB63_4905:
	s_delay_alu instid0(SALU_CYCLE_1)
	s_and_b32 vcc_lo, exec_lo, s0
	s_cbranch_vccz .LBB63_4954
; %bb.4906:
	s_cmp_lt_i32 s60, 5
	s_cbranch_scc1 .LBB63_4911
; %bb.4907:
	s_cmp_lt_i32 s60, 8
	s_cbranch_scc1 .LBB63_4912
	;; [unrolled: 3-line block ×3, first 2 shown]
; %bb.4909:
	s_cmp_gt_i32 s60, 9
	s_cbranch_scc0 .LBB63_4914
; %bb.4910:
	s_wait_loadcnt 0x0
	global_load_b64 v[24:25], v[32:33], off
	s_mov_b32 s0, 0
	s_wait_loadcnt 0x0
	v_trunc_f64_e32 v[24:25], v[24:25]
	s_delay_alu instid0(VALU_DEP_1) | instskip(NEXT) | instid1(VALU_DEP_1)
	v_ldexp_f64 v[34:35], v[24:25], 0xffffffe0
	v_floor_f64_e32 v[34:35], v[34:35]
	s_delay_alu instid0(VALU_DEP_1) | instskip(SKIP_1) | instid1(VALU_DEP_2)
	v_fmamk_f64 v[36:37], v[34:35], 0xc1f00000, v[24:25]
	v_cvt_i32_f64_e32 v25, v[34:35]
	v_cvt_u32_f64_e32 v24, v[36:37]
	s_branch .LBB63_4915
.LBB63_4911:
	s_mov_b32 s0, -1
                                        ; implicit-def: $vgpr24_vgpr25
	s_branch .LBB63_4933
.LBB63_4912:
	s_mov_b32 s0, -1
                                        ; implicit-def: $vgpr24_vgpr25
	s_branch .LBB63_4921
.LBB63_4913:
	s_mov_b32 s0, -1
                                        ; implicit-def: $vgpr24_vgpr25
	s_branch .LBB63_4918
.LBB63_4914:
	s_mov_b32 s0, -1
                                        ; implicit-def: $vgpr24_vgpr25
.LBB63_4915:
	s_delay_alu instid0(SALU_CYCLE_1)
	s_and_not1_b32 vcc_lo, exec_lo, s0
	s_cbranch_vccnz .LBB63_4917
; %bb.4916:
	global_load_b32 v1, v[32:33], off
	s_wait_loadcnt 0x0
	v_trunc_f32_e32 v1, v1
	s_delay_alu instid0(VALU_DEP_1) | instskip(SKIP_1) | instid1(VALU_DEP_2)
	v_mul_f32_e64 v3, 0x2f800000, |v1|
	v_ashrrev_i32_e32 v24, 31, v1
	v_floor_f32_e32 v3, v3
	s_delay_alu instid0(VALU_DEP_1) | instskip(SKIP_1) | instid1(VALU_DEP_4)
	v_fma_f32 v5, 0xcf800000, v3, |v1|
	v_cvt_u32_f32_e32 v1, v3
	v_mov_b32_e32 v25, v24
	s_delay_alu instid0(VALU_DEP_3) | instskip(NEXT) | instid1(VALU_DEP_3)
	v_cvt_u32_f32_e32 v3, v5
	v_xor_b32_e32 v35, v1, v24
	s_delay_alu instid0(VALU_DEP_2) | instskip(NEXT) | instid1(VALU_DEP_1)
	v_xor_b32_e32 v34, v3, v24
	v_sub_nc_u64_e32 v[24:25], v[34:35], v[24:25]
.LBB63_4917:
	s_mov_b32 s0, 0
.LBB63_4918:
	s_delay_alu instid0(SALU_CYCLE_1)
	s_and_not1_b32 vcc_lo, exec_lo, s0
	s_cbranch_vccnz .LBB63_4920
; %bb.4919:
	global_load_b32 v1, v[32:33], off
	s_wait_loadcnt 0x0
	v_cvt_f32_f16_e32 v1, v1
	s_delay_alu instid0(VALU_DEP_1) | instskip(NEXT) | instid1(VALU_DEP_1)
	v_cvt_i32_f32_e32 v24, v1
	v_ashrrev_i32_e32 v25, 31, v24
.LBB63_4920:
	s_mov_b32 s0, 0
.LBB63_4921:
	s_delay_alu instid0(SALU_CYCLE_1)
	s_and_not1_b32 vcc_lo, exec_lo, s0
	s_cbranch_vccnz .LBB63_4932
; %bb.4922:
	s_cmp_lt_i32 s60, 6
	s_cbranch_scc1 .LBB63_4925
; %bb.4923:
	s_cmp_gt_i32 s60, 6
	s_cbranch_scc0 .LBB63_4926
; %bb.4924:
	s_wait_loadcnt 0x0
	global_load_b64 v[24:25], v[32:33], off
	s_mov_b32 s0, 0
	s_wait_loadcnt 0x0
	v_trunc_f64_e32 v[24:25], v[24:25]
	s_delay_alu instid0(VALU_DEP_1) | instskip(NEXT) | instid1(VALU_DEP_1)
	v_ldexp_f64 v[34:35], v[24:25], 0xffffffe0
	v_floor_f64_e32 v[34:35], v[34:35]
	s_delay_alu instid0(VALU_DEP_1) | instskip(SKIP_1) | instid1(VALU_DEP_2)
	v_fmamk_f64 v[36:37], v[34:35], 0xc1f00000, v[24:25]
	v_cvt_i32_f64_e32 v25, v[34:35]
	v_cvt_u32_f64_e32 v24, v[36:37]
	s_branch .LBB63_4927
.LBB63_4925:
	s_mov_b32 s0, -1
                                        ; implicit-def: $vgpr24_vgpr25
	s_branch .LBB63_4930
.LBB63_4926:
	s_mov_b32 s0, -1
                                        ; implicit-def: $vgpr24_vgpr25
.LBB63_4927:
	s_delay_alu instid0(SALU_CYCLE_1)
	s_and_not1_b32 vcc_lo, exec_lo, s0
	s_cbranch_vccnz .LBB63_4929
; %bb.4928:
	global_load_b32 v1, v[32:33], off
	s_wait_loadcnt 0x0
	v_trunc_f32_e32 v1, v1
	s_delay_alu instid0(VALU_DEP_1) | instskip(SKIP_1) | instid1(VALU_DEP_2)
	v_mul_f32_e64 v3, 0x2f800000, |v1|
	v_ashrrev_i32_e32 v24, 31, v1
	v_floor_f32_e32 v3, v3
	s_delay_alu instid0(VALU_DEP_1) | instskip(SKIP_1) | instid1(VALU_DEP_4)
	v_fma_f32 v5, 0xcf800000, v3, |v1|
	v_cvt_u32_f32_e32 v1, v3
	v_mov_b32_e32 v25, v24
	s_delay_alu instid0(VALU_DEP_3) | instskip(NEXT) | instid1(VALU_DEP_3)
	v_cvt_u32_f32_e32 v3, v5
	v_xor_b32_e32 v35, v1, v24
	s_delay_alu instid0(VALU_DEP_2) | instskip(NEXT) | instid1(VALU_DEP_1)
	v_xor_b32_e32 v34, v3, v24
	v_sub_nc_u64_e32 v[24:25], v[34:35], v[24:25]
.LBB63_4929:
	s_mov_b32 s0, 0
.LBB63_4930:
	s_delay_alu instid0(SALU_CYCLE_1)
	s_and_not1_b32 vcc_lo, exec_lo, s0
	s_cbranch_vccnz .LBB63_4932
; %bb.4931:
	global_load_u16 v1, v[32:33], off
	s_wait_loadcnt 0x0
	v_cvt_f32_f16_e32 v1, v1
	s_delay_alu instid0(VALU_DEP_1) | instskip(NEXT) | instid1(VALU_DEP_1)
	v_cvt_i32_f32_e32 v24, v1
	v_ashrrev_i32_e32 v25, 31, v24
.LBB63_4932:
	s_mov_b32 s0, 0
.LBB63_4933:
	s_delay_alu instid0(SALU_CYCLE_1)
	s_and_not1_b32 vcc_lo, exec_lo, s0
	s_cbranch_vccnz .LBB63_4953
; %bb.4934:
	s_cmp_lt_i32 s60, 2
	s_cbranch_scc1 .LBB63_4938
; %bb.4935:
	s_cmp_lt_i32 s60, 3
	s_cbranch_scc1 .LBB63_4939
; %bb.4936:
	s_cmp_gt_i32 s60, 3
	s_cbranch_scc0 .LBB63_4940
; %bb.4937:
	s_wait_loadcnt 0x0
	global_load_b64 v[24:25], v[32:33], off
	s_mov_b32 s0, 0
	s_branch .LBB63_4941
.LBB63_4938:
	s_mov_b32 s0, -1
                                        ; implicit-def: $vgpr24_vgpr25
	s_branch .LBB63_4947
.LBB63_4939:
	s_mov_b32 s0, -1
                                        ; implicit-def: $vgpr24_vgpr25
	s_branch .LBB63_4944
.LBB63_4940:
	s_mov_b32 s0, -1
                                        ; implicit-def: $vgpr24_vgpr25
.LBB63_4941:
	s_delay_alu instid0(SALU_CYCLE_1)
	s_and_not1_b32 vcc_lo, exec_lo, s0
	s_cbranch_vccnz .LBB63_4943
; %bb.4942:
	s_wait_loadcnt 0x0
	global_load_b32 v24, v[32:33], off
	s_wait_loadcnt 0x0
	v_ashrrev_i32_e32 v25, 31, v24
.LBB63_4943:
	s_mov_b32 s0, 0
.LBB63_4944:
	s_delay_alu instid0(SALU_CYCLE_1)
	s_and_not1_b32 vcc_lo, exec_lo, s0
	s_cbranch_vccnz .LBB63_4946
; %bb.4945:
	global_load_u16 v1, v[32:33], off
	s_wait_loadcnt 0x0
	v_bfe_i32 v24, v1, 0, 16
	s_delay_alu instid0(VALU_DEP_1)
	v_ashrrev_i32_e32 v25, 31, v24
.LBB63_4946:
	s_mov_b32 s0, 0
.LBB63_4947:
	s_delay_alu instid0(SALU_CYCLE_1)
	s_and_not1_b32 vcc_lo, exec_lo, s0
	s_cbranch_vccnz .LBB63_4953
; %bb.4948:
	s_cmp_gt_i32 s60, 0
	s_mov_b32 s0, 0
	s_cbranch_scc0 .LBB63_4950
; %bb.4949:
	global_load_i8 v1, v[32:33], off
	s_wait_loadcnt 0x0
	v_bfe_i32 v24, v1, 0, 16
	s_delay_alu instid0(VALU_DEP_1)
	v_ashrrev_i32_e32 v25, 31, v24
	s_branch .LBB63_4951
.LBB63_4950:
	s_mov_b32 s0, -1
                                        ; implicit-def: $vgpr24_vgpr25
.LBB63_4951:
	s_delay_alu instid0(SALU_CYCLE_1)
	s_and_not1_b32 vcc_lo, exec_lo, s0
	s_cbranch_vccnz .LBB63_4953
; %bb.4952:
	global_load_u8 v1, v[32:33], off
	s_mov_b32 s0, 0
	s_wait_loadcnt 0x1
	v_mov_b32_e32 v25, s0
	s_wait_loadcnt 0x0
	v_and_b32_e32 v24, 0xffff, v1
.LBB63_4953:
	s_mov_b32 s9, -1
.LBB63_4954:
	s_delay_alu instid0(SALU_CYCLE_1)
	s_and_not1_b32 vcc_lo, exec_lo, s9
	s_cbranch_vccnz .LBB63_5090
; %bb.4955:
	v_mov_b32_e32 v23, 0
	s_cmp_lt_i32 s61, 11
	s_delay_alu instid0(VALU_DEP_1)
	v_add_nc_u64_e32 v[22:23], s[16:17], v[22:23]
	s_cbranch_scc1 .LBB63_4962
; %bb.4956:
	s_cmp_gt_i32 s61, 25
	s_mov_b32 s1, 0
	s_cbranch_scc0 .LBB63_4963
; %bb.4957:
	s_cmp_gt_i32 s61, 28
	s_cbranch_scc0 .LBB63_4964
; %bb.4958:
	s_cmp_gt_i32 s61, 43
	;; [unrolled: 3-line block ×3, first 2 shown]
	s_cbranch_scc0 .LBB63_4967
; %bb.4960:
	s_cmp_eq_u32 s61, 46
	s_mov_b32 s22, 0
	s_cbranch_scc0 .LBB63_4968
; %bb.4961:
	global_load_b32 v1, v[22:23], off
	s_mov_b32 s0, 0
	s_mov_b32 s9, -1
	s_wait_loadcnt 0x0
	v_lshlrev_b32_e32 v1, 16, v1
	s_delay_alu instid0(VALU_DEP_1) | instskip(NEXT) | instid1(VALU_DEP_1)
	v_trunc_f32_e32 v1, v1
	v_mul_f32_e64 v3, 0x2f800000, |v1|
	s_wait_xcnt 0x1
	v_ashrrev_i32_e32 v32, 31, v1
	s_delay_alu instid0(VALU_DEP_2) | instskip(NEXT) | instid1(VALU_DEP_2)
	v_floor_f32_e32 v3, v3
	v_mov_b32_e32 v33, v32
	s_delay_alu instid0(VALU_DEP_2) | instskip(SKIP_1) | instid1(VALU_DEP_2)
	v_fma_f32 v5, 0xcf800000, v3, |v1|
	v_cvt_u32_f32_e32 v1, v3
	v_cvt_u32_f32_e32 v3, v5
	s_delay_alu instid0(VALU_DEP_2) | instskip(NEXT) | instid1(VALU_DEP_2)
	v_xor_b32_e32 v35, v1, v32
	v_xor_b32_e32 v34, v3, v32
	s_delay_alu instid0(VALU_DEP_1)
	v_sub_nc_u64_e32 v[32:33], v[34:35], v[32:33]
	s_branch .LBB63_4970
.LBB63_4962:
	s_mov_b32 s0, -1
	s_mov_b32 s9, 0
                                        ; implicit-def: $vgpr32_vgpr33
	s_branch .LBB63_5032
.LBB63_4963:
	s_mov_b32 s22, -1
	s_mov_b32 s9, 0
	s_mov_b32 s0, 0
                                        ; implicit-def: $vgpr32_vgpr33
	s_branch .LBB63_4997
.LBB63_4964:
	s_mov_b32 s22, -1
	s_mov_b32 s9, 0
	s_mov_b32 s0, 0
                                        ; implicit-def: $vgpr32_vgpr33
	s_branch .LBB63_4980
.LBB63_4965:
	s_mov_b32 s22, -1
	s_mov_b32 s9, 0
	s_mov_b32 s0, 0
                                        ; implicit-def: $vgpr32_vgpr33
	s_branch .LBB63_4975
.LBB63_4966:
	s_or_b32 s56, s56, exec_lo
	s_trap 2
	s_cbranch_execz .LBB63_4903
	s_branch .LBB63_4904
.LBB63_4967:
	s_mov_b32 s22, -1
	s_mov_b32 s9, 0
	s_mov_b32 s0, 0
	s_branch .LBB63_4969
.LBB63_4968:
	s_mov_b32 s0, -1
	s_mov_b32 s9, 0
.LBB63_4969:
                                        ; implicit-def: $vgpr32_vgpr33
.LBB63_4970:
	s_and_b32 vcc_lo, exec_lo, s22
	s_cbranch_vccz .LBB63_4974
; %bb.4971:
	s_cmp_eq_u32 s61, 44
	s_cbranch_scc0 .LBB63_4973
; %bb.4972:
	global_load_u8 v1, v[22:23], off
	s_mov_b32 s0, 0
	s_mov_b32 s9, -1
	s_wait_loadcnt 0x0
	v_lshlrev_b32_e32 v3, 23, v1
	v_cmp_ne_u32_e32 vcc_lo, 0, v1
	s_delay_alu instid0(VALU_DEP_2) | instskip(NEXT) | instid1(VALU_DEP_1)
	v_trunc_f32_e32 v3, v3
	v_mul_f32_e64 v5, 0x2f800000, |v3|
	s_wait_xcnt 0x1
	v_ashrrev_i32_e32 v32, 31, v3
	s_delay_alu instid0(VALU_DEP_2) | instskip(NEXT) | instid1(VALU_DEP_2)
	v_floor_f32_e32 v5, v5
	v_mov_b32_e32 v33, v32
	s_delay_alu instid0(VALU_DEP_2) | instskip(SKIP_1) | instid1(VALU_DEP_2)
	v_fma_f32 v7, 0xcf800000, v5, |v3|
	v_cvt_u32_f32_e32 v3, v5
	v_cvt_u32_f32_e32 v5, v7
	s_delay_alu instid0(VALU_DEP_2) | instskip(NEXT) | instid1(VALU_DEP_2)
	v_xor_b32_e32 v35, v3, v32
	v_xor_b32_e32 v34, v5, v32
	s_delay_alu instid0(VALU_DEP_1) | instskip(NEXT) | instid1(VALU_DEP_1)
	v_sub_nc_u64_e32 v[32:33], v[34:35], v[32:33]
	v_dual_cndmask_b32 v33, 0, v33 :: v_dual_cndmask_b32 v32, 0, v32
	s_branch .LBB63_4974
.LBB63_4973:
	s_mov_b32 s0, -1
                                        ; implicit-def: $vgpr32_vgpr33
.LBB63_4974:
	s_mov_b32 s22, 0
.LBB63_4975:
	s_delay_alu instid0(SALU_CYCLE_1)
	s_and_b32 vcc_lo, exec_lo, s22
	s_cbranch_vccz .LBB63_4979
; %bb.4976:
	s_cmp_eq_u32 s61, 29
	s_cbranch_scc0 .LBB63_4978
; %bb.4977:
	global_load_b64 v[32:33], v[22:23], off
	s_mov_b32 s0, 0
	s_mov_b32 s9, -1
	s_branch .LBB63_4979
.LBB63_4978:
	s_mov_b32 s0, -1
                                        ; implicit-def: $vgpr32_vgpr33
.LBB63_4979:
	s_mov_b32 s22, 0
.LBB63_4980:
	s_delay_alu instid0(SALU_CYCLE_1)
	s_and_b32 vcc_lo, exec_lo, s22
	s_cbranch_vccz .LBB63_4996
; %bb.4981:
	s_cmp_lt_i32 s61, 27
	s_cbranch_scc1 .LBB63_4984
; %bb.4982:
	s_cmp_gt_i32 s61, 27
	s_cbranch_scc0 .LBB63_4985
; %bb.4983:
	s_wait_loadcnt 0x0
	global_load_b32 v32, v[22:23], off
	v_mov_b32_e32 v33, 0
	s_mov_b32 s9, 0
	s_branch .LBB63_4986
.LBB63_4984:
	s_mov_b32 s9, -1
                                        ; implicit-def: $vgpr32_vgpr33
	s_branch .LBB63_4989
.LBB63_4985:
	s_mov_b32 s9, -1
                                        ; implicit-def: $vgpr32_vgpr33
.LBB63_4986:
	s_delay_alu instid0(SALU_CYCLE_1)
	s_and_not1_b32 vcc_lo, exec_lo, s9
	s_cbranch_vccnz .LBB63_4988
; %bb.4987:
	global_load_u16 v1, v[22:23], off
	s_mov_b32 s9, 0
	s_wait_loadcnt 0x1
	s_wait_xcnt 0x1
	v_mov_b32_e32 v33, s9
	s_wait_loadcnt 0x0
	v_and_b32_e32 v32, 0xffff, v1
.LBB63_4988:
	s_mov_b32 s9, 0
.LBB63_4989:
	s_delay_alu instid0(SALU_CYCLE_1)
	s_and_not1_b32 vcc_lo, exec_lo, s9
	s_cbranch_vccnz .LBB63_4995
; %bb.4990:
	global_load_u8 v1, v[22:23], off
	s_mov_b32 s22, 0
	s_mov_b32 s9, exec_lo
	s_wait_loadcnt 0x0
	v_cmpx_lt_i16_e32 0x7f, v1
	s_xor_b32 s9, exec_lo, s9
	s_cbranch_execz .LBB63_5007
; %bb.4991:
	v_cmp_ne_u16_e32 vcc_lo, 0x80, v1
	s_and_b32 s22, vcc_lo, exec_lo
	s_and_not1_saveexec_b32 s9, s9
	s_cbranch_execnz .LBB63_5008
.LBB63_4992:
	s_or_b32 exec_lo, exec_lo, s9
	v_mov_b64_e32 v[32:33], 0
	s_and_saveexec_b32 s9, s22
	s_cbranch_execz .LBB63_4994
.LBB63_4993:
	v_and_b32_e32 v3, 0xffff, v1
	s_delay_alu instid0(VALU_DEP_1) | instskip(SKIP_1) | instid1(VALU_DEP_2)
	v_dual_lshlrev_b32 v1, 24, v1 :: v_dual_bitop2_b32 v5, 7, v3 bitop3:0x40
	v_bfe_u32 v15, v3, 3, 4
	v_and_b32_e32 v1, 0x80000000, v1
	s_delay_alu instid0(VALU_DEP_3) | instskip(NEXT) | instid1(VALU_DEP_3)
	v_clz_i32_u32_e32 v7, v5
	v_cmp_eq_u32_e32 vcc_lo, 0, v15
	s_delay_alu instid0(VALU_DEP_2) | instskip(NEXT) | instid1(VALU_DEP_1)
	v_min_u32_e32 v7, 32, v7
	v_subrev_nc_u32_e32 v11, 28, v7
	v_sub_nc_u32_e32 v7, 29, v7
	s_delay_alu instid0(VALU_DEP_2) | instskip(NEXT) | instid1(VALU_DEP_2)
	v_lshlrev_b32_e32 v3, v11, v3
	v_cndmask_b32_e32 v7, v15, v7, vcc_lo
	s_delay_alu instid0(VALU_DEP_2) | instskip(NEXT) | instid1(VALU_DEP_1)
	v_and_b32_e32 v3, 7, v3
	v_cndmask_b32_e32 v3, v5, v3, vcc_lo
	s_delay_alu instid0(VALU_DEP_3) | instskip(NEXT) | instid1(VALU_DEP_2)
	v_lshl_add_u32 v5, v7, 23, 0x3b800000
	v_lshlrev_b32_e32 v3, 20, v3
	s_delay_alu instid0(VALU_DEP_1) | instskip(NEXT) | instid1(VALU_DEP_1)
	v_or3_b32 v1, v1, v5, v3
	v_trunc_f32_e32 v1, v1
	s_delay_alu instid0(VALU_DEP_1) | instskip(SKIP_1) | instid1(VALU_DEP_2)
	v_mul_f32_e64 v3, 0x2f800000, |v1|
	v_ashrrev_i32_e32 v32, 31, v1
	v_floor_f32_e32 v3, v3
	s_delay_alu instid0(VALU_DEP_2) | instskip(NEXT) | instid1(VALU_DEP_2)
	v_mov_b32_e32 v33, v32
	v_fma_f32 v5, 0xcf800000, v3, |v1|
	v_cvt_u32_f32_e32 v1, v3
	s_delay_alu instid0(VALU_DEP_2) | instskip(NEXT) | instid1(VALU_DEP_2)
	v_cvt_u32_f32_e32 v3, v5
	v_xor_b32_e32 v35, v1, v32
	s_delay_alu instid0(VALU_DEP_2) | instskip(NEXT) | instid1(VALU_DEP_1)
	v_xor_b32_e32 v34, v3, v32
	v_sub_nc_u64_e32 v[32:33], v[34:35], v[32:33]
.LBB63_4994:
	s_or_b32 exec_lo, exec_lo, s9
.LBB63_4995:
	s_mov_b32 s9, -1
.LBB63_4996:
	s_mov_b32 s22, 0
.LBB63_4997:
	s_delay_alu instid0(SALU_CYCLE_1)
	s_and_b32 vcc_lo, exec_lo, s22
	s_cbranch_vccz .LBB63_5028
; %bb.4998:
	s_cmp_gt_i32 s61, 22
	s_cbranch_scc0 .LBB63_5006
; %bb.4999:
	s_cmp_lt_i32 s61, 24
	s_cbranch_scc1 .LBB63_5009
; %bb.5000:
	s_cmp_gt_i32 s61, 24
	s_cbranch_scc0 .LBB63_5010
; %bb.5001:
	global_load_u8 v1, v[22:23], off
	s_mov_b32 s9, 0
	s_mov_b32 s1, exec_lo
	s_wait_loadcnt 0x0
	v_cmpx_lt_i16_e32 0x7f, v1
	s_xor_b32 s1, exec_lo, s1
	s_cbranch_execz .LBB63_5022
; %bb.5002:
	v_cmp_ne_u16_e32 vcc_lo, 0x80, v1
	s_and_b32 s9, vcc_lo, exec_lo
	s_and_not1_saveexec_b32 s1, s1
	s_cbranch_execnz .LBB63_5023
.LBB63_5003:
	s_or_b32 exec_lo, exec_lo, s1
	v_mov_b64_e32 v[32:33], 0
	s_and_saveexec_b32 s1, s9
	s_cbranch_execz .LBB63_5005
.LBB63_5004:
	v_and_b32_e32 v3, 0xffff, v1
	s_delay_alu instid0(VALU_DEP_1) | instskip(SKIP_1) | instid1(VALU_DEP_2)
	v_dual_lshlrev_b32 v1, 24, v1 :: v_dual_bitop2_b32 v5, 3, v3 bitop3:0x40
	v_bfe_u32 v15, v3, 2, 5
	v_and_b32_e32 v1, 0x80000000, v1
	s_delay_alu instid0(VALU_DEP_3) | instskip(NEXT) | instid1(VALU_DEP_3)
	v_clz_i32_u32_e32 v7, v5
	v_cmp_eq_u32_e32 vcc_lo, 0, v15
	s_delay_alu instid0(VALU_DEP_2) | instskip(NEXT) | instid1(VALU_DEP_1)
	v_min_u32_e32 v7, 32, v7
	v_subrev_nc_u32_e32 v11, 29, v7
	v_sub_nc_u32_e32 v7, 30, v7
	s_delay_alu instid0(VALU_DEP_2) | instskip(NEXT) | instid1(VALU_DEP_2)
	v_lshlrev_b32_e32 v3, v11, v3
	v_cndmask_b32_e32 v7, v15, v7, vcc_lo
	s_delay_alu instid0(VALU_DEP_2) | instskip(NEXT) | instid1(VALU_DEP_1)
	v_and_b32_e32 v3, 3, v3
	v_cndmask_b32_e32 v3, v5, v3, vcc_lo
	s_delay_alu instid0(VALU_DEP_3) | instskip(NEXT) | instid1(VALU_DEP_2)
	v_lshl_add_u32 v5, v7, 23, 0x37800000
	v_lshlrev_b32_e32 v3, 21, v3
	s_delay_alu instid0(VALU_DEP_1) | instskip(NEXT) | instid1(VALU_DEP_1)
	v_or3_b32 v1, v1, v5, v3
	v_trunc_f32_e32 v1, v1
	s_delay_alu instid0(VALU_DEP_1) | instskip(SKIP_1) | instid1(VALU_DEP_2)
	v_mul_f32_e64 v3, 0x2f800000, |v1|
	v_ashrrev_i32_e32 v32, 31, v1
	v_floor_f32_e32 v3, v3
	s_delay_alu instid0(VALU_DEP_2) | instskip(NEXT) | instid1(VALU_DEP_2)
	v_mov_b32_e32 v33, v32
	v_fma_f32 v5, 0xcf800000, v3, |v1|
	v_cvt_u32_f32_e32 v1, v3
	s_delay_alu instid0(VALU_DEP_2) | instskip(NEXT) | instid1(VALU_DEP_2)
	v_cvt_u32_f32_e32 v3, v5
	v_xor_b32_e32 v35, v1, v32
	s_delay_alu instid0(VALU_DEP_2) | instskip(NEXT) | instid1(VALU_DEP_1)
	v_xor_b32_e32 v34, v3, v32
	v_sub_nc_u64_e32 v[32:33], v[34:35], v[32:33]
.LBB63_5005:
	s_or_b32 exec_lo, exec_lo, s1
	s_mov_b32 s1, 0
	s_branch .LBB63_5011
.LBB63_5006:
	s_mov_b32 s1, -1
                                        ; implicit-def: $vgpr32_vgpr33
	s_branch .LBB63_5017
.LBB63_5007:
	s_and_not1_saveexec_b32 s9, s9
	s_cbranch_execz .LBB63_4992
.LBB63_5008:
	v_cmp_ne_u16_e32 vcc_lo, 0, v1
	s_and_not1_b32 s22, s22, exec_lo
	s_and_b32 s23, vcc_lo, exec_lo
	s_delay_alu instid0(SALU_CYCLE_1)
	s_or_b32 s22, s22, s23
	s_or_b32 exec_lo, exec_lo, s9
	v_mov_b64_e32 v[32:33], 0
	s_and_saveexec_b32 s9, s22
	s_cbranch_execnz .LBB63_4993
	s_branch .LBB63_4994
.LBB63_5009:
	s_mov_b32 s1, -1
                                        ; implicit-def: $vgpr32_vgpr33
	s_branch .LBB63_5014
.LBB63_5010:
	s_mov_b32 s1, -1
                                        ; implicit-def: $vgpr32_vgpr33
.LBB63_5011:
	s_delay_alu instid0(SALU_CYCLE_1)
	s_and_b32 vcc_lo, exec_lo, s1
	s_cbranch_vccz .LBB63_5013
; %bb.5012:
	global_load_u8 v1, v[22:23], off
	s_wait_loadcnt 0x0
	v_lshlrev_b32_e32 v1, 24, v1
	s_delay_alu instid0(VALU_DEP_1) | instskip(NEXT) | instid1(VALU_DEP_1)
	v_and_b32_e32 v3, 0x7f000000, v1
	v_clz_i32_u32_e32 v5, v3
	v_add_nc_u32_e32 v11, 0x1000000, v3
	v_cmp_ne_u32_e32 vcc_lo, 0, v3
	s_delay_alu instid0(VALU_DEP_3) | instskip(NEXT) | instid1(VALU_DEP_1)
	v_min_u32_e32 v5, 32, v5
	v_sub_nc_u32_e64 v5, v5, 4 clamp
	s_delay_alu instid0(VALU_DEP_1) | instskip(NEXT) | instid1(VALU_DEP_1)
	v_dual_lshlrev_b32 v7, v5, v3 :: v_dual_lshlrev_b32 v5, 23, v5
	v_lshrrev_b32_e32 v7, 4, v7
	s_delay_alu instid0(VALU_DEP_1) | instskip(NEXT) | instid1(VALU_DEP_1)
	v_dual_sub_nc_u32 v5, v7, v5 :: v_dual_ashrrev_i32 v7, 8, v11
	v_add_nc_u32_e32 v5, 0x3c000000, v5
	s_delay_alu instid0(VALU_DEP_1) | instskip(NEXT) | instid1(VALU_DEP_1)
	v_and_or_b32 v5, 0x7f800000, v7, v5
	v_cndmask_b32_e32 v3, 0, v5, vcc_lo
	s_delay_alu instid0(VALU_DEP_1) | instskip(NEXT) | instid1(VALU_DEP_1)
	v_and_or_b32 v1, 0x80000000, v1, v3
	v_trunc_f32_e32 v1, v1
	s_delay_alu instid0(VALU_DEP_1) | instskip(SKIP_2) | instid1(VALU_DEP_2)
	v_mul_f32_e64 v3, 0x2f800000, |v1|
	s_wait_xcnt 0x1
	v_ashrrev_i32_e32 v32, 31, v1
	v_floor_f32_e32 v3, v3
	s_delay_alu instid0(VALU_DEP_2) | instskip(NEXT) | instid1(VALU_DEP_2)
	v_mov_b32_e32 v33, v32
	v_fma_f32 v5, 0xcf800000, v3, |v1|
	v_cvt_u32_f32_e32 v1, v3
	s_delay_alu instid0(VALU_DEP_2) | instskip(NEXT) | instid1(VALU_DEP_2)
	v_cvt_u32_f32_e32 v3, v5
	v_xor_b32_e32 v35, v1, v32
	s_delay_alu instid0(VALU_DEP_2) | instskip(NEXT) | instid1(VALU_DEP_1)
	v_xor_b32_e32 v34, v3, v32
	v_sub_nc_u64_e32 v[32:33], v[34:35], v[32:33]
.LBB63_5013:
	s_mov_b32 s1, 0
.LBB63_5014:
	s_delay_alu instid0(SALU_CYCLE_1)
	s_and_not1_b32 vcc_lo, exec_lo, s1
	s_cbranch_vccnz .LBB63_5016
; %bb.5015:
	global_load_u8 v1, v[22:23], off
	s_wait_loadcnt 0x0
	v_lshlrev_b32_e32 v3, 25, v1
	v_lshlrev_b16 v1, 8, v1
	s_delay_alu instid0(VALU_DEP_1) | instskip(SKIP_1) | instid1(VALU_DEP_2)
	v_and_or_b32 v7, 0x7f00, v1, 0.5
	v_bfe_i32 v1, v1, 0, 16
	v_add_f32_e32 v7, -0.5, v7
	v_lshrrev_b32_e32 v5, 4, v3
	v_cmp_gt_u32_e32 vcc_lo, 0x8000000, v3
	s_delay_alu instid0(VALU_DEP_2) | instskip(NEXT) | instid1(VALU_DEP_1)
	v_or_b32_e32 v5, 0x70000000, v5
	v_mul_f32_e32 v5, 0x7800000, v5
	s_delay_alu instid0(VALU_DEP_1) | instskip(NEXT) | instid1(VALU_DEP_1)
	v_cndmask_b32_e32 v3, v5, v7, vcc_lo
	v_and_or_b32 v1, 0x80000000, v1, v3
	s_delay_alu instid0(VALU_DEP_1) | instskip(NEXT) | instid1(VALU_DEP_1)
	v_trunc_f32_e32 v1, v1
	v_mul_f32_e64 v3, 0x2f800000, |v1|
	s_wait_xcnt 0x1
	v_ashrrev_i32_e32 v32, 31, v1
	s_delay_alu instid0(VALU_DEP_2) | instskip(NEXT) | instid1(VALU_DEP_2)
	v_floor_f32_e32 v3, v3
	v_mov_b32_e32 v33, v32
	s_delay_alu instid0(VALU_DEP_2) | instskip(SKIP_1) | instid1(VALU_DEP_2)
	v_fma_f32 v5, 0xcf800000, v3, |v1|
	v_cvt_u32_f32_e32 v1, v3
	v_cvt_u32_f32_e32 v3, v5
	s_delay_alu instid0(VALU_DEP_2) | instskip(NEXT) | instid1(VALU_DEP_2)
	v_xor_b32_e32 v35, v1, v32
	v_xor_b32_e32 v34, v3, v32
	s_delay_alu instid0(VALU_DEP_1)
	v_sub_nc_u64_e32 v[32:33], v[34:35], v[32:33]
.LBB63_5016:
	s_mov_b32 s1, 0
	s_mov_b32 s9, -1
.LBB63_5017:
	s_and_not1_b32 vcc_lo, exec_lo, s1
	s_mov_b32 s1, 0
	s_cbranch_vccnz .LBB63_5028
; %bb.5018:
	s_cmp_gt_i32 s61, 14
	s_cbranch_scc0 .LBB63_5021
; %bb.5019:
	s_cmp_eq_u32 s61, 15
	s_cbranch_scc0 .LBB63_5024
; %bb.5020:
	global_load_u16 v1, v[22:23], off
	s_mov_b32 s0, 0
	s_mov_b32 s9, -1
	s_wait_loadcnt 0x0
	v_lshlrev_b32_e32 v1, 16, v1
	s_delay_alu instid0(VALU_DEP_1) | instskip(NEXT) | instid1(VALU_DEP_1)
	v_trunc_f32_e32 v1, v1
	v_mul_f32_e64 v3, 0x2f800000, |v1|
	s_wait_xcnt 0x1
	v_ashrrev_i32_e32 v32, 31, v1
	s_delay_alu instid0(VALU_DEP_2) | instskip(NEXT) | instid1(VALU_DEP_2)
	v_floor_f32_e32 v3, v3
	v_mov_b32_e32 v33, v32
	s_delay_alu instid0(VALU_DEP_2) | instskip(SKIP_1) | instid1(VALU_DEP_2)
	v_fma_f32 v5, 0xcf800000, v3, |v1|
	v_cvt_u32_f32_e32 v1, v3
	v_cvt_u32_f32_e32 v3, v5
	s_delay_alu instid0(VALU_DEP_2) | instskip(NEXT) | instid1(VALU_DEP_2)
	v_xor_b32_e32 v35, v1, v32
	v_xor_b32_e32 v34, v3, v32
	s_delay_alu instid0(VALU_DEP_1)
	v_sub_nc_u64_e32 v[32:33], v[34:35], v[32:33]
	s_branch .LBB63_5026
.LBB63_5021:
	s_mov_b32 s1, -1
	s_branch .LBB63_5025
.LBB63_5022:
	s_and_not1_saveexec_b32 s1, s1
	s_cbranch_execz .LBB63_5003
.LBB63_5023:
	v_cmp_ne_u16_e32 vcc_lo, 0, v1
	s_and_not1_b32 s9, s9, exec_lo
	s_and_b32 s22, vcc_lo, exec_lo
	s_delay_alu instid0(SALU_CYCLE_1)
	s_or_b32 s9, s9, s22
	s_or_b32 exec_lo, exec_lo, s1
	v_mov_b64_e32 v[32:33], 0
	s_and_saveexec_b32 s1, s9
	s_cbranch_execnz .LBB63_5004
	s_branch .LBB63_5005
.LBB63_5024:
	s_mov_b32 s0, -1
.LBB63_5025:
                                        ; implicit-def: $vgpr32_vgpr33
.LBB63_5026:
	s_and_b32 vcc_lo, exec_lo, s1
	s_mov_b32 s1, 0
	s_cbranch_vccz .LBB63_5028
; %bb.5027:
	s_cmp_lg_u32 s61, 11
	s_mov_b32 s1, -1
	s_cselect_b32 s0, -1, 0
.LBB63_5028:
	s_delay_alu instid0(SALU_CYCLE_1)
	s_and_b32 vcc_lo, exec_lo, s0
	s_cbranch_vccnz .LBB63_5116
; %bb.5029:
	s_and_not1_b32 vcc_lo, exec_lo, s1
	s_cbranch_vccnz .LBB63_5031
.LBB63_5030:
	global_load_u8 v1, v[22:23], off
	s_mov_b32 s0, 0
	s_mov_b32 s9, -1
	s_wait_loadcnt 0x1
	s_wait_xcnt 0x1
	v_mov_b32_e32 v33, s0
	s_wait_loadcnt 0x0
	v_cmp_ne_u16_e32 vcc_lo, 0, v1
	v_cndmask_b32_e64 v32, 0, 1, vcc_lo
.LBB63_5031:
	s_mov_b32 s0, 0
.LBB63_5032:
	s_delay_alu instid0(SALU_CYCLE_1)
	s_and_b32 vcc_lo, exec_lo, s0
	s_cbranch_vccz .LBB63_5081
; %bb.5033:
	s_cmp_lt_i32 s61, 5
	s_cbranch_scc1 .LBB63_5038
; %bb.5034:
	s_cmp_lt_i32 s61, 8
	s_cbranch_scc1 .LBB63_5039
	;; [unrolled: 3-line block ×3, first 2 shown]
; %bb.5036:
	s_cmp_gt_i32 s61, 9
	s_cbranch_scc0 .LBB63_5041
; %bb.5037:
	s_wait_loadcnt 0x0
	global_load_b64 v[32:33], v[22:23], off
	s_mov_b32 s0, 0
	s_wait_loadcnt 0x0
	v_trunc_f64_e32 v[32:33], v[32:33]
	s_delay_alu instid0(VALU_DEP_1) | instskip(NEXT) | instid1(VALU_DEP_1)
	v_ldexp_f64 v[34:35], v[32:33], 0xffffffe0
	v_floor_f64_e32 v[34:35], v[34:35]
	s_delay_alu instid0(VALU_DEP_1) | instskip(SKIP_1) | instid1(VALU_DEP_2)
	v_fmamk_f64 v[36:37], v[34:35], 0xc1f00000, v[32:33]
	v_cvt_i32_f64_e32 v33, v[34:35]
	v_cvt_u32_f64_e32 v32, v[36:37]
	s_branch .LBB63_5042
.LBB63_5038:
	s_mov_b32 s0, -1
                                        ; implicit-def: $vgpr32_vgpr33
	s_branch .LBB63_5060
.LBB63_5039:
	s_mov_b32 s0, -1
                                        ; implicit-def: $vgpr32_vgpr33
	s_branch .LBB63_5048
.LBB63_5040:
	s_mov_b32 s0, -1
                                        ; implicit-def: $vgpr32_vgpr33
	s_branch .LBB63_5045
.LBB63_5041:
	s_mov_b32 s0, -1
                                        ; implicit-def: $vgpr32_vgpr33
.LBB63_5042:
	s_delay_alu instid0(SALU_CYCLE_1)
	s_and_not1_b32 vcc_lo, exec_lo, s0
	s_cbranch_vccnz .LBB63_5044
; %bb.5043:
	global_load_b32 v1, v[22:23], off
	s_wait_loadcnt 0x0
	v_trunc_f32_e32 v1, v1
	s_delay_alu instid0(VALU_DEP_1) | instskip(SKIP_2) | instid1(VALU_DEP_2)
	v_mul_f32_e64 v3, 0x2f800000, |v1|
	s_wait_xcnt 0x1
	v_ashrrev_i32_e32 v32, 31, v1
	v_floor_f32_e32 v3, v3
	s_delay_alu instid0(VALU_DEP_1) | instskip(SKIP_1) | instid1(VALU_DEP_4)
	v_fma_f32 v5, 0xcf800000, v3, |v1|
	v_cvt_u32_f32_e32 v1, v3
	v_mov_b32_e32 v33, v32
	s_delay_alu instid0(VALU_DEP_3) | instskip(NEXT) | instid1(VALU_DEP_3)
	v_cvt_u32_f32_e32 v3, v5
	v_xor_b32_e32 v35, v1, v32
	s_delay_alu instid0(VALU_DEP_2) | instskip(NEXT) | instid1(VALU_DEP_1)
	v_xor_b32_e32 v34, v3, v32
	v_sub_nc_u64_e32 v[32:33], v[34:35], v[32:33]
.LBB63_5044:
	s_mov_b32 s0, 0
.LBB63_5045:
	s_delay_alu instid0(SALU_CYCLE_1)
	s_and_not1_b32 vcc_lo, exec_lo, s0
	s_cbranch_vccnz .LBB63_5047
; %bb.5046:
	global_load_b32 v1, v[22:23], off
	s_wait_loadcnt 0x0
	v_cvt_f32_f16_e32 v1, v1
	s_wait_xcnt 0x1
	s_delay_alu instid0(VALU_DEP_1) | instskip(NEXT) | instid1(VALU_DEP_1)
	v_cvt_i32_f32_e32 v32, v1
	v_ashrrev_i32_e32 v33, 31, v32
.LBB63_5047:
	s_mov_b32 s0, 0
.LBB63_5048:
	s_delay_alu instid0(SALU_CYCLE_1)
	s_and_not1_b32 vcc_lo, exec_lo, s0
	s_cbranch_vccnz .LBB63_5059
; %bb.5049:
	s_cmp_lt_i32 s61, 6
	s_cbranch_scc1 .LBB63_5052
; %bb.5050:
	s_cmp_gt_i32 s61, 6
	s_cbranch_scc0 .LBB63_5053
; %bb.5051:
	s_wait_loadcnt 0x0
	global_load_b64 v[32:33], v[22:23], off
	s_mov_b32 s0, 0
	s_wait_loadcnt 0x0
	v_trunc_f64_e32 v[32:33], v[32:33]
	s_delay_alu instid0(VALU_DEP_1) | instskip(NEXT) | instid1(VALU_DEP_1)
	v_ldexp_f64 v[34:35], v[32:33], 0xffffffe0
	v_floor_f64_e32 v[34:35], v[34:35]
	s_delay_alu instid0(VALU_DEP_1) | instskip(SKIP_1) | instid1(VALU_DEP_2)
	v_fmamk_f64 v[36:37], v[34:35], 0xc1f00000, v[32:33]
	v_cvt_i32_f64_e32 v33, v[34:35]
	v_cvt_u32_f64_e32 v32, v[36:37]
	s_branch .LBB63_5054
.LBB63_5052:
	s_mov_b32 s0, -1
                                        ; implicit-def: $vgpr32_vgpr33
	s_branch .LBB63_5057
.LBB63_5053:
	s_mov_b32 s0, -1
                                        ; implicit-def: $vgpr32_vgpr33
.LBB63_5054:
	s_delay_alu instid0(SALU_CYCLE_1)
	s_and_not1_b32 vcc_lo, exec_lo, s0
	s_cbranch_vccnz .LBB63_5056
; %bb.5055:
	global_load_b32 v1, v[22:23], off
	s_wait_loadcnt 0x0
	v_trunc_f32_e32 v1, v1
	s_delay_alu instid0(VALU_DEP_1) | instskip(SKIP_2) | instid1(VALU_DEP_2)
	v_mul_f32_e64 v3, 0x2f800000, |v1|
	s_wait_xcnt 0x1
	v_ashrrev_i32_e32 v32, 31, v1
	v_floor_f32_e32 v3, v3
	s_delay_alu instid0(VALU_DEP_1) | instskip(SKIP_1) | instid1(VALU_DEP_4)
	v_fma_f32 v5, 0xcf800000, v3, |v1|
	v_cvt_u32_f32_e32 v1, v3
	v_mov_b32_e32 v33, v32
	s_delay_alu instid0(VALU_DEP_3) | instskip(NEXT) | instid1(VALU_DEP_3)
	v_cvt_u32_f32_e32 v3, v5
	v_xor_b32_e32 v35, v1, v32
	s_delay_alu instid0(VALU_DEP_2) | instskip(NEXT) | instid1(VALU_DEP_1)
	v_xor_b32_e32 v34, v3, v32
	v_sub_nc_u64_e32 v[32:33], v[34:35], v[32:33]
.LBB63_5056:
	s_mov_b32 s0, 0
.LBB63_5057:
	s_delay_alu instid0(SALU_CYCLE_1)
	s_and_not1_b32 vcc_lo, exec_lo, s0
	s_cbranch_vccnz .LBB63_5059
; %bb.5058:
	global_load_u16 v1, v[22:23], off
	s_wait_loadcnt 0x0
	v_cvt_f32_f16_e32 v1, v1
	s_wait_xcnt 0x1
	s_delay_alu instid0(VALU_DEP_1) | instskip(NEXT) | instid1(VALU_DEP_1)
	v_cvt_i32_f32_e32 v32, v1
	v_ashrrev_i32_e32 v33, 31, v32
.LBB63_5059:
	s_mov_b32 s0, 0
.LBB63_5060:
	s_delay_alu instid0(SALU_CYCLE_1)
	s_and_not1_b32 vcc_lo, exec_lo, s0
	s_cbranch_vccnz .LBB63_5080
; %bb.5061:
	s_cmp_lt_i32 s61, 2
	s_cbranch_scc1 .LBB63_5065
; %bb.5062:
	s_cmp_lt_i32 s61, 3
	s_cbranch_scc1 .LBB63_5066
; %bb.5063:
	s_cmp_gt_i32 s61, 3
	s_cbranch_scc0 .LBB63_5067
; %bb.5064:
	s_wait_loadcnt 0x0
	global_load_b64 v[32:33], v[22:23], off
	s_mov_b32 s0, 0
	s_branch .LBB63_5068
.LBB63_5065:
	s_mov_b32 s0, -1
                                        ; implicit-def: $vgpr32_vgpr33
	s_branch .LBB63_5074
.LBB63_5066:
	s_mov_b32 s0, -1
                                        ; implicit-def: $vgpr32_vgpr33
	s_branch .LBB63_5071
.LBB63_5067:
	s_mov_b32 s0, -1
                                        ; implicit-def: $vgpr32_vgpr33
.LBB63_5068:
	s_delay_alu instid0(SALU_CYCLE_1)
	s_and_not1_b32 vcc_lo, exec_lo, s0
	s_cbranch_vccnz .LBB63_5070
; %bb.5069:
	s_wait_loadcnt 0x0
	global_load_b32 v32, v[22:23], off
	s_wait_loadcnt 0x0
	v_ashrrev_i32_e32 v33, 31, v32
.LBB63_5070:
	s_mov_b32 s0, 0
.LBB63_5071:
	s_delay_alu instid0(SALU_CYCLE_1)
	s_and_not1_b32 vcc_lo, exec_lo, s0
	s_cbranch_vccnz .LBB63_5073
; %bb.5072:
	global_load_u16 v1, v[22:23], off
	s_wait_loadcnt 0x0
	s_wait_xcnt 0x1
	v_bfe_i32 v32, v1, 0, 16
	s_delay_alu instid0(VALU_DEP_1)
	v_ashrrev_i32_e32 v33, 31, v32
.LBB63_5073:
	s_mov_b32 s0, 0
.LBB63_5074:
	s_delay_alu instid0(SALU_CYCLE_1)
	s_and_not1_b32 vcc_lo, exec_lo, s0
	s_cbranch_vccnz .LBB63_5080
; %bb.5075:
	s_cmp_gt_i32 s61, 0
	s_mov_b32 s0, 0
	s_cbranch_scc0 .LBB63_5077
; %bb.5076:
	global_load_i8 v1, v[22:23], off
	s_wait_loadcnt 0x0
	s_wait_xcnt 0x1
	v_bfe_i32 v32, v1, 0, 16
	s_delay_alu instid0(VALU_DEP_1)
	v_ashrrev_i32_e32 v33, 31, v32
	s_branch .LBB63_5078
.LBB63_5077:
	s_mov_b32 s0, -1
                                        ; implicit-def: $vgpr32_vgpr33
.LBB63_5078:
	s_delay_alu instid0(SALU_CYCLE_1)
	s_and_not1_b32 vcc_lo, exec_lo, s0
	s_cbranch_vccnz .LBB63_5080
; %bb.5079:
	global_load_u8 v1, v[22:23], off
	s_mov_b32 s0, 0
	s_wait_loadcnt 0x1
	s_wait_xcnt 0x1
	v_mov_b32_e32 v33, s0
	s_wait_loadcnt 0x0
	v_and_b32_e32 v32, 0xffff, v1
.LBB63_5080:
	s_mov_b32 s9, -1
.LBB63_5081:
	s_delay_alu instid0(SALU_CYCLE_1)
	s_and_not1_b32 vcc_lo, exec_lo, s9
	s_cbranch_vccnz .LBB63_5090
; %bb.5082:
	s_mov_b32 s0, exec_lo
	s_wait_loadcnt 0x0
	v_cmpx_ne_u64_e64 v[30:31], v[8:9]
	s_xor_b32 s0, exec_lo, s0
	s_cbranch_execnz .LBB63_5250
.LBB63_5083:
	s_or_saveexec_b32 s62, s0
	s_mov_b32 s1, 0
	s_mov_b32 s9, 0
                                        ; implicit-def: $vgpr42_vgpr43
                                        ; implicit-def: $sgpr0
	s_xor_b32 exec_lo, exec_lo, s62
	s_cbranch_execz .LBB63_5761
; %bb.5084:
	s_mov_b32 s63, s56
	s_mov_b32 s0, exec_lo
	v_cmpx_ne_u64_e64 v[28:29], v[12:13]
	s_xor_b32 s0, exec_lo, s0
	s_cbranch_execnz .LBB63_5378
; %bb.5085:
	s_or_saveexec_b32 s64, s0
                                        ; implicit-def: $vgpr42_vgpr43
                                        ; implicit-def: $sgpr0
	s_delay_alu instid0(SALU_CYCLE_1)
	s_xor_b32 exec_lo, exec_lo, s64
	s_cbranch_execz .LBB63_5760
.LBB63_5086:
	v_sub_nc_u64_e32 v[22:23], v[24:25], v[26:27]
	s_mov_b32 s65, s63
	s_delay_alu instid0(VALU_DEP_1) | instskip(SKIP_2) | instid1(SALU_CYCLE_1)
	v_cmp_gt_i64_e32 vcc_lo, v[8:9], v[22:23]
	v_cmp_lt_i64_e64 s0, s[18:19], v[22:23]
	s_or_b32 s0, vcc_lo, s0
	s_and_saveexec_b32 s1, s0
	s_delay_alu instid0(SALU_CYCLE_1)
	s_xor_b32 s0, exec_lo, s1
	s_cbranch_execnz .LBB63_5506
.LBB63_5087:
	s_or_saveexec_b32 s66, s0
	s_mov_b32 s1, 0
	s_mov_b32 s22, 0
                                        ; implicit-def: $vgpr42_vgpr43
                                        ; implicit-def: $sgpr0
	s_xor_b32 exec_lo, exec_lo, s66
	s_cbranch_execz .LBB63_5759
; %bb.5088:
	v_mov_b64_e32 v[22:23], 0
	s_and_saveexec_b32 s67, s48
	s_cbranch_execz .LBB63_5101
; %bb.5089:
	v_mul_u64_e32 v[28:29], v[32:33], v[12:13]
	s_load_b128 s[24:27], s[2:3], 0x298
	v_mov_b64_e32 v[22:23], 0
	s_mov_b32 s9, s1
	v_mov_b32_e32 v30, 0
	s_lshl_b64 s[28:29], s[8:9], 3
	s_mov_b64 s[22:23], 0xffffffff
	s_mov_b32 s9, s46
	s_wait_kmcnt 0x0
	s_add_nc_u64 s[24:25], s[24:25], s[28:29]
	s_add_nc_u64 s[26:27], s[26:27], s[28:29]
	s_branch .LBB63_5097
.LBB63_5090:
	s_mov_b32 s1, 0
	s_mov_b32 s9, 0
                                        ; implicit-def: $vgpr42_vgpr43
                                        ; implicit-def: $sgpr0
.LBB63_5091:
	s_and_not1_b32 s2, s54, exec_lo
	s_and_b32 s3, s56, exec_lo
	s_and_b32 s9, s9, exec_lo
	;; [unrolled: 1-line block ×3, first 2 shown]
	s_or_b32 s54, s2, s3
.LBB63_5092:
	s_wait_xcnt 0x0
	s_or_b32 exec_lo, exec_lo, s55
	s_delay_alu instid0(SALU_CYCLE_1)
	s_and_not1_b32 s2, s52, exec_lo
	s_and_b32 s3, s54, exec_lo
	s_and_b32 s9, s9, exec_lo
	;; [unrolled: 1-line block ×3, first 2 shown]
	s_or_b32 s52, s2, s3
.LBB63_5093:
	s_or_b32 exec_lo, exec_lo, s53
	s_delay_alu instid0(SALU_CYCLE_1)
	s_and_not1_b32 s2, s50, exec_lo
	s_and_b32 s3, s52, exec_lo
	s_and_b32 s9, s9, exec_lo
	;; [unrolled: 1-line block ×3, first 2 shown]
	s_or_b32 s50, s2, s3
.LBB63_5094:
	s_or_b32 exec_lo, exec_lo, s51
	s_delay_alu instid0(SALU_CYCLE_1)
	s_and_not1_b32 s2, s45, exec_lo
	s_and_b32 s3, s50, exec_lo
	s_and_b32 s9, s9, exec_lo
	;; [unrolled: 1-line block ×3, first 2 shown]
	s_or_b32 s45, s2, s3
.LBB63_5095:
	s_or_b32 exec_lo, exec_lo, s49
	s_branch .LBB63_4425
.LBB63_5096:                            ;   in Loop: Header=BB63_5097 Depth=1
	s_or_b32 exec_lo, exec_lo, s0
	global_load_b64 v[34:35], v30, s[26:27]
	v_mul_u64_e32 v[36:37], s[28:29], v[32:33]
	s_add_co_i32 s9, s9, -1
	s_add_nc_u64 s[24:25], s[24:25], -8
	s_cmp_eq_u32 s9, 0
	s_wait_xcnt 0x0
	s_add_nc_u64 s[26:27], s[26:27], -8
	s_delay_alu instid0(VALU_DEP_1) | instskip(SKIP_1) | instid1(VALU_DEP_1)
	v_sub_nc_u64_e32 v[28:29], v[28:29], v[36:37]
	s_wait_loadcnt 0x0
	v_mad_nc_u64_u32 v[22:23], v28, v34, v[22:23]
	s_delay_alu instid0(VALU_DEP_1) | instskip(NEXT) | instid1(VALU_DEP_1)
	v_mad_u32 v1, v29, v34, v23
	v_mad_u32 v23, v28, v35, v1
	v_mov_b64_e32 v[28:29], v[32:33]
	s_cbranch_scc1 .LBB63_5101
.LBB63_5097:                            ; =>This Inner Loop Header: Depth=1
	global_load_b64 v[32:33], v30, s[24:25]
	s_mov_b32 s0, exec_lo
	s_wait_loadcnt 0x0
	v_or_b32_e32 v31, v29, v33
	v_readfirstlane_b32 s28, v32
	v_readfirstlane_b32 s29, v33
                                        ; implicit-def: $vgpr32_vgpr33
	s_wait_xcnt 0x0
	s_delay_alu instid0(VALU_DEP_3)
	v_cmpx_ne_u64_e32 0, v[30:31]
	s_xor_b32 s68, exec_lo, s0
	s_cbranch_execz .LBB63_5099
; %bb.5098:                             ;   in Loop: Header=BB63_5097 Depth=1
	s_ashr_i32 s30, s29, 31
	v_dual_mov_b32 v37, v30 :: v_dual_ashrrev_i32 v32, 31, v29
	s_mov_b32 s31, s30
	s_delay_alu instid0(SALU_CYCLE_1) | instskip(NEXT) | instid1(VALU_DEP_1)
	s_add_nc_u64 s[34:35], s[28:29], s[30:31]
	v_mov_b32_e32 v33, v32
	s_xor_b64 s[34:35], s[34:35], s[30:31]
	s_delay_alu instid0(SALU_CYCLE_1)
	s_cvt_f32_u32 s0, s34
	s_cvt_f32_u32 s31, s35
	s_sub_nc_u64 s[72:73], 0, s[34:35]
	v_add_nc_u64_e32 v[34:35], v[28:29], v[32:33]
	v_mov_b32_e32 v41, v30
	s_fmamk_f32 s0, s31, 0x4f800000, s0
	s_delay_alu instid0(SALU_CYCLE_3) | instskip(NEXT) | instid1(VALU_DEP_2)
	v_s_rcp_f32 s0, s0
	v_xor_b32_e32 v36, v34, v32
	s_delay_alu instid0(VALU_DEP_3) | instskip(SKIP_1) | instid1(TRANS32_DEP_1)
	v_dual_mov_b32 v45, v30 :: v_dual_bitop2_b32 v40, v35, v32 bitop3:0x14
	v_xor_b32_e32 v32, s30, v32
	s_mul_f32 s0, s0, 0x5f7ffffc
	s_delay_alu instid0(VALU_DEP_1) | instskip(NEXT) | instid1(SALU_CYCLE_2)
	v_mov_b32_e32 v33, v32
	s_mul_f32 s31, s0, 0x2f800000
	s_delay_alu instid0(SALU_CYCLE_3) | instskip(NEXT) | instid1(SALU_CYCLE_3)
	s_trunc_f32 s31, s31
	s_fmamk_f32 s0, s31, 0xcf800000, s0
	s_cvt_u32_f32 s71, s31
	s_delay_alu instid0(SALU_CYCLE_2) | instskip(NEXT) | instid1(SALU_CYCLE_3)
	s_cvt_u32_f32 s70, s0
	s_mul_u64 s[74:75], s[72:73], s[70:71]
	s_delay_alu instid0(SALU_CYCLE_1)
	s_mul_hi_u32 s77, s70, s75
	s_mul_i32 s76, s70, s75
	s_mul_hi_u32 s0, s70, s74
	s_mul_i32 s69, s71, s74
	s_add_nc_u64 s[76:77], s[0:1], s[76:77]
	s_mul_hi_u32 s31, s71, s74
	s_mul_hi_u32 s78, s71, s75
	s_add_co_u32 s0, s76, s69
	s_add_co_ci_u32 s0, s77, s31
	s_mul_i32 s74, s71, s75
	s_add_co_ci_u32 s75, s78, 0
	s_delay_alu instid0(SALU_CYCLE_1) | instskip(NEXT) | instid1(SALU_CYCLE_1)
	s_add_nc_u64 s[74:75], s[0:1], s[74:75]
	s_add_co_u32 s70, s70, s74
	s_cselect_b32 s0, -1, 0
	s_delay_alu instid0(SALU_CYCLE_1) | instskip(SKIP_1) | instid1(SALU_CYCLE_1)
	s_cmp_lg_u32 s0, 0
	s_add_co_ci_u32 s71, s71, s75
	s_mul_u64 s[72:73], s[72:73], s[70:71]
	s_delay_alu instid0(SALU_CYCLE_1)
	s_mul_hi_u32 s75, s70, s73
	s_mul_i32 s74, s70, s73
	s_mul_hi_u32 s0, s70, s72
	s_mul_i32 s69, s71, s72
	s_add_nc_u64 s[74:75], s[0:1], s[74:75]
	s_mul_hi_u32 s31, s71, s72
	s_mul_hi_u32 s76, s71, s73
	s_add_co_u32 s0, s74, s69
	s_add_co_ci_u32 s0, s75, s31
	s_mul_i32 s72, s71, s73
	s_add_co_ci_u32 s73, s76, 0
	s_delay_alu instid0(SALU_CYCLE_1) | instskip(NEXT) | instid1(SALU_CYCLE_1)
	s_add_nc_u64 s[72:73], s[0:1], s[72:73]
	s_add_co_u32 s70, s70, s72
	s_cselect_b32 s0, -1, 0
	v_mul_hi_u32 v44, v36, s70
	s_cmp_lg_u32 s0, 0
	s_add_co_ci_u32 s0, s71, s73
	s_and_b64 s[72:73], s[70:71], s[22:23]
	v_mul_u64_e32 v[38:39], s[0:1], v[36:37]
	v_mul_u64_e32 v[34:35], s[72:73], v[40:41]
	v_mul_u64_e32 v[42:43], s[0:1], v[40:41]
	s_delay_alu instid0(VALU_DEP_3) | instskip(NEXT) | instid1(VALU_DEP_1)
	v_add_nc_u64_e32 v[38:39], v[44:45], v[38:39]
	v_add_co_u32 v1, vcc_lo, v38, v34
	s_delay_alu instid0(VALU_DEP_2) | instskip(NEXT) | instid1(VALU_DEP_4)
	v_add_co_ci_u32_e32 v44, vcc_lo, v39, v35, vcc_lo
	v_add_co_ci_u32_e32 v43, vcc_lo, 0, v43, vcc_lo
	s_delay_alu instid0(VALU_DEP_1) | instskip(NEXT) | instid1(VALU_DEP_1)
	v_add_nc_u64_e32 v[34:35], v[44:45], v[42:43]
	v_mul_u64_e32 v[38:39], s[34:35], v[34:35]
	s_delay_alu instid0(VALU_DEP_1) | instskip(NEXT) | instid1(VALU_DEP_2)
	v_sub_nc_u32_e32 v1, v40, v39
	v_sub_co_u32 v3, vcc_lo, v36, v38
	s_delay_alu instid0(VALU_DEP_1) | instskip(NEXT) | instid1(VALU_DEP_3)
	v_sub_co_ci_u32_e64 v7, null, v40, v39, vcc_lo
	v_subrev_co_ci_u32_e64 v1, null, s35, v1, vcc_lo
	s_delay_alu instid0(VALU_DEP_3) | instskip(SKIP_1) | instid1(VALU_DEP_3)
	v_sub_co_u32 v5, s0, v3, s34
	v_add_nc_u64_e32 v[36:37], 2, v[34:35]
	v_subrev_co_ci_u32_e64 v1, null, 0, v1, s0
	s_delay_alu instid0(VALU_DEP_3) | instskip(SKIP_2) | instid1(VALU_DEP_4)
	v_cmp_le_u32_e32 vcc_lo, s34, v5
	v_add_nc_u64_e32 v[38:39], 1, v[34:35]
	v_cndmask_b32_e64 v5, 0, -1, vcc_lo
	v_cmp_le_u32_e32 vcc_lo, s35, v1
	v_cndmask_b32_e64 v11, 0, -1, vcc_lo
	v_cmp_le_u32_e32 vcc_lo, s34, v3
	;; [unrolled: 2-line block ×3, first 2 shown]
	v_cndmask_b32_e64 v15, 0, -1, vcc_lo
	v_cmp_eq_u32_e32 vcc_lo, s35, v1
	v_cndmask_b32_e32 v1, v11, v5, vcc_lo
	v_cmp_eq_u32_e32 vcc_lo, s35, v7
	s_delay_alu instid0(VALU_DEP_4) | instskip(NEXT) | instid1(VALU_DEP_3)
	v_cndmask_b32_e32 v3, v15, v3, vcc_lo
	v_cmp_ne_u32_e32 vcc_lo, 0, v1
	s_delay_alu instid0(VALU_DEP_2) | instskip(SKIP_1) | instid1(VALU_DEP_1)
	v_cmp_ne_u32_e64 s0, 0, v3
	v_dual_cndmask_b32 v3, v38, v36, vcc_lo :: v_dual_cndmask_b32 v1, v39, v37, vcc_lo
	v_dual_cndmask_b32 v3, v34, v3, s0 :: v_dual_cndmask_b32 v1, v35, v1, s0
	s_delay_alu instid0(VALU_DEP_1) | instskip(NEXT) | instid1(VALU_DEP_2)
	v_xor_b32_e32 v34, v3, v32
	v_xor_b32_e32 v35, v1, v32
	s_delay_alu instid0(VALU_DEP_1)
	v_sub_nc_u64_e32 v[32:33], v[34:35], v[32:33]
.LBB63_5099:                            ;   in Loop: Header=BB63_5097 Depth=1
	s_and_not1_saveexec_b32 s0, s68
	s_cbranch_execz .LBB63_5096
; %bb.5100:                             ;   in Loop: Header=BB63_5097 Depth=1
	v_cvt_f32_u32_e32 v1, s28
	s_sub_co_i32 s30, 0, s28
	v_mov_b32_e32 v33, v30
	s_delay_alu instid0(VALU_DEP_2) | instskip(SKIP_1) | instid1(TRANS32_DEP_1)
	v_rcp_iflag_f32_e32 v1, v1
	v_nop
	v_mul_f32_e32 v1, 0x4f7ffffe, v1
	s_delay_alu instid0(VALU_DEP_1) | instskip(NEXT) | instid1(VALU_DEP_1)
	v_cvt_u32_f32_e32 v1, v1
	v_mul_lo_u32 v3, s30, v1
	s_delay_alu instid0(VALU_DEP_1) | instskip(NEXT) | instid1(VALU_DEP_1)
	v_mul_hi_u32 v3, v1, v3
	v_add_nc_u32_e32 v1, v1, v3
	s_delay_alu instid0(VALU_DEP_1) | instskip(NEXT) | instid1(VALU_DEP_1)
	v_mul_hi_u32 v1, v28, v1
	v_mul_lo_u32 v3, v1, s28
	s_delay_alu instid0(VALU_DEP_1) | instskip(NEXT) | instid1(VALU_DEP_1)
	v_sub_nc_u32_e32 v3, v28, v3
	v_subrev_nc_u32_e32 v7, s28, v3
	v_cmp_le_u32_e32 vcc_lo, s28, v3
	s_delay_alu instid0(VALU_DEP_2) | instskip(NEXT) | instid1(VALU_DEP_1)
	v_dual_add_nc_u32 v5, 1, v1 :: v_dual_cndmask_b32 v3, v3, v7, vcc_lo
	v_cndmask_b32_e32 v1, v1, v5, vcc_lo
	s_delay_alu instid0(VALU_DEP_2) | instskip(NEXT) | instid1(VALU_DEP_2)
	v_cmp_le_u32_e32 vcc_lo, s28, v3
	v_add_nc_u32_e32 v5, 1, v1
	s_delay_alu instid0(VALU_DEP_1)
	v_cndmask_b32_e32 v32, v1, v5, vcc_lo
	s_branch .LBB63_5096
.LBB63_5101:
	s_or_b32 exec_lo, exec_lo, s67
	s_mov_b32 s23, -1
	s_mov_b32 s1, s65
	s_mov_b32 s0, exec_lo
	v_cmpx_gt_i64_e64 v[24:25], v[26:27]
	s_cbranch_execz .LBB63_5108
; %bb.5102:
	s_delay_alu instid0(VALU_DEP_2) | instskip(SKIP_2) | instid1(VALU_DEP_1)
	v_lshlrev_b64_e32 v[22:23], 3, v[22:23]
	s_mov_b32 s9, 0
	s_xor_b32 s22, s47, -1
                                        ; implicit-def: $sgpr1
                                        ; implicit-def: $sgpr24
                                        ; implicit-def: $sgpr23
	v_lshl_add_u64 v[26:27], v[26:27], 3, v[22:23]
	s_wait_kmcnt 0x0
	v_add_nc_u64_e32 v[28:29], s[20:21], v[22:23]
	s_delay_alu instid0(VALU_DEP_2) | instskip(NEXT) | instid1(VALU_DEP_2)
	v_add_nc_u64_e32 v[26:27], s[20:21], v[26:27]
	v_lshl_add_u64 v[24:25], v[24:25], 3, v[28:29]
	s_delay_alu instid0(VALU_DEP_2)
	v_add_nc_u64_e32 v[22:23], 8, v[26:27]
	s_branch .LBB63_5104
.LBB63_5103:                            ;   in Loop: Header=BB63_5104 Depth=1
	s_or_b32 exec_lo, exec_lo, s25
	s_xor_b32 s25, s23, -1
	s_and_b32 s26, exec_lo, s24
	s_delay_alu instid0(SALU_CYCLE_1) | instskip(SKIP_2) | instid1(SALU_CYCLE_1)
	s_or_b32 s9, s26, s9
	s_and_not1_b32 s1, s1, exec_lo
	s_and_b32 s25, s25, exec_lo
	s_or_b32 s1, s1, s25
	s_and_not1_b32 exec_lo, exec_lo, s9
	s_cbranch_execz .LBB63_5106
.LBB63_5104:                            ; =>This Inner Loop Header: Depth=1
	s_or_b32 s23, s23, exec_lo
	s_or_b32 s24, s24, exec_lo
	s_mov_b32 s25, exec_lo
	s_delay_alu instid0(VALU_DEP_1)
	v_cmpx_lt_u64_e64 v[22:23], v[24:25]
	s_cbranch_execz .LBB63_5103
; %bb.5105:                             ;   in Loop: Header=BB63_5104 Depth=1
	global_load_b128 v[26:29], v[22:23], off offset:-8
	s_wait_xcnt 0x0
	v_add_nc_u64_e32 v[22:23], 8, v[22:23]
	s_and_not1_b32 s24, s24, exec_lo
	s_and_not1_b32 s23, s23, exec_lo
	s_wait_loadcnt 0x0
	v_cmp_ge_i64_e32 vcc_lo, v[26:27], v[28:29]
	s_or_b32 s26, s22, vcc_lo
	s_delay_alu instid0(SALU_CYCLE_1) | instskip(NEXT) | instid1(SALU_CYCLE_1)
	s_and_b32 s26, s26, exec_lo
	s_or_b32 s24, s24, s26
	s_branch .LBB63_5103
.LBB63_5106:
	s_or_b32 exec_lo, exec_lo, s9
	s_mov_b32 s9, -1
	s_mov_b32 s22, s65
	s_and_saveexec_b32 s23, s1
	s_delay_alu instid0(SALU_CYCLE_1)
	s_xor_b32 s1, exec_lo, s23
	s_cbranch_execnz .LBB63_5121
.LBB63_5107:
	s_or_b32 exec_lo, exec_lo, s1
	s_delay_alu instid0(SALU_CYCLE_1)
	s_and_not1_b32 s1, s65, exec_lo
	s_and_b32 s22, s22, exec_lo
	s_or_not1_b32 s23, s9, exec_lo
	s_or_b32 s1, s1, s22
.LBB63_5108:
	s_or_b32 exec_lo, exec_lo, s0
	s_mov_b32 s9, 0
	s_mov_b32 s24, 0
                                        ; implicit-def: $vgpr42_vgpr43
                                        ; implicit-def: $sgpr0
	s_and_saveexec_b32 s22, s23
	s_cbranch_execz .LBB63_5758
; %bb.5109:
	v_mov_b32_e32 v21, 0
	s_cmp_lt_i32 s57, 11
	s_delay_alu instid0(VALU_DEP_1)
	v_add_nc_u64_e32 v[22:23], s[6:7], v[20:21]
	s_cbranch_scc1 .LBB63_5117
; %bb.5110:
	s_cmp_gt_i32 s57, 25
	s_mov_b32 s6, 0
	s_cbranch_scc0 .LBB63_5118
; %bb.5111:
	s_cmp_gt_i32 s57, 28
	s_cbranch_scc0 .LBB63_5119
; %bb.5112:
	s_cmp_gt_i32 s57, 43
	;; [unrolled: 3-line block ×3, first 2 shown]
	s_cbranch_scc0 .LBB63_5122
; %bb.5114:
	s_cmp_eq_u32 s57, 46
	s_cbranch_scc0 .LBB63_5123
; %bb.5115:
	global_load_b32 v1, v[22:23], off
	s_mov_b32 s0, 0
	s_mov_b32 s7, -1
	s_wait_loadcnt 0x0
	v_lshlrev_b32_e32 v1, 16, v1
	s_delay_alu instid0(VALU_DEP_1) | instskip(NEXT) | instid1(VALU_DEP_1)
	v_trunc_f32_e32 v1, v1
	v_mul_f32_e64 v3, 0x2f800000, |v1|
	v_ashrrev_i32_e32 v20, 31, v1
	s_delay_alu instid0(VALU_DEP_2) | instskip(NEXT) | instid1(VALU_DEP_2)
	v_floor_f32_e32 v3, v3
	v_mov_b32_e32 v21, v20
	s_delay_alu instid0(VALU_DEP_2) | instskip(SKIP_1) | instid1(VALU_DEP_2)
	v_fma_f32 v5, 0xcf800000, v3, |v1|
	v_cvt_u32_f32_e32 v1, v3
	v_cvt_u32_f32_e32 v3, v5
	s_delay_alu instid0(VALU_DEP_2) | instskip(NEXT) | instid1(VALU_DEP_2)
	v_xor_b32_e32 v25, v1, v20
	v_xor_b32_e32 v24, v3, v20
	s_delay_alu instid0(VALU_DEP_1)
	v_sub_nc_u64_e32 v[20:21], v[24:25], v[20:21]
	s_branch .LBB63_5125
.LBB63_5116:
	s_or_b32 s56, s56, exec_lo
	s_trap 2
	s_cbranch_execz .LBB63_5030
	s_branch .LBB63_5031
.LBB63_5117:
	s_mov_b32 s0, -1
	s_mov_b32 s7, 0
	s_mov_b32 s23, s1
                                        ; implicit-def: $vgpr20_vgpr21
	s_branch .LBB63_5187
.LBB63_5118:
	s_mov_b32 s9, -1
	s_mov_b32 s7, 0
	s_mov_b32 s0, 0
                                        ; implicit-def: $vgpr20_vgpr21
	s_branch .LBB63_5152
.LBB63_5119:
	s_mov_b32 s9, -1
	s_mov_b32 s7, 0
	s_mov_b32 s0, 0
                                        ; implicit-def: $vgpr20_vgpr21
	s_branch .LBB63_5135
.LBB63_5120:
	s_mov_b32 s9, -1
	s_mov_b32 s7, 0
	s_mov_b32 s0, 0
                                        ; implicit-def: $vgpr20_vgpr21
	s_branch .LBB63_5130
.LBB63_5121:
	s_or_b32 s22, s65, exec_lo
	s_xor_b32 s9, exec_lo, -1
	s_trap 2
	s_branch .LBB63_5107
.LBB63_5122:
	s_mov_b32 s9, -1
	s_mov_b32 s7, 0
	s_mov_b32 s0, 0
	s_branch .LBB63_5124
.LBB63_5123:
	s_mov_b32 s0, -1
	s_mov_b32 s7, 0
.LBB63_5124:
                                        ; implicit-def: $vgpr20_vgpr21
.LBB63_5125:
	s_and_b32 vcc_lo, exec_lo, s9
	s_cbranch_vccz .LBB63_5129
; %bb.5126:
	s_cmp_eq_u32 s57, 44
	s_cbranch_scc0 .LBB63_5128
; %bb.5127:
	global_load_u8 v1, v[22:23], off
	s_mov_b32 s0, 0
	s_mov_b32 s7, -1
	s_wait_loadcnt 0x0
	v_lshlrev_b32_e32 v3, 23, v1
	v_cmp_ne_u32_e32 vcc_lo, 0, v1
	s_delay_alu instid0(VALU_DEP_2) | instskip(NEXT) | instid1(VALU_DEP_1)
	v_trunc_f32_e32 v3, v3
	v_mul_f32_e64 v5, 0x2f800000, |v3|
	v_ashrrev_i32_e32 v20, 31, v3
	s_delay_alu instid0(VALU_DEP_2) | instskip(NEXT) | instid1(VALU_DEP_2)
	v_floor_f32_e32 v5, v5
	v_mov_b32_e32 v21, v20
	s_delay_alu instid0(VALU_DEP_2) | instskip(SKIP_1) | instid1(VALU_DEP_2)
	v_fma_f32 v7, 0xcf800000, v5, |v3|
	v_cvt_u32_f32_e32 v3, v5
	v_cvt_u32_f32_e32 v5, v7
	s_delay_alu instid0(VALU_DEP_2) | instskip(NEXT) | instid1(VALU_DEP_2)
	v_xor_b32_e32 v25, v3, v20
	v_xor_b32_e32 v24, v5, v20
	s_delay_alu instid0(VALU_DEP_1) | instskip(NEXT) | instid1(VALU_DEP_1)
	v_sub_nc_u64_e32 v[20:21], v[24:25], v[20:21]
	v_dual_cndmask_b32 v21, 0, v21 :: v_dual_cndmask_b32 v20, 0, v20
	s_branch .LBB63_5129
.LBB63_5128:
	s_mov_b32 s0, -1
                                        ; implicit-def: $vgpr20_vgpr21
.LBB63_5129:
	s_mov_b32 s9, 0
.LBB63_5130:
	s_delay_alu instid0(SALU_CYCLE_1)
	s_and_b32 vcc_lo, exec_lo, s9
	s_cbranch_vccz .LBB63_5134
; %bb.5131:
	s_cmp_eq_u32 s57, 29
	s_cbranch_scc0 .LBB63_5133
; %bb.5132:
	global_load_b64 v[20:21], v[22:23], off
	s_mov_b32 s0, 0
	s_mov_b32 s7, -1
	s_branch .LBB63_5134
.LBB63_5133:
	s_mov_b32 s0, -1
                                        ; implicit-def: $vgpr20_vgpr21
.LBB63_5134:
	s_mov_b32 s9, 0
.LBB63_5135:
	s_delay_alu instid0(SALU_CYCLE_1)
	s_and_b32 vcc_lo, exec_lo, s9
	s_cbranch_vccz .LBB63_5151
; %bb.5136:
	s_cmp_lt_i32 s57, 27
	s_cbranch_scc1 .LBB63_5139
; %bb.5137:
	s_cmp_gt_i32 s57, 27
	s_cbranch_scc0 .LBB63_5140
; %bb.5138:
	s_wait_loadcnt 0x0
	global_load_b32 v20, v[22:23], off
	v_mov_b32_e32 v21, 0
	s_mov_b32 s7, 0
	s_branch .LBB63_5141
.LBB63_5139:
	s_mov_b32 s7, -1
                                        ; implicit-def: $vgpr20_vgpr21
	s_branch .LBB63_5144
.LBB63_5140:
	s_mov_b32 s7, -1
                                        ; implicit-def: $vgpr20_vgpr21
.LBB63_5141:
	s_delay_alu instid0(SALU_CYCLE_1)
	s_and_not1_b32 vcc_lo, exec_lo, s7
	s_cbranch_vccnz .LBB63_5143
; %bb.5142:
	global_load_u16 v1, v[22:23], off
	s_mov_b32 s7, 0
	s_wait_loadcnt 0x1
	v_mov_b32_e32 v21, s7
	s_wait_loadcnt 0x0
	v_and_b32_e32 v20, 0xffff, v1
.LBB63_5143:
	s_mov_b32 s7, 0
.LBB63_5144:
	s_delay_alu instid0(SALU_CYCLE_1)
	s_and_not1_b32 vcc_lo, exec_lo, s7
	s_cbranch_vccnz .LBB63_5150
; %bb.5145:
	global_load_u8 v1, v[22:23], off
	s_mov_b32 s9, 0
	s_mov_b32 s7, exec_lo
	s_wait_loadcnt 0x0
	v_cmpx_lt_i16_e32 0x7f, v1
	s_xor_b32 s7, exec_lo, s7
	s_cbranch_execz .LBB63_5162
; %bb.5146:
	v_cmp_ne_u16_e32 vcc_lo, 0x80, v1
	s_and_b32 s9, vcc_lo, exec_lo
	s_and_not1_saveexec_b32 s7, s7
	s_cbranch_execnz .LBB63_5163
.LBB63_5147:
	s_or_b32 exec_lo, exec_lo, s7
	v_mov_b64_e32 v[20:21], 0
	s_and_saveexec_b32 s7, s9
	s_cbranch_execz .LBB63_5149
.LBB63_5148:
	v_and_b32_e32 v3, 0xffff, v1
	s_delay_alu instid0(VALU_DEP_1) | instskip(SKIP_1) | instid1(VALU_DEP_2)
	v_dual_lshlrev_b32 v1, 24, v1 :: v_dual_bitop2_b32 v5, 7, v3 bitop3:0x40
	v_bfe_u32 v15, v3, 3, 4
	v_and_b32_e32 v1, 0x80000000, v1
	s_delay_alu instid0(VALU_DEP_3) | instskip(NEXT) | instid1(VALU_DEP_3)
	v_clz_i32_u32_e32 v7, v5
	v_cmp_eq_u32_e32 vcc_lo, 0, v15
	s_delay_alu instid0(VALU_DEP_2) | instskip(NEXT) | instid1(VALU_DEP_1)
	v_min_u32_e32 v7, 32, v7
	v_subrev_nc_u32_e32 v11, 28, v7
	v_sub_nc_u32_e32 v7, 29, v7
	s_delay_alu instid0(VALU_DEP_2) | instskip(NEXT) | instid1(VALU_DEP_2)
	v_lshlrev_b32_e32 v3, v11, v3
	v_cndmask_b32_e32 v7, v15, v7, vcc_lo
	s_delay_alu instid0(VALU_DEP_2) | instskip(NEXT) | instid1(VALU_DEP_1)
	v_and_b32_e32 v3, 7, v3
	v_cndmask_b32_e32 v3, v5, v3, vcc_lo
	s_delay_alu instid0(VALU_DEP_3) | instskip(NEXT) | instid1(VALU_DEP_2)
	v_lshl_add_u32 v5, v7, 23, 0x3b800000
	v_lshlrev_b32_e32 v3, 20, v3
	s_delay_alu instid0(VALU_DEP_1) | instskip(NEXT) | instid1(VALU_DEP_1)
	v_or3_b32 v1, v1, v5, v3
	v_trunc_f32_e32 v1, v1
	s_delay_alu instid0(VALU_DEP_1) | instskip(SKIP_1) | instid1(VALU_DEP_2)
	v_mul_f32_e64 v3, 0x2f800000, |v1|
	v_ashrrev_i32_e32 v20, 31, v1
	v_floor_f32_e32 v3, v3
	s_delay_alu instid0(VALU_DEP_2) | instskip(NEXT) | instid1(VALU_DEP_2)
	v_mov_b32_e32 v21, v20
	v_fma_f32 v5, 0xcf800000, v3, |v1|
	v_cvt_u32_f32_e32 v1, v3
	s_delay_alu instid0(VALU_DEP_2) | instskip(NEXT) | instid1(VALU_DEP_2)
	v_cvt_u32_f32_e32 v3, v5
	v_xor_b32_e32 v25, v1, v20
	s_delay_alu instid0(VALU_DEP_2) | instskip(NEXT) | instid1(VALU_DEP_1)
	v_xor_b32_e32 v24, v3, v20
	v_sub_nc_u64_e32 v[20:21], v[24:25], v[20:21]
.LBB63_5149:
	s_or_b32 exec_lo, exec_lo, s7
.LBB63_5150:
	s_mov_b32 s7, -1
.LBB63_5151:
	s_mov_b32 s9, 0
.LBB63_5152:
	s_delay_alu instid0(SALU_CYCLE_1)
	s_and_b32 vcc_lo, exec_lo, s9
	s_cbranch_vccz .LBB63_5183
; %bb.5153:
	s_cmp_gt_i32 s57, 22
	s_cbranch_scc0 .LBB63_5161
; %bb.5154:
	s_cmp_lt_i32 s57, 24
	s_cbranch_scc1 .LBB63_5164
; %bb.5155:
	s_cmp_gt_i32 s57, 24
	s_cbranch_scc0 .LBB63_5165
; %bb.5156:
	global_load_u8 v1, v[22:23], off
	s_mov_b32 s7, 0
	s_mov_b32 s6, exec_lo
	s_wait_loadcnt 0x0
	v_cmpx_lt_i16_e32 0x7f, v1
	s_xor_b32 s6, exec_lo, s6
	s_cbranch_execz .LBB63_5177
; %bb.5157:
	v_cmp_ne_u16_e32 vcc_lo, 0x80, v1
	s_and_b32 s7, vcc_lo, exec_lo
	s_and_not1_saveexec_b32 s6, s6
	s_cbranch_execnz .LBB63_5178
.LBB63_5158:
	s_or_b32 exec_lo, exec_lo, s6
	v_mov_b64_e32 v[20:21], 0
	s_and_saveexec_b32 s6, s7
	s_cbranch_execz .LBB63_5160
.LBB63_5159:
	v_and_b32_e32 v3, 0xffff, v1
	s_delay_alu instid0(VALU_DEP_1) | instskip(SKIP_1) | instid1(VALU_DEP_2)
	v_dual_lshlrev_b32 v1, 24, v1 :: v_dual_bitop2_b32 v5, 3, v3 bitop3:0x40
	v_bfe_u32 v15, v3, 2, 5
	v_and_b32_e32 v1, 0x80000000, v1
	s_delay_alu instid0(VALU_DEP_3) | instskip(NEXT) | instid1(VALU_DEP_3)
	v_clz_i32_u32_e32 v7, v5
	v_cmp_eq_u32_e32 vcc_lo, 0, v15
	s_delay_alu instid0(VALU_DEP_2) | instskip(NEXT) | instid1(VALU_DEP_1)
	v_min_u32_e32 v7, 32, v7
	v_subrev_nc_u32_e32 v11, 29, v7
	v_sub_nc_u32_e32 v7, 30, v7
	s_delay_alu instid0(VALU_DEP_2) | instskip(NEXT) | instid1(VALU_DEP_2)
	v_lshlrev_b32_e32 v3, v11, v3
	v_cndmask_b32_e32 v7, v15, v7, vcc_lo
	s_delay_alu instid0(VALU_DEP_2) | instskip(NEXT) | instid1(VALU_DEP_1)
	v_and_b32_e32 v3, 3, v3
	v_cndmask_b32_e32 v3, v5, v3, vcc_lo
	s_delay_alu instid0(VALU_DEP_3) | instskip(NEXT) | instid1(VALU_DEP_2)
	v_lshl_add_u32 v5, v7, 23, 0x37800000
	v_lshlrev_b32_e32 v3, 21, v3
	s_delay_alu instid0(VALU_DEP_1) | instskip(NEXT) | instid1(VALU_DEP_1)
	v_or3_b32 v1, v1, v5, v3
	v_trunc_f32_e32 v1, v1
	s_delay_alu instid0(VALU_DEP_1) | instskip(SKIP_1) | instid1(VALU_DEP_2)
	v_mul_f32_e64 v3, 0x2f800000, |v1|
	v_ashrrev_i32_e32 v20, 31, v1
	v_floor_f32_e32 v3, v3
	s_delay_alu instid0(VALU_DEP_2) | instskip(NEXT) | instid1(VALU_DEP_2)
	v_mov_b32_e32 v21, v20
	v_fma_f32 v5, 0xcf800000, v3, |v1|
	v_cvt_u32_f32_e32 v1, v3
	s_delay_alu instid0(VALU_DEP_2) | instskip(NEXT) | instid1(VALU_DEP_2)
	v_cvt_u32_f32_e32 v3, v5
	v_xor_b32_e32 v25, v1, v20
	s_delay_alu instid0(VALU_DEP_2) | instskip(NEXT) | instid1(VALU_DEP_1)
	v_xor_b32_e32 v24, v3, v20
	v_sub_nc_u64_e32 v[20:21], v[24:25], v[20:21]
.LBB63_5160:
	s_or_b32 exec_lo, exec_lo, s6
	s_mov_b32 s6, 0
	s_branch .LBB63_5166
.LBB63_5161:
	s_mov_b32 s6, -1
                                        ; implicit-def: $vgpr20_vgpr21
	s_branch .LBB63_5172
.LBB63_5162:
	s_and_not1_saveexec_b32 s7, s7
	s_cbranch_execz .LBB63_5147
.LBB63_5163:
	v_cmp_ne_u16_e32 vcc_lo, 0, v1
	s_and_not1_b32 s9, s9, exec_lo
	s_and_b32 s23, vcc_lo, exec_lo
	s_delay_alu instid0(SALU_CYCLE_1)
	s_or_b32 s9, s9, s23
	s_or_b32 exec_lo, exec_lo, s7
	v_mov_b64_e32 v[20:21], 0
	s_and_saveexec_b32 s7, s9
	s_cbranch_execnz .LBB63_5148
	s_branch .LBB63_5149
.LBB63_5164:
	s_mov_b32 s6, -1
                                        ; implicit-def: $vgpr20_vgpr21
	s_branch .LBB63_5169
.LBB63_5165:
	s_mov_b32 s6, -1
                                        ; implicit-def: $vgpr20_vgpr21
.LBB63_5166:
	s_delay_alu instid0(SALU_CYCLE_1)
	s_and_b32 vcc_lo, exec_lo, s6
	s_cbranch_vccz .LBB63_5168
; %bb.5167:
	global_load_u8 v1, v[22:23], off
	s_wait_loadcnt 0x0
	v_lshlrev_b32_e32 v1, 24, v1
	s_delay_alu instid0(VALU_DEP_1) | instskip(NEXT) | instid1(VALU_DEP_1)
	v_and_b32_e32 v3, 0x7f000000, v1
	v_clz_i32_u32_e32 v5, v3
	v_add_nc_u32_e32 v11, 0x1000000, v3
	v_cmp_ne_u32_e32 vcc_lo, 0, v3
	s_delay_alu instid0(VALU_DEP_3) | instskip(NEXT) | instid1(VALU_DEP_1)
	v_min_u32_e32 v5, 32, v5
	v_sub_nc_u32_e64 v5, v5, 4 clamp
	s_delay_alu instid0(VALU_DEP_1) | instskip(NEXT) | instid1(VALU_DEP_1)
	v_dual_lshlrev_b32 v7, v5, v3 :: v_dual_lshlrev_b32 v5, 23, v5
	v_lshrrev_b32_e32 v7, 4, v7
	s_delay_alu instid0(VALU_DEP_1) | instskip(NEXT) | instid1(VALU_DEP_1)
	v_dual_sub_nc_u32 v5, v7, v5 :: v_dual_ashrrev_i32 v7, 8, v11
	v_add_nc_u32_e32 v5, 0x3c000000, v5
	s_delay_alu instid0(VALU_DEP_1) | instskip(NEXT) | instid1(VALU_DEP_1)
	v_and_or_b32 v5, 0x7f800000, v7, v5
	v_cndmask_b32_e32 v3, 0, v5, vcc_lo
	s_delay_alu instid0(VALU_DEP_1) | instskip(NEXT) | instid1(VALU_DEP_1)
	v_and_or_b32 v1, 0x80000000, v1, v3
	v_trunc_f32_e32 v1, v1
	s_delay_alu instid0(VALU_DEP_1) | instskip(SKIP_1) | instid1(VALU_DEP_2)
	v_mul_f32_e64 v3, 0x2f800000, |v1|
	v_ashrrev_i32_e32 v20, 31, v1
	v_floor_f32_e32 v3, v3
	s_delay_alu instid0(VALU_DEP_2) | instskip(NEXT) | instid1(VALU_DEP_2)
	v_mov_b32_e32 v21, v20
	v_fma_f32 v5, 0xcf800000, v3, |v1|
	v_cvt_u32_f32_e32 v1, v3
	s_delay_alu instid0(VALU_DEP_2) | instskip(NEXT) | instid1(VALU_DEP_2)
	v_cvt_u32_f32_e32 v3, v5
	v_xor_b32_e32 v25, v1, v20
	s_delay_alu instid0(VALU_DEP_2) | instskip(NEXT) | instid1(VALU_DEP_1)
	v_xor_b32_e32 v24, v3, v20
	v_sub_nc_u64_e32 v[20:21], v[24:25], v[20:21]
.LBB63_5168:
	s_mov_b32 s6, 0
.LBB63_5169:
	s_delay_alu instid0(SALU_CYCLE_1)
	s_and_not1_b32 vcc_lo, exec_lo, s6
	s_cbranch_vccnz .LBB63_5171
; %bb.5170:
	global_load_u8 v1, v[22:23], off
	s_wait_loadcnt 0x0
	v_lshlrev_b32_e32 v3, 25, v1
	v_lshlrev_b16 v1, 8, v1
	s_delay_alu instid0(VALU_DEP_1) | instskip(SKIP_1) | instid1(VALU_DEP_2)
	v_and_or_b32 v7, 0x7f00, v1, 0.5
	v_bfe_i32 v1, v1, 0, 16
	v_add_f32_e32 v7, -0.5, v7
	v_lshrrev_b32_e32 v5, 4, v3
	v_cmp_gt_u32_e32 vcc_lo, 0x8000000, v3
	s_delay_alu instid0(VALU_DEP_2) | instskip(NEXT) | instid1(VALU_DEP_1)
	v_or_b32_e32 v5, 0x70000000, v5
	v_mul_f32_e32 v5, 0x7800000, v5
	s_delay_alu instid0(VALU_DEP_1) | instskip(NEXT) | instid1(VALU_DEP_1)
	v_cndmask_b32_e32 v3, v5, v7, vcc_lo
	v_and_or_b32 v1, 0x80000000, v1, v3
	s_delay_alu instid0(VALU_DEP_1) | instskip(NEXT) | instid1(VALU_DEP_1)
	v_trunc_f32_e32 v1, v1
	v_mul_f32_e64 v3, 0x2f800000, |v1|
	v_ashrrev_i32_e32 v20, 31, v1
	s_delay_alu instid0(VALU_DEP_2) | instskip(NEXT) | instid1(VALU_DEP_2)
	v_floor_f32_e32 v3, v3
	v_mov_b32_e32 v21, v20
	s_delay_alu instid0(VALU_DEP_2) | instskip(SKIP_1) | instid1(VALU_DEP_2)
	v_fma_f32 v5, 0xcf800000, v3, |v1|
	v_cvt_u32_f32_e32 v1, v3
	v_cvt_u32_f32_e32 v3, v5
	s_delay_alu instid0(VALU_DEP_2) | instskip(NEXT) | instid1(VALU_DEP_2)
	v_xor_b32_e32 v25, v1, v20
	v_xor_b32_e32 v24, v3, v20
	s_delay_alu instid0(VALU_DEP_1)
	v_sub_nc_u64_e32 v[20:21], v[24:25], v[20:21]
.LBB63_5171:
	s_mov_b32 s6, 0
	s_mov_b32 s7, -1
.LBB63_5172:
	s_and_not1_b32 vcc_lo, exec_lo, s6
	s_mov_b32 s6, 0
	s_cbranch_vccnz .LBB63_5183
; %bb.5173:
	s_cmp_gt_i32 s57, 14
	s_cbranch_scc0 .LBB63_5176
; %bb.5174:
	s_cmp_eq_u32 s57, 15
	s_cbranch_scc0 .LBB63_5179
; %bb.5175:
	global_load_u16 v1, v[22:23], off
	s_mov_b32 s0, 0
	s_mov_b32 s7, -1
	s_wait_loadcnt 0x0
	v_lshlrev_b32_e32 v1, 16, v1
	s_delay_alu instid0(VALU_DEP_1) | instskip(NEXT) | instid1(VALU_DEP_1)
	v_trunc_f32_e32 v1, v1
	v_mul_f32_e64 v3, 0x2f800000, |v1|
	v_ashrrev_i32_e32 v20, 31, v1
	s_delay_alu instid0(VALU_DEP_2) | instskip(NEXT) | instid1(VALU_DEP_2)
	v_floor_f32_e32 v3, v3
	v_mov_b32_e32 v21, v20
	s_delay_alu instid0(VALU_DEP_2) | instskip(SKIP_1) | instid1(VALU_DEP_2)
	v_fma_f32 v5, 0xcf800000, v3, |v1|
	v_cvt_u32_f32_e32 v1, v3
	v_cvt_u32_f32_e32 v3, v5
	s_delay_alu instid0(VALU_DEP_2) | instskip(NEXT) | instid1(VALU_DEP_2)
	v_xor_b32_e32 v25, v1, v20
	v_xor_b32_e32 v24, v3, v20
	s_delay_alu instid0(VALU_DEP_1)
	v_sub_nc_u64_e32 v[20:21], v[24:25], v[20:21]
	s_branch .LBB63_5181
.LBB63_5176:
	s_mov_b32 s6, -1
	s_branch .LBB63_5180
.LBB63_5177:
	s_and_not1_saveexec_b32 s6, s6
	s_cbranch_execz .LBB63_5158
.LBB63_5178:
	v_cmp_ne_u16_e32 vcc_lo, 0, v1
	s_and_not1_b32 s7, s7, exec_lo
	s_and_b32 s9, vcc_lo, exec_lo
	s_delay_alu instid0(SALU_CYCLE_1)
	s_or_b32 s7, s7, s9
	s_or_b32 exec_lo, exec_lo, s6
	v_mov_b64_e32 v[20:21], 0
	s_and_saveexec_b32 s6, s7
	s_cbranch_execnz .LBB63_5159
	s_branch .LBB63_5160
.LBB63_5179:
	s_mov_b32 s0, -1
.LBB63_5180:
                                        ; implicit-def: $vgpr20_vgpr21
.LBB63_5181:
	s_and_b32 vcc_lo, exec_lo, s6
	s_mov_b32 s6, 0
	s_cbranch_vccz .LBB63_5183
; %bb.5182:
	s_cmp_lg_u32 s57, 11
	s_mov_b32 s6, -1
	s_cselect_b32 s0, -1, 0
.LBB63_5183:
	s_delay_alu instid0(SALU_CYCLE_1)
	s_and_b32 vcc_lo, exec_lo, s0
	s_mov_b32 s23, s1
	s_cbranch_vccnz .LBB63_5248
; %bb.5184:
	s_and_not1_b32 vcc_lo, exec_lo, s6
	s_cbranch_vccnz .LBB63_5186
.LBB63_5185:
	global_load_u8 v1, v[22:23], off
	s_mov_b32 s0, 0
	s_mov_b32 s7, -1
	s_wait_loadcnt 0x1
	v_mov_b32_e32 v21, s0
	s_wait_loadcnt 0x0
	v_cmp_ne_u16_e32 vcc_lo, 0, v1
	v_cndmask_b32_e64 v20, 0, 1, vcc_lo
.LBB63_5186:
	s_mov_b32 s0, 0
.LBB63_5187:
	s_delay_alu instid0(SALU_CYCLE_1)
	s_and_b32 vcc_lo, exec_lo, s0
	s_cbranch_vccz .LBB63_5236
; %bb.5188:
	s_cmp_lt_i32 s57, 5
	s_cbranch_scc1 .LBB63_5193
; %bb.5189:
	s_cmp_lt_i32 s57, 8
	s_cbranch_scc1 .LBB63_5194
	;; [unrolled: 3-line block ×3, first 2 shown]
; %bb.5191:
	s_cmp_gt_i32 s57, 9
	s_cbranch_scc0 .LBB63_5196
; %bb.5192:
	s_wait_loadcnt 0x0
	global_load_b64 v[20:21], v[22:23], off
	s_mov_b32 s0, 0
	s_wait_loadcnt 0x0
	v_trunc_f64_e32 v[20:21], v[20:21]
	s_delay_alu instid0(VALU_DEP_1) | instskip(NEXT) | instid1(VALU_DEP_1)
	v_ldexp_f64 v[24:25], v[20:21], 0xffffffe0
	v_floor_f64_e32 v[24:25], v[24:25]
	s_delay_alu instid0(VALU_DEP_1) | instskip(SKIP_1) | instid1(VALU_DEP_2)
	v_fmamk_f64 v[26:27], v[24:25], 0xc1f00000, v[20:21]
	v_cvt_i32_f64_e32 v21, v[24:25]
	v_cvt_u32_f64_e32 v20, v[26:27]
	s_branch .LBB63_5197
.LBB63_5193:
	s_mov_b32 s0, -1
                                        ; implicit-def: $vgpr20_vgpr21
	s_branch .LBB63_5215
.LBB63_5194:
	s_mov_b32 s0, -1
                                        ; implicit-def: $vgpr20_vgpr21
	s_branch .LBB63_5203
.LBB63_5195:
	s_mov_b32 s0, -1
                                        ; implicit-def: $vgpr20_vgpr21
	s_branch .LBB63_5200
.LBB63_5196:
	s_mov_b32 s0, -1
                                        ; implicit-def: $vgpr20_vgpr21
.LBB63_5197:
	s_delay_alu instid0(SALU_CYCLE_1)
	s_and_not1_b32 vcc_lo, exec_lo, s0
	s_cbranch_vccnz .LBB63_5199
; %bb.5198:
	global_load_b32 v1, v[22:23], off
	s_wait_loadcnt 0x0
	v_trunc_f32_e32 v1, v1
	s_delay_alu instid0(VALU_DEP_1) | instskip(SKIP_1) | instid1(VALU_DEP_2)
	v_mul_f32_e64 v3, 0x2f800000, |v1|
	v_ashrrev_i32_e32 v20, 31, v1
	v_floor_f32_e32 v3, v3
	s_delay_alu instid0(VALU_DEP_1) | instskip(SKIP_1) | instid1(VALU_DEP_4)
	v_fma_f32 v5, 0xcf800000, v3, |v1|
	v_cvt_u32_f32_e32 v1, v3
	v_mov_b32_e32 v21, v20
	s_delay_alu instid0(VALU_DEP_3) | instskip(NEXT) | instid1(VALU_DEP_3)
	v_cvt_u32_f32_e32 v3, v5
	v_xor_b32_e32 v25, v1, v20
	s_delay_alu instid0(VALU_DEP_2) | instskip(NEXT) | instid1(VALU_DEP_1)
	v_xor_b32_e32 v24, v3, v20
	v_sub_nc_u64_e32 v[20:21], v[24:25], v[20:21]
.LBB63_5199:
	s_mov_b32 s0, 0
.LBB63_5200:
	s_delay_alu instid0(SALU_CYCLE_1)
	s_and_not1_b32 vcc_lo, exec_lo, s0
	s_cbranch_vccnz .LBB63_5202
; %bb.5201:
	global_load_b32 v1, v[22:23], off
	s_wait_loadcnt 0x0
	v_cvt_f32_f16_e32 v1, v1
	s_delay_alu instid0(VALU_DEP_1) | instskip(NEXT) | instid1(VALU_DEP_1)
	v_cvt_i32_f32_e32 v20, v1
	v_ashrrev_i32_e32 v21, 31, v20
.LBB63_5202:
	s_mov_b32 s0, 0
.LBB63_5203:
	s_delay_alu instid0(SALU_CYCLE_1)
	s_and_not1_b32 vcc_lo, exec_lo, s0
	s_cbranch_vccnz .LBB63_5214
; %bb.5204:
	s_cmp_lt_i32 s57, 6
	s_cbranch_scc1 .LBB63_5207
; %bb.5205:
	s_cmp_gt_i32 s57, 6
	s_cbranch_scc0 .LBB63_5208
; %bb.5206:
	s_wait_loadcnt 0x0
	global_load_b64 v[20:21], v[22:23], off
	s_mov_b32 s0, 0
	s_wait_loadcnt 0x0
	v_trunc_f64_e32 v[20:21], v[20:21]
	s_delay_alu instid0(VALU_DEP_1) | instskip(NEXT) | instid1(VALU_DEP_1)
	v_ldexp_f64 v[24:25], v[20:21], 0xffffffe0
	v_floor_f64_e32 v[24:25], v[24:25]
	s_delay_alu instid0(VALU_DEP_1) | instskip(SKIP_1) | instid1(VALU_DEP_2)
	v_fmamk_f64 v[26:27], v[24:25], 0xc1f00000, v[20:21]
	v_cvt_i32_f64_e32 v21, v[24:25]
	v_cvt_u32_f64_e32 v20, v[26:27]
	s_branch .LBB63_5209
.LBB63_5207:
	s_mov_b32 s0, -1
                                        ; implicit-def: $vgpr20_vgpr21
	s_branch .LBB63_5212
.LBB63_5208:
	s_mov_b32 s0, -1
                                        ; implicit-def: $vgpr20_vgpr21
.LBB63_5209:
	s_delay_alu instid0(SALU_CYCLE_1)
	s_and_not1_b32 vcc_lo, exec_lo, s0
	s_cbranch_vccnz .LBB63_5211
; %bb.5210:
	global_load_b32 v1, v[22:23], off
	s_wait_loadcnt 0x0
	v_trunc_f32_e32 v1, v1
	s_delay_alu instid0(VALU_DEP_1) | instskip(SKIP_1) | instid1(VALU_DEP_2)
	v_mul_f32_e64 v3, 0x2f800000, |v1|
	v_ashrrev_i32_e32 v20, 31, v1
	v_floor_f32_e32 v3, v3
	s_delay_alu instid0(VALU_DEP_1) | instskip(SKIP_1) | instid1(VALU_DEP_4)
	v_fma_f32 v5, 0xcf800000, v3, |v1|
	v_cvt_u32_f32_e32 v1, v3
	v_mov_b32_e32 v21, v20
	s_delay_alu instid0(VALU_DEP_3) | instskip(NEXT) | instid1(VALU_DEP_3)
	v_cvt_u32_f32_e32 v3, v5
	v_xor_b32_e32 v25, v1, v20
	s_delay_alu instid0(VALU_DEP_2) | instskip(NEXT) | instid1(VALU_DEP_1)
	v_xor_b32_e32 v24, v3, v20
	v_sub_nc_u64_e32 v[20:21], v[24:25], v[20:21]
.LBB63_5211:
	s_mov_b32 s0, 0
.LBB63_5212:
	s_delay_alu instid0(SALU_CYCLE_1)
	s_and_not1_b32 vcc_lo, exec_lo, s0
	s_cbranch_vccnz .LBB63_5214
; %bb.5213:
	global_load_u16 v1, v[22:23], off
	s_wait_loadcnt 0x0
	v_cvt_f32_f16_e32 v1, v1
	s_delay_alu instid0(VALU_DEP_1) | instskip(NEXT) | instid1(VALU_DEP_1)
	v_cvt_i32_f32_e32 v20, v1
	v_ashrrev_i32_e32 v21, 31, v20
.LBB63_5214:
	s_mov_b32 s0, 0
.LBB63_5215:
	s_delay_alu instid0(SALU_CYCLE_1)
	s_and_not1_b32 vcc_lo, exec_lo, s0
	s_cbranch_vccnz .LBB63_5235
; %bb.5216:
	s_cmp_lt_i32 s57, 2
	s_cbranch_scc1 .LBB63_5220
; %bb.5217:
	s_cmp_lt_i32 s57, 3
	s_cbranch_scc1 .LBB63_5221
; %bb.5218:
	s_cmp_gt_i32 s57, 3
	s_cbranch_scc0 .LBB63_5222
; %bb.5219:
	s_wait_loadcnt 0x0
	global_load_b64 v[20:21], v[22:23], off
	s_mov_b32 s0, 0
	s_branch .LBB63_5223
.LBB63_5220:
	s_mov_b32 s0, -1
                                        ; implicit-def: $vgpr20_vgpr21
	s_branch .LBB63_5229
.LBB63_5221:
	s_mov_b32 s0, -1
                                        ; implicit-def: $vgpr20_vgpr21
	s_branch .LBB63_5226
.LBB63_5222:
	s_mov_b32 s0, -1
                                        ; implicit-def: $vgpr20_vgpr21
.LBB63_5223:
	s_delay_alu instid0(SALU_CYCLE_1)
	s_and_not1_b32 vcc_lo, exec_lo, s0
	s_cbranch_vccnz .LBB63_5225
; %bb.5224:
	s_wait_loadcnt 0x0
	global_load_b32 v20, v[22:23], off
	s_wait_loadcnt 0x0
	v_ashrrev_i32_e32 v21, 31, v20
.LBB63_5225:
	s_mov_b32 s0, 0
.LBB63_5226:
	s_delay_alu instid0(SALU_CYCLE_1)
	s_and_not1_b32 vcc_lo, exec_lo, s0
	s_cbranch_vccnz .LBB63_5228
; %bb.5227:
	global_load_u16 v1, v[22:23], off
	s_wait_loadcnt 0x0
	v_bfe_i32 v20, v1, 0, 16
	s_delay_alu instid0(VALU_DEP_1)
	v_ashrrev_i32_e32 v21, 31, v20
.LBB63_5228:
	s_mov_b32 s0, 0
.LBB63_5229:
	s_delay_alu instid0(SALU_CYCLE_1)
	s_and_not1_b32 vcc_lo, exec_lo, s0
	s_cbranch_vccnz .LBB63_5235
; %bb.5230:
	s_cmp_gt_i32 s57, 0
	s_mov_b32 s0, 0
	s_cbranch_scc0 .LBB63_5232
; %bb.5231:
	global_load_i8 v1, v[22:23], off
	s_wait_loadcnt 0x0
	v_bfe_i32 v20, v1, 0, 16
	s_delay_alu instid0(VALU_DEP_1)
	v_ashrrev_i32_e32 v21, 31, v20
	s_branch .LBB63_5233
.LBB63_5232:
	s_mov_b32 s0, -1
                                        ; implicit-def: $vgpr20_vgpr21
.LBB63_5233:
	s_delay_alu instid0(SALU_CYCLE_1)
	s_and_not1_b32 vcc_lo, exec_lo, s0
	s_cbranch_vccnz .LBB63_5235
; %bb.5234:
	global_load_u8 v1, v[22:23], off
	s_mov_b32 s0, 0
	s_wait_loadcnt 0x1
	v_mov_b32_e32 v21, s0
	s_wait_loadcnt 0x0
	v_and_b32_e32 v20, 0xffff, v1
.LBB63_5235:
	s_mov_b32 s7, -1
.LBB63_5236:
	s_delay_alu instid0(SALU_CYCLE_1)
	s_and_not1_b32 vcc_lo, exec_lo, s7
	s_cbranch_vccnz .LBB63_5756
; %bb.5237:
	v_mov_b32_e32 v19, 0
	s_cmp_lt_i32 s58, 11
	s_wait_xcnt 0x0
	s_delay_alu instid0(VALU_DEP_1)
	v_add_nc_u64_e32 v[22:23], s[10:11], v[18:19]
	s_cbranch_scc1 .LBB63_5244
; %bb.5238:
	s_cmp_gt_i32 s58, 25
	s_mov_b32 s6, 0
	s_cbranch_scc0 .LBB63_5245
; %bb.5239:
	s_cmp_gt_i32 s58, 28
	s_cbranch_scc0 .LBB63_5246
; %bb.5240:
	s_cmp_gt_i32 s58, 43
	;; [unrolled: 3-line block ×3, first 2 shown]
	s_cbranch_scc0 .LBB63_5249
; %bb.5242:
	s_cmp_eq_u32 s58, 46
	s_mov_b32 s9, 0
	s_cbranch_scc0 .LBB63_5251
; %bb.5243:
	global_load_b32 v1, v[22:23], off
	s_mov_b32 s0, 0
	s_mov_b32 s7, -1
	s_wait_loadcnt 0x0
	v_lshlrev_b32_e32 v1, 16, v1
	s_delay_alu instid0(VALU_DEP_1) | instskip(NEXT) | instid1(VALU_DEP_1)
	v_trunc_f32_e32 v1, v1
	v_mul_f32_e64 v3, 0x2f800000, |v1|
	v_ashrrev_i32_e32 v18, 31, v1
	s_delay_alu instid0(VALU_DEP_2) | instskip(NEXT) | instid1(VALU_DEP_2)
	v_floor_f32_e32 v3, v3
	v_mov_b32_e32 v19, v18
	s_delay_alu instid0(VALU_DEP_2) | instskip(SKIP_1) | instid1(VALU_DEP_2)
	v_fma_f32 v5, 0xcf800000, v3, |v1|
	v_cvt_u32_f32_e32 v1, v3
	v_cvt_u32_f32_e32 v3, v5
	s_delay_alu instid0(VALU_DEP_2) | instskip(NEXT) | instid1(VALU_DEP_2)
	v_xor_b32_e32 v25, v1, v18
	v_xor_b32_e32 v24, v3, v18
	s_delay_alu instid0(VALU_DEP_1)
	v_sub_nc_u64_e32 v[18:19], v[24:25], v[18:19]
	s_branch .LBB63_5253
.LBB63_5244:
	s_mov_b32 s0, -1
	s_mov_b32 s7, 0
                                        ; implicit-def: $vgpr18_vgpr19
	s_branch .LBB63_5315
.LBB63_5245:
	s_mov_b32 s9, -1
	s_mov_b32 s7, 0
	s_mov_b32 s0, 0
                                        ; implicit-def: $vgpr18_vgpr19
	s_branch .LBB63_5280
.LBB63_5246:
	s_mov_b32 s9, -1
	s_mov_b32 s7, 0
	s_mov_b32 s0, 0
                                        ; implicit-def: $vgpr18_vgpr19
	s_branch .LBB63_5263
.LBB63_5247:
	s_mov_b32 s9, -1
	s_mov_b32 s7, 0
	s_mov_b32 s0, 0
                                        ; implicit-def: $vgpr18_vgpr19
	s_branch .LBB63_5258
.LBB63_5248:
	s_or_b32 s23, s1, exec_lo
	s_trap 2
	s_cbranch_execz .LBB63_5185
	s_branch .LBB63_5186
.LBB63_5249:
	s_mov_b32 s9, -1
	s_mov_b32 s7, 0
	s_mov_b32 s0, 0
	s_branch .LBB63_5252
.LBB63_5250:
	s_or_b32 s56, s56, exec_lo
	s_trap 2
                                        ; implicit-def: $vgpr28_vgpr29
                                        ; implicit-def: $vgpr26_vgpr27
                                        ; implicit-def: $vgpr24_vgpr25
                                        ; implicit-def: $vgpr32_vgpr33
                                        ; implicit-def: $vgpr6
                                        ; implicit-def: $vgpr4
                                        ; implicit-def: $vgpr2
                                        ; implicit-def: $vgpr14
                                        ; implicit-def: $vgpr10
                                        ; implicit-def: $vgpr18
                                        ; implicit-def: $vgpr16
                                        ; implicit-def: $vgpr0
                                        ; implicit-def: $vgpr20
                                        ; implicit-def: $vgpr8_vgpr9
                                        ; implicit-def: $vgpr12_vgpr13
	s_branch .LBB63_5083
.LBB63_5251:
	s_mov_b32 s0, -1
	s_mov_b32 s7, 0
.LBB63_5252:
                                        ; implicit-def: $vgpr18_vgpr19
.LBB63_5253:
	s_and_b32 vcc_lo, exec_lo, s9
	s_cbranch_vccz .LBB63_5257
; %bb.5254:
	s_cmp_eq_u32 s58, 44
	s_cbranch_scc0 .LBB63_5256
; %bb.5255:
	global_load_u8 v1, v[22:23], off
	s_mov_b32 s0, 0
	s_mov_b32 s7, -1
	s_wait_loadcnt 0x0
	v_lshlrev_b32_e32 v3, 23, v1
	v_cmp_ne_u32_e32 vcc_lo, 0, v1
	s_delay_alu instid0(VALU_DEP_2) | instskip(NEXT) | instid1(VALU_DEP_1)
	v_trunc_f32_e32 v3, v3
	v_mul_f32_e64 v5, 0x2f800000, |v3|
	v_ashrrev_i32_e32 v18, 31, v3
	s_delay_alu instid0(VALU_DEP_2) | instskip(NEXT) | instid1(VALU_DEP_2)
	v_floor_f32_e32 v5, v5
	v_mov_b32_e32 v19, v18
	s_delay_alu instid0(VALU_DEP_2) | instskip(SKIP_1) | instid1(VALU_DEP_2)
	v_fma_f32 v7, 0xcf800000, v5, |v3|
	v_cvt_u32_f32_e32 v3, v5
	v_cvt_u32_f32_e32 v5, v7
	s_delay_alu instid0(VALU_DEP_2) | instskip(NEXT) | instid1(VALU_DEP_2)
	v_xor_b32_e32 v25, v3, v18
	v_xor_b32_e32 v24, v5, v18
	s_delay_alu instid0(VALU_DEP_1) | instskip(NEXT) | instid1(VALU_DEP_1)
	v_sub_nc_u64_e32 v[18:19], v[24:25], v[18:19]
	v_dual_cndmask_b32 v19, 0, v19 :: v_dual_cndmask_b32 v18, 0, v18
	s_branch .LBB63_5257
.LBB63_5256:
	s_mov_b32 s0, -1
                                        ; implicit-def: $vgpr18_vgpr19
.LBB63_5257:
	s_mov_b32 s9, 0
.LBB63_5258:
	s_delay_alu instid0(SALU_CYCLE_1)
	s_and_b32 vcc_lo, exec_lo, s9
	s_cbranch_vccz .LBB63_5262
; %bb.5259:
	s_cmp_eq_u32 s58, 29
	s_cbranch_scc0 .LBB63_5261
; %bb.5260:
	global_load_b64 v[18:19], v[22:23], off
	s_mov_b32 s0, 0
	s_mov_b32 s7, -1
	s_branch .LBB63_5262
.LBB63_5261:
	s_mov_b32 s0, -1
                                        ; implicit-def: $vgpr18_vgpr19
.LBB63_5262:
	s_mov_b32 s9, 0
.LBB63_5263:
	s_delay_alu instid0(SALU_CYCLE_1)
	s_and_b32 vcc_lo, exec_lo, s9
	s_cbranch_vccz .LBB63_5279
; %bb.5264:
	s_cmp_lt_i32 s58, 27
	s_cbranch_scc1 .LBB63_5267
; %bb.5265:
	s_cmp_gt_i32 s58, 27
	s_cbranch_scc0 .LBB63_5268
; %bb.5266:
	s_wait_loadcnt 0x0
	global_load_b32 v18, v[22:23], off
	v_mov_b32_e32 v19, 0
	s_mov_b32 s7, 0
	s_branch .LBB63_5269
.LBB63_5267:
	s_mov_b32 s7, -1
                                        ; implicit-def: $vgpr18_vgpr19
	s_branch .LBB63_5272
.LBB63_5268:
	s_mov_b32 s7, -1
                                        ; implicit-def: $vgpr18_vgpr19
.LBB63_5269:
	s_delay_alu instid0(SALU_CYCLE_1)
	s_and_not1_b32 vcc_lo, exec_lo, s7
	s_cbranch_vccnz .LBB63_5271
; %bb.5270:
	global_load_u16 v1, v[22:23], off
	s_mov_b32 s7, 0
	s_wait_loadcnt 0x1
	v_mov_b32_e32 v19, s7
	s_wait_loadcnt 0x0
	v_and_b32_e32 v18, 0xffff, v1
.LBB63_5271:
	s_mov_b32 s7, 0
.LBB63_5272:
	s_delay_alu instid0(SALU_CYCLE_1)
	s_and_not1_b32 vcc_lo, exec_lo, s7
	s_cbranch_vccnz .LBB63_5278
; %bb.5273:
	global_load_u8 v1, v[22:23], off
	s_mov_b32 s9, 0
	s_mov_b32 s7, exec_lo
	s_wait_loadcnt 0x0
	v_cmpx_lt_i16_e32 0x7f, v1
	s_xor_b32 s7, exec_lo, s7
	s_cbranch_execz .LBB63_5290
; %bb.5274:
	v_cmp_ne_u16_e32 vcc_lo, 0x80, v1
	s_and_b32 s9, vcc_lo, exec_lo
	s_and_not1_saveexec_b32 s7, s7
	s_cbranch_execnz .LBB63_5291
.LBB63_5275:
	s_or_b32 exec_lo, exec_lo, s7
	v_mov_b64_e32 v[18:19], 0
	s_and_saveexec_b32 s7, s9
	s_cbranch_execz .LBB63_5277
.LBB63_5276:
	v_and_b32_e32 v3, 0xffff, v1
	s_delay_alu instid0(VALU_DEP_1) | instskip(SKIP_1) | instid1(VALU_DEP_2)
	v_dual_lshlrev_b32 v1, 24, v1 :: v_dual_bitop2_b32 v5, 7, v3 bitop3:0x40
	v_bfe_u32 v15, v3, 3, 4
	v_and_b32_e32 v1, 0x80000000, v1
	s_delay_alu instid0(VALU_DEP_3) | instskip(NEXT) | instid1(VALU_DEP_3)
	v_clz_i32_u32_e32 v7, v5
	v_cmp_eq_u32_e32 vcc_lo, 0, v15
	s_delay_alu instid0(VALU_DEP_2) | instskip(NEXT) | instid1(VALU_DEP_1)
	v_min_u32_e32 v7, 32, v7
	v_subrev_nc_u32_e32 v11, 28, v7
	v_sub_nc_u32_e32 v7, 29, v7
	s_delay_alu instid0(VALU_DEP_2) | instskip(NEXT) | instid1(VALU_DEP_2)
	v_lshlrev_b32_e32 v3, v11, v3
	v_cndmask_b32_e32 v7, v15, v7, vcc_lo
	s_delay_alu instid0(VALU_DEP_2) | instskip(NEXT) | instid1(VALU_DEP_1)
	v_and_b32_e32 v3, 7, v3
	v_cndmask_b32_e32 v3, v5, v3, vcc_lo
	s_delay_alu instid0(VALU_DEP_3) | instskip(NEXT) | instid1(VALU_DEP_2)
	v_lshl_add_u32 v5, v7, 23, 0x3b800000
	v_lshlrev_b32_e32 v3, 20, v3
	s_delay_alu instid0(VALU_DEP_1) | instskip(NEXT) | instid1(VALU_DEP_1)
	v_or3_b32 v1, v1, v5, v3
	v_trunc_f32_e32 v1, v1
	s_delay_alu instid0(VALU_DEP_1) | instskip(SKIP_1) | instid1(VALU_DEP_2)
	v_mul_f32_e64 v3, 0x2f800000, |v1|
	v_ashrrev_i32_e32 v18, 31, v1
	v_floor_f32_e32 v3, v3
	s_delay_alu instid0(VALU_DEP_2) | instskip(NEXT) | instid1(VALU_DEP_2)
	v_mov_b32_e32 v19, v18
	v_fma_f32 v5, 0xcf800000, v3, |v1|
	v_cvt_u32_f32_e32 v1, v3
	s_delay_alu instid0(VALU_DEP_2) | instskip(NEXT) | instid1(VALU_DEP_2)
	v_cvt_u32_f32_e32 v3, v5
	v_xor_b32_e32 v25, v1, v18
	s_delay_alu instid0(VALU_DEP_2) | instskip(NEXT) | instid1(VALU_DEP_1)
	v_xor_b32_e32 v24, v3, v18
	v_sub_nc_u64_e32 v[18:19], v[24:25], v[18:19]
.LBB63_5277:
	s_or_b32 exec_lo, exec_lo, s7
.LBB63_5278:
	s_mov_b32 s7, -1
.LBB63_5279:
	s_mov_b32 s9, 0
.LBB63_5280:
	s_delay_alu instid0(SALU_CYCLE_1)
	s_and_b32 vcc_lo, exec_lo, s9
	s_cbranch_vccz .LBB63_5311
; %bb.5281:
	s_cmp_gt_i32 s58, 22
	s_cbranch_scc0 .LBB63_5289
; %bb.5282:
	s_cmp_lt_i32 s58, 24
	s_cbranch_scc1 .LBB63_5292
; %bb.5283:
	s_cmp_gt_i32 s58, 24
	s_cbranch_scc0 .LBB63_5293
; %bb.5284:
	global_load_u8 v1, v[22:23], off
	s_mov_b32 s7, 0
	s_mov_b32 s6, exec_lo
	s_wait_loadcnt 0x0
	v_cmpx_lt_i16_e32 0x7f, v1
	s_xor_b32 s6, exec_lo, s6
	s_cbranch_execz .LBB63_5305
; %bb.5285:
	v_cmp_ne_u16_e32 vcc_lo, 0x80, v1
	s_and_b32 s7, vcc_lo, exec_lo
	s_and_not1_saveexec_b32 s6, s6
	s_cbranch_execnz .LBB63_5306
.LBB63_5286:
	s_or_b32 exec_lo, exec_lo, s6
	v_mov_b64_e32 v[18:19], 0
	s_and_saveexec_b32 s6, s7
	s_cbranch_execz .LBB63_5288
.LBB63_5287:
	v_and_b32_e32 v3, 0xffff, v1
	s_delay_alu instid0(VALU_DEP_1) | instskip(SKIP_1) | instid1(VALU_DEP_2)
	v_dual_lshlrev_b32 v1, 24, v1 :: v_dual_bitop2_b32 v5, 3, v3 bitop3:0x40
	v_bfe_u32 v15, v3, 2, 5
	v_and_b32_e32 v1, 0x80000000, v1
	s_delay_alu instid0(VALU_DEP_3) | instskip(NEXT) | instid1(VALU_DEP_3)
	v_clz_i32_u32_e32 v7, v5
	v_cmp_eq_u32_e32 vcc_lo, 0, v15
	s_delay_alu instid0(VALU_DEP_2) | instskip(NEXT) | instid1(VALU_DEP_1)
	v_min_u32_e32 v7, 32, v7
	v_subrev_nc_u32_e32 v11, 29, v7
	v_sub_nc_u32_e32 v7, 30, v7
	s_delay_alu instid0(VALU_DEP_2) | instskip(NEXT) | instid1(VALU_DEP_2)
	v_lshlrev_b32_e32 v3, v11, v3
	v_cndmask_b32_e32 v7, v15, v7, vcc_lo
	s_delay_alu instid0(VALU_DEP_2) | instskip(NEXT) | instid1(VALU_DEP_1)
	v_and_b32_e32 v3, 3, v3
	v_cndmask_b32_e32 v3, v5, v3, vcc_lo
	s_delay_alu instid0(VALU_DEP_3) | instskip(NEXT) | instid1(VALU_DEP_2)
	v_lshl_add_u32 v5, v7, 23, 0x37800000
	v_lshlrev_b32_e32 v3, 21, v3
	s_delay_alu instid0(VALU_DEP_1) | instskip(NEXT) | instid1(VALU_DEP_1)
	v_or3_b32 v1, v1, v5, v3
	v_trunc_f32_e32 v1, v1
	s_delay_alu instid0(VALU_DEP_1) | instskip(SKIP_1) | instid1(VALU_DEP_2)
	v_mul_f32_e64 v3, 0x2f800000, |v1|
	v_ashrrev_i32_e32 v18, 31, v1
	v_floor_f32_e32 v3, v3
	s_delay_alu instid0(VALU_DEP_2) | instskip(NEXT) | instid1(VALU_DEP_2)
	v_mov_b32_e32 v19, v18
	v_fma_f32 v5, 0xcf800000, v3, |v1|
	v_cvt_u32_f32_e32 v1, v3
	s_delay_alu instid0(VALU_DEP_2) | instskip(NEXT) | instid1(VALU_DEP_2)
	v_cvt_u32_f32_e32 v3, v5
	v_xor_b32_e32 v25, v1, v18
	s_delay_alu instid0(VALU_DEP_2) | instskip(NEXT) | instid1(VALU_DEP_1)
	v_xor_b32_e32 v24, v3, v18
	v_sub_nc_u64_e32 v[18:19], v[24:25], v[18:19]
.LBB63_5288:
	s_or_b32 exec_lo, exec_lo, s6
	s_mov_b32 s6, 0
	s_branch .LBB63_5294
.LBB63_5289:
	s_mov_b32 s6, -1
                                        ; implicit-def: $vgpr18_vgpr19
	s_branch .LBB63_5300
.LBB63_5290:
	s_and_not1_saveexec_b32 s7, s7
	s_cbranch_execz .LBB63_5275
.LBB63_5291:
	v_cmp_ne_u16_e32 vcc_lo, 0, v1
	s_and_not1_b32 s9, s9, exec_lo
	s_and_b32 s10, vcc_lo, exec_lo
	s_delay_alu instid0(SALU_CYCLE_1)
	s_or_b32 s9, s9, s10
	s_or_b32 exec_lo, exec_lo, s7
	v_mov_b64_e32 v[18:19], 0
	s_and_saveexec_b32 s7, s9
	s_cbranch_execnz .LBB63_5276
	s_branch .LBB63_5277
.LBB63_5292:
	s_mov_b32 s6, -1
                                        ; implicit-def: $vgpr18_vgpr19
	s_branch .LBB63_5297
.LBB63_5293:
	s_mov_b32 s6, -1
                                        ; implicit-def: $vgpr18_vgpr19
.LBB63_5294:
	s_delay_alu instid0(SALU_CYCLE_1)
	s_and_b32 vcc_lo, exec_lo, s6
	s_cbranch_vccz .LBB63_5296
; %bb.5295:
	global_load_u8 v1, v[22:23], off
	s_wait_loadcnt 0x0
	v_lshlrev_b32_e32 v1, 24, v1
	s_delay_alu instid0(VALU_DEP_1) | instskip(NEXT) | instid1(VALU_DEP_1)
	v_and_b32_e32 v3, 0x7f000000, v1
	v_clz_i32_u32_e32 v5, v3
	v_add_nc_u32_e32 v11, 0x1000000, v3
	v_cmp_ne_u32_e32 vcc_lo, 0, v3
	s_delay_alu instid0(VALU_DEP_3) | instskip(NEXT) | instid1(VALU_DEP_1)
	v_min_u32_e32 v5, 32, v5
	v_sub_nc_u32_e64 v5, v5, 4 clamp
	s_delay_alu instid0(VALU_DEP_1) | instskip(NEXT) | instid1(VALU_DEP_1)
	v_dual_lshlrev_b32 v7, v5, v3 :: v_dual_lshlrev_b32 v5, 23, v5
	v_lshrrev_b32_e32 v7, 4, v7
	s_delay_alu instid0(VALU_DEP_1) | instskip(NEXT) | instid1(VALU_DEP_1)
	v_dual_sub_nc_u32 v5, v7, v5 :: v_dual_ashrrev_i32 v7, 8, v11
	v_add_nc_u32_e32 v5, 0x3c000000, v5
	s_delay_alu instid0(VALU_DEP_1) | instskip(NEXT) | instid1(VALU_DEP_1)
	v_and_or_b32 v5, 0x7f800000, v7, v5
	v_cndmask_b32_e32 v3, 0, v5, vcc_lo
	s_delay_alu instid0(VALU_DEP_1) | instskip(NEXT) | instid1(VALU_DEP_1)
	v_and_or_b32 v1, 0x80000000, v1, v3
	v_trunc_f32_e32 v1, v1
	s_delay_alu instid0(VALU_DEP_1) | instskip(SKIP_1) | instid1(VALU_DEP_2)
	v_mul_f32_e64 v3, 0x2f800000, |v1|
	v_ashrrev_i32_e32 v18, 31, v1
	v_floor_f32_e32 v3, v3
	s_delay_alu instid0(VALU_DEP_2) | instskip(NEXT) | instid1(VALU_DEP_2)
	v_mov_b32_e32 v19, v18
	v_fma_f32 v5, 0xcf800000, v3, |v1|
	v_cvt_u32_f32_e32 v1, v3
	s_delay_alu instid0(VALU_DEP_2) | instskip(NEXT) | instid1(VALU_DEP_2)
	v_cvt_u32_f32_e32 v3, v5
	v_xor_b32_e32 v25, v1, v18
	s_delay_alu instid0(VALU_DEP_2) | instskip(NEXT) | instid1(VALU_DEP_1)
	v_xor_b32_e32 v24, v3, v18
	v_sub_nc_u64_e32 v[18:19], v[24:25], v[18:19]
.LBB63_5296:
	s_mov_b32 s6, 0
.LBB63_5297:
	s_delay_alu instid0(SALU_CYCLE_1)
	s_and_not1_b32 vcc_lo, exec_lo, s6
	s_cbranch_vccnz .LBB63_5299
; %bb.5298:
	global_load_u8 v1, v[22:23], off
	s_wait_loadcnt 0x0
	v_lshlrev_b32_e32 v3, 25, v1
	v_lshlrev_b16 v1, 8, v1
	s_delay_alu instid0(VALU_DEP_1) | instskip(SKIP_1) | instid1(VALU_DEP_2)
	v_and_or_b32 v7, 0x7f00, v1, 0.5
	v_bfe_i32 v1, v1, 0, 16
	v_add_f32_e32 v7, -0.5, v7
	v_lshrrev_b32_e32 v5, 4, v3
	v_cmp_gt_u32_e32 vcc_lo, 0x8000000, v3
	s_delay_alu instid0(VALU_DEP_2) | instskip(NEXT) | instid1(VALU_DEP_1)
	v_or_b32_e32 v5, 0x70000000, v5
	v_mul_f32_e32 v5, 0x7800000, v5
	s_delay_alu instid0(VALU_DEP_1) | instskip(NEXT) | instid1(VALU_DEP_1)
	v_cndmask_b32_e32 v3, v5, v7, vcc_lo
	v_and_or_b32 v1, 0x80000000, v1, v3
	s_delay_alu instid0(VALU_DEP_1) | instskip(NEXT) | instid1(VALU_DEP_1)
	v_trunc_f32_e32 v1, v1
	v_mul_f32_e64 v3, 0x2f800000, |v1|
	v_ashrrev_i32_e32 v18, 31, v1
	s_delay_alu instid0(VALU_DEP_2) | instskip(NEXT) | instid1(VALU_DEP_2)
	v_floor_f32_e32 v3, v3
	v_mov_b32_e32 v19, v18
	s_delay_alu instid0(VALU_DEP_2) | instskip(SKIP_1) | instid1(VALU_DEP_2)
	v_fma_f32 v5, 0xcf800000, v3, |v1|
	v_cvt_u32_f32_e32 v1, v3
	v_cvt_u32_f32_e32 v3, v5
	s_delay_alu instid0(VALU_DEP_2) | instskip(NEXT) | instid1(VALU_DEP_2)
	v_xor_b32_e32 v25, v1, v18
	v_xor_b32_e32 v24, v3, v18
	s_delay_alu instid0(VALU_DEP_1)
	v_sub_nc_u64_e32 v[18:19], v[24:25], v[18:19]
.LBB63_5299:
	s_mov_b32 s6, 0
	s_mov_b32 s7, -1
.LBB63_5300:
	s_and_not1_b32 vcc_lo, exec_lo, s6
	s_mov_b32 s6, 0
	s_cbranch_vccnz .LBB63_5311
; %bb.5301:
	s_cmp_gt_i32 s58, 14
	s_cbranch_scc0 .LBB63_5304
; %bb.5302:
	s_cmp_eq_u32 s58, 15
	s_cbranch_scc0 .LBB63_5307
; %bb.5303:
	global_load_u16 v1, v[22:23], off
	s_mov_b32 s0, 0
	s_mov_b32 s7, -1
	s_wait_loadcnt 0x0
	v_lshlrev_b32_e32 v1, 16, v1
	s_delay_alu instid0(VALU_DEP_1) | instskip(NEXT) | instid1(VALU_DEP_1)
	v_trunc_f32_e32 v1, v1
	v_mul_f32_e64 v3, 0x2f800000, |v1|
	v_ashrrev_i32_e32 v18, 31, v1
	s_delay_alu instid0(VALU_DEP_2) | instskip(NEXT) | instid1(VALU_DEP_2)
	v_floor_f32_e32 v3, v3
	v_mov_b32_e32 v19, v18
	s_delay_alu instid0(VALU_DEP_2) | instskip(SKIP_1) | instid1(VALU_DEP_2)
	v_fma_f32 v5, 0xcf800000, v3, |v1|
	v_cvt_u32_f32_e32 v1, v3
	v_cvt_u32_f32_e32 v3, v5
	s_delay_alu instid0(VALU_DEP_2) | instskip(NEXT) | instid1(VALU_DEP_2)
	v_xor_b32_e32 v25, v1, v18
	v_xor_b32_e32 v24, v3, v18
	s_delay_alu instid0(VALU_DEP_1)
	v_sub_nc_u64_e32 v[18:19], v[24:25], v[18:19]
	s_branch .LBB63_5309
.LBB63_5304:
	s_mov_b32 s6, -1
	s_branch .LBB63_5308
.LBB63_5305:
	s_and_not1_saveexec_b32 s6, s6
	s_cbranch_execz .LBB63_5286
.LBB63_5306:
	v_cmp_ne_u16_e32 vcc_lo, 0, v1
	s_and_not1_b32 s7, s7, exec_lo
	s_and_b32 s9, vcc_lo, exec_lo
	s_delay_alu instid0(SALU_CYCLE_1)
	s_or_b32 s7, s7, s9
	s_or_b32 exec_lo, exec_lo, s6
	v_mov_b64_e32 v[18:19], 0
	s_and_saveexec_b32 s6, s7
	s_cbranch_execnz .LBB63_5287
	s_branch .LBB63_5288
.LBB63_5307:
	s_mov_b32 s0, -1
.LBB63_5308:
                                        ; implicit-def: $vgpr18_vgpr19
.LBB63_5309:
	s_and_b32 vcc_lo, exec_lo, s6
	s_mov_b32 s6, 0
	s_cbranch_vccz .LBB63_5311
; %bb.5310:
	s_cmp_lg_u32 s58, 11
	s_mov_b32 s6, -1
	s_cselect_b32 s0, -1, 0
.LBB63_5311:
	s_delay_alu instid0(SALU_CYCLE_1)
	s_and_b32 vcc_lo, exec_lo, s0
	s_cbranch_vccnz .LBB63_5376
; %bb.5312:
	s_and_not1_b32 vcc_lo, exec_lo, s6
	s_cbranch_vccnz .LBB63_5314
.LBB63_5313:
	global_load_u8 v1, v[22:23], off
	s_mov_b32 s0, 0
	s_mov_b32 s7, -1
	s_wait_loadcnt 0x1
	v_mov_b32_e32 v19, s0
	s_wait_loadcnt 0x0
	v_cmp_ne_u16_e32 vcc_lo, 0, v1
	v_cndmask_b32_e64 v18, 0, 1, vcc_lo
.LBB63_5314:
	s_mov_b32 s0, 0
.LBB63_5315:
	s_delay_alu instid0(SALU_CYCLE_1)
	s_and_b32 vcc_lo, exec_lo, s0
	s_cbranch_vccz .LBB63_5364
; %bb.5316:
	s_cmp_lt_i32 s58, 5
	s_cbranch_scc1 .LBB63_5321
; %bb.5317:
	s_cmp_lt_i32 s58, 8
	s_cbranch_scc1 .LBB63_5322
	;; [unrolled: 3-line block ×3, first 2 shown]
; %bb.5319:
	s_cmp_gt_i32 s58, 9
	s_cbranch_scc0 .LBB63_5324
; %bb.5320:
	s_wait_loadcnt 0x0
	global_load_b64 v[18:19], v[22:23], off
	s_mov_b32 s0, 0
	s_wait_loadcnt 0x0
	v_trunc_f64_e32 v[18:19], v[18:19]
	s_delay_alu instid0(VALU_DEP_1) | instskip(NEXT) | instid1(VALU_DEP_1)
	v_ldexp_f64 v[24:25], v[18:19], 0xffffffe0
	v_floor_f64_e32 v[24:25], v[24:25]
	s_delay_alu instid0(VALU_DEP_1) | instskip(SKIP_1) | instid1(VALU_DEP_2)
	v_fmamk_f64 v[26:27], v[24:25], 0xc1f00000, v[18:19]
	v_cvt_i32_f64_e32 v19, v[24:25]
	v_cvt_u32_f64_e32 v18, v[26:27]
	s_branch .LBB63_5325
.LBB63_5321:
	s_mov_b32 s0, -1
                                        ; implicit-def: $vgpr18_vgpr19
	s_branch .LBB63_5343
.LBB63_5322:
	s_mov_b32 s0, -1
                                        ; implicit-def: $vgpr18_vgpr19
	s_branch .LBB63_5331
.LBB63_5323:
	s_mov_b32 s0, -1
                                        ; implicit-def: $vgpr18_vgpr19
	s_branch .LBB63_5328
.LBB63_5324:
	s_mov_b32 s0, -1
                                        ; implicit-def: $vgpr18_vgpr19
.LBB63_5325:
	s_delay_alu instid0(SALU_CYCLE_1)
	s_and_not1_b32 vcc_lo, exec_lo, s0
	s_cbranch_vccnz .LBB63_5327
; %bb.5326:
	global_load_b32 v1, v[22:23], off
	s_wait_loadcnt 0x0
	v_trunc_f32_e32 v1, v1
	s_delay_alu instid0(VALU_DEP_1) | instskip(SKIP_1) | instid1(VALU_DEP_2)
	v_mul_f32_e64 v3, 0x2f800000, |v1|
	v_ashrrev_i32_e32 v18, 31, v1
	v_floor_f32_e32 v3, v3
	s_delay_alu instid0(VALU_DEP_1) | instskip(SKIP_1) | instid1(VALU_DEP_4)
	v_fma_f32 v5, 0xcf800000, v3, |v1|
	v_cvt_u32_f32_e32 v1, v3
	v_mov_b32_e32 v19, v18
	s_delay_alu instid0(VALU_DEP_3) | instskip(NEXT) | instid1(VALU_DEP_3)
	v_cvt_u32_f32_e32 v3, v5
	v_xor_b32_e32 v25, v1, v18
	s_delay_alu instid0(VALU_DEP_2) | instskip(NEXT) | instid1(VALU_DEP_1)
	v_xor_b32_e32 v24, v3, v18
	v_sub_nc_u64_e32 v[18:19], v[24:25], v[18:19]
.LBB63_5327:
	s_mov_b32 s0, 0
.LBB63_5328:
	s_delay_alu instid0(SALU_CYCLE_1)
	s_and_not1_b32 vcc_lo, exec_lo, s0
	s_cbranch_vccnz .LBB63_5330
; %bb.5329:
	global_load_b32 v1, v[22:23], off
	s_wait_loadcnt 0x0
	v_cvt_f32_f16_e32 v1, v1
	s_delay_alu instid0(VALU_DEP_1) | instskip(NEXT) | instid1(VALU_DEP_1)
	v_cvt_i32_f32_e32 v18, v1
	v_ashrrev_i32_e32 v19, 31, v18
.LBB63_5330:
	s_mov_b32 s0, 0
.LBB63_5331:
	s_delay_alu instid0(SALU_CYCLE_1)
	s_and_not1_b32 vcc_lo, exec_lo, s0
	s_cbranch_vccnz .LBB63_5342
; %bb.5332:
	s_cmp_lt_i32 s58, 6
	s_cbranch_scc1 .LBB63_5335
; %bb.5333:
	s_cmp_gt_i32 s58, 6
	s_cbranch_scc0 .LBB63_5336
; %bb.5334:
	s_wait_loadcnt 0x0
	global_load_b64 v[18:19], v[22:23], off
	s_mov_b32 s0, 0
	s_wait_loadcnt 0x0
	v_trunc_f64_e32 v[18:19], v[18:19]
	s_delay_alu instid0(VALU_DEP_1) | instskip(NEXT) | instid1(VALU_DEP_1)
	v_ldexp_f64 v[24:25], v[18:19], 0xffffffe0
	v_floor_f64_e32 v[24:25], v[24:25]
	s_delay_alu instid0(VALU_DEP_1) | instskip(SKIP_1) | instid1(VALU_DEP_2)
	v_fmamk_f64 v[26:27], v[24:25], 0xc1f00000, v[18:19]
	v_cvt_i32_f64_e32 v19, v[24:25]
	v_cvt_u32_f64_e32 v18, v[26:27]
	s_branch .LBB63_5337
.LBB63_5335:
	s_mov_b32 s0, -1
                                        ; implicit-def: $vgpr18_vgpr19
	s_branch .LBB63_5340
.LBB63_5336:
	s_mov_b32 s0, -1
                                        ; implicit-def: $vgpr18_vgpr19
.LBB63_5337:
	s_delay_alu instid0(SALU_CYCLE_1)
	s_and_not1_b32 vcc_lo, exec_lo, s0
	s_cbranch_vccnz .LBB63_5339
; %bb.5338:
	global_load_b32 v1, v[22:23], off
	s_wait_loadcnt 0x0
	v_trunc_f32_e32 v1, v1
	s_delay_alu instid0(VALU_DEP_1) | instskip(SKIP_1) | instid1(VALU_DEP_2)
	v_mul_f32_e64 v3, 0x2f800000, |v1|
	v_ashrrev_i32_e32 v18, 31, v1
	v_floor_f32_e32 v3, v3
	s_delay_alu instid0(VALU_DEP_1) | instskip(SKIP_1) | instid1(VALU_DEP_4)
	v_fma_f32 v5, 0xcf800000, v3, |v1|
	v_cvt_u32_f32_e32 v1, v3
	v_mov_b32_e32 v19, v18
	s_delay_alu instid0(VALU_DEP_3) | instskip(NEXT) | instid1(VALU_DEP_3)
	v_cvt_u32_f32_e32 v3, v5
	v_xor_b32_e32 v25, v1, v18
	s_delay_alu instid0(VALU_DEP_2) | instskip(NEXT) | instid1(VALU_DEP_1)
	v_xor_b32_e32 v24, v3, v18
	v_sub_nc_u64_e32 v[18:19], v[24:25], v[18:19]
.LBB63_5339:
	s_mov_b32 s0, 0
.LBB63_5340:
	s_delay_alu instid0(SALU_CYCLE_1)
	s_and_not1_b32 vcc_lo, exec_lo, s0
	s_cbranch_vccnz .LBB63_5342
; %bb.5341:
	global_load_u16 v1, v[22:23], off
	s_wait_loadcnt 0x0
	v_cvt_f32_f16_e32 v1, v1
	s_delay_alu instid0(VALU_DEP_1) | instskip(NEXT) | instid1(VALU_DEP_1)
	v_cvt_i32_f32_e32 v18, v1
	v_ashrrev_i32_e32 v19, 31, v18
.LBB63_5342:
	s_mov_b32 s0, 0
.LBB63_5343:
	s_delay_alu instid0(SALU_CYCLE_1)
	s_and_not1_b32 vcc_lo, exec_lo, s0
	s_cbranch_vccnz .LBB63_5363
; %bb.5344:
	s_cmp_lt_i32 s58, 2
	s_cbranch_scc1 .LBB63_5348
; %bb.5345:
	s_cmp_lt_i32 s58, 3
	s_cbranch_scc1 .LBB63_5349
; %bb.5346:
	s_cmp_gt_i32 s58, 3
	s_cbranch_scc0 .LBB63_5350
; %bb.5347:
	s_wait_loadcnt 0x0
	global_load_b64 v[18:19], v[22:23], off
	s_mov_b32 s0, 0
	s_branch .LBB63_5351
.LBB63_5348:
	s_mov_b32 s0, -1
                                        ; implicit-def: $vgpr18_vgpr19
	s_branch .LBB63_5357
.LBB63_5349:
	s_mov_b32 s0, -1
                                        ; implicit-def: $vgpr18_vgpr19
	s_branch .LBB63_5354
.LBB63_5350:
	s_mov_b32 s0, -1
                                        ; implicit-def: $vgpr18_vgpr19
.LBB63_5351:
	s_delay_alu instid0(SALU_CYCLE_1)
	s_and_not1_b32 vcc_lo, exec_lo, s0
	s_cbranch_vccnz .LBB63_5353
; %bb.5352:
	s_wait_loadcnt 0x0
	global_load_b32 v18, v[22:23], off
	s_wait_loadcnt 0x0
	v_ashrrev_i32_e32 v19, 31, v18
.LBB63_5353:
	s_mov_b32 s0, 0
.LBB63_5354:
	s_delay_alu instid0(SALU_CYCLE_1)
	s_and_not1_b32 vcc_lo, exec_lo, s0
	s_cbranch_vccnz .LBB63_5356
; %bb.5355:
	global_load_u16 v1, v[22:23], off
	s_wait_loadcnt 0x0
	v_bfe_i32 v18, v1, 0, 16
	s_delay_alu instid0(VALU_DEP_1)
	v_ashrrev_i32_e32 v19, 31, v18
.LBB63_5356:
	s_mov_b32 s0, 0
.LBB63_5357:
	s_delay_alu instid0(SALU_CYCLE_1)
	s_and_not1_b32 vcc_lo, exec_lo, s0
	s_cbranch_vccnz .LBB63_5363
; %bb.5358:
	s_cmp_gt_i32 s58, 0
	s_mov_b32 s0, 0
	s_cbranch_scc0 .LBB63_5360
; %bb.5359:
	global_load_i8 v1, v[22:23], off
	s_wait_loadcnt 0x0
	v_bfe_i32 v18, v1, 0, 16
	s_delay_alu instid0(VALU_DEP_1)
	v_ashrrev_i32_e32 v19, 31, v18
	s_branch .LBB63_5361
.LBB63_5360:
	s_mov_b32 s0, -1
                                        ; implicit-def: $vgpr18_vgpr19
.LBB63_5361:
	s_delay_alu instid0(SALU_CYCLE_1)
	s_and_not1_b32 vcc_lo, exec_lo, s0
	s_cbranch_vccnz .LBB63_5363
; %bb.5362:
	global_load_u8 v1, v[22:23], off
	s_mov_b32 s0, 0
	s_wait_loadcnt 0x1
	v_mov_b32_e32 v19, s0
	s_wait_loadcnt 0x0
	v_and_b32_e32 v18, 0xffff, v1
.LBB63_5363:
	s_mov_b32 s7, -1
.LBB63_5364:
	s_delay_alu instid0(SALU_CYCLE_1)
	s_and_not1_b32 vcc_lo, exec_lo, s7
	s_cbranch_vccnz .LBB63_5756
; %bb.5365:
	v_mov_b32_e32 v17, 0
	s_cmp_lt_i32 s59, 11
	s_wait_xcnt 0x0
	s_delay_alu instid0(VALU_DEP_1)
	v_add_nc_u64_e32 v[22:23], s[12:13], v[16:17]
	s_cbranch_scc1 .LBB63_5372
; %bb.5366:
	s_cmp_gt_i32 s59, 25
	s_mov_b32 s6, 0
	s_cbranch_scc0 .LBB63_5373
; %bb.5367:
	s_cmp_gt_i32 s59, 28
	s_cbranch_scc0 .LBB63_5374
; %bb.5368:
	s_cmp_gt_i32 s59, 43
	;; [unrolled: 3-line block ×3, first 2 shown]
	s_cbranch_scc0 .LBB63_5377
; %bb.5370:
	s_cmp_eq_u32 s59, 46
	s_mov_b32 s9, 0
	s_cbranch_scc0 .LBB63_5379
; %bb.5371:
	global_load_b32 v1, v[22:23], off
	s_mov_b32 s0, 0
	s_mov_b32 s7, -1
	s_wait_loadcnt 0x0
	v_lshlrev_b32_e32 v1, 16, v1
	s_delay_alu instid0(VALU_DEP_1) | instskip(NEXT) | instid1(VALU_DEP_1)
	v_trunc_f32_e32 v1, v1
	v_mul_f32_e64 v3, 0x2f800000, |v1|
	v_ashrrev_i32_e32 v16, 31, v1
	s_delay_alu instid0(VALU_DEP_2) | instskip(NEXT) | instid1(VALU_DEP_2)
	v_floor_f32_e32 v3, v3
	v_mov_b32_e32 v17, v16
	s_delay_alu instid0(VALU_DEP_2) | instskip(SKIP_1) | instid1(VALU_DEP_2)
	v_fma_f32 v5, 0xcf800000, v3, |v1|
	v_cvt_u32_f32_e32 v1, v3
	v_cvt_u32_f32_e32 v3, v5
	s_delay_alu instid0(VALU_DEP_2) | instskip(NEXT) | instid1(VALU_DEP_2)
	v_xor_b32_e32 v25, v1, v16
	v_xor_b32_e32 v24, v3, v16
	s_delay_alu instid0(VALU_DEP_1)
	v_sub_nc_u64_e32 v[16:17], v[24:25], v[16:17]
	s_branch .LBB63_5381
.LBB63_5372:
	s_mov_b32 s0, -1
	s_mov_b32 s7, 0
                                        ; implicit-def: $vgpr16_vgpr17
	s_branch .LBB63_5443
.LBB63_5373:
	s_mov_b32 s9, -1
	s_mov_b32 s7, 0
	s_mov_b32 s0, 0
                                        ; implicit-def: $vgpr16_vgpr17
	s_branch .LBB63_5408
.LBB63_5374:
	s_mov_b32 s9, -1
	s_mov_b32 s7, 0
	s_mov_b32 s0, 0
                                        ; implicit-def: $vgpr16_vgpr17
	s_branch .LBB63_5391
.LBB63_5375:
	s_mov_b32 s9, -1
	s_mov_b32 s7, 0
	s_mov_b32 s0, 0
                                        ; implicit-def: $vgpr16_vgpr17
	s_branch .LBB63_5386
.LBB63_5376:
	s_or_b32 s23, s23, exec_lo
	s_trap 2
	s_cbranch_execz .LBB63_5313
	s_branch .LBB63_5314
.LBB63_5377:
	s_mov_b32 s9, -1
	s_mov_b32 s7, 0
	s_mov_b32 s0, 0
	s_branch .LBB63_5380
.LBB63_5378:
	s_or_b32 s63, s56, exec_lo
	s_trap 2
                                        ; implicit-def: $vgpr26_vgpr27
                                        ; implicit-def: $vgpr24_vgpr25
                                        ; implicit-def: $vgpr32_vgpr33
                                        ; implicit-def: $vgpr6
                                        ; implicit-def: $vgpr4
                                        ; implicit-def: $vgpr2
                                        ; implicit-def: $vgpr14
                                        ; implicit-def: $vgpr10
                                        ; implicit-def: $vgpr18
                                        ; implicit-def: $vgpr16
                                        ; implicit-def: $vgpr0
                                        ; implicit-def: $vgpr20
                                        ; implicit-def: $vgpr8_vgpr9
                                        ; implicit-def: $vgpr12_vgpr13
	s_or_saveexec_b32 s64, s0
                                        ; implicit-def: $vgpr42_vgpr43
                                        ; implicit-def: $sgpr0
	s_delay_alu instid0(SALU_CYCLE_1)
	s_xor_b32 exec_lo, exec_lo, s64
	s_cbranch_execz .LBB63_5760
	s_branch .LBB63_5086
.LBB63_5379:
	s_mov_b32 s0, -1
	s_mov_b32 s7, 0
.LBB63_5380:
                                        ; implicit-def: $vgpr16_vgpr17
.LBB63_5381:
	s_and_b32 vcc_lo, exec_lo, s9
	s_cbranch_vccz .LBB63_5385
; %bb.5382:
	s_cmp_eq_u32 s59, 44
	s_cbranch_scc0 .LBB63_5384
; %bb.5383:
	global_load_u8 v1, v[22:23], off
	s_mov_b32 s0, 0
	s_mov_b32 s7, -1
	s_wait_loadcnt 0x0
	v_lshlrev_b32_e32 v3, 23, v1
	v_cmp_ne_u32_e32 vcc_lo, 0, v1
	s_delay_alu instid0(VALU_DEP_2) | instskip(NEXT) | instid1(VALU_DEP_1)
	v_trunc_f32_e32 v3, v3
	v_mul_f32_e64 v5, 0x2f800000, |v3|
	v_ashrrev_i32_e32 v16, 31, v3
	s_delay_alu instid0(VALU_DEP_2) | instskip(NEXT) | instid1(VALU_DEP_2)
	v_floor_f32_e32 v5, v5
	v_mov_b32_e32 v17, v16
	s_delay_alu instid0(VALU_DEP_2) | instskip(SKIP_1) | instid1(VALU_DEP_2)
	v_fma_f32 v7, 0xcf800000, v5, |v3|
	v_cvt_u32_f32_e32 v3, v5
	v_cvt_u32_f32_e32 v5, v7
	s_delay_alu instid0(VALU_DEP_2) | instskip(NEXT) | instid1(VALU_DEP_2)
	v_xor_b32_e32 v25, v3, v16
	v_xor_b32_e32 v24, v5, v16
	s_delay_alu instid0(VALU_DEP_1) | instskip(NEXT) | instid1(VALU_DEP_1)
	v_sub_nc_u64_e32 v[16:17], v[24:25], v[16:17]
	v_dual_cndmask_b32 v17, 0, v17 :: v_dual_cndmask_b32 v16, 0, v16
	s_branch .LBB63_5385
.LBB63_5384:
	s_mov_b32 s0, -1
                                        ; implicit-def: $vgpr16_vgpr17
.LBB63_5385:
	s_mov_b32 s9, 0
.LBB63_5386:
	s_delay_alu instid0(SALU_CYCLE_1)
	s_and_b32 vcc_lo, exec_lo, s9
	s_cbranch_vccz .LBB63_5390
; %bb.5387:
	s_cmp_eq_u32 s59, 29
	s_cbranch_scc0 .LBB63_5389
; %bb.5388:
	global_load_b64 v[16:17], v[22:23], off
	s_mov_b32 s0, 0
	s_mov_b32 s7, -1
	s_branch .LBB63_5390
.LBB63_5389:
	s_mov_b32 s0, -1
                                        ; implicit-def: $vgpr16_vgpr17
.LBB63_5390:
	s_mov_b32 s9, 0
.LBB63_5391:
	s_delay_alu instid0(SALU_CYCLE_1)
	s_and_b32 vcc_lo, exec_lo, s9
	s_cbranch_vccz .LBB63_5407
; %bb.5392:
	s_cmp_lt_i32 s59, 27
	s_cbranch_scc1 .LBB63_5395
; %bb.5393:
	s_cmp_gt_i32 s59, 27
	s_cbranch_scc0 .LBB63_5396
; %bb.5394:
	s_wait_loadcnt 0x0
	global_load_b32 v16, v[22:23], off
	v_mov_b32_e32 v17, 0
	s_mov_b32 s7, 0
	s_branch .LBB63_5397
.LBB63_5395:
	s_mov_b32 s7, -1
                                        ; implicit-def: $vgpr16_vgpr17
	s_branch .LBB63_5400
.LBB63_5396:
	s_mov_b32 s7, -1
                                        ; implicit-def: $vgpr16_vgpr17
.LBB63_5397:
	s_delay_alu instid0(SALU_CYCLE_1)
	s_and_not1_b32 vcc_lo, exec_lo, s7
	s_cbranch_vccnz .LBB63_5399
; %bb.5398:
	global_load_u16 v1, v[22:23], off
	s_mov_b32 s7, 0
	s_wait_loadcnt 0x1
	v_mov_b32_e32 v17, s7
	s_wait_loadcnt 0x0
	v_and_b32_e32 v16, 0xffff, v1
.LBB63_5399:
	s_mov_b32 s7, 0
.LBB63_5400:
	s_delay_alu instid0(SALU_CYCLE_1)
	s_and_not1_b32 vcc_lo, exec_lo, s7
	s_cbranch_vccnz .LBB63_5406
; %bb.5401:
	global_load_u8 v1, v[22:23], off
	s_mov_b32 s9, 0
	s_mov_b32 s7, exec_lo
	s_wait_loadcnt 0x0
	v_cmpx_lt_i16_e32 0x7f, v1
	s_xor_b32 s7, exec_lo, s7
	s_cbranch_execz .LBB63_5418
; %bb.5402:
	v_cmp_ne_u16_e32 vcc_lo, 0x80, v1
	s_and_b32 s9, vcc_lo, exec_lo
	s_and_not1_saveexec_b32 s7, s7
	s_cbranch_execnz .LBB63_5419
.LBB63_5403:
	s_or_b32 exec_lo, exec_lo, s7
	v_mov_b64_e32 v[16:17], 0
	s_and_saveexec_b32 s7, s9
	s_cbranch_execz .LBB63_5405
.LBB63_5404:
	v_and_b32_e32 v3, 0xffff, v1
	s_delay_alu instid0(VALU_DEP_1) | instskip(SKIP_1) | instid1(VALU_DEP_2)
	v_dual_lshlrev_b32 v1, 24, v1 :: v_dual_bitop2_b32 v5, 7, v3 bitop3:0x40
	v_bfe_u32 v15, v3, 3, 4
	v_and_b32_e32 v1, 0x80000000, v1
	s_delay_alu instid0(VALU_DEP_3) | instskip(NEXT) | instid1(VALU_DEP_3)
	v_clz_i32_u32_e32 v7, v5
	v_cmp_eq_u32_e32 vcc_lo, 0, v15
	s_delay_alu instid0(VALU_DEP_2) | instskip(NEXT) | instid1(VALU_DEP_1)
	v_min_u32_e32 v7, 32, v7
	v_subrev_nc_u32_e32 v11, 28, v7
	v_sub_nc_u32_e32 v7, 29, v7
	s_delay_alu instid0(VALU_DEP_2) | instskip(NEXT) | instid1(VALU_DEP_2)
	v_lshlrev_b32_e32 v3, v11, v3
	v_cndmask_b32_e32 v7, v15, v7, vcc_lo
	s_delay_alu instid0(VALU_DEP_2) | instskip(NEXT) | instid1(VALU_DEP_1)
	v_and_b32_e32 v3, 7, v3
	v_cndmask_b32_e32 v3, v5, v3, vcc_lo
	s_delay_alu instid0(VALU_DEP_3) | instskip(NEXT) | instid1(VALU_DEP_2)
	v_lshl_add_u32 v5, v7, 23, 0x3b800000
	v_lshlrev_b32_e32 v3, 20, v3
	s_delay_alu instid0(VALU_DEP_1) | instskip(NEXT) | instid1(VALU_DEP_1)
	v_or3_b32 v1, v1, v5, v3
	v_trunc_f32_e32 v1, v1
	s_delay_alu instid0(VALU_DEP_1) | instskip(SKIP_1) | instid1(VALU_DEP_2)
	v_mul_f32_e64 v3, 0x2f800000, |v1|
	v_ashrrev_i32_e32 v16, 31, v1
	v_floor_f32_e32 v3, v3
	s_delay_alu instid0(VALU_DEP_2) | instskip(NEXT) | instid1(VALU_DEP_2)
	v_mov_b32_e32 v17, v16
	v_fma_f32 v5, 0xcf800000, v3, |v1|
	v_cvt_u32_f32_e32 v1, v3
	s_delay_alu instid0(VALU_DEP_2) | instskip(NEXT) | instid1(VALU_DEP_2)
	v_cvt_u32_f32_e32 v3, v5
	v_xor_b32_e32 v25, v1, v16
	s_delay_alu instid0(VALU_DEP_2) | instskip(NEXT) | instid1(VALU_DEP_1)
	v_xor_b32_e32 v24, v3, v16
	v_sub_nc_u64_e32 v[16:17], v[24:25], v[16:17]
.LBB63_5405:
	s_or_b32 exec_lo, exec_lo, s7
.LBB63_5406:
	s_mov_b32 s7, -1
.LBB63_5407:
	s_mov_b32 s9, 0
.LBB63_5408:
	s_delay_alu instid0(SALU_CYCLE_1)
	s_and_b32 vcc_lo, exec_lo, s9
	s_cbranch_vccz .LBB63_5439
; %bb.5409:
	s_cmp_gt_i32 s59, 22
	s_cbranch_scc0 .LBB63_5417
; %bb.5410:
	s_cmp_lt_i32 s59, 24
	s_cbranch_scc1 .LBB63_5420
; %bb.5411:
	s_cmp_gt_i32 s59, 24
	s_cbranch_scc0 .LBB63_5421
; %bb.5412:
	global_load_u8 v1, v[22:23], off
	s_mov_b32 s7, 0
	s_mov_b32 s6, exec_lo
	s_wait_loadcnt 0x0
	v_cmpx_lt_i16_e32 0x7f, v1
	s_xor_b32 s6, exec_lo, s6
	s_cbranch_execz .LBB63_5433
; %bb.5413:
	v_cmp_ne_u16_e32 vcc_lo, 0x80, v1
	s_and_b32 s7, vcc_lo, exec_lo
	s_and_not1_saveexec_b32 s6, s6
	s_cbranch_execnz .LBB63_5434
.LBB63_5414:
	s_or_b32 exec_lo, exec_lo, s6
	v_mov_b64_e32 v[16:17], 0
	s_and_saveexec_b32 s6, s7
	s_cbranch_execz .LBB63_5416
.LBB63_5415:
	v_and_b32_e32 v3, 0xffff, v1
	s_delay_alu instid0(VALU_DEP_1) | instskip(SKIP_1) | instid1(VALU_DEP_2)
	v_dual_lshlrev_b32 v1, 24, v1 :: v_dual_bitop2_b32 v5, 3, v3 bitop3:0x40
	v_bfe_u32 v15, v3, 2, 5
	v_and_b32_e32 v1, 0x80000000, v1
	s_delay_alu instid0(VALU_DEP_3) | instskip(NEXT) | instid1(VALU_DEP_3)
	v_clz_i32_u32_e32 v7, v5
	v_cmp_eq_u32_e32 vcc_lo, 0, v15
	s_delay_alu instid0(VALU_DEP_2) | instskip(NEXT) | instid1(VALU_DEP_1)
	v_min_u32_e32 v7, 32, v7
	v_subrev_nc_u32_e32 v11, 29, v7
	v_sub_nc_u32_e32 v7, 30, v7
	s_delay_alu instid0(VALU_DEP_2) | instskip(NEXT) | instid1(VALU_DEP_2)
	v_lshlrev_b32_e32 v3, v11, v3
	v_cndmask_b32_e32 v7, v15, v7, vcc_lo
	s_delay_alu instid0(VALU_DEP_2) | instskip(NEXT) | instid1(VALU_DEP_1)
	v_and_b32_e32 v3, 3, v3
	v_cndmask_b32_e32 v3, v5, v3, vcc_lo
	s_delay_alu instid0(VALU_DEP_3) | instskip(NEXT) | instid1(VALU_DEP_2)
	v_lshl_add_u32 v5, v7, 23, 0x37800000
	v_lshlrev_b32_e32 v3, 21, v3
	s_delay_alu instid0(VALU_DEP_1) | instskip(NEXT) | instid1(VALU_DEP_1)
	v_or3_b32 v1, v1, v5, v3
	v_trunc_f32_e32 v1, v1
	s_delay_alu instid0(VALU_DEP_1) | instskip(SKIP_1) | instid1(VALU_DEP_2)
	v_mul_f32_e64 v3, 0x2f800000, |v1|
	v_ashrrev_i32_e32 v16, 31, v1
	v_floor_f32_e32 v3, v3
	s_delay_alu instid0(VALU_DEP_2) | instskip(NEXT) | instid1(VALU_DEP_2)
	v_mov_b32_e32 v17, v16
	v_fma_f32 v5, 0xcf800000, v3, |v1|
	v_cvt_u32_f32_e32 v1, v3
	s_delay_alu instid0(VALU_DEP_2) | instskip(NEXT) | instid1(VALU_DEP_2)
	v_cvt_u32_f32_e32 v3, v5
	v_xor_b32_e32 v25, v1, v16
	s_delay_alu instid0(VALU_DEP_2) | instskip(NEXT) | instid1(VALU_DEP_1)
	v_xor_b32_e32 v24, v3, v16
	v_sub_nc_u64_e32 v[16:17], v[24:25], v[16:17]
.LBB63_5416:
	s_or_b32 exec_lo, exec_lo, s6
	s_mov_b32 s6, 0
	s_branch .LBB63_5422
.LBB63_5417:
	s_mov_b32 s6, -1
                                        ; implicit-def: $vgpr16_vgpr17
	s_branch .LBB63_5428
.LBB63_5418:
	s_and_not1_saveexec_b32 s7, s7
	s_cbranch_execz .LBB63_5403
.LBB63_5419:
	v_cmp_ne_u16_e32 vcc_lo, 0, v1
	s_and_not1_b32 s9, s9, exec_lo
	s_and_b32 s10, vcc_lo, exec_lo
	s_delay_alu instid0(SALU_CYCLE_1)
	s_or_b32 s9, s9, s10
	s_or_b32 exec_lo, exec_lo, s7
	v_mov_b64_e32 v[16:17], 0
	s_and_saveexec_b32 s7, s9
	s_cbranch_execnz .LBB63_5404
	s_branch .LBB63_5405
.LBB63_5420:
	s_mov_b32 s6, -1
                                        ; implicit-def: $vgpr16_vgpr17
	s_branch .LBB63_5425
.LBB63_5421:
	s_mov_b32 s6, -1
                                        ; implicit-def: $vgpr16_vgpr17
.LBB63_5422:
	s_delay_alu instid0(SALU_CYCLE_1)
	s_and_b32 vcc_lo, exec_lo, s6
	s_cbranch_vccz .LBB63_5424
; %bb.5423:
	global_load_u8 v1, v[22:23], off
	s_wait_loadcnt 0x0
	v_lshlrev_b32_e32 v1, 24, v1
	s_delay_alu instid0(VALU_DEP_1) | instskip(NEXT) | instid1(VALU_DEP_1)
	v_and_b32_e32 v3, 0x7f000000, v1
	v_clz_i32_u32_e32 v5, v3
	v_add_nc_u32_e32 v11, 0x1000000, v3
	v_cmp_ne_u32_e32 vcc_lo, 0, v3
	s_delay_alu instid0(VALU_DEP_3) | instskip(NEXT) | instid1(VALU_DEP_1)
	v_min_u32_e32 v5, 32, v5
	v_sub_nc_u32_e64 v5, v5, 4 clamp
	s_delay_alu instid0(VALU_DEP_1) | instskip(NEXT) | instid1(VALU_DEP_1)
	v_dual_lshlrev_b32 v7, v5, v3 :: v_dual_lshlrev_b32 v5, 23, v5
	v_lshrrev_b32_e32 v7, 4, v7
	s_delay_alu instid0(VALU_DEP_1) | instskip(NEXT) | instid1(VALU_DEP_1)
	v_dual_sub_nc_u32 v5, v7, v5 :: v_dual_ashrrev_i32 v7, 8, v11
	v_add_nc_u32_e32 v5, 0x3c000000, v5
	s_delay_alu instid0(VALU_DEP_1) | instskip(NEXT) | instid1(VALU_DEP_1)
	v_and_or_b32 v5, 0x7f800000, v7, v5
	v_cndmask_b32_e32 v3, 0, v5, vcc_lo
	s_delay_alu instid0(VALU_DEP_1) | instskip(NEXT) | instid1(VALU_DEP_1)
	v_and_or_b32 v1, 0x80000000, v1, v3
	v_trunc_f32_e32 v1, v1
	s_delay_alu instid0(VALU_DEP_1) | instskip(SKIP_1) | instid1(VALU_DEP_2)
	v_mul_f32_e64 v3, 0x2f800000, |v1|
	v_ashrrev_i32_e32 v16, 31, v1
	v_floor_f32_e32 v3, v3
	s_delay_alu instid0(VALU_DEP_2) | instskip(NEXT) | instid1(VALU_DEP_2)
	v_mov_b32_e32 v17, v16
	v_fma_f32 v5, 0xcf800000, v3, |v1|
	v_cvt_u32_f32_e32 v1, v3
	s_delay_alu instid0(VALU_DEP_2) | instskip(NEXT) | instid1(VALU_DEP_2)
	v_cvt_u32_f32_e32 v3, v5
	v_xor_b32_e32 v25, v1, v16
	s_delay_alu instid0(VALU_DEP_2) | instskip(NEXT) | instid1(VALU_DEP_1)
	v_xor_b32_e32 v24, v3, v16
	v_sub_nc_u64_e32 v[16:17], v[24:25], v[16:17]
.LBB63_5424:
	s_mov_b32 s6, 0
.LBB63_5425:
	s_delay_alu instid0(SALU_CYCLE_1)
	s_and_not1_b32 vcc_lo, exec_lo, s6
	s_cbranch_vccnz .LBB63_5427
; %bb.5426:
	global_load_u8 v1, v[22:23], off
	s_wait_loadcnt 0x0
	v_lshlrev_b32_e32 v3, 25, v1
	v_lshlrev_b16 v1, 8, v1
	s_delay_alu instid0(VALU_DEP_1) | instskip(SKIP_1) | instid1(VALU_DEP_2)
	v_and_or_b32 v7, 0x7f00, v1, 0.5
	v_bfe_i32 v1, v1, 0, 16
	v_add_f32_e32 v7, -0.5, v7
	v_lshrrev_b32_e32 v5, 4, v3
	v_cmp_gt_u32_e32 vcc_lo, 0x8000000, v3
	s_delay_alu instid0(VALU_DEP_2) | instskip(NEXT) | instid1(VALU_DEP_1)
	v_or_b32_e32 v5, 0x70000000, v5
	v_mul_f32_e32 v5, 0x7800000, v5
	s_delay_alu instid0(VALU_DEP_1) | instskip(NEXT) | instid1(VALU_DEP_1)
	v_cndmask_b32_e32 v3, v5, v7, vcc_lo
	v_and_or_b32 v1, 0x80000000, v1, v3
	s_delay_alu instid0(VALU_DEP_1) | instskip(NEXT) | instid1(VALU_DEP_1)
	v_trunc_f32_e32 v1, v1
	v_mul_f32_e64 v3, 0x2f800000, |v1|
	v_ashrrev_i32_e32 v16, 31, v1
	s_delay_alu instid0(VALU_DEP_2) | instskip(NEXT) | instid1(VALU_DEP_2)
	v_floor_f32_e32 v3, v3
	v_mov_b32_e32 v17, v16
	s_delay_alu instid0(VALU_DEP_2) | instskip(SKIP_1) | instid1(VALU_DEP_2)
	v_fma_f32 v5, 0xcf800000, v3, |v1|
	v_cvt_u32_f32_e32 v1, v3
	v_cvt_u32_f32_e32 v3, v5
	s_delay_alu instid0(VALU_DEP_2) | instskip(NEXT) | instid1(VALU_DEP_2)
	v_xor_b32_e32 v25, v1, v16
	v_xor_b32_e32 v24, v3, v16
	s_delay_alu instid0(VALU_DEP_1)
	v_sub_nc_u64_e32 v[16:17], v[24:25], v[16:17]
.LBB63_5427:
	s_mov_b32 s6, 0
	s_mov_b32 s7, -1
.LBB63_5428:
	s_and_not1_b32 vcc_lo, exec_lo, s6
	s_mov_b32 s6, 0
	s_cbranch_vccnz .LBB63_5439
; %bb.5429:
	s_cmp_gt_i32 s59, 14
	s_cbranch_scc0 .LBB63_5432
; %bb.5430:
	s_cmp_eq_u32 s59, 15
	s_cbranch_scc0 .LBB63_5435
; %bb.5431:
	global_load_u16 v1, v[22:23], off
	s_mov_b32 s0, 0
	s_mov_b32 s7, -1
	s_wait_loadcnt 0x0
	v_lshlrev_b32_e32 v1, 16, v1
	s_delay_alu instid0(VALU_DEP_1) | instskip(NEXT) | instid1(VALU_DEP_1)
	v_trunc_f32_e32 v1, v1
	v_mul_f32_e64 v3, 0x2f800000, |v1|
	v_ashrrev_i32_e32 v16, 31, v1
	s_delay_alu instid0(VALU_DEP_2) | instskip(NEXT) | instid1(VALU_DEP_2)
	v_floor_f32_e32 v3, v3
	v_mov_b32_e32 v17, v16
	s_delay_alu instid0(VALU_DEP_2) | instskip(SKIP_1) | instid1(VALU_DEP_2)
	v_fma_f32 v5, 0xcf800000, v3, |v1|
	v_cvt_u32_f32_e32 v1, v3
	v_cvt_u32_f32_e32 v3, v5
	s_delay_alu instid0(VALU_DEP_2) | instskip(NEXT) | instid1(VALU_DEP_2)
	v_xor_b32_e32 v25, v1, v16
	v_xor_b32_e32 v24, v3, v16
	s_delay_alu instid0(VALU_DEP_1)
	v_sub_nc_u64_e32 v[16:17], v[24:25], v[16:17]
	s_branch .LBB63_5437
.LBB63_5432:
	s_mov_b32 s6, -1
	s_branch .LBB63_5436
.LBB63_5433:
	s_and_not1_saveexec_b32 s6, s6
	s_cbranch_execz .LBB63_5414
.LBB63_5434:
	v_cmp_ne_u16_e32 vcc_lo, 0, v1
	s_and_not1_b32 s7, s7, exec_lo
	s_and_b32 s9, vcc_lo, exec_lo
	s_delay_alu instid0(SALU_CYCLE_1)
	s_or_b32 s7, s7, s9
	s_or_b32 exec_lo, exec_lo, s6
	v_mov_b64_e32 v[16:17], 0
	s_and_saveexec_b32 s6, s7
	s_cbranch_execnz .LBB63_5415
	s_branch .LBB63_5416
.LBB63_5435:
	s_mov_b32 s0, -1
.LBB63_5436:
                                        ; implicit-def: $vgpr16_vgpr17
.LBB63_5437:
	s_and_b32 vcc_lo, exec_lo, s6
	s_mov_b32 s6, 0
	s_cbranch_vccz .LBB63_5439
; %bb.5438:
	s_cmp_lg_u32 s59, 11
	s_mov_b32 s6, -1
	s_cselect_b32 s0, -1, 0
.LBB63_5439:
	s_delay_alu instid0(SALU_CYCLE_1)
	s_and_b32 vcc_lo, exec_lo, s0
	s_cbranch_vccnz .LBB63_5504
; %bb.5440:
	s_and_not1_b32 vcc_lo, exec_lo, s6
	s_cbranch_vccnz .LBB63_5442
.LBB63_5441:
	global_load_u8 v1, v[22:23], off
	s_mov_b32 s0, 0
	s_mov_b32 s7, -1
	s_wait_loadcnt 0x1
	v_mov_b32_e32 v17, s0
	s_wait_loadcnt 0x0
	v_cmp_ne_u16_e32 vcc_lo, 0, v1
	v_cndmask_b32_e64 v16, 0, 1, vcc_lo
.LBB63_5442:
	s_mov_b32 s0, 0
.LBB63_5443:
	s_delay_alu instid0(SALU_CYCLE_1)
	s_and_b32 vcc_lo, exec_lo, s0
	s_cbranch_vccz .LBB63_5492
; %bb.5444:
	s_cmp_lt_i32 s59, 5
	s_cbranch_scc1 .LBB63_5449
; %bb.5445:
	s_cmp_lt_i32 s59, 8
	s_cbranch_scc1 .LBB63_5450
	;; [unrolled: 3-line block ×3, first 2 shown]
; %bb.5447:
	s_cmp_gt_i32 s59, 9
	s_cbranch_scc0 .LBB63_5452
; %bb.5448:
	s_wait_loadcnt 0x0
	global_load_b64 v[16:17], v[22:23], off
	s_mov_b32 s0, 0
	s_wait_loadcnt 0x0
	v_trunc_f64_e32 v[16:17], v[16:17]
	s_delay_alu instid0(VALU_DEP_1) | instskip(NEXT) | instid1(VALU_DEP_1)
	v_ldexp_f64 v[24:25], v[16:17], 0xffffffe0
	v_floor_f64_e32 v[24:25], v[24:25]
	s_delay_alu instid0(VALU_DEP_1) | instskip(SKIP_1) | instid1(VALU_DEP_2)
	v_fmamk_f64 v[26:27], v[24:25], 0xc1f00000, v[16:17]
	v_cvt_i32_f64_e32 v17, v[24:25]
	v_cvt_u32_f64_e32 v16, v[26:27]
	s_branch .LBB63_5453
.LBB63_5449:
	s_mov_b32 s0, -1
                                        ; implicit-def: $vgpr16_vgpr17
	s_branch .LBB63_5471
.LBB63_5450:
	s_mov_b32 s0, -1
                                        ; implicit-def: $vgpr16_vgpr17
	s_branch .LBB63_5459
.LBB63_5451:
	s_mov_b32 s0, -1
                                        ; implicit-def: $vgpr16_vgpr17
	s_branch .LBB63_5456
.LBB63_5452:
	s_mov_b32 s0, -1
                                        ; implicit-def: $vgpr16_vgpr17
.LBB63_5453:
	s_delay_alu instid0(SALU_CYCLE_1)
	s_and_not1_b32 vcc_lo, exec_lo, s0
	s_cbranch_vccnz .LBB63_5455
; %bb.5454:
	global_load_b32 v1, v[22:23], off
	s_wait_loadcnt 0x0
	v_trunc_f32_e32 v1, v1
	s_delay_alu instid0(VALU_DEP_1) | instskip(SKIP_1) | instid1(VALU_DEP_2)
	v_mul_f32_e64 v3, 0x2f800000, |v1|
	v_ashrrev_i32_e32 v16, 31, v1
	v_floor_f32_e32 v3, v3
	s_delay_alu instid0(VALU_DEP_1) | instskip(SKIP_1) | instid1(VALU_DEP_4)
	v_fma_f32 v5, 0xcf800000, v3, |v1|
	v_cvt_u32_f32_e32 v1, v3
	v_mov_b32_e32 v17, v16
	s_delay_alu instid0(VALU_DEP_3) | instskip(NEXT) | instid1(VALU_DEP_3)
	v_cvt_u32_f32_e32 v3, v5
	v_xor_b32_e32 v25, v1, v16
	s_delay_alu instid0(VALU_DEP_2) | instskip(NEXT) | instid1(VALU_DEP_1)
	v_xor_b32_e32 v24, v3, v16
	v_sub_nc_u64_e32 v[16:17], v[24:25], v[16:17]
.LBB63_5455:
	s_mov_b32 s0, 0
.LBB63_5456:
	s_delay_alu instid0(SALU_CYCLE_1)
	s_and_not1_b32 vcc_lo, exec_lo, s0
	s_cbranch_vccnz .LBB63_5458
; %bb.5457:
	global_load_b32 v1, v[22:23], off
	s_wait_loadcnt 0x0
	v_cvt_f32_f16_e32 v1, v1
	s_delay_alu instid0(VALU_DEP_1) | instskip(NEXT) | instid1(VALU_DEP_1)
	v_cvt_i32_f32_e32 v16, v1
	v_ashrrev_i32_e32 v17, 31, v16
.LBB63_5458:
	s_mov_b32 s0, 0
.LBB63_5459:
	s_delay_alu instid0(SALU_CYCLE_1)
	s_and_not1_b32 vcc_lo, exec_lo, s0
	s_cbranch_vccnz .LBB63_5470
; %bb.5460:
	s_cmp_lt_i32 s59, 6
	s_cbranch_scc1 .LBB63_5463
; %bb.5461:
	s_cmp_gt_i32 s59, 6
	s_cbranch_scc0 .LBB63_5464
; %bb.5462:
	s_wait_loadcnt 0x0
	global_load_b64 v[16:17], v[22:23], off
	s_mov_b32 s0, 0
	s_wait_loadcnt 0x0
	v_trunc_f64_e32 v[16:17], v[16:17]
	s_delay_alu instid0(VALU_DEP_1) | instskip(NEXT) | instid1(VALU_DEP_1)
	v_ldexp_f64 v[24:25], v[16:17], 0xffffffe0
	v_floor_f64_e32 v[24:25], v[24:25]
	s_delay_alu instid0(VALU_DEP_1) | instskip(SKIP_1) | instid1(VALU_DEP_2)
	v_fmamk_f64 v[26:27], v[24:25], 0xc1f00000, v[16:17]
	v_cvt_i32_f64_e32 v17, v[24:25]
	v_cvt_u32_f64_e32 v16, v[26:27]
	s_branch .LBB63_5465
.LBB63_5463:
	s_mov_b32 s0, -1
                                        ; implicit-def: $vgpr16_vgpr17
	s_branch .LBB63_5468
.LBB63_5464:
	s_mov_b32 s0, -1
                                        ; implicit-def: $vgpr16_vgpr17
.LBB63_5465:
	s_delay_alu instid0(SALU_CYCLE_1)
	s_and_not1_b32 vcc_lo, exec_lo, s0
	s_cbranch_vccnz .LBB63_5467
; %bb.5466:
	global_load_b32 v1, v[22:23], off
	s_wait_loadcnt 0x0
	v_trunc_f32_e32 v1, v1
	s_delay_alu instid0(VALU_DEP_1) | instskip(SKIP_1) | instid1(VALU_DEP_2)
	v_mul_f32_e64 v3, 0x2f800000, |v1|
	v_ashrrev_i32_e32 v16, 31, v1
	v_floor_f32_e32 v3, v3
	s_delay_alu instid0(VALU_DEP_1) | instskip(SKIP_1) | instid1(VALU_DEP_4)
	v_fma_f32 v5, 0xcf800000, v3, |v1|
	v_cvt_u32_f32_e32 v1, v3
	v_mov_b32_e32 v17, v16
	s_delay_alu instid0(VALU_DEP_3) | instskip(NEXT) | instid1(VALU_DEP_3)
	v_cvt_u32_f32_e32 v3, v5
	v_xor_b32_e32 v25, v1, v16
	s_delay_alu instid0(VALU_DEP_2) | instskip(NEXT) | instid1(VALU_DEP_1)
	v_xor_b32_e32 v24, v3, v16
	v_sub_nc_u64_e32 v[16:17], v[24:25], v[16:17]
.LBB63_5467:
	s_mov_b32 s0, 0
.LBB63_5468:
	s_delay_alu instid0(SALU_CYCLE_1)
	s_and_not1_b32 vcc_lo, exec_lo, s0
	s_cbranch_vccnz .LBB63_5470
; %bb.5469:
	global_load_u16 v1, v[22:23], off
	s_wait_loadcnt 0x0
	v_cvt_f32_f16_e32 v1, v1
	s_delay_alu instid0(VALU_DEP_1) | instskip(NEXT) | instid1(VALU_DEP_1)
	v_cvt_i32_f32_e32 v16, v1
	v_ashrrev_i32_e32 v17, 31, v16
.LBB63_5470:
	s_mov_b32 s0, 0
.LBB63_5471:
	s_delay_alu instid0(SALU_CYCLE_1)
	s_and_not1_b32 vcc_lo, exec_lo, s0
	s_cbranch_vccnz .LBB63_5491
; %bb.5472:
	s_cmp_lt_i32 s59, 2
	s_cbranch_scc1 .LBB63_5476
; %bb.5473:
	s_cmp_lt_i32 s59, 3
	s_cbranch_scc1 .LBB63_5477
; %bb.5474:
	s_cmp_gt_i32 s59, 3
	s_cbranch_scc0 .LBB63_5478
; %bb.5475:
	s_wait_loadcnt 0x0
	global_load_b64 v[16:17], v[22:23], off
	s_mov_b32 s0, 0
	s_branch .LBB63_5479
.LBB63_5476:
	s_mov_b32 s0, -1
                                        ; implicit-def: $vgpr16_vgpr17
	s_branch .LBB63_5485
.LBB63_5477:
	s_mov_b32 s0, -1
                                        ; implicit-def: $vgpr16_vgpr17
	s_branch .LBB63_5482
.LBB63_5478:
	s_mov_b32 s0, -1
                                        ; implicit-def: $vgpr16_vgpr17
.LBB63_5479:
	s_delay_alu instid0(SALU_CYCLE_1)
	s_and_not1_b32 vcc_lo, exec_lo, s0
	s_cbranch_vccnz .LBB63_5481
; %bb.5480:
	s_wait_loadcnt 0x0
	global_load_b32 v16, v[22:23], off
	s_wait_loadcnt 0x0
	v_ashrrev_i32_e32 v17, 31, v16
.LBB63_5481:
	s_mov_b32 s0, 0
.LBB63_5482:
	s_delay_alu instid0(SALU_CYCLE_1)
	s_and_not1_b32 vcc_lo, exec_lo, s0
	s_cbranch_vccnz .LBB63_5484
; %bb.5483:
	global_load_u16 v1, v[22:23], off
	s_wait_loadcnt 0x0
	v_bfe_i32 v16, v1, 0, 16
	s_delay_alu instid0(VALU_DEP_1)
	v_ashrrev_i32_e32 v17, 31, v16
.LBB63_5484:
	s_mov_b32 s0, 0
.LBB63_5485:
	s_delay_alu instid0(SALU_CYCLE_1)
	s_and_not1_b32 vcc_lo, exec_lo, s0
	s_cbranch_vccnz .LBB63_5491
; %bb.5486:
	s_cmp_gt_i32 s59, 0
	s_mov_b32 s0, 0
	s_cbranch_scc0 .LBB63_5488
; %bb.5487:
	global_load_i8 v1, v[22:23], off
	s_wait_loadcnt 0x0
	v_bfe_i32 v16, v1, 0, 16
	s_delay_alu instid0(VALU_DEP_1)
	v_ashrrev_i32_e32 v17, 31, v16
	s_branch .LBB63_5489
.LBB63_5488:
	s_mov_b32 s0, -1
                                        ; implicit-def: $vgpr16_vgpr17
.LBB63_5489:
	s_delay_alu instid0(SALU_CYCLE_1)
	s_and_not1_b32 vcc_lo, exec_lo, s0
	s_cbranch_vccnz .LBB63_5491
; %bb.5490:
	global_load_u8 v1, v[22:23], off
	s_mov_b32 s0, 0
	s_wait_loadcnt 0x1
	v_mov_b32_e32 v17, s0
	s_wait_loadcnt 0x0
	v_and_b32_e32 v16, 0xffff, v1
.LBB63_5491:
	s_mov_b32 s7, -1
.LBB63_5492:
	s_delay_alu instid0(SALU_CYCLE_1)
	s_and_not1_b32 vcc_lo, exec_lo, s7
	s_cbranch_vccnz .LBB63_5756
; %bb.5493:
	v_mov_b32_e32 v15, 0
	s_cmp_lt_i32 s60, 11
	s_wait_xcnt 0x0
	s_delay_alu instid0(VALU_DEP_1)
	v_add_nc_u64_e32 v[22:23], s[14:15], v[14:15]
	s_cbranch_scc1 .LBB63_5500
; %bb.5494:
	s_cmp_gt_i32 s60, 25
	s_mov_b32 s6, 0
	s_cbranch_scc0 .LBB63_5501
; %bb.5495:
	s_cmp_gt_i32 s60, 28
	s_cbranch_scc0 .LBB63_5502
; %bb.5496:
	s_cmp_gt_i32 s60, 43
	s_cbranch_scc0 .LBB63_5503
; %bb.5497:
	s_cmp_gt_i32 s60, 45
	s_cbranch_scc0 .LBB63_5505
; %bb.5498:
	s_cmp_eq_u32 s60, 46
	s_mov_b32 s9, 0
	s_cbranch_scc0 .LBB63_5507
; %bb.5499:
	global_load_b32 v1, v[22:23], off
	s_mov_b32 s0, 0
	s_mov_b32 s7, -1
	s_wait_loadcnt 0x0
	v_lshlrev_b32_e32 v1, 16, v1
	s_delay_alu instid0(VALU_DEP_1) | instskip(NEXT) | instid1(VALU_DEP_1)
	v_trunc_f32_e32 v1, v1
	v_mul_f32_e64 v3, 0x2f800000, |v1|
	v_ashrrev_i32_e32 v14, 31, v1
	s_delay_alu instid0(VALU_DEP_2) | instskip(NEXT) | instid1(VALU_DEP_2)
	v_floor_f32_e32 v3, v3
	v_mov_b32_e32 v15, v14
	s_delay_alu instid0(VALU_DEP_2) | instskip(SKIP_1) | instid1(VALU_DEP_2)
	v_fma_f32 v5, 0xcf800000, v3, |v1|
	v_cvt_u32_f32_e32 v1, v3
	v_cvt_u32_f32_e32 v3, v5
	s_delay_alu instid0(VALU_DEP_2) | instskip(NEXT) | instid1(VALU_DEP_2)
	v_xor_b32_e32 v25, v1, v14
	v_xor_b32_e32 v24, v3, v14
	s_delay_alu instid0(VALU_DEP_1)
	v_sub_nc_u64_e32 v[14:15], v[24:25], v[14:15]
	s_branch .LBB63_5509
.LBB63_5500:
	s_mov_b32 s0, -1
	s_mov_b32 s7, 0
                                        ; implicit-def: $vgpr14_vgpr15
	s_branch .LBB63_5571
.LBB63_5501:
	s_mov_b32 s9, -1
	s_mov_b32 s7, 0
	s_mov_b32 s0, 0
                                        ; implicit-def: $vgpr14_vgpr15
	s_branch .LBB63_5536
.LBB63_5502:
	s_mov_b32 s9, -1
	s_mov_b32 s7, 0
	s_mov_b32 s0, 0
                                        ; implicit-def: $vgpr14_vgpr15
	s_branch .LBB63_5519
.LBB63_5503:
	s_mov_b32 s9, -1
	s_mov_b32 s7, 0
	s_mov_b32 s0, 0
                                        ; implicit-def: $vgpr14_vgpr15
	s_branch .LBB63_5514
.LBB63_5504:
	s_or_b32 s23, s23, exec_lo
	s_trap 2
	s_cbranch_execz .LBB63_5441
	s_branch .LBB63_5442
.LBB63_5505:
	s_mov_b32 s9, -1
	s_mov_b32 s7, 0
	s_mov_b32 s0, 0
	s_branch .LBB63_5508
.LBB63_5506:
	s_or_b32 s65, s63, exec_lo
	s_trap 2
                                        ; implicit-def: $vgpr26_vgpr27
                                        ; implicit-def: $vgpr24_vgpr25
                                        ; implicit-def: $vgpr32_vgpr33
                                        ; implicit-def: $vgpr6
                                        ; implicit-def: $vgpr4
                                        ; implicit-def: $vgpr2
                                        ; implicit-def: $vgpr14
                                        ; implicit-def: $vgpr10
                                        ; implicit-def: $vgpr18
                                        ; implicit-def: $vgpr16
                                        ; implicit-def: $vgpr0
                                        ; implicit-def: $vgpr20
                                        ; implicit-def: $vgpr8_vgpr9
                                        ; implicit-def: $vgpr12_vgpr13
	s_branch .LBB63_5087
.LBB63_5507:
	s_mov_b32 s0, -1
	s_mov_b32 s7, 0
.LBB63_5508:
                                        ; implicit-def: $vgpr14_vgpr15
.LBB63_5509:
	s_and_b32 vcc_lo, exec_lo, s9
	s_cbranch_vccz .LBB63_5513
; %bb.5510:
	s_cmp_eq_u32 s60, 44
	s_cbranch_scc0 .LBB63_5512
; %bb.5511:
	global_load_u8 v1, v[22:23], off
	s_mov_b32 s0, 0
	s_mov_b32 s7, -1
	s_wait_loadcnt 0x0
	v_lshlrev_b32_e32 v3, 23, v1
	v_cmp_ne_u32_e32 vcc_lo, 0, v1
	s_delay_alu instid0(VALU_DEP_2) | instskip(NEXT) | instid1(VALU_DEP_1)
	v_trunc_f32_e32 v3, v3
	v_mul_f32_e64 v5, 0x2f800000, |v3|
	v_ashrrev_i32_e32 v14, 31, v3
	s_delay_alu instid0(VALU_DEP_2) | instskip(NEXT) | instid1(VALU_DEP_2)
	v_floor_f32_e32 v5, v5
	v_mov_b32_e32 v15, v14
	s_delay_alu instid0(VALU_DEP_2) | instskip(SKIP_1) | instid1(VALU_DEP_2)
	v_fma_f32 v7, 0xcf800000, v5, |v3|
	v_cvt_u32_f32_e32 v3, v5
	v_cvt_u32_f32_e32 v5, v7
	s_delay_alu instid0(VALU_DEP_2) | instskip(NEXT) | instid1(VALU_DEP_2)
	v_xor_b32_e32 v25, v3, v14
	v_xor_b32_e32 v24, v5, v14
	s_delay_alu instid0(VALU_DEP_1) | instskip(NEXT) | instid1(VALU_DEP_1)
	v_sub_nc_u64_e32 v[14:15], v[24:25], v[14:15]
	v_dual_cndmask_b32 v15, 0, v15 :: v_dual_cndmask_b32 v14, 0, v14
	s_branch .LBB63_5513
.LBB63_5512:
	s_mov_b32 s0, -1
                                        ; implicit-def: $vgpr14_vgpr15
.LBB63_5513:
	s_mov_b32 s9, 0
.LBB63_5514:
	s_delay_alu instid0(SALU_CYCLE_1)
	s_and_b32 vcc_lo, exec_lo, s9
	s_cbranch_vccz .LBB63_5518
; %bb.5515:
	s_cmp_eq_u32 s60, 29
	s_cbranch_scc0 .LBB63_5517
; %bb.5516:
	global_load_b64 v[14:15], v[22:23], off
	s_mov_b32 s0, 0
	s_mov_b32 s7, -1
	s_branch .LBB63_5518
.LBB63_5517:
	s_mov_b32 s0, -1
                                        ; implicit-def: $vgpr14_vgpr15
.LBB63_5518:
	s_mov_b32 s9, 0
.LBB63_5519:
	s_delay_alu instid0(SALU_CYCLE_1)
	s_and_b32 vcc_lo, exec_lo, s9
	s_cbranch_vccz .LBB63_5535
; %bb.5520:
	s_cmp_lt_i32 s60, 27
	s_cbranch_scc1 .LBB63_5523
; %bb.5521:
	s_cmp_gt_i32 s60, 27
	s_cbranch_scc0 .LBB63_5524
; %bb.5522:
	s_wait_loadcnt 0x0
	global_load_b32 v14, v[22:23], off
	v_mov_b32_e32 v15, 0
	s_mov_b32 s7, 0
	s_branch .LBB63_5525
.LBB63_5523:
	s_mov_b32 s7, -1
                                        ; implicit-def: $vgpr14_vgpr15
	s_branch .LBB63_5528
.LBB63_5524:
	s_mov_b32 s7, -1
                                        ; implicit-def: $vgpr14_vgpr15
.LBB63_5525:
	s_delay_alu instid0(SALU_CYCLE_1)
	s_and_not1_b32 vcc_lo, exec_lo, s7
	s_cbranch_vccnz .LBB63_5527
; %bb.5526:
	global_load_u16 v1, v[22:23], off
	s_mov_b32 s7, 0
	s_wait_loadcnt 0x1
	v_mov_b32_e32 v15, s7
	s_wait_loadcnt 0x0
	v_and_b32_e32 v14, 0xffff, v1
.LBB63_5527:
	s_mov_b32 s7, 0
.LBB63_5528:
	s_delay_alu instid0(SALU_CYCLE_1)
	s_and_not1_b32 vcc_lo, exec_lo, s7
	s_cbranch_vccnz .LBB63_5534
; %bb.5529:
	global_load_u8 v1, v[22:23], off
	s_mov_b32 s9, 0
	s_mov_b32 s7, exec_lo
	s_wait_loadcnt 0x0
	v_cmpx_lt_i16_e32 0x7f, v1
	s_xor_b32 s7, exec_lo, s7
	s_cbranch_execz .LBB63_5546
; %bb.5530:
	v_cmp_ne_u16_e32 vcc_lo, 0x80, v1
	s_and_b32 s9, vcc_lo, exec_lo
	s_and_not1_saveexec_b32 s7, s7
	s_cbranch_execnz .LBB63_5547
.LBB63_5531:
	s_or_b32 exec_lo, exec_lo, s7
	v_mov_b64_e32 v[14:15], 0
	s_and_saveexec_b32 s7, s9
	s_cbranch_execz .LBB63_5533
.LBB63_5532:
	v_and_b32_e32 v3, 0xffff, v1
	s_delay_alu instid0(VALU_DEP_1) | instskip(SKIP_1) | instid1(VALU_DEP_2)
	v_dual_lshlrev_b32 v1, 24, v1 :: v_dual_bitop2_b32 v5, 7, v3 bitop3:0x40
	v_bfe_u32 v14, v3, 3, 4
	v_and_b32_e32 v1, 0x80000000, v1
	s_delay_alu instid0(VALU_DEP_3) | instskip(NEXT) | instid1(VALU_DEP_3)
	v_clz_i32_u32_e32 v7, v5
	v_cmp_eq_u32_e32 vcc_lo, 0, v14
	s_delay_alu instid0(VALU_DEP_2) | instskip(NEXT) | instid1(VALU_DEP_1)
	v_min_u32_e32 v7, 32, v7
	v_subrev_nc_u32_e32 v11, 28, v7
	v_sub_nc_u32_e32 v7, 29, v7
	s_delay_alu instid0(VALU_DEP_2) | instskip(NEXT) | instid1(VALU_DEP_2)
	v_lshlrev_b32_e32 v3, v11, v3
	v_cndmask_b32_e32 v7, v14, v7, vcc_lo
	s_delay_alu instid0(VALU_DEP_2) | instskip(NEXT) | instid1(VALU_DEP_1)
	v_and_b32_e32 v3, 7, v3
	v_cndmask_b32_e32 v3, v5, v3, vcc_lo
	s_delay_alu instid0(VALU_DEP_3) | instskip(NEXT) | instid1(VALU_DEP_2)
	v_lshl_add_u32 v5, v7, 23, 0x3b800000
	v_lshlrev_b32_e32 v3, 20, v3
	s_delay_alu instid0(VALU_DEP_1) | instskip(NEXT) | instid1(VALU_DEP_1)
	v_or3_b32 v1, v1, v5, v3
	v_trunc_f32_e32 v1, v1
	s_delay_alu instid0(VALU_DEP_1) | instskip(SKIP_1) | instid1(VALU_DEP_2)
	v_mul_f32_e64 v3, 0x2f800000, |v1|
	v_ashrrev_i32_e32 v14, 31, v1
	v_floor_f32_e32 v3, v3
	s_delay_alu instid0(VALU_DEP_2) | instskip(NEXT) | instid1(VALU_DEP_2)
	v_mov_b32_e32 v15, v14
	v_fma_f32 v5, 0xcf800000, v3, |v1|
	v_cvt_u32_f32_e32 v1, v3
	s_delay_alu instid0(VALU_DEP_2) | instskip(NEXT) | instid1(VALU_DEP_2)
	v_cvt_u32_f32_e32 v3, v5
	v_xor_b32_e32 v25, v1, v14
	s_delay_alu instid0(VALU_DEP_2) | instskip(NEXT) | instid1(VALU_DEP_1)
	v_xor_b32_e32 v24, v3, v14
	v_sub_nc_u64_e32 v[14:15], v[24:25], v[14:15]
.LBB63_5533:
	s_or_b32 exec_lo, exec_lo, s7
.LBB63_5534:
	s_mov_b32 s7, -1
.LBB63_5535:
	s_mov_b32 s9, 0
.LBB63_5536:
	s_delay_alu instid0(SALU_CYCLE_1)
	s_and_b32 vcc_lo, exec_lo, s9
	s_cbranch_vccz .LBB63_5567
; %bb.5537:
	s_cmp_gt_i32 s60, 22
	s_cbranch_scc0 .LBB63_5545
; %bb.5538:
	s_cmp_lt_i32 s60, 24
	s_cbranch_scc1 .LBB63_5548
; %bb.5539:
	s_cmp_gt_i32 s60, 24
	s_cbranch_scc0 .LBB63_5549
; %bb.5540:
	global_load_u8 v1, v[22:23], off
	s_mov_b32 s7, 0
	s_mov_b32 s6, exec_lo
	s_wait_loadcnt 0x0
	v_cmpx_lt_i16_e32 0x7f, v1
	s_xor_b32 s6, exec_lo, s6
	s_cbranch_execz .LBB63_5561
; %bb.5541:
	v_cmp_ne_u16_e32 vcc_lo, 0x80, v1
	s_and_b32 s7, vcc_lo, exec_lo
	s_and_not1_saveexec_b32 s6, s6
	s_cbranch_execnz .LBB63_5562
.LBB63_5542:
	s_or_b32 exec_lo, exec_lo, s6
	v_mov_b64_e32 v[14:15], 0
	s_and_saveexec_b32 s6, s7
	s_cbranch_execz .LBB63_5544
.LBB63_5543:
	v_and_b32_e32 v3, 0xffff, v1
	s_delay_alu instid0(VALU_DEP_1) | instskip(SKIP_1) | instid1(VALU_DEP_2)
	v_dual_lshlrev_b32 v1, 24, v1 :: v_dual_bitop2_b32 v5, 3, v3 bitop3:0x40
	v_bfe_u32 v14, v3, 2, 5
	v_and_b32_e32 v1, 0x80000000, v1
	s_delay_alu instid0(VALU_DEP_3) | instskip(NEXT) | instid1(VALU_DEP_3)
	v_clz_i32_u32_e32 v7, v5
	v_cmp_eq_u32_e32 vcc_lo, 0, v14
	s_delay_alu instid0(VALU_DEP_2) | instskip(NEXT) | instid1(VALU_DEP_1)
	v_min_u32_e32 v7, 32, v7
	v_subrev_nc_u32_e32 v11, 29, v7
	v_sub_nc_u32_e32 v7, 30, v7
	s_delay_alu instid0(VALU_DEP_2) | instskip(NEXT) | instid1(VALU_DEP_2)
	v_lshlrev_b32_e32 v3, v11, v3
	v_cndmask_b32_e32 v7, v14, v7, vcc_lo
	s_delay_alu instid0(VALU_DEP_2) | instskip(NEXT) | instid1(VALU_DEP_1)
	v_and_b32_e32 v3, 3, v3
	v_cndmask_b32_e32 v3, v5, v3, vcc_lo
	s_delay_alu instid0(VALU_DEP_3) | instskip(NEXT) | instid1(VALU_DEP_2)
	v_lshl_add_u32 v5, v7, 23, 0x37800000
	v_lshlrev_b32_e32 v3, 21, v3
	s_delay_alu instid0(VALU_DEP_1) | instskip(NEXT) | instid1(VALU_DEP_1)
	v_or3_b32 v1, v1, v5, v3
	v_trunc_f32_e32 v1, v1
	s_delay_alu instid0(VALU_DEP_1) | instskip(SKIP_1) | instid1(VALU_DEP_2)
	v_mul_f32_e64 v3, 0x2f800000, |v1|
	v_ashrrev_i32_e32 v14, 31, v1
	v_floor_f32_e32 v3, v3
	s_delay_alu instid0(VALU_DEP_2) | instskip(NEXT) | instid1(VALU_DEP_2)
	v_mov_b32_e32 v15, v14
	v_fma_f32 v5, 0xcf800000, v3, |v1|
	v_cvt_u32_f32_e32 v1, v3
	s_delay_alu instid0(VALU_DEP_2) | instskip(NEXT) | instid1(VALU_DEP_2)
	v_cvt_u32_f32_e32 v3, v5
	v_xor_b32_e32 v25, v1, v14
	s_delay_alu instid0(VALU_DEP_2) | instskip(NEXT) | instid1(VALU_DEP_1)
	v_xor_b32_e32 v24, v3, v14
	v_sub_nc_u64_e32 v[14:15], v[24:25], v[14:15]
.LBB63_5544:
	s_or_b32 exec_lo, exec_lo, s6
	s_mov_b32 s6, 0
	s_branch .LBB63_5550
.LBB63_5545:
	s_mov_b32 s6, -1
                                        ; implicit-def: $vgpr14_vgpr15
	s_branch .LBB63_5556
.LBB63_5546:
	s_and_not1_saveexec_b32 s7, s7
	s_cbranch_execz .LBB63_5531
.LBB63_5547:
	v_cmp_ne_u16_e32 vcc_lo, 0, v1
	s_and_not1_b32 s9, s9, exec_lo
	s_and_b32 s10, vcc_lo, exec_lo
	s_delay_alu instid0(SALU_CYCLE_1)
	s_or_b32 s9, s9, s10
	s_or_b32 exec_lo, exec_lo, s7
	v_mov_b64_e32 v[14:15], 0
	s_and_saveexec_b32 s7, s9
	s_cbranch_execnz .LBB63_5532
	s_branch .LBB63_5533
.LBB63_5548:
	s_mov_b32 s6, -1
                                        ; implicit-def: $vgpr14_vgpr15
	s_branch .LBB63_5553
.LBB63_5549:
	s_mov_b32 s6, -1
                                        ; implicit-def: $vgpr14_vgpr15
.LBB63_5550:
	s_delay_alu instid0(SALU_CYCLE_1)
	s_and_b32 vcc_lo, exec_lo, s6
	s_cbranch_vccz .LBB63_5552
; %bb.5551:
	global_load_u8 v1, v[22:23], off
	s_wait_loadcnt 0x0
	v_lshlrev_b32_e32 v1, 24, v1
	s_delay_alu instid0(VALU_DEP_1) | instskip(NEXT) | instid1(VALU_DEP_1)
	v_and_b32_e32 v3, 0x7f000000, v1
	v_clz_i32_u32_e32 v5, v3
	v_add_nc_u32_e32 v11, 0x1000000, v3
	v_cmp_ne_u32_e32 vcc_lo, 0, v3
	s_delay_alu instid0(VALU_DEP_3) | instskip(NEXT) | instid1(VALU_DEP_1)
	v_min_u32_e32 v5, 32, v5
	v_sub_nc_u32_e64 v5, v5, 4 clamp
	s_delay_alu instid0(VALU_DEP_1) | instskip(NEXT) | instid1(VALU_DEP_1)
	v_dual_lshlrev_b32 v7, v5, v3 :: v_dual_lshlrev_b32 v5, 23, v5
	v_lshrrev_b32_e32 v7, 4, v7
	s_delay_alu instid0(VALU_DEP_1) | instskip(NEXT) | instid1(VALU_DEP_1)
	v_dual_sub_nc_u32 v5, v7, v5 :: v_dual_ashrrev_i32 v7, 8, v11
	v_add_nc_u32_e32 v5, 0x3c000000, v5
	s_delay_alu instid0(VALU_DEP_1) | instskip(NEXT) | instid1(VALU_DEP_1)
	v_and_or_b32 v5, 0x7f800000, v7, v5
	v_cndmask_b32_e32 v3, 0, v5, vcc_lo
	s_delay_alu instid0(VALU_DEP_1) | instskip(NEXT) | instid1(VALU_DEP_1)
	v_and_or_b32 v1, 0x80000000, v1, v3
	v_trunc_f32_e32 v1, v1
	s_delay_alu instid0(VALU_DEP_1) | instskip(SKIP_1) | instid1(VALU_DEP_2)
	v_mul_f32_e64 v3, 0x2f800000, |v1|
	v_ashrrev_i32_e32 v14, 31, v1
	v_floor_f32_e32 v3, v3
	s_delay_alu instid0(VALU_DEP_2) | instskip(NEXT) | instid1(VALU_DEP_2)
	v_mov_b32_e32 v15, v14
	v_fma_f32 v5, 0xcf800000, v3, |v1|
	v_cvt_u32_f32_e32 v1, v3
	s_delay_alu instid0(VALU_DEP_2) | instskip(NEXT) | instid1(VALU_DEP_2)
	v_cvt_u32_f32_e32 v3, v5
	v_xor_b32_e32 v25, v1, v14
	s_delay_alu instid0(VALU_DEP_2) | instskip(NEXT) | instid1(VALU_DEP_1)
	v_xor_b32_e32 v24, v3, v14
	v_sub_nc_u64_e32 v[14:15], v[24:25], v[14:15]
.LBB63_5552:
	s_mov_b32 s6, 0
.LBB63_5553:
	s_delay_alu instid0(SALU_CYCLE_1)
	s_and_not1_b32 vcc_lo, exec_lo, s6
	s_cbranch_vccnz .LBB63_5555
; %bb.5554:
	global_load_u8 v1, v[22:23], off
	s_wait_loadcnt 0x0
	v_lshlrev_b32_e32 v3, 25, v1
	v_lshlrev_b16 v1, 8, v1
	s_delay_alu instid0(VALU_DEP_1) | instskip(SKIP_1) | instid1(VALU_DEP_2)
	v_and_or_b32 v7, 0x7f00, v1, 0.5
	v_bfe_i32 v1, v1, 0, 16
	v_add_f32_e32 v7, -0.5, v7
	v_lshrrev_b32_e32 v5, 4, v3
	v_cmp_gt_u32_e32 vcc_lo, 0x8000000, v3
	s_delay_alu instid0(VALU_DEP_2) | instskip(NEXT) | instid1(VALU_DEP_1)
	v_or_b32_e32 v5, 0x70000000, v5
	v_mul_f32_e32 v5, 0x7800000, v5
	s_delay_alu instid0(VALU_DEP_1) | instskip(NEXT) | instid1(VALU_DEP_1)
	v_cndmask_b32_e32 v3, v5, v7, vcc_lo
	v_and_or_b32 v1, 0x80000000, v1, v3
	s_delay_alu instid0(VALU_DEP_1) | instskip(NEXT) | instid1(VALU_DEP_1)
	v_trunc_f32_e32 v1, v1
	v_mul_f32_e64 v3, 0x2f800000, |v1|
	v_ashrrev_i32_e32 v14, 31, v1
	s_delay_alu instid0(VALU_DEP_2) | instskip(NEXT) | instid1(VALU_DEP_2)
	v_floor_f32_e32 v3, v3
	v_mov_b32_e32 v15, v14
	s_delay_alu instid0(VALU_DEP_2) | instskip(SKIP_1) | instid1(VALU_DEP_2)
	v_fma_f32 v5, 0xcf800000, v3, |v1|
	v_cvt_u32_f32_e32 v1, v3
	v_cvt_u32_f32_e32 v3, v5
	s_delay_alu instid0(VALU_DEP_2) | instskip(NEXT) | instid1(VALU_DEP_2)
	v_xor_b32_e32 v25, v1, v14
	v_xor_b32_e32 v24, v3, v14
	s_delay_alu instid0(VALU_DEP_1)
	v_sub_nc_u64_e32 v[14:15], v[24:25], v[14:15]
.LBB63_5555:
	s_mov_b32 s6, 0
	s_mov_b32 s7, -1
.LBB63_5556:
	s_and_not1_b32 vcc_lo, exec_lo, s6
	s_mov_b32 s6, 0
	s_cbranch_vccnz .LBB63_5567
; %bb.5557:
	s_cmp_gt_i32 s60, 14
	s_cbranch_scc0 .LBB63_5560
; %bb.5558:
	s_cmp_eq_u32 s60, 15
	s_cbranch_scc0 .LBB63_5563
; %bb.5559:
	global_load_u16 v1, v[22:23], off
	s_mov_b32 s0, 0
	s_mov_b32 s7, -1
	s_wait_loadcnt 0x0
	v_lshlrev_b32_e32 v1, 16, v1
	s_delay_alu instid0(VALU_DEP_1) | instskip(NEXT) | instid1(VALU_DEP_1)
	v_trunc_f32_e32 v1, v1
	v_mul_f32_e64 v3, 0x2f800000, |v1|
	v_ashrrev_i32_e32 v14, 31, v1
	s_delay_alu instid0(VALU_DEP_2) | instskip(NEXT) | instid1(VALU_DEP_2)
	v_floor_f32_e32 v3, v3
	v_mov_b32_e32 v15, v14
	s_delay_alu instid0(VALU_DEP_2) | instskip(SKIP_1) | instid1(VALU_DEP_2)
	v_fma_f32 v5, 0xcf800000, v3, |v1|
	v_cvt_u32_f32_e32 v1, v3
	v_cvt_u32_f32_e32 v3, v5
	s_delay_alu instid0(VALU_DEP_2) | instskip(NEXT) | instid1(VALU_DEP_2)
	v_xor_b32_e32 v25, v1, v14
	v_xor_b32_e32 v24, v3, v14
	s_delay_alu instid0(VALU_DEP_1)
	v_sub_nc_u64_e32 v[14:15], v[24:25], v[14:15]
	s_branch .LBB63_5565
.LBB63_5560:
	s_mov_b32 s6, -1
	s_branch .LBB63_5564
.LBB63_5561:
	s_and_not1_saveexec_b32 s6, s6
	s_cbranch_execz .LBB63_5542
.LBB63_5562:
	v_cmp_ne_u16_e32 vcc_lo, 0, v1
	s_and_not1_b32 s7, s7, exec_lo
	s_and_b32 s9, vcc_lo, exec_lo
	s_delay_alu instid0(SALU_CYCLE_1)
	s_or_b32 s7, s7, s9
	s_or_b32 exec_lo, exec_lo, s6
	v_mov_b64_e32 v[14:15], 0
	s_and_saveexec_b32 s6, s7
	s_cbranch_execnz .LBB63_5543
	s_branch .LBB63_5544
.LBB63_5563:
	s_mov_b32 s0, -1
.LBB63_5564:
                                        ; implicit-def: $vgpr14_vgpr15
.LBB63_5565:
	s_and_b32 vcc_lo, exec_lo, s6
	s_mov_b32 s6, 0
	s_cbranch_vccz .LBB63_5567
; %bb.5566:
	s_cmp_lg_u32 s60, 11
	s_mov_b32 s6, -1
	s_cselect_b32 s0, -1, 0
.LBB63_5567:
	s_delay_alu instid0(SALU_CYCLE_1)
	s_and_b32 vcc_lo, exec_lo, s0
	s_cbranch_vccnz .LBB63_5632
; %bb.5568:
	s_and_not1_b32 vcc_lo, exec_lo, s6
	s_cbranch_vccnz .LBB63_5570
.LBB63_5569:
	global_load_u8 v1, v[22:23], off
	s_mov_b32 s0, 0
	s_mov_b32 s7, -1
	s_wait_loadcnt 0x1
	v_mov_b32_e32 v15, s0
	s_wait_loadcnt 0x0
	v_cmp_ne_u16_e32 vcc_lo, 0, v1
	v_cndmask_b32_e64 v14, 0, 1, vcc_lo
.LBB63_5570:
	s_mov_b32 s0, 0
.LBB63_5571:
	s_delay_alu instid0(SALU_CYCLE_1)
	s_and_b32 vcc_lo, exec_lo, s0
	s_cbranch_vccz .LBB63_5620
; %bb.5572:
	s_cmp_lt_i32 s60, 5
	s_cbranch_scc1 .LBB63_5577
; %bb.5573:
	s_cmp_lt_i32 s60, 8
	s_cbranch_scc1 .LBB63_5578
	;; [unrolled: 3-line block ×3, first 2 shown]
; %bb.5575:
	s_cmp_gt_i32 s60, 9
	s_cbranch_scc0 .LBB63_5580
; %bb.5576:
	s_wait_loadcnt 0x0
	global_load_b64 v[14:15], v[22:23], off
	s_mov_b32 s0, 0
	s_wait_loadcnt 0x0
	v_trunc_f64_e32 v[14:15], v[14:15]
	s_delay_alu instid0(VALU_DEP_1) | instskip(NEXT) | instid1(VALU_DEP_1)
	v_ldexp_f64 v[24:25], v[14:15], 0xffffffe0
	v_floor_f64_e32 v[24:25], v[24:25]
	s_delay_alu instid0(VALU_DEP_1) | instskip(SKIP_1) | instid1(VALU_DEP_2)
	v_fmamk_f64 v[26:27], v[24:25], 0xc1f00000, v[14:15]
	v_cvt_i32_f64_e32 v15, v[24:25]
	v_cvt_u32_f64_e32 v14, v[26:27]
	s_branch .LBB63_5581
.LBB63_5577:
	s_mov_b32 s0, -1
                                        ; implicit-def: $vgpr14_vgpr15
	s_branch .LBB63_5599
.LBB63_5578:
	s_mov_b32 s0, -1
                                        ; implicit-def: $vgpr14_vgpr15
	s_branch .LBB63_5587
.LBB63_5579:
	s_mov_b32 s0, -1
                                        ; implicit-def: $vgpr14_vgpr15
	s_branch .LBB63_5584
.LBB63_5580:
	s_mov_b32 s0, -1
                                        ; implicit-def: $vgpr14_vgpr15
.LBB63_5581:
	s_delay_alu instid0(SALU_CYCLE_1)
	s_and_not1_b32 vcc_lo, exec_lo, s0
	s_cbranch_vccnz .LBB63_5583
; %bb.5582:
	global_load_b32 v1, v[22:23], off
	s_wait_loadcnt 0x0
	v_trunc_f32_e32 v1, v1
	s_delay_alu instid0(VALU_DEP_1) | instskip(SKIP_1) | instid1(VALU_DEP_2)
	v_mul_f32_e64 v3, 0x2f800000, |v1|
	v_ashrrev_i32_e32 v14, 31, v1
	v_floor_f32_e32 v3, v3
	s_delay_alu instid0(VALU_DEP_1) | instskip(SKIP_1) | instid1(VALU_DEP_4)
	v_fma_f32 v5, 0xcf800000, v3, |v1|
	v_cvt_u32_f32_e32 v1, v3
	v_mov_b32_e32 v15, v14
	s_delay_alu instid0(VALU_DEP_3) | instskip(NEXT) | instid1(VALU_DEP_3)
	v_cvt_u32_f32_e32 v3, v5
	v_xor_b32_e32 v25, v1, v14
	s_delay_alu instid0(VALU_DEP_2) | instskip(NEXT) | instid1(VALU_DEP_1)
	v_xor_b32_e32 v24, v3, v14
	v_sub_nc_u64_e32 v[14:15], v[24:25], v[14:15]
.LBB63_5583:
	s_mov_b32 s0, 0
.LBB63_5584:
	s_delay_alu instid0(SALU_CYCLE_1)
	s_and_not1_b32 vcc_lo, exec_lo, s0
	s_cbranch_vccnz .LBB63_5586
; %bb.5585:
	global_load_b32 v1, v[22:23], off
	s_wait_loadcnt 0x0
	v_cvt_f32_f16_e32 v1, v1
	s_delay_alu instid0(VALU_DEP_1) | instskip(NEXT) | instid1(VALU_DEP_1)
	v_cvt_i32_f32_e32 v14, v1
	v_ashrrev_i32_e32 v15, 31, v14
.LBB63_5586:
	s_mov_b32 s0, 0
.LBB63_5587:
	s_delay_alu instid0(SALU_CYCLE_1)
	s_and_not1_b32 vcc_lo, exec_lo, s0
	s_cbranch_vccnz .LBB63_5598
; %bb.5588:
	s_cmp_lt_i32 s60, 6
	s_cbranch_scc1 .LBB63_5591
; %bb.5589:
	s_cmp_gt_i32 s60, 6
	s_cbranch_scc0 .LBB63_5592
; %bb.5590:
	s_wait_loadcnt 0x0
	global_load_b64 v[14:15], v[22:23], off
	s_mov_b32 s0, 0
	s_wait_loadcnt 0x0
	v_trunc_f64_e32 v[14:15], v[14:15]
	s_delay_alu instid0(VALU_DEP_1) | instskip(NEXT) | instid1(VALU_DEP_1)
	v_ldexp_f64 v[24:25], v[14:15], 0xffffffe0
	v_floor_f64_e32 v[24:25], v[24:25]
	s_delay_alu instid0(VALU_DEP_1) | instskip(SKIP_1) | instid1(VALU_DEP_2)
	v_fmamk_f64 v[26:27], v[24:25], 0xc1f00000, v[14:15]
	v_cvt_i32_f64_e32 v15, v[24:25]
	v_cvt_u32_f64_e32 v14, v[26:27]
	s_branch .LBB63_5593
.LBB63_5591:
	s_mov_b32 s0, -1
                                        ; implicit-def: $vgpr14_vgpr15
	s_branch .LBB63_5596
.LBB63_5592:
	s_mov_b32 s0, -1
                                        ; implicit-def: $vgpr14_vgpr15
.LBB63_5593:
	s_delay_alu instid0(SALU_CYCLE_1)
	s_and_not1_b32 vcc_lo, exec_lo, s0
	s_cbranch_vccnz .LBB63_5595
; %bb.5594:
	global_load_b32 v1, v[22:23], off
	s_wait_loadcnt 0x0
	v_trunc_f32_e32 v1, v1
	s_delay_alu instid0(VALU_DEP_1) | instskip(SKIP_1) | instid1(VALU_DEP_2)
	v_mul_f32_e64 v3, 0x2f800000, |v1|
	v_ashrrev_i32_e32 v14, 31, v1
	v_floor_f32_e32 v3, v3
	s_delay_alu instid0(VALU_DEP_1) | instskip(SKIP_1) | instid1(VALU_DEP_4)
	v_fma_f32 v5, 0xcf800000, v3, |v1|
	v_cvt_u32_f32_e32 v1, v3
	v_mov_b32_e32 v15, v14
	s_delay_alu instid0(VALU_DEP_3) | instskip(NEXT) | instid1(VALU_DEP_3)
	v_cvt_u32_f32_e32 v3, v5
	v_xor_b32_e32 v25, v1, v14
	s_delay_alu instid0(VALU_DEP_2) | instskip(NEXT) | instid1(VALU_DEP_1)
	v_xor_b32_e32 v24, v3, v14
	v_sub_nc_u64_e32 v[14:15], v[24:25], v[14:15]
.LBB63_5595:
	s_mov_b32 s0, 0
.LBB63_5596:
	s_delay_alu instid0(SALU_CYCLE_1)
	s_and_not1_b32 vcc_lo, exec_lo, s0
	s_cbranch_vccnz .LBB63_5598
; %bb.5597:
	global_load_u16 v1, v[22:23], off
	s_wait_loadcnt 0x0
	v_cvt_f32_f16_e32 v1, v1
	s_delay_alu instid0(VALU_DEP_1) | instskip(NEXT) | instid1(VALU_DEP_1)
	v_cvt_i32_f32_e32 v14, v1
	v_ashrrev_i32_e32 v15, 31, v14
.LBB63_5598:
	s_mov_b32 s0, 0
.LBB63_5599:
	s_delay_alu instid0(SALU_CYCLE_1)
	s_and_not1_b32 vcc_lo, exec_lo, s0
	s_cbranch_vccnz .LBB63_5619
; %bb.5600:
	s_cmp_lt_i32 s60, 2
	s_cbranch_scc1 .LBB63_5604
; %bb.5601:
	s_cmp_lt_i32 s60, 3
	s_cbranch_scc1 .LBB63_5605
; %bb.5602:
	s_cmp_gt_i32 s60, 3
	s_cbranch_scc0 .LBB63_5606
; %bb.5603:
	s_wait_loadcnt 0x0
	global_load_b64 v[14:15], v[22:23], off
	s_mov_b32 s0, 0
	s_branch .LBB63_5607
.LBB63_5604:
	s_mov_b32 s0, -1
                                        ; implicit-def: $vgpr14_vgpr15
	s_branch .LBB63_5613
.LBB63_5605:
	s_mov_b32 s0, -1
                                        ; implicit-def: $vgpr14_vgpr15
	s_branch .LBB63_5610
.LBB63_5606:
	s_mov_b32 s0, -1
                                        ; implicit-def: $vgpr14_vgpr15
.LBB63_5607:
	s_delay_alu instid0(SALU_CYCLE_1)
	s_and_not1_b32 vcc_lo, exec_lo, s0
	s_cbranch_vccnz .LBB63_5609
; %bb.5608:
	s_wait_loadcnt 0x0
	global_load_b32 v14, v[22:23], off
	s_wait_loadcnt 0x0
	v_ashrrev_i32_e32 v15, 31, v14
.LBB63_5609:
	s_mov_b32 s0, 0
.LBB63_5610:
	s_delay_alu instid0(SALU_CYCLE_1)
	s_and_not1_b32 vcc_lo, exec_lo, s0
	s_cbranch_vccnz .LBB63_5612
; %bb.5611:
	global_load_u16 v1, v[22:23], off
	s_wait_loadcnt 0x0
	v_bfe_i32 v14, v1, 0, 16
	s_delay_alu instid0(VALU_DEP_1)
	v_ashrrev_i32_e32 v15, 31, v14
.LBB63_5612:
	s_mov_b32 s0, 0
.LBB63_5613:
	s_delay_alu instid0(SALU_CYCLE_1)
	s_and_not1_b32 vcc_lo, exec_lo, s0
	s_cbranch_vccnz .LBB63_5619
; %bb.5614:
	s_cmp_gt_i32 s60, 0
	s_mov_b32 s0, 0
	s_cbranch_scc0 .LBB63_5616
; %bb.5615:
	global_load_i8 v1, v[22:23], off
	s_wait_loadcnt 0x0
	v_bfe_i32 v14, v1, 0, 16
	s_delay_alu instid0(VALU_DEP_1)
	v_ashrrev_i32_e32 v15, 31, v14
	s_branch .LBB63_5617
.LBB63_5616:
	s_mov_b32 s0, -1
                                        ; implicit-def: $vgpr14_vgpr15
.LBB63_5617:
	s_delay_alu instid0(SALU_CYCLE_1)
	s_and_not1_b32 vcc_lo, exec_lo, s0
	s_cbranch_vccnz .LBB63_5619
; %bb.5618:
	global_load_u8 v1, v[22:23], off
	s_mov_b32 s0, 0
	s_wait_loadcnt 0x1
	v_mov_b32_e32 v15, s0
	s_wait_loadcnt 0x0
	v_and_b32_e32 v14, 0xffff, v1
.LBB63_5619:
	s_mov_b32 s7, -1
.LBB63_5620:
	s_delay_alu instid0(SALU_CYCLE_1)
	s_and_not1_b32 vcc_lo, exec_lo, s7
	s_cbranch_vccnz .LBB63_5756
; %bb.5621:
	v_mov_b32_e32 v11, 0
	s_cmp_lt_i32 s61, 11
	s_delay_alu instid0(VALU_DEP_1)
	v_add_nc_u64_e32 v[10:11], s[16:17], v[10:11]
	s_cbranch_scc1 .LBB63_5628
; %bb.5622:
	s_cmp_gt_i32 s61, 25
	s_mov_b32 s6, 0
	s_cbranch_scc0 .LBB63_5629
; %bb.5623:
	s_cmp_gt_i32 s61, 28
	s_cbranch_scc0 .LBB63_5630
; %bb.5624:
	s_cmp_gt_i32 s61, 43
	;; [unrolled: 3-line block ×3, first 2 shown]
	s_cbranch_scc0 .LBB63_5633
; %bb.5626:
	s_cmp_eq_u32 s61, 46
	s_mov_b32 s9, 0
	s_cbranch_scc0 .LBB63_5634
; %bb.5627:
	global_load_b32 v1, v[10:11], off
	s_mov_b32 s0, 0
	s_mov_b32 s7, -1
	s_wait_loadcnt 0x0
	v_lshlrev_b32_e32 v1, 16, v1
	s_delay_alu instid0(VALU_DEP_1) | instskip(NEXT) | instid1(VALU_DEP_1)
	v_trunc_f32_e32 v1, v1
	v_mul_f32_e64 v3, 0x2f800000, |v1|
	s_wait_xcnt 0x1
	v_ashrrev_i32_e32 v22, 31, v1
	s_delay_alu instid0(VALU_DEP_2) | instskip(NEXT) | instid1(VALU_DEP_2)
	v_floor_f32_e32 v3, v3
	v_mov_b32_e32 v23, v22
	s_delay_alu instid0(VALU_DEP_2) | instskip(SKIP_1) | instid1(VALU_DEP_2)
	v_fma_f32 v5, 0xcf800000, v3, |v1|
	v_cvt_u32_f32_e32 v1, v3
	v_cvt_u32_f32_e32 v3, v5
	s_delay_alu instid0(VALU_DEP_2) | instskip(NEXT) | instid1(VALU_DEP_2)
	v_xor_b32_e32 v25, v1, v22
	v_xor_b32_e32 v24, v3, v22
	s_delay_alu instid0(VALU_DEP_1)
	v_sub_nc_u64_e32 v[22:23], v[24:25], v[22:23]
	s_branch .LBB63_5636
.LBB63_5628:
	s_mov_b32 s0, -1
	s_mov_b32 s7, 0
                                        ; implicit-def: $vgpr22_vgpr23
	s_branch .LBB63_5698
.LBB63_5629:
	s_mov_b32 s9, -1
	s_mov_b32 s7, 0
	s_mov_b32 s0, 0
                                        ; implicit-def: $vgpr22_vgpr23
	s_branch .LBB63_5663
.LBB63_5630:
	s_mov_b32 s9, -1
	s_mov_b32 s7, 0
	s_mov_b32 s0, 0
                                        ; implicit-def: $vgpr22_vgpr23
	s_branch .LBB63_5646
.LBB63_5631:
	s_mov_b32 s9, -1
	s_mov_b32 s7, 0
	s_mov_b32 s0, 0
                                        ; implicit-def: $vgpr22_vgpr23
	s_branch .LBB63_5641
.LBB63_5632:
	s_or_b32 s23, s23, exec_lo
	s_trap 2
	s_cbranch_execz .LBB63_5569
	s_branch .LBB63_5570
.LBB63_5633:
	s_mov_b32 s9, -1
	s_mov_b32 s7, 0
	s_mov_b32 s0, 0
	s_branch .LBB63_5635
.LBB63_5634:
	s_mov_b32 s0, -1
	s_mov_b32 s7, 0
.LBB63_5635:
                                        ; implicit-def: $vgpr22_vgpr23
.LBB63_5636:
	s_and_b32 vcc_lo, exec_lo, s9
	s_cbranch_vccz .LBB63_5640
; %bb.5637:
	s_cmp_eq_u32 s61, 44
	s_cbranch_scc0 .LBB63_5639
; %bb.5638:
	global_load_u8 v1, v[10:11], off
	s_mov_b32 s0, 0
	s_mov_b32 s7, -1
	s_wait_loadcnt 0x0
	v_lshlrev_b32_e32 v3, 23, v1
	v_cmp_ne_u32_e32 vcc_lo, 0, v1
	s_delay_alu instid0(VALU_DEP_2) | instskip(NEXT) | instid1(VALU_DEP_1)
	v_trunc_f32_e32 v3, v3
	v_mul_f32_e64 v5, 0x2f800000, |v3|
	s_wait_xcnt 0x1
	v_ashrrev_i32_e32 v22, 31, v3
	s_delay_alu instid0(VALU_DEP_2) | instskip(NEXT) | instid1(VALU_DEP_2)
	v_floor_f32_e32 v5, v5
	v_mov_b32_e32 v23, v22
	s_delay_alu instid0(VALU_DEP_2) | instskip(SKIP_1) | instid1(VALU_DEP_2)
	v_fma_f32 v7, 0xcf800000, v5, |v3|
	v_cvt_u32_f32_e32 v3, v5
	v_cvt_u32_f32_e32 v5, v7
	s_delay_alu instid0(VALU_DEP_2) | instskip(NEXT) | instid1(VALU_DEP_2)
	v_xor_b32_e32 v25, v3, v22
	v_xor_b32_e32 v24, v5, v22
	s_delay_alu instid0(VALU_DEP_1) | instskip(NEXT) | instid1(VALU_DEP_1)
	v_sub_nc_u64_e32 v[22:23], v[24:25], v[22:23]
	v_dual_cndmask_b32 v23, 0, v23 :: v_dual_cndmask_b32 v22, 0, v22
	s_branch .LBB63_5640
.LBB63_5639:
	s_mov_b32 s0, -1
                                        ; implicit-def: $vgpr22_vgpr23
.LBB63_5640:
	s_mov_b32 s9, 0
.LBB63_5641:
	s_delay_alu instid0(SALU_CYCLE_1)
	s_and_b32 vcc_lo, exec_lo, s9
	s_cbranch_vccz .LBB63_5645
; %bb.5642:
	s_cmp_eq_u32 s61, 29
	s_cbranch_scc0 .LBB63_5644
; %bb.5643:
	global_load_b64 v[22:23], v[10:11], off
	s_mov_b32 s0, 0
	s_mov_b32 s7, -1
	s_branch .LBB63_5645
.LBB63_5644:
	s_mov_b32 s0, -1
                                        ; implicit-def: $vgpr22_vgpr23
.LBB63_5645:
	s_mov_b32 s9, 0
.LBB63_5646:
	s_delay_alu instid0(SALU_CYCLE_1)
	s_and_b32 vcc_lo, exec_lo, s9
	s_cbranch_vccz .LBB63_5662
; %bb.5647:
	s_cmp_lt_i32 s61, 27
	s_cbranch_scc1 .LBB63_5650
; %bb.5648:
	s_cmp_gt_i32 s61, 27
	s_cbranch_scc0 .LBB63_5651
; %bb.5649:
	s_wait_loadcnt 0x0
	global_load_b32 v22, v[10:11], off
	v_mov_b32_e32 v23, 0
	s_mov_b32 s7, 0
	s_branch .LBB63_5652
.LBB63_5650:
	s_mov_b32 s7, -1
                                        ; implicit-def: $vgpr22_vgpr23
	s_branch .LBB63_5655
.LBB63_5651:
	s_mov_b32 s7, -1
                                        ; implicit-def: $vgpr22_vgpr23
.LBB63_5652:
	s_delay_alu instid0(SALU_CYCLE_1)
	s_and_not1_b32 vcc_lo, exec_lo, s7
	s_cbranch_vccnz .LBB63_5654
; %bb.5653:
	global_load_u16 v1, v[10:11], off
	s_mov_b32 s7, 0
	s_wait_loadcnt 0x1
	s_wait_xcnt 0x1
	v_mov_b32_e32 v23, s7
	s_wait_loadcnt 0x0
	v_and_b32_e32 v22, 0xffff, v1
.LBB63_5654:
	s_mov_b32 s7, 0
.LBB63_5655:
	s_delay_alu instid0(SALU_CYCLE_1)
	s_and_not1_b32 vcc_lo, exec_lo, s7
	s_cbranch_vccnz .LBB63_5661
; %bb.5656:
	global_load_u8 v1, v[10:11], off
	s_mov_b32 s9, 0
	s_mov_b32 s7, exec_lo
	s_wait_loadcnt 0x0
	v_cmpx_lt_i16_e32 0x7f, v1
	s_xor_b32 s7, exec_lo, s7
	s_cbranch_execz .LBB63_5673
; %bb.5657:
	v_cmp_ne_u16_e32 vcc_lo, 0x80, v1
	s_and_b32 s9, vcc_lo, exec_lo
	s_and_not1_saveexec_b32 s7, s7
	s_cbranch_execnz .LBB63_5674
.LBB63_5658:
	s_or_b32 exec_lo, exec_lo, s7
	v_mov_b64_e32 v[22:23], 0
	s_and_saveexec_b32 s7, s9
	s_cbranch_execz .LBB63_5660
.LBB63_5659:
	v_and_b32_e32 v3, 0xffff, v1
	s_delay_alu instid0(VALU_DEP_1) | instskip(SKIP_1) | instid1(VALU_DEP_2)
	v_dual_lshlrev_b32 v1, 24, v1 :: v_dual_bitop2_b32 v5, 7, v3 bitop3:0x40
	v_bfe_u32 v23, v3, 3, 4
	v_and_b32_e32 v1, 0x80000000, v1
	s_delay_alu instid0(VALU_DEP_3) | instskip(NEXT) | instid1(VALU_DEP_3)
	v_clz_i32_u32_e32 v7, v5
	v_cmp_eq_u32_e32 vcc_lo, 0, v23
	s_delay_alu instid0(VALU_DEP_2) | instskip(NEXT) | instid1(VALU_DEP_1)
	v_min_u32_e32 v7, 32, v7
	v_subrev_nc_u32_e32 v22, 28, v7
	v_sub_nc_u32_e32 v7, 29, v7
	s_delay_alu instid0(VALU_DEP_2) | instskip(NEXT) | instid1(VALU_DEP_2)
	v_lshlrev_b32_e32 v3, v22, v3
	v_cndmask_b32_e32 v7, v23, v7, vcc_lo
	s_delay_alu instid0(VALU_DEP_2) | instskip(NEXT) | instid1(VALU_DEP_1)
	v_and_b32_e32 v3, 7, v3
	v_cndmask_b32_e32 v3, v5, v3, vcc_lo
	s_delay_alu instid0(VALU_DEP_3) | instskip(NEXT) | instid1(VALU_DEP_2)
	v_lshl_add_u32 v5, v7, 23, 0x3b800000
	v_lshlrev_b32_e32 v3, 20, v3
	s_delay_alu instid0(VALU_DEP_1) | instskip(NEXT) | instid1(VALU_DEP_1)
	v_or3_b32 v1, v1, v5, v3
	v_trunc_f32_e32 v1, v1
	s_delay_alu instid0(VALU_DEP_1) | instskip(SKIP_1) | instid1(VALU_DEP_2)
	v_mul_f32_e64 v3, 0x2f800000, |v1|
	v_ashrrev_i32_e32 v22, 31, v1
	v_floor_f32_e32 v3, v3
	s_delay_alu instid0(VALU_DEP_2) | instskip(NEXT) | instid1(VALU_DEP_2)
	v_mov_b32_e32 v23, v22
	v_fma_f32 v5, 0xcf800000, v3, |v1|
	v_cvt_u32_f32_e32 v1, v3
	s_delay_alu instid0(VALU_DEP_2) | instskip(NEXT) | instid1(VALU_DEP_2)
	v_cvt_u32_f32_e32 v3, v5
	v_xor_b32_e32 v25, v1, v22
	s_delay_alu instid0(VALU_DEP_2) | instskip(NEXT) | instid1(VALU_DEP_1)
	v_xor_b32_e32 v24, v3, v22
	v_sub_nc_u64_e32 v[22:23], v[24:25], v[22:23]
.LBB63_5660:
	s_or_b32 exec_lo, exec_lo, s7
.LBB63_5661:
	s_mov_b32 s7, -1
.LBB63_5662:
	s_mov_b32 s9, 0
.LBB63_5663:
	s_delay_alu instid0(SALU_CYCLE_1)
	s_and_b32 vcc_lo, exec_lo, s9
	s_cbranch_vccz .LBB63_5694
; %bb.5664:
	s_cmp_gt_i32 s61, 22
	s_cbranch_scc0 .LBB63_5672
; %bb.5665:
	s_cmp_lt_i32 s61, 24
	s_cbranch_scc1 .LBB63_5675
; %bb.5666:
	s_cmp_gt_i32 s61, 24
	s_cbranch_scc0 .LBB63_5676
; %bb.5667:
	global_load_u8 v1, v[10:11], off
	s_mov_b32 s7, 0
	s_mov_b32 s6, exec_lo
	s_wait_loadcnt 0x0
	v_cmpx_lt_i16_e32 0x7f, v1
	s_xor_b32 s6, exec_lo, s6
	s_cbranch_execz .LBB63_5688
; %bb.5668:
	v_cmp_ne_u16_e32 vcc_lo, 0x80, v1
	s_and_b32 s7, vcc_lo, exec_lo
	s_and_not1_saveexec_b32 s6, s6
	s_cbranch_execnz .LBB63_5689
.LBB63_5669:
	s_or_b32 exec_lo, exec_lo, s6
	v_mov_b64_e32 v[22:23], 0
	s_and_saveexec_b32 s6, s7
	s_cbranch_execz .LBB63_5671
.LBB63_5670:
	v_and_b32_e32 v3, 0xffff, v1
	s_delay_alu instid0(VALU_DEP_1) | instskip(SKIP_1) | instid1(VALU_DEP_2)
	v_dual_lshlrev_b32 v1, 24, v1 :: v_dual_bitop2_b32 v5, 3, v3 bitop3:0x40
	v_bfe_u32 v23, v3, 2, 5
	v_and_b32_e32 v1, 0x80000000, v1
	s_delay_alu instid0(VALU_DEP_3) | instskip(NEXT) | instid1(VALU_DEP_3)
	v_clz_i32_u32_e32 v7, v5
	v_cmp_eq_u32_e32 vcc_lo, 0, v23
	s_delay_alu instid0(VALU_DEP_2) | instskip(NEXT) | instid1(VALU_DEP_1)
	v_min_u32_e32 v7, 32, v7
	v_subrev_nc_u32_e32 v22, 29, v7
	v_sub_nc_u32_e32 v7, 30, v7
	s_delay_alu instid0(VALU_DEP_2) | instskip(NEXT) | instid1(VALU_DEP_2)
	v_lshlrev_b32_e32 v3, v22, v3
	v_cndmask_b32_e32 v7, v23, v7, vcc_lo
	s_delay_alu instid0(VALU_DEP_2) | instskip(NEXT) | instid1(VALU_DEP_1)
	v_and_b32_e32 v3, 3, v3
	v_cndmask_b32_e32 v3, v5, v3, vcc_lo
	s_delay_alu instid0(VALU_DEP_3) | instskip(NEXT) | instid1(VALU_DEP_2)
	v_lshl_add_u32 v5, v7, 23, 0x37800000
	v_lshlrev_b32_e32 v3, 21, v3
	s_delay_alu instid0(VALU_DEP_1) | instskip(NEXT) | instid1(VALU_DEP_1)
	v_or3_b32 v1, v1, v5, v3
	v_trunc_f32_e32 v1, v1
	s_delay_alu instid0(VALU_DEP_1) | instskip(SKIP_1) | instid1(VALU_DEP_2)
	v_mul_f32_e64 v3, 0x2f800000, |v1|
	v_ashrrev_i32_e32 v22, 31, v1
	v_floor_f32_e32 v3, v3
	s_delay_alu instid0(VALU_DEP_2) | instskip(NEXT) | instid1(VALU_DEP_2)
	v_mov_b32_e32 v23, v22
	v_fma_f32 v5, 0xcf800000, v3, |v1|
	v_cvt_u32_f32_e32 v1, v3
	s_delay_alu instid0(VALU_DEP_2) | instskip(NEXT) | instid1(VALU_DEP_2)
	v_cvt_u32_f32_e32 v3, v5
	v_xor_b32_e32 v25, v1, v22
	s_delay_alu instid0(VALU_DEP_2) | instskip(NEXT) | instid1(VALU_DEP_1)
	v_xor_b32_e32 v24, v3, v22
	v_sub_nc_u64_e32 v[22:23], v[24:25], v[22:23]
.LBB63_5671:
	s_or_b32 exec_lo, exec_lo, s6
	s_mov_b32 s6, 0
	s_branch .LBB63_5677
.LBB63_5672:
	s_mov_b32 s6, -1
                                        ; implicit-def: $vgpr22_vgpr23
	s_branch .LBB63_5683
.LBB63_5673:
	s_and_not1_saveexec_b32 s7, s7
	s_cbranch_execz .LBB63_5658
.LBB63_5674:
	v_cmp_ne_u16_e32 vcc_lo, 0, v1
	s_and_not1_b32 s9, s9, exec_lo
	s_and_b32 s10, vcc_lo, exec_lo
	s_delay_alu instid0(SALU_CYCLE_1)
	s_or_b32 s9, s9, s10
	s_or_b32 exec_lo, exec_lo, s7
	v_mov_b64_e32 v[22:23], 0
	s_and_saveexec_b32 s7, s9
	s_cbranch_execnz .LBB63_5659
	s_branch .LBB63_5660
.LBB63_5675:
	s_mov_b32 s6, -1
                                        ; implicit-def: $vgpr22_vgpr23
	s_branch .LBB63_5680
.LBB63_5676:
	s_mov_b32 s6, -1
                                        ; implicit-def: $vgpr22_vgpr23
.LBB63_5677:
	s_delay_alu instid0(SALU_CYCLE_1)
	s_and_b32 vcc_lo, exec_lo, s6
	s_cbranch_vccz .LBB63_5679
; %bb.5678:
	global_load_u8 v1, v[10:11], off
	s_wait_loadcnt 0x0
	v_lshlrev_b32_e32 v1, 24, v1
	s_delay_alu instid0(VALU_DEP_1) | instskip(NEXT) | instid1(VALU_DEP_1)
	v_and_b32_e32 v3, 0x7f000000, v1
	v_clz_i32_u32_e32 v5, v3
	v_cmp_ne_u32_e32 vcc_lo, 0, v3
	s_wait_xcnt 0x1
	v_add_nc_u32_e32 v22, 0x1000000, v3
	s_delay_alu instid0(VALU_DEP_3) | instskip(NEXT) | instid1(VALU_DEP_1)
	v_min_u32_e32 v5, 32, v5
	v_sub_nc_u32_e64 v5, v5, 4 clamp
	s_delay_alu instid0(VALU_DEP_1) | instskip(NEXT) | instid1(VALU_DEP_1)
	v_dual_lshlrev_b32 v7, v5, v3 :: v_dual_lshlrev_b32 v5, 23, v5
	v_lshrrev_b32_e32 v7, 4, v7
	s_delay_alu instid0(VALU_DEP_1) | instskip(NEXT) | instid1(VALU_DEP_1)
	v_dual_sub_nc_u32 v5, v7, v5 :: v_dual_ashrrev_i32 v7, 8, v22
	v_add_nc_u32_e32 v5, 0x3c000000, v5
	s_delay_alu instid0(VALU_DEP_1) | instskip(NEXT) | instid1(VALU_DEP_1)
	v_and_or_b32 v5, 0x7f800000, v7, v5
	v_cndmask_b32_e32 v3, 0, v5, vcc_lo
	s_delay_alu instid0(VALU_DEP_1) | instskip(NEXT) | instid1(VALU_DEP_1)
	v_and_or_b32 v1, 0x80000000, v1, v3
	v_trunc_f32_e32 v1, v1
	s_delay_alu instid0(VALU_DEP_1) | instskip(SKIP_1) | instid1(VALU_DEP_2)
	v_mul_f32_e64 v3, 0x2f800000, |v1|
	v_ashrrev_i32_e32 v22, 31, v1
	v_floor_f32_e32 v3, v3
	s_delay_alu instid0(VALU_DEP_1) | instskip(SKIP_1) | instid1(VALU_DEP_4)
	v_fma_f32 v5, 0xcf800000, v3, |v1|
	v_cvt_u32_f32_e32 v1, v3
	v_mov_b32_e32 v23, v22
	s_delay_alu instid0(VALU_DEP_3) | instskip(NEXT) | instid1(VALU_DEP_3)
	v_cvt_u32_f32_e32 v3, v5
	v_xor_b32_e32 v25, v1, v22
	s_delay_alu instid0(VALU_DEP_2) | instskip(NEXT) | instid1(VALU_DEP_1)
	v_xor_b32_e32 v24, v3, v22
	v_sub_nc_u64_e32 v[22:23], v[24:25], v[22:23]
.LBB63_5679:
	s_mov_b32 s6, 0
.LBB63_5680:
	s_delay_alu instid0(SALU_CYCLE_1)
	s_and_not1_b32 vcc_lo, exec_lo, s6
	s_cbranch_vccnz .LBB63_5682
; %bb.5681:
	global_load_u8 v1, v[10:11], off
	s_wait_loadcnt 0x0
	v_lshlrev_b32_e32 v3, 25, v1
	v_lshlrev_b16 v1, 8, v1
	s_delay_alu instid0(VALU_DEP_1) | instskip(SKIP_1) | instid1(VALU_DEP_2)
	v_and_or_b32 v7, 0x7f00, v1, 0.5
	v_bfe_i32 v1, v1, 0, 16
	v_add_f32_e32 v7, -0.5, v7
	v_lshrrev_b32_e32 v5, 4, v3
	v_cmp_gt_u32_e32 vcc_lo, 0x8000000, v3
	s_delay_alu instid0(VALU_DEP_2) | instskip(NEXT) | instid1(VALU_DEP_1)
	v_or_b32_e32 v5, 0x70000000, v5
	v_mul_f32_e32 v5, 0x7800000, v5
	s_delay_alu instid0(VALU_DEP_1) | instskip(NEXT) | instid1(VALU_DEP_1)
	v_cndmask_b32_e32 v3, v5, v7, vcc_lo
	v_and_or_b32 v1, 0x80000000, v1, v3
	s_delay_alu instid0(VALU_DEP_1) | instskip(NEXT) | instid1(VALU_DEP_1)
	v_trunc_f32_e32 v1, v1
	v_mul_f32_e64 v3, 0x2f800000, |v1|
	s_wait_xcnt 0x1
	v_ashrrev_i32_e32 v22, 31, v1
	s_delay_alu instid0(VALU_DEP_2) | instskip(NEXT) | instid1(VALU_DEP_2)
	v_floor_f32_e32 v3, v3
	v_mov_b32_e32 v23, v22
	s_delay_alu instid0(VALU_DEP_2) | instskip(SKIP_1) | instid1(VALU_DEP_2)
	v_fma_f32 v5, 0xcf800000, v3, |v1|
	v_cvt_u32_f32_e32 v1, v3
	v_cvt_u32_f32_e32 v3, v5
	s_delay_alu instid0(VALU_DEP_2) | instskip(NEXT) | instid1(VALU_DEP_2)
	v_xor_b32_e32 v25, v1, v22
	v_xor_b32_e32 v24, v3, v22
	s_delay_alu instid0(VALU_DEP_1)
	v_sub_nc_u64_e32 v[22:23], v[24:25], v[22:23]
.LBB63_5682:
	s_mov_b32 s6, 0
	s_mov_b32 s7, -1
.LBB63_5683:
	s_and_not1_b32 vcc_lo, exec_lo, s6
	s_mov_b32 s6, 0
	s_cbranch_vccnz .LBB63_5694
; %bb.5684:
	s_cmp_gt_i32 s61, 14
	s_cbranch_scc0 .LBB63_5687
; %bb.5685:
	s_cmp_eq_u32 s61, 15
	s_cbranch_scc0 .LBB63_5690
; %bb.5686:
	global_load_u16 v1, v[10:11], off
	s_mov_b32 s0, 0
	s_mov_b32 s7, -1
	s_wait_loadcnt 0x0
	v_lshlrev_b32_e32 v1, 16, v1
	s_delay_alu instid0(VALU_DEP_1) | instskip(NEXT) | instid1(VALU_DEP_1)
	v_trunc_f32_e32 v1, v1
	v_mul_f32_e64 v3, 0x2f800000, |v1|
	s_wait_xcnt 0x1
	v_ashrrev_i32_e32 v22, 31, v1
	s_delay_alu instid0(VALU_DEP_2) | instskip(NEXT) | instid1(VALU_DEP_2)
	v_floor_f32_e32 v3, v3
	v_mov_b32_e32 v23, v22
	s_delay_alu instid0(VALU_DEP_2) | instskip(SKIP_1) | instid1(VALU_DEP_2)
	v_fma_f32 v5, 0xcf800000, v3, |v1|
	v_cvt_u32_f32_e32 v1, v3
	v_cvt_u32_f32_e32 v3, v5
	s_delay_alu instid0(VALU_DEP_2) | instskip(NEXT) | instid1(VALU_DEP_2)
	v_xor_b32_e32 v25, v1, v22
	v_xor_b32_e32 v24, v3, v22
	s_delay_alu instid0(VALU_DEP_1)
	v_sub_nc_u64_e32 v[22:23], v[24:25], v[22:23]
	s_branch .LBB63_5692
.LBB63_5687:
	s_mov_b32 s6, -1
	s_branch .LBB63_5691
.LBB63_5688:
	s_and_not1_saveexec_b32 s6, s6
	s_cbranch_execz .LBB63_5669
.LBB63_5689:
	v_cmp_ne_u16_e32 vcc_lo, 0, v1
	s_and_not1_b32 s7, s7, exec_lo
	s_and_b32 s9, vcc_lo, exec_lo
	s_delay_alu instid0(SALU_CYCLE_1)
	s_or_b32 s7, s7, s9
	s_or_b32 exec_lo, exec_lo, s6
	v_mov_b64_e32 v[22:23], 0
	s_and_saveexec_b32 s6, s7
	s_cbranch_execnz .LBB63_5670
	s_branch .LBB63_5671
.LBB63_5690:
	s_mov_b32 s0, -1
.LBB63_5691:
                                        ; implicit-def: $vgpr22_vgpr23
.LBB63_5692:
	s_and_b32 vcc_lo, exec_lo, s6
	s_mov_b32 s6, 0
	s_cbranch_vccz .LBB63_5694
; %bb.5693:
	s_cmp_lg_u32 s61, 11
	s_mov_b32 s6, -1
	s_cselect_b32 s0, -1, 0
.LBB63_5694:
	s_delay_alu instid0(SALU_CYCLE_1)
	s_and_b32 vcc_lo, exec_lo, s0
	s_cbranch_vccnz .LBB63_5823
; %bb.5695:
	s_and_not1_b32 vcc_lo, exec_lo, s6
	s_cbranch_vccnz .LBB63_5697
.LBB63_5696:
	global_load_u8 v1, v[10:11], off
	s_mov_b32 s0, 0
	s_mov_b32 s7, -1
	s_wait_loadcnt 0x1
	s_wait_xcnt 0x1
	v_mov_b32_e32 v23, s0
	s_wait_loadcnt 0x0
	v_cmp_ne_u16_e32 vcc_lo, 0, v1
	v_cndmask_b32_e64 v22, 0, 1, vcc_lo
.LBB63_5697:
	s_mov_b32 s0, 0
.LBB63_5698:
	s_delay_alu instid0(SALU_CYCLE_1)
	s_and_b32 vcc_lo, exec_lo, s0
	s_cbranch_vccz .LBB63_5747
; %bb.5699:
	s_cmp_lt_i32 s61, 5
	s_cbranch_scc1 .LBB63_5704
; %bb.5700:
	s_cmp_lt_i32 s61, 8
	s_cbranch_scc1 .LBB63_5705
	;; [unrolled: 3-line block ×3, first 2 shown]
; %bb.5702:
	s_cmp_gt_i32 s61, 9
	s_cbranch_scc0 .LBB63_5707
; %bb.5703:
	s_wait_loadcnt 0x0
	global_load_b64 v[22:23], v[10:11], off
	s_mov_b32 s0, 0
	s_wait_loadcnt 0x0
	v_trunc_f64_e32 v[22:23], v[22:23]
	s_delay_alu instid0(VALU_DEP_1) | instskip(NEXT) | instid1(VALU_DEP_1)
	v_ldexp_f64 v[24:25], v[22:23], 0xffffffe0
	v_floor_f64_e32 v[24:25], v[24:25]
	s_delay_alu instid0(VALU_DEP_1) | instskip(SKIP_1) | instid1(VALU_DEP_2)
	v_fmamk_f64 v[26:27], v[24:25], 0xc1f00000, v[22:23]
	v_cvt_i32_f64_e32 v23, v[24:25]
	v_cvt_u32_f64_e32 v22, v[26:27]
	s_branch .LBB63_5708
.LBB63_5704:
	s_mov_b32 s0, -1
                                        ; implicit-def: $vgpr22_vgpr23
	s_branch .LBB63_5726
.LBB63_5705:
	s_mov_b32 s0, -1
                                        ; implicit-def: $vgpr22_vgpr23
	s_branch .LBB63_5714
.LBB63_5706:
	s_mov_b32 s0, -1
                                        ; implicit-def: $vgpr22_vgpr23
	s_branch .LBB63_5711
.LBB63_5707:
	s_mov_b32 s0, -1
                                        ; implicit-def: $vgpr22_vgpr23
.LBB63_5708:
	s_delay_alu instid0(SALU_CYCLE_1)
	s_and_not1_b32 vcc_lo, exec_lo, s0
	s_cbranch_vccnz .LBB63_5710
; %bb.5709:
	global_load_b32 v1, v[10:11], off
	s_wait_loadcnt 0x0
	v_trunc_f32_e32 v1, v1
	s_delay_alu instid0(VALU_DEP_1) | instskip(SKIP_2) | instid1(VALU_DEP_2)
	v_mul_f32_e64 v3, 0x2f800000, |v1|
	s_wait_xcnt 0x1
	v_ashrrev_i32_e32 v22, 31, v1
	v_floor_f32_e32 v3, v3
	s_delay_alu instid0(VALU_DEP_1) | instskip(SKIP_1) | instid1(VALU_DEP_4)
	v_fma_f32 v5, 0xcf800000, v3, |v1|
	v_cvt_u32_f32_e32 v1, v3
	v_mov_b32_e32 v23, v22
	s_delay_alu instid0(VALU_DEP_3) | instskip(NEXT) | instid1(VALU_DEP_3)
	v_cvt_u32_f32_e32 v3, v5
	v_xor_b32_e32 v25, v1, v22
	s_delay_alu instid0(VALU_DEP_2) | instskip(NEXT) | instid1(VALU_DEP_1)
	v_xor_b32_e32 v24, v3, v22
	v_sub_nc_u64_e32 v[22:23], v[24:25], v[22:23]
.LBB63_5710:
	s_mov_b32 s0, 0
.LBB63_5711:
	s_delay_alu instid0(SALU_CYCLE_1)
	s_and_not1_b32 vcc_lo, exec_lo, s0
	s_cbranch_vccnz .LBB63_5713
; %bb.5712:
	global_load_b32 v1, v[10:11], off
	s_wait_loadcnt 0x0
	v_cvt_f32_f16_e32 v1, v1
	s_wait_xcnt 0x1
	s_delay_alu instid0(VALU_DEP_1) | instskip(NEXT) | instid1(VALU_DEP_1)
	v_cvt_i32_f32_e32 v22, v1
	v_ashrrev_i32_e32 v23, 31, v22
.LBB63_5713:
	s_mov_b32 s0, 0
.LBB63_5714:
	s_delay_alu instid0(SALU_CYCLE_1)
	s_and_not1_b32 vcc_lo, exec_lo, s0
	s_cbranch_vccnz .LBB63_5725
; %bb.5715:
	s_cmp_lt_i32 s61, 6
	s_cbranch_scc1 .LBB63_5718
; %bb.5716:
	s_cmp_gt_i32 s61, 6
	s_cbranch_scc0 .LBB63_5719
; %bb.5717:
	s_wait_loadcnt 0x0
	global_load_b64 v[22:23], v[10:11], off
	s_mov_b32 s0, 0
	s_wait_loadcnt 0x0
	v_trunc_f64_e32 v[22:23], v[22:23]
	s_delay_alu instid0(VALU_DEP_1) | instskip(NEXT) | instid1(VALU_DEP_1)
	v_ldexp_f64 v[24:25], v[22:23], 0xffffffe0
	v_floor_f64_e32 v[24:25], v[24:25]
	s_delay_alu instid0(VALU_DEP_1) | instskip(SKIP_1) | instid1(VALU_DEP_2)
	v_fmamk_f64 v[26:27], v[24:25], 0xc1f00000, v[22:23]
	v_cvt_i32_f64_e32 v23, v[24:25]
	v_cvt_u32_f64_e32 v22, v[26:27]
	s_branch .LBB63_5720
.LBB63_5718:
	s_mov_b32 s0, -1
                                        ; implicit-def: $vgpr22_vgpr23
	s_branch .LBB63_5723
.LBB63_5719:
	s_mov_b32 s0, -1
                                        ; implicit-def: $vgpr22_vgpr23
.LBB63_5720:
	s_delay_alu instid0(SALU_CYCLE_1)
	s_and_not1_b32 vcc_lo, exec_lo, s0
	s_cbranch_vccnz .LBB63_5722
; %bb.5721:
	global_load_b32 v1, v[10:11], off
	s_wait_loadcnt 0x0
	v_trunc_f32_e32 v1, v1
	s_delay_alu instid0(VALU_DEP_1) | instskip(SKIP_2) | instid1(VALU_DEP_2)
	v_mul_f32_e64 v3, 0x2f800000, |v1|
	s_wait_xcnt 0x1
	v_ashrrev_i32_e32 v22, 31, v1
	v_floor_f32_e32 v3, v3
	s_delay_alu instid0(VALU_DEP_1) | instskip(SKIP_1) | instid1(VALU_DEP_4)
	v_fma_f32 v5, 0xcf800000, v3, |v1|
	v_cvt_u32_f32_e32 v1, v3
	v_mov_b32_e32 v23, v22
	s_delay_alu instid0(VALU_DEP_3) | instskip(NEXT) | instid1(VALU_DEP_3)
	v_cvt_u32_f32_e32 v3, v5
	v_xor_b32_e32 v25, v1, v22
	s_delay_alu instid0(VALU_DEP_2) | instskip(NEXT) | instid1(VALU_DEP_1)
	v_xor_b32_e32 v24, v3, v22
	v_sub_nc_u64_e32 v[22:23], v[24:25], v[22:23]
.LBB63_5722:
	s_mov_b32 s0, 0
.LBB63_5723:
	s_delay_alu instid0(SALU_CYCLE_1)
	s_and_not1_b32 vcc_lo, exec_lo, s0
	s_cbranch_vccnz .LBB63_5725
; %bb.5724:
	global_load_u16 v1, v[10:11], off
	s_wait_loadcnt 0x0
	v_cvt_f32_f16_e32 v1, v1
	s_wait_xcnt 0x1
	s_delay_alu instid0(VALU_DEP_1) | instskip(NEXT) | instid1(VALU_DEP_1)
	v_cvt_i32_f32_e32 v22, v1
	v_ashrrev_i32_e32 v23, 31, v22
.LBB63_5725:
	s_mov_b32 s0, 0
.LBB63_5726:
	s_delay_alu instid0(SALU_CYCLE_1)
	s_and_not1_b32 vcc_lo, exec_lo, s0
	s_cbranch_vccnz .LBB63_5746
; %bb.5727:
	s_cmp_lt_i32 s61, 2
	s_cbranch_scc1 .LBB63_5731
; %bb.5728:
	s_cmp_lt_i32 s61, 3
	s_cbranch_scc1 .LBB63_5732
; %bb.5729:
	s_cmp_gt_i32 s61, 3
	s_cbranch_scc0 .LBB63_5733
; %bb.5730:
	s_wait_loadcnt 0x0
	global_load_b64 v[22:23], v[10:11], off
	s_mov_b32 s0, 0
	s_branch .LBB63_5734
.LBB63_5731:
	s_mov_b32 s0, -1
                                        ; implicit-def: $vgpr22_vgpr23
	s_branch .LBB63_5740
.LBB63_5732:
	s_mov_b32 s0, -1
                                        ; implicit-def: $vgpr22_vgpr23
	s_branch .LBB63_5737
.LBB63_5733:
	s_mov_b32 s0, -1
                                        ; implicit-def: $vgpr22_vgpr23
.LBB63_5734:
	s_delay_alu instid0(SALU_CYCLE_1)
	s_and_not1_b32 vcc_lo, exec_lo, s0
	s_cbranch_vccnz .LBB63_5736
; %bb.5735:
	s_wait_loadcnt 0x0
	global_load_b32 v22, v[10:11], off
	s_wait_loadcnt 0x0
	v_ashrrev_i32_e32 v23, 31, v22
.LBB63_5736:
	s_mov_b32 s0, 0
.LBB63_5737:
	s_delay_alu instid0(SALU_CYCLE_1)
	s_and_not1_b32 vcc_lo, exec_lo, s0
	s_cbranch_vccnz .LBB63_5739
; %bb.5738:
	global_load_u16 v1, v[10:11], off
	s_wait_loadcnt 0x0
	s_wait_xcnt 0x1
	v_bfe_i32 v22, v1, 0, 16
	s_delay_alu instid0(VALU_DEP_1)
	v_ashrrev_i32_e32 v23, 31, v22
.LBB63_5739:
	s_mov_b32 s0, 0
.LBB63_5740:
	s_delay_alu instid0(SALU_CYCLE_1)
	s_and_not1_b32 vcc_lo, exec_lo, s0
	s_cbranch_vccnz .LBB63_5746
; %bb.5741:
	s_cmp_gt_i32 s61, 0
	s_mov_b32 s0, 0
	s_cbranch_scc0 .LBB63_5743
; %bb.5742:
	global_load_i8 v1, v[10:11], off
	s_wait_loadcnt 0x0
	s_wait_xcnt 0x1
	v_bfe_i32 v22, v1, 0, 16
	s_delay_alu instid0(VALU_DEP_1)
	v_ashrrev_i32_e32 v23, 31, v22
	s_branch .LBB63_5744
.LBB63_5743:
	s_mov_b32 s0, -1
                                        ; implicit-def: $vgpr22_vgpr23
.LBB63_5744:
	s_delay_alu instid0(SALU_CYCLE_1)
	s_and_not1_b32 vcc_lo, exec_lo, s0
	s_cbranch_vccnz .LBB63_5746
; %bb.5745:
	global_load_u8 v1, v[10:11], off
	s_mov_b32 s0, 0
	s_wait_loadcnt 0x1
	s_wait_xcnt 0x1
	v_mov_b32_e32 v23, s0
	s_wait_loadcnt 0x0
	v_and_b32_e32 v22, 0xffff, v1
.LBB63_5746:
	s_mov_b32 s7, -1
.LBB63_5747:
	s_delay_alu instid0(SALU_CYCLE_1)
	s_and_not1_b32 vcc_lo, exec_lo, s7
	s_cbranch_vccnz .LBB63_5756
; %bb.5748:
	s_mov_b32 s0, exec_lo
	s_wait_loadcnt 0x0
	v_cmpx_ne_u64_e64 v[20:21], v[8:9]
	s_xor_b32 s0, exec_lo, s0
	s_cbranch_execnz .LBB63_6099
.LBB63_5749:
	s_or_saveexec_b32 s24, s0
	s_mov_b32 s6, 0
	s_mov_b32 s7, 0
                                        ; implicit-def: $vgpr42_vgpr43
                                        ; implicit-def: $sgpr0
	s_xor_b32 exec_lo, exec_lo, s24
	s_cbranch_execz .LBB63_6094
; %bb.5750:
	s_mov_b32 s25, s23
	s_mov_b32 s0, exec_lo
	v_cmpx_ne_u64_e64 v[18:19], v[12:13]
	s_xor_b32 s0, exec_lo, s0
	s_cbranch_execnz .LBB63_6101
; %bb.5751:
	s_or_saveexec_b32 s26, s0
                                        ; implicit-def: $vgpr42_vgpr43
                                        ; implicit-def: $sgpr0
	s_delay_alu instid0(SALU_CYCLE_1)
	s_xor_b32 exec_lo, exec_lo, s26
	s_cbranch_execz .LBB63_6093
.LBB63_5752:
	v_sub_nc_u64_e32 v[10:11], v[14:15], v[16:17]
	s_mov_b32 s27, s25
	s_delay_alu instid0(VALU_DEP_1) | instskip(SKIP_2) | instid1(SALU_CYCLE_1)
	v_cmp_gt_i64_e32 vcc_lo, v[8:9], v[10:11]
	v_cmp_lt_i64_e64 s0, s[18:19], v[10:11]
	s_or_b32 s0, vcc_lo, s0
	s_and_saveexec_b32 s6, s0
	s_delay_alu instid0(SALU_CYCLE_1)
	s_xor_b32 s0, exec_lo, s6
	s_cbranch_execnz .LBB63_6103
; %bb.5753:
	s_or_saveexec_b32 s28, s0
	s_mov_b32 s6, 0
                                        ; implicit-def: $vgpr42_vgpr43
                                        ; implicit-def: $sgpr0
	s_xor_b32 exec_lo, exec_lo, s28
	s_cbranch_execz .LBB63_6092
.LBB63_5754:
	v_mov_b64_e32 v[8:9], 0
	s_and_saveexec_b32 s29, s48
	s_cbranch_execz .LBB63_5767
; %bb.5755:
	v_mul_u64_e32 v[10:11], v[22:23], v[12:13]
	s_load_b128 s[12:15], s[2:3], 0x298
	v_mov_b64_e32 v[8:9], 0
	s_mov_b32 s9, 0
	v_mov_b32_e32 v12, 0
	s_lshl_b64 s[16:17], s[8:9], 3
	s_mov_b64 s[6:7], 0xffffffff
	s_wait_kmcnt 0x0
	s_add_nc_u64 s[10:11], s[12:13], s[16:17]
	s_add_nc_u64 s[12:13], s[14:15], s[16:17]
	s_branch .LBB63_5763
.LBB63_5756:
	s_mov_b32 s6, 0
	s_mov_b32 s7, 0
                                        ; implicit-def: $vgpr42_vgpr43
                                        ; implicit-def: $sgpr0
.LBB63_5757:
	s_and_not1_b32 s1, s1, exec_lo
	s_and_b32 s2, s23, exec_lo
	s_and_b32 s24, s7, exec_lo
	;; [unrolled: 1-line block ×3, first 2 shown]
	s_or_b32 s1, s1, s2
.LBB63_5758:
	s_wait_xcnt 0x0
	s_or_b32 exec_lo, exec_lo, s22
	s_delay_alu instid0(SALU_CYCLE_1)
	s_and_not1_b32 s2, s65, exec_lo
	s_and_b32 s3, s1, exec_lo
	s_and_b32 s22, s24, exec_lo
	;; [unrolled: 1-line block ×3, first 2 shown]
	s_or_b32 s65, s2, s3
.LBB63_5759:
	s_or_b32 exec_lo, exec_lo, s66
	s_delay_alu instid0(SALU_CYCLE_1)
	s_and_not1_b32 s2, s63, exec_lo
	s_and_b32 s3, s65, exec_lo
	s_and_b32 s9, s22, exec_lo
	s_and_b32 s1, s1, exec_lo
	s_or_b32 s63, s2, s3
.LBB63_5760:
	s_or_b32 exec_lo, exec_lo, s64
	s_delay_alu instid0(SALU_CYCLE_1)
	s_and_not1_b32 s2, s56, exec_lo
	s_and_b32 s3, s63, exec_lo
	s_and_b32 s9, s9, exec_lo
	;; [unrolled: 1-line block ×3, first 2 shown]
	s_or_b32 s56, s2, s3
.LBB63_5761:
	s_or_b32 exec_lo, exec_lo, s62
	s_branch .LBB63_5091
.LBB63_5762:                            ;   in Loop: Header=BB63_5763 Depth=1
	s_or_b32 exec_lo, exec_lo, s0
	global_load_b64 v[20:21], v12, s[12:13]
	v_mul_u64_e32 v[22:23], s[14:15], v[18:19]
	s_add_co_i32 s46, s46, -1
	s_add_nc_u64 s[10:11], s[10:11], -8
	s_cmp_eq_u32 s46, 0
	s_wait_xcnt 0x0
	s_add_nc_u64 s[12:13], s[12:13], -8
	s_delay_alu instid0(VALU_DEP_1) | instskip(SKIP_1) | instid1(VALU_DEP_1)
	v_sub_nc_u64_e32 v[10:11], v[10:11], v[22:23]
	s_wait_loadcnt 0x0
	v_mad_nc_u64_u32 v[8:9], v10, v20, v[8:9]
	s_delay_alu instid0(VALU_DEP_1) | instskip(NEXT) | instid1(VALU_DEP_1)
	v_mad_u32 v1, v11, v20, v9
	v_mad_u32 v9, v10, v21, v1
	v_mov_b64_e32 v[10:11], v[18:19]
	s_cbranch_scc1 .LBB63_5767
.LBB63_5763:                            ; =>This Inner Loop Header: Depth=1
	global_load_b64 v[18:19], v12, s[10:11]
	s_mov_b32 s0, exec_lo
	s_wait_loadcnt 0x0
	v_or_b32_e32 v13, v11, v19
	v_readfirstlane_b32 s14, v18
	v_readfirstlane_b32 s15, v19
                                        ; implicit-def: $vgpr18_vgpr19
	s_wait_xcnt 0x0
	s_delay_alu instid0(VALU_DEP_3)
	v_cmpx_ne_u64_e32 0, v[12:13]
	s_xor_b32 s30, exec_lo, s0
	s_cbranch_execz .LBB63_5765
; %bb.5764:                             ;   in Loop: Header=BB63_5763 Depth=1
	s_ashr_i32 s16, s15, 31
	v_dual_mov_b32 v23, v12 :: v_dual_ashrrev_i32 v18, 31, v11
	s_mov_b32 s17, s16
	s_delay_alu instid0(SALU_CYCLE_1) | instskip(NEXT) | instid1(VALU_DEP_1)
	s_add_nc_u64 s[18:19], s[14:15], s[16:17]
	v_mov_b32_e32 v19, v18
	s_xor_b64 s[18:19], s[18:19], s[16:17]
	s_delay_alu instid0(SALU_CYCLE_1)
	s_cvt_f32_u32 s0, s18
	s_cvt_f32_u32 s8, s19
	s_sub_nc_u64 s[58:59], 0, s[18:19]
	v_add_nc_u64_e32 v[20:21], v[10:11], v[18:19]
	v_mov_b32_e32 v27, v12
	s_fmamk_f32 s0, s8, 0x4f800000, s0
	s_delay_alu instid0(SALU_CYCLE_3) | instskip(NEXT) | instid1(VALU_DEP_2)
	v_s_rcp_f32 s0, s0
	v_xor_b32_e32 v22, v20, v18
	s_delay_alu instid0(VALU_DEP_3) | instskip(NEXT) | instid1(TRANS32_DEP_1)
	v_dual_mov_b32 v31, v12 :: v_dual_bitop2_b32 v26, v21, v18 bitop3:0x14
	s_mul_f32 s0, s0, 0x5f7ffffc
	s_delay_alu instid0(SALU_CYCLE_3) | instskip(NEXT) | instid1(SALU_CYCLE_3)
	s_mul_f32 s8, s0, 0x2f800000
	s_trunc_f32 s8, s8
	s_delay_alu instid0(SALU_CYCLE_3) | instskip(SKIP_1) | instid1(SALU_CYCLE_2)
	s_fmamk_f32 s0, s8, 0xcf800000, s0
	s_cvt_u32_f32 s35, s8
	s_cvt_u32_f32 s34, s0
	s_delay_alu instid0(SALU_CYCLE_3) | instskip(NEXT) | instid1(SALU_CYCLE_1)
	s_mul_u64 s[60:61], s[58:59], s[34:35]
	s_mul_hi_u32 s69, s34, s61
	s_mul_i32 s68, s34, s61
	s_mul_hi_u32 s8, s34, s60
	s_mul_i32 s17, s35, s60
	s_add_nc_u64 s[68:69], s[8:9], s[68:69]
	s_mul_hi_u32 s0, s35, s60
	s_mul_hi_u32 s31, s35, s61
	s_add_co_u32 s8, s68, s17
	s_add_co_ci_u32 s8, s69, s0
	s_mul_i32 s60, s35, s61
	s_add_co_ci_u32 s61, s31, 0
	s_delay_alu instid0(SALU_CYCLE_1) | instskip(NEXT) | instid1(SALU_CYCLE_1)
	s_add_nc_u64 s[60:61], s[8:9], s[60:61]
	s_add_co_u32 s34, s34, s60
	s_cselect_b32 s0, -1, 0
	s_delay_alu instid0(SALU_CYCLE_1) | instskip(SKIP_1) | instid1(SALU_CYCLE_1)
	s_cmp_lg_u32 s0, 0
	s_add_co_ci_u32 s35, s35, s61
	s_mul_u64 s[58:59], s[58:59], s[34:35]
	s_delay_alu instid0(SALU_CYCLE_1)
	s_mul_hi_u32 s61, s34, s59
	s_mul_i32 s60, s34, s59
	s_mul_hi_u32 s8, s34, s58
	s_mul_i32 s17, s35, s58
	s_add_nc_u64 s[60:61], s[8:9], s[60:61]
	s_mul_hi_u32 s0, s35, s58
	s_mul_hi_u32 s31, s35, s59
	s_add_co_u32 s8, s60, s17
	s_add_co_ci_u32 s8, s61, s0
	s_mul_i32 s58, s35, s59
	s_add_co_ci_u32 s59, s31, 0
	s_delay_alu instid0(SALU_CYCLE_1) | instskip(NEXT) | instid1(SALU_CYCLE_1)
	s_add_nc_u64 s[58:59], s[8:9], s[58:59]
	s_add_co_u32 s0, s34, s58
	s_cselect_b32 s8, -1, 0
	v_mul_hi_u32 v30, v22, s0
	s_cmp_lg_u32 s8, 0
	s_add_co_ci_u32 s8, s35, s59
	s_and_b64 s[34:35], s[0:1], s[6:7]
	v_mul_u64_e32 v[24:25], s[8:9], v[22:23]
	v_mul_u64_e32 v[20:21], s[34:35], v[26:27]
	;; [unrolled: 1-line block ×3, first 2 shown]
	s_delay_alu instid0(VALU_DEP_3) | instskip(NEXT) | instid1(VALU_DEP_1)
	v_add_nc_u64_e32 v[24:25], v[30:31], v[24:25]
	v_add_co_u32 v1, vcc_lo, v24, v20
	s_delay_alu instid0(VALU_DEP_2) | instskip(NEXT) | instid1(VALU_DEP_4)
	v_add_co_ci_u32_e32 v30, vcc_lo, v25, v21, vcc_lo
	v_add_co_ci_u32_e32 v29, vcc_lo, 0, v29, vcc_lo
	s_delay_alu instid0(VALU_DEP_1) | instskip(NEXT) | instid1(VALU_DEP_1)
	v_add_nc_u64_e32 v[20:21], v[30:31], v[28:29]
	v_mul_u64_e32 v[24:25], s[18:19], v[20:21]
	s_delay_alu instid0(VALU_DEP_1) | instskip(NEXT) | instid1(VALU_DEP_2)
	v_sub_nc_u32_e32 v1, v26, v25
	v_sub_co_u32 v3, vcc_lo, v22, v24
	s_delay_alu instid0(VALU_DEP_1) | instskip(NEXT) | instid1(VALU_DEP_3)
	v_sub_co_ci_u32_e64 v7, null, v26, v25, vcc_lo
	v_subrev_co_ci_u32_e64 v1, null, s19, v1, vcc_lo
	s_delay_alu instid0(VALU_DEP_3) | instskip(SKIP_1) | instid1(VALU_DEP_3)
	v_sub_co_u32 v5, s0, v3, s18
	v_add_nc_u64_e32 v[22:23], 2, v[20:21]
	v_subrev_co_ci_u32_e64 v1, null, 0, v1, s0
	s_delay_alu instid0(VALU_DEP_3) | instskip(SKIP_2) | instid1(VALU_DEP_4)
	v_cmp_le_u32_e32 vcc_lo, s18, v5
	v_add_nc_u64_e32 v[24:25], 1, v[20:21]
	v_cndmask_b32_e64 v5, 0, -1, vcc_lo
	v_cmp_le_u32_e32 vcc_lo, s19, v1
	v_cndmask_b32_e64 v13, 0, -1, vcc_lo
	v_cmp_le_u32_e32 vcc_lo, s18, v3
	v_cndmask_b32_e64 v3, 0, -1, vcc_lo
	v_cmp_le_u32_e32 vcc_lo, s19, v7
	v_cndmask_b32_e64 v19, 0, -1, vcc_lo
	v_cmp_eq_u32_e32 vcc_lo, s19, v1
	v_cndmask_b32_e32 v1, v13, v5, vcc_lo
	v_cmp_eq_u32_e32 vcc_lo, s19, v7
	s_delay_alu instid0(VALU_DEP_4) | instskip(NEXT) | instid1(VALU_DEP_3)
	v_cndmask_b32_e32 v3, v19, v3, vcc_lo
	v_cmp_ne_u32_e32 vcc_lo, 0, v1
	s_delay_alu instid0(VALU_DEP_2) | instskip(SKIP_1) | instid1(VALU_DEP_1)
	v_cmp_ne_u32_e64 s0, 0, v3
	v_dual_cndmask_b32 v1, v25, v23, vcc_lo :: v_dual_cndmask_b32 v3, v24, v22, vcc_lo
	v_dual_cndmask_b32 v1, v21, v1, s0 :: v_dual_bitop2_b32 v18, s16, v18 bitop3:0x14
	s_delay_alu instid0(VALU_DEP_1) | instskip(NEXT) | instid1(VALU_DEP_2)
	v_dual_cndmask_b32 v3, v20, v3, s0 :: v_dual_mov_b32 v19, v18
	v_xor_b32_e32 v21, v1, v18
	s_delay_alu instid0(VALU_DEP_2) | instskip(NEXT) | instid1(VALU_DEP_1)
	v_xor_b32_e32 v20, v3, v18
	v_sub_nc_u64_e32 v[18:19], v[20:21], v[18:19]
.LBB63_5765:                            ;   in Loop: Header=BB63_5763 Depth=1
	s_and_not1_saveexec_b32 s0, s30
	s_cbranch_execz .LBB63_5762
; %bb.5766:                             ;   in Loop: Header=BB63_5763 Depth=1
	v_cvt_f32_u32_e32 v1, s14
	s_sub_co_i32 s8, 0, s14
	v_mov_b32_e32 v19, v12
	s_delay_alu instid0(VALU_DEP_2) | instskip(SKIP_1) | instid1(TRANS32_DEP_1)
	v_rcp_iflag_f32_e32 v1, v1
	v_nop
	v_mul_f32_e32 v1, 0x4f7ffffe, v1
	s_delay_alu instid0(VALU_DEP_1) | instskip(NEXT) | instid1(VALU_DEP_1)
	v_cvt_u32_f32_e32 v1, v1
	v_mul_lo_u32 v3, s8, v1
	s_delay_alu instid0(VALU_DEP_1) | instskip(NEXT) | instid1(VALU_DEP_1)
	v_mul_hi_u32 v3, v1, v3
	v_add_nc_u32_e32 v1, v1, v3
	s_delay_alu instid0(VALU_DEP_1) | instskip(NEXT) | instid1(VALU_DEP_1)
	v_mul_hi_u32 v1, v10, v1
	v_mul_lo_u32 v3, v1, s14
	s_delay_alu instid0(VALU_DEP_1) | instskip(NEXT) | instid1(VALU_DEP_1)
	v_sub_nc_u32_e32 v3, v10, v3
	v_subrev_nc_u32_e32 v7, s14, v3
	v_cmp_le_u32_e32 vcc_lo, s14, v3
	s_delay_alu instid0(VALU_DEP_2) | instskip(NEXT) | instid1(VALU_DEP_1)
	v_dual_add_nc_u32 v5, 1, v1 :: v_dual_cndmask_b32 v3, v3, v7, vcc_lo
	v_cndmask_b32_e32 v1, v1, v5, vcc_lo
	s_delay_alu instid0(VALU_DEP_2) | instskip(NEXT) | instid1(VALU_DEP_2)
	v_cmp_le_u32_e32 vcc_lo, s14, v3
	v_add_nc_u32_e32 v5, 1, v1
	s_delay_alu instid0(VALU_DEP_1)
	v_cndmask_b32_e32 v18, v1, v5, vcc_lo
	s_branch .LBB63_5762
.LBB63_5767:
	s_or_b32 exec_lo, exec_lo, s29
	s_mov_b32 s10, -1
	s_mov_b32 s6, s27
	s_mov_b32 s0, exec_lo
	v_cmpx_gt_i64_e64 v[14:15], v[16:17]
	s_cbranch_execz .LBB63_5774
; %bb.5768:
	s_delay_alu instid0(VALU_DEP_2) | instskip(SKIP_2) | instid1(VALU_DEP_1)
	v_lshlrev_b64_e32 v[8:9], 3, v[8:9]
	s_mov_b32 s7, 0
	s_xor_b32 s8, s47, -1
                                        ; implicit-def: $sgpr6
                                        ; implicit-def: $sgpr10
                                        ; implicit-def: $sgpr9
	v_lshl_add_u64 v[10:11], v[16:17], 3, v[8:9]
	s_wait_kmcnt 0x0
	v_add_nc_u64_e32 v[12:13], s[20:21], v[8:9]
	s_delay_alu instid0(VALU_DEP_2) | instskip(NEXT) | instid1(VALU_DEP_1)
	v_add_nc_u64_e32 v[10:11], s[20:21], v[10:11]
	v_add_nc_u64_e32 v[8:9], 8, v[10:11]
	s_delay_alu instid0(VALU_DEP_3)
	v_lshl_add_u64 v[10:11], v[14:15], 3, v[12:13]
	s_branch .LBB63_5770
.LBB63_5769:                            ;   in Loop: Header=BB63_5770 Depth=1
	s_or_b32 exec_lo, exec_lo, s11
	s_xor_b32 s11, s9, -1
	s_and_b32 s12, exec_lo, s10
	s_delay_alu instid0(SALU_CYCLE_1) | instskip(SKIP_2) | instid1(SALU_CYCLE_1)
	s_or_b32 s7, s12, s7
	s_and_not1_b32 s6, s6, exec_lo
	s_and_b32 s11, s11, exec_lo
	s_or_b32 s6, s6, s11
	s_and_not1_b32 exec_lo, exec_lo, s7
	s_cbranch_execz .LBB63_5772
.LBB63_5770:                            ; =>This Inner Loop Header: Depth=1
	s_or_b32 s9, s9, exec_lo
	s_or_b32 s10, s10, exec_lo
	s_mov_b32 s11, exec_lo
	s_delay_alu instid0(VALU_DEP_2)
	v_cmpx_lt_u64_e64 v[8:9], v[10:11]
	s_cbranch_execz .LBB63_5769
; %bb.5771:                             ;   in Loop: Header=BB63_5770 Depth=1
	global_load_b128 v[12:15], v[8:9], off offset:-8
	s_wait_xcnt 0x0
	v_add_nc_u64_e32 v[8:9], 8, v[8:9]
	s_and_not1_b32 s10, s10, exec_lo
	s_and_not1_b32 s9, s9, exec_lo
	s_wait_loadcnt 0x0
	v_cmp_ge_i64_e32 vcc_lo, v[12:13], v[14:15]
	s_or_b32 s12, s8, vcc_lo
	s_delay_alu instid0(SALU_CYCLE_1) | instskip(NEXT) | instid1(SALU_CYCLE_1)
	s_and_b32 s12, s12, exec_lo
	s_or_b32 s10, s10, s12
	s_branch .LBB63_5769
.LBB63_5772:
	s_or_b32 exec_lo, exec_lo, s7
	s_mov_b32 s7, -1
	s_mov_b32 s8, s27
	s_and_saveexec_b32 s9, s6
	s_delay_alu instid0(SALU_CYCLE_1)
	s_xor_b32 s6, exec_lo, s9
	s_cbranch_execnz .LBB63_6096
.LBB63_5773:
	s_or_b32 exec_lo, exec_lo, s6
	s_delay_alu instid0(SALU_CYCLE_1)
	s_and_not1_b32 s6, s27, exec_lo
	s_and_b32 s8, s8, exec_lo
	s_or_not1_b32 s10, s7, exec_lo
	s_or_b32 s6, s6, s8
.LBB63_5774:
	s_or_b32 exec_lo, exec_lo, s0
	s_mov_b32 s8, 0
	s_mov_b32 s9, 0
                                        ; implicit-def: $vgpr42_vgpr43
                                        ; implicit-def: $sgpr0
	s_and_saveexec_b32 s7, s10
	s_cbranch_execz .LBB63_6091
; %bb.5775:
	s_load_b32 s0, s[2:3], 0x2b0
	v_mov_b32_e32 v7, 0
	s_delay_alu instid0(VALU_DEP_1) | instskip(SKIP_2) | instid1(SALU_CYCLE_1)
	v_add_nc_u64_e32 v[6:7], s[4:5], v[6:7]
	s_wait_kmcnt 0x0
	s_and_b32 s0, s0, 0xff
	s_cmp_lt_i32 s0, 11
	s_cbranch_scc1 .LBB63_5824
; %bb.5776:
	s_and_b32 s2, 0xffff, s0
	s_mov_b32 s10, -1
	s_cmp_gt_i32 s2, 25
	s_mov_b32 s3, 0
	s_cbranch_scc0 .LBB63_5801
; %bb.5777:
	s_cmp_gt_i32 s2, 28
	s_cbranch_scc0 .LBB63_5790
; %bb.5778:
	s_cmp_gt_i32 s2, 43
	;; [unrolled: 3-line block ×3, first 2 shown]
	s_cbranch_scc0 .LBB63_5782
; %bb.5780:
	s_mov_b32 s3, -1
	s_mov_b32 s10, 0
	s_cmp_eq_u32 s2, 46
	s_cbranch_scc0 .LBB63_5782
; %bb.5781:
	v_mov_b32_e32 v1, 0
	s_mov_b32 s3, 0
	s_mov_b32 s8, -1
	global_store_b32 v[6:7], v1, off
.LBB63_5782:
	s_and_b32 vcc_lo, exec_lo, s10
	s_cbranch_vccz .LBB63_5785
; %bb.5783:
	s_cmp_eq_u32 s2, 44
	s_mov_b32 s3, -1
	s_cbranch_scc0 .LBB63_5785
; %bb.5784:
	s_wait_xcnt 0x0
	v_mov_b32_e32 v1, 0
	s_mov_b32 s3, 0
	s_mov_b32 s8, -1
	global_store_b8 v[6:7], v1, off
.LBB63_5785:
	s_mov_b32 s10, 0
.LBB63_5786:
	s_delay_alu instid0(SALU_CYCLE_1)
	s_and_b32 vcc_lo, exec_lo, s10
	s_cbranch_vccz .LBB63_5789
; %bb.5787:
	s_cmp_eq_u32 s2, 29
	s_mov_b32 s3, -1
	s_cbranch_scc0 .LBB63_5789
; %bb.5788:
	v_mov_b64_e32 v[8:9], 0
	s_mov_b32 s3, 0
	s_mov_b32 s8, -1
	global_store_b64 v[6:7], v[8:9], off
.LBB63_5789:
	s_mov_b32 s10, 0
.LBB63_5790:
	s_delay_alu instid0(SALU_CYCLE_1)
	s_and_b32 vcc_lo, exec_lo, s10
	s_cbranch_vccz .LBB63_5800
; %bb.5791:
	s_cmp_lt_i32 s2, 27
	s_mov_b32 s8, -1
	s_cbranch_scc1 .LBB63_5797
; %bb.5792:
	s_cmp_gt_i32 s2, 27
	s_cbranch_scc0 .LBB63_5794
; %bb.5793:
	s_wait_xcnt 0x0
	v_mov_b32_e32 v1, 0
	s_mov_b32 s8, 0
	global_store_b32 v[6:7], v1, off
.LBB63_5794:
	s_and_not1_b32 vcc_lo, exec_lo, s8
	s_cbranch_vccnz .LBB63_5796
; %bb.5795:
	s_wait_xcnt 0x0
	v_mov_b32_e32 v1, 0
	global_store_b16 v[6:7], v1, off
.LBB63_5796:
	s_mov_b32 s8, 0
.LBB63_5797:
	s_delay_alu instid0(SALU_CYCLE_1)
	s_and_not1_b32 vcc_lo, exec_lo, s8
	s_cbranch_vccnz .LBB63_5799
; %bb.5798:
	s_wait_xcnt 0x0
	v_mov_b32_e32 v1, 0
	global_store_b8 v[6:7], v1, off
.LBB63_5799:
	s_mov_b32 s8, -1
.LBB63_5800:
	s_mov_b32 s10, 0
.LBB63_5801:
	s_delay_alu instid0(SALU_CYCLE_1)
	s_and_b32 vcc_lo, exec_lo, s10
	s_cbranch_vccz .LBB63_5819
; %bb.5802:
	s_cmp_gt_i32 s2, 22
	s_mov_b32 s9, -1
	s_cbranch_scc0 .LBB63_5812
; %bb.5803:
	s_cmp_lt_i32 s2, 24
	s_mov_b32 s8, -1
	s_cbranch_scc1 .LBB63_5809
; %bb.5804:
	s_cmp_gt_i32 s2, 24
	s_cbranch_scc0 .LBB63_5806
; %bb.5805:
	s_wait_xcnt 0x0
	v_mov_b32_e32 v1, 0
	s_mov_b32 s8, 0
	global_store_b8 v[6:7], v1, off
.LBB63_5806:
	s_and_not1_b32 vcc_lo, exec_lo, s8
	s_cbranch_vccnz .LBB63_5808
; %bb.5807:
	s_wait_xcnt 0x0
	v_mov_b32_e32 v1, 0
	global_store_b8 v[6:7], v1, off
.LBB63_5808:
	s_mov_b32 s8, 0
.LBB63_5809:
	s_delay_alu instid0(SALU_CYCLE_1)
	s_and_not1_b32 vcc_lo, exec_lo, s8
	s_cbranch_vccnz .LBB63_5811
; %bb.5810:
	s_wait_xcnt 0x0
	v_mov_b32_e32 v1, 0
	global_store_b8 v[6:7], v1, off
.LBB63_5811:
	s_mov_b32 s9, 0
	s_mov_b32 s8, -1
.LBB63_5812:
	s_and_not1_b32 vcc_lo, exec_lo, s9
	s_mov_b32 s9, 0
	s_cbranch_vccnz .LBB63_5819
; %bb.5813:
	s_cmp_gt_i32 s2, 14
	s_mov_b32 s9, -1
	s_cbranch_scc0 .LBB63_5817
; %bb.5814:
	s_cmp_eq_u32 s2, 15
	s_mov_b32 s3, -1
	s_cbranch_scc0 .LBB63_5816
; %bb.5815:
	s_wait_xcnt 0x0
	v_mov_b32_e32 v1, 0
	s_mov_b32 s3, 0
	s_mov_b32 s8, -1
	global_store_b16 v[6:7], v1, off
.LBB63_5816:
	s_mov_b32 s9, 0
.LBB63_5817:
	s_delay_alu instid0(SALU_CYCLE_1)
	s_and_b32 vcc_lo, exec_lo, s9
	s_mov_b32 s9, 0
	s_cbranch_vccz .LBB63_5819
; %bb.5818:
	s_cmp_lg_u32 s2, 11
	s_mov_b32 s9, -1
	s_cselect_b32 s3, -1, 0
.LBB63_5819:
	s_delay_alu instid0(SALU_CYCLE_1)
	s_and_b32 vcc_lo, exec_lo, s3
	s_mov_b32 s2, s6
	s_cbranch_vccnz .LBB63_6097
; %bb.5820:
	s_and_not1_b32 vcc_lo, exec_lo, s9
	s_cbranch_vccnz .LBB63_5822
.LBB63_5821:
	s_wait_xcnt 0x0
	v_mov_b32_e32 v1, 0
	s_mov_b32 s8, -1
	global_store_b8 v[6:7], v1, off
.LBB63_5822:
	s_mov_b32 s3, 0
	s_branch .LBB63_5825
.LBB63_5823:
	s_or_b32 s23, s23, exec_lo
	s_trap 2
	s_cbranch_execz .LBB63_5696
	s_branch .LBB63_5697
.LBB63_5824:
	s_mov_b32 s3, -1
	s_mov_b32 s2, s6
.LBB63_5825:
	s_and_b32 vcc_lo, exec_lo, s3
	s_cbranch_vccz .LBB63_5864
; %bb.5826:
	s_and_b32 s3, 0xffff, s0
	s_mov_b32 s8, -1
	s_cmp_lt_i32 s3, 5
	s_cbranch_scc1 .LBB63_5847
; %bb.5827:
	s_cmp_lt_i32 s3, 8
	s_cbranch_scc1 .LBB63_5837
; %bb.5828:
	;; [unrolled: 3-line block ×3, first 2 shown]
	s_cmp_gt_i32 s3, 9
	s_cbranch_scc0 .LBB63_5831
; %bb.5830:
	s_wait_xcnt 0x0
	v_mov_b32_e32 v8, 0
	s_mov_b32 s8, 0
	s_delay_alu instid0(VALU_DEP_1)
	v_dual_mov_b32 v9, v8 :: v_dual_mov_b32 v10, v8
	v_mov_b32_e32 v11, v8
	global_store_b128 v[6:7], v[8:11], off
.LBB63_5831:
	s_and_not1_b32 vcc_lo, exec_lo, s8
	s_cbranch_vccnz .LBB63_5833
; %bb.5832:
	s_wait_xcnt 0x0
	v_mov_b64_e32 v[8:9], 0
	global_store_b64 v[6:7], v[8:9], off
.LBB63_5833:
	s_mov_b32 s8, 0
.LBB63_5834:
	s_delay_alu instid0(SALU_CYCLE_1)
	s_and_not1_b32 vcc_lo, exec_lo, s8
	s_cbranch_vccnz .LBB63_5836
; %bb.5835:
	s_wait_xcnt 0x0
	v_mov_b32_e32 v1, 0
	global_store_b32 v[6:7], v1, off
.LBB63_5836:
	s_mov_b32 s8, 0
.LBB63_5837:
	s_delay_alu instid0(SALU_CYCLE_1)
	s_and_not1_b32 vcc_lo, exec_lo, s8
	s_cbranch_vccnz .LBB63_5846
; %bb.5838:
	s_cmp_lt_i32 s3, 6
	s_mov_b32 s8, -1
	s_cbranch_scc1 .LBB63_5844
; %bb.5839:
	s_cmp_gt_i32 s3, 6
	s_cbranch_scc0 .LBB63_5841
; %bb.5840:
	s_wait_xcnt 0x0
	v_mov_b64_e32 v[8:9], 0
	s_mov_b32 s8, 0
	global_store_b64 v[6:7], v[8:9], off
.LBB63_5841:
	s_and_not1_b32 vcc_lo, exec_lo, s8
	s_cbranch_vccnz .LBB63_5843
; %bb.5842:
	s_wait_xcnt 0x0
	v_mov_b32_e32 v1, 0
	global_store_b32 v[6:7], v1, off
.LBB63_5843:
	s_mov_b32 s8, 0
.LBB63_5844:
	s_delay_alu instid0(SALU_CYCLE_1)
	s_and_not1_b32 vcc_lo, exec_lo, s8
	s_cbranch_vccnz .LBB63_5846
; %bb.5845:
	s_wait_xcnt 0x0
	v_mov_b32_e32 v1, 0
	global_store_b16 v[6:7], v1, off
.LBB63_5846:
	s_mov_b32 s8, 0
.LBB63_5847:
	s_delay_alu instid0(SALU_CYCLE_1)
	s_and_not1_b32 vcc_lo, exec_lo, s8
	s_cbranch_vccnz .LBB63_5863
; %bb.5848:
	s_cmp_lt_i32 s3, 2
	s_mov_b32 s8, -1
	s_cbranch_scc1 .LBB63_5858
; %bb.5849:
	s_cmp_lt_i32 s3, 3
	s_cbranch_scc1 .LBB63_5855
; %bb.5850:
	s_cmp_gt_i32 s3, 3
	s_cbranch_scc0 .LBB63_5852
; %bb.5851:
	s_wait_xcnt 0x0
	v_mov_b64_e32 v[8:9], 0
	s_mov_b32 s8, 0
	global_store_b64 v[6:7], v[8:9], off
.LBB63_5852:
	s_and_not1_b32 vcc_lo, exec_lo, s8
	s_cbranch_vccnz .LBB63_5854
; %bb.5853:
	s_wait_xcnt 0x0
	v_mov_b32_e32 v1, 0
	global_store_b32 v[6:7], v1, off
.LBB63_5854:
	s_mov_b32 s8, 0
.LBB63_5855:
	s_delay_alu instid0(SALU_CYCLE_1)
	s_and_not1_b32 vcc_lo, exec_lo, s8
	s_cbranch_vccnz .LBB63_5857
; %bb.5856:
	s_wait_xcnt 0x0
	v_mov_b32_e32 v1, 0
	global_store_b16 v[6:7], v1, off
.LBB63_5857:
	s_mov_b32 s8, 0
.LBB63_5858:
	s_delay_alu instid0(SALU_CYCLE_1)
	s_and_not1_b32 vcc_lo, exec_lo, s8
	s_cbranch_vccnz .LBB63_5863
; %bb.5859:
	s_cmp_gt_i32 s3, 0
	s_mov_b32 s3, -1
	s_cbranch_scc0 .LBB63_5861
; %bb.5860:
	s_wait_xcnt 0x0
	v_mov_b32_e32 v1, 0
	s_mov_b32 s3, 0
	global_store_b8 v[6:7], v1, off
.LBB63_5861:
	s_and_not1_b32 vcc_lo, exec_lo, s3
	s_cbranch_vccnz .LBB63_5863
; %bb.5862:
	s_wait_xcnt 0x0
	v_mov_b32_e32 v1, 0
	global_store_b8 v[6:7], v1, off
.LBB63_5863:
	s_mov_b32 s8, -1
.LBB63_5864:
	s_delay_alu instid0(SALU_CYCLE_1)
	s_and_not1_b32 vcc_lo, exec_lo, s8
	s_cbranch_vccnz .LBB63_6089
; %bb.5865:
	v_mov_b32_e32 v5, 0
	s_and_b32 s3, 0xffff, s0
	s_delay_alu instid0(SALU_CYCLE_1) | instskip(NEXT) | instid1(VALU_DEP_1)
	s_cmp_lt_i32 s3, 11
	v_add_nc_u64_e32 v[4:5], s[4:5], v[4:5]
	s_cbranch_scc1 .LBB63_5913
; %bb.5866:
	s_mov_b32 s11, -1
	s_mov_b32 s10, 0
	s_cmp_gt_i32 s3, 25
	s_mov_b32 s9, 0
	s_mov_b32 s8, 0
	s_cbranch_scc0 .LBB63_5891
; %bb.5867:
	s_cmp_gt_i32 s3, 28
	s_cbranch_scc0 .LBB63_5880
; %bb.5868:
	s_cmp_gt_i32 s3, 43
	;; [unrolled: 3-line block ×3, first 2 shown]
	s_cbranch_scc0 .LBB63_5872
; %bb.5870:
	s_mov_b32 s8, -1
	s_mov_b32 s11, 0
	s_cmp_eq_u32 s3, 46
	s_cbranch_scc0 .LBB63_5872
; %bb.5871:
	s_wait_xcnt 0x0
	v_mov_b32_e32 v1, 0
	s_mov_b32 s8, 0
	s_mov_b32 s9, -1
	global_store_b32 v[4:5], v1, off
.LBB63_5872:
	s_and_b32 vcc_lo, exec_lo, s11
	s_cbranch_vccz .LBB63_5875
; %bb.5873:
	s_cmp_eq_u32 s3, 44
	s_mov_b32 s8, -1
	s_cbranch_scc0 .LBB63_5875
; %bb.5874:
	s_wait_xcnt 0x0
	v_mov_b32_e32 v1, 0
	s_mov_b32 s8, 0
	s_mov_b32 s9, -1
	global_store_b8 v[4:5], v1, off
.LBB63_5875:
	s_mov_b32 s11, 0
.LBB63_5876:
	s_delay_alu instid0(SALU_CYCLE_1)
	s_and_b32 vcc_lo, exec_lo, s11
	s_cbranch_vccz .LBB63_5879
; %bb.5877:
	s_cmp_eq_u32 s3, 29
	s_mov_b32 s8, -1
	s_cbranch_scc0 .LBB63_5879
; %bb.5878:
	s_wait_xcnt 0x0
	v_mov_b64_e32 v[6:7], 0
	s_mov_b32 s8, 0
	s_mov_b32 s9, -1
	global_store_b64 v[4:5], v[6:7], off
.LBB63_5879:
	s_mov_b32 s11, 0
.LBB63_5880:
	s_delay_alu instid0(SALU_CYCLE_1)
	s_and_b32 vcc_lo, exec_lo, s11
	s_cbranch_vccz .LBB63_5890
; %bb.5881:
	s_cmp_lt_i32 s3, 27
	s_mov_b32 s9, -1
	s_cbranch_scc1 .LBB63_5887
; %bb.5882:
	s_cmp_gt_i32 s3, 27
	s_cbranch_scc0 .LBB63_5884
; %bb.5883:
	s_wait_xcnt 0x0
	v_mov_b32_e32 v1, 0
	s_mov_b32 s9, 0
	global_store_b32 v[4:5], v1, off
.LBB63_5884:
	s_and_not1_b32 vcc_lo, exec_lo, s9
	s_cbranch_vccnz .LBB63_5886
; %bb.5885:
	s_wait_xcnt 0x0
	v_mov_b32_e32 v1, 0
	global_store_b16 v[4:5], v1, off
.LBB63_5886:
	s_mov_b32 s9, 0
.LBB63_5887:
	s_delay_alu instid0(SALU_CYCLE_1)
	s_and_not1_b32 vcc_lo, exec_lo, s9
	s_cbranch_vccnz .LBB63_5889
; %bb.5888:
	s_wait_xcnt 0x0
	v_mov_b32_e32 v1, 0
	global_store_b8 v[4:5], v1, off
.LBB63_5889:
	s_mov_b32 s9, -1
.LBB63_5890:
	s_mov_b32 s11, 0
.LBB63_5891:
	s_delay_alu instid0(SALU_CYCLE_1)
	s_and_b32 vcc_lo, exec_lo, s11
	s_cbranch_vccz .LBB63_5909
; %bb.5892:
	s_cmp_gt_i32 s3, 22
	s_mov_b32 s10, -1
	s_cbranch_scc0 .LBB63_5902
; %bb.5893:
	s_cmp_lt_i32 s3, 24
	s_mov_b32 s9, -1
	s_cbranch_scc1 .LBB63_5899
; %bb.5894:
	s_cmp_gt_i32 s3, 24
	s_cbranch_scc0 .LBB63_5896
; %bb.5895:
	s_wait_xcnt 0x0
	v_mov_b32_e32 v1, 0
	s_mov_b32 s9, 0
	global_store_b8 v[4:5], v1, off
.LBB63_5896:
	s_and_not1_b32 vcc_lo, exec_lo, s9
	s_cbranch_vccnz .LBB63_5898
; %bb.5897:
	s_wait_xcnt 0x0
	v_mov_b32_e32 v1, 0
	global_store_b8 v[4:5], v1, off
.LBB63_5898:
	s_mov_b32 s9, 0
.LBB63_5899:
	s_delay_alu instid0(SALU_CYCLE_1)
	s_and_not1_b32 vcc_lo, exec_lo, s9
	s_cbranch_vccnz .LBB63_5901
; %bb.5900:
	s_wait_xcnt 0x0
	v_mov_b32_e32 v1, 0
	global_store_b8 v[4:5], v1, off
.LBB63_5901:
	s_mov_b32 s10, 0
	s_mov_b32 s9, -1
.LBB63_5902:
	s_and_not1_b32 vcc_lo, exec_lo, s10
	s_mov_b32 s10, 0
	s_cbranch_vccnz .LBB63_5909
; %bb.5903:
	s_cmp_gt_i32 s3, 14
	s_mov_b32 s10, -1
	s_cbranch_scc0 .LBB63_5907
; %bb.5904:
	s_cmp_eq_u32 s3, 15
	s_mov_b32 s8, -1
	s_cbranch_scc0 .LBB63_5906
; %bb.5905:
	s_wait_xcnt 0x0
	v_mov_b32_e32 v1, 0
	s_mov_b32 s8, 0
	s_mov_b32 s9, -1
	global_store_b16 v[4:5], v1, off
.LBB63_5906:
	s_mov_b32 s10, 0
.LBB63_5907:
	s_delay_alu instid0(SALU_CYCLE_1)
	s_and_b32 vcc_lo, exec_lo, s10
	s_mov_b32 s10, 0
	s_cbranch_vccz .LBB63_5909
; %bb.5908:
	s_cmp_lg_u32 s3, 11
	s_mov_b32 s10, -1
	s_cselect_b32 s8, -1, 0
.LBB63_5909:
	s_delay_alu instid0(SALU_CYCLE_1)
	s_and_b32 vcc_lo, exec_lo, s8
	s_cbranch_vccnz .LBB63_6098
; %bb.5910:
	s_and_not1_b32 vcc_lo, exec_lo, s10
	s_cbranch_vccnz .LBB63_5912
.LBB63_5911:
	s_wait_xcnt 0x0
	v_mov_b32_e32 v1, 0
	s_mov_b32 s9, -1
	global_store_b8 v[4:5], v1, off
.LBB63_5912:
	s_mov_b32 s8, 0
	s_branch .LBB63_5914
.LBB63_5913:
	s_mov_b32 s8, -1
	s_mov_b32 s9, 0
.LBB63_5914:
	s_and_b32 vcc_lo, exec_lo, s8
	s_cbranch_vccz .LBB63_5953
; %bb.5915:
	s_cmp_lt_i32 s3, 5
	s_mov_b32 s8, -1
	s_cbranch_scc1 .LBB63_5936
; %bb.5916:
	s_cmp_lt_i32 s3, 8
	s_cbranch_scc1 .LBB63_5926
; %bb.5917:
	s_cmp_lt_i32 s3, 9
	s_cbranch_scc1 .LBB63_5923
; %bb.5918:
	s_cmp_gt_i32 s3, 9
	s_cbranch_scc0 .LBB63_5920
; %bb.5919:
	s_wait_xcnt 0x0
	v_mov_b32_e32 v6, 0
	s_mov_b32 s8, 0
	s_delay_alu instid0(VALU_DEP_1)
	v_dual_mov_b32 v7, v6 :: v_dual_mov_b32 v8, v6
	v_mov_b32_e32 v9, v6
	global_store_b128 v[4:5], v[6:9], off
.LBB63_5920:
	s_and_not1_b32 vcc_lo, exec_lo, s8
	s_cbranch_vccnz .LBB63_5922
; %bb.5921:
	s_wait_xcnt 0x0
	v_mov_b64_e32 v[6:7], 0
	global_store_b64 v[4:5], v[6:7], off
.LBB63_5922:
	s_mov_b32 s8, 0
.LBB63_5923:
	s_delay_alu instid0(SALU_CYCLE_1)
	s_and_not1_b32 vcc_lo, exec_lo, s8
	s_cbranch_vccnz .LBB63_5925
; %bb.5924:
	s_wait_xcnt 0x0
	v_mov_b32_e32 v1, 0
	global_store_b32 v[4:5], v1, off
.LBB63_5925:
	s_mov_b32 s8, 0
.LBB63_5926:
	s_delay_alu instid0(SALU_CYCLE_1)
	s_and_not1_b32 vcc_lo, exec_lo, s8
	s_cbranch_vccnz .LBB63_5935
; %bb.5927:
	s_cmp_lt_i32 s3, 6
	s_mov_b32 s8, -1
	s_cbranch_scc1 .LBB63_5933
; %bb.5928:
	s_cmp_gt_i32 s3, 6
	s_cbranch_scc0 .LBB63_5930
; %bb.5929:
	s_wait_xcnt 0x0
	v_mov_b64_e32 v[6:7], 0
	s_mov_b32 s8, 0
	global_store_b64 v[4:5], v[6:7], off
.LBB63_5930:
	s_and_not1_b32 vcc_lo, exec_lo, s8
	s_cbranch_vccnz .LBB63_5932
; %bb.5931:
	s_wait_xcnt 0x0
	v_mov_b32_e32 v1, 0
	global_store_b32 v[4:5], v1, off
.LBB63_5932:
	s_mov_b32 s8, 0
.LBB63_5933:
	s_delay_alu instid0(SALU_CYCLE_1)
	s_and_not1_b32 vcc_lo, exec_lo, s8
	s_cbranch_vccnz .LBB63_5935
; %bb.5934:
	s_wait_xcnt 0x0
	v_mov_b32_e32 v1, 0
	global_store_b16 v[4:5], v1, off
.LBB63_5935:
	s_mov_b32 s8, 0
.LBB63_5936:
	s_delay_alu instid0(SALU_CYCLE_1)
	s_and_not1_b32 vcc_lo, exec_lo, s8
	s_cbranch_vccnz .LBB63_5952
; %bb.5937:
	s_cmp_lt_i32 s3, 2
	s_mov_b32 s8, -1
	s_cbranch_scc1 .LBB63_5947
; %bb.5938:
	s_cmp_lt_i32 s3, 3
	s_cbranch_scc1 .LBB63_5944
; %bb.5939:
	s_cmp_gt_i32 s3, 3
	s_cbranch_scc0 .LBB63_5941
; %bb.5940:
	s_wait_xcnt 0x0
	v_mov_b64_e32 v[6:7], 0
	s_mov_b32 s8, 0
	global_store_b64 v[4:5], v[6:7], off
.LBB63_5941:
	s_and_not1_b32 vcc_lo, exec_lo, s8
	s_cbranch_vccnz .LBB63_5943
; %bb.5942:
	s_wait_xcnt 0x0
	v_mov_b32_e32 v1, 0
	global_store_b32 v[4:5], v1, off
.LBB63_5943:
	s_mov_b32 s8, 0
.LBB63_5944:
	s_delay_alu instid0(SALU_CYCLE_1)
	s_and_not1_b32 vcc_lo, exec_lo, s8
	s_cbranch_vccnz .LBB63_5946
; %bb.5945:
	s_wait_xcnt 0x0
	v_mov_b32_e32 v1, 0
	global_store_b16 v[4:5], v1, off
.LBB63_5946:
	s_mov_b32 s8, 0
.LBB63_5947:
	s_delay_alu instid0(SALU_CYCLE_1)
	s_and_not1_b32 vcc_lo, exec_lo, s8
	s_cbranch_vccnz .LBB63_5952
; %bb.5948:
	s_cmp_gt_i32 s3, 0
	s_mov_b32 s8, -1
	s_cbranch_scc0 .LBB63_5950
; %bb.5949:
	s_wait_xcnt 0x0
	v_mov_b32_e32 v1, 0
	s_mov_b32 s8, 0
	global_store_b8 v[4:5], v1, off
.LBB63_5950:
	s_and_not1_b32 vcc_lo, exec_lo, s8
	s_cbranch_vccnz .LBB63_5952
; %bb.5951:
	s_wait_xcnt 0x0
	v_mov_b32_e32 v1, 0
	global_store_b8 v[4:5], v1, off
.LBB63_5952:
	s_mov_b32 s9, -1
.LBB63_5953:
	s_delay_alu instid0(SALU_CYCLE_1)
	s_and_not1_b32 vcc_lo, exec_lo, s9
	s_cbranch_vccnz .LBB63_6089
; %bb.5954:
	v_mov_b32_e32 v3, 0
	s_cmp_lt_i32 s3, 11
	s_delay_alu instid0(VALU_DEP_1)
	v_add_nc_u64_e32 v[2:3], s[4:5], v[2:3]
	s_cbranch_scc1 .LBB63_6002
; %bb.5955:
	s_mov_b32 s11, -1
	s_mov_b32 s10, 0
	s_cmp_gt_i32 s3, 25
	s_mov_b32 s9, 0
	s_mov_b32 s8, 0
	s_cbranch_scc0 .LBB63_5980
; %bb.5956:
	s_cmp_gt_i32 s3, 28
	s_cbranch_scc0 .LBB63_5969
; %bb.5957:
	s_cmp_gt_i32 s3, 43
	;; [unrolled: 3-line block ×3, first 2 shown]
	s_cbranch_scc0 .LBB63_5961
; %bb.5959:
	s_mov_b32 s8, -1
	s_mov_b32 s11, 0
	s_cmp_eq_u32 s3, 46
	s_cbranch_scc0 .LBB63_5961
; %bb.5960:
	s_wait_xcnt 0x0
	v_mov_b32_e32 v1, 0
	s_mov_b32 s8, 0
	s_mov_b32 s9, -1
	global_store_b32 v[2:3], v1, off
.LBB63_5961:
	s_and_b32 vcc_lo, exec_lo, s11
	s_cbranch_vccz .LBB63_5964
; %bb.5962:
	s_cmp_eq_u32 s3, 44
	s_mov_b32 s8, -1
	s_cbranch_scc0 .LBB63_5964
; %bb.5963:
	s_wait_xcnt 0x0
	v_mov_b32_e32 v1, 0
	s_mov_b32 s8, 0
	s_mov_b32 s9, -1
	global_store_b8 v[2:3], v1, off
.LBB63_5964:
	s_mov_b32 s11, 0
.LBB63_5965:
	s_delay_alu instid0(SALU_CYCLE_1)
	s_and_b32 vcc_lo, exec_lo, s11
	s_cbranch_vccz .LBB63_5968
; %bb.5966:
	s_cmp_eq_u32 s3, 29
	s_mov_b32 s8, -1
	s_cbranch_scc0 .LBB63_5968
; %bb.5967:
	s_wait_xcnt 0x0
	v_mov_b64_e32 v[4:5], 0
	s_mov_b32 s8, 0
	s_mov_b32 s9, -1
	global_store_b64 v[2:3], v[4:5], off
.LBB63_5968:
	s_mov_b32 s11, 0
.LBB63_5969:
	s_delay_alu instid0(SALU_CYCLE_1)
	s_and_b32 vcc_lo, exec_lo, s11
	s_cbranch_vccz .LBB63_5979
; %bb.5970:
	s_cmp_lt_i32 s3, 27
	s_mov_b32 s9, -1
	s_cbranch_scc1 .LBB63_5976
; %bb.5971:
	s_cmp_gt_i32 s3, 27
	s_cbranch_scc0 .LBB63_5973
; %bb.5972:
	s_wait_xcnt 0x0
	v_mov_b32_e32 v1, 0
	s_mov_b32 s9, 0
	global_store_b32 v[2:3], v1, off
.LBB63_5973:
	s_and_not1_b32 vcc_lo, exec_lo, s9
	s_cbranch_vccnz .LBB63_5975
; %bb.5974:
	s_wait_xcnt 0x0
	v_mov_b32_e32 v1, 0
	global_store_b16 v[2:3], v1, off
.LBB63_5975:
	s_mov_b32 s9, 0
.LBB63_5976:
	s_delay_alu instid0(SALU_CYCLE_1)
	s_and_not1_b32 vcc_lo, exec_lo, s9
	s_cbranch_vccnz .LBB63_5978
; %bb.5977:
	s_wait_xcnt 0x0
	v_mov_b32_e32 v1, 0
	global_store_b8 v[2:3], v1, off
.LBB63_5978:
	s_mov_b32 s9, -1
.LBB63_5979:
	s_mov_b32 s11, 0
.LBB63_5980:
	s_delay_alu instid0(SALU_CYCLE_1)
	s_and_b32 vcc_lo, exec_lo, s11
	s_cbranch_vccz .LBB63_5998
; %bb.5981:
	s_cmp_gt_i32 s3, 22
	s_mov_b32 s10, -1
	s_cbranch_scc0 .LBB63_5991
; %bb.5982:
	s_cmp_lt_i32 s3, 24
	s_mov_b32 s9, -1
	s_cbranch_scc1 .LBB63_5988
; %bb.5983:
	s_cmp_gt_i32 s3, 24
	s_cbranch_scc0 .LBB63_5985
; %bb.5984:
	s_wait_xcnt 0x0
	v_mov_b32_e32 v1, 0
	s_mov_b32 s9, 0
	global_store_b8 v[2:3], v1, off
.LBB63_5985:
	s_and_not1_b32 vcc_lo, exec_lo, s9
	s_cbranch_vccnz .LBB63_5987
; %bb.5986:
	s_wait_xcnt 0x0
	v_mov_b32_e32 v1, 0
	global_store_b8 v[2:3], v1, off
.LBB63_5987:
	s_mov_b32 s9, 0
.LBB63_5988:
	s_delay_alu instid0(SALU_CYCLE_1)
	s_and_not1_b32 vcc_lo, exec_lo, s9
	s_cbranch_vccnz .LBB63_5990
; %bb.5989:
	s_wait_xcnt 0x0
	v_mov_b32_e32 v1, 0
	global_store_b8 v[2:3], v1, off
.LBB63_5990:
	s_mov_b32 s10, 0
	s_mov_b32 s9, -1
.LBB63_5991:
	s_and_not1_b32 vcc_lo, exec_lo, s10
	s_mov_b32 s10, 0
	s_cbranch_vccnz .LBB63_5998
; %bb.5992:
	s_cmp_gt_i32 s3, 14
	s_mov_b32 s10, -1
	s_cbranch_scc0 .LBB63_5996
; %bb.5993:
	s_cmp_eq_u32 s3, 15
	s_mov_b32 s8, -1
	s_cbranch_scc0 .LBB63_5995
; %bb.5994:
	s_wait_xcnt 0x0
	v_mov_b32_e32 v1, 0
	s_mov_b32 s8, 0
	s_mov_b32 s9, -1
	global_store_b16 v[2:3], v1, off
.LBB63_5995:
	s_mov_b32 s10, 0
.LBB63_5996:
	s_delay_alu instid0(SALU_CYCLE_1)
	s_and_b32 vcc_lo, exec_lo, s10
	s_mov_b32 s10, 0
	s_cbranch_vccz .LBB63_5998
; %bb.5997:
	s_cmp_lg_u32 s3, 11
	s_mov_b32 s10, -1
	s_cselect_b32 s8, -1, 0
.LBB63_5998:
	s_delay_alu instid0(SALU_CYCLE_1)
	s_and_b32 vcc_lo, exec_lo, s8
	s_cbranch_vccnz .LBB63_6100
; %bb.5999:
	s_and_not1_b32 vcc_lo, exec_lo, s10
	s_cbranch_vccnz .LBB63_6001
.LBB63_6000:
	s_wait_xcnt 0x0
	v_mov_b32_e32 v1, 0
	s_mov_b32 s9, -1
	global_store_b8 v[2:3], v1, off
.LBB63_6001:
	s_mov_b32 s8, 0
	s_branch .LBB63_6003
.LBB63_6002:
	s_mov_b32 s8, -1
	s_mov_b32 s9, 0
.LBB63_6003:
	s_and_b32 vcc_lo, exec_lo, s8
	s_cbranch_vccz .LBB63_6042
; %bb.6004:
	s_cmp_lt_i32 s3, 5
	s_mov_b32 s8, -1
	s_cbranch_scc1 .LBB63_6025
; %bb.6005:
	s_cmp_lt_i32 s3, 8
	s_cbranch_scc1 .LBB63_6015
; %bb.6006:
	s_cmp_lt_i32 s3, 9
	s_cbranch_scc1 .LBB63_6012
; %bb.6007:
	s_cmp_gt_i32 s3, 9
	s_cbranch_scc0 .LBB63_6009
; %bb.6008:
	s_wait_xcnt 0x0
	v_mov_b32_e32 v4, 0
	s_mov_b32 s8, 0
	s_delay_alu instid0(VALU_DEP_1)
	v_dual_mov_b32 v5, v4 :: v_dual_mov_b32 v6, v4
	v_mov_b32_e32 v7, v4
	global_store_b128 v[2:3], v[4:7], off
.LBB63_6009:
	s_and_not1_b32 vcc_lo, exec_lo, s8
	s_cbranch_vccnz .LBB63_6011
; %bb.6010:
	s_wait_xcnt 0x0
	v_mov_b64_e32 v[4:5], 0
	global_store_b64 v[2:3], v[4:5], off
.LBB63_6011:
	s_mov_b32 s8, 0
.LBB63_6012:
	s_delay_alu instid0(SALU_CYCLE_1)
	s_and_not1_b32 vcc_lo, exec_lo, s8
	s_cbranch_vccnz .LBB63_6014
; %bb.6013:
	s_wait_xcnt 0x0
	v_mov_b32_e32 v1, 0
	global_store_b32 v[2:3], v1, off
.LBB63_6014:
	s_mov_b32 s8, 0
.LBB63_6015:
	s_delay_alu instid0(SALU_CYCLE_1)
	s_and_not1_b32 vcc_lo, exec_lo, s8
	s_cbranch_vccnz .LBB63_6024
; %bb.6016:
	s_cmp_lt_i32 s3, 6
	s_mov_b32 s8, -1
	s_cbranch_scc1 .LBB63_6022
; %bb.6017:
	s_cmp_gt_i32 s3, 6
	s_cbranch_scc0 .LBB63_6019
; %bb.6018:
	s_wait_xcnt 0x0
	v_mov_b64_e32 v[4:5], 0
	s_mov_b32 s8, 0
	global_store_b64 v[2:3], v[4:5], off
.LBB63_6019:
	s_and_not1_b32 vcc_lo, exec_lo, s8
	s_cbranch_vccnz .LBB63_6021
; %bb.6020:
	s_wait_xcnt 0x0
	v_mov_b32_e32 v1, 0
	global_store_b32 v[2:3], v1, off
.LBB63_6021:
	s_mov_b32 s8, 0
.LBB63_6022:
	s_delay_alu instid0(SALU_CYCLE_1)
	s_and_not1_b32 vcc_lo, exec_lo, s8
	s_cbranch_vccnz .LBB63_6024
; %bb.6023:
	s_wait_xcnt 0x0
	v_mov_b32_e32 v1, 0
	global_store_b16 v[2:3], v1, off
.LBB63_6024:
	s_mov_b32 s8, 0
.LBB63_6025:
	s_delay_alu instid0(SALU_CYCLE_1)
	s_and_not1_b32 vcc_lo, exec_lo, s8
	s_cbranch_vccnz .LBB63_6041
; %bb.6026:
	s_cmp_lt_i32 s3, 2
	s_mov_b32 s8, -1
	s_cbranch_scc1 .LBB63_6036
; %bb.6027:
	s_cmp_lt_i32 s3, 3
	s_cbranch_scc1 .LBB63_6033
; %bb.6028:
	s_cmp_gt_i32 s3, 3
	s_cbranch_scc0 .LBB63_6030
; %bb.6029:
	s_wait_xcnt 0x0
	v_mov_b64_e32 v[4:5], 0
	s_mov_b32 s8, 0
	global_store_b64 v[2:3], v[4:5], off
.LBB63_6030:
	s_and_not1_b32 vcc_lo, exec_lo, s8
	s_cbranch_vccnz .LBB63_6032
; %bb.6031:
	s_wait_xcnt 0x0
	v_mov_b32_e32 v1, 0
	global_store_b32 v[2:3], v1, off
.LBB63_6032:
	s_mov_b32 s8, 0
.LBB63_6033:
	s_delay_alu instid0(SALU_CYCLE_1)
	s_and_not1_b32 vcc_lo, exec_lo, s8
	s_cbranch_vccnz .LBB63_6035
; %bb.6034:
	s_wait_xcnt 0x0
	v_mov_b32_e32 v1, 0
	global_store_b16 v[2:3], v1, off
.LBB63_6035:
	s_mov_b32 s8, 0
.LBB63_6036:
	s_delay_alu instid0(SALU_CYCLE_1)
	s_and_not1_b32 vcc_lo, exec_lo, s8
	s_cbranch_vccnz .LBB63_6041
; %bb.6037:
	s_cmp_gt_i32 s3, 0
	s_mov_b32 s8, -1
	s_cbranch_scc0 .LBB63_6039
; %bb.6038:
	s_wait_xcnt 0x0
	v_mov_b32_e32 v1, 0
	s_mov_b32 s8, 0
	global_store_b8 v[2:3], v1, off
.LBB63_6039:
	s_and_not1_b32 vcc_lo, exec_lo, s8
	s_cbranch_vccnz .LBB63_6041
; %bb.6040:
	s_wait_xcnt 0x0
	v_mov_b32_e32 v1, 0
	global_store_b8 v[2:3], v1, off
.LBB63_6041:
	s_mov_b32 s9, -1
.LBB63_6042:
	s_delay_alu instid0(SALU_CYCLE_1)
	s_and_not1_b32 vcc_lo, exec_lo, s9
	s_cbranch_vccnz .LBB63_6089
; %bb.6043:
	s_wait_xcnt 0x0
	v_mov_b32_e32 v1, 0
	s_cmp_lt_i32 s3, 11
	s_delay_alu instid0(VALU_DEP_1)
	v_add_nc_u64_e32 v[42:43], s[4:5], v[0:1]
	s_cbranch_scc1 .LBB63_6095
; %bb.6044:
	s_mov_b32 s8, -1
	s_mov_b32 s4, 0
	s_cmp_gt_i32 s3, 25
	s_mov_b32 s5, 0
	s_cbranch_scc0 .LBB63_6069
; %bb.6045:
	s_cmp_gt_i32 s3, 28
	s_cbranch_scc0 .LBB63_6059
; %bb.6046:
	s_cmp_gt_i32 s3, 43
	;; [unrolled: 3-line block ×3, first 2 shown]
	s_cbranch_scc0 .LBB63_6051
; %bb.6048:
	s_cmp_eq_u32 s3, 46
	s_mov_b32 s5, -1
	s_cbranch_scc0 .LBB63_6050
; %bb.6049:
	v_mov_b32_e32 v0, 0
	s_mov_b32 s5, 0
	global_store_b32 v[42:43], v0, off
.LBB63_6050:
	s_mov_b32 s8, 0
.LBB63_6051:
	s_delay_alu instid0(SALU_CYCLE_1)
	s_and_b32 vcc_lo, exec_lo, s8
	s_cbranch_vccz .LBB63_6054
; %bb.6052:
	s_cmp_eq_u32 s3, 44
	s_mov_b32 s5, -1
	s_cbranch_scc0 .LBB63_6054
; %bb.6053:
	s_wait_xcnt 0x0
	v_mov_b32_e32 v0, 0
	s_mov_b32 s5, 0
	global_store_b8 v[42:43], v0, off
.LBB63_6054:
	s_mov_b32 s8, 0
.LBB63_6055:
	s_delay_alu instid0(SALU_CYCLE_1)
	s_and_b32 vcc_lo, exec_lo, s8
	s_cbranch_vccz .LBB63_6058
; %bb.6056:
	s_cmp_eq_u32 s3, 29
	s_mov_b32 s5, -1
	s_cbranch_scc0 .LBB63_6058
; %bb.6057:
	s_wait_xcnt 0x0
	v_mov_b64_e32 v[0:1], 0
	s_mov_b32 s5, 0
	global_store_b64 v[42:43], v[0:1], off
.LBB63_6058:
	s_mov_b32 s8, 0
.LBB63_6059:
	s_delay_alu instid0(SALU_CYCLE_1)
	s_and_b32 vcc_lo, exec_lo, s8
	s_cbranch_vccz .LBB63_6068
; %bb.6060:
	s_cmp_lt_i32 s3, 27
	s_mov_b32 s8, -1
	s_cbranch_scc1 .LBB63_6066
; %bb.6061:
	s_cmp_gt_i32 s3, 27
	s_cbranch_scc0 .LBB63_6063
; %bb.6062:
	s_wait_xcnt 0x0
	v_mov_b32_e32 v0, 0
	s_mov_b32 s8, 0
	global_store_b32 v[42:43], v0, off
.LBB63_6063:
	s_and_not1_b32 vcc_lo, exec_lo, s8
	s_cbranch_vccnz .LBB63_6065
; %bb.6064:
	s_wait_xcnt 0x0
	v_mov_b32_e32 v0, 0
	global_store_b16 v[42:43], v0, off
.LBB63_6065:
	s_mov_b32 s8, 0
.LBB63_6066:
	s_delay_alu instid0(SALU_CYCLE_1)
	s_and_not1_b32 vcc_lo, exec_lo, s8
	s_cbranch_vccnz .LBB63_6068
; %bb.6067:
	s_wait_xcnt 0x0
	v_mov_b32_e32 v0, 0
	global_store_b8 v[42:43], v0, off
.LBB63_6068:
	s_mov_b32 s8, 0
.LBB63_6069:
	s_delay_alu instid0(SALU_CYCLE_1)
	s_and_b32 vcc_lo, exec_lo, s8
	s_cbranch_vccz .LBB63_6087
; %bb.6070:
	s_cmp_gt_i32 s3, 22
	s_mov_b32 s4, -1
	s_cbranch_scc0 .LBB63_6080
; %bb.6071:
	s_cmp_lt_i32 s3, 24
	s_cbranch_scc1 .LBB63_6077
; %bb.6072:
	s_cmp_gt_i32 s3, 24
	s_cbranch_scc0 .LBB63_6074
; %bb.6073:
	s_wait_xcnt 0x0
	v_mov_b32_e32 v0, 0
	s_mov_b32 s4, 0
	global_store_b8 v[42:43], v0, off
.LBB63_6074:
	s_and_not1_b32 vcc_lo, exec_lo, s4
	s_cbranch_vccnz .LBB63_6076
; %bb.6075:
	s_wait_xcnt 0x0
	v_mov_b32_e32 v0, 0
	global_store_b8 v[42:43], v0, off
.LBB63_6076:
	s_mov_b32 s4, 0
.LBB63_6077:
	s_delay_alu instid0(SALU_CYCLE_1)
	s_and_not1_b32 vcc_lo, exec_lo, s4
	s_cbranch_vccnz .LBB63_6079
; %bb.6078:
	s_wait_xcnt 0x0
	v_mov_b32_e32 v0, 0
	global_store_b8 v[42:43], v0, off
.LBB63_6079:
	s_mov_b32 s4, 0
.LBB63_6080:
	s_delay_alu instid0(SALU_CYCLE_1)
	s_and_not1_b32 vcc_lo, exec_lo, s4
	s_mov_b32 s4, 0
	s_cbranch_vccnz .LBB63_6087
; %bb.6081:
	s_cmp_gt_i32 s3, 14
	s_mov_b32 s4, -1
	s_cbranch_scc0 .LBB63_6085
; %bb.6082:
	s_cmp_eq_u32 s3, 15
	s_mov_b32 s5, -1
	s_cbranch_scc0 .LBB63_6084
; %bb.6083:
	s_wait_xcnt 0x0
	v_mov_b32_e32 v0, 0
	s_mov_b32 s5, 0
	global_store_b16 v[42:43], v0, off
.LBB63_6084:
	s_mov_b32 s4, 0
.LBB63_6085:
	s_delay_alu instid0(SALU_CYCLE_1)
	s_and_b32 vcc_lo, exec_lo, s4
	s_mov_b32 s4, 0
	s_cbranch_vccz .LBB63_6087
; %bb.6086:
	s_cmp_lg_u32 s3, 11
	s_mov_b32 s4, -1
	s_cselect_b32 s5, -1, 0
.LBB63_6087:
	s_delay_alu instid0(SALU_CYCLE_1)
	s_and_b32 vcc_lo, exec_lo, s5
	s_cbranch_vccnz .LBB63_6102
.LBB63_6088:
	s_mov_b32 s3, 0
	s_branch .LBB63_6090
.LBB63_6089:
	s_mov_b32 s3, 0
	s_mov_b32 s4, 0
                                        ; implicit-def: $vgpr42_vgpr43
                                        ; implicit-def: $sgpr0
.LBB63_6090:
	s_and_b32 s9, s3, exec_lo
	s_and_not1_b32 s3, s6, exec_lo
	s_and_b32 s2, s2, exec_lo
	s_and_b32 s8, s4, exec_lo
	s_or_b32 s6, s3, s2
.LBB63_6091:
	s_wait_xcnt 0x0
	s_or_b32 exec_lo, exec_lo, s7
	s_delay_alu instid0(SALU_CYCLE_1)
	s_and_not1_b32 s2, s27, exec_lo
	s_and_b32 s3, s6, exec_lo
	s_and_b32 s7, s9, exec_lo
	;; [unrolled: 1-line block ×3, first 2 shown]
	s_or_b32 s27, s2, s3
.LBB63_6092:
	s_or_b32 exec_lo, exec_lo, s28
	s_delay_alu instid0(SALU_CYCLE_1)
	s_and_not1_b32 s2, s25, exec_lo
	s_and_b32 s3, s27, exec_lo
	s_and_b32 s7, s7, exec_lo
	s_and_b32 s6, s6, exec_lo
	s_or_b32 s25, s2, s3
.LBB63_6093:
	s_or_b32 exec_lo, exec_lo, s26
	s_delay_alu instid0(SALU_CYCLE_1)
	s_and_not1_b32 s2, s23, exec_lo
	s_and_b32 s3, s25, exec_lo
	s_and_b32 s7, s7, exec_lo
	;; [unrolled: 1-line block ×3, first 2 shown]
	s_or_b32 s23, s2, s3
.LBB63_6094:
	s_or_b32 exec_lo, exec_lo, s24
	s_branch .LBB63_5757
.LBB63_6095:
	s_mov_b32 s4, 0
	s_mov_b32 s3, -1
	s_branch .LBB63_6090
.LBB63_6096:
	s_or_b32 s8, s27, exec_lo
	s_xor_b32 s7, exec_lo, -1
	s_trap 2
	s_branch .LBB63_5773
.LBB63_6097:
	s_or_b32 s2, s6, exec_lo
	s_trap 2
	s_cbranch_execz .LBB63_5821
	s_branch .LBB63_5822
.LBB63_6098:
	s_or_b32 s2, s2, exec_lo
	s_trap 2
	s_cbranch_execz .LBB63_5911
	s_branch .LBB63_5912
.LBB63_6099:
	s_or_b32 s23, s23, exec_lo
	s_trap 2
                                        ; implicit-def: $vgpr18_vgpr19
                                        ; implicit-def: $vgpr16_vgpr17
                                        ; implicit-def: $vgpr14_vgpr15
                                        ; implicit-def: $vgpr22_vgpr23
                                        ; implicit-def: $vgpr6
                                        ; implicit-def: $vgpr4
                                        ; implicit-def: $vgpr2
                                        ; implicit-def: $vgpr0
                                        ; implicit-def: $vgpr8_vgpr9
                                        ; implicit-def: $vgpr12_vgpr13
	s_branch .LBB63_5749
.LBB63_6100:
	s_or_b32 s2, s2, exec_lo
	s_trap 2
	s_cbranch_execz .LBB63_6000
	s_branch .LBB63_6001
.LBB63_6101:
	s_or_b32 s25, s23, exec_lo
	s_trap 2
                                        ; implicit-def: $vgpr16_vgpr17
                                        ; implicit-def: $vgpr14_vgpr15
                                        ; implicit-def: $vgpr22_vgpr23
                                        ; implicit-def: $vgpr6
                                        ; implicit-def: $vgpr4
                                        ; implicit-def: $vgpr2
                                        ; implicit-def: $vgpr0
                                        ; implicit-def: $vgpr8_vgpr9
                                        ; implicit-def: $vgpr12_vgpr13
	s_or_saveexec_b32 s26, s0
                                        ; implicit-def: $vgpr42_vgpr43
                                        ; implicit-def: $sgpr0
	s_delay_alu instid0(SALU_CYCLE_1)
	s_xor_b32 exec_lo, exec_lo, s26
	s_cbranch_execz .LBB63_6093
	s_branch .LBB63_5752
.LBB63_6102:
	s_mov_b32 s4, 0
	s_or_b32 s2, s2, exec_lo
	s_trap 2
	s_branch .LBB63_6088
.LBB63_6103:
	s_or_b32 s27, s25, exec_lo
	s_trap 2
                                        ; implicit-def: $vgpr14_vgpr15
                                        ; implicit-def: $vgpr16_vgpr17
                                        ; implicit-def: $vgpr0
                                        ; implicit-def: $vgpr6
                                        ; implicit-def: $vgpr4
                                        ; implicit-def: $vgpr22_vgpr23
                                        ; implicit-def: $vgpr12_vgpr13
                                        ; implicit-def: $vgpr2
	s_or_saveexec_b32 s28, s0
	s_mov_b32 s6, 0
                                        ; implicit-def: $vgpr42_vgpr43
                                        ; implicit-def: $sgpr0
	s_xor_b32 exec_lo, exec_lo, s28
	s_cbranch_execz .LBB63_6092
	s_branch .LBB63_5754
	.section	.rodata,"a",@progbits
	.p2align	6, 0x0
	.amdhsa_kernel _ZN2at6native32elementwise_kernel_manual_unrollILi128ELi4EZNS0_15gpu_kernel_implIZZZNS0_12_GLOBAL__N_142_validate_compressed_sparse_indices_kernelILNS3_8CDimNameE0ENS3_18CUDAKernelLauncherENS3_14EmptyVecKernelENS3_8DummyVecELm0EEEvRKNS_6TensorESB_lllENKUlvE1_clEvENKUlvE0_clEvEUllllllE_EEvRNS_18TensorIteratorBaseERKT_EUlibE0_EEviT1_
		.amdhsa_group_segment_fixed_size 0
		.amdhsa_private_segment_fixed_size 0
		.amdhsa_kernarg_size 704
		.amdhsa_user_sgpr_count 2
		.amdhsa_user_sgpr_dispatch_ptr 0
		.amdhsa_user_sgpr_queue_ptr 0
		.amdhsa_user_sgpr_kernarg_segment_ptr 1
		.amdhsa_user_sgpr_dispatch_id 0
		.amdhsa_user_sgpr_kernarg_preload_length 0
		.amdhsa_user_sgpr_kernarg_preload_offset 0
		.amdhsa_user_sgpr_private_segment_size 0
		.amdhsa_wavefront_size32 1
		.amdhsa_uses_dynamic_stack 0
		.amdhsa_enable_private_segment 0
		.amdhsa_system_sgpr_workgroup_id_x 1
		.amdhsa_system_sgpr_workgroup_id_y 0
		.amdhsa_system_sgpr_workgroup_id_z 0
		.amdhsa_system_sgpr_workgroup_info 0
		.amdhsa_system_vgpr_workitem_id 0
		.amdhsa_next_free_vgpr 67
		.amdhsa_next_free_sgpr 105
		.amdhsa_named_barrier_count 0
		.amdhsa_reserve_vcc 1
		.amdhsa_float_round_mode_32 0
		.amdhsa_float_round_mode_16_64 0
		.amdhsa_float_denorm_mode_32 3
		.amdhsa_float_denorm_mode_16_64 3
		.amdhsa_fp16_overflow 0
		.amdhsa_memory_ordered 1
		.amdhsa_forward_progress 1
		.amdhsa_inst_pref_size 255
		.amdhsa_round_robin_scheduling 0
		.amdhsa_exception_fp_ieee_invalid_op 0
		.amdhsa_exception_fp_denorm_src 0
		.amdhsa_exception_fp_ieee_div_zero 0
		.amdhsa_exception_fp_ieee_overflow 0
		.amdhsa_exception_fp_ieee_underflow 0
		.amdhsa_exception_fp_ieee_inexact 0
		.amdhsa_exception_int_div_zero 0
	.end_amdhsa_kernel
	.section	.text._ZN2at6native32elementwise_kernel_manual_unrollILi128ELi4EZNS0_15gpu_kernel_implIZZZNS0_12_GLOBAL__N_142_validate_compressed_sparse_indices_kernelILNS3_8CDimNameE0ENS3_18CUDAKernelLauncherENS3_14EmptyVecKernelENS3_8DummyVecELm0EEEvRKNS_6TensorESB_lllENKUlvE1_clEvENKUlvE0_clEvEUllllllE_EEvRNS_18TensorIteratorBaseERKT_EUlibE0_EEviT1_,"axG",@progbits,_ZN2at6native32elementwise_kernel_manual_unrollILi128ELi4EZNS0_15gpu_kernel_implIZZZNS0_12_GLOBAL__N_142_validate_compressed_sparse_indices_kernelILNS3_8CDimNameE0ENS3_18CUDAKernelLauncherENS3_14EmptyVecKernelENS3_8DummyVecELm0EEEvRKNS_6TensorESB_lllENKUlvE1_clEvENKUlvE0_clEvEUllllllE_EEvRNS_18TensorIteratorBaseERKT_EUlibE0_EEviT1_,comdat
.Lfunc_end63:
	.size	_ZN2at6native32elementwise_kernel_manual_unrollILi128ELi4EZNS0_15gpu_kernel_implIZZZNS0_12_GLOBAL__N_142_validate_compressed_sparse_indices_kernelILNS3_8CDimNameE0ENS3_18CUDAKernelLauncherENS3_14EmptyVecKernelENS3_8DummyVecELm0EEEvRKNS_6TensorESB_lllENKUlvE1_clEvENKUlvE0_clEvEUllllllE_EEvRNS_18TensorIteratorBaseERKT_EUlibE0_EEviT1_, .Lfunc_end63-_ZN2at6native32elementwise_kernel_manual_unrollILi128ELi4EZNS0_15gpu_kernel_implIZZZNS0_12_GLOBAL__N_142_validate_compressed_sparse_indices_kernelILNS3_8CDimNameE0ENS3_18CUDAKernelLauncherENS3_14EmptyVecKernelENS3_8DummyVecELm0EEEvRKNS_6TensorESB_lllENKUlvE1_clEvENKUlvE0_clEvEUllllllE_EEvRNS_18TensorIteratorBaseERKT_EUlibE0_EEviT1_
                                        ; -- End function
	.set _ZN2at6native32elementwise_kernel_manual_unrollILi128ELi4EZNS0_15gpu_kernel_implIZZZNS0_12_GLOBAL__N_142_validate_compressed_sparse_indices_kernelILNS3_8CDimNameE0ENS3_18CUDAKernelLauncherENS3_14EmptyVecKernelENS3_8DummyVecELm0EEEvRKNS_6TensorESB_lllENKUlvE1_clEvENKUlvE0_clEvEUllllllE_EEvRNS_18TensorIteratorBaseERKT_EUlibE0_EEviT1_.num_vgpr, 67
	.set _ZN2at6native32elementwise_kernel_manual_unrollILi128ELi4EZNS0_15gpu_kernel_implIZZZNS0_12_GLOBAL__N_142_validate_compressed_sparse_indices_kernelILNS3_8CDimNameE0ENS3_18CUDAKernelLauncherENS3_14EmptyVecKernelENS3_8DummyVecELm0EEEvRKNS_6TensorESB_lllENKUlvE1_clEvENKUlvE0_clEvEUllllllE_EEvRNS_18TensorIteratorBaseERKT_EUlibE0_EEviT1_.num_agpr, 0
	.set _ZN2at6native32elementwise_kernel_manual_unrollILi128ELi4EZNS0_15gpu_kernel_implIZZZNS0_12_GLOBAL__N_142_validate_compressed_sparse_indices_kernelILNS3_8CDimNameE0ENS3_18CUDAKernelLauncherENS3_14EmptyVecKernelENS3_8DummyVecELm0EEEvRKNS_6TensorESB_lllENKUlvE1_clEvENKUlvE0_clEvEUllllllE_EEvRNS_18TensorIteratorBaseERKT_EUlibE0_EEviT1_.numbered_sgpr, 105
	.set _ZN2at6native32elementwise_kernel_manual_unrollILi128ELi4EZNS0_15gpu_kernel_implIZZZNS0_12_GLOBAL__N_142_validate_compressed_sparse_indices_kernelILNS3_8CDimNameE0ENS3_18CUDAKernelLauncherENS3_14EmptyVecKernelENS3_8DummyVecELm0EEEvRKNS_6TensorESB_lllENKUlvE1_clEvENKUlvE0_clEvEUllllllE_EEvRNS_18TensorIteratorBaseERKT_EUlibE0_EEviT1_.num_named_barrier, 0
	.set _ZN2at6native32elementwise_kernel_manual_unrollILi128ELi4EZNS0_15gpu_kernel_implIZZZNS0_12_GLOBAL__N_142_validate_compressed_sparse_indices_kernelILNS3_8CDimNameE0ENS3_18CUDAKernelLauncherENS3_14EmptyVecKernelENS3_8DummyVecELm0EEEvRKNS_6TensorESB_lllENKUlvE1_clEvENKUlvE0_clEvEUllllllE_EEvRNS_18TensorIteratorBaseERKT_EUlibE0_EEviT1_.private_seg_size, 0
	.set _ZN2at6native32elementwise_kernel_manual_unrollILi128ELi4EZNS0_15gpu_kernel_implIZZZNS0_12_GLOBAL__N_142_validate_compressed_sparse_indices_kernelILNS3_8CDimNameE0ENS3_18CUDAKernelLauncherENS3_14EmptyVecKernelENS3_8DummyVecELm0EEEvRKNS_6TensorESB_lllENKUlvE1_clEvENKUlvE0_clEvEUllllllE_EEvRNS_18TensorIteratorBaseERKT_EUlibE0_EEviT1_.uses_vcc, 1
	.set _ZN2at6native32elementwise_kernel_manual_unrollILi128ELi4EZNS0_15gpu_kernel_implIZZZNS0_12_GLOBAL__N_142_validate_compressed_sparse_indices_kernelILNS3_8CDimNameE0ENS3_18CUDAKernelLauncherENS3_14EmptyVecKernelENS3_8DummyVecELm0EEEvRKNS_6TensorESB_lllENKUlvE1_clEvENKUlvE0_clEvEUllllllE_EEvRNS_18TensorIteratorBaseERKT_EUlibE0_EEviT1_.uses_flat_scratch, 0
	.set _ZN2at6native32elementwise_kernel_manual_unrollILi128ELi4EZNS0_15gpu_kernel_implIZZZNS0_12_GLOBAL__N_142_validate_compressed_sparse_indices_kernelILNS3_8CDimNameE0ENS3_18CUDAKernelLauncherENS3_14EmptyVecKernelENS3_8DummyVecELm0EEEvRKNS_6TensorESB_lllENKUlvE1_clEvENKUlvE0_clEvEUllllllE_EEvRNS_18TensorIteratorBaseERKT_EUlibE0_EEviT1_.has_dyn_sized_stack, 0
	.set _ZN2at6native32elementwise_kernel_manual_unrollILi128ELi4EZNS0_15gpu_kernel_implIZZZNS0_12_GLOBAL__N_142_validate_compressed_sparse_indices_kernelILNS3_8CDimNameE0ENS3_18CUDAKernelLauncherENS3_14EmptyVecKernelENS3_8DummyVecELm0EEEvRKNS_6TensorESB_lllENKUlvE1_clEvENKUlvE0_clEvEUllllllE_EEvRNS_18TensorIteratorBaseERKT_EUlibE0_EEviT1_.has_recursion, 0
	.set _ZN2at6native32elementwise_kernel_manual_unrollILi128ELi4EZNS0_15gpu_kernel_implIZZZNS0_12_GLOBAL__N_142_validate_compressed_sparse_indices_kernelILNS3_8CDimNameE0ENS3_18CUDAKernelLauncherENS3_14EmptyVecKernelENS3_8DummyVecELm0EEEvRKNS_6TensorESB_lllENKUlvE1_clEvENKUlvE0_clEvEUllllllE_EEvRNS_18TensorIteratorBaseERKT_EUlibE0_EEviT1_.has_indirect_call, 0
	.section	.AMDGPU.csdata,"",@progbits
; Kernel info:
; codeLenInByte = 148860
; TotalNumSgprs: 107
; NumVgprs: 67
; ScratchSize: 0
; MemoryBound: 1
; FloatMode: 240
; IeeeMode: 1
; LDSByteSize: 0 bytes/workgroup (compile time only)
; SGPRBlocks: 0
; VGPRBlocks: 4
; NumSGPRsForWavesPerEU: 107
; NumVGPRsForWavesPerEU: 67
; NamedBarCnt: 0
; Occupancy: 12
; WaveLimiterHint : 1
; COMPUTE_PGM_RSRC2:SCRATCH_EN: 0
; COMPUTE_PGM_RSRC2:USER_SGPR: 2
; COMPUTE_PGM_RSRC2:TRAP_HANDLER: 0
; COMPUTE_PGM_RSRC2:TGID_X_EN: 1
; COMPUTE_PGM_RSRC2:TGID_Y_EN: 0
; COMPUTE_PGM_RSRC2:TGID_Z_EN: 0
; COMPUTE_PGM_RSRC2:TIDIG_COMP_CNT: 0
	.section	.text._ZN2at6native29vectorized_elementwise_kernelILi16EZZZNS0_12_GLOBAL__N_142_validate_compressed_sparse_indices_kernelILNS2_8CDimNameE1ENS2_18CUDAKernelLauncherENS2_14EmptyVecKernelENS2_8DummyVecELm8EEEvRKNS_6TensorESA_lllENKUlvE0_clEvENKUlvE_clEvEUliE_St5arrayIPcLm2EEEEviT0_T1_,"axG",@progbits,_ZN2at6native29vectorized_elementwise_kernelILi16EZZZNS0_12_GLOBAL__N_142_validate_compressed_sparse_indices_kernelILNS2_8CDimNameE1ENS2_18CUDAKernelLauncherENS2_14EmptyVecKernelENS2_8DummyVecELm8EEEvRKNS_6TensorESA_lllENKUlvE0_clEvENKUlvE_clEvEUliE_St5arrayIPcLm2EEEEviT0_T1_,comdat
	.globl	_ZN2at6native29vectorized_elementwise_kernelILi16EZZZNS0_12_GLOBAL__N_142_validate_compressed_sparse_indices_kernelILNS2_8CDimNameE1ENS2_18CUDAKernelLauncherENS2_14EmptyVecKernelENS2_8DummyVecELm8EEEvRKNS_6TensorESA_lllENKUlvE0_clEvENKUlvE_clEvEUliE_St5arrayIPcLm2EEEEviT0_T1_ ; -- Begin function _ZN2at6native29vectorized_elementwise_kernelILi16EZZZNS0_12_GLOBAL__N_142_validate_compressed_sparse_indices_kernelILNS2_8CDimNameE1ENS2_18CUDAKernelLauncherENS2_14EmptyVecKernelENS2_8DummyVecELm8EEEvRKNS_6TensorESA_lllENKUlvE0_clEvENKUlvE_clEvEUliE_St5arrayIPcLm2EEEEviT0_T1_
	.p2align	8
	.type	_ZN2at6native29vectorized_elementwise_kernelILi16EZZZNS0_12_GLOBAL__N_142_validate_compressed_sparse_indices_kernelILNS2_8CDimNameE1ENS2_18CUDAKernelLauncherENS2_14EmptyVecKernelENS2_8DummyVecELm8EEEvRKNS_6TensorESA_lllENKUlvE0_clEvENKUlvE_clEvEUliE_St5arrayIPcLm2EEEEviT0_T1_,@function
_ZN2at6native29vectorized_elementwise_kernelILi16EZZZNS0_12_GLOBAL__N_142_validate_compressed_sparse_indices_kernelILNS2_8CDimNameE1ENS2_18CUDAKernelLauncherENS2_14EmptyVecKernelENS2_8DummyVecELm8EEEvRKNS_6TensorESA_lllENKUlvE0_clEvENKUlvE_clEvEUliE_St5arrayIPcLm2EEEEviT0_T1_: ; @_ZN2at6native29vectorized_elementwise_kernelILi16EZZZNS0_12_GLOBAL__N_142_validate_compressed_sparse_indices_kernelILNS2_8CDimNameE1ENS2_18CUDAKernelLauncherENS2_14EmptyVecKernelENS2_8DummyVecELm8EEEvRKNS_6TensorESA_lllENKUlvE0_clEvENKUlvE_clEvEUliE_St5arrayIPcLm2EEEEviT0_T1_
; %bb.0:
	s_clause 0x3
	s_load_b32 s3, s[0:1], 0x0
	s_load_b32 s16, s[0:1], 0x8
	s_load_b128 s[4:7], s[0:1], 0x10
	s_load_b64 s[10:11], s[0:1], 0x20
	s_wait_xcnt 0x0
	s_bfe_u32 s0, ttmp6, 0x4000c
	s_and_b32 s1, ttmp6, 15
	s_add_co_i32 s0, s0, 1
	s_getreg_b32 s2, hwreg(HW_REG_IB_STS2, 6, 4)
	s_mul_i32 s0, ttmp9, s0
	s_mov_b32 s17, 0
	s_add_co_i32 s1, s1, s0
	s_cmp_eq_u32 s2, 0
	s_get_pc_i64 s[8:9]
	s_add_nc_u64 s[8:9], s[8:9], .str.5@rel64+4
	s_cselect_b32 s0, ttmp9, s1
	s_mov_b32 s1, 0
	s_lshl_b32 s2, s0, 10
	s_mov_b32 s0, -1
	s_wait_kmcnt 0x0
	s_sub_co_i32 s5, s3, s2
	s_delay_alu instid0(SALU_CYCLE_1)
	s_cmp_gt_i32 s5, 0x3ff
	s_cbranch_scc0 .LBB64_13
; %bb.1:
	s_cmp_eq_u64 s[8:9], 0
	s_cselect_b32 s3, -1, 0
	s_cmp_lg_u64 s[8:9], 0
	s_cbranch_scc0 .LBB64_11
; %bb.2:
	s_ashr_i32 s3, s2, 31
	v_lshlrev_b32_e32 v2, 4, v0
	s_lshl_b64 s[12:13], s[2:3], 2
	s_delay_alu instid0(SALU_CYCLE_1)
	s_add_nc_u64 s[14:15], s[10:11], s[12:13]
	global_load_b32 v1, v2, s[14:15]
	s_wait_loadcnt 0x0
	v_cmp_le_i32_e32 vcc_lo, s16, v1
	v_cmp_gt_i32_e64 s0, s4, v1
	s_and_b32 s0, vcc_lo, s0
	s_delay_alu instid0(SALU_CYCLE_1)
	s_xor_b32 s3, s0, -1
	s_and_saveexec_b32 s1, s0
	s_cbranch_execz .LBB64_10
; %bb.3:
	v_mov_b32_e32 v3, 0
	s_delay_alu instid0(VALU_DEP_1)
	v_add_nc_u64_e32 v[2:3], s[14:15], v[2:3]
	global_load_b96 v[2:4], v[2:3], off offset:4
	s_wait_loadcnt 0x0
	v_cmp_le_i32_e32 vcc_lo, s16, v2
	v_cmp_gt_i32_e64 s0, s4, v2
	s_and_b32 s0, vcc_lo, s0
	s_delay_alu instid0(SALU_CYCLE_1)
	s_xor_b32 s14, s0, -1
	s_and_saveexec_b32 s15, s0
	s_cbranch_execz .LBB64_9
; %bb.4:
	v_cmp_le_i32_e32 vcc_lo, s16, v3
	v_cmp_gt_i32_e64 s0, s4, v3
	s_mov_b32 s20, -1
	s_and_b32 s0, vcc_lo, s0
	s_delay_alu instid0(SALU_CYCLE_1)
	s_xor_b32 s18, s0, -1
	s_and_saveexec_b32 s19, s0
	s_cbranch_execz .LBB64_8
; %bb.5:
	v_cmp_le_i32_e32 vcc_lo, s16, v4
	v_cmp_gt_i32_e64 s0, s4, v4
	s_and_b32 s0, vcc_lo, s0
	s_delay_alu instid0(SALU_CYCLE_1) | instskip(NEXT) | instid1(SALU_CYCLE_1)
	s_and_saveexec_b32 s21, s0
	s_xor_b32 s0, exec_lo, s21
; %bb.6:
	v_mov_b32_e32 v2, 0
	s_add_nc_u64 s[12:13], s[6:7], s[12:13]
	s_xor_b32 s20, exec_lo, -1
	s_delay_alu instid0(VALU_DEP_1)
	v_dual_mov_b32 v3, v2 :: v_dual_mov_b32 v4, v2
	v_mov_b32_e32 v5, v2
	global_store_b128 v0, v[2:5], s[12:13] scale_offset
; %bb.7:
	s_wait_xcnt 0x0
	s_or_b32 exec_lo, exec_lo, s0
	s_delay_alu instid0(SALU_CYCLE_1) | instskip(SKIP_1) | instid1(SALU_CYCLE_1)
	s_and_not1_b32 s0, s18, exec_lo
	s_and_b32 s12, s20, exec_lo
	s_or_b32 s18, s0, s12
.LBB64_8:
	s_or_b32 exec_lo, exec_lo, s19
	s_delay_alu instid0(SALU_CYCLE_1) | instskip(SKIP_1) | instid1(SALU_CYCLE_1)
	s_and_not1_b32 s0, s14, exec_lo
	s_and_b32 s12, s18, exec_lo
	s_or_b32 s14, s0, s12
.LBB64_9:
	s_or_b32 exec_lo, exec_lo, s15
	s_delay_alu instid0(SALU_CYCLE_1) | instskip(SKIP_1) | instid1(SALU_CYCLE_1)
	s_and_not1_b32 s0, s3, exec_lo
	s_and_b32 s3, s14, exec_lo
	s_or_b32 s3, s0, s3
.LBB64_10:
	s_or_b32 exec_lo, exec_lo, s1
.LBB64_11:
	s_mov_b32 s0, 0
	s_mov_b32 s1, 0
	s_and_saveexec_b32 s12, s3
	s_delay_alu instid0(SALU_CYCLE_1)
	s_xor_b32 s3, exec_lo, s12
	s_cbranch_execnz .LBB64_48
.LBB64_12:
	s_or_b32 exec_lo, exec_lo, s3
.LBB64_13:
	s_delay_alu instid0(SALU_CYCLE_1)
	s_and_b32 vcc_lo, exec_lo, s0
	s_cbranch_vccz .LBB64_37
; %bb.14:
	v_cmp_le_i32_e64 s13, s5, v0
	v_cmp_gt_i32_e64 s3, s5, v0
	v_dual_mov_b32 v1, 0 :: v_dual_mov_b32 v3, 0
	v_or_b32_e32 v7, 0x100, v0
	v_dual_mov_b32 v6, 0 :: v_dual_mov_b32 v8, 0
	s_and_saveexec_b32 s0, s3
	s_cbranch_execz .LBB64_22
; %bb.15:
	v_dual_mov_b32 v6, 0 :: v_dual_bitop2_b32 v1, s2, v0 bitop3:0x54
	v_mov_b32_e32 v3, 0
	s_mov_b32 s12, exec_lo
	global_load_b32 v8, v1, s[10:11] scale_offset
	s_wait_xcnt 0x0
	v_mov_b32_e32 v1, 0
	v_cmpx_gt_u32_e64 s5, v7
	s_cbranch_execz .LBB64_21
; %bb.16:
	v_dual_mov_b32 v3, 0 :: v_dual_add_nc_u32 v2, s2, v0
	v_or_b32_e32 v1, 0x200, v0
	global_load_b32 v6, v2, s[10:11] offset:1024 scale_offset
	v_cmp_gt_u32_e32 vcc_lo, s5, v1
	v_mov_b32_e32 v1, 0
	s_wait_xcnt 0x0
	s_and_saveexec_b32 s14, vcc_lo
	s_cbranch_execz .LBB64_20
; %bb.17:
	v_lshl_add_u64 v[4:5], v[2:3], 2, s[10:11]
	v_or_b32_e32 v1, 0x300, v0
	s_mov_b32 s10, exec_lo
	global_load_b32 v2, v[4:5], off offset:2048
	s_wait_xcnt 0x0
	v_cmpx_gt_u32_e64 s5, v1
	s_cbranch_execz .LBB64_19
; %bb.18:
	global_load_b32 v3, v[4:5], off offset:3072
.LBB64_19:
	s_wait_xcnt 0x0
	s_or_b32 exec_lo, exec_lo, s10
	s_wait_loadcnt 0x0
	v_dual_mov_b32 v1, v3 :: v_dual_mov_b32 v3, v2
.LBB64_20:
	s_or_b32 exec_lo, exec_lo, s14
.LBB64_21:
	s_delay_alu instid0(SALU_CYCLE_1)
	s_or_b32 exec_lo, exec_lo, s12
.LBB64_22:
	s_delay_alu instid0(SALU_CYCLE_1)
	s_or_b32 exec_lo, exec_lo, s0
	s_cmp_lg_u64 s[8:9], 0
	s_mov_b32 s10, 0
	s_cselect_b32 s14, -1, 0
	s_and_saveexec_b32 s8, s3
	s_cbranch_execz .LBB64_24
; %bb.23:
	s_wait_loadcnt 0x0
	v_cmp_le_i32_e32 vcc_lo, s16, v8
	v_cmp_gt_i32_e64 s0, s4, v8
	s_and_not1_b32 s9, s13, exec_lo
	s_mov_b32 s10, exec_lo
	s_and_b32 s0, vcc_lo, s0
	s_delay_alu instid0(SALU_CYCLE_1) | instskip(NEXT) | instid1(SALU_CYCLE_1)
	s_and_b32 s0, s14, s0
	s_and_b32 s0, s0, exec_lo
	s_delay_alu instid0(SALU_CYCLE_1)
	s_or_b32 s13, s9, s0
.LBB64_24:
	s_or_b32 exec_lo, exec_lo, s8
                                        ; implicit-def: $sgpr8
                                        ; implicit-def: $sgpr9
                                        ; implicit-def: $sgpr11
	s_and_saveexec_b32 s12, s13
	s_cbranch_execz .LBB64_46
; %bb.25:
	v_cmp_le_i32_e64 s18, s5, v7
	v_cmp_gt_i32_e64 s8, s5, v7
	s_mov_b32 s13, 0
	s_and_saveexec_b32 s9, s8
	s_cbranch_execz .LBB64_27
; %bb.26:
	s_wait_loadcnt 0x0
	v_cmp_le_i32_e32 vcc_lo, s16, v6
	v_cmp_gt_i32_e64 s0, s4, v6
	s_and_not1_b32 s11, s18, exec_lo
	s_mov_b32 s13, exec_lo
	s_and_b32 s0, vcc_lo, s0
	s_delay_alu instid0(SALU_CYCLE_1) | instskip(NEXT) | instid1(SALU_CYCLE_1)
	s_and_b32 s0, s14, s0
	s_and_b32 s0, s0, exec_lo
	s_delay_alu instid0(SALU_CYCLE_1)
	s_or_b32 s18, s11, s0
.LBB64_27:
	s_or_b32 exec_lo, exec_lo, s9
                                        ; implicit-def: $sgpr9
                                        ; implicit-def: $sgpr11
	s_and_saveexec_b32 s15, s18
	s_cbranch_execz .LBB64_35
; %bb.28:
	v_or_b32_e32 v2, 0x200, v0
	s_mov_b32 s18, 0
	s_delay_alu instid0(VALU_DEP_1)
	v_cmp_le_i32_e64 s20, s5, v2
	v_cmp_gt_i32_e64 s9, s5, v2
	s_and_saveexec_b32 s11, s9
; %bb.29:
	v_cmp_le_i32_e32 vcc_lo, s16, v3
	v_cmp_gt_i32_e64 s0, s4, v3
	s_and_not1_b32 s19, s20, exec_lo
	s_mov_b32 s17, exec_lo
	s_and_b32 s0, vcc_lo, s0
	s_delay_alu instid0(SALU_CYCLE_1) | instskip(NEXT) | instid1(SALU_CYCLE_1)
	s_and_b32 s0, s14, s0
	s_and_b32 s0, s0, exec_lo
	s_delay_alu instid0(SALU_CYCLE_1)
	s_or_b32 s20, s19, s0
; %bb.30:
	s_or_b32 exec_lo, exec_lo, s11
                                        ; implicit-def: $sgpr11
	s_and_saveexec_b32 s19, s20
	s_cbranch_execz .LBB64_34
; %bb.31:
	v_or_b32_e32 v2, 0x300, v0
	s_mov_b32 s0, 0
	s_delay_alu instid0(VALU_DEP_1) | instskip(SKIP_2) | instid1(SALU_CYCLE_1)
	v_cmp_le_i32_e64 s18, s5, v2
	v_cmp_gt_i32_e64 s11, s5, v2
	s_and_saveexec_b32 s5, s11
	s_xor_b32 s5, exec_lo, s5
; %bb.32:
	v_cmp_le_i32_e32 vcc_lo, s16, v1
	v_cmp_gt_i32_e64 s0, s4, v1
	s_or_b32 s18, s18, exec_lo
	s_and_b32 s0, vcc_lo, s0
	s_delay_alu instid0(SALU_CYCLE_1) | instskip(NEXT) | instid1(SALU_CYCLE_1)
	s_and_b32 s0, s14, s0
	s_xor_b32 s0, s0, -1
	s_delay_alu instid0(SALU_CYCLE_1)
	s_and_b32 s0, s0, exec_lo
; %bb.33:
	s_or_b32 exec_lo, exec_lo, s5
	s_delay_alu instid0(SALU_CYCLE_1)
	s_and_not1_b32 s4, s17, exec_lo
	s_and_b32 s0, s0, exec_lo
	s_and_b32 s18, s18, exec_lo
	s_or_b32 s17, s4, s0
.LBB64_34:
	s_or_b32 exec_lo, exec_lo, s19
	s_delay_alu instid0(SALU_CYCLE_1)
	s_and_not1_b32 s0, s13, exec_lo
	s_and_b32 s4, s17, exec_lo
	s_and_b32 s17, s18, exec_lo
	s_or_b32 s13, s0, s4
.LBB64_35:
	s_or_b32 exec_lo, exec_lo, s15
	s_delay_alu instid0(SALU_CYCLE_1)
	s_and_not1_b32 s0, s10, exec_lo
	s_and_b32 s4, s13, exec_lo
	s_and_b32 s17, s17, exec_lo
	s_or_b32 s10, s0, s4
	s_or_b32 exec_lo, exec_lo, s12
	s_and_saveexec_b32 s0, s10
	s_cbranch_execz .LBB64_47
.LBB64_36:
	s_and_not1_b32 s17, s17, exec_lo
	s_or_b32 s1, s1, exec_lo
	s_trap 2
	s_or_b32 exec_lo, exec_lo, s0
	s_and_saveexec_b32 s0, s1
	s_cbranch_execnz .LBB64_38
	s_branch .LBB64_39
.LBB64_37:
                                        ; implicit-def: $sgpr3
                                        ; implicit-def: $sgpr8
                                        ; implicit-def: $sgpr9
                                        ; implicit-def: $sgpr11
                                        ; implicit-def: $vgpr0
	s_and_saveexec_b32 s0, s1
.LBB64_38:
	; divergent unreachable
.LBB64_39:
	s_delay_alu instid0(SALU_CYCLE_1)
	s_or_b32 exec_lo, exec_lo, s0
	s_and_saveexec_b32 s0, s17
	s_cbranch_execz .LBB64_45
; %bb.40:
	s_and_b32 exec_lo, exec_lo, s3
	s_cbranch_execz .LBB64_45
; %bb.41:
	v_dual_mov_b32 v1, 0 :: v_dual_bitop2_b32 v2, s2, v0 bitop3:0x54
	global_store_b32 v2, v1, s[6:7] scale_offset
	s_wait_xcnt 0x0
	s_and_b32 exec_lo, exec_lo, s8
	s_cbranch_execz .LBB64_45
; %bb.42:
	v_add_nc_u32_e32 v0, s2, v0
	global_store_b32 v0, v1, s[6:7] offset:1024 scale_offset
	s_wait_xcnt 0x0
	s_and_b32 exec_lo, exec_lo, s9
	s_cbranch_execz .LBB64_45
; %bb.43:
	v_lshl_add_u64 v[0:1], v[0:1], 2, s[6:7]
	v_mov_b32_e32 v2, 0
	global_store_b32 v[0:1], v2, off offset:2048
	s_wait_xcnt 0x0
	s_and_b32 exec_lo, exec_lo, s11
	s_cbranch_execz .LBB64_45
; %bb.44:
	global_store_b32 v[0:1], v2, off offset:3072
.LBB64_45:
	s_endpgm
.LBB64_46:
	s_or_b32 exec_lo, exec_lo, s12
	s_and_saveexec_b32 s0, s10
	s_cbranch_execnz .LBB64_36
.LBB64_47:
	s_or_b32 exec_lo, exec_lo, s0
	s_and_saveexec_b32 s0, s1
	s_cbranch_execnz .LBB64_38
	s_branch .LBB64_39
.LBB64_48:
	s_mov_b32 s1, exec_lo
	s_trap 2
	s_branch .LBB64_12
	.section	.rodata,"a",@progbits
	.p2align	6, 0x0
	.amdhsa_kernel _ZN2at6native29vectorized_elementwise_kernelILi16EZZZNS0_12_GLOBAL__N_142_validate_compressed_sparse_indices_kernelILNS2_8CDimNameE1ENS2_18CUDAKernelLauncherENS2_14EmptyVecKernelENS2_8DummyVecELm8EEEvRKNS_6TensorESA_lllENKUlvE0_clEvENKUlvE_clEvEUliE_St5arrayIPcLm2EEEEviT0_T1_
		.amdhsa_group_segment_fixed_size 0
		.amdhsa_private_segment_fixed_size 0
		.amdhsa_kernarg_size 40
		.amdhsa_user_sgpr_count 2
		.amdhsa_user_sgpr_dispatch_ptr 0
		.amdhsa_user_sgpr_queue_ptr 0
		.amdhsa_user_sgpr_kernarg_segment_ptr 1
		.amdhsa_user_sgpr_dispatch_id 0
		.amdhsa_user_sgpr_kernarg_preload_length 0
		.amdhsa_user_sgpr_kernarg_preload_offset 0
		.amdhsa_user_sgpr_private_segment_size 0
		.amdhsa_wavefront_size32 1
		.amdhsa_uses_dynamic_stack 0
		.amdhsa_enable_private_segment 0
		.amdhsa_system_sgpr_workgroup_id_x 1
		.amdhsa_system_sgpr_workgroup_id_y 0
		.amdhsa_system_sgpr_workgroup_id_z 0
		.amdhsa_system_sgpr_workgroup_info 0
		.amdhsa_system_vgpr_workitem_id 0
		.amdhsa_next_free_vgpr 9
		.amdhsa_next_free_sgpr 22
		.amdhsa_named_barrier_count 0
		.amdhsa_reserve_vcc 1
		.amdhsa_float_round_mode_32 0
		.amdhsa_float_round_mode_16_64 0
		.amdhsa_float_denorm_mode_32 3
		.amdhsa_float_denorm_mode_16_64 3
		.amdhsa_fp16_overflow 0
		.amdhsa_memory_ordered 1
		.amdhsa_forward_progress 1
		.amdhsa_inst_pref_size 11
		.amdhsa_round_robin_scheduling 0
		.amdhsa_exception_fp_ieee_invalid_op 0
		.amdhsa_exception_fp_denorm_src 0
		.amdhsa_exception_fp_ieee_div_zero 0
		.amdhsa_exception_fp_ieee_overflow 0
		.amdhsa_exception_fp_ieee_underflow 0
		.amdhsa_exception_fp_ieee_inexact 0
		.amdhsa_exception_int_div_zero 0
	.end_amdhsa_kernel
	.section	.text._ZN2at6native29vectorized_elementwise_kernelILi16EZZZNS0_12_GLOBAL__N_142_validate_compressed_sparse_indices_kernelILNS2_8CDimNameE1ENS2_18CUDAKernelLauncherENS2_14EmptyVecKernelENS2_8DummyVecELm8EEEvRKNS_6TensorESA_lllENKUlvE0_clEvENKUlvE_clEvEUliE_St5arrayIPcLm2EEEEviT0_T1_,"axG",@progbits,_ZN2at6native29vectorized_elementwise_kernelILi16EZZZNS0_12_GLOBAL__N_142_validate_compressed_sparse_indices_kernelILNS2_8CDimNameE1ENS2_18CUDAKernelLauncherENS2_14EmptyVecKernelENS2_8DummyVecELm8EEEvRKNS_6TensorESA_lllENKUlvE0_clEvENKUlvE_clEvEUliE_St5arrayIPcLm2EEEEviT0_T1_,comdat
.Lfunc_end64:
	.size	_ZN2at6native29vectorized_elementwise_kernelILi16EZZZNS0_12_GLOBAL__N_142_validate_compressed_sparse_indices_kernelILNS2_8CDimNameE1ENS2_18CUDAKernelLauncherENS2_14EmptyVecKernelENS2_8DummyVecELm8EEEvRKNS_6TensorESA_lllENKUlvE0_clEvENKUlvE_clEvEUliE_St5arrayIPcLm2EEEEviT0_T1_, .Lfunc_end64-_ZN2at6native29vectorized_elementwise_kernelILi16EZZZNS0_12_GLOBAL__N_142_validate_compressed_sparse_indices_kernelILNS2_8CDimNameE1ENS2_18CUDAKernelLauncherENS2_14EmptyVecKernelENS2_8DummyVecELm8EEEvRKNS_6TensorESA_lllENKUlvE0_clEvENKUlvE_clEvEUliE_St5arrayIPcLm2EEEEviT0_T1_
                                        ; -- End function
	.set _ZN2at6native29vectorized_elementwise_kernelILi16EZZZNS0_12_GLOBAL__N_142_validate_compressed_sparse_indices_kernelILNS2_8CDimNameE1ENS2_18CUDAKernelLauncherENS2_14EmptyVecKernelENS2_8DummyVecELm8EEEvRKNS_6TensorESA_lllENKUlvE0_clEvENKUlvE_clEvEUliE_St5arrayIPcLm2EEEEviT0_T1_.num_vgpr, 9
	.set _ZN2at6native29vectorized_elementwise_kernelILi16EZZZNS0_12_GLOBAL__N_142_validate_compressed_sparse_indices_kernelILNS2_8CDimNameE1ENS2_18CUDAKernelLauncherENS2_14EmptyVecKernelENS2_8DummyVecELm8EEEvRKNS_6TensorESA_lllENKUlvE0_clEvENKUlvE_clEvEUliE_St5arrayIPcLm2EEEEviT0_T1_.num_agpr, 0
	.set _ZN2at6native29vectorized_elementwise_kernelILi16EZZZNS0_12_GLOBAL__N_142_validate_compressed_sparse_indices_kernelILNS2_8CDimNameE1ENS2_18CUDAKernelLauncherENS2_14EmptyVecKernelENS2_8DummyVecELm8EEEvRKNS_6TensorESA_lllENKUlvE0_clEvENKUlvE_clEvEUliE_St5arrayIPcLm2EEEEviT0_T1_.numbered_sgpr, 22
	.set _ZN2at6native29vectorized_elementwise_kernelILi16EZZZNS0_12_GLOBAL__N_142_validate_compressed_sparse_indices_kernelILNS2_8CDimNameE1ENS2_18CUDAKernelLauncherENS2_14EmptyVecKernelENS2_8DummyVecELm8EEEvRKNS_6TensorESA_lllENKUlvE0_clEvENKUlvE_clEvEUliE_St5arrayIPcLm2EEEEviT0_T1_.num_named_barrier, 0
	.set _ZN2at6native29vectorized_elementwise_kernelILi16EZZZNS0_12_GLOBAL__N_142_validate_compressed_sparse_indices_kernelILNS2_8CDimNameE1ENS2_18CUDAKernelLauncherENS2_14EmptyVecKernelENS2_8DummyVecELm8EEEvRKNS_6TensorESA_lllENKUlvE0_clEvENKUlvE_clEvEUliE_St5arrayIPcLm2EEEEviT0_T1_.private_seg_size, 0
	.set _ZN2at6native29vectorized_elementwise_kernelILi16EZZZNS0_12_GLOBAL__N_142_validate_compressed_sparse_indices_kernelILNS2_8CDimNameE1ENS2_18CUDAKernelLauncherENS2_14EmptyVecKernelENS2_8DummyVecELm8EEEvRKNS_6TensorESA_lllENKUlvE0_clEvENKUlvE_clEvEUliE_St5arrayIPcLm2EEEEviT0_T1_.uses_vcc, 1
	.set _ZN2at6native29vectorized_elementwise_kernelILi16EZZZNS0_12_GLOBAL__N_142_validate_compressed_sparse_indices_kernelILNS2_8CDimNameE1ENS2_18CUDAKernelLauncherENS2_14EmptyVecKernelENS2_8DummyVecELm8EEEvRKNS_6TensorESA_lllENKUlvE0_clEvENKUlvE_clEvEUliE_St5arrayIPcLm2EEEEviT0_T1_.uses_flat_scratch, 0
	.set _ZN2at6native29vectorized_elementwise_kernelILi16EZZZNS0_12_GLOBAL__N_142_validate_compressed_sparse_indices_kernelILNS2_8CDimNameE1ENS2_18CUDAKernelLauncherENS2_14EmptyVecKernelENS2_8DummyVecELm8EEEvRKNS_6TensorESA_lllENKUlvE0_clEvENKUlvE_clEvEUliE_St5arrayIPcLm2EEEEviT0_T1_.has_dyn_sized_stack, 0
	.set _ZN2at6native29vectorized_elementwise_kernelILi16EZZZNS0_12_GLOBAL__N_142_validate_compressed_sparse_indices_kernelILNS2_8CDimNameE1ENS2_18CUDAKernelLauncherENS2_14EmptyVecKernelENS2_8DummyVecELm8EEEvRKNS_6TensorESA_lllENKUlvE0_clEvENKUlvE_clEvEUliE_St5arrayIPcLm2EEEEviT0_T1_.has_recursion, 0
	.set _ZN2at6native29vectorized_elementwise_kernelILi16EZZZNS0_12_GLOBAL__N_142_validate_compressed_sparse_indices_kernelILNS2_8CDimNameE1ENS2_18CUDAKernelLauncherENS2_14EmptyVecKernelENS2_8DummyVecELm8EEEvRKNS_6TensorESA_lllENKUlvE0_clEvENKUlvE_clEvEUliE_St5arrayIPcLm2EEEEviT0_T1_.has_indirect_call, 0
	.section	.AMDGPU.csdata,"",@progbits
; Kernel info:
; codeLenInByte = 1384
; TotalNumSgprs: 24
; NumVgprs: 9
; ScratchSize: 0
; MemoryBound: 0
; FloatMode: 240
; IeeeMode: 1
; LDSByteSize: 0 bytes/workgroup (compile time only)
; SGPRBlocks: 0
; VGPRBlocks: 0
; NumSGPRsForWavesPerEU: 24
; NumVGPRsForWavesPerEU: 9
; NamedBarCnt: 0
; Occupancy: 16
; WaveLimiterHint : 0
; COMPUTE_PGM_RSRC2:SCRATCH_EN: 0
; COMPUTE_PGM_RSRC2:USER_SGPR: 2
; COMPUTE_PGM_RSRC2:TRAP_HANDLER: 0
; COMPUTE_PGM_RSRC2:TGID_X_EN: 1
; COMPUTE_PGM_RSRC2:TGID_Y_EN: 0
; COMPUTE_PGM_RSRC2:TGID_Z_EN: 0
; COMPUTE_PGM_RSRC2:TIDIG_COMP_CNT: 0
	.section	.text._ZN2at6native29vectorized_elementwise_kernelILi8EZZZNS0_12_GLOBAL__N_142_validate_compressed_sparse_indices_kernelILNS2_8CDimNameE1ENS2_18CUDAKernelLauncherENS2_14EmptyVecKernelENS2_8DummyVecELm8EEEvRKNS_6TensorESA_lllENKUlvE0_clEvENKUlvE_clEvEUliE_St5arrayIPcLm2EEEEviT0_T1_,"axG",@progbits,_ZN2at6native29vectorized_elementwise_kernelILi8EZZZNS0_12_GLOBAL__N_142_validate_compressed_sparse_indices_kernelILNS2_8CDimNameE1ENS2_18CUDAKernelLauncherENS2_14EmptyVecKernelENS2_8DummyVecELm8EEEvRKNS_6TensorESA_lllENKUlvE0_clEvENKUlvE_clEvEUliE_St5arrayIPcLm2EEEEviT0_T1_,comdat
	.globl	_ZN2at6native29vectorized_elementwise_kernelILi8EZZZNS0_12_GLOBAL__N_142_validate_compressed_sparse_indices_kernelILNS2_8CDimNameE1ENS2_18CUDAKernelLauncherENS2_14EmptyVecKernelENS2_8DummyVecELm8EEEvRKNS_6TensorESA_lllENKUlvE0_clEvENKUlvE_clEvEUliE_St5arrayIPcLm2EEEEviT0_T1_ ; -- Begin function _ZN2at6native29vectorized_elementwise_kernelILi8EZZZNS0_12_GLOBAL__N_142_validate_compressed_sparse_indices_kernelILNS2_8CDimNameE1ENS2_18CUDAKernelLauncherENS2_14EmptyVecKernelENS2_8DummyVecELm8EEEvRKNS_6TensorESA_lllENKUlvE0_clEvENKUlvE_clEvEUliE_St5arrayIPcLm2EEEEviT0_T1_
	.p2align	8
	.type	_ZN2at6native29vectorized_elementwise_kernelILi8EZZZNS0_12_GLOBAL__N_142_validate_compressed_sparse_indices_kernelILNS2_8CDimNameE1ENS2_18CUDAKernelLauncherENS2_14EmptyVecKernelENS2_8DummyVecELm8EEEvRKNS_6TensorESA_lllENKUlvE0_clEvENKUlvE_clEvEUliE_St5arrayIPcLm2EEEEviT0_T1_,@function
_ZN2at6native29vectorized_elementwise_kernelILi8EZZZNS0_12_GLOBAL__N_142_validate_compressed_sparse_indices_kernelILNS2_8CDimNameE1ENS2_18CUDAKernelLauncherENS2_14EmptyVecKernelENS2_8DummyVecELm8EEEvRKNS_6TensorESA_lllENKUlvE0_clEvENKUlvE_clEvEUliE_St5arrayIPcLm2EEEEviT0_T1_: ; @_ZN2at6native29vectorized_elementwise_kernelILi8EZZZNS0_12_GLOBAL__N_142_validate_compressed_sparse_indices_kernelILNS2_8CDimNameE1ENS2_18CUDAKernelLauncherENS2_14EmptyVecKernelENS2_8DummyVecELm8EEEvRKNS_6TensorESA_lllENKUlvE0_clEvENKUlvE_clEvEUliE_St5arrayIPcLm2EEEEviT0_T1_
; %bb.0:
	s_clause 0x3
	s_load_b32 s3, s[0:1], 0x0
	s_load_b32 s16, s[0:1], 0x8
	s_load_b128 s[4:7], s[0:1], 0x10
	s_load_b64 s[10:11], s[0:1], 0x20
	s_wait_xcnt 0x0
	s_bfe_u32 s0, ttmp6, 0x4000c
	s_and_b32 s1, ttmp6, 15
	s_add_co_i32 s0, s0, 1
	s_getreg_b32 s2, hwreg(HW_REG_IB_STS2, 6, 4)
	s_mul_i32 s0, ttmp9, s0
	s_mov_b32 s17, 0
	s_add_co_i32 s1, s1, s0
	s_cmp_eq_u32 s2, 0
	s_get_pc_i64 s[8:9]
	s_add_nc_u64 s[8:9], s[8:9], .str.5@rel64+4
	s_cselect_b32 s0, ttmp9, s1
	s_mov_b32 s1, 0
	s_lshl_b32 s2, s0, 10
	s_mov_b32 s0, -1
	s_wait_kmcnt 0x0
	s_sub_co_i32 s5, s3, s2
	s_delay_alu instid0(SALU_CYCLE_1)
	s_cmp_gt_i32 s5, 0x3ff
	s_cbranch_scc0 .LBB65_13
; %bb.1:
	s_cmp_eq_u64 s[8:9], 0
	s_cselect_b32 s3, -1, 0
	s_cmp_lg_u64 s[8:9], 0
	s_cbranch_scc0 .LBB65_11
; %bb.2:
	s_ashr_i32 s3, s2, 31
	v_lshlrev_b32_e32 v2, 4, v0
	s_lshl_b64 s[12:13], s[2:3], 2
	s_delay_alu instid0(SALU_CYCLE_1)
	s_add_nc_u64 s[14:15], s[10:11], s[12:13]
	global_load_b32 v1, v2, s[14:15]
	s_wait_loadcnt 0x0
	v_cmp_le_i32_e32 vcc_lo, s16, v1
	v_cmp_gt_i32_e64 s0, s4, v1
	s_and_b32 s0, vcc_lo, s0
	s_delay_alu instid0(SALU_CYCLE_1)
	s_xor_b32 s3, s0, -1
	s_and_saveexec_b32 s1, s0
	s_cbranch_execz .LBB65_10
; %bb.3:
	v_mov_b32_e32 v3, 0
	s_delay_alu instid0(VALU_DEP_1)
	v_add_nc_u64_e32 v[2:3], s[14:15], v[2:3]
	global_load_b96 v[2:4], v[2:3], off offset:4
	s_wait_loadcnt 0x0
	v_cmp_le_i32_e32 vcc_lo, s16, v2
	v_cmp_gt_i32_e64 s0, s4, v2
	s_and_b32 s0, vcc_lo, s0
	s_delay_alu instid0(SALU_CYCLE_1)
	s_xor_b32 s14, s0, -1
	s_and_saveexec_b32 s15, s0
	s_cbranch_execz .LBB65_9
; %bb.4:
	v_cmp_le_i32_e32 vcc_lo, s16, v3
	v_cmp_gt_i32_e64 s0, s4, v3
	s_mov_b32 s20, -1
	s_and_b32 s0, vcc_lo, s0
	s_delay_alu instid0(SALU_CYCLE_1)
	s_xor_b32 s18, s0, -1
	s_and_saveexec_b32 s19, s0
	s_cbranch_execz .LBB65_8
; %bb.5:
	v_cmp_le_i32_e32 vcc_lo, s16, v4
	v_cmp_gt_i32_e64 s0, s4, v4
	s_and_b32 s0, vcc_lo, s0
	s_delay_alu instid0(SALU_CYCLE_1) | instskip(NEXT) | instid1(SALU_CYCLE_1)
	s_and_saveexec_b32 s21, s0
	s_xor_b32 s0, exec_lo, s21
; %bb.6:
	v_mov_b32_e32 v2, 0
	s_add_nc_u64 s[12:13], s[6:7], s[12:13]
	s_xor_b32 s20, exec_lo, -1
	s_delay_alu instid0(VALU_DEP_1)
	v_dual_mov_b32 v3, v2 :: v_dual_mov_b32 v4, v2
	v_mov_b32_e32 v5, v2
	global_store_b128 v0, v[2:5], s[12:13] scale_offset
; %bb.7:
	s_wait_xcnt 0x0
	s_or_b32 exec_lo, exec_lo, s0
	s_delay_alu instid0(SALU_CYCLE_1) | instskip(SKIP_1) | instid1(SALU_CYCLE_1)
	s_and_not1_b32 s0, s18, exec_lo
	s_and_b32 s12, s20, exec_lo
	s_or_b32 s18, s0, s12
.LBB65_8:
	s_or_b32 exec_lo, exec_lo, s19
	s_delay_alu instid0(SALU_CYCLE_1) | instskip(SKIP_1) | instid1(SALU_CYCLE_1)
	s_and_not1_b32 s0, s14, exec_lo
	s_and_b32 s12, s18, exec_lo
	s_or_b32 s14, s0, s12
.LBB65_9:
	s_or_b32 exec_lo, exec_lo, s15
	s_delay_alu instid0(SALU_CYCLE_1) | instskip(SKIP_1) | instid1(SALU_CYCLE_1)
	s_and_not1_b32 s0, s3, exec_lo
	s_and_b32 s3, s14, exec_lo
	s_or_b32 s3, s0, s3
.LBB65_10:
	s_or_b32 exec_lo, exec_lo, s1
.LBB65_11:
	s_mov_b32 s0, 0
	s_mov_b32 s1, 0
	s_and_saveexec_b32 s12, s3
	s_delay_alu instid0(SALU_CYCLE_1)
	s_xor_b32 s3, exec_lo, s12
	s_cbranch_execnz .LBB65_48
.LBB65_12:
	s_or_b32 exec_lo, exec_lo, s3
.LBB65_13:
	s_delay_alu instid0(SALU_CYCLE_1)
	s_and_b32 vcc_lo, exec_lo, s0
	s_cbranch_vccz .LBB65_37
; %bb.14:
	v_cmp_le_i32_e64 s13, s5, v0
	v_cmp_gt_i32_e64 s3, s5, v0
	v_dual_mov_b32 v1, 0 :: v_dual_mov_b32 v3, 0
	v_or_b32_e32 v7, 0x100, v0
	v_dual_mov_b32 v6, 0 :: v_dual_mov_b32 v8, 0
	s_and_saveexec_b32 s0, s3
	s_cbranch_execz .LBB65_22
; %bb.15:
	v_dual_mov_b32 v6, 0 :: v_dual_bitop2_b32 v1, s2, v0 bitop3:0x54
	v_mov_b32_e32 v3, 0
	s_mov_b32 s12, exec_lo
	global_load_b32 v8, v1, s[10:11] scale_offset
	s_wait_xcnt 0x0
	v_mov_b32_e32 v1, 0
	v_cmpx_gt_u32_e64 s5, v7
	s_cbranch_execz .LBB65_21
; %bb.16:
	v_dual_mov_b32 v3, 0 :: v_dual_add_nc_u32 v2, s2, v0
	v_or_b32_e32 v1, 0x200, v0
	global_load_b32 v6, v2, s[10:11] offset:1024 scale_offset
	v_cmp_gt_u32_e32 vcc_lo, s5, v1
	v_mov_b32_e32 v1, 0
	s_wait_xcnt 0x0
	s_and_saveexec_b32 s14, vcc_lo
	s_cbranch_execz .LBB65_20
; %bb.17:
	v_lshl_add_u64 v[4:5], v[2:3], 2, s[10:11]
	v_or_b32_e32 v1, 0x300, v0
	s_mov_b32 s10, exec_lo
	global_load_b32 v2, v[4:5], off offset:2048
	s_wait_xcnt 0x0
	v_cmpx_gt_u32_e64 s5, v1
	s_cbranch_execz .LBB65_19
; %bb.18:
	global_load_b32 v3, v[4:5], off offset:3072
.LBB65_19:
	s_wait_xcnt 0x0
	s_or_b32 exec_lo, exec_lo, s10
	s_wait_loadcnt 0x0
	v_dual_mov_b32 v1, v3 :: v_dual_mov_b32 v3, v2
.LBB65_20:
	s_or_b32 exec_lo, exec_lo, s14
.LBB65_21:
	s_delay_alu instid0(SALU_CYCLE_1)
	s_or_b32 exec_lo, exec_lo, s12
.LBB65_22:
	s_delay_alu instid0(SALU_CYCLE_1)
	s_or_b32 exec_lo, exec_lo, s0
	s_cmp_lg_u64 s[8:9], 0
	s_mov_b32 s10, 0
	s_cselect_b32 s14, -1, 0
	s_and_saveexec_b32 s8, s3
	s_cbranch_execz .LBB65_24
; %bb.23:
	s_wait_loadcnt 0x0
	v_cmp_le_i32_e32 vcc_lo, s16, v8
	v_cmp_gt_i32_e64 s0, s4, v8
	s_and_not1_b32 s9, s13, exec_lo
	s_mov_b32 s10, exec_lo
	s_and_b32 s0, vcc_lo, s0
	s_delay_alu instid0(SALU_CYCLE_1) | instskip(NEXT) | instid1(SALU_CYCLE_1)
	s_and_b32 s0, s14, s0
	s_and_b32 s0, s0, exec_lo
	s_delay_alu instid0(SALU_CYCLE_1)
	s_or_b32 s13, s9, s0
.LBB65_24:
	s_or_b32 exec_lo, exec_lo, s8
                                        ; implicit-def: $sgpr8
                                        ; implicit-def: $sgpr9
                                        ; implicit-def: $sgpr11
	s_and_saveexec_b32 s12, s13
	s_cbranch_execz .LBB65_46
; %bb.25:
	v_cmp_le_i32_e64 s18, s5, v7
	v_cmp_gt_i32_e64 s8, s5, v7
	s_mov_b32 s13, 0
	s_and_saveexec_b32 s9, s8
	s_cbranch_execz .LBB65_27
; %bb.26:
	s_wait_loadcnt 0x0
	v_cmp_le_i32_e32 vcc_lo, s16, v6
	v_cmp_gt_i32_e64 s0, s4, v6
	s_and_not1_b32 s11, s18, exec_lo
	s_mov_b32 s13, exec_lo
	s_and_b32 s0, vcc_lo, s0
	s_delay_alu instid0(SALU_CYCLE_1) | instskip(NEXT) | instid1(SALU_CYCLE_1)
	s_and_b32 s0, s14, s0
	s_and_b32 s0, s0, exec_lo
	s_delay_alu instid0(SALU_CYCLE_1)
	s_or_b32 s18, s11, s0
.LBB65_27:
	s_or_b32 exec_lo, exec_lo, s9
                                        ; implicit-def: $sgpr9
                                        ; implicit-def: $sgpr11
	s_and_saveexec_b32 s15, s18
	s_cbranch_execz .LBB65_35
; %bb.28:
	v_or_b32_e32 v2, 0x200, v0
	s_mov_b32 s18, 0
	s_delay_alu instid0(VALU_DEP_1)
	v_cmp_le_i32_e64 s20, s5, v2
	v_cmp_gt_i32_e64 s9, s5, v2
	s_and_saveexec_b32 s11, s9
; %bb.29:
	v_cmp_le_i32_e32 vcc_lo, s16, v3
	v_cmp_gt_i32_e64 s0, s4, v3
	s_and_not1_b32 s19, s20, exec_lo
	s_mov_b32 s17, exec_lo
	s_and_b32 s0, vcc_lo, s0
	s_delay_alu instid0(SALU_CYCLE_1) | instskip(NEXT) | instid1(SALU_CYCLE_1)
	s_and_b32 s0, s14, s0
	s_and_b32 s0, s0, exec_lo
	s_delay_alu instid0(SALU_CYCLE_1)
	s_or_b32 s20, s19, s0
; %bb.30:
	s_or_b32 exec_lo, exec_lo, s11
                                        ; implicit-def: $sgpr11
	s_and_saveexec_b32 s19, s20
	s_cbranch_execz .LBB65_34
; %bb.31:
	v_or_b32_e32 v2, 0x300, v0
	s_mov_b32 s0, 0
	s_delay_alu instid0(VALU_DEP_1) | instskip(SKIP_2) | instid1(SALU_CYCLE_1)
	v_cmp_le_i32_e64 s18, s5, v2
	v_cmp_gt_i32_e64 s11, s5, v2
	s_and_saveexec_b32 s5, s11
	s_xor_b32 s5, exec_lo, s5
; %bb.32:
	v_cmp_le_i32_e32 vcc_lo, s16, v1
	v_cmp_gt_i32_e64 s0, s4, v1
	s_or_b32 s18, s18, exec_lo
	s_and_b32 s0, vcc_lo, s0
	s_delay_alu instid0(SALU_CYCLE_1) | instskip(NEXT) | instid1(SALU_CYCLE_1)
	s_and_b32 s0, s14, s0
	s_xor_b32 s0, s0, -1
	s_delay_alu instid0(SALU_CYCLE_1)
	s_and_b32 s0, s0, exec_lo
; %bb.33:
	s_or_b32 exec_lo, exec_lo, s5
	s_delay_alu instid0(SALU_CYCLE_1)
	s_and_not1_b32 s4, s17, exec_lo
	s_and_b32 s0, s0, exec_lo
	s_and_b32 s18, s18, exec_lo
	s_or_b32 s17, s4, s0
.LBB65_34:
	s_or_b32 exec_lo, exec_lo, s19
	s_delay_alu instid0(SALU_CYCLE_1)
	s_and_not1_b32 s0, s13, exec_lo
	s_and_b32 s4, s17, exec_lo
	s_and_b32 s17, s18, exec_lo
	s_or_b32 s13, s0, s4
.LBB65_35:
	s_or_b32 exec_lo, exec_lo, s15
	s_delay_alu instid0(SALU_CYCLE_1)
	s_and_not1_b32 s0, s10, exec_lo
	s_and_b32 s4, s13, exec_lo
	s_and_b32 s17, s17, exec_lo
	s_or_b32 s10, s0, s4
	s_or_b32 exec_lo, exec_lo, s12
	s_and_saveexec_b32 s0, s10
	s_cbranch_execz .LBB65_47
.LBB65_36:
	s_and_not1_b32 s17, s17, exec_lo
	s_or_b32 s1, s1, exec_lo
	s_trap 2
	s_or_b32 exec_lo, exec_lo, s0
	s_and_saveexec_b32 s0, s1
	s_cbranch_execnz .LBB65_38
	s_branch .LBB65_39
.LBB65_37:
                                        ; implicit-def: $sgpr3
                                        ; implicit-def: $sgpr8
                                        ; implicit-def: $sgpr9
                                        ; implicit-def: $sgpr11
                                        ; implicit-def: $vgpr0
	s_and_saveexec_b32 s0, s1
.LBB65_38:
	; divergent unreachable
.LBB65_39:
	s_delay_alu instid0(SALU_CYCLE_1)
	s_or_b32 exec_lo, exec_lo, s0
	s_and_saveexec_b32 s0, s17
	s_cbranch_execz .LBB65_45
; %bb.40:
	s_and_b32 exec_lo, exec_lo, s3
	s_cbranch_execz .LBB65_45
; %bb.41:
	v_dual_mov_b32 v1, 0 :: v_dual_bitop2_b32 v2, s2, v0 bitop3:0x54
	global_store_b32 v2, v1, s[6:7] scale_offset
	s_wait_xcnt 0x0
	s_and_b32 exec_lo, exec_lo, s8
	s_cbranch_execz .LBB65_45
; %bb.42:
	v_add_nc_u32_e32 v0, s2, v0
	global_store_b32 v0, v1, s[6:7] offset:1024 scale_offset
	s_wait_xcnt 0x0
	s_and_b32 exec_lo, exec_lo, s9
	s_cbranch_execz .LBB65_45
; %bb.43:
	v_lshl_add_u64 v[0:1], v[0:1], 2, s[6:7]
	v_mov_b32_e32 v2, 0
	global_store_b32 v[0:1], v2, off offset:2048
	s_wait_xcnt 0x0
	s_and_b32 exec_lo, exec_lo, s11
	s_cbranch_execz .LBB65_45
; %bb.44:
	global_store_b32 v[0:1], v2, off offset:3072
.LBB65_45:
	s_endpgm
.LBB65_46:
	s_or_b32 exec_lo, exec_lo, s12
	s_and_saveexec_b32 s0, s10
	s_cbranch_execnz .LBB65_36
.LBB65_47:
	s_or_b32 exec_lo, exec_lo, s0
	s_and_saveexec_b32 s0, s1
	s_cbranch_execnz .LBB65_38
	s_branch .LBB65_39
.LBB65_48:
	s_mov_b32 s1, exec_lo
	s_trap 2
	s_branch .LBB65_12
	.section	.rodata,"a",@progbits
	.p2align	6, 0x0
	.amdhsa_kernel _ZN2at6native29vectorized_elementwise_kernelILi8EZZZNS0_12_GLOBAL__N_142_validate_compressed_sparse_indices_kernelILNS2_8CDimNameE1ENS2_18CUDAKernelLauncherENS2_14EmptyVecKernelENS2_8DummyVecELm8EEEvRKNS_6TensorESA_lllENKUlvE0_clEvENKUlvE_clEvEUliE_St5arrayIPcLm2EEEEviT0_T1_
		.amdhsa_group_segment_fixed_size 0
		.amdhsa_private_segment_fixed_size 0
		.amdhsa_kernarg_size 40
		.amdhsa_user_sgpr_count 2
		.amdhsa_user_sgpr_dispatch_ptr 0
		.amdhsa_user_sgpr_queue_ptr 0
		.amdhsa_user_sgpr_kernarg_segment_ptr 1
		.amdhsa_user_sgpr_dispatch_id 0
		.amdhsa_user_sgpr_kernarg_preload_length 0
		.amdhsa_user_sgpr_kernarg_preload_offset 0
		.amdhsa_user_sgpr_private_segment_size 0
		.amdhsa_wavefront_size32 1
		.amdhsa_uses_dynamic_stack 0
		.amdhsa_enable_private_segment 0
		.amdhsa_system_sgpr_workgroup_id_x 1
		.amdhsa_system_sgpr_workgroup_id_y 0
		.amdhsa_system_sgpr_workgroup_id_z 0
		.amdhsa_system_sgpr_workgroup_info 0
		.amdhsa_system_vgpr_workitem_id 0
		.amdhsa_next_free_vgpr 9
		.amdhsa_next_free_sgpr 22
		.amdhsa_named_barrier_count 0
		.amdhsa_reserve_vcc 1
		.amdhsa_float_round_mode_32 0
		.amdhsa_float_round_mode_16_64 0
		.amdhsa_float_denorm_mode_32 3
		.amdhsa_float_denorm_mode_16_64 3
		.amdhsa_fp16_overflow 0
		.amdhsa_memory_ordered 1
		.amdhsa_forward_progress 1
		.amdhsa_inst_pref_size 11
		.amdhsa_round_robin_scheduling 0
		.amdhsa_exception_fp_ieee_invalid_op 0
		.amdhsa_exception_fp_denorm_src 0
		.amdhsa_exception_fp_ieee_div_zero 0
		.amdhsa_exception_fp_ieee_overflow 0
		.amdhsa_exception_fp_ieee_underflow 0
		.amdhsa_exception_fp_ieee_inexact 0
		.amdhsa_exception_int_div_zero 0
	.end_amdhsa_kernel
	.section	.text._ZN2at6native29vectorized_elementwise_kernelILi8EZZZNS0_12_GLOBAL__N_142_validate_compressed_sparse_indices_kernelILNS2_8CDimNameE1ENS2_18CUDAKernelLauncherENS2_14EmptyVecKernelENS2_8DummyVecELm8EEEvRKNS_6TensorESA_lllENKUlvE0_clEvENKUlvE_clEvEUliE_St5arrayIPcLm2EEEEviT0_T1_,"axG",@progbits,_ZN2at6native29vectorized_elementwise_kernelILi8EZZZNS0_12_GLOBAL__N_142_validate_compressed_sparse_indices_kernelILNS2_8CDimNameE1ENS2_18CUDAKernelLauncherENS2_14EmptyVecKernelENS2_8DummyVecELm8EEEvRKNS_6TensorESA_lllENKUlvE0_clEvENKUlvE_clEvEUliE_St5arrayIPcLm2EEEEviT0_T1_,comdat
.Lfunc_end65:
	.size	_ZN2at6native29vectorized_elementwise_kernelILi8EZZZNS0_12_GLOBAL__N_142_validate_compressed_sparse_indices_kernelILNS2_8CDimNameE1ENS2_18CUDAKernelLauncherENS2_14EmptyVecKernelENS2_8DummyVecELm8EEEvRKNS_6TensorESA_lllENKUlvE0_clEvENKUlvE_clEvEUliE_St5arrayIPcLm2EEEEviT0_T1_, .Lfunc_end65-_ZN2at6native29vectorized_elementwise_kernelILi8EZZZNS0_12_GLOBAL__N_142_validate_compressed_sparse_indices_kernelILNS2_8CDimNameE1ENS2_18CUDAKernelLauncherENS2_14EmptyVecKernelENS2_8DummyVecELm8EEEvRKNS_6TensorESA_lllENKUlvE0_clEvENKUlvE_clEvEUliE_St5arrayIPcLm2EEEEviT0_T1_
                                        ; -- End function
	.set _ZN2at6native29vectorized_elementwise_kernelILi8EZZZNS0_12_GLOBAL__N_142_validate_compressed_sparse_indices_kernelILNS2_8CDimNameE1ENS2_18CUDAKernelLauncherENS2_14EmptyVecKernelENS2_8DummyVecELm8EEEvRKNS_6TensorESA_lllENKUlvE0_clEvENKUlvE_clEvEUliE_St5arrayIPcLm2EEEEviT0_T1_.num_vgpr, 9
	.set _ZN2at6native29vectorized_elementwise_kernelILi8EZZZNS0_12_GLOBAL__N_142_validate_compressed_sparse_indices_kernelILNS2_8CDimNameE1ENS2_18CUDAKernelLauncherENS2_14EmptyVecKernelENS2_8DummyVecELm8EEEvRKNS_6TensorESA_lllENKUlvE0_clEvENKUlvE_clEvEUliE_St5arrayIPcLm2EEEEviT0_T1_.num_agpr, 0
	.set _ZN2at6native29vectorized_elementwise_kernelILi8EZZZNS0_12_GLOBAL__N_142_validate_compressed_sparse_indices_kernelILNS2_8CDimNameE1ENS2_18CUDAKernelLauncherENS2_14EmptyVecKernelENS2_8DummyVecELm8EEEvRKNS_6TensorESA_lllENKUlvE0_clEvENKUlvE_clEvEUliE_St5arrayIPcLm2EEEEviT0_T1_.numbered_sgpr, 22
	.set _ZN2at6native29vectorized_elementwise_kernelILi8EZZZNS0_12_GLOBAL__N_142_validate_compressed_sparse_indices_kernelILNS2_8CDimNameE1ENS2_18CUDAKernelLauncherENS2_14EmptyVecKernelENS2_8DummyVecELm8EEEvRKNS_6TensorESA_lllENKUlvE0_clEvENKUlvE_clEvEUliE_St5arrayIPcLm2EEEEviT0_T1_.num_named_barrier, 0
	.set _ZN2at6native29vectorized_elementwise_kernelILi8EZZZNS0_12_GLOBAL__N_142_validate_compressed_sparse_indices_kernelILNS2_8CDimNameE1ENS2_18CUDAKernelLauncherENS2_14EmptyVecKernelENS2_8DummyVecELm8EEEvRKNS_6TensorESA_lllENKUlvE0_clEvENKUlvE_clEvEUliE_St5arrayIPcLm2EEEEviT0_T1_.private_seg_size, 0
	.set _ZN2at6native29vectorized_elementwise_kernelILi8EZZZNS0_12_GLOBAL__N_142_validate_compressed_sparse_indices_kernelILNS2_8CDimNameE1ENS2_18CUDAKernelLauncherENS2_14EmptyVecKernelENS2_8DummyVecELm8EEEvRKNS_6TensorESA_lllENKUlvE0_clEvENKUlvE_clEvEUliE_St5arrayIPcLm2EEEEviT0_T1_.uses_vcc, 1
	.set _ZN2at6native29vectorized_elementwise_kernelILi8EZZZNS0_12_GLOBAL__N_142_validate_compressed_sparse_indices_kernelILNS2_8CDimNameE1ENS2_18CUDAKernelLauncherENS2_14EmptyVecKernelENS2_8DummyVecELm8EEEvRKNS_6TensorESA_lllENKUlvE0_clEvENKUlvE_clEvEUliE_St5arrayIPcLm2EEEEviT0_T1_.uses_flat_scratch, 0
	.set _ZN2at6native29vectorized_elementwise_kernelILi8EZZZNS0_12_GLOBAL__N_142_validate_compressed_sparse_indices_kernelILNS2_8CDimNameE1ENS2_18CUDAKernelLauncherENS2_14EmptyVecKernelENS2_8DummyVecELm8EEEvRKNS_6TensorESA_lllENKUlvE0_clEvENKUlvE_clEvEUliE_St5arrayIPcLm2EEEEviT0_T1_.has_dyn_sized_stack, 0
	.set _ZN2at6native29vectorized_elementwise_kernelILi8EZZZNS0_12_GLOBAL__N_142_validate_compressed_sparse_indices_kernelILNS2_8CDimNameE1ENS2_18CUDAKernelLauncherENS2_14EmptyVecKernelENS2_8DummyVecELm8EEEvRKNS_6TensorESA_lllENKUlvE0_clEvENKUlvE_clEvEUliE_St5arrayIPcLm2EEEEviT0_T1_.has_recursion, 0
	.set _ZN2at6native29vectorized_elementwise_kernelILi8EZZZNS0_12_GLOBAL__N_142_validate_compressed_sparse_indices_kernelILNS2_8CDimNameE1ENS2_18CUDAKernelLauncherENS2_14EmptyVecKernelENS2_8DummyVecELm8EEEvRKNS_6TensorESA_lllENKUlvE0_clEvENKUlvE_clEvEUliE_St5arrayIPcLm2EEEEviT0_T1_.has_indirect_call, 0
	.section	.AMDGPU.csdata,"",@progbits
; Kernel info:
; codeLenInByte = 1384
; TotalNumSgprs: 24
; NumVgprs: 9
; ScratchSize: 0
; MemoryBound: 0
; FloatMode: 240
; IeeeMode: 1
; LDSByteSize: 0 bytes/workgroup (compile time only)
; SGPRBlocks: 0
; VGPRBlocks: 0
; NumSGPRsForWavesPerEU: 24
; NumVGPRsForWavesPerEU: 9
; NamedBarCnt: 0
; Occupancy: 16
; WaveLimiterHint : 0
; COMPUTE_PGM_RSRC2:SCRATCH_EN: 0
; COMPUTE_PGM_RSRC2:USER_SGPR: 2
; COMPUTE_PGM_RSRC2:TRAP_HANDLER: 0
; COMPUTE_PGM_RSRC2:TGID_X_EN: 1
; COMPUTE_PGM_RSRC2:TGID_Y_EN: 0
; COMPUTE_PGM_RSRC2:TGID_Z_EN: 0
; COMPUTE_PGM_RSRC2:TIDIG_COMP_CNT: 0
	.section	.text._ZN2at6native29vectorized_elementwise_kernelILi4EZZZNS0_12_GLOBAL__N_142_validate_compressed_sparse_indices_kernelILNS2_8CDimNameE1ENS2_18CUDAKernelLauncherENS2_14EmptyVecKernelENS2_8DummyVecELm8EEEvRKNS_6TensorESA_lllENKUlvE0_clEvENKUlvE_clEvEUliE_St5arrayIPcLm2EEEEviT0_T1_,"axG",@progbits,_ZN2at6native29vectorized_elementwise_kernelILi4EZZZNS0_12_GLOBAL__N_142_validate_compressed_sparse_indices_kernelILNS2_8CDimNameE1ENS2_18CUDAKernelLauncherENS2_14EmptyVecKernelENS2_8DummyVecELm8EEEvRKNS_6TensorESA_lllENKUlvE0_clEvENKUlvE_clEvEUliE_St5arrayIPcLm2EEEEviT0_T1_,comdat
	.globl	_ZN2at6native29vectorized_elementwise_kernelILi4EZZZNS0_12_GLOBAL__N_142_validate_compressed_sparse_indices_kernelILNS2_8CDimNameE1ENS2_18CUDAKernelLauncherENS2_14EmptyVecKernelENS2_8DummyVecELm8EEEvRKNS_6TensorESA_lllENKUlvE0_clEvENKUlvE_clEvEUliE_St5arrayIPcLm2EEEEviT0_T1_ ; -- Begin function _ZN2at6native29vectorized_elementwise_kernelILi4EZZZNS0_12_GLOBAL__N_142_validate_compressed_sparse_indices_kernelILNS2_8CDimNameE1ENS2_18CUDAKernelLauncherENS2_14EmptyVecKernelENS2_8DummyVecELm8EEEvRKNS_6TensorESA_lllENKUlvE0_clEvENKUlvE_clEvEUliE_St5arrayIPcLm2EEEEviT0_T1_
	.p2align	8
	.type	_ZN2at6native29vectorized_elementwise_kernelILi4EZZZNS0_12_GLOBAL__N_142_validate_compressed_sparse_indices_kernelILNS2_8CDimNameE1ENS2_18CUDAKernelLauncherENS2_14EmptyVecKernelENS2_8DummyVecELm8EEEvRKNS_6TensorESA_lllENKUlvE0_clEvENKUlvE_clEvEUliE_St5arrayIPcLm2EEEEviT0_T1_,@function
_ZN2at6native29vectorized_elementwise_kernelILi4EZZZNS0_12_GLOBAL__N_142_validate_compressed_sparse_indices_kernelILNS2_8CDimNameE1ENS2_18CUDAKernelLauncherENS2_14EmptyVecKernelENS2_8DummyVecELm8EEEvRKNS_6TensorESA_lllENKUlvE0_clEvENKUlvE_clEvEUliE_St5arrayIPcLm2EEEEviT0_T1_: ; @_ZN2at6native29vectorized_elementwise_kernelILi4EZZZNS0_12_GLOBAL__N_142_validate_compressed_sparse_indices_kernelILNS2_8CDimNameE1ENS2_18CUDAKernelLauncherENS2_14EmptyVecKernelENS2_8DummyVecELm8EEEvRKNS_6TensorESA_lllENKUlvE0_clEvENKUlvE_clEvEUliE_St5arrayIPcLm2EEEEviT0_T1_
; %bb.0:
	s_clause 0x3
	s_load_b32 s3, s[0:1], 0x0
	s_load_b32 s16, s[0:1], 0x8
	s_load_b128 s[4:7], s[0:1], 0x10
	s_load_b64 s[10:11], s[0:1], 0x20
	s_wait_xcnt 0x0
	s_bfe_u32 s0, ttmp6, 0x4000c
	s_and_b32 s1, ttmp6, 15
	s_add_co_i32 s0, s0, 1
	s_getreg_b32 s2, hwreg(HW_REG_IB_STS2, 6, 4)
	s_mul_i32 s0, ttmp9, s0
	s_mov_b32 s17, 0
	s_add_co_i32 s1, s1, s0
	s_cmp_eq_u32 s2, 0
	s_get_pc_i64 s[8:9]
	s_add_nc_u64 s[8:9], s[8:9], .str.5@rel64+4
	s_cselect_b32 s0, ttmp9, s1
	s_mov_b32 s1, 0
	s_lshl_b32 s2, s0, 10
	s_mov_b32 s0, -1
	s_wait_kmcnt 0x0
	s_sub_co_i32 s5, s3, s2
	s_delay_alu instid0(SALU_CYCLE_1)
	s_cmp_gt_i32 s5, 0x3ff
	s_cbranch_scc0 .LBB66_13
; %bb.1:
	s_cmp_eq_u64 s[8:9], 0
	s_cselect_b32 s3, -1, 0
	s_cmp_lg_u64 s[8:9], 0
	s_cbranch_scc0 .LBB66_11
; %bb.2:
	s_ashr_i32 s3, s2, 31
	v_lshlrev_b32_e32 v2, 4, v0
	s_lshl_b64 s[12:13], s[2:3], 2
	s_delay_alu instid0(SALU_CYCLE_1)
	s_add_nc_u64 s[14:15], s[10:11], s[12:13]
	global_load_b32 v1, v2, s[14:15]
	s_wait_loadcnt 0x0
	v_cmp_le_i32_e32 vcc_lo, s16, v1
	v_cmp_gt_i32_e64 s0, s4, v1
	s_and_b32 s0, vcc_lo, s0
	s_delay_alu instid0(SALU_CYCLE_1)
	s_xor_b32 s3, s0, -1
	s_and_saveexec_b32 s1, s0
	s_cbranch_execz .LBB66_10
; %bb.3:
	v_mov_b32_e32 v3, 0
	s_delay_alu instid0(VALU_DEP_1)
	v_add_nc_u64_e32 v[2:3], s[14:15], v[2:3]
	global_load_b96 v[2:4], v[2:3], off offset:4
	s_wait_loadcnt 0x0
	v_cmp_le_i32_e32 vcc_lo, s16, v2
	v_cmp_gt_i32_e64 s0, s4, v2
	s_and_b32 s0, vcc_lo, s0
	s_delay_alu instid0(SALU_CYCLE_1)
	s_xor_b32 s14, s0, -1
	s_and_saveexec_b32 s15, s0
	s_cbranch_execz .LBB66_9
; %bb.4:
	v_cmp_le_i32_e32 vcc_lo, s16, v3
	v_cmp_gt_i32_e64 s0, s4, v3
	s_mov_b32 s20, -1
	s_and_b32 s0, vcc_lo, s0
	s_delay_alu instid0(SALU_CYCLE_1)
	s_xor_b32 s18, s0, -1
	s_and_saveexec_b32 s19, s0
	s_cbranch_execz .LBB66_8
; %bb.5:
	v_cmp_le_i32_e32 vcc_lo, s16, v4
	v_cmp_gt_i32_e64 s0, s4, v4
	s_and_b32 s0, vcc_lo, s0
	s_delay_alu instid0(SALU_CYCLE_1) | instskip(NEXT) | instid1(SALU_CYCLE_1)
	s_and_saveexec_b32 s21, s0
	s_xor_b32 s0, exec_lo, s21
; %bb.6:
	v_mov_b32_e32 v2, 0
	s_add_nc_u64 s[12:13], s[6:7], s[12:13]
	s_xor_b32 s20, exec_lo, -1
	s_delay_alu instid0(VALU_DEP_1)
	v_dual_mov_b32 v3, v2 :: v_dual_mov_b32 v4, v2
	v_mov_b32_e32 v5, v2
	global_store_b128 v0, v[2:5], s[12:13] scale_offset
; %bb.7:
	s_wait_xcnt 0x0
	s_or_b32 exec_lo, exec_lo, s0
	s_delay_alu instid0(SALU_CYCLE_1) | instskip(SKIP_1) | instid1(SALU_CYCLE_1)
	s_and_not1_b32 s0, s18, exec_lo
	s_and_b32 s12, s20, exec_lo
	s_or_b32 s18, s0, s12
.LBB66_8:
	s_or_b32 exec_lo, exec_lo, s19
	s_delay_alu instid0(SALU_CYCLE_1) | instskip(SKIP_1) | instid1(SALU_CYCLE_1)
	s_and_not1_b32 s0, s14, exec_lo
	s_and_b32 s12, s18, exec_lo
	s_or_b32 s14, s0, s12
.LBB66_9:
	s_or_b32 exec_lo, exec_lo, s15
	s_delay_alu instid0(SALU_CYCLE_1) | instskip(SKIP_1) | instid1(SALU_CYCLE_1)
	s_and_not1_b32 s0, s3, exec_lo
	s_and_b32 s3, s14, exec_lo
	s_or_b32 s3, s0, s3
.LBB66_10:
	s_or_b32 exec_lo, exec_lo, s1
.LBB66_11:
	s_mov_b32 s0, 0
	s_mov_b32 s1, 0
	s_and_saveexec_b32 s12, s3
	s_delay_alu instid0(SALU_CYCLE_1)
	s_xor_b32 s3, exec_lo, s12
	s_cbranch_execnz .LBB66_48
.LBB66_12:
	s_or_b32 exec_lo, exec_lo, s3
.LBB66_13:
	s_delay_alu instid0(SALU_CYCLE_1)
	s_and_b32 vcc_lo, exec_lo, s0
	s_cbranch_vccz .LBB66_37
; %bb.14:
	v_cmp_le_i32_e64 s13, s5, v0
	v_cmp_gt_i32_e64 s3, s5, v0
	v_dual_mov_b32 v1, 0 :: v_dual_mov_b32 v3, 0
	v_or_b32_e32 v7, 0x100, v0
	v_dual_mov_b32 v6, 0 :: v_dual_mov_b32 v8, 0
	s_and_saveexec_b32 s0, s3
	s_cbranch_execz .LBB66_22
; %bb.15:
	v_dual_mov_b32 v6, 0 :: v_dual_bitop2_b32 v1, s2, v0 bitop3:0x54
	v_mov_b32_e32 v3, 0
	s_mov_b32 s12, exec_lo
	global_load_b32 v8, v1, s[10:11] scale_offset
	s_wait_xcnt 0x0
	v_mov_b32_e32 v1, 0
	v_cmpx_gt_u32_e64 s5, v7
	s_cbranch_execz .LBB66_21
; %bb.16:
	v_dual_mov_b32 v3, 0 :: v_dual_add_nc_u32 v2, s2, v0
	v_or_b32_e32 v1, 0x200, v0
	global_load_b32 v6, v2, s[10:11] offset:1024 scale_offset
	v_cmp_gt_u32_e32 vcc_lo, s5, v1
	v_mov_b32_e32 v1, 0
	s_wait_xcnt 0x0
	s_and_saveexec_b32 s14, vcc_lo
	s_cbranch_execz .LBB66_20
; %bb.17:
	v_lshl_add_u64 v[4:5], v[2:3], 2, s[10:11]
	v_or_b32_e32 v1, 0x300, v0
	s_mov_b32 s10, exec_lo
	global_load_b32 v2, v[4:5], off offset:2048
	s_wait_xcnt 0x0
	v_cmpx_gt_u32_e64 s5, v1
	s_cbranch_execz .LBB66_19
; %bb.18:
	global_load_b32 v3, v[4:5], off offset:3072
.LBB66_19:
	s_wait_xcnt 0x0
	s_or_b32 exec_lo, exec_lo, s10
	s_wait_loadcnt 0x0
	v_dual_mov_b32 v1, v3 :: v_dual_mov_b32 v3, v2
.LBB66_20:
	s_or_b32 exec_lo, exec_lo, s14
.LBB66_21:
	s_delay_alu instid0(SALU_CYCLE_1)
	s_or_b32 exec_lo, exec_lo, s12
.LBB66_22:
	s_delay_alu instid0(SALU_CYCLE_1)
	s_or_b32 exec_lo, exec_lo, s0
	s_cmp_lg_u64 s[8:9], 0
	s_mov_b32 s10, 0
	s_cselect_b32 s14, -1, 0
	s_and_saveexec_b32 s8, s3
	s_cbranch_execz .LBB66_24
; %bb.23:
	s_wait_loadcnt 0x0
	v_cmp_le_i32_e32 vcc_lo, s16, v8
	v_cmp_gt_i32_e64 s0, s4, v8
	s_and_not1_b32 s9, s13, exec_lo
	s_mov_b32 s10, exec_lo
	s_and_b32 s0, vcc_lo, s0
	s_delay_alu instid0(SALU_CYCLE_1) | instskip(NEXT) | instid1(SALU_CYCLE_1)
	s_and_b32 s0, s14, s0
	s_and_b32 s0, s0, exec_lo
	s_delay_alu instid0(SALU_CYCLE_1)
	s_or_b32 s13, s9, s0
.LBB66_24:
	s_or_b32 exec_lo, exec_lo, s8
                                        ; implicit-def: $sgpr8
                                        ; implicit-def: $sgpr9
                                        ; implicit-def: $sgpr11
	s_and_saveexec_b32 s12, s13
	s_cbranch_execz .LBB66_46
; %bb.25:
	v_cmp_le_i32_e64 s18, s5, v7
	v_cmp_gt_i32_e64 s8, s5, v7
	s_mov_b32 s13, 0
	s_and_saveexec_b32 s9, s8
	s_cbranch_execz .LBB66_27
; %bb.26:
	s_wait_loadcnt 0x0
	v_cmp_le_i32_e32 vcc_lo, s16, v6
	v_cmp_gt_i32_e64 s0, s4, v6
	s_and_not1_b32 s11, s18, exec_lo
	s_mov_b32 s13, exec_lo
	s_and_b32 s0, vcc_lo, s0
	s_delay_alu instid0(SALU_CYCLE_1) | instskip(NEXT) | instid1(SALU_CYCLE_1)
	s_and_b32 s0, s14, s0
	s_and_b32 s0, s0, exec_lo
	s_delay_alu instid0(SALU_CYCLE_1)
	s_or_b32 s18, s11, s0
.LBB66_27:
	s_or_b32 exec_lo, exec_lo, s9
                                        ; implicit-def: $sgpr9
                                        ; implicit-def: $sgpr11
	s_and_saveexec_b32 s15, s18
	s_cbranch_execz .LBB66_35
; %bb.28:
	v_or_b32_e32 v2, 0x200, v0
	s_mov_b32 s18, 0
	s_delay_alu instid0(VALU_DEP_1)
	v_cmp_le_i32_e64 s20, s5, v2
	v_cmp_gt_i32_e64 s9, s5, v2
	s_and_saveexec_b32 s11, s9
; %bb.29:
	v_cmp_le_i32_e32 vcc_lo, s16, v3
	v_cmp_gt_i32_e64 s0, s4, v3
	s_and_not1_b32 s19, s20, exec_lo
	s_mov_b32 s17, exec_lo
	s_and_b32 s0, vcc_lo, s0
	s_delay_alu instid0(SALU_CYCLE_1) | instskip(NEXT) | instid1(SALU_CYCLE_1)
	s_and_b32 s0, s14, s0
	s_and_b32 s0, s0, exec_lo
	s_delay_alu instid0(SALU_CYCLE_1)
	s_or_b32 s20, s19, s0
; %bb.30:
	s_or_b32 exec_lo, exec_lo, s11
                                        ; implicit-def: $sgpr11
	s_and_saveexec_b32 s19, s20
	s_cbranch_execz .LBB66_34
; %bb.31:
	v_or_b32_e32 v2, 0x300, v0
	s_mov_b32 s0, 0
	s_delay_alu instid0(VALU_DEP_1) | instskip(SKIP_2) | instid1(SALU_CYCLE_1)
	v_cmp_le_i32_e64 s18, s5, v2
	v_cmp_gt_i32_e64 s11, s5, v2
	s_and_saveexec_b32 s5, s11
	s_xor_b32 s5, exec_lo, s5
; %bb.32:
	v_cmp_le_i32_e32 vcc_lo, s16, v1
	v_cmp_gt_i32_e64 s0, s4, v1
	s_or_b32 s18, s18, exec_lo
	s_and_b32 s0, vcc_lo, s0
	s_delay_alu instid0(SALU_CYCLE_1) | instskip(NEXT) | instid1(SALU_CYCLE_1)
	s_and_b32 s0, s14, s0
	s_xor_b32 s0, s0, -1
	s_delay_alu instid0(SALU_CYCLE_1)
	s_and_b32 s0, s0, exec_lo
; %bb.33:
	s_or_b32 exec_lo, exec_lo, s5
	s_delay_alu instid0(SALU_CYCLE_1)
	s_and_not1_b32 s4, s17, exec_lo
	s_and_b32 s0, s0, exec_lo
	s_and_b32 s18, s18, exec_lo
	s_or_b32 s17, s4, s0
.LBB66_34:
	s_or_b32 exec_lo, exec_lo, s19
	s_delay_alu instid0(SALU_CYCLE_1)
	s_and_not1_b32 s0, s13, exec_lo
	s_and_b32 s4, s17, exec_lo
	s_and_b32 s17, s18, exec_lo
	s_or_b32 s13, s0, s4
.LBB66_35:
	s_or_b32 exec_lo, exec_lo, s15
	s_delay_alu instid0(SALU_CYCLE_1)
	s_and_not1_b32 s0, s10, exec_lo
	s_and_b32 s4, s13, exec_lo
	s_and_b32 s17, s17, exec_lo
	s_or_b32 s10, s0, s4
	s_or_b32 exec_lo, exec_lo, s12
	s_and_saveexec_b32 s0, s10
	s_cbranch_execz .LBB66_47
.LBB66_36:
	s_and_not1_b32 s17, s17, exec_lo
	s_or_b32 s1, s1, exec_lo
	s_trap 2
	s_or_b32 exec_lo, exec_lo, s0
	s_and_saveexec_b32 s0, s1
	s_cbranch_execnz .LBB66_38
	s_branch .LBB66_39
.LBB66_37:
                                        ; implicit-def: $sgpr3
                                        ; implicit-def: $sgpr8
                                        ; implicit-def: $sgpr9
                                        ; implicit-def: $sgpr11
                                        ; implicit-def: $vgpr0
	s_and_saveexec_b32 s0, s1
.LBB66_38:
	; divergent unreachable
.LBB66_39:
	s_delay_alu instid0(SALU_CYCLE_1)
	s_or_b32 exec_lo, exec_lo, s0
	s_and_saveexec_b32 s0, s17
	s_cbranch_execz .LBB66_45
; %bb.40:
	s_and_b32 exec_lo, exec_lo, s3
	s_cbranch_execz .LBB66_45
; %bb.41:
	v_dual_mov_b32 v1, 0 :: v_dual_bitop2_b32 v2, s2, v0 bitop3:0x54
	global_store_b32 v2, v1, s[6:7] scale_offset
	s_wait_xcnt 0x0
	s_and_b32 exec_lo, exec_lo, s8
	s_cbranch_execz .LBB66_45
; %bb.42:
	v_add_nc_u32_e32 v0, s2, v0
	global_store_b32 v0, v1, s[6:7] offset:1024 scale_offset
	s_wait_xcnt 0x0
	s_and_b32 exec_lo, exec_lo, s9
	s_cbranch_execz .LBB66_45
; %bb.43:
	v_lshl_add_u64 v[0:1], v[0:1], 2, s[6:7]
	v_mov_b32_e32 v2, 0
	global_store_b32 v[0:1], v2, off offset:2048
	s_wait_xcnt 0x0
	s_and_b32 exec_lo, exec_lo, s11
	s_cbranch_execz .LBB66_45
; %bb.44:
	global_store_b32 v[0:1], v2, off offset:3072
.LBB66_45:
	s_endpgm
.LBB66_46:
	s_or_b32 exec_lo, exec_lo, s12
	s_and_saveexec_b32 s0, s10
	s_cbranch_execnz .LBB66_36
.LBB66_47:
	s_or_b32 exec_lo, exec_lo, s0
	s_and_saveexec_b32 s0, s1
	s_cbranch_execnz .LBB66_38
	s_branch .LBB66_39
.LBB66_48:
	s_mov_b32 s1, exec_lo
	s_trap 2
	s_branch .LBB66_12
	.section	.rodata,"a",@progbits
	.p2align	6, 0x0
	.amdhsa_kernel _ZN2at6native29vectorized_elementwise_kernelILi4EZZZNS0_12_GLOBAL__N_142_validate_compressed_sparse_indices_kernelILNS2_8CDimNameE1ENS2_18CUDAKernelLauncherENS2_14EmptyVecKernelENS2_8DummyVecELm8EEEvRKNS_6TensorESA_lllENKUlvE0_clEvENKUlvE_clEvEUliE_St5arrayIPcLm2EEEEviT0_T1_
		.amdhsa_group_segment_fixed_size 0
		.amdhsa_private_segment_fixed_size 0
		.amdhsa_kernarg_size 40
		.amdhsa_user_sgpr_count 2
		.amdhsa_user_sgpr_dispatch_ptr 0
		.amdhsa_user_sgpr_queue_ptr 0
		.amdhsa_user_sgpr_kernarg_segment_ptr 1
		.amdhsa_user_sgpr_dispatch_id 0
		.amdhsa_user_sgpr_kernarg_preload_length 0
		.amdhsa_user_sgpr_kernarg_preload_offset 0
		.amdhsa_user_sgpr_private_segment_size 0
		.amdhsa_wavefront_size32 1
		.amdhsa_uses_dynamic_stack 0
		.amdhsa_enable_private_segment 0
		.amdhsa_system_sgpr_workgroup_id_x 1
		.amdhsa_system_sgpr_workgroup_id_y 0
		.amdhsa_system_sgpr_workgroup_id_z 0
		.amdhsa_system_sgpr_workgroup_info 0
		.amdhsa_system_vgpr_workitem_id 0
		.amdhsa_next_free_vgpr 9
		.amdhsa_next_free_sgpr 22
		.amdhsa_named_barrier_count 0
		.amdhsa_reserve_vcc 1
		.amdhsa_float_round_mode_32 0
		.amdhsa_float_round_mode_16_64 0
		.amdhsa_float_denorm_mode_32 3
		.amdhsa_float_denorm_mode_16_64 3
		.amdhsa_fp16_overflow 0
		.amdhsa_memory_ordered 1
		.amdhsa_forward_progress 1
		.amdhsa_inst_pref_size 11
		.amdhsa_round_robin_scheduling 0
		.amdhsa_exception_fp_ieee_invalid_op 0
		.amdhsa_exception_fp_denorm_src 0
		.amdhsa_exception_fp_ieee_div_zero 0
		.amdhsa_exception_fp_ieee_overflow 0
		.amdhsa_exception_fp_ieee_underflow 0
		.amdhsa_exception_fp_ieee_inexact 0
		.amdhsa_exception_int_div_zero 0
	.end_amdhsa_kernel
	.section	.text._ZN2at6native29vectorized_elementwise_kernelILi4EZZZNS0_12_GLOBAL__N_142_validate_compressed_sparse_indices_kernelILNS2_8CDimNameE1ENS2_18CUDAKernelLauncherENS2_14EmptyVecKernelENS2_8DummyVecELm8EEEvRKNS_6TensorESA_lllENKUlvE0_clEvENKUlvE_clEvEUliE_St5arrayIPcLm2EEEEviT0_T1_,"axG",@progbits,_ZN2at6native29vectorized_elementwise_kernelILi4EZZZNS0_12_GLOBAL__N_142_validate_compressed_sparse_indices_kernelILNS2_8CDimNameE1ENS2_18CUDAKernelLauncherENS2_14EmptyVecKernelENS2_8DummyVecELm8EEEvRKNS_6TensorESA_lllENKUlvE0_clEvENKUlvE_clEvEUliE_St5arrayIPcLm2EEEEviT0_T1_,comdat
.Lfunc_end66:
	.size	_ZN2at6native29vectorized_elementwise_kernelILi4EZZZNS0_12_GLOBAL__N_142_validate_compressed_sparse_indices_kernelILNS2_8CDimNameE1ENS2_18CUDAKernelLauncherENS2_14EmptyVecKernelENS2_8DummyVecELm8EEEvRKNS_6TensorESA_lllENKUlvE0_clEvENKUlvE_clEvEUliE_St5arrayIPcLm2EEEEviT0_T1_, .Lfunc_end66-_ZN2at6native29vectorized_elementwise_kernelILi4EZZZNS0_12_GLOBAL__N_142_validate_compressed_sparse_indices_kernelILNS2_8CDimNameE1ENS2_18CUDAKernelLauncherENS2_14EmptyVecKernelENS2_8DummyVecELm8EEEvRKNS_6TensorESA_lllENKUlvE0_clEvENKUlvE_clEvEUliE_St5arrayIPcLm2EEEEviT0_T1_
                                        ; -- End function
	.set _ZN2at6native29vectorized_elementwise_kernelILi4EZZZNS0_12_GLOBAL__N_142_validate_compressed_sparse_indices_kernelILNS2_8CDimNameE1ENS2_18CUDAKernelLauncherENS2_14EmptyVecKernelENS2_8DummyVecELm8EEEvRKNS_6TensorESA_lllENKUlvE0_clEvENKUlvE_clEvEUliE_St5arrayIPcLm2EEEEviT0_T1_.num_vgpr, 9
	.set _ZN2at6native29vectorized_elementwise_kernelILi4EZZZNS0_12_GLOBAL__N_142_validate_compressed_sparse_indices_kernelILNS2_8CDimNameE1ENS2_18CUDAKernelLauncherENS2_14EmptyVecKernelENS2_8DummyVecELm8EEEvRKNS_6TensorESA_lllENKUlvE0_clEvENKUlvE_clEvEUliE_St5arrayIPcLm2EEEEviT0_T1_.num_agpr, 0
	.set _ZN2at6native29vectorized_elementwise_kernelILi4EZZZNS0_12_GLOBAL__N_142_validate_compressed_sparse_indices_kernelILNS2_8CDimNameE1ENS2_18CUDAKernelLauncherENS2_14EmptyVecKernelENS2_8DummyVecELm8EEEvRKNS_6TensorESA_lllENKUlvE0_clEvENKUlvE_clEvEUliE_St5arrayIPcLm2EEEEviT0_T1_.numbered_sgpr, 22
	.set _ZN2at6native29vectorized_elementwise_kernelILi4EZZZNS0_12_GLOBAL__N_142_validate_compressed_sparse_indices_kernelILNS2_8CDimNameE1ENS2_18CUDAKernelLauncherENS2_14EmptyVecKernelENS2_8DummyVecELm8EEEvRKNS_6TensorESA_lllENKUlvE0_clEvENKUlvE_clEvEUliE_St5arrayIPcLm2EEEEviT0_T1_.num_named_barrier, 0
	.set _ZN2at6native29vectorized_elementwise_kernelILi4EZZZNS0_12_GLOBAL__N_142_validate_compressed_sparse_indices_kernelILNS2_8CDimNameE1ENS2_18CUDAKernelLauncherENS2_14EmptyVecKernelENS2_8DummyVecELm8EEEvRKNS_6TensorESA_lllENKUlvE0_clEvENKUlvE_clEvEUliE_St5arrayIPcLm2EEEEviT0_T1_.private_seg_size, 0
	.set _ZN2at6native29vectorized_elementwise_kernelILi4EZZZNS0_12_GLOBAL__N_142_validate_compressed_sparse_indices_kernelILNS2_8CDimNameE1ENS2_18CUDAKernelLauncherENS2_14EmptyVecKernelENS2_8DummyVecELm8EEEvRKNS_6TensorESA_lllENKUlvE0_clEvENKUlvE_clEvEUliE_St5arrayIPcLm2EEEEviT0_T1_.uses_vcc, 1
	.set _ZN2at6native29vectorized_elementwise_kernelILi4EZZZNS0_12_GLOBAL__N_142_validate_compressed_sparse_indices_kernelILNS2_8CDimNameE1ENS2_18CUDAKernelLauncherENS2_14EmptyVecKernelENS2_8DummyVecELm8EEEvRKNS_6TensorESA_lllENKUlvE0_clEvENKUlvE_clEvEUliE_St5arrayIPcLm2EEEEviT0_T1_.uses_flat_scratch, 0
	.set _ZN2at6native29vectorized_elementwise_kernelILi4EZZZNS0_12_GLOBAL__N_142_validate_compressed_sparse_indices_kernelILNS2_8CDimNameE1ENS2_18CUDAKernelLauncherENS2_14EmptyVecKernelENS2_8DummyVecELm8EEEvRKNS_6TensorESA_lllENKUlvE0_clEvENKUlvE_clEvEUliE_St5arrayIPcLm2EEEEviT0_T1_.has_dyn_sized_stack, 0
	.set _ZN2at6native29vectorized_elementwise_kernelILi4EZZZNS0_12_GLOBAL__N_142_validate_compressed_sparse_indices_kernelILNS2_8CDimNameE1ENS2_18CUDAKernelLauncherENS2_14EmptyVecKernelENS2_8DummyVecELm8EEEvRKNS_6TensorESA_lllENKUlvE0_clEvENKUlvE_clEvEUliE_St5arrayIPcLm2EEEEviT0_T1_.has_recursion, 0
	.set _ZN2at6native29vectorized_elementwise_kernelILi4EZZZNS0_12_GLOBAL__N_142_validate_compressed_sparse_indices_kernelILNS2_8CDimNameE1ENS2_18CUDAKernelLauncherENS2_14EmptyVecKernelENS2_8DummyVecELm8EEEvRKNS_6TensorESA_lllENKUlvE0_clEvENKUlvE_clEvEUliE_St5arrayIPcLm2EEEEviT0_T1_.has_indirect_call, 0
	.section	.AMDGPU.csdata,"",@progbits
; Kernel info:
; codeLenInByte = 1384
; TotalNumSgprs: 24
; NumVgprs: 9
; ScratchSize: 0
; MemoryBound: 0
; FloatMode: 240
; IeeeMode: 1
; LDSByteSize: 0 bytes/workgroup (compile time only)
; SGPRBlocks: 0
; VGPRBlocks: 0
; NumSGPRsForWavesPerEU: 24
; NumVGPRsForWavesPerEU: 9
; NamedBarCnt: 0
; Occupancy: 16
; WaveLimiterHint : 0
; COMPUTE_PGM_RSRC2:SCRATCH_EN: 0
; COMPUTE_PGM_RSRC2:USER_SGPR: 2
; COMPUTE_PGM_RSRC2:TRAP_HANDLER: 0
; COMPUTE_PGM_RSRC2:TGID_X_EN: 1
; COMPUTE_PGM_RSRC2:TGID_Y_EN: 0
; COMPUTE_PGM_RSRC2:TGID_Z_EN: 0
; COMPUTE_PGM_RSRC2:TIDIG_COMP_CNT: 0
	.section	.text._ZN2at6native29vectorized_elementwise_kernelILi2EZZZNS0_12_GLOBAL__N_142_validate_compressed_sparse_indices_kernelILNS2_8CDimNameE1ENS2_18CUDAKernelLauncherENS2_14EmptyVecKernelENS2_8DummyVecELm8EEEvRKNS_6TensorESA_lllENKUlvE0_clEvENKUlvE_clEvEUliE_St5arrayIPcLm2EEEEviT0_T1_,"axG",@progbits,_ZN2at6native29vectorized_elementwise_kernelILi2EZZZNS0_12_GLOBAL__N_142_validate_compressed_sparse_indices_kernelILNS2_8CDimNameE1ENS2_18CUDAKernelLauncherENS2_14EmptyVecKernelENS2_8DummyVecELm8EEEvRKNS_6TensorESA_lllENKUlvE0_clEvENKUlvE_clEvEUliE_St5arrayIPcLm2EEEEviT0_T1_,comdat
	.globl	_ZN2at6native29vectorized_elementwise_kernelILi2EZZZNS0_12_GLOBAL__N_142_validate_compressed_sparse_indices_kernelILNS2_8CDimNameE1ENS2_18CUDAKernelLauncherENS2_14EmptyVecKernelENS2_8DummyVecELm8EEEvRKNS_6TensorESA_lllENKUlvE0_clEvENKUlvE_clEvEUliE_St5arrayIPcLm2EEEEviT0_T1_ ; -- Begin function _ZN2at6native29vectorized_elementwise_kernelILi2EZZZNS0_12_GLOBAL__N_142_validate_compressed_sparse_indices_kernelILNS2_8CDimNameE1ENS2_18CUDAKernelLauncherENS2_14EmptyVecKernelENS2_8DummyVecELm8EEEvRKNS_6TensorESA_lllENKUlvE0_clEvENKUlvE_clEvEUliE_St5arrayIPcLm2EEEEviT0_T1_
	.p2align	8
	.type	_ZN2at6native29vectorized_elementwise_kernelILi2EZZZNS0_12_GLOBAL__N_142_validate_compressed_sparse_indices_kernelILNS2_8CDimNameE1ENS2_18CUDAKernelLauncherENS2_14EmptyVecKernelENS2_8DummyVecELm8EEEvRKNS_6TensorESA_lllENKUlvE0_clEvENKUlvE_clEvEUliE_St5arrayIPcLm2EEEEviT0_T1_,@function
_ZN2at6native29vectorized_elementwise_kernelILi2EZZZNS0_12_GLOBAL__N_142_validate_compressed_sparse_indices_kernelILNS2_8CDimNameE1ENS2_18CUDAKernelLauncherENS2_14EmptyVecKernelENS2_8DummyVecELm8EEEvRKNS_6TensorESA_lllENKUlvE0_clEvENKUlvE_clEvEUliE_St5arrayIPcLm2EEEEviT0_T1_: ; @_ZN2at6native29vectorized_elementwise_kernelILi2EZZZNS0_12_GLOBAL__N_142_validate_compressed_sparse_indices_kernelILNS2_8CDimNameE1ENS2_18CUDAKernelLauncherENS2_14EmptyVecKernelENS2_8DummyVecELm8EEEvRKNS_6TensorESA_lllENKUlvE0_clEvENKUlvE_clEvEUliE_St5arrayIPcLm2EEEEviT0_T1_
; %bb.0:
	s_clause 0x3
	s_load_b32 s3, s[0:1], 0x0
	s_load_b32 s16, s[0:1], 0x8
	s_load_b128 s[4:7], s[0:1], 0x10
	s_load_b64 s[10:11], s[0:1], 0x20
	s_wait_xcnt 0x0
	s_bfe_u32 s0, ttmp6, 0x4000c
	s_and_b32 s1, ttmp6, 15
	s_add_co_i32 s0, s0, 1
	s_getreg_b32 s2, hwreg(HW_REG_IB_STS2, 6, 4)
	s_mul_i32 s0, ttmp9, s0
	s_mov_b32 s17, 0
	s_add_co_i32 s1, s1, s0
	s_cmp_eq_u32 s2, 0
	s_get_pc_i64 s[8:9]
	s_add_nc_u64 s[8:9], s[8:9], .str.5@rel64+4
	s_cselect_b32 s0, ttmp9, s1
	s_mov_b32 s1, 0
	s_lshl_b32 s2, s0, 10
	s_mov_b32 s0, -1
	s_wait_kmcnt 0x0
	s_sub_co_i32 s5, s3, s2
	s_delay_alu instid0(SALU_CYCLE_1)
	s_cmp_gt_i32 s5, 0x3ff
	s_cbranch_scc0 .LBB67_13
; %bb.1:
	s_cmp_eq_u64 s[8:9], 0
	s_cselect_b32 s3, -1, 0
	s_cmp_lg_u64 s[8:9], 0
	s_cbranch_scc0 .LBB67_11
; %bb.2:
	s_ashr_i32 s3, s2, 31
	v_lshlrev_b32_e32 v2, 3, v0
	s_lshl_b64 s[12:13], s[2:3], 2
	s_delay_alu instid0(SALU_CYCLE_1)
	s_add_nc_u64 s[14:15], s[10:11], s[12:13]
	global_load_b32 v1, v2, s[14:15]
	s_wait_loadcnt 0x0
	v_cmp_le_i32_e32 vcc_lo, s16, v1
	v_cmp_gt_i32_e64 s0, s4, v1
	s_and_b32 s0, vcc_lo, s0
	s_delay_alu instid0(SALU_CYCLE_1)
	s_xor_b32 s3, s0, -1
	s_and_saveexec_b32 s1, s0
	s_cbranch_execz .LBB67_10
; %bb.3:
	v_mov_b32_e32 v3, 0
	s_delay_alu instid0(VALU_DEP_1)
	v_add_nc_u64_e32 v[2:3], s[14:15], v[2:3]
	global_load_b32 v1, v[2:3], off offset:4
	s_wait_loadcnt 0x0
	v_cmp_le_i32_e32 vcc_lo, s16, v1
	v_cmp_gt_i32_e64 s0, s4, v1
	s_and_b32 s0, vcc_lo, s0
	s_delay_alu instid0(SALU_CYCLE_1)
	s_xor_b32 s14, s0, -1
	s_and_saveexec_b32 s15, s0
	s_cbranch_execz .LBB67_9
; %bb.4:
	global_load_b64 v[2:3], v[2:3], off offset:2048
	s_mov_b32 s20, -1
	s_wait_loadcnt 0x0
	v_cmp_le_i32_e32 vcc_lo, s16, v2
	v_cmp_gt_i32_e64 s0, s4, v2
	s_and_b32 s0, vcc_lo, s0
	s_delay_alu instid0(SALU_CYCLE_1)
	s_xor_b32 s18, s0, -1
	s_and_saveexec_b32 s19, s0
	s_cbranch_execz .LBB67_8
; %bb.5:
	v_cmp_le_i32_e32 vcc_lo, s16, v3
	v_cmp_gt_i32_e64 s0, s4, v3
	s_and_b32 s0, vcc_lo, s0
	s_delay_alu instid0(SALU_CYCLE_1) | instskip(NEXT) | instid1(SALU_CYCLE_1)
	s_and_saveexec_b32 s21, s0
	s_xor_b32 s0, exec_lo, s21
; %bb.6:
	v_mov_b64_e32 v[2:3], 0
	s_add_nc_u64 s[12:13], s[6:7], s[12:13]
	s_xor_b32 s20, exec_lo, -1
	s_clause 0x1
	global_store_b64 v0, v[2:3], s[12:13] scale_offset
	global_store_b64 v0, v[2:3], s[12:13] offset:2048 scale_offset
; %bb.7:
	s_wait_xcnt 0x0
	s_or_b32 exec_lo, exec_lo, s0
	s_delay_alu instid0(SALU_CYCLE_1) | instskip(SKIP_1) | instid1(SALU_CYCLE_1)
	s_and_not1_b32 s0, s18, exec_lo
	s_and_b32 s12, s20, exec_lo
	s_or_b32 s18, s0, s12
.LBB67_8:
	s_or_b32 exec_lo, exec_lo, s19
	s_delay_alu instid0(SALU_CYCLE_1) | instskip(SKIP_1) | instid1(SALU_CYCLE_1)
	s_and_not1_b32 s0, s14, exec_lo
	s_and_b32 s12, s18, exec_lo
	s_or_b32 s14, s0, s12
.LBB67_9:
	s_or_b32 exec_lo, exec_lo, s15
	s_delay_alu instid0(SALU_CYCLE_1) | instskip(SKIP_1) | instid1(SALU_CYCLE_1)
	s_and_not1_b32 s0, s3, exec_lo
	s_and_b32 s3, s14, exec_lo
	s_or_b32 s3, s0, s3
.LBB67_10:
	s_or_b32 exec_lo, exec_lo, s1
.LBB67_11:
	s_mov_b32 s0, 0
	s_mov_b32 s1, 0
	s_and_saveexec_b32 s12, s3
	s_delay_alu instid0(SALU_CYCLE_1)
	s_xor_b32 s3, exec_lo, s12
	s_cbranch_execnz .LBB67_48
.LBB67_12:
	s_or_b32 exec_lo, exec_lo, s3
.LBB67_13:
	s_delay_alu instid0(SALU_CYCLE_1)
	s_and_b32 vcc_lo, exec_lo, s0
	s_cbranch_vccz .LBB67_37
; %bb.14:
	v_cmp_le_i32_e64 s13, s5, v0
	v_cmp_gt_i32_e64 s3, s5, v0
	v_dual_mov_b32 v1, 0 :: v_dual_mov_b32 v3, 0
	v_or_b32_e32 v7, 0x100, v0
	v_dual_mov_b32 v6, 0 :: v_dual_mov_b32 v8, 0
	s_and_saveexec_b32 s0, s3
	s_cbranch_execz .LBB67_22
; %bb.15:
	v_dual_mov_b32 v6, 0 :: v_dual_bitop2_b32 v1, s2, v0 bitop3:0x54
	v_mov_b32_e32 v3, 0
	s_mov_b32 s12, exec_lo
	global_load_b32 v8, v1, s[10:11] scale_offset
	s_wait_xcnt 0x0
	v_mov_b32_e32 v1, 0
	v_cmpx_gt_u32_e64 s5, v7
	s_cbranch_execz .LBB67_21
; %bb.16:
	v_dual_mov_b32 v3, 0 :: v_dual_add_nc_u32 v2, s2, v0
	v_or_b32_e32 v1, 0x200, v0
	global_load_b32 v6, v2, s[10:11] offset:1024 scale_offset
	v_cmp_gt_u32_e32 vcc_lo, s5, v1
	v_mov_b32_e32 v1, 0
	s_wait_xcnt 0x0
	s_and_saveexec_b32 s14, vcc_lo
	s_cbranch_execz .LBB67_20
; %bb.17:
	v_lshl_add_u64 v[4:5], v[2:3], 2, s[10:11]
	v_or_b32_e32 v1, 0x300, v0
	s_mov_b32 s10, exec_lo
	global_load_b32 v2, v[4:5], off offset:2048
	s_wait_xcnt 0x0
	v_cmpx_gt_u32_e64 s5, v1
	s_cbranch_execz .LBB67_19
; %bb.18:
	global_load_b32 v3, v[4:5], off offset:3072
.LBB67_19:
	s_wait_xcnt 0x0
	s_or_b32 exec_lo, exec_lo, s10
	s_wait_loadcnt 0x0
	v_dual_mov_b32 v1, v3 :: v_dual_mov_b32 v3, v2
.LBB67_20:
	s_or_b32 exec_lo, exec_lo, s14
.LBB67_21:
	s_delay_alu instid0(SALU_CYCLE_1)
	s_or_b32 exec_lo, exec_lo, s12
.LBB67_22:
	s_delay_alu instid0(SALU_CYCLE_1)
	s_or_b32 exec_lo, exec_lo, s0
	s_cmp_lg_u64 s[8:9], 0
	s_mov_b32 s10, 0
	s_cselect_b32 s14, -1, 0
	s_and_saveexec_b32 s8, s3
	s_cbranch_execz .LBB67_24
; %bb.23:
	s_wait_loadcnt 0x0
	v_cmp_le_i32_e32 vcc_lo, s16, v8
	v_cmp_gt_i32_e64 s0, s4, v8
	s_and_not1_b32 s9, s13, exec_lo
	s_mov_b32 s10, exec_lo
	s_and_b32 s0, vcc_lo, s0
	s_delay_alu instid0(SALU_CYCLE_1) | instskip(NEXT) | instid1(SALU_CYCLE_1)
	s_and_b32 s0, s14, s0
	s_and_b32 s0, s0, exec_lo
	s_delay_alu instid0(SALU_CYCLE_1)
	s_or_b32 s13, s9, s0
.LBB67_24:
	s_or_b32 exec_lo, exec_lo, s8
                                        ; implicit-def: $sgpr8
                                        ; implicit-def: $sgpr9
                                        ; implicit-def: $sgpr11
	s_and_saveexec_b32 s12, s13
	s_cbranch_execz .LBB67_46
; %bb.25:
	v_cmp_le_i32_e64 s18, s5, v7
	v_cmp_gt_i32_e64 s8, s5, v7
	s_mov_b32 s13, 0
	s_and_saveexec_b32 s9, s8
	s_cbranch_execz .LBB67_27
; %bb.26:
	s_wait_loadcnt 0x0
	v_cmp_le_i32_e32 vcc_lo, s16, v6
	v_cmp_gt_i32_e64 s0, s4, v6
	s_and_not1_b32 s11, s18, exec_lo
	s_mov_b32 s13, exec_lo
	s_and_b32 s0, vcc_lo, s0
	s_delay_alu instid0(SALU_CYCLE_1) | instskip(NEXT) | instid1(SALU_CYCLE_1)
	s_and_b32 s0, s14, s0
	s_and_b32 s0, s0, exec_lo
	s_delay_alu instid0(SALU_CYCLE_1)
	s_or_b32 s18, s11, s0
.LBB67_27:
	s_or_b32 exec_lo, exec_lo, s9
                                        ; implicit-def: $sgpr9
                                        ; implicit-def: $sgpr11
	s_and_saveexec_b32 s15, s18
	s_cbranch_execz .LBB67_35
; %bb.28:
	v_or_b32_e32 v2, 0x200, v0
	s_mov_b32 s18, 0
	s_delay_alu instid0(VALU_DEP_1)
	v_cmp_le_i32_e64 s20, s5, v2
	v_cmp_gt_i32_e64 s9, s5, v2
	s_and_saveexec_b32 s11, s9
; %bb.29:
	v_cmp_le_i32_e32 vcc_lo, s16, v3
	v_cmp_gt_i32_e64 s0, s4, v3
	s_and_not1_b32 s19, s20, exec_lo
	s_mov_b32 s17, exec_lo
	s_and_b32 s0, vcc_lo, s0
	s_delay_alu instid0(SALU_CYCLE_1) | instskip(NEXT) | instid1(SALU_CYCLE_1)
	s_and_b32 s0, s14, s0
	s_and_b32 s0, s0, exec_lo
	s_delay_alu instid0(SALU_CYCLE_1)
	s_or_b32 s20, s19, s0
; %bb.30:
	s_or_b32 exec_lo, exec_lo, s11
                                        ; implicit-def: $sgpr11
	s_and_saveexec_b32 s19, s20
	s_cbranch_execz .LBB67_34
; %bb.31:
	v_or_b32_e32 v2, 0x300, v0
	s_mov_b32 s0, 0
	s_delay_alu instid0(VALU_DEP_1) | instskip(SKIP_2) | instid1(SALU_CYCLE_1)
	v_cmp_le_i32_e64 s18, s5, v2
	v_cmp_gt_i32_e64 s11, s5, v2
	s_and_saveexec_b32 s5, s11
	s_xor_b32 s5, exec_lo, s5
; %bb.32:
	v_cmp_le_i32_e32 vcc_lo, s16, v1
	v_cmp_gt_i32_e64 s0, s4, v1
	s_or_b32 s18, s18, exec_lo
	s_and_b32 s0, vcc_lo, s0
	s_delay_alu instid0(SALU_CYCLE_1) | instskip(NEXT) | instid1(SALU_CYCLE_1)
	s_and_b32 s0, s14, s0
	s_xor_b32 s0, s0, -1
	s_delay_alu instid0(SALU_CYCLE_1)
	s_and_b32 s0, s0, exec_lo
; %bb.33:
	s_or_b32 exec_lo, exec_lo, s5
	s_delay_alu instid0(SALU_CYCLE_1)
	s_and_not1_b32 s4, s17, exec_lo
	s_and_b32 s0, s0, exec_lo
	s_and_b32 s18, s18, exec_lo
	s_or_b32 s17, s4, s0
.LBB67_34:
	s_or_b32 exec_lo, exec_lo, s19
	s_delay_alu instid0(SALU_CYCLE_1)
	s_and_not1_b32 s0, s13, exec_lo
	s_and_b32 s4, s17, exec_lo
	s_and_b32 s17, s18, exec_lo
	s_or_b32 s13, s0, s4
.LBB67_35:
	s_or_b32 exec_lo, exec_lo, s15
	s_delay_alu instid0(SALU_CYCLE_1)
	s_and_not1_b32 s0, s10, exec_lo
	s_and_b32 s4, s13, exec_lo
	s_and_b32 s17, s17, exec_lo
	s_or_b32 s10, s0, s4
	s_or_b32 exec_lo, exec_lo, s12
	s_and_saveexec_b32 s0, s10
	s_cbranch_execz .LBB67_47
.LBB67_36:
	s_and_not1_b32 s17, s17, exec_lo
	s_or_b32 s1, s1, exec_lo
	s_trap 2
	s_or_b32 exec_lo, exec_lo, s0
	s_and_saveexec_b32 s0, s1
	s_cbranch_execnz .LBB67_38
	s_branch .LBB67_39
.LBB67_37:
                                        ; implicit-def: $sgpr3
                                        ; implicit-def: $sgpr8
                                        ; implicit-def: $sgpr9
                                        ; implicit-def: $sgpr11
                                        ; implicit-def: $vgpr0
	s_and_saveexec_b32 s0, s1
.LBB67_38:
	; divergent unreachable
.LBB67_39:
	s_delay_alu instid0(SALU_CYCLE_1)
	s_or_b32 exec_lo, exec_lo, s0
	s_and_saveexec_b32 s0, s17
	s_cbranch_execz .LBB67_45
; %bb.40:
	s_and_b32 exec_lo, exec_lo, s3
	s_cbranch_execz .LBB67_45
; %bb.41:
	v_dual_mov_b32 v1, 0 :: v_dual_bitop2_b32 v2, s2, v0 bitop3:0x54
	global_store_b32 v2, v1, s[6:7] scale_offset
	s_wait_xcnt 0x0
	s_and_b32 exec_lo, exec_lo, s8
	s_cbranch_execz .LBB67_45
; %bb.42:
	v_add_nc_u32_e32 v0, s2, v0
	global_store_b32 v0, v1, s[6:7] offset:1024 scale_offset
	s_wait_xcnt 0x0
	s_and_b32 exec_lo, exec_lo, s9
	s_cbranch_execz .LBB67_45
; %bb.43:
	v_lshl_add_u64 v[0:1], v[0:1], 2, s[6:7]
	v_mov_b32_e32 v2, 0
	global_store_b32 v[0:1], v2, off offset:2048
	s_wait_xcnt 0x0
	s_and_b32 exec_lo, exec_lo, s11
	s_cbranch_execz .LBB67_45
; %bb.44:
	global_store_b32 v[0:1], v2, off offset:3072
.LBB67_45:
	s_endpgm
.LBB67_46:
	s_or_b32 exec_lo, exec_lo, s12
	s_and_saveexec_b32 s0, s10
	s_cbranch_execnz .LBB67_36
.LBB67_47:
	s_or_b32 exec_lo, exec_lo, s0
	s_and_saveexec_b32 s0, s1
	s_cbranch_execnz .LBB67_38
	s_branch .LBB67_39
.LBB67_48:
	s_mov_b32 s1, exec_lo
	s_trap 2
	s_branch .LBB67_12
	.section	.rodata,"a",@progbits
	.p2align	6, 0x0
	.amdhsa_kernel _ZN2at6native29vectorized_elementwise_kernelILi2EZZZNS0_12_GLOBAL__N_142_validate_compressed_sparse_indices_kernelILNS2_8CDimNameE1ENS2_18CUDAKernelLauncherENS2_14EmptyVecKernelENS2_8DummyVecELm8EEEvRKNS_6TensorESA_lllENKUlvE0_clEvENKUlvE_clEvEUliE_St5arrayIPcLm2EEEEviT0_T1_
		.amdhsa_group_segment_fixed_size 0
		.amdhsa_private_segment_fixed_size 0
		.amdhsa_kernarg_size 40
		.amdhsa_user_sgpr_count 2
		.amdhsa_user_sgpr_dispatch_ptr 0
		.amdhsa_user_sgpr_queue_ptr 0
		.amdhsa_user_sgpr_kernarg_segment_ptr 1
		.amdhsa_user_sgpr_dispatch_id 0
		.amdhsa_user_sgpr_kernarg_preload_length 0
		.amdhsa_user_sgpr_kernarg_preload_offset 0
		.amdhsa_user_sgpr_private_segment_size 0
		.amdhsa_wavefront_size32 1
		.amdhsa_uses_dynamic_stack 0
		.amdhsa_enable_private_segment 0
		.amdhsa_system_sgpr_workgroup_id_x 1
		.amdhsa_system_sgpr_workgroup_id_y 0
		.amdhsa_system_sgpr_workgroup_id_z 0
		.amdhsa_system_sgpr_workgroup_info 0
		.amdhsa_system_vgpr_workitem_id 0
		.amdhsa_next_free_vgpr 9
		.amdhsa_next_free_sgpr 22
		.amdhsa_named_barrier_count 0
		.amdhsa_reserve_vcc 1
		.amdhsa_float_round_mode_32 0
		.amdhsa_float_round_mode_16_64 0
		.amdhsa_float_denorm_mode_32 3
		.amdhsa_float_denorm_mode_16_64 3
		.amdhsa_fp16_overflow 0
		.amdhsa_memory_ordered 1
		.amdhsa_forward_progress 1
		.amdhsa_inst_pref_size 11
		.amdhsa_round_robin_scheduling 0
		.amdhsa_exception_fp_ieee_invalid_op 0
		.amdhsa_exception_fp_denorm_src 0
		.amdhsa_exception_fp_ieee_div_zero 0
		.amdhsa_exception_fp_ieee_overflow 0
		.amdhsa_exception_fp_ieee_underflow 0
		.amdhsa_exception_fp_ieee_inexact 0
		.amdhsa_exception_int_div_zero 0
	.end_amdhsa_kernel
	.section	.text._ZN2at6native29vectorized_elementwise_kernelILi2EZZZNS0_12_GLOBAL__N_142_validate_compressed_sparse_indices_kernelILNS2_8CDimNameE1ENS2_18CUDAKernelLauncherENS2_14EmptyVecKernelENS2_8DummyVecELm8EEEvRKNS_6TensorESA_lllENKUlvE0_clEvENKUlvE_clEvEUliE_St5arrayIPcLm2EEEEviT0_T1_,"axG",@progbits,_ZN2at6native29vectorized_elementwise_kernelILi2EZZZNS0_12_GLOBAL__N_142_validate_compressed_sparse_indices_kernelILNS2_8CDimNameE1ENS2_18CUDAKernelLauncherENS2_14EmptyVecKernelENS2_8DummyVecELm8EEEvRKNS_6TensorESA_lllENKUlvE0_clEvENKUlvE_clEvEUliE_St5arrayIPcLm2EEEEviT0_T1_,comdat
.Lfunc_end67:
	.size	_ZN2at6native29vectorized_elementwise_kernelILi2EZZZNS0_12_GLOBAL__N_142_validate_compressed_sparse_indices_kernelILNS2_8CDimNameE1ENS2_18CUDAKernelLauncherENS2_14EmptyVecKernelENS2_8DummyVecELm8EEEvRKNS_6TensorESA_lllENKUlvE0_clEvENKUlvE_clEvEUliE_St5arrayIPcLm2EEEEviT0_T1_, .Lfunc_end67-_ZN2at6native29vectorized_elementwise_kernelILi2EZZZNS0_12_GLOBAL__N_142_validate_compressed_sparse_indices_kernelILNS2_8CDimNameE1ENS2_18CUDAKernelLauncherENS2_14EmptyVecKernelENS2_8DummyVecELm8EEEvRKNS_6TensorESA_lllENKUlvE0_clEvENKUlvE_clEvEUliE_St5arrayIPcLm2EEEEviT0_T1_
                                        ; -- End function
	.set _ZN2at6native29vectorized_elementwise_kernelILi2EZZZNS0_12_GLOBAL__N_142_validate_compressed_sparse_indices_kernelILNS2_8CDimNameE1ENS2_18CUDAKernelLauncherENS2_14EmptyVecKernelENS2_8DummyVecELm8EEEvRKNS_6TensorESA_lllENKUlvE0_clEvENKUlvE_clEvEUliE_St5arrayIPcLm2EEEEviT0_T1_.num_vgpr, 9
	.set _ZN2at6native29vectorized_elementwise_kernelILi2EZZZNS0_12_GLOBAL__N_142_validate_compressed_sparse_indices_kernelILNS2_8CDimNameE1ENS2_18CUDAKernelLauncherENS2_14EmptyVecKernelENS2_8DummyVecELm8EEEvRKNS_6TensorESA_lllENKUlvE0_clEvENKUlvE_clEvEUliE_St5arrayIPcLm2EEEEviT0_T1_.num_agpr, 0
	.set _ZN2at6native29vectorized_elementwise_kernelILi2EZZZNS0_12_GLOBAL__N_142_validate_compressed_sparse_indices_kernelILNS2_8CDimNameE1ENS2_18CUDAKernelLauncherENS2_14EmptyVecKernelENS2_8DummyVecELm8EEEvRKNS_6TensorESA_lllENKUlvE0_clEvENKUlvE_clEvEUliE_St5arrayIPcLm2EEEEviT0_T1_.numbered_sgpr, 22
	.set _ZN2at6native29vectorized_elementwise_kernelILi2EZZZNS0_12_GLOBAL__N_142_validate_compressed_sparse_indices_kernelILNS2_8CDimNameE1ENS2_18CUDAKernelLauncherENS2_14EmptyVecKernelENS2_8DummyVecELm8EEEvRKNS_6TensorESA_lllENKUlvE0_clEvENKUlvE_clEvEUliE_St5arrayIPcLm2EEEEviT0_T1_.num_named_barrier, 0
	.set _ZN2at6native29vectorized_elementwise_kernelILi2EZZZNS0_12_GLOBAL__N_142_validate_compressed_sparse_indices_kernelILNS2_8CDimNameE1ENS2_18CUDAKernelLauncherENS2_14EmptyVecKernelENS2_8DummyVecELm8EEEvRKNS_6TensorESA_lllENKUlvE0_clEvENKUlvE_clEvEUliE_St5arrayIPcLm2EEEEviT0_T1_.private_seg_size, 0
	.set _ZN2at6native29vectorized_elementwise_kernelILi2EZZZNS0_12_GLOBAL__N_142_validate_compressed_sparse_indices_kernelILNS2_8CDimNameE1ENS2_18CUDAKernelLauncherENS2_14EmptyVecKernelENS2_8DummyVecELm8EEEvRKNS_6TensorESA_lllENKUlvE0_clEvENKUlvE_clEvEUliE_St5arrayIPcLm2EEEEviT0_T1_.uses_vcc, 1
	.set _ZN2at6native29vectorized_elementwise_kernelILi2EZZZNS0_12_GLOBAL__N_142_validate_compressed_sparse_indices_kernelILNS2_8CDimNameE1ENS2_18CUDAKernelLauncherENS2_14EmptyVecKernelENS2_8DummyVecELm8EEEvRKNS_6TensorESA_lllENKUlvE0_clEvENKUlvE_clEvEUliE_St5arrayIPcLm2EEEEviT0_T1_.uses_flat_scratch, 0
	.set _ZN2at6native29vectorized_elementwise_kernelILi2EZZZNS0_12_GLOBAL__N_142_validate_compressed_sparse_indices_kernelILNS2_8CDimNameE1ENS2_18CUDAKernelLauncherENS2_14EmptyVecKernelENS2_8DummyVecELm8EEEvRKNS_6TensorESA_lllENKUlvE0_clEvENKUlvE_clEvEUliE_St5arrayIPcLm2EEEEviT0_T1_.has_dyn_sized_stack, 0
	.set _ZN2at6native29vectorized_elementwise_kernelILi2EZZZNS0_12_GLOBAL__N_142_validate_compressed_sparse_indices_kernelILNS2_8CDimNameE1ENS2_18CUDAKernelLauncherENS2_14EmptyVecKernelENS2_8DummyVecELm8EEEvRKNS_6TensorESA_lllENKUlvE0_clEvENKUlvE_clEvEUliE_St5arrayIPcLm2EEEEviT0_T1_.has_recursion, 0
	.set _ZN2at6native29vectorized_elementwise_kernelILi2EZZZNS0_12_GLOBAL__N_142_validate_compressed_sparse_indices_kernelILNS2_8CDimNameE1ENS2_18CUDAKernelLauncherENS2_14EmptyVecKernelENS2_8DummyVecELm8EEEvRKNS_6TensorESA_lllENKUlvE0_clEvENKUlvE_clEvEUliE_St5arrayIPcLm2EEEEviT0_T1_.has_indirect_call, 0
	.section	.AMDGPU.csdata,"",@progbits
; Kernel info:
; codeLenInByte = 1400
; TotalNumSgprs: 24
; NumVgprs: 9
; ScratchSize: 0
; MemoryBound: 0
; FloatMode: 240
; IeeeMode: 1
; LDSByteSize: 0 bytes/workgroup (compile time only)
; SGPRBlocks: 0
; VGPRBlocks: 0
; NumSGPRsForWavesPerEU: 24
; NumVGPRsForWavesPerEU: 9
; NamedBarCnt: 0
; Occupancy: 16
; WaveLimiterHint : 1
; COMPUTE_PGM_RSRC2:SCRATCH_EN: 0
; COMPUTE_PGM_RSRC2:USER_SGPR: 2
; COMPUTE_PGM_RSRC2:TRAP_HANDLER: 0
; COMPUTE_PGM_RSRC2:TGID_X_EN: 1
; COMPUTE_PGM_RSRC2:TGID_Y_EN: 0
; COMPUTE_PGM_RSRC2:TGID_Z_EN: 0
; COMPUTE_PGM_RSRC2:TIDIG_COMP_CNT: 0
	.section	.text._ZN2at6native27unrolled_elementwise_kernelIZZZNS0_12_GLOBAL__N_142_validate_compressed_sparse_indices_kernelILNS2_8CDimNameE1ENS2_18CUDAKernelLauncherENS2_14EmptyVecKernelENS2_8DummyVecELm8EEEvRKNS_6TensorESA_lllENKUlvE0_clEvENKUlvE_clEvEUliE_St5arrayIPcLm2EELi4E23TrivialOffsetCalculatorILi1EjESI_NS0_6memory15LoadWithoutCastENSJ_16StoreWithoutCastEEEviT_T0_T2_T3_T4_T5_,"axG",@progbits,_ZN2at6native27unrolled_elementwise_kernelIZZZNS0_12_GLOBAL__N_142_validate_compressed_sparse_indices_kernelILNS2_8CDimNameE1ENS2_18CUDAKernelLauncherENS2_14EmptyVecKernelENS2_8DummyVecELm8EEEvRKNS_6TensorESA_lllENKUlvE0_clEvENKUlvE_clEvEUliE_St5arrayIPcLm2EELi4E23TrivialOffsetCalculatorILi1EjESI_NS0_6memory15LoadWithoutCastENSJ_16StoreWithoutCastEEEviT_T0_T2_T3_T4_T5_,comdat
	.globl	_ZN2at6native27unrolled_elementwise_kernelIZZZNS0_12_GLOBAL__N_142_validate_compressed_sparse_indices_kernelILNS2_8CDimNameE1ENS2_18CUDAKernelLauncherENS2_14EmptyVecKernelENS2_8DummyVecELm8EEEvRKNS_6TensorESA_lllENKUlvE0_clEvENKUlvE_clEvEUliE_St5arrayIPcLm2EELi4E23TrivialOffsetCalculatorILi1EjESI_NS0_6memory15LoadWithoutCastENSJ_16StoreWithoutCastEEEviT_T0_T2_T3_T4_T5_ ; -- Begin function _ZN2at6native27unrolled_elementwise_kernelIZZZNS0_12_GLOBAL__N_142_validate_compressed_sparse_indices_kernelILNS2_8CDimNameE1ENS2_18CUDAKernelLauncherENS2_14EmptyVecKernelENS2_8DummyVecELm8EEEvRKNS_6TensorESA_lllENKUlvE0_clEvENKUlvE_clEvEUliE_St5arrayIPcLm2EELi4E23TrivialOffsetCalculatorILi1EjESI_NS0_6memory15LoadWithoutCastENSJ_16StoreWithoutCastEEEviT_T0_T2_T3_T4_T5_
	.p2align	8
	.type	_ZN2at6native27unrolled_elementwise_kernelIZZZNS0_12_GLOBAL__N_142_validate_compressed_sparse_indices_kernelILNS2_8CDimNameE1ENS2_18CUDAKernelLauncherENS2_14EmptyVecKernelENS2_8DummyVecELm8EEEvRKNS_6TensorESA_lllENKUlvE0_clEvENKUlvE_clEvEUliE_St5arrayIPcLm2EELi4E23TrivialOffsetCalculatorILi1EjESI_NS0_6memory15LoadWithoutCastENSJ_16StoreWithoutCastEEEviT_T0_T2_T3_T4_T5_,@function
_ZN2at6native27unrolled_elementwise_kernelIZZZNS0_12_GLOBAL__N_142_validate_compressed_sparse_indices_kernelILNS2_8CDimNameE1ENS2_18CUDAKernelLauncherENS2_14EmptyVecKernelENS2_8DummyVecELm8EEEvRKNS_6TensorESA_lllENKUlvE0_clEvENKUlvE_clEvEUliE_St5arrayIPcLm2EELi4E23TrivialOffsetCalculatorILi1EjESI_NS0_6memory15LoadWithoutCastENSJ_16StoreWithoutCastEEEviT_T0_T2_T3_T4_T5_: ; @_ZN2at6native27unrolled_elementwise_kernelIZZZNS0_12_GLOBAL__N_142_validate_compressed_sparse_indices_kernelILNS2_8CDimNameE1ENS2_18CUDAKernelLauncherENS2_14EmptyVecKernelENS2_8DummyVecELm8EEEvRKNS_6TensorESA_lllENKUlvE0_clEvENKUlvE_clEvEUliE_St5arrayIPcLm2EELi4E23TrivialOffsetCalculatorILi1EjESI_NS0_6memory15LoadWithoutCastENSJ_16StoreWithoutCastEEEviT_T0_T2_T3_T4_T5_
; %bb.0:
	s_load_b32 s2, s[0:1], 0x0
	s_bfe_u32 s3, ttmp6, 0x4000c
	s_clause 0x1
	s_load_b128 s[4:7], s[0:1], 0x10
	s_load_b64 s[8:9], s[0:1], 0x20
	s_add_co_i32 s3, s3, 1
	s_wait_kmcnt 0x0
	s_and_b32 s5, ttmp6, 15
	s_mul_i32 s3, ttmp9, s3
	s_getreg_b32 s10, hwreg(HW_REG_IB_STS2, 6, 4)
	s_add_co_i32 s5, s5, s3
	s_cmp_eq_u32 s10, 0
	v_dual_mov_b32 v2, 0 :: v_dual_mov_b32 v5, 0
	s_cselect_b32 s3, ttmp9, s5
	v_dual_mov_b32 v6, 0 :: v_dual_mov_b32 v3, 0
	s_lshl_b32 s3, s3, 10
	v_or_b32_e32 v1, 0x100, v0
	s_mov_b32 s5, 0
	s_sub_co_i32 s10, s2, s3
	s_delay_alu instid0(SALU_CYCLE_1)
	v_cmp_le_i32_e64 s12, s10, v0
	v_cmp_gt_i32_e32 vcc_lo, s10, v0
	s_and_saveexec_b32 s11, vcc_lo
	s_cbranch_execz .LBB68_8
; %bb.1:
	v_dual_mov_b32 v6, 0 :: v_dual_bitop2_b32 v2, s3, v0 bitop3:0x54
	v_or_b32_e32 v4, 0x100, v0
	v_mov_b32_e32 v5, 0
	s_mov_b32 s13, exec_lo
	global_load_b32 v3, v2, s[8:9] scale_offset
	s_wait_xcnt 0x0
	v_mov_b32_e32 v2, 0
	v_cmpx_gt_u32_e64 s10, v4
	s_cbranch_execz .LBB68_7
; %bb.2:
	v_dual_mov_b32 v5, 0 :: v_dual_add_nc_u32 v2, s3, v4
	v_or_b32_e32 v4, 0x200, v0
	s_mov_b32 s14, exec_lo
	global_load_b32 v6, v2, s[8:9] scale_offset
	s_wait_xcnt 0x0
	v_mov_b32_e32 v2, 0
	v_cmpx_gt_u32_e64 s10, v4
	s_cbranch_execz .LBB68_6
; %bb.3:
	v_add_nc_u32_e32 v2, s3, v4
	v_or_b32_e32 v4, 0x300, v0
	s_mov_b32 s15, exec_lo
	global_load_b32 v5, v2, s[8:9] scale_offset
	s_wait_xcnt 0x0
	v_mov_b32_e32 v2, 0
	v_cmpx_gt_u32_e64 s10, v4
	s_cbranch_execz .LBB68_5
; %bb.4:
	v_add_nc_u32_e32 v2, s3, v4
	global_load_b32 v2, v2, s[8:9] scale_offset
.LBB68_5:
	s_wait_xcnt 0x0
	s_or_b32 exec_lo, exec_lo, s15
.LBB68_6:
	s_delay_alu instid0(SALU_CYCLE_1)
	s_or_b32 exec_lo, exec_lo, s14
.LBB68_7:
	s_delay_alu instid0(SALU_CYCLE_1)
	s_or_b32 exec_lo, exec_lo, s13
.LBB68_8:
	s_delay_alu instid0(SALU_CYCLE_1) | instskip(SKIP_4) | instid1(SALU_CYCLE_1)
	s_or_b32 exec_lo, exec_lo, s11
	s_load_b32 s13, s[0:1], 0x8
	s_wait_xcnt 0x0
	s_get_pc_i64 s[0:1]
	s_add_nc_u64 s[0:1], s[0:1], .str.5@rel64+4
	s_cmp_lg_u64 s[0:1], 0
	s_cselect_b32 s14, -1, 0
	s_and_saveexec_b32 s2, vcc_lo
	s_cbranch_execz .LBB68_10
; %bb.9:
	s_wait_loadcnt 0x0
	s_wait_kmcnt 0x0
	v_cmp_le_i32_e64 s0, s13, v3
	v_cmp_gt_i32_e64 s1, s4, v3
	s_mov_b32 s5, exec_lo
	s_and_b32 s0, s0, s1
	s_and_not1_b32 s1, s12, exec_lo
	s_and_b32 s0, s14, s0
	s_delay_alu instid0(SALU_CYCLE_1) | instskip(NEXT) | instid1(SALU_CYCLE_1)
	s_and_b32 s0, s0, exec_lo
	s_or_b32 s12, s1, s0
.LBB68_10:
	s_or_b32 exec_lo, exec_lo, s2
	s_mov_b32 s0, 0
                                        ; implicit-def: $sgpr2
                                        ; implicit-def: $sgpr8
                                        ; implicit-def: $sgpr9
                                        ; implicit-def: $vgpr4
                                        ; implicit-def: $vgpr3
	s_and_saveexec_b32 s11, s12
	s_cbranch_execz .LBB68_23
; %bb.11:
	v_cmp_le_i32_e64 s17, s10, v1
	v_cmp_gt_i32_e64 s2, s10, v1
	s_mov_b32 s16, 0
	s_mov_b32 s12, 0
	s_and_saveexec_b32 s8, s2
	s_cbranch_execz .LBB68_13
; %bb.12:
	s_wait_loadcnt 0x0
	s_wait_kmcnt 0x0
	v_cmp_le_i32_e64 s0, s13, v6
	v_cmp_gt_i32_e64 s1, s4, v6
	s_mov_b32 s12, exec_lo
	s_and_b32 s0, s0, s1
	s_and_not1_b32 s1, s17, exec_lo
	s_and_b32 s0, s14, s0
	s_delay_alu instid0(SALU_CYCLE_1) | instskip(NEXT) | instid1(SALU_CYCLE_1)
	s_and_b32 s0, s0, exec_lo
	s_or_b32 s17, s1, s0
.LBB68_13:
	s_or_b32 exec_lo, exec_lo, s8
                                        ; implicit-def: $sgpr8
                                        ; implicit-def: $sgpr9
                                        ; implicit-def: $vgpr4
                                        ; implicit-def: $vgpr3
	s_and_saveexec_b32 s15, s17
	s_cbranch_execz .LBB68_21
; %bb.14:
	s_wait_loadcnt 0x0
	v_or_b32_e32 v3, 0x200, v0
	s_mov_b32 s17, 0
	s_delay_alu instid0(VALU_DEP_1)
	v_cmp_le_i32_e64 s19, s10, v3
	v_cmp_gt_i32_e64 s8, s10, v3
	s_and_saveexec_b32 s9, s8
	s_cbranch_execz .LBB68_16
; %bb.15:
	s_wait_kmcnt 0x0
	v_cmp_le_i32_e64 s0, s13, v5
	v_cmp_gt_i32_e64 s1, s4, v5
	s_mov_b32 s16, exec_lo
	s_and_b32 s0, s0, s1
	s_and_not1_b32 s1, s19, exec_lo
	s_and_b32 s0, s14, s0
	s_delay_alu instid0(SALU_CYCLE_1) | instskip(NEXT) | instid1(SALU_CYCLE_1)
	s_and_b32 s0, s0, exec_lo
	s_or_b32 s19, s1, s0
.LBB68_16:
	s_or_b32 exec_lo, exec_lo, s9
                                        ; implicit-def: $sgpr9
                                        ; implicit-def: $vgpr4
	s_and_saveexec_b32 s18, s19
	s_cbranch_execz .LBB68_20
; %bb.17:
	v_or_b32_e32 v4, 0x300, v0
	s_mov_b32 s0, 0
	s_delay_alu instid0(VALU_DEP_1) | instskip(SKIP_2) | instid1(SALU_CYCLE_1)
	v_cmp_le_i32_e64 s17, s10, v4
	v_cmp_gt_i32_e64 s9, s10, v4
	s_and_saveexec_b32 s1, s9
	s_xor_b32 s10, exec_lo, s1
	s_cbranch_execz .LBB68_19
; %bb.18:
	s_wait_kmcnt 0x0
	v_cmp_le_i32_e64 s0, s13, v2
	v_cmp_gt_i32_e64 s1, s4, v2
	s_or_b32 s17, s17, exec_lo
	s_and_b32 s0, s0, s1
	s_delay_alu instid0(SALU_CYCLE_1) | instskip(NEXT) | instid1(SALU_CYCLE_1)
	s_and_b32 s0, s14, s0
	s_xor_b32 s0, s0, -1
	s_delay_alu instid0(SALU_CYCLE_1)
	s_and_b32 s0, s0, exec_lo
.LBB68_19:
	s_or_b32 exec_lo, exec_lo, s10
	s_delay_alu instid0(SALU_CYCLE_1)
	s_and_not1_b32 s1, s16, exec_lo
	s_and_b32 s0, s0, exec_lo
	s_and_b32 s17, s17, exec_lo
	s_or_b32 s16, s1, s0
.LBB68_20:
	s_or_b32 exec_lo, exec_lo, s18
	s_delay_alu instid0(SALU_CYCLE_1)
	s_and_not1_b32 s0, s12, exec_lo
	s_and_b32 s1, s16, exec_lo
	s_and_b32 s16, s17, exec_lo
	s_or_b32 s12, s0, s1
.LBB68_21:
	s_or_b32 exec_lo, exec_lo, s15
	s_delay_alu instid0(SALU_CYCLE_1)
	s_and_not1_b32 s1, s5, exec_lo
	s_and_b32 s4, s12, exec_lo
	s_and_b32 s0, s16, exec_lo
	s_or_b32 s5, s1, s4
	s_or_b32 exec_lo, exec_lo, s11
	s_and_saveexec_b32 s1, s5
	s_cbranch_execz .LBB68_24
.LBB68_22:
	s_trap 2
	; divergent unreachable
	s_and_not1_b32 s0, s0, exec_lo
	s_or_b32 exec_lo, exec_lo, s1
	s_and_saveexec_b32 s1, s0
	s_cbranch_execnz .LBB68_25
	s_branch .LBB68_30
.LBB68_23:
	s_or_b32 exec_lo, exec_lo, s11
	s_and_saveexec_b32 s1, s5
	s_cbranch_execnz .LBB68_22
.LBB68_24:
	s_or_b32 exec_lo, exec_lo, s1
	s_and_saveexec_b32 s1, s0
	s_cbranch_execz .LBB68_30
.LBB68_25:
	s_and_b32 exec_lo, exec_lo, vcc_lo
	s_cbranch_execz .LBB68_30
; %bb.26:
	s_wait_loadcnt 0x0
	v_dual_mov_b32 v0, 0 :: v_dual_bitop2_b32 v2, s3, v0 bitop3:0x54
	global_store_b32 v2, v0, s[6:7] scale_offset
	s_wait_xcnt 0x0
	s_and_b32 exec_lo, exec_lo, s2
	s_cbranch_execz .LBB68_30
; %bb.27:
	v_add_nc_u32_e32 v1, s3, v1
	global_store_b32 v1, v0, s[6:7] scale_offset
	s_wait_xcnt 0x0
	s_and_b32 exec_lo, exec_lo, s8
	s_cbranch_execz .LBB68_30
; %bb.28:
	v_dual_mov_b32 v0, 0 :: v_dual_add_nc_u32 v1, s3, v3
	global_store_b32 v1, v0, s[6:7] scale_offset
	s_wait_xcnt 0x0
	s_and_b32 exec_lo, exec_lo, s9
	s_cbranch_execz .LBB68_30
; %bb.29:
	v_add_nc_u32_e32 v1, s3, v4
	global_store_b32 v1, v0, s[6:7] scale_offset
	s_endpgm
.LBB68_30:
	s_endpgm
	.section	.rodata,"a",@progbits
	.p2align	6, 0x0
	.amdhsa_kernel _ZN2at6native27unrolled_elementwise_kernelIZZZNS0_12_GLOBAL__N_142_validate_compressed_sparse_indices_kernelILNS2_8CDimNameE1ENS2_18CUDAKernelLauncherENS2_14EmptyVecKernelENS2_8DummyVecELm8EEEvRKNS_6TensorESA_lllENKUlvE0_clEvENKUlvE_clEvEUliE_St5arrayIPcLm2EELi4E23TrivialOffsetCalculatorILi1EjESI_NS0_6memory15LoadWithoutCastENSJ_16StoreWithoutCastEEEviT_T0_T2_T3_T4_T5_
		.amdhsa_group_segment_fixed_size 0
		.amdhsa_private_segment_fixed_size 0
		.amdhsa_kernarg_size 44
		.amdhsa_user_sgpr_count 2
		.amdhsa_user_sgpr_dispatch_ptr 0
		.amdhsa_user_sgpr_queue_ptr 0
		.amdhsa_user_sgpr_kernarg_segment_ptr 1
		.amdhsa_user_sgpr_dispatch_id 0
		.amdhsa_user_sgpr_kernarg_preload_length 0
		.amdhsa_user_sgpr_kernarg_preload_offset 0
		.amdhsa_user_sgpr_private_segment_size 0
		.amdhsa_wavefront_size32 1
		.amdhsa_uses_dynamic_stack 0
		.amdhsa_enable_private_segment 0
		.amdhsa_system_sgpr_workgroup_id_x 1
		.amdhsa_system_sgpr_workgroup_id_y 0
		.amdhsa_system_sgpr_workgroup_id_z 0
		.amdhsa_system_sgpr_workgroup_info 0
		.amdhsa_system_vgpr_workitem_id 0
		.amdhsa_next_free_vgpr 7
		.amdhsa_next_free_sgpr 20
		.amdhsa_named_barrier_count 0
		.amdhsa_reserve_vcc 1
		.amdhsa_float_round_mode_32 0
		.amdhsa_float_round_mode_16_64 0
		.amdhsa_float_denorm_mode_32 3
		.amdhsa_float_denorm_mode_16_64 3
		.amdhsa_fp16_overflow 0
		.amdhsa_memory_ordered 1
		.amdhsa_forward_progress 1
		.amdhsa_inst_pref_size 8
		.amdhsa_round_robin_scheduling 0
		.amdhsa_exception_fp_ieee_invalid_op 0
		.amdhsa_exception_fp_denorm_src 0
		.amdhsa_exception_fp_ieee_div_zero 0
		.amdhsa_exception_fp_ieee_overflow 0
		.amdhsa_exception_fp_ieee_underflow 0
		.amdhsa_exception_fp_ieee_inexact 0
		.amdhsa_exception_int_div_zero 0
	.end_amdhsa_kernel
	.section	.text._ZN2at6native27unrolled_elementwise_kernelIZZZNS0_12_GLOBAL__N_142_validate_compressed_sparse_indices_kernelILNS2_8CDimNameE1ENS2_18CUDAKernelLauncherENS2_14EmptyVecKernelENS2_8DummyVecELm8EEEvRKNS_6TensorESA_lllENKUlvE0_clEvENKUlvE_clEvEUliE_St5arrayIPcLm2EELi4E23TrivialOffsetCalculatorILi1EjESI_NS0_6memory15LoadWithoutCastENSJ_16StoreWithoutCastEEEviT_T0_T2_T3_T4_T5_,"axG",@progbits,_ZN2at6native27unrolled_elementwise_kernelIZZZNS0_12_GLOBAL__N_142_validate_compressed_sparse_indices_kernelILNS2_8CDimNameE1ENS2_18CUDAKernelLauncherENS2_14EmptyVecKernelENS2_8DummyVecELm8EEEvRKNS_6TensorESA_lllENKUlvE0_clEvENKUlvE_clEvEUliE_St5arrayIPcLm2EELi4E23TrivialOffsetCalculatorILi1EjESI_NS0_6memory15LoadWithoutCastENSJ_16StoreWithoutCastEEEviT_T0_T2_T3_T4_T5_,comdat
.Lfunc_end68:
	.size	_ZN2at6native27unrolled_elementwise_kernelIZZZNS0_12_GLOBAL__N_142_validate_compressed_sparse_indices_kernelILNS2_8CDimNameE1ENS2_18CUDAKernelLauncherENS2_14EmptyVecKernelENS2_8DummyVecELm8EEEvRKNS_6TensorESA_lllENKUlvE0_clEvENKUlvE_clEvEUliE_St5arrayIPcLm2EELi4E23TrivialOffsetCalculatorILi1EjESI_NS0_6memory15LoadWithoutCastENSJ_16StoreWithoutCastEEEviT_T0_T2_T3_T4_T5_, .Lfunc_end68-_ZN2at6native27unrolled_elementwise_kernelIZZZNS0_12_GLOBAL__N_142_validate_compressed_sparse_indices_kernelILNS2_8CDimNameE1ENS2_18CUDAKernelLauncherENS2_14EmptyVecKernelENS2_8DummyVecELm8EEEvRKNS_6TensorESA_lllENKUlvE0_clEvENKUlvE_clEvEUliE_St5arrayIPcLm2EELi4E23TrivialOffsetCalculatorILi1EjESI_NS0_6memory15LoadWithoutCastENSJ_16StoreWithoutCastEEEviT_T0_T2_T3_T4_T5_
                                        ; -- End function
	.set _ZN2at6native27unrolled_elementwise_kernelIZZZNS0_12_GLOBAL__N_142_validate_compressed_sparse_indices_kernelILNS2_8CDimNameE1ENS2_18CUDAKernelLauncherENS2_14EmptyVecKernelENS2_8DummyVecELm8EEEvRKNS_6TensorESA_lllENKUlvE0_clEvENKUlvE_clEvEUliE_St5arrayIPcLm2EELi4E23TrivialOffsetCalculatorILi1EjESI_NS0_6memory15LoadWithoutCastENSJ_16StoreWithoutCastEEEviT_T0_T2_T3_T4_T5_.num_vgpr, 7
	.set _ZN2at6native27unrolled_elementwise_kernelIZZZNS0_12_GLOBAL__N_142_validate_compressed_sparse_indices_kernelILNS2_8CDimNameE1ENS2_18CUDAKernelLauncherENS2_14EmptyVecKernelENS2_8DummyVecELm8EEEvRKNS_6TensorESA_lllENKUlvE0_clEvENKUlvE_clEvEUliE_St5arrayIPcLm2EELi4E23TrivialOffsetCalculatorILi1EjESI_NS0_6memory15LoadWithoutCastENSJ_16StoreWithoutCastEEEviT_T0_T2_T3_T4_T5_.num_agpr, 0
	.set _ZN2at6native27unrolled_elementwise_kernelIZZZNS0_12_GLOBAL__N_142_validate_compressed_sparse_indices_kernelILNS2_8CDimNameE1ENS2_18CUDAKernelLauncherENS2_14EmptyVecKernelENS2_8DummyVecELm8EEEvRKNS_6TensorESA_lllENKUlvE0_clEvENKUlvE_clEvEUliE_St5arrayIPcLm2EELi4E23TrivialOffsetCalculatorILi1EjESI_NS0_6memory15LoadWithoutCastENSJ_16StoreWithoutCastEEEviT_T0_T2_T3_T4_T5_.numbered_sgpr, 20
	.set _ZN2at6native27unrolled_elementwise_kernelIZZZNS0_12_GLOBAL__N_142_validate_compressed_sparse_indices_kernelILNS2_8CDimNameE1ENS2_18CUDAKernelLauncherENS2_14EmptyVecKernelENS2_8DummyVecELm8EEEvRKNS_6TensorESA_lllENKUlvE0_clEvENKUlvE_clEvEUliE_St5arrayIPcLm2EELi4E23TrivialOffsetCalculatorILi1EjESI_NS0_6memory15LoadWithoutCastENSJ_16StoreWithoutCastEEEviT_T0_T2_T3_T4_T5_.num_named_barrier, 0
	.set _ZN2at6native27unrolled_elementwise_kernelIZZZNS0_12_GLOBAL__N_142_validate_compressed_sparse_indices_kernelILNS2_8CDimNameE1ENS2_18CUDAKernelLauncherENS2_14EmptyVecKernelENS2_8DummyVecELm8EEEvRKNS_6TensorESA_lllENKUlvE0_clEvENKUlvE_clEvEUliE_St5arrayIPcLm2EELi4E23TrivialOffsetCalculatorILi1EjESI_NS0_6memory15LoadWithoutCastENSJ_16StoreWithoutCastEEEviT_T0_T2_T3_T4_T5_.private_seg_size, 0
	.set _ZN2at6native27unrolled_elementwise_kernelIZZZNS0_12_GLOBAL__N_142_validate_compressed_sparse_indices_kernelILNS2_8CDimNameE1ENS2_18CUDAKernelLauncherENS2_14EmptyVecKernelENS2_8DummyVecELm8EEEvRKNS_6TensorESA_lllENKUlvE0_clEvENKUlvE_clEvEUliE_St5arrayIPcLm2EELi4E23TrivialOffsetCalculatorILi1EjESI_NS0_6memory15LoadWithoutCastENSJ_16StoreWithoutCastEEEviT_T0_T2_T3_T4_T5_.uses_vcc, 1
	.set _ZN2at6native27unrolled_elementwise_kernelIZZZNS0_12_GLOBAL__N_142_validate_compressed_sparse_indices_kernelILNS2_8CDimNameE1ENS2_18CUDAKernelLauncherENS2_14EmptyVecKernelENS2_8DummyVecELm8EEEvRKNS_6TensorESA_lllENKUlvE0_clEvENKUlvE_clEvEUliE_St5arrayIPcLm2EELi4E23TrivialOffsetCalculatorILi1EjESI_NS0_6memory15LoadWithoutCastENSJ_16StoreWithoutCastEEEviT_T0_T2_T3_T4_T5_.uses_flat_scratch, 0
	.set _ZN2at6native27unrolled_elementwise_kernelIZZZNS0_12_GLOBAL__N_142_validate_compressed_sparse_indices_kernelILNS2_8CDimNameE1ENS2_18CUDAKernelLauncherENS2_14EmptyVecKernelENS2_8DummyVecELm8EEEvRKNS_6TensorESA_lllENKUlvE0_clEvENKUlvE_clEvEUliE_St5arrayIPcLm2EELi4E23TrivialOffsetCalculatorILi1EjESI_NS0_6memory15LoadWithoutCastENSJ_16StoreWithoutCastEEEviT_T0_T2_T3_T4_T5_.has_dyn_sized_stack, 0
	.set _ZN2at6native27unrolled_elementwise_kernelIZZZNS0_12_GLOBAL__N_142_validate_compressed_sparse_indices_kernelILNS2_8CDimNameE1ENS2_18CUDAKernelLauncherENS2_14EmptyVecKernelENS2_8DummyVecELm8EEEvRKNS_6TensorESA_lllENKUlvE0_clEvENKUlvE_clEvEUliE_St5arrayIPcLm2EELi4E23TrivialOffsetCalculatorILi1EjESI_NS0_6memory15LoadWithoutCastENSJ_16StoreWithoutCastEEEviT_T0_T2_T3_T4_T5_.has_recursion, 0
	.set _ZN2at6native27unrolled_elementwise_kernelIZZZNS0_12_GLOBAL__N_142_validate_compressed_sparse_indices_kernelILNS2_8CDimNameE1ENS2_18CUDAKernelLauncherENS2_14EmptyVecKernelENS2_8DummyVecELm8EEEvRKNS_6TensorESA_lllENKUlvE0_clEvENKUlvE_clEvEUliE_St5arrayIPcLm2EELi4E23TrivialOffsetCalculatorILi1EjESI_NS0_6memory15LoadWithoutCastENSJ_16StoreWithoutCastEEEviT_T0_T2_T3_T4_T5_.has_indirect_call, 0
	.section	.AMDGPU.csdata,"",@progbits
; Kernel info:
; codeLenInByte = 1004
; TotalNumSgprs: 22
; NumVgprs: 7
; ScratchSize: 0
; MemoryBound: 0
; FloatMode: 240
; IeeeMode: 1
; LDSByteSize: 0 bytes/workgroup (compile time only)
; SGPRBlocks: 0
; VGPRBlocks: 0
; NumSGPRsForWavesPerEU: 22
; NumVGPRsForWavesPerEU: 7
; NamedBarCnt: 0
; Occupancy: 16
; WaveLimiterHint : 0
; COMPUTE_PGM_RSRC2:SCRATCH_EN: 0
; COMPUTE_PGM_RSRC2:USER_SGPR: 2
; COMPUTE_PGM_RSRC2:TRAP_HANDLER: 0
; COMPUTE_PGM_RSRC2:TGID_X_EN: 1
; COMPUTE_PGM_RSRC2:TGID_Y_EN: 0
; COMPUTE_PGM_RSRC2:TGID_Z_EN: 0
; COMPUTE_PGM_RSRC2:TIDIG_COMP_CNT: 0
	.section	.text._ZN2at6native32elementwise_kernel_manual_unrollILi128ELi4EZNS0_22gpu_kernel_impl_nocastIZZZNS0_12_GLOBAL__N_142_validate_compressed_sparse_indices_kernelILNS3_8CDimNameE1ENS3_18CUDAKernelLauncherENS3_14EmptyVecKernelENS3_8DummyVecELm8EEEvRKNS_6TensorESB_lllENKUlvE0_clEvENKUlvE_clEvEUliE_EEvRNS_18TensorIteratorBaseERKT_EUlibE_EEviT1_,"axG",@progbits,_ZN2at6native32elementwise_kernel_manual_unrollILi128ELi4EZNS0_22gpu_kernel_impl_nocastIZZZNS0_12_GLOBAL__N_142_validate_compressed_sparse_indices_kernelILNS3_8CDimNameE1ENS3_18CUDAKernelLauncherENS3_14EmptyVecKernelENS3_8DummyVecELm8EEEvRKNS_6TensorESB_lllENKUlvE0_clEvENKUlvE_clEvEUliE_EEvRNS_18TensorIteratorBaseERKT_EUlibE_EEviT1_,comdat
	.globl	_ZN2at6native32elementwise_kernel_manual_unrollILi128ELi4EZNS0_22gpu_kernel_impl_nocastIZZZNS0_12_GLOBAL__N_142_validate_compressed_sparse_indices_kernelILNS3_8CDimNameE1ENS3_18CUDAKernelLauncherENS3_14EmptyVecKernelENS3_8DummyVecELm8EEEvRKNS_6TensorESB_lllENKUlvE0_clEvENKUlvE_clEvEUliE_EEvRNS_18TensorIteratorBaseERKT_EUlibE_EEviT1_ ; -- Begin function _ZN2at6native32elementwise_kernel_manual_unrollILi128ELi4EZNS0_22gpu_kernel_impl_nocastIZZZNS0_12_GLOBAL__N_142_validate_compressed_sparse_indices_kernelILNS3_8CDimNameE1ENS3_18CUDAKernelLauncherENS3_14EmptyVecKernelENS3_8DummyVecELm8EEEvRKNS_6TensorESB_lllENKUlvE0_clEvENKUlvE_clEvEUliE_EEvRNS_18TensorIteratorBaseERKT_EUlibE_EEviT1_
	.p2align	8
	.type	_ZN2at6native32elementwise_kernel_manual_unrollILi128ELi4EZNS0_22gpu_kernel_impl_nocastIZZZNS0_12_GLOBAL__N_142_validate_compressed_sparse_indices_kernelILNS3_8CDimNameE1ENS3_18CUDAKernelLauncherENS3_14EmptyVecKernelENS3_8DummyVecELm8EEEvRKNS_6TensorESB_lllENKUlvE0_clEvENKUlvE_clEvEUliE_EEvRNS_18TensorIteratorBaseERKT_EUlibE_EEviT1_,@function
_ZN2at6native32elementwise_kernel_manual_unrollILi128ELi4EZNS0_22gpu_kernel_impl_nocastIZZZNS0_12_GLOBAL__N_142_validate_compressed_sparse_indices_kernelILNS3_8CDimNameE1ENS3_18CUDAKernelLauncherENS3_14EmptyVecKernelENS3_8DummyVecELm8EEEvRKNS_6TensorESB_lllENKUlvE0_clEvENKUlvE_clEvEUliE_EEvRNS_18TensorIteratorBaseERKT_EUlibE_EEviT1_: ; @_ZN2at6native32elementwise_kernel_manual_unrollILi128ELi4EZNS0_22gpu_kernel_impl_nocastIZZZNS0_12_GLOBAL__N_142_validate_compressed_sparse_indices_kernelILNS3_8CDimNameE1ENS3_18CUDAKernelLauncherENS3_14EmptyVecKernelENS3_8DummyVecELm8EEEvRKNS_6TensorESB_lllENKUlvE0_clEvENKUlvE_clEvEUliE_EEvRNS_18TensorIteratorBaseERKT_EUlibE_EEviT1_
; %bb.0:
	s_clause 0x1
	s_load_b32 s30, s[0:1], 0x8
	s_load_b32 s40, s[0:1], 0x0
	s_bfe_u32 s2, ttmp6, 0x4000c
	s_and_b32 s3, ttmp6, 15
	s_add_co_i32 s2, s2, 1
	s_getreg_b32 s4, hwreg(HW_REG_IB_STS2, 6, 4)
	s_mul_i32 s2, ttmp9, s2
	s_mov_b32 s33, 0
	s_add_co_i32 s3, s3, s2
	s_cmp_eq_u32 s4, 0
	s_mov_b32 s24, -1
	s_cselect_b32 s2, ttmp9, s3
	s_add_nc_u64 s[16:17], s[0:1], 8
	v_lshl_or_b32 v0, s2, 9, v0
	s_mov_b32 s10, 0
	s_get_pc_i64 s[2:3]
	s_add_nc_u64 s[2:3], s[2:3], .str.5@rel64+4
	s_wait_xcnt 0x0
	s_mov_b32 s0, exec_lo
	v_or_b32_e32 v1, 0x180, v0
	s_wait_kmcnt 0x0
	s_add_co_i32 s31, s30, -1
	s_delay_alu instid0(SALU_CYCLE_1)
	s_cmp_gt_u32 s31, 1
	s_cselect_b32 s34, -1, 0
	v_cmpx_le_i32_e64 s40, v1
	s_xor_b32 s35, exec_lo, s0
	s_cbranch_execz .LBB69_31
; %bb.1:
	s_clause 0x5
	s_load_b128 s[8:11], s[16:17], 0x4
	s_load_b64 s[0:1], s[16:17], 0x14
	s_load_b32 s36, s[16:17], 0x158
	s_load_b32 s37, s[16:17], 0x160
	s_load_b128 s[12:15], s[16:17], 0xc4
	s_load_b128 s[4:7], s[16:17], 0x148
	s_cmp_lg_u32 s30, 0
	s_mov_b32 s19, 0
	s_cselect_b32 s42, -1, 0
	s_min_u32 s41, s31, 15
	s_cmp_gt_u32 s30, 1
	s_add_nc_u64 s[22:23], s[16:17], 0xc4
	s_cselect_b32 s39, -1, 0
	s_cmp_lg_u64 s[2:3], 0
	s_mov_b32 s21, s19
	s_cselect_b32 s38, -1, 0
	s_mov_b32 s43, exec_lo
	s_wait_kmcnt 0x0
	s_mov_b32 s18, s9
	s_mov_b32 s20, s0
	;; [unrolled: 1-line block ×3, first 2 shown]
	v_cmpx_gt_i32_e64 s40, v0
	s_cbranch_execz .LBB69_7
; %bb.2:
	s_and_not1_b32 vcc_lo, exec_lo, s34
	s_cbranch_vccnz .LBB69_14
; %bb.3:
	s_and_not1_b32 vcc_lo, exec_lo, s42
	s_cbranch_vccnz .LBB69_16
; %bb.4:
	s_add_co_i32 s0, s41, 1
	s_cmp_eq_u32 s31, 2
	s_cbranch_scc1 .LBB69_17
; %bb.5:
	v_dual_mov_b32 v2, 0 :: v_dual_mov_b32 v3, 0
	v_mov_b32_e32 v1, v0
	s_and_b32 s24, s0, 28
	s_mov_b32 s9, 0
	s_mov_b64 s[26:27], s[16:17]
	s_mov_b64 s[28:29], s[22:23]
.LBB69_6:                               ; =>This Inner Loop Header: Depth=1
	s_clause 0x1
	s_load_b256 s[44:51], s[26:27], 0x4
	s_load_b128 s[60:63], s[26:27], 0x24
	s_load_b256 s[52:59], s[28:29], 0x0
	s_add_co_i32 s9, s9, 4
	s_wait_xcnt 0x0
	s_add_nc_u64 s[26:27], s[26:27], 48
	s_cmp_lg_u32 s24, s9
	s_add_nc_u64 s[28:29], s[28:29], 32
	s_wait_kmcnt 0x0
	v_mul_hi_u32 v4, s45, v1
	s_delay_alu instid0(VALU_DEP_1) | instskip(NEXT) | instid1(VALU_DEP_1)
	v_add_nc_u32_e32 v4, v1, v4
	v_lshrrev_b32_e32 v4, s46, v4
	s_delay_alu instid0(VALU_DEP_1) | instskip(NEXT) | instid1(VALU_DEP_1)
	v_mul_hi_u32 v5, s48, v4
	v_add_nc_u32_e32 v5, v4, v5
	s_delay_alu instid0(VALU_DEP_1) | instskip(NEXT) | instid1(VALU_DEP_1)
	v_lshrrev_b32_e32 v5, s49, v5
	v_mul_hi_u32 v6, s51, v5
	s_delay_alu instid0(VALU_DEP_1) | instskip(SKIP_1) | instid1(VALU_DEP_1)
	v_add_nc_u32_e32 v6, v5, v6
	v_mul_lo_u32 v7, v4, s44
	v_sub_nc_u32_e32 v1, v1, v7
	v_mul_lo_u32 v7, v5, s47
	s_delay_alu instid0(VALU_DEP_4) | instskip(NEXT) | instid1(VALU_DEP_3)
	v_lshrrev_b32_e32 v6, s60, v6
	v_mad_u32 v3, v1, s53, v3
	v_mad_u32 v1, v1, s52, v2
	s_delay_alu instid0(VALU_DEP_4) | instskip(NEXT) | instid1(VALU_DEP_4)
	v_sub_nc_u32_e32 v2, v4, v7
	v_mul_hi_u32 v8, s62, v6
	v_mul_lo_u32 v4, v6, s50
	s_delay_alu instid0(VALU_DEP_3) | instskip(SKIP_1) | instid1(VALU_DEP_4)
	v_mad_u32 v3, v2, s55, v3
	v_mad_u32 v2, v2, s54, v1
	v_add_nc_u32_e32 v7, v6, v8
	s_delay_alu instid0(VALU_DEP_1) | instskip(NEXT) | instid1(VALU_DEP_1)
	v_dual_sub_nc_u32 v4, v5, v4 :: v_dual_lshrrev_b32 v1, s63, v7
	v_mad_u32 v3, v4, s57, v3
	s_delay_alu instid0(VALU_DEP_4) | instskip(NEXT) | instid1(VALU_DEP_3)
	v_mad_u32 v2, v4, s56, v2
	v_mul_lo_u32 v5, v1, s61
	s_delay_alu instid0(VALU_DEP_1) | instskip(NEXT) | instid1(VALU_DEP_1)
	v_sub_nc_u32_e32 v4, v6, v5
	v_mad_u32 v3, v4, s59, v3
	s_delay_alu instid0(VALU_DEP_4)
	v_mad_u32 v2, v4, s58, v2
	s_cbranch_scc1 .LBB69_6
	s_branch .LBB69_18
.LBB69_7:
	s_or_b32 exec_lo, exec_lo, s43
                                        ; implicit-def: $vgpr2
	s_and_saveexec_b32 s43, s24
	s_cbranch_execz .LBB69_27
.LBB69_8:
	s_mov_b32 s0, -1
	s_mov_b32 s44, s9
	s_mov_b32 s45, exec_lo
	v_cmpx_gt_i32_e64 s40, v0
	s_cbranch_execz .LBB69_115
; %bb.9:
	s_and_not1_b32 vcc_lo, exec_lo, s34
	s_cbranch_vccnz .LBB69_15
; %bb.10:
	s_and_not1_b32 vcc_lo, exec_lo, s42
	s_cbranch_vccnz .LBB69_104
; %bb.11:
	s_add_co_i32 s0, s41, 1
	s_cmp_eq_u32 s31, 2
	s_cbranch_scc1 .LBB69_105
; %bb.12:
	v_dual_mov_b32 v2, 0 :: v_dual_mov_b32 v3, 0
	v_mov_b32_e32 v1, v0
	s_and_b32 s24, s0, 28
	s_mov_b32 s25, 0
	s_mov_b64 s[26:27], s[16:17]
	s_mov_b64 s[28:29], s[22:23]
.LBB69_13:                              ; =>This Inner Loop Header: Depth=1
	s_clause 0x1
	s_load_b256 s[48:55], s[26:27], 0x4
	s_load_b128 s[64:67], s[26:27], 0x24
	s_load_b256 s[56:63], s[28:29], 0x0
	s_add_co_i32 s25, s25, 4
	s_wait_xcnt 0x0
	s_add_nc_u64 s[26:27], s[26:27], 48
	s_cmp_eq_u32 s24, s25
	s_add_nc_u64 s[28:29], s[28:29], 32
	s_wait_kmcnt 0x0
	v_mul_hi_u32 v4, s49, v1
	s_delay_alu instid0(VALU_DEP_1) | instskip(NEXT) | instid1(VALU_DEP_1)
	v_add_nc_u32_e32 v4, v1, v4
	v_lshrrev_b32_e32 v4, s50, v4
	s_delay_alu instid0(VALU_DEP_1) | instskip(NEXT) | instid1(VALU_DEP_1)
	v_mul_hi_u32 v5, s52, v4
	v_add_nc_u32_e32 v5, v4, v5
	s_delay_alu instid0(VALU_DEP_1) | instskip(NEXT) | instid1(VALU_DEP_1)
	v_lshrrev_b32_e32 v5, s53, v5
	v_mul_hi_u32 v6, s55, v5
	s_delay_alu instid0(VALU_DEP_1) | instskip(SKIP_1) | instid1(VALU_DEP_1)
	v_add_nc_u32_e32 v6, v5, v6
	v_mul_lo_u32 v7, v4, s48
	v_sub_nc_u32_e32 v1, v1, v7
	v_mul_lo_u32 v7, v5, s51
	s_delay_alu instid0(VALU_DEP_4) | instskip(NEXT) | instid1(VALU_DEP_3)
	v_lshrrev_b32_e32 v6, s64, v6
	v_mad_u32 v3, v1, s57, v3
	v_mad_u32 v1, v1, s56, v2
	s_delay_alu instid0(VALU_DEP_4) | instskip(NEXT) | instid1(VALU_DEP_4)
	v_sub_nc_u32_e32 v2, v4, v7
	v_mul_hi_u32 v8, s66, v6
	v_mul_lo_u32 v4, v6, s54
	s_delay_alu instid0(VALU_DEP_3) | instskip(SKIP_1) | instid1(VALU_DEP_4)
	v_mad_u32 v3, v2, s59, v3
	v_mad_u32 v2, v2, s58, v1
	v_add_nc_u32_e32 v7, v6, v8
	s_delay_alu instid0(VALU_DEP_1) | instskip(NEXT) | instid1(VALU_DEP_1)
	v_dual_sub_nc_u32 v4, v5, v4 :: v_dual_lshrrev_b32 v1, s67, v7
	v_mad_u32 v3, v4, s61, v3
	s_delay_alu instid0(VALU_DEP_4) | instskip(NEXT) | instid1(VALU_DEP_3)
	v_mad_u32 v2, v4, s60, v2
	v_mul_lo_u32 v5, v1, s65
	s_delay_alu instid0(VALU_DEP_1) | instskip(NEXT) | instid1(VALU_DEP_1)
	v_sub_nc_u32_e32 v4, v6, v5
	v_mad_u32 v3, v4, s63, v3
	s_delay_alu instid0(VALU_DEP_4)
	v_mad_u32 v2, v4, s62, v2
	s_cbranch_scc0 .LBB69_13
	s_branch .LBB69_106
.LBB69_14:
                                        ; implicit-def: $vgpr3
	s_branch .LBB69_22
.LBB69_15:
                                        ; implicit-def: $vgpr3
	s_and_not1_b32 vcc_lo, exec_lo, s0
	s_cbranch_vccz .LBB69_110
	s_branch .LBB69_112
.LBB69_16:
	v_dual_mov_b32 v3, 0 :: v_dual_mov_b32 v2, 0
	s_branch .LBB69_21
.LBB69_17:
	v_mov_b64_e32 v[2:3], 0
	v_mov_b32_e32 v1, v0
	s_mov_b32 s24, 0
.LBB69_18:
	s_and_b32 s0, s0, 3
	s_mov_b32 s25, 0
	s_cmp_eq_u32 s0, 0
	s_cbranch_scc1 .LBB69_21
; %bb.19:
	s_lshl_b32 s26, s24, 3
	s_mov_b32 s27, s25
	s_mul_u64 s[28:29], s[24:25], 12
	s_add_nc_u64 s[26:27], s[16:17], s[26:27]
	s_delay_alu instid0(SALU_CYCLE_1)
	s_add_nc_u64 s[24:25], s[26:27], 0xc4
	s_add_nc_u64 s[26:27], s[16:17], s[28:29]
.LBB69_20:                              ; =>This Inner Loop Header: Depth=1
	s_load_b96 s[44:46], s[26:27], 0x4
	s_load_b64 s[28:29], s[24:25], 0x0
	s_add_co_i32 s0, s0, -1
	s_wait_xcnt 0x0
	s_add_nc_u64 s[26:27], s[26:27], 12
	s_cmp_lg_u32 s0, 0
	s_add_nc_u64 s[24:25], s[24:25], 8
	s_wait_kmcnt 0x0
	v_mul_hi_u32 v4, s45, v1
	s_delay_alu instid0(VALU_DEP_1) | instskip(NEXT) | instid1(VALU_DEP_1)
	v_add_nc_u32_e32 v4, v1, v4
	v_lshrrev_b32_e32 v4, s46, v4
	s_delay_alu instid0(VALU_DEP_1) | instskip(NEXT) | instid1(VALU_DEP_1)
	v_mul_lo_u32 v5, v4, s44
	v_sub_nc_u32_e32 v1, v1, v5
	s_delay_alu instid0(VALU_DEP_1)
	v_mad_u32 v3, v1, s29, v3
	v_mad_u32 v2, v1, s28, v2
	v_mov_b32_e32 v1, v4
	s_cbranch_scc1 .LBB69_20
.LBB69_21:
	s_cbranch_execnz .LBB69_24
.LBB69_22:
	v_mov_b32_e32 v1, 0
	s_and_not1_b32 vcc_lo, exec_lo, s39
	s_delay_alu instid0(VALU_DEP_1) | instskip(NEXT) | instid1(VALU_DEP_1)
	v_mul_u64_e32 v[2:3], s[18:19], v[0:1]
	v_add_nc_u32_e32 v2, v0, v3
	s_delay_alu instid0(VALU_DEP_1) | instskip(NEXT) | instid1(VALU_DEP_1)
	v_lshrrev_b32_e32 v4, s10, v2
	v_mul_lo_u32 v2, v4, s8
	s_delay_alu instid0(VALU_DEP_1) | instskip(NEXT) | instid1(VALU_DEP_1)
	v_sub_nc_u32_e32 v2, v0, v2
	v_mul_lo_u32 v3, v2, s13
	v_mul_lo_u32 v2, v2, s12
	s_cbranch_vccnz .LBB69_24
; %bb.23:
	v_mov_b32_e32 v5, v1
	s_delay_alu instid0(VALU_DEP_1) | instskip(NEXT) | instid1(VALU_DEP_1)
	v_mul_u64_e32 v[6:7], s[20:21], v[4:5]
	v_add_nc_u32_e32 v1, v4, v7
	s_delay_alu instid0(VALU_DEP_1) | instskip(NEXT) | instid1(VALU_DEP_1)
	v_lshrrev_b32_e32 v1, s1, v1
	v_mul_lo_u32 v1, v1, s11
	s_delay_alu instid0(VALU_DEP_1) | instskip(NEXT) | instid1(VALU_DEP_1)
	v_sub_nc_u32_e32 v1, v4, v1
	v_mad_u32 v2, v1, s14, v2
	v_mad_u32 v3, v1, s15, v3
.LBB69_24:
	global_load_b32 v1, v3, s[6:7]
	s_wait_loadcnt 0x0
	v_cmp_le_i32_e32 vcc_lo, s36, v1
	v_cmp_gt_i32_e64 s0, s37, v1
	s_and_b32 s9, vcc_lo, s0
	s_mov_b32 s0, 0
	s_and_b32 s25, s38, s9
	s_mov_b32 s9, -1
	s_and_saveexec_b32 s24, s25
; %bb.25:
	v_dual_mov_b32 v1, 0 :: v_dual_add_nc_u32 v0, 0x80, v0
	s_mov_b32 s0, exec_lo
	s_xor_b32 s9, exec_lo, -1
	global_store_b32 v2, v1, s[4:5]
; %bb.26:
	s_wait_xcnt 0x0
	s_or_b32 exec_lo, exec_lo, s24
	s_delay_alu instid0(SALU_CYCLE_1)
	s_and_b32 s9, s9, exec_lo
	s_or_not1_b32 s24, s0, exec_lo
	s_or_b32 exec_lo, exec_lo, s43
                                        ; implicit-def: $vgpr2
	s_and_saveexec_b32 s43, s24
	s_cbranch_execnz .LBB69_8
.LBB69_27:
	s_or_b32 exec_lo, exec_lo, s43
	s_mov_b32 s0, 0
	s_and_saveexec_b32 s1, s9
	s_cbranch_execnz .LBB69_156
.LBB69_28:
	s_or_b32 exec_lo, exec_lo, s1
	s_and_saveexec_b32 s1, s19
	s_delay_alu instid0(SALU_CYCLE_1)
	s_xor_b32 s1, exec_lo, s1
	s_cbranch_execz .LBB69_30
.LBB69_29:
	v_mov_b32_e32 v0, 0
	global_store_b32 v2, v0, s[4:5]
.LBB69_30:
	s_wait_xcnt 0x0
	s_or_b32 exec_lo, exec_lo, s1
	s_delay_alu instid0(SALU_CYCLE_1)
	s_and_b32 s10, s0, exec_lo
                                        ; implicit-def: $vgpr1
                                        ; implicit-def: $vgpr0
.LBB69_31:
	s_or_saveexec_b32 s11, s35
                                        ; implicit-def: $sgpr4_sgpr5_sgpr6_sgpr7
                                        ; implicit-def: $vgpr8
                                        ; implicit-def: $vgpr6
                                        ; implicit-def: $vgpr4
                                        ; implicit-def: $vgpr2
	s_delay_alu instid0(SALU_CYCLE_1)
	s_xor_b32 exec_lo, exec_lo, s11
	s_cbranch_execz .LBB69_38
; %bb.32:
	v_cndmask_b32_e64 v8, 0, 1, s34
	s_and_not1_b32 vcc_lo, exec_lo, s34
	s_cbranch_vccnz .LBB69_41
; %bb.33:
	s_cmp_lg_u32 s30, 0
	s_mov_b32 s8, 0
	s_cbranch_scc0 .LBB69_42
; %bb.34:
	s_min_u32 s1, s31, 15
	s_delay_alu instid0(SALU_CYCLE_1)
	s_add_co_i32 s1, s1, 1
	s_cmp_eq_u32 s31, 2
	s_cbranch_scc1 .LBB69_43
; %bb.35:
	v_dual_mov_b32 v2, 0 :: v_dual_mov_b32 v3, 0
	v_mov_b32_e32 v4, v0
	s_and_b32 s0, s1, 28
	s_add_nc_u64 s[4:5], s[16:17], 0xc4
	s_mov_b32 s9, 0
	s_mov_b64 s[6:7], s[16:17]
.LBB69_36:                              ; =>This Inner Loop Header: Depth=1
	s_clause 0x1
	s_load_b256 s[20:27], s[6:7], 0x4
	s_load_b128 s[12:15], s[6:7], 0x24
	s_load_b256 s[36:43], s[4:5], 0x0
	s_add_co_i32 s9, s9, 4
	s_wait_xcnt 0x0
	s_add_nc_u64 s[6:7], s[6:7], 48
	s_cmp_lg_u32 s0, s9
	s_add_nc_u64 s[4:5], s[4:5], 32
	s_wait_kmcnt 0x0
	v_mul_hi_u32 v5, s21, v4
	s_delay_alu instid0(VALU_DEP_1) | instskip(NEXT) | instid1(VALU_DEP_1)
	v_add_nc_u32_e32 v5, v4, v5
	v_lshrrev_b32_e32 v5, s22, v5
	s_delay_alu instid0(VALU_DEP_1) | instskip(NEXT) | instid1(VALU_DEP_1)
	v_mul_hi_u32 v6, s24, v5
	v_add_nc_u32_e32 v6, v5, v6
	s_delay_alu instid0(VALU_DEP_1) | instskip(NEXT) | instid1(VALU_DEP_1)
	v_lshrrev_b32_e32 v6, s25, v6
	v_mul_hi_u32 v7, s27, v6
	s_delay_alu instid0(VALU_DEP_1) | instskip(SKIP_1) | instid1(VALU_DEP_1)
	v_add_nc_u32_e32 v7, v6, v7
	v_mul_lo_u32 v9, v5, s20
	v_sub_nc_u32_e32 v4, v4, v9
	v_mul_lo_u32 v9, v6, s23
	s_delay_alu instid0(VALU_DEP_4) | instskip(NEXT) | instid1(VALU_DEP_3)
	v_lshrrev_b32_e32 v7, s12, v7
	v_mad_u32 v3, v4, s37, v3
	v_mad_u32 v2, v4, s36, v2
	s_delay_alu instid0(VALU_DEP_4) | instskip(NEXT) | instid1(VALU_DEP_4)
	v_sub_nc_u32_e32 v4, v5, v9
	v_mul_hi_u32 v10, s14, v7
	v_mul_lo_u32 v5, v7, s26
	s_delay_alu instid0(VALU_DEP_3) | instskip(SKIP_1) | instid1(VALU_DEP_3)
	v_mad_u32 v3, v4, s39, v3
	v_mad_u32 v2, v4, s38, v2
	v_dual_add_nc_u32 v9, v7, v10 :: v_dual_sub_nc_u32 v5, v6, v5
	s_delay_alu instid0(VALU_DEP_1) | instskip(NEXT) | instid1(VALU_DEP_2)
	v_lshrrev_b32_e32 v4, s15, v9
	v_mad_u32 v3, v5, s41, v3
	s_delay_alu instid0(VALU_DEP_4) | instskip(NEXT) | instid1(VALU_DEP_3)
	v_mad_u32 v2, v5, s40, v2
	v_mul_lo_u32 v6, v4, s13
	s_delay_alu instid0(VALU_DEP_1) | instskip(NEXT) | instid1(VALU_DEP_1)
	v_sub_nc_u32_e32 v5, v7, v6
	v_mad_u32 v3, v5, s43, v3
	s_delay_alu instid0(VALU_DEP_4)
	v_mad_u32 v2, v5, s42, v2
	s_cbranch_scc1 .LBB69_36
; %bb.37:
	s_and_b32 s6, s1, 3
	s_mov_b32 s1, 0
	s_cmp_eq_u32 s6, 0
	s_cbranch_scc0 .LBB69_44
	s_branch .LBB69_46
.LBB69_38:
	s_or_b32 exec_lo, exec_lo, s11
	s_and_saveexec_b32 s0, s10
	s_cbranch_execz .LBB69_102
.LBB69_39:
	; divergent unreachable
	s_or_b32 exec_lo, exec_lo, s0
	s_and_saveexec_b32 s0, s33
	s_cbranch_execnz .LBB69_103
.LBB69_40:
	s_endpgm
.LBB69_41:
	s_mov_b32 s8, -1
                                        ; implicit-def: $vgpr3
	s_branch .LBB69_46
.LBB69_42:
	v_dual_mov_b32 v3, 0 :: v_dual_mov_b32 v2, 0
	s_branch .LBB69_46
.LBB69_43:
	v_mov_b64_e32 v[2:3], 0
	v_mov_b32_e32 v4, v0
	s_mov_b32 s0, 0
	s_and_b32 s6, s1, 3
	s_mov_b32 s1, 0
	s_cmp_eq_u32 s6, 0
	s_cbranch_scc1 .LBB69_46
.LBB69_44:
	s_lshl_b32 s4, s0, 3
	s_mov_b32 s5, s1
	s_mul_u64 s[12:13], s[0:1], 12
	s_add_nc_u64 s[4:5], s[16:17], s[4:5]
	s_delay_alu instid0(SALU_CYCLE_1)
	s_add_nc_u64 s[0:1], s[4:5], 0xc4
	s_add_nc_u64 s[4:5], s[16:17], s[12:13]
.LBB69_45:                              ; =>This Inner Loop Header: Depth=1
	s_load_b96 s[12:14], s[4:5], 0x4
	s_add_co_i32 s6, s6, -1
	s_wait_xcnt 0x0
	s_add_nc_u64 s[4:5], s[4:5], 12
	s_cmp_lg_u32 s6, 0
	s_wait_kmcnt 0x0
	v_mul_hi_u32 v5, s13, v4
	s_delay_alu instid0(VALU_DEP_1) | instskip(NEXT) | instid1(VALU_DEP_1)
	v_add_nc_u32_e32 v5, v4, v5
	v_lshrrev_b32_e32 v5, s14, v5
	s_load_b64 s[14:15], s[0:1], 0x0
	s_wait_xcnt 0x0
	s_add_nc_u64 s[0:1], s[0:1], 8
	s_delay_alu instid0(VALU_DEP_1) | instskip(NEXT) | instid1(VALU_DEP_1)
	v_mul_lo_u32 v6, v5, s12
	v_sub_nc_u32_e32 v4, v4, v6
	s_wait_kmcnt 0x0
	s_delay_alu instid0(VALU_DEP_1)
	v_mad_u32 v3, v4, s15, v3
	v_mad_u32 v2, v4, s14, v2
	v_mov_b32_e32 v4, v5
	s_cbranch_scc1 .LBB69_45
.LBB69_46:
	s_and_not1_b32 vcc_lo, exec_lo, s8
	s_cbranch_vccnz .LBB69_49
; %bb.47:
	s_clause 0x1
	s_load_b96 s[4:6], s[16:17], 0x4
	s_load_b64 s[0:1], s[16:17], 0xc4
	s_cmp_lt_u32 s30, 2
	s_wait_kmcnt 0x0
	v_mul_hi_u32 v2, s5, v0
	s_delay_alu instid0(VALU_DEP_1) | instskip(NEXT) | instid1(VALU_DEP_1)
	v_add_nc_u32_e32 v2, v0, v2
	v_lshrrev_b32_e32 v4, s6, v2
	s_delay_alu instid0(VALU_DEP_1) | instskip(NEXT) | instid1(VALU_DEP_1)
	v_mul_lo_u32 v2, v4, s4
	v_sub_nc_u32_e32 v2, v0, v2
	s_delay_alu instid0(VALU_DEP_1)
	v_mul_lo_u32 v3, v2, s1
	v_mul_lo_u32 v2, v2, s0
	s_cbranch_scc1 .LBB69_49
; %bb.48:
	s_clause 0x1
	s_load_b96 s[4:6], s[16:17], 0x10
	s_load_b64 s[0:1], s[16:17], 0xcc
	s_wait_kmcnt 0x0
	v_mul_hi_u32 v5, s5, v4
	s_delay_alu instid0(VALU_DEP_1) | instskip(NEXT) | instid1(VALU_DEP_1)
	v_add_nc_u32_e32 v5, v4, v5
	v_lshrrev_b32_e32 v5, s6, v5
	s_delay_alu instid0(VALU_DEP_1) | instskip(NEXT) | instid1(VALU_DEP_1)
	v_mul_lo_u32 v5, v5, s4
	v_sub_nc_u32_e32 v4, v4, v5
	s_delay_alu instid0(VALU_DEP_1)
	v_mad_u32 v2, v4, s0, v2
	v_mad_u32 v3, v4, s1, v3
.LBB69_49:
	v_cmp_ne_u32_e32 vcc_lo, 1, v8
	v_add_nc_u32_e32 v6, 0x80, v0
	s_cbranch_vccnz .LBB69_55
; %bb.50:
	s_cmp_lg_u32 s30, 0
	s_mov_b32 s8, 0
	s_cbranch_scc0 .LBB69_56
; %bb.51:
	s_min_u32 s1, s31, 15
	s_delay_alu instid0(SALU_CYCLE_1)
	s_add_co_i32 s1, s1, 1
	s_cmp_eq_u32 s31, 2
	s_cbranch_scc1 .LBB69_57
; %bb.52:
	v_dual_mov_b32 v4, 0 :: v_dual_mov_b32 v5, 0
	v_mov_b32_e32 v7, v6
	s_and_b32 s0, s1, 28
	s_add_nc_u64 s[4:5], s[16:17], 0xc4
	s_mov_b32 s9, 0
	s_mov_b64 s[6:7], s[16:17]
.LBB69_53:                              ; =>This Inner Loop Header: Depth=1
	s_clause 0x1
	s_load_b256 s[20:27], s[6:7], 0x4
	s_load_b128 s[12:15], s[6:7], 0x24
	s_load_b256 s[36:43], s[4:5], 0x0
	s_add_co_i32 s9, s9, 4
	s_wait_xcnt 0x0
	s_add_nc_u64 s[6:7], s[6:7], 48
	s_cmp_lg_u32 s0, s9
	s_add_nc_u64 s[4:5], s[4:5], 32
	s_wait_kmcnt 0x0
	v_mul_hi_u32 v9, s21, v7
	s_delay_alu instid0(VALU_DEP_1) | instskip(NEXT) | instid1(VALU_DEP_1)
	v_add_nc_u32_e32 v9, v7, v9
	v_lshrrev_b32_e32 v9, s22, v9
	s_delay_alu instid0(VALU_DEP_1) | instskip(NEXT) | instid1(VALU_DEP_1)
	v_mul_hi_u32 v10, s24, v9
	v_add_nc_u32_e32 v10, v9, v10
	s_delay_alu instid0(VALU_DEP_1) | instskip(NEXT) | instid1(VALU_DEP_1)
	v_lshrrev_b32_e32 v10, s25, v10
	v_mul_hi_u32 v11, s27, v10
	s_delay_alu instid0(VALU_DEP_1) | instskip(SKIP_1) | instid1(VALU_DEP_1)
	v_add_nc_u32_e32 v11, v10, v11
	v_mul_lo_u32 v12, v9, s20
	v_sub_nc_u32_e32 v7, v7, v12
	v_mul_lo_u32 v12, v10, s23
	s_delay_alu instid0(VALU_DEP_4) | instskip(NEXT) | instid1(VALU_DEP_3)
	v_lshrrev_b32_e32 v11, s12, v11
	v_mad_u32 v5, v7, s37, v5
	v_mad_u32 v4, v7, s36, v4
	s_delay_alu instid0(VALU_DEP_4) | instskip(NEXT) | instid1(VALU_DEP_4)
	v_sub_nc_u32_e32 v7, v9, v12
	v_mul_hi_u32 v13, s14, v11
	v_mul_lo_u32 v9, v11, s26
	s_delay_alu instid0(VALU_DEP_3) | instskip(SKIP_1) | instid1(VALU_DEP_4)
	v_mad_u32 v5, v7, s39, v5
	v_mad_u32 v4, v7, s38, v4
	v_add_nc_u32_e32 v12, v11, v13
	s_delay_alu instid0(VALU_DEP_1) | instskip(NEXT) | instid1(VALU_DEP_1)
	v_dual_sub_nc_u32 v9, v10, v9 :: v_dual_lshrrev_b32 v7, s15, v12
	v_mad_u32 v5, v9, s41, v5
	s_delay_alu instid0(VALU_DEP_4) | instskip(NEXT) | instid1(VALU_DEP_3)
	v_mad_u32 v4, v9, s40, v4
	v_mul_lo_u32 v10, v7, s13
	s_delay_alu instid0(VALU_DEP_1) | instskip(NEXT) | instid1(VALU_DEP_1)
	v_sub_nc_u32_e32 v9, v11, v10
	v_mad_u32 v5, v9, s43, v5
	s_delay_alu instid0(VALU_DEP_4)
	v_mad_u32 v4, v9, s42, v4
	s_cbranch_scc1 .LBB69_53
; %bb.54:
	s_and_b32 s6, s1, 3
	s_mov_b32 s1, 0
	s_cmp_eq_u32 s6, 0
	s_cbranch_scc0 .LBB69_58
	s_branch .LBB69_60
.LBB69_55:
	s_mov_b32 s8, -1
                                        ; implicit-def: $vgpr5
	s_branch .LBB69_60
.LBB69_56:
	v_dual_mov_b32 v5, 0 :: v_dual_mov_b32 v4, 0
	s_branch .LBB69_60
.LBB69_57:
	v_mov_b64_e32 v[4:5], 0
	v_mov_b32_e32 v7, v6
	s_mov_b32 s0, 0
	s_and_b32 s6, s1, 3
	s_mov_b32 s1, 0
	s_cmp_eq_u32 s6, 0
	s_cbranch_scc1 .LBB69_60
.LBB69_58:
	s_lshl_b32 s4, s0, 3
	s_mov_b32 s5, s1
	s_mul_u64 s[12:13], s[0:1], 12
	s_add_nc_u64 s[4:5], s[16:17], s[4:5]
	s_delay_alu instid0(SALU_CYCLE_1)
	s_add_nc_u64 s[0:1], s[4:5], 0xc4
	s_add_nc_u64 s[4:5], s[16:17], s[12:13]
.LBB69_59:                              ; =>This Inner Loop Header: Depth=1
	s_load_b96 s[12:14], s[4:5], 0x4
	s_add_co_i32 s6, s6, -1
	s_wait_xcnt 0x0
	s_add_nc_u64 s[4:5], s[4:5], 12
	s_cmp_lg_u32 s6, 0
	s_wait_kmcnt 0x0
	v_mul_hi_u32 v9, s13, v7
	s_delay_alu instid0(VALU_DEP_1) | instskip(NEXT) | instid1(VALU_DEP_1)
	v_add_nc_u32_e32 v9, v7, v9
	v_lshrrev_b32_e32 v9, s14, v9
	s_load_b64 s[14:15], s[0:1], 0x0
	s_wait_xcnt 0x0
	s_add_nc_u64 s[0:1], s[0:1], 8
	s_delay_alu instid0(VALU_DEP_1) | instskip(NEXT) | instid1(VALU_DEP_1)
	v_mul_lo_u32 v10, v9, s12
	v_sub_nc_u32_e32 v7, v7, v10
	s_wait_kmcnt 0x0
	s_delay_alu instid0(VALU_DEP_1)
	v_mad_u32 v5, v7, s15, v5
	v_mad_u32 v4, v7, s14, v4
	v_mov_b32_e32 v7, v9
	s_cbranch_scc1 .LBB69_59
.LBB69_60:
	s_and_not1_b32 vcc_lo, exec_lo, s8
	s_cbranch_vccnz .LBB69_63
; %bb.61:
	s_clause 0x1
	s_load_b96 s[4:6], s[16:17], 0x4
	s_load_b64 s[0:1], s[16:17], 0xc4
	s_cmp_lt_u32 s30, 2
	s_wait_kmcnt 0x0
	v_mul_hi_u32 v4, s5, v6
	s_delay_alu instid0(VALU_DEP_1) | instskip(NEXT) | instid1(VALU_DEP_1)
	v_add_nc_u32_e32 v4, v6, v4
	v_lshrrev_b32_e32 v7, s6, v4
	s_delay_alu instid0(VALU_DEP_1) | instskip(NEXT) | instid1(VALU_DEP_1)
	v_mul_lo_u32 v4, v7, s4
	v_sub_nc_u32_e32 v4, v6, v4
	s_delay_alu instid0(VALU_DEP_1)
	v_mul_lo_u32 v5, v4, s1
	v_mul_lo_u32 v4, v4, s0
	s_cbranch_scc1 .LBB69_63
; %bb.62:
	s_clause 0x1
	s_load_b96 s[4:6], s[16:17], 0x10
	s_load_b64 s[0:1], s[16:17], 0xcc
	s_wait_kmcnt 0x0
	v_mul_hi_u32 v6, s5, v7
	s_delay_alu instid0(VALU_DEP_1) | instskip(NEXT) | instid1(VALU_DEP_1)
	v_add_nc_u32_e32 v6, v7, v6
	v_lshrrev_b32_e32 v6, s6, v6
	s_delay_alu instid0(VALU_DEP_1) | instskip(NEXT) | instid1(VALU_DEP_1)
	v_mul_lo_u32 v6, v6, s4
	v_sub_nc_u32_e32 v6, v7, v6
	s_delay_alu instid0(VALU_DEP_1)
	v_mad_u32 v4, v6, s0, v4
	v_mad_u32 v5, v6, s1, v5
.LBB69_63:
	v_cmp_ne_u32_e32 vcc_lo, 1, v8
	v_add_nc_u32_e32 v0, 0x100, v0
	s_cbranch_vccnz .LBB69_69
; %bb.64:
	s_cmp_lg_u32 s30, 0
	s_mov_b32 s8, 0
	s_cbranch_scc0 .LBB69_70
; %bb.65:
	s_min_u32 s1, s31, 15
	s_delay_alu instid0(SALU_CYCLE_1)
	s_add_co_i32 s1, s1, 1
	s_cmp_eq_u32 s31, 2
	s_cbranch_scc1 .LBB69_71
; %bb.66:
	v_dual_mov_b32 v6, 0 :: v_dual_mov_b32 v7, 0
	v_mov_b32_e32 v9, v0
	s_and_b32 s0, s1, 28
	s_add_nc_u64 s[4:5], s[16:17], 0xc4
	s_mov_b32 s9, 0
	s_mov_b64 s[6:7], s[16:17]
.LBB69_67:                              ; =>This Inner Loop Header: Depth=1
	s_clause 0x1
	s_load_b256 s[20:27], s[6:7], 0x4
	s_load_b128 s[12:15], s[6:7], 0x24
	s_load_b256 s[36:43], s[4:5], 0x0
	s_add_co_i32 s9, s9, 4
	s_wait_xcnt 0x0
	s_add_nc_u64 s[6:7], s[6:7], 48
	s_cmp_lg_u32 s0, s9
	s_add_nc_u64 s[4:5], s[4:5], 32
	s_wait_kmcnt 0x0
	v_mul_hi_u32 v10, s21, v9
	s_delay_alu instid0(VALU_DEP_1) | instskip(NEXT) | instid1(VALU_DEP_1)
	v_add_nc_u32_e32 v10, v9, v10
	v_lshrrev_b32_e32 v10, s22, v10
	s_delay_alu instid0(VALU_DEP_1) | instskip(NEXT) | instid1(VALU_DEP_1)
	v_mul_hi_u32 v11, s24, v10
	v_add_nc_u32_e32 v11, v10, v11
	s_delay_alu instid0(VALU_DEP_1) | instskip(NEXT) | instid1(VALU_DEP_1)
	v_lshrrev_b32_e32 v11, s25, v11
	v_mul_hi_u32 v12, s27, v11
	s_delay_alu instid0(VALU_DEP_1) | instskip(SKIP_1) | instid1(VALU_DEP_1)
	v_add_nc_u32_e32 v12, v11, v12
	v_mul_lo_u32 v13, v10, s20
	v_sub_nc_u32_e32 v9, v9, v13
	v_mul_lo_u32 v13, v11, s23
	s_delay_alu instid0(VALU_DEP_4) | instskip(NEXT) | instid1(VALU_DEP_3)
	v_lshrrev_b32_e32 v12, s12, v12
	v_mad_u32 v7, v9, s37, v7
	v_mad_u32 v6, v9, s36, v6
	s_delay_alu instid0(VALU_DEP_4) | instskip(NEXT) | instid1(VALU_DEP_4)
	v_sub_nc_u32_e32 v9, v10, v13
	v_mul_hi_u32 v14, s14, v12
	v_mul_lo_u32 v10, v12, s26
	s_delay_alu instid0(VALU_DEP_3) | instskip(SKIP_1) | instid1(VALU_DEP_4)
	v_mad_u32 v7, v9, s39, v7
	v_mad_u32 v6, v9, s38, v6
	v_add_nc_u32_e32 v13, v12, v14
	s_delay_alu instid0(VALU_DEP_1) | instskip(NEXT) | instid1(VALU_DEP_1)
	v_dual_sub_nc_u32 v10, v11, v10 :: v_dual_lshrrev_b32 v9, s15, v13
	v_mad_u32 v7, v10, s41, v7
	s_delay_alu instid0(VALU_DEP_4) | instskip(NEXT) | instid1(VALU_DEP_3)
	v_mad_u32 v6, v10, s40, v6
	v_mul_lo_u32 v11, v9, s13
	s_delay_alu instid0(VALU_DEP_1) | instskip(NEXT) | instid1(VALU_DEP_1)
	v_sub_nc_u32_e32 v10, v12, v11
	v_mad_u32 v7, v10, s43, v7
	s_delay_alu instid0(VALU_DEP_4)
	v_mad_u32 v6, v10, s42, v6
	s_cbranch_scc1 .LBB69_67
; %bb.68:
	s_and_b32 s6, s1, 3
	s_mov_b32 s1, 0
	s_cmp_eq_u32 s6, 0
	s_cbranch_scc0 .LBB69_72
	s_branch .LBB69_74
.LBB69_69:
	s_mov_b32 s8, -1
                                        ; implicit-def: $vgpr7
	s_branch .LBB69_74
.LBB69_70:
	v_dual_mov_b32 v7, 0 :: v_dual_mov_b32 v6, 0
	s_branch .LBB69_74
.LBB69_71:
	v_mov_b64_e32 v[6:7], 0
	v_mov_b32_e32 v9, v0
	s_mov_b32 s0, 0
	s_and_b32 s6, s1, 3
	s_mov_b32 s1, 0
	s_cmp_eq_u32 s6, 0
	s_cbranch_scc1 .LBB69_74
.LBB69_72:
	s_lshl_b32 s4, s0, 3
	s_mov_b32 s5, s1
	s_mul_u64 s[12:13], s[0:1], 12
	s_add_nc_u64 s[4:5], s[16:17], s[4:5]
	s_delay_alu instid0(SALU_CYCLE_1)
	s_add_nc_u64 s[0:1], s[4:5], 0xc4
	s_add_nc_u64 s[4:5], s[16:17], s[12:13]
.LBB69_73:                              ; =>This Inner Loop Header: Depth=1
	s_load_b96 s[12:14], s[4:5], 0x4
	s_add_co_i32 s6, s6, -1
	s_wait_xcnt 0x0
	s_add_nc_u64 s[4:5], s[4:5], 12
	s_cmp_lg_u32 s6, 0
	s_wait_kmcnt 0x0
	v_mul_hi_u32 v10, s13, v9
	s_delay_alu instid0(VALU_DEP_1) | instskip(NEXT) | instid1(VALU_DEP_1)
	v_add_nc_u32_e32 v10, v9, v10
	v_lshrrev_b32_e32 v10, s14, v10
	s_load_b64 s[14:15], s[0:1], 0x0
	s_wait_xcnt 0x0
	s_add_nc_u64 s[0:1], s[0:1], 8
	s_delay_alu instid0(VALU_DEP_1) | instskip(NEXT) | instid1(VALU_DEP_1)
	v_mul_lo_u32 v11, v10, s12
	v_sub_nc_u32_e32 v9, v9, v11
	s_wait_kmcnt 0x0
	s_delay_alu instid0(VALU_DEP_1)
	v_mad_u32 v7, v9, s15, v7
	v_mad_u32 v6, v9, s14, v6
	v_mov_b32_e32 v9, v10
	s_cbranch_scc1 .LBB69_73
.LBB69_74:
	s_and_not1_b32 vcc_lo, exec_lo, s8
	s_cbranch_vccnz .LBB69_77
; %bb.75:
	s_clause 0x1
	s_load_b96 s[4:6], s[16:17], 0x4
	s_load_b64 s[0:1], s[16:17], 0xc4
	s_cmp_lt_u32 s30, 2
	s_wait_kmcnt 0x0
	v_mul_hi_u32 v6, s5, v0
	s_delay_alu instid0(VALU_DEP_1) | instskip(NEXT) | instid1(VALU_DEP_1)
	v_add_nc_u32_e32 v6, v0, v6
	v_lshrrev_b32_e32 v9, s6, v6
	s_delay_alu instid0(VALU_DEP_1) | instskip(NEXT) | instid1(VALU_DEP_1)
	v_mul_lo_u32 v6, v9, s4
	v_sub_nc_u32_e32 v0, v0, v6
	s_delay_alu instid0(VALU_DEP_1)
	v_mul_lo_u32 v7, v0, s1
	v_mul_lo_u32 v6, v0, s0
	s_cbranch_scc1 .LBB69_77
; %bb.76:
	s_clause 0x1
	s_load_b96 s[4:6], s[16:17], 0x10
	s_load_b64 s[0:1], s[16:17], 0xcc
	s_wait_kmcnt 0x0
	v_mul_hi_u32 v0, s5, v9
	s_delay_alu instid0(VALU_DEP_1) | instskip(NEXT) | instid1(VALU_DEP_1)
	v_add_nc_u32_e32 v0, v9, v0
	v_lshrrev_b32_e32 v0, s6, v0
	s_delay_alu instid0(VALU_DEP_1) | instskip(NEXT) | instid1(VALU_DEP_1)
	v_mul_lo_u32 v0, v0, s4
	v_sub_nc_u32_e32 v0, v9, v0
	s_delay_alu instid0(VALU_DEP_1)
	v_mad_u32 v6, v0, s0, v6
	v_mad_u32 v7, v0, s1, v7
.LBB69_77:
	v_cmp_ne_u32_e32 vcc_lo, 1, v8
	s_cbranch_vccnz .LBB69_83
; %bb.78:
	s_cmp_lg_u32 s30, 0
	s_mov_b32 s8, 0
	s_cbranch_scc0 .LBB69_84
; %bb.79:
	s_min_u32 s1, s31, 15
	s_delay_alu instid0(SALU_CYCLE_1)
	s_add_co_i32 s1, s1, 1
	s_cmp_eq_u32 s31, 2
	s_cbranch_scc1 .LBB69_85
; %bb.80:
	v_dual_mov_b32 v8, 0 :: v_dual_mov_b32 v9, 0
	v_mov_b32_e32 v0, v1
	s_and_b32 s0, s1, 28
	s_add_nc_u64 s[4:5], s[16:17], 0xc4
	s_mov_b32 s9, 0
	s_mov_b64 s[6:7], s[16:17]
.LBB69_81:                              ; =>This Inner Loop Header: Depth=1
	s_clause 0x1
	s_load_b256 s[20:27], s[6:7], 0x4
	s_load_b128 s[12:15], s[6:7], 0x24
	s_load_b256 s[36:43], s[4:5], 0x0
	s_add_co_i32 s9, s9, 4
	s_wait_xcnt 0x0
	s_add_nc_u64 s[6:7], s[6:7], 48
	s_cmp_lg_u32 s0, s9
	s_add_nc_u64 s[4:5], s[4:5], 32
	s_wait_kmcnt 0x0
	v_mul_hi_u32 v10, s21, v0
	s_delay_alu instid0(VALU_DEP_1) | instskip(NEXT) | instid1(VALU_DEP_1)
	v_add_nc_u32_e32 v10, v0, v10
	v_lshrrev_b32_e32 v10, s22, v10
	s_delay_alu instid0(VALU_DEP_1) | instskip(NEXT) | instid1(VALU_DEP_1)
	v_mul_hi_u32 v11, s24, v10
	v_add_nc_u32_e32 v11, v10, v11
	s_delay_alu instid0(VALU_DEP_1) | instskip(NEXT) | instid1(VALU_DEP_1)
	v_lshrrev_b32_e32 v11, s25, v11
	v_mul_hi_u32 v12, s27, v11
	s_delay_alu instid0(VALU_DEP_1) | instskip(SKIP_1) | instid1(VALU_DEP_1)
	v_add_nc_u32_e32 v12, v11, v12
	v_mul_lo_u32 v13, v10, s20
	v_sub_nc_u32_e32 v0, v0, v13
	v_mul_lo_u32 v13, v11, s23
	s_delay_alu instid0(VALU_DEP_4) | instskip(NEXT) | instid1(VALU_DEP_3)
	v_lshrrev_b32_e32 v12, s12, v12
	v_mad_u32 v9, v0, s37, v9
	v_mad_u32 v0, v0, s36, v8
	s_delay_alu instid0(VALU_DEP_4) | instskip(NEXT) | instid1(VALU_DEP_4)
	v_sub_nc_u32_e32 v8, v10, v13
	v_mul_hi_u32 v14, s14, v12
	v_mul_lo_u32 v10, v12, s26
	s_delay_alu instid0(VALU_DEP_3) | instskip(SKIP_1) | instid1(VALU_DEP_4)
	v_mad_u32 v9, v8, s39, v9
	v_mad_u32 v8, v8, s38, v0
	v_add_nc_u32_e32 v13, v12, v14
	s_delay_alu instid0(VALU_DEP_1) | instskip(NEXT) | instid1(VALU_DEP_1)
	v_dual_sub_nc_u32 v10, v11, v10 :: v_dual_lshrrev_b32 v0, s15, v13
	v_mad_u32 v9, v10, s41, v9
	s_delay_alu instid0(VALU_DEP_4) | instskip(NEXT) | instid1(VALU_DEP_3)
	v_mad_u32 v8, v10, s40, v8
	v_mul_lo_u32 v11, v0, s13
	s_delay_alu instid0(VALU_DEP_1) | instskip(NEXT) | instid1(VALU_DEP_1)
	v_sub_nc_u32_e32 v10, v12, v11
	v_mad_u32 v9, v10, s43, v9
	s_delay_alu instid0(VALU_DEP_4)
	v_mad_u32 v8, v10, s42, v8
	s_cbranch_scc1 .LBB69_81
; %bb.82:
	s_and_b32 s6, s1, 3
	s_mov_b32 s1, 0
	s_cmp_eq_u32 s6, 0
	s_cbranch_scc0 .LBB69_86
	s_branch .LBB69_88
.LBB69_83:
	s_mov_b32 s8, -1
                                        ; implicit-def: $vgpr9
	s_branch .LBB69_88
.LBB69_84:
	v_dual_mov_b32 v9, 0 :: v_dual_mov_b32 v8, 0
	s_branch .LBB69_88
.LBB69_85:
	v_mov_b64_e32 v[8:9], 0
	v_mov_b32_e32 v0, v1
	s_mov_b32 s0, 0
	s_and_b32 s6, s1, 3
	s_mov_b32 s1, 0
	s_cmp_eq_u32 s6, 0
	s_cbranch_scc1 .LBB69_88
.LBB69_86:
	s_lshl_b32 s4, s0, 3
	s_mov_b32 s5, s1
	s_mul_u64 s[12:13], s[0:1], 12
	s_add_nc_u64 s[4:5], s[16:17], s[4:5]
	s_delay_alu instid0(SALU_CYCLE_1)
	s_add_nc_u64 s[0:1], s[4:5], 0xc4
	s_add_nc_u64 s[4:5], s[16:17], s[12:13]
.LBB69_87:                              ; =>This Inner Loop Header: Depth=1
	s_load_b96 s[12:14], s[4:5], 0x4
	s_add_co_i32 s6, s6, -1
	s_wait_xcnt 0x0
	s_add_nc_u64 s[4:5], s[4:5], 12
	s_cmp_lg_u32 s6, 0
	s_wait_kmcnt 0x0
	v_mul_hi_u32 v10, s13, v0
	s_delay_alu instid0(VALU_DEP_1) | instskip(NEXT) | instid1(VALU_DEP_1)
	v_add_nc_u32_e32 v10, v0, v10
	v_lshrrev_b32_e32 v10, s14, v10
	s_load_b64 s[14:15], s[0:1], 0x0
	s_wait_xcnt 0x0
	s_add_nc_u64 s[0:1], s[0:1], 8
	s_delay_alu instid0(VALU_DEP_1) | instskip(NEXT) | instid1(VALU_DEP_1)
	v_mul_lo_u32 v11, v10, s12
	v_sub_nc_u32_e32 v0, v0, v11
	s_wait_kmcnt 0x0
	s_delay_alu instid0(VALU_DEP_1)
	v_mad_u32 v9, v0, s15, v9
	v_mad_u32 v8, v0, s14, v8
	v_mov_b32_e32 v0, v10
	s_cbranch_scc1 .LBB69_87
.LBB69_88:
	s_and_not1_b32 vcc_lo, exec_lo, s8
	s_cbranch_vccnz .LBB69_91
; %bb.89:
	s_clause 0x1
	s_load_b96 s[4:6], s[16:17], 0x4
	s_load_b64 s[0:1], s[16:17], 0xc4
	s_cmp_lt_u32 s30, 2
	s_wait_kmcnt 0x0
	v_mul_hi_u32 v0, s5, v1
	s_delay_alu instid0(VALU_DEP_1) | instskip(NEXT) | instid1(VALU_DEP_1)
	v_add_nc_u32_e32 v0, v1, v0
	v_lshrrev_b32_e32 v0, s6, v0
	s_delay_alu instid0(VALU_DEP_1) | instskip(NEXT) | instid1(VALU_DEP_1)
	v_mul_lo_u32 v8, v0, s4
	v_sub_nc_u32_e32 v1, v1, v8
	s_delay_alu instid0(VALU_DEP_1)
	v_mul_lo_u32 v9, v1, s1
	v_mul_lo_u32 v8, v1, s0
	s_cbranch_scc1 .LBB69_91
; %bb.90:
	s_clause 0x1
	s_load_b96 s[4:6], s[16:17], 0x10
	s_load_b64 s[0:1], s[16:17], 0xcc
	s_wait_kmcnt 0x0
	v_mul_hi_u32 v1, s5, v0
	s_delay_alu instid0(VALU_DEP_1) | instskip(NEXT) | instid1(VALU_DEP_1)
	v_add_nc_u32_e32 v1, v0, v1
	v_lshrrev_b32_e32 v1, s6, v1
	s_delay_alu instid0(VALU_DEP_1) | instskip(NEXT) | instid1(VALU_DEP_1)
	v_mul_lo_u32 v1, v1, s4
	v_sub_nc_u32_e32 v0, v0, v1
	s_delay_alu instid0(VALU_DEP_1)
	v_mad_u32 v8, v0, s0, v8
	v_mad_u32 v9, v0, s1, v9
.LBB69_91:
	s_clause 0x2
	s_load_b128 s[4:7], s[16:17], 0x148
	s_load_b32 s12, s[16:17], 0x158
	s_load_b64 s[8:9], s[16:17], 0x160
	s_wait_kmcnt 0x0
	global_load_b32 v0, v3, s[6:7]
	s_wait_loadcnt 0x0
	v_cmp_gt_i32_e32 vcc_lo, s12, v0
	v_cmp_le_i32_e64 s0, s8, v0
	s_or_b32 s0, vcc_lo, s0
	s_cmp_eq_u64 s[2:3], 0
	s_cselect_b32 s1, -1, 0
	s_delay_alu instid0(SALU_CYCLE_1) | instskip(SKIP_3) | instid1(SALU_CYCLE_1)
	s_or_b32 s0, s1, s0
	s_mov_b32 s1, s10
	s_wait_xcnt 0x0
	s_and_saveexec_b32 s2, s0
	s_xor_b32 s0, exec_lo, s2
	s_cbranch_execnz .LBB69_157
; %bb.92:
	s_or_saveexec_b32 s2, s0
	s_mov_b32 s0, 0
	s_xor_b32 exec_lo, exec_lo, s2
	s_cbranch_execz .LBB69_101
.LBB69_93:
	global_load_b32 v0, v5, s[6:7]
	s_mov_b32 s3, s1
	s_wait_loadcnt 0x0
	v_cmp_gt_i32_e32 vcc_lo, s12, v0
	v_cmp_le_i32_e64 s0, s8, v0
	s_or_b32 s0, vcc_lo, s0
	s_wait_xcnt 0x0
	s_and_saveexec_b32 s9, s0
	s_delay_alu instid0(SALU_CYCLE_1)
	s_xor_b32 s0, exec_lo, s9
	s_cbranch_execnz .LBB69_158
; %bb.94:
	s_or_saveexec_b32 s9, s0
	s_mov_b32 s0, 0
	s_xor_b32 exec_lo, exec_lo, s9
	s_cbranch_execz .LBB69_100
.LBB69_95:
	global_load_b32 v0, v7, s[6:7]
	s_mov_b32 s13, s3
	s_wait_loadcnt 0x0
	v_cmp_gt_i32_e32 vcc_lo, s12, v0
	v_cmp_le_i32_e64 s0, s8, v0
	s_or_b32 s0, vcc_lo, s0
	s_wait_xcnt 0x0
	s_and_saveexec_b32 s14, s0
	s_delay_alu instid0(SALU_CYCLE_1)
	s_xor_b32 s0, exec_lo, s14
	s_cbranch_execnz .LBB69_159
; %bb.96:
	s_or_saveexec_b32 s14, s0
	s_mov_b32 s0, 0
	s_xor_b32 exec_lo, exec_lo, s14
	s_cbranch_execz .LBB69_99
.LBB69_97:
	global_load_b32 v0, v9, s[6:7]
	s_wait_xcnt 0x0
	s_mov_b32 s6, -1
	s_wait_loadcnt 0x0
	v_cmp_gt_i32_e32 vcc_lo, s12, v0
	v_cmp_le_i32_e64 s0, s8, v0
	s_or_b32 s8, vcc_lo, s0
	s_mov_b32 s0, s13
	s_and_saveexec_b32 s7, s8
	s_cbranch_execnz .LBB69_160
.LBB69_98:
	s_or_b32 exec_lo, exec_lo, s7
	s_delay_alu instid0(SALU_CYCLE_1)
	s_and_not1_b32 s7, s13, exec_lo
	s_and_b32 s8, s0, exec_lo
	s_and_b32 s0, s6, exec_lo
	s_or_b32 s13, s7, s8
.LBB69_99:
	s_or_b32 exec_lo, exec_lo, s14
	s_delay_alu instid0(SALU_CYCLE_1)
	s_and_not1_b32 s3, s3, exec_lo
	s_and_b32 s6, s13, exec_lo
	s_and_b32 s0, s0, exec_lo
	s_or_b32 s3, s3, s6
.LBB69_100:
	s_or_b32 exec_lo, exec_lo, s9
	s_delay_alu instid0(SALU_CYCLE_1)
	s_and_not1_b32 s1, s1, exec_lo
	s_and_b32 s3, s3, exec_lo
	s_and_b32 s0, s0, exec_lo
	s_or_b32 s1, s1, s3
.LBB69_101:
	s_or_b32 exec_lo, exec_lo, s2
	s_delay_alu instid0(SALU_CYCLE_1)
	s_and_not1_b32 s2, s10, exec_lo
	s_and_b32 s1, s1, exec_lo
	s_and_b32 s33, s0, exec_lo
	s_or_b32 s10, s2, s1
	s_or_b32 exec_lo, exec_lo, s11
	s_and_saveexec_b32 s0, s10
	s_cbranch_execnz .LBB69_39
.LBB69_102:
	s_or_b32 exec_lo, exec_lo, s0
	s_and_saveexec_b32 s0, s33
	s_cbranch_execz .LBB69_40
.LBB69_103:
	v_mov_b32_e32 v0, 0
	s_clause 0x3
	global_store_b32 v2, v0, s[4:5]
	global_store_b32 v4, v0, s[4:5]
	;; [unrolled: 1-line block ×4, first 2 shown]
	s_endpgm
.LBB69_104:
	v_dual_mov_b32 v3, 0 :: v_dual_mov_b32 v2, 0
	s_branch .LBB69_109
.LBB69_105:
	v_mov_b64_e32 v[2:3], 0
	v_mov_b32_e32 v1, v0
	s_mov_b32 s24, 0
.LBB69_106:
	s_and_b32 s0, s0, 3
	s_mov_b32 s25, 0
	s_cmp_eq_u32 s0, 0
	s_cbranch_scc1 .LBB69_109
; %bb.107:
	s_lshl_b32 s26, s24, 3
	s_mov_b32 s27, s25
	s_mul_u64 s[28:29], s[24:25], 12
	s_add_nc_u64 s[26:27], s[16:17], s[26:27]
	s_delay_alu instid0(SALU_CYCLE_1)
	s_add_nc_u64 s[24:25], s[26:27], 0xc4
	s_add_nc_u64 s[26:27], s[16:17], s[28:29]
.LBB69_108:                             ; =>This Inner Loop Header: Depth=1
	s_load_b96 s[48:50], s[26:27], 0x4
	s_load_b64 s[28:29], s[24:25], 0x0
	s_add_co_i32 s0, s0, -1
	s_wait_xcnt 0x0
	s_add_nc_u64 s[26:27], s[26:27], 12
	s_cmp_lg_u32 s0, 0
	s_add_nc_u64 s[24:25], s[24:25], 8
	s_wait_kmcnt 0x0
	v_mul_hi_u32 v4, s49, v1
	s_delay_alu instid0(VALU_DEP_1) | instskip(NEXT) | instid1(VALU_DEP_1)
	v_add_nc_u32_e32 v4, v1, v4
	v_lshrrev_b32_e32 v4, s50, v4
	s_delay_alu instid0(VALU_DEP_1) | instskip(NEXT) | instid1(VALU_DEP_1)
	v_mul_lo_u32 v5, v4, s48
	v_sub_nc_u32_e32 v1, v1, v5
	s_delay_alu instid0(VALU_DEP_1)
	v_mad_u32 v3, v1, s29, v3
	v_mad_u32 v2, v1, s28, v2
	v_mov_b32_e32 v1, v4
	s_cbranch_scc1 .LBB69_108
.LBB69_109:
	s_cbranch_execnz .LBB69_112
.LBB69_110:
	v_mov_b32_e32 v1, 0
	s_and_not1_b32 vcc_lo, exec_lo, s39
	s_delay_alu instid0(VALU_DEP_1) | instskip(NEXT) | instid1(VALU_DEP_1)
	v_mul_u64_e32 v[2:3], s[18:19], v[0:1]
	v_add_nc_u32_e32 v2, v0, v3
	s_delay_alu instid0(VALU_DEP_1) | instskip(NEXT) | instid1(VALU_DEP_1)
	v_lshrrev_b32_e32 v4, s10, v2
	v_mul_lo_u32 v2, v4, s8
	s_delay_alu instid0(VALU_DEP_1) | instskip(NEXT) | instid1(VALU_DEP_1)
	v_sub_nc_u32_e32 v2, v0, v2
	v_mul_lo_u32 v3, v2, s13
	v_mul_lo_u32 v2, v2, s12
	s_cbranch_vccnz .LBB69_112
; %bb.111:
	v_mov_b32_e32 v5, v1
	s_delay_alu instid0(VALU_DEP_1) | instskip(NEXT) | instid1(VALU_DEP_1)
	v_mul_u64_e32 v[6:7], s[20:21], v[4:5]
	v_add_nc_u32_e32 v1, v4, v7
	s_delay_alu instid0(VALU_DEP_1) | instskip(NEXT) | instid1(VALU_DEP_1)
	v_lshrrev_b32_e32 v1, s1, v1
	v_mul_lo_u32 v1, v1, s11
	s_delay_alu instid0(VALU_DEP_1) | instskip(NEXT) | instid1(VALU_DEP_1)
	v_sub_nc_u32_e32 v1, v4, v1
	v_mad_u32 v2, v1, s14, v2
	v_mad_u32 v3, v1, s15, v3
.LBB69_112:
	global_load_b32 v1, v3, s[6:7]
	s_wait_loadcnt 0x0
	v_cmp_le_i32_e32 vcc_lo, s36, v1
	v_cmp_gt_i32_e64 s0, s37, v1
	s_and_b32 s24, vcc_lo, s0
	s_mov_b32 s0, 0
	s_and_b32 s26, s38, s24
	s_mov_b32 s24, -1
	s_wait_xcnt 0x0
	s_and_saveexec_b32 s25, s26
; %bb.113:
	v_dual_mov_b32 v1, 0 :: v_dual_add_nc_u32 v0, 0x80, v0
	s_mov_b32 s0, exec_lo
	s_xor_b32 s24, exec_lo, -1
	global_store_b32 v2, v1, s[4:5]
; %bb.114:
	s_wait_xcnt 0x0
	s_or_b32 exec_lo, exec_lo, s25
	s_delay_alu instid0(SALU_CYCLE_1)
	s_and_not1_b32 s25, s9, exec_lo
	s_and_b32 s24, s24, exec_lo
	s_or_not1_b32 s0, s0, exec_lo
	s_or_b32 s44, s25, s24
.LBB69_115:
	s_or_b32 exec_lo, exec_lo, s45
	s_mov_b32 s24, 0
                                        ; implicit-def: $vgpr2
	s_and_saveexec_b32 s45, s0
	s_cbranch_execz .LBB69_155
; %bb.116:
	s_mov_b32 s0, -1
	s_mov_b32 s28, s44
	s_mov_b32 s46, exec_lo
	v_cmpx_gt_i32_e64 s40, v0
	s_cbranch_execz .LBB69_135
; %bb.117:
	s_and_not1_b32 vcc_lo, exec_lo, s34
	s_cbranch_vccnz .LBB69_122
; %bb.118:
	s_and_not1_b32 vcc_lo, exec_lo, s42
	s_cbranch_vccnz .LBB69_123
; %bb.119:
	s_add_co_i32 s0, s41, 1
	s_cmp_eq_u32 s31, 2
	s_cbranch_scc1 .LBB69_124
; %bb.120:
	v_dual_mov_b32 v2, 0 :: v_dual_mov_b32 v3, 0
	v_mov_b32_e32 v1, v0
	s_and_b32 s24, s0, 28
	s_mov_b32 s25, 0
	s_mov_b64 s[26:27], s[16:17]
	s_mov_b64 s[28:29], s[22:23]
.LBB69_121:                             ; =>This Inner Loop Header: Depth=1
	s_clause 0x1
	s_load_b256 s[48:55], s[26:27], 0x4
	s_load_b128 s[64:67], s[26:27], 0x24
	s_load_b256 s[56:63], s[28:29], 0x0
	s_add_co_i32 s25, s25, 4
	s_wait_xcnt 0x0
	s_add_nc_u64 s[26:27], s[26:27], 48
	s_cmp_eq_u32 s24, s25
	s_add_nc_u64 s[28:29], s[28:29], 32
	s_wait_kmcnt 0x0
	v_mul_hi_u32 v4, s49, v1
	s_delay_alu instid0(VALU_DEP_1) | instskip(NEXT) | instid1(VALU_DEP_1)
	v_add_nc_u32_e32 v4, v1, v4
	v_lshrrev_b32_e32 v4, s50, v4
	s_delay_alu instid0(VALU_DEP_1) | instskip(NEXT) | instid1(VALU_DEP_1)
	v_mul_hi_u32 v5, s52, v4
	v_add_nc_u32_e32 v5, v4, v5
	s_delay_alu instid0(VALU_DEP_1) | instskip(NEXT) | instid1(VALU_DEP_1)
	v_lshrrev_b32_e32 v5, s53, v5
	v_mul_hi_u32 v6, s55, v5
	s_delay_alu instid0(VALU_DEP_1) | instskip(SKIP_1) | instid1(VALU_DEP_1)
	v_add_nc_u32_e32 v6, v5, v6
	v_mul_lo_u32 v7, v4, s48
	v_sub_nc_u32_e32 v1, v1, v7
	v_mul_lo_u32 v7, v5, s51
	s_delay_alu instid0(VALU_DEP_4) | instskip(NEXT) | instid1(VALU_DEP_3)
	v_lshrrev_b32_e32 v6, s64, v6
	v_mad_u32 v3, v1, s57, v3
	v_mad_u32 v1, v1, s56, v2
	s_delay_alu instid0(VALU_DEP_4) | instskip(NEXT) | instid1(VALU_DEP_4)
	v_sub_nc_u32_e32 v2, v4, v7
	v_mul_hi_u32 v8, s66, v6
	v_mul_lo_u32 v4, v6, s54
	s_delay_alu instid0(VALU_DEP_3) | instskip(SKIP_1) | instid1(VALU_DEP_4)
	v_mad_u32 v3, v2, s59, v3
	v_mad_u32 v2, v2, s58, v1
	v_add_nc_u32_e32 v7, v6, v8
	s_delay_alu instid0(VALU_DEP_1) | instskip(NEXT) | instid1(VALU_DEP_1)
	v_dual_sub_nc_u32 v4, v5, v4 :: v_dual_lshrrev_b32 v1, s67, v7
	v_mad_u32 v3, v4, s61, v3
	s_delay_alu instid0(VALU_DEP_4) | instskip(NEXT) | instid1(VALU_DEP_3)
	v_mad_u32 v2, v4, s60, v2
	v_mul_lo_u32 v5, v1, s65
	s_delay_alu instid0(VALU_DEP_1) | instskip(NEXT) | instid1(VALU_DEP_1)
	v_sub_nc_u32_e32 v4, v6, v5
	v_mad_u32 v3, v4, s63, v3
	s_delay_alu instid0(VALU_DEP_4)
	v_mad_u32 v2, v4, s62, v2
	s_cbranch_scc0 .LBB69_121
	s_branch .LBB69_125
.LBB69_122:
                                        ; implicit-def: $vgpr3
	s_branch .LBB69_129
.LBB69_123:
	v_dual_mov_b32 v3, 0 :: v_dual_mov_b32 v2, 0
	s_branch .LBB69_128
.LBB69_124:
	v_mov_b64_e32 v[2:3], 0
	v_mov_b32_e32 v1, v0
.LBB69_125:
	s_and_b32 s0, s0, 3
	s_mov_b32 s25, 0
	s_cmp_eq_u32 s0, 0
	s_cbranch_scc1 .LBB69_128
; %bb.126:
	s_lshl_b32 s26, s24, 3
	s_mov_b32 s27, s25
	s_mul_u64 s[28:29], s[24:25], 12
	s_add_nc_u64 s[26:27], s[16:17], s[26:27]
	s_delay_alu instid0(SALU_CYCLE_1)
	s_add_nc_u64 s[24:25], s[26:27], 0xc4
	s_add_nc_u64 s[26:27], s[16:17], s[28:29]
.LBB69_127:                             ; =>This Inner Loop Header: Depth=1
	s_load_b96 s[48:50], s[26:27], 0x4
	s_load_b64 s[28:29], s[24:25], 0x0
	s_add_co_i32 s0, s0, -1
	s_wait_xcnt 0x0
	s_add_nc_u64 s[26:27], s[26:27], 12
	s_cmp_lg_u32 s0, 0
	s_add_nc_u64 s[24:25], s[24:25], 8
	s_wait_kmcnt 0x0
	v_mul_hi_u32 v4, s49, v1
	s_delay_alu instid0(VALU_DEP_1) | instskip(NEXT) | instid1(VALU_DEP_1)
	v_add_nc_u32_e32 v4, v1, v4
	v_lshrrev_b32_e32 v4, s50, v4
	s_delay_alu instid0(VALU_DEP_1) | instskip(NEXT) | instid1(VALU_DEP_1)
	v_mul_lo_u32 v5, v4, s48
	v_sub_nc_u32_e32 v1, v1, v5
	s_delay_alu instid0(VALU_DEP_1)
	v_mad_u32 v3, v1, s29, v3
	v_mad_u32 v2, v1, s28, v2
	v_mov_b32_e32 v1, v4
	s_cbranch_scc1 .LBB69_127
.LBB69_128:
	s_mov_b32 s0, 0
.LBB69_129:
	s_delay_alu instid0(SALU_CYCLE_1)
	s_and_not1_b32 vcc_lo, exec_lo, s0
	s_cbranch_vccnz .LBB69_132
; %bb.130:
	v_mov_b32_e32 v1, 0
	s_and_not1_b32 vcc_lo, exec_lo, s39
	s_delay_alu instid0(VALU_DEP_1) | instskip(NEXT) | instid1(VALU_DEP_1)
	v_mul_u64_e32 v[2:3], s[18:19], v[0:1]
	v_add_nc_u32_e32 v2, v0, v3
	s_delay_alu instid0(VALU_DEP_1) | instskip(NEXT) | instid1(VALU_DEP_1)
	v_lshrrev_b32_e32 v4, s10, v2
	v_mul_lo_u32 v2, v4, s8
	s_delay_alu instid0(VALU_DEP_1) | instskip(NEXT) | instid1(VALU_DEP_1)
	v_sub_nc_u32_e32 v2, v0, v2
	v_mul_lo_u32 v3, v2, s13
	v_mul_lo_u32 v2, v2, s12
	s_cbranch_vccnz .LBB69_132
; %bb.131:
	v_mov_b32_e32 v5, v1
	s_delay_alu instid0(VALU_DEP_1) | instskip(NEXT) | instid1(VALU_DEP_1)
	v_mul_u64_e32 v[6:7], s[20:21], v[4:5]
	v_add_nc_u32_e32 v1, v4, v7
	s_delay_alu instid0(VALU_DEP_1) | instskip(NEXT) | instid1(VALU_DEP_1)
	v_lshrrev_b32_e32 v1, s1, v1
	v_mul_lo_u32 v1, v1, s11
	s_delay_alu instid0(VALU_DEP_1) | instskip(NEXT) | instid1(VALU_DEP_1)
	v_sub_nc_u32_e32 v1, v4, v1
	v_mad_u32 v2, v1, s14, v2
	v_mad_u32 v3, v1, s15, v3
.LBB69_132:
	global_load_b32 v1, v3, s[6:7]
	s_wait_loadcnt 0x0
	v_cmp_le_i32_e32 vcc_lo, s36, v1
	v_cmp_gt_i32_e64 s0, s37, v1
	s_and_b32 s24, vcc_lo, s0
	s_mov_b32 s0, 0
	s_and_b32 s26, s38, s24
	s_mov_b32 s24, -1
	s_wait_xcnt 0x0
	s_and_saveexec_b32 s25, s26
; %bb.133:
	v_dual_mov_b32 v1, 0 :: v_dual_add_nc_u32 v0, 0x80, v0
	s_mov_b32 s0, exec_lo
	s_xor_b32 s24, exec_lo, -1
	global_store_b32 v2, v1, s[4:5]
; %bb.134:
	s_wait_xcnt 0x0
	s_or_b32 exec_lo, exec_lo, s25
	s_delay_alu instid0(SALU_CYCLE_1)
	s_and_not1_b32 s25, s44, exec_lo
	s_and_b32 s24, s24, exec_lo
	s_or_not1_b32 s0, s0, exec_lo
	s_or_b32 s28, s25, s24
.LBB69_135:
	s_or_b32 exec_lo, exec_lo, s46
	s_mov_b32 s24, 0
                                        ; implicit-def: $vgpr2
	s_and_saveexec_b32 s29, s0
	s_cbranch_execz .LBB69_154
; %bb.136:
	v_cmp_gt_i32_e32 vcc_lo, s40, v0
	s_mov_b32 s0, s28
                                        ; implicit-def: $vgpr2
	s_and_saveexec_b32 s40, vcc_lo
	s_cbranch_execz .LBB69_153
; %bb.137:
	s_and_not1_b32 vcc_lo, exec_lo, s34
	s_cbranch_vccnz .LBB69_142
; %bb.138:
	s_and_not1_b32 vcc_lo, exec_lo, s42
	s_cbranch_vccnz .LBB69_143
; %bb.139:
	s_add_co_i32 s41, s41, 1
	s_cmp_eq_u32 s31, 2
	s_cbranch_scc1 .LBB69_144
; %bb.140:
	v_dual_mov_b32 v2, 0 :: v_dual_mov_b32 v3, 0
	v_mov_b32_e32 v1, v0
	s_and_b32 s24, s41, 28
	s_mov_b32 s0, 0
	s_mov_b64 s[26:27], s[16:17]
.LBB69_141:                             ; =>This Inner Loop Header: Depth=1
	s_clause 0x1
	s_load_b256 s[48:55], s[26:27], 0x4
	s_load_b128 s[64:67], s[26:27], 0x24
	s_load_b256 s[56:63], s[22:23], 0x0
	s_add_co_i32 s0, s0, 4
	s_wait_xcnt 0x0
	s_add_nc_u64 s[26:27], s[26:27], 48
	s_cmp_eq_u32 s24, s0
	s_add_nc_u64 s[22:23], s[22:23], 32
	s_wait_kmcnt 0x0
	v_mul_hi_u32 v4, s49, v1
	s_delay_alu instid0(VALU_DEP_1) | instskip(NEXT) | instid1(VALU_DEP_1)
	v_add_nc_u32_e32 v4, v1, v4
	v_lshrrev_b32_e32 v4, s50, v4
	s_delay_alu instid0(VALU_DEP_1) | instskip(NEXT) | instid1(VALU_DEP_1)
	v_mul_hi_u32 v5, s52, v4
	v_add_nc_u32_e32 v5, v4, v5
	s_delay_alu instid0(VALU_DEP_1) | instskip(NEXT) | instid1(VALU_DEP_1)
	v_lshrrev_b32_e32 v5, s53, v5
	v_mul_hi_u32 v6, s55, v5
	s_delay_alu instid0(VALU_DEP_1) | instskip(SKIP_1) | instid1(VALU_DEP_1)
	v_add_nc_u32_e32 v6, v5, v6
	v_mul_lo_u32 v7, v4, s48
	v_sub_nc_u32_e32 v1, v1, v7
	v_mul_lo_u32 v7, v5, s51
	s_delay_alu instid0(VALU_DEP_4) | instskip(NEXT) | instid1(VALU_DEP_3)
	v_lshrrev_b32_e32 v6, s64, v6
	v_mad_u32 v3, v1, s57, v3
	v_mad_u32 v1, v1, s56, v2
	s_delay_alu instid0(VALU_DEP_4) | instskip(NEXT) | instid1(VALU_DEP_4)
	v_sub_nc_u32_e32 v2, v4, v7
	v_mul_hi_u32 v8, s66, v6
	v_mul_lo_u32 v4, v6, s54
	s_delay_alu instid0(VALU_DEP_3) | instskip(SKIP_1) | instid1(VALU_DEP_4)
	v_mad_u32 v3, v2, s59, v3
	v_mad_u32 v2, v2, s58, v1
	v_add_nc_u32_e32 v7, v6, v8
	s_delay_alu instid0(VALU_DEP_1) | instskip(NEXT) | instid1(VALU_DEP_1)
	v_dual_sub_nc_u32 v4, v5, v4 :: v_dual_lshrrev_b32 v1, s67, v7
	v_mad_u32 v3, v4, s61, v3
	s_delay_alu instid0(VALU_DEP_4) | instskip(NEXT) | instid1(VALU_DEP_3)
	v_mad_u32 v2, v4, s60, v2
	v_mul_lo_u32 v5, v1, s65
	s_delay_alu instid0(VALU_DEP_1) | instskip(NEXT) | instid1(VALU_DEP_1)
	v_sub_nc_u32_e32 v4, v6, v5
	v_mad_u32 v3, v4, s63, v3
	s_delay_alu instid0(VALU_DEP_4)
	v_mad_u32 v2, v4, s62, v2
	s_cbranch_scc0 .LBB69_141
	s_branch .LBB69_145
.LBB69_142:
	s_mov_b32 s0, -1
                                        ; implicit-def: $vgpr3
	s_branch .LBB69_149
.LBB69_143:
	v_dual_mov_b32 v3, 0 :: v_dual_mov_b32 v2, 0
	s_branch .LBB69_148
.LBB69_144:
	v_mov_b64_e32 v[2:3], 0
	v_mov_b32_e32 v1, v0
.LBB69_145:
	s_and_b32 s0, s41, 3
	s_mov_b32 s25, 0
	s_cmp_eq_u32 s0, 0
	s_cbranch_scc1 .LBB69_148
; %bb.146:
	s_lshl_b32 s22, s24, 3
	s_mov_b32 s23, s25
	s_mul_u64 s[24:25], s[24:25], 12
	s_add_nc_u64 s[22:23], s[16:17], s[22:23]
	s_add_nc_u64 s[24:25], s[16:17], s[24:25]
	;; [unrolled: 1-line block ×3, first 2 shown]
.LBB69_147:                             ; =>This Inner Loop Header: Depth=1
	s_load_b96 s[48:50], s[24:25], 0x4
	s_load_b64 s[26:27], s[22:23], 0x0
	s_add_co_i32 s0, s0, -1
	s_wait_xcnt 0x0
	s_add_nc_u64 s[24:25], s[24:25], 12
	s_cmp_lg_u32 s0, 0
	s_add_nc_u64 s[22:23], s[22:23], 8
	s_wait_kmcnt 0x0
	v_mul_hi_u32 v4, s49, v1
	s_delay_alu instid0(VALU_DEP_1) | instskip(NEXT) | instid1(VALU_DEP_1)
	v_add_nc_u32_e32 v4, v1, v4
	v_lshrrev_b32_e32 v4, s50, v4
	s_delay_alu instid0(VALU_DEP_1) | instskip(NEXT) | instid1(VALU_DEP_1)
	v_mul_lo_u32 v5, v4, s48
	v_sub_nc_u32_e32 v1, v1, v5
	s_delay_alu instid0(VALU_DEP_1)
	v_mad_u32 v3, v1, s27, v3
	v_mad_u32 v2, v1, s26, v2
	v_mov_b32_e32 v1, v4
	s_cbranch_scc1 .LBB69_147
.LBB69_148:
	s_mov_b32 s0, 0
.LBB69_149:
	s_delay_alu instid0(SALU_CYCLE_1)
	s_and_not1_b32 vcc_lo, exec_lo, s0
	s_cbranch_vccnz .LBB69_152
; %bb.150:
	v_mov_b32_e32 v1, 0
	s_and_not1_b32 vcc_lo, exec_lo, s39
	s_delay_alu instid0(VALU_DEP_1) | instskip(NEXT) | instid1(VALU_DEP_1)
	v_mul_u64_e32 v[2:3], s[18:19], v[0:1]
	v_add_nc_u32_e32 v2, v0, v3
	s_delay_alu instid0(VALU_DEP_1) | instskip(NEXT) | instid1(VALU_DEP_1)
	v_lshrrev_b32_e32 v4, s10, v2
	v_mul_lo_u32 v2, v4, s8
	s_delay_alu instid0(VALU_DEP_1) | instskip(NEXT) | instid1(VALU_DEP_1)
	v_sub_nc_u32_e32 v0, v0, v2
	v_mul_lo_u32 v3, v0, s13
	v_mul_lo_u32 v2, v0, s12
	s_cbranch_vccnz .LBB69_152
; %bb.151:
	v_mov_b32_e32 v5, v1
	s_delay_alu instid0(VALU_DEP_1) | instskip(NEXT) | instid1(VALU_DEP_1)
	v_mul_u64_e32 v[0:1], s[20:21], v[4:5]
	v_add_nc_u32_e32 v0, v4, v1
	s_delay_alu instid0(VALU_DEP_1) | instskip(NEXT) | instid1(VALU_DEP_1)
	v_lshrrev_b32_e32 v0, s1, v0
	v_mul_lo_u32 v0, v0, s11
	s_delay_alu instid0(VALU_DEP_1) | instskip(NEXT) | instid1(VALU_DEP_1)
	v_sub_nc_u32_e32 v0, v4, v0
	v_mad_u32 v2, v0, s14, v2
	v_mad_u32 v3, v0, s15, v3
.LBB69_152:
	global_load_b32 v0, v3, s[6:7]
	s_and_not1_b32 s1, s28, exec_lo
	s_mov_b32 s24, exec_lo
	s_wait_loadcnt 0x0
	v_cmp_le_i32_e32 vcc_lo, s36, v0
	v_cmp_gt_i32_e64 s0, s37, v0
	s_and_b32 s0, vcc_lo, s0
	s_delay_alu instid0(SALU_CYCLE_1) | instskip(NEXT) | instid1(SALU_CYCLE_1)
	s_and_b32 s0, s38, s0
	s_xor_b32 s0, s0, -1
	s_delay_alu instid0(SALU_CYCLE_1) | instskip(NEXT) | instid1(SALU_CYCLE_1)
	s_and_b32 s0, s0, exec_lo
	s_or_b32 s0, s1, s0
.LBB69_153:
	s_wait_xcnt 0x0
	s_or_b32 exec_lo, exec_lo, s40
	s_delay_alu instid0(SALU_CYCLE_1)
	s_and_not1_b32 s1, s28, exec_lo
	s_and_b32 s0, s0, exec_lo
	s_and_b32 s24, s24, exec_lo
	s_or_b32 s28, s1, s0
.LBB69_154:
	s_or_b32 exec_lo, exec_lo, s29
	s_delay_alu instid0(SALU_CYCLE_1)
	s_and_not1_b32 s0, s44, exec_lo
	s_and_b32 s1, s28, exec_lo
	s_and_b32 s24, s24, exec_lo
	s_or_b32 s44, s0, s1
.LBB69_155:
	s_or_b32 exec_lo, exec_lo, s45
	s_delay_alu instid0(SALU_CYCLE_1)
	s_and_not1_b32 s0, s9, exec_lo
	s_and_b32 s1, s44, exec_lo
	s_and_b32 s19, s24, exec_lo
	s_or_b32 s9, s0, s1
	s_or_b32 exec_lo, exec_lo, s43
	s_mov_b32 s0, 0
	s_and_saveexec_b32 s1, s9
	s_cbranch_execz .LBB69_28
.LBB69_156:
	s_mov_b32 s0, exec_lo
	s_and_not1_b32 s19, s19, exec_lo
	s_trap 2
	s_or_b32 exec_lo, exec_lo, s1
	s_and_saveexec_b32 s1, s19
	s_delay_alu instid0(SALU_CYCLE_1)
	s_xor_b32 s1, exec_lo, s1
	s_cbranch_execnz .LBB69_29
	s_branch .LBB69_30
.LBB69_157:
	s_or_b32 s1, s10, exec_lo
	s_trap 2
	s_or_saveexec_b32 s2, s0
	s_mov_b32 s0, 0
	s_xor_b32 exec_lo, exec_lo, s2
	s_cbranch_execnz .LBB69_93
	s_branch .LBB69_101
.LBB69_158:
	s_or_b32 s3, s1, exec_lo
	s_trap 2
	s_or_saveexec_b32 s9, s0
	s_mov_b32 s0, 0
	s_xor_b32 exec_lo, exec_lo, s9
	s_cbranch_execnz .LBB69_95
	s_branch .LBB69_100
.LBB69_159:
	s_or_b32 s13, s3, exec_lo
	s_trap 2
	s_or_saveexec_b32 s14, s0
	s_mov_b32 s0, 0
	s_xor_b32 exec_lo, exec_lo, s14
	s_cbranch_execnz .LBB69_97
	s_branch .LBB69_99
.LBB69_160:
	s_xor_b32 s6, exec_lo, -1
	s_or_b32 s0, s13, exec_lo
	s_trap 2
	s_branch .LBB69_98
	.section	.rodata,"a",@progbits
	.p2align	6, 0x0
	.amdhsa_kernel _ZN2at6native32elementwise_kernel_manual_unrollILi128ELi4EZNS0_22gpu_kernel_impl_nocastIZZZNS0_12_GLOBAL__N_142_validate_compressed_sparse_indices_kernelILNS3_8CDimNameE1ENS3_18CUDAKernelLauncherENS3_14EmptyVecKernelENS3_8DummyVecELm8EEEvRKNS_6TensorESB_lllENKUlvE0_clEvENKUlvE_clEvEUliE_EEvRNS_18TensorIteratorBaseERKT_EUlibE_EEviT1_
		.amdhsa_group_segment_fixed_size 0
		.amdhsa_private_segment_fixed_size 0
		.amdhsa_kernarg_size 368
		.amdhsa_user_sgpr_count 2
		.amdhsa_user_sgpr_dispatch_ptr 0
		.amdhsa_user_sgpr_queue_ptr 0
		.amdhsa_user_sgpr_kernarg_segment_ptr 1
		.amdhsa_user_sgpr_dispatch_id 0
		.amdhsa_user_sgpr_kernarg_preload_length 0
		.amdhsa_user_sgpr_kernarg_preload_offset 0
		.amdhsa_user_sgpr_private_segment_size 0
		.amdhsa_wavefront_size32 1
		.amdhsa_uses_dynamic_stack 0
		.amdhsa_enable_private_segment 0
		.amdhsa_system_sgpr_workgroup_id_x 1
		.amdhsa_system_sgpr_workgroup_id_y 0
		.amdhsa_system_sgpr_workgroup_id_z 0
		.amdhsa_system_sgpr_workgroup_info 0
		.amdhsa_system_vgpr_workitem_id 0
		.amdhsa_next_free_vgpr 15
		.amdhsa_next_free_sgpr 68
		.amdhsa_named_barrier_count 0
		.amdhsa_reserve_vcc 1
		.amdhsa_float_round_mode_32 0
		.amdhsa_float_round_mode_16_64 0
		.amdhsa_float_denorm_mode_32 3
		.amdhsa_float_denorm_mode_16_64 3
		.amdhsa_fp16_overflow 0
		.amdhsa_memory_ordered 1
		.amdhsa_forward_progress 1
		.amdhsa_inst_pref_size 57
		.amdhsa_round_robin_scheduling 0
		.amdhsa_exception_fp_ieee_invalid_op 0
		.amdhsa_exception_fp_denorm_src 0
		.amdhsa_exception_fp_ieee_div_zero 0
		.amdhsa_exception_fp_ieee_overflow 0
		.amdhsa_exception_fp_ieee_underflow 0
		.amdhsa_exception_fp_ieee_inexact 0
		.amdhsa_exception_int_div_zero 0
	.end_amdhsa_kernel
	.section	.text._ZN2at6native32elementwise_kernel_manual_unrollILi128ELi4EZNS0_22gpu_kernel_impl_nocastIZZZNS0_12_GLOBAL__N_142_validate_compressed_sparse_indices_kernelILNS3_8CDimNameE1ENS3_18CUDAKernelLauncherENS3_14EmptyVecKernelENS3_8DummyVecELm8EEEvRKNS_6TensorESB_lllENKUlvE0_clEvENKUlvE_clEvEUliE_EEvRNS_18TensorIteratorBaseERKT_EUlibE_EEviT1_,"axG",@progbits,_ZN2at6native32elementwise_kernel_manual_unrollILi128ELi4EZNS0_22gpu_kernel_impl_nocastIZZZNS0_12_GLOBAL__N_142_validate_compressed_sparse_indices_kernelILNS3_8CDimNameE1ENS3_18CUDAKernelLauncherENS3_14EmptyVecKernelENS3_8DummyVecELm8EEEvRKNS_6TensorESB_lllENKUlvE0_clEvENKUlvE_clEvEUliE_EEvRNS_18TensorIteratorBaseERKT_EUlibE_EEviT1_,comdat
.Lfunc_end69:
	.size	_ZN2at6native32elementwise_kernel_manual_unrollILi128ELi4EZNS0_22gpu_kernel_impl_nocastIZZZNS0_12_GLOBAL__N_142_validate_compressed_sparse_indices_kernelILNS3_8CDimNameE1ENS3_18CUDAKernelLauncherENS3_14EmptyVecKernelENS3_8DummyVecELm8EEEvRKNS_6TensorESB_lllENKUlvE0_clEvENKUlvE_clEvEUliE_EEvRNS_18TensorIteratorBaseERKT_EUlibE_EEviT1_, .Lfunc_end69-_ZN2at6native32elementwise_kernel_manual_unrollILi128ELi4EZNS0_22gpu_kernel_impl_nocastIZZZNS0_12_GLOBAL__N_142_validate_compressed_sparse_indices_kernelILNS3_8CDimNameE1ENS3_18CUDAKernelLauncherENS3_14EmptyVecKernelENS3_8DummyVecELm8EEEvRKNS_6TensorESB_lllENKUlvE0_clEvENKUlvE_clEvEUliE_EEvRNS_18TensorIteratorBaseERKT_EUlibE_EEviT1_
                                        ; -- End function
	.set _ZN2at6native32elementwise_kernel_manual_unrollILi128ELi4EZNS0_22gpu_kernel_impl_nocastIZZZNS0_12_GLOBAL__N_142_validate_compressed_sparse_indices_kernelILNS3_8CDimNameE1ENS3_18CUDAKernelLauncherENS3_14EmptyVecKernelENS3_8DummyVecELm8EEEvRKNS_6TensorESB_lllENKUlvE0_clEvENKUlvE_clEvEUliE_EEvRNS_18TensorIteratorBaseERKT_EUlibE_EEviT1_.num_vgpr, 15
	.set _ZN2at6native32elementwise_kernel_manual_unrollILi128ELi4EZNS0_22gpu_kernel_impl_nocastIZZZNS0_12_GLOBAL__N_142_validate_compressed_sparse_indices_kernelILNS3_8CDimNameE1ENS3_18CUDAKernelLauncherENS3_14EmptyVecKernelENS3_8DummyVecELm8EEEvRKNS_6TensorESB_lllENKUlvE0_clEvENKUlvE_clEvEUliE_EEvRNS_18TensorIteratorBaseERKT_EUlibE_EEviT1_.num_agpr, 0
	.set _ZN2at6native32elementwise_kernel_manual_unrollILi128ELi4EZNS0_22gpu_kernel_impl_nocastIZZZNS0_12_GLOBAL__N_142_validate_compressed_sparse_indices_kernelILNS3_8CDimNameE1ENS3_18CUDAKernelLauncherENS3_14EmptyVecKernelENS3_8DummyVecELm8EEEvRKNS_6TensorESB_lllENKUlvE0_clEvENKUlvE_clEvEUliE_EEvRNS_18TensorIteratorBaseERKT_EUlibE_EEviT1_.numbered_sgpr, 68
	.set _ZN2at6native32elementwise_kernel_manual_unrollILi128ELi4EZNS0_22gpu_kernel_impl_nocastIZZZNS0_12_GLOBAL__N_142_validate_compressed_sparse_indices_kernelILNS3_8CDimNameE1ENS3_18CUDAKernelLauncherENS3_14EmptyVecKernelENS3_8DummyVecELm8EEEvRKNS_6TensorESB_lllENKUlvE0_clEvENKUlvE_clEvEUliE_EEvRNS_18TensorIteratorBaseERKT_EUlibE_EEviT1_.num_named_barrier, 0
	.set _ZN2at6native32elementwise_kernel_manual_unrollILi128ELi4EZNS0_22gpu_kernel_impl_nocastIZZZNS0_12_GLOBAL__N_142_validate_compressed_sparse_indices_kernelILNS3_8CDimNameE1ENS3_18CUDAKernelLauncherENS3_14EmptyVecKernelENS3_8DummyVecELm8EEEvRKNS_6TensorESB_lllENKUlvE0_clEvENKUlvE_clEvEUliE_EEvRNS_18TensorIteratorBaseERKT_EUlibE_EEviT1_.private_seg_size, 0
	.set _ZN2at6native32elementwise_kernel_manual_unrollILi128ELi4EZNS0_22gpu_kernel_impl_nocastIZZZNS0_12_GLOBAL__N_142_validate_compressed_sparse_indices_kernelILNS3_8CDimNameE1ENS3_18CUDAKernelLauncherENS3_14EmptyVecKernelENS3_8DummyVecELm8EEEvRKNS_6TensorESB_lllENKUlvE0_clEvENKUlvE_clEvEUliE_EEvRNS_18TensorIteratorBaseERKT_EUlibE_EEviT1_.uses_vcc, 1
	.set _ZN2at6native32elementwise_kernel_manual_unrollILi128ELi4EZNS0_22gpu_kernel_impl_nocastIZZZNS0_12_GLOBAL__N_142_validate_compressed_sparse_indices_kernelILNS3_8CDimNameE1ENS3_18CUDAKernelLauncherENS3_14EmptyVecKernelENS3_8DummyVecELm8EEEvRKNS_6TensorESB_lllENKUlvE0_clEvENKUlvE_clEvEUliE_EEvRNS_18TensorIteratorBaseERKT_EUlibE_EEviT1_.uses_flat_scratch, 0
	.set _ZN2at6native32elementwise_kernel_manual_unrollILi128ELi4EZNS0_22gpu_kernel_impl_nocastIZZZNS0_12_GLOBAL__N_142_validate_compressed_sparse_indices_kernelILNS3_8CDimNameE1ENS3_18CUDAKernelLauncherENS3_14EmptyVecKernelENS3_8DummyVecELm8EEEvRKNS_6TensorESB_lllENKUlvE0_clEvENKUlvE_clEvEUliE_EEvRNS_18TensorIteratorBaseERKT_EUlibE_EEviT1_.has_dyn_sized_stack, 0
	.set _ZN2at6native32elementwise_kernel_manual_unrollILi128ELi4EZNS0_22gpu_kernel_impl_nocastIZZZNS0_12_GLOBAL__N_142_validate_compressed_sparse_indices_kernelILNS3_8CDimNameE1ENS3_18CUDAKernelLauncherENS3_14EmptyVecKernelENS3_8DummyVecELm8EEEvRKNS_6TensorESB_lllENKUlvE0_clEvENKUlvE_clEvEUliE_EEvRNS_18TensorIteratorBaseERKT_EUlibE_EEviT1_.has_recursion, 0
	.set _ZN2at6native32elementwise_kernel_manual_unrollILi128ELi4EZNS0_22gpu_kernel_impl_nocastIZZZNS0_12_GLOBAL__N_142_validate_compressed_sparse_indices_kernelILNS3_8CDimNameE1ENS3_18CUDAKernelLauncherENS3_14EmptyVecKernelENS3_8DummyVecELm8EEEvRKNS_6TensorESB_lllENKUlvE0_clEvENKUlvE_clEvEUliE_EEvRNS_18TensorIteratorBaseERKT_EUlibE_EEviT1_.has_indirect_call, 0
	.section	.AMDGPU.csdata,"",@progbits
; Kernel info:
; codeLenInByte = 7196
; TotalNumSgprs: 70
; NumVgprs: 15
; ScratchSize: 0
; MemoryBound: 0
; FloatMode: 240
; IeeeMode: 1
; LDSByteSize: 0 bytes/workgroup (compile time only)
; SGPRBlocks: 0
; VGPRBlocks: 0
; NumSGPRsForWavesPerEU: 70
; NumVGPRsForWavesPerEU: 15
; NamedBarCnt: 0
; Occupancy: 16
; WaveLimiterHint : 1
; COMPUTE_PGM_RSRC2:SCRATCH_EN: 0
; COMPUTE_PGM_RSRC2:USER_SGPR: 2
; COMPUTE_PGM_RSRC2:TRAP_HANDLER: 0
; COMPUTE_PGM_RSRC2:TGID_X_EN: 1
; COMPUTE_PGM_RSRC2:TGID_Y_EN: 0
; COMPUTE_PGM_RSRC2:TGID_Z_EN: 0
; COMPUTE_PGM_RSRC2:TIDIG_COMP_CNT: 0
	.section	.text._ZN2at6native32elementwise_kernel_manual_unrollILi128ELi4EZNS0_15gpu_kernel_implIZZZNS0_12_GLOBAL__N_142_validate_compressed_sparse_indices_kernelILNS3_8CDimNameE1ENS3_18CUDAKernelLauncherENS3_14EmptyVecKernelENS3_8DummyVecELm8EEEvRKNS_6TensorESB_lllENKUlvE0_clEvENKUlvE_clEvEUliE_EEvRNS_18TensorIteratorBaseERKT_EUlibE_EEviT1_,"axG",@progbits,_ZN2at6native32elementwise_kernel_manual_unrollILi128ELi4EZNS0_15gpu_kernel_implIZZZNS0_12_GLOBAL__N_142_validate_compressed_sparse_indices_kernelILNS3_8CDimNameE1ENS3_18CUDAKernelLauncherENS3_14EmptyVecKernelENS3_8DummyVecELm8EEEvRKNS_6TensorESB_lllENKUlvE0_clEvENKUlvE_clEvEUliE_EEvRNS_18TensorIteratorBaseERKT_EUlibE_EEviT1_,comdat
	.globl	_ZN2at6native32elementwise_kernel_manual_unrollILi128ELi4EZNS0_15gpu_kernel_implIZZZNS0_12_GLOBAL__N_142_validate_compressed_sparse_indices_kernelILNS3_8CDimNameE1ENS3_18CUDAKernelLauncherENS3_14EmptyVecKernelENS3_8DummyVecELm8EEEvRKNS_6TensorESB_lllENKUlvE0_clEvENKUlvE_clEvEUliE_EEvRNS_18TensorIteratorBaseERKT_EUlibE_EEviT1_ ; -- Begin function _ZN2at6native32elementwise_kernel_manual_unrollILi128ELi4EZNS0_15gpu_kernel_implIZZZNS0_12_GLOBAL__N_142_validate_compressed_sparse_indices_kernelILNS3_8CDimNameE1ENS3_18CUDAKernelLauncherENS3_14EmptyVecKernelENS3_8DummyVecELm8EEEvRKNS_6TensorESB_lllENKUlvE0_clEvENKUlvE_clEvEUliE_EEvRNS_18TensorIteratorBaseERKT_EUlibE_EEviT1_
	.p2align	8
	.type	_ZN2at6native32elementwise_kernel_manual_unrollILi128ELi4EZNS0_15gpu_kernel_implIZZZNS0_12_GLOBAL__N_142_validate_compressed_sparse_indices_kernelILNS3_8CDimNameE1ENS3_18CUDAKernelLauncherENS3_14EmptyVecKernelENS3_8DummyVecELm8EEEvRKNS_6TensorESB_lllENKUlvE0_clEvENKUlvE_clEvEUliE_EEvRNS_18TensorIteratorBaseERKT_EUlibE_EEviT1_,@function
_ZN2at6native32elementwise_kernel_manual_unrollILi128ELi4EZNS0_15gpu_kernel_implIZZZNS0_12_GLOBAL__N_142_validate_compressed_sparse_indices_kernelILNS3_8CDimNameE1ENS3_18CUDAKernelLauncherENS3_14EmptyVecKernelENS3_8DummyVecELm8EEEvRKNS_6TensorESB_lllENKUlvE0_clEvENKUlvE_clEvEUliE_EEvRNS_18TensorIteratorBaseERKT_EUlibE_EEviT1_: ; @_ZN2at6native32elementwise_kernel_manual_unrollILi128ELi4EZNS0_15gpu_kernel_implIZZZNS0_12_GLOBAL__N_142_validate_compressed_sparse_indices_kernelILNS3_8CDimNameE1ENS3_18CUDAKernelLauncherENS3_14EmptyVecKernelENS3_8DummyVecELm8EEEvRKNS_6TensorESB_lllENKUlvE0_clEvENKUlvE_clEvEUliE_EEvRNS_18TensorIteratorBaseERKT_EUlibE_EEviT1_
; %bb.0:
	s_clause 0x1
	s_load_b96 s[12:14], s[0:1], 0x28
	s_load_b96 s[8:10], s[0:1], 0x18
	s_bfe_u32 s2, ttmp6, 0x4000c
	s_wait_kmcnt 0x0
	s_clause 0x1
	s_load_b32 s13, s[0:1], 0x0
	s_load_b128 s[4:7], s[0:1], 0x8
	s_add_co_i32 s2, s2, 1
	s_and_b32 s3, ttmp6, 15
	s_wait_xcnt 0x0
	s_mul_i32 s0, ttmp9, s2
	s_getreg_b32 s11, hwreg(HW_REG_IB_STS2, 6, 4)
	s_add_co_i32 s3, s3, s0
	s_mov_b32 s1, 0
	s_bfe_u32 s2, s14, 0x80008
	s_cmp_eq_u32 s11, 0
	s_mov_b32 s11, 0
	s_cselect_b32 s0, ttmp9, s3
	s_delay_alu instid0(SALU_CYCLE_1) | instskip(SKIP_1) | instid1(VALU_DEP_1)
	v_lshl_or_b32 v4, s0, 9, v0
	s_mov_b32 s0, exec_lo
	v_or_b32_e32 v0, 0x180, v4
	s_wait_kmcnt 0x0
	s_delay_alu instid0(VALU_DEP_1)
	v_cmpx_le_i32_e64 s13, v0
	s_xor_b32 s3, exec_lo, s0
	s_cbranch_execz .LBB70_894
; %bb.1:
	s_get_pc_i64 s[22:23]
	s_add_nc_u64 s[22:23], s[22:23], .str.5@rel64+4
	s_mov_b32 s21, -1
	s_cmp_lg_u64 s[22:23], 0
	s_mov_b32 s19, 0
	s_mov_b32 s17, 0
	;; [unrolled: 1-line block ×3, first 2 shown]
	s_cselect_b32 s11, -1, 0
	s_mov_b32 s15, 0
	s_mov_b32 s18, exec_lo
	v_cmpx_gt_i32_e64 s13, v4
	s_cbranch_execz .LBB70_221
; %bb.2:
	v_mul_lo_u32 v0, v4, s9
	s_and_b32 s0, 0xffff, s2
	s_delay_alu instid0(SALU_CYCLE_1) | instskip(NEXT) | instid1(VALU_DEP_1)
	s_cmp_lt_i32 s0, 11
	v_ashrrev_i32_e32 v1, 31, v0
	s_delay_alu instid0(VALU_DEP_1)
	v_add_nc_u64_e32 v[0:1], s[6:7], v[0:1]
	s_cbranch_scc1 .LBB70_9
; %bb.3:
	s_cmp_gt_i32 s0, 25
	s_cbranch_scc0 .LBB70_19
; %bb.4:
	s_cmp_gt_i32 s0, 28
	s_cbranch_scc0 .LBB70_23
	;; [unrolled: 3-line block ×4, first 2 shown]
; %bb.7:
	s_cmp_eq_u32 s0, 46
	s_cbranch_scc0 .LBB70_29
; %bb.8:
	global_load_b32 v2, v[0:1], off
	s_mov_b32 s15, -1
	s_wait_loadcnt 0x0
	v_lshlrev_b32_e32 v2, 16, v2
	s_delay_alu instid0(VALU_DEP_1)
	v_cvt_i32_f32_e32 v2, v2
	s_branch .LBB70_31
.LBB70_9:
                                        ; implicit-def: $vgpr2
	s_cbranch_execnz .LBB70_91
.LBB70_10:
	s_and_not1_b32 vcc_lo, exec_lo, s15
	s_cbranch_vccnz .LBB70_138
.LBB70_11:
	s_wait_loadcnt 0x0
	s_delay_alu instid0(VALU_DEP_1)
	v_cmp_le_i32_e32 vcc_lo, s10, v2
	v_cmp_gt_i32_e64 s0, s12, v2
	s_mov_b32 s16, -1
	s_mov_b32 s20, 0
	s_mov_b32 s15, 0
	s_and_b32 s0, vcc_lo, s0
	s_delay_alu instid0(SALU_CYCLE_1) | instskip(NEXT) | instid1(SALU_CYCLE_1)
	s_and_b32 s21, s11, s0
	s_and_saveexec_b32 s0, s21
	s_cbranch_execz .LBB70_219
; %bb.12:
	v_mul_lo_u32 v0, v4, s8
	s_and_b32 s16, s14, 0xff
	s_delay_alu instid0(SALU_CYCLE_1) | instskip(NEXT) | instid1(VALU_DEP_1)
	s_cmp_lt_i32 s16, 11
	v_ashrrev_i32_e32 v1, 31, v0
	s_delay_alu instid0(VALU_DEP_1)
	v_add_nc_u64_e32 v[0:1], s[4:5], v[0:1]
	s_cbranch_scc1 .LBB70_20
; %bb.13:
	s_and_b32 s20, 0xffff, s16
	s_delay_alu instid0(SALU_CYCLE_1)
	s_cmp_gt_i32 s20, 25
	s_cbranch_scc0 .LBB70_24
; %bb.14:
	s_cmp_gt_i32 s20, 28
	s_cbranch_scc0 .LBB70_26
; %bb.15:
	;; [unrolled: 3-line block ×4, first 2 shown]
	s_mov_b32 s22, 0
	s_mov_b32 s15, -1
	s_cmp_eq_u32 s20, 46
	s_mov_b32 s21, 0
	s_cbranch_scc0 .LBB70_140
; %bb.18:
	v_mov_b32_e32 v2, 0
	s_mov_b32 s21, -1
	s_mov_b32 s15, 0
	global_store_b32 v[0:1], v2, off
	s_branch .LBB70_140
.LBB70_19:
                                        ; implicit-def: $vgpr2
	s_cbranch_execnz .LBB70_58
	s_branch .LBB70_90
.LBB70_20:
	s_mov_b32 s21, 0
	s_cbranch_execnz .LBB70_179
.LBB70_21:
	s_and_not1_b32 vcc_lo, exec_lo, s21
	s_cbranch_vccnz .LBB70_217
.LBB70_22:
	v_add_nc_u32_e32 v4, 0x80, v4
	s_mov_b32 s20, -1
	s_branch .LBB70_218
.LBB70_23:
	s_mov_b32 s16, -1
                                        ; implicit-def: $vgpr2
	s_branch .LBB70_41
.LBB70_24:
	s_mov_b32 s22, -1
	s_mov_b32 s21, 0
	s_branch .LBB70_159
.LBB70_25:
	s_mov_b32 s16, -1
                                        ; implicit-def: $vgpr2
	s_branch .LBB70_36
.LBB70_26:
	s_mov_b32 s22, -1
	s_mov_b32 s21, 0
	s_branch .LBB70_148
.LBB70_27:
	s_mov_b32 s16, -1
	s_branch .LBB70_30
.LBB70_28:
	s_mov_b32 s22, -1
	s_mov_b32 s21, 0
	s_branch .LBB70_144
.LBB70_29:
	s_mov_b32 s17, -1
.LBB70_30:
                                        ; implicit-def: $vgpr2
.LBB70_31:
	s_and_b32 vcc_lo, exec_lo, s16
	s_cbranch_vccz .LBB70_35
; %bb.32:
	s_cmp_eq_u32 s0, 44
	s_cbranch_scc0 .LBB70_34
; %bb.33:
	global_load_u8 v2, v[0:1], off
	s_mov_b32 s17, 0
	s_mov_b32 s15, -1
	s_wait_loadcnt 0x0
	v_lshlrev_b32_e32 v3, 23, v2
	v_cmp_ne_u32_e32 vcc_lo, 0, v2
	s_delay_alu instid0(VALU_DEP_2) | instskip(NEXT) | instid1(VALU_DEP_1)
	v_cvt_i32_f32_e32 v3, v3
	v_cndmask_b32_e32 v2, 0, v3, vcc_lo
	s_branch .LBB70_35
.LBB70_34:
	s_mov_b32 s17, -1
                                        ; implicit-def: $vgpr2
.LBB70_35:
	s_mov_b32 s16, 0
.LBB70_36:
	s_delay_alu instid0(SALU_CYCLE_1)
	s_and_b32 vcc_lo, exec_lo, s16
	s_cbranch_vccz .LBB70_40
; %bb.37:
	s_cmp_eq_u32 s0, 29
	s_cbranch_scc0 .LBB70_39
; %bb.38:
	global_load_b32 v2, v[0:1], off
	s_mov_b32 s15, -1
	s_mov_b32 s17, 0
	s_branch .LBB70_40
.LBB70_39:
	s_mov_b32 s17, -1
                                        ; implicit-def: $vgpr2
.LBB70_40:
	s_mov_b32 s16, 0
.LBB70_41:
	s_delay_alu instid0(SALU_CYCLE_1)
	s_and_b32 vcc_lo, exec_lo, s16
	s_cbranch_vccz .LBB70_57
; %bb.42:
	s_cmp_lt_i32 s0, 27
	s_cbranch_scc1 .LBB70_45
; %bb.43:
	s_cmp_gt_i32 s0, 27
	s_cbranch_scc0 .LBB70_46
; %bb.44:
	s_wait_loadcnt 0x0
	global_load_b32 v2, v[0:1], off
	s_mov_b32 s15, 0
	s_branch .LBB70_47
.LBB70_45:
	s_mov_b32 s15, -1
                                        ; implicit-def: $vgpr2
	s_branch .LBB70_50
.LBB70_46:
	s_mov_b32 s15, -1
                                        ; implicit-def: $vgpr2
.LBB70_47:
	s_delay_alu instid0(SALU_CYCLE_1)
	s_and_not1_b32 vcc_lo, exec_lo, s15
	s_cbranch_vccnz .LBB70_49
; %bb.48:
	s_wait_loadcnt 0x0
	global_load_u16 v2, v[0:1], off
.LBB70_49:
	s_mov_b32 s15, 0
.LBB70_50:
	s_delay_alu instid0(SALU_CYCLE_1)
	s_and_not1_b32 vcc_lo, exec_lo, s15
	s_cbranch_vccnz .LBB70_56
; %bb.51:
	global_load_u8 v3, v[0:1], off
	s_mov_b32 s16, 0
	s_mov_b32 s15, exec_lo
	s_wait_loadcnt 0x0
	v_cmpx_lt_i16_e32 0x7f, v3
	s_xor_b32 s15, exec_lo, s15
	s_cbranch_execz .LBB70_67
; %bb.52:
	v_cmp_ne_u16_e32 vcc_lo, 0x80, v3
	s_and_b32 s16, vcc_lo, exec_lo
	s_and_not1_saveexec_b32 s15, s15
	s_cbranch_execnz .LBB70_68
.LBB70_53:
	s_or_b32 exec_lo, exec_lo, s15
	v_mov_b32_e32 v2, 0
	s_and_saveexec_b32 s15, s16
	s_cbranch_execz .LBB70_55
.LBB70_54:
	v_and_b32_e32 v2, 0xffff, v3
	s_delay_alu instid0(VALU_DEP_1) | instskip(SKIP_1) | instid1(VALU_DEP_2)
	v_dual_lshlrev_b32 v3, 24, v3 :: v_dual_bitop2_b32 v5, 7, v2 bitop3:0x40
	v_bfe_u32 v8, v2, 3, 4
	v_and_b32_e32 v3, 0x80000000, v3
	s_delay_alu instid0(VALU_DEP_3) | instskip(NEXT) | instid1(VALU_DEP_3)
	v_clz_i32_u32_e32 v6, v5
	v_cmp_eq_u32_e32 vcc_lo, 0, v8
	s_delay_alu instid0(VALU_DEP_2) | instskip(NEXT) | instid1(VALU_DEP_1)
	v_min_u32_e32 v6, 32, v6
	v_subrev_nc_u32_e32 v7, 28, v6
	v_sub_nc_u32_e32 v6, 29, v6
	s_delay_alu instid0(VALU_DEP_2) | instskip(NEXT) | instid1(VALU_DEP_2)
	v_lshlrev_b32_e32 v2, v7, v2
	v_cndmask_b32_e32 v6, v8, v6, vcc_lo
	s_delay_alu instid0(VALU_DEP_2) | instskip(NEXT) | instid1(VALU_DEP_1)
	v_and_b32_e32 v2, 7, v2
	v_cndmask_b32_e32 v2, v5, v2, vcc_lo
	s_delay_alu instid0(VALU_DEP_3) | instskip(NEXT) | instid1(VALU_DEP_2)
	v_lshl_add_u32 v5, v6, 23, 0x3b800000
	v_lshlrev_b32_e32 v2, 20, v2
	s_delay_alu instid0(VALU_DEP_1) | instskip(NEXT) | instid1(VALU_DEP_1)
	v_or3_b32 v2, v3, v5, v2
	v_cvt_i32_f32_e32 v2, v2
.LBB70_55:
	s_or_b32 exec_lo, exec_lo, s15
.LBB70_56:
	s_mov_b32 s15, -1
.LBB70_57:
	s_branch .LBB70_90
.LBB70_58:
	s_cmp_gt_i32 s0, 22
	s_cbranch_scc0 .LBB70_66
; %bb.59:
	s_cmp_lt_i32 s0, 24
	s_cbranch_scc1 .LBB70_69
; %bb.60:
	s_cmp_gt_i32 s0, 24
	s_cbranch_scc0 .LBB70_70
; %bb.61:
	global_load_u8 v3, v[0:1], off
	s_mov_b32 s16, 0
	s_mov_b32 s15, exec_lo
	s_wait_loadcnt 0x0
	v_cmpx_lt_i16_e32 0x7f, v3
	s_xor_b32 s15, exec_lo, s15
	s_cbranch_execz .LBB70_82
; %bb.62:
	v_cmp_ne_u16_e32 vcc_lo, 0x80, v3
	s_and_b32 s16, vcc_lo, exec_lo
	s_and_not1_saveexec_b32 s15, s15
	s_cbranch_execnz .LBB70_83
.LBB70_63:
	s_or_b32 exec_lo, exec_lo, s15
	v_mov_b32_e32 v2, 0
	s_and_saveexec_b32 s15, s16
	s_cbranch_execz .LBB70_65
.LBB70_64:
	v_and_b32_e32 v2, 0xffff, v3
	s_delay_alu instid0(VALU_DEP_1) | instskip(SKIP_1) | instid1(VALU_DEP_2)
	v_dual_lshlrev_b32 v3, 24, v3 :: v_dual_bitop2_b32 v5, 3, v2 bitop3:0x40
	v_bfe_u32 v8, v2, 2, 5
	v_and_b32_e32 v3, 0x80000000, v3
	s_delay_alu instid0(VALU_DEP_3) | instskip(NEXT) | instid1(VALU_DEP_3)
	v_clz_i32_u32_e32 v6, v5
	v_cmp_eq_u32_e32 vcc_lo, 0, v8
	s_delay_alu instid0(VALU_DEP_2) | instskip(NEXT) | instid1(VALU_DEP_1)
	v_min_u32_e32 v6, 32, v6
	v_subrev_nc_u32_e32 v7, 29, v6
	v_sub_nc_u32_e32 v6, 30, v6
	s_delay_alu instid0(VALU_DEP_2) | instskip(NEXT) | instid1(VALU_DEP_2)
	v_lshlrev_b32_e32 v2, v7, v2
	v_cndmask_b32_e32 v6, v8, v6, vcc_lo
	s_delay_alu instid0(VALU_DEP_2) | instskip(NEXT) | instid1(VALU_DEP_1)
	v_and_b32_e32 v2, 3, v2
	v_cndmask_b32_e32 v2, v5, v2, vcc_lo
	s_delay_alu instid0(VALU_DEP_3) | instskip(NEXT) | instid1(VALU_DEP_2)
	v_lshl_add_u32 v5, v6, 23, 0x37800000
	v_lshlrev_b32_e32 v2, 21, v2
	s_delay_alu instid0(VALU_DEP_1) | instskip(NEXT) | instid1(VALU_DEP_1)
	v_or3_b32 v2, v3, v5, v2
	v_cvt_i32_f32_e32 v2, v2
.LBB70_65:
	s_or_b32 exec_lo, exec_lo, s15
	s_mov_b32 s15, 0
	s_branch .LBB70_71
.LBB70_66:
	s_mov_b32 s16, -1
                                        ; implicit-def: $vgpr2
	s_branch .LBB70_77
.LBB70_67:
	s_and_not1_saveexec_b32 s15, s15
	s_cbranch_execz .LBB70_53
.LBB70_68:
	v_cmp_ne_u16_e32 vcc_lo, 0, v3
	s_and_not1_b32 s16, s16, exec_lo
	s_and_b32 s20, vcc_lo, exec_lo
	s_delay_alu instid0(SALU_CYCLE_1)
	s_or_b32 s16, s16, s20
	s_or_b32 exec_lo, exec_lo, s15
	v_mov_b32_e32 v2, 0
	s_and_saveexec_b32 s15, s16
	s_cbranch_execnz .LBB70_54
	s_branch .LBB70_55
.LBB70_69:
	s_mov_b32 s15, -1
                                        ; implicit-def: $vgpr2
	s_branch .LBB70_74
.LBB70_70:
	s_mov_b32 s15, -1
                                        ; implicit-def: $vgpr2
.LBB70_71:
	s_delay_alu instid0(SALU_CYCLE_1)
	s_and_b32 vcc_lo, exec_lo, s15
	s_cbranch_vccz .LBB70_73
; %bb.72:
	s_wait_loadcnt 0x0
	global_load_u8 v2, v[0:1], off
	s_wait_loadcnt 0x0
	v_lshlrev_b32_e32 v2, 24, v2
	s_delay_alu instid0(VALU_DEP_1) | instskip(NEXT) | instid1(VALU_DEP_1)
	v_and_b32_e32 v3, 0x7f000000, v2
	v_clz_i32_u32_e32 v5, v3
	v_add_nc_u32_e32 v7, 0x1000000, v3
	v_cmp_ne_u32_e32 vcc_lo, 0, v3
	s_delay_alu instid0(VALU_DEP_3) | instskip(NEXT) | instid1(VALU_DEP_1)
	v_min_u32_e32 v5, 32, v5
	v_sub_nc_u32_e64 v5, v5, 4 clamp
	s_delay_alu instid0(VALU_DEP_1) | instskip(NEXT) | instid1(VALU_DEP_1)
	v_dual_lshlrev_b32 v6, v5, v3 :: v_dual_lshlrev_b32 v5, 23, v5
	v_lshrrev_b32_e32 v6, 4, v6
	s_delay_alu instid0(VALU_DEP_1) | instskip(NEXT) | instid1(VALU_DEP_1)
	v_dual_sub_nc_u32 v5, v6, v5 :: v_dual_ashrrev_i32 v6, 8, v7
	v_add_nc_u32_e32 v5, 0x3c000000, v5
	s_delay_alu instid0(VALU_DEP_1) | instskip(NEXT) | instid1(VALU_DEP_1)
	v_and_or_b32 v5, 0x7f800000, v6, v5
	v_cndmask_b32_e32 v3, 0, v5, vcc_lo
	s_delay_alu instid0(VALU_DEP_1) | instskip(NEXT) | instid1(VALU_DEP_1)
	v_and_or_b32 v2, 0x80000000, v2, v3
	v_cvt_i32_f32_e32 v2, v2
.LBB70_73:
	s_mov_b32 s15, 0
.LBB70_74:
	s_delay_alu instid0(SALU_CYCLE_1)
	s_and_not1_b32 vcc_lo, exec_lo, s15
	s_cbranch_vccnz .LBB70_76
; %bb.75:
	s_wait_loadcnt 0x0
	global_load_u8 v2, v[0:1], off
	s_wait_loadcnt 0x0
	v_lshlrev_b32_e32 v3, 25, v2
	v_lshlrev_b16 v2, 8, v2
	s_delay_alu instid0(VALU_DEP_2) | instskip(NEXT) | instid1(VALU_DEP_2)
	v_cmp_gt_u32_e32 vcc_lo, 0x8000000, v3
	v_and_or_b32 v6, 0x7f00, v2, 0.5
	v_lshrrev_b32_e32 v5, 4, v3
	v_bfe_i32 v2, v2, 0, 16
	s_delay_alu instid0(VALU_DEP_3) | instskip(NEXT) | instid1(VALU_DEP_3)
	v_add_f32_e32 v6, -0.5, v6
	v_or_b32_e32 v5, 0x70000000, v5
	s_delay_alu instid0(VALU_DEP_1) | instskip(NEXT) | instid1(VALU_DEP_1)
	v_mul_f32_e32 v5, 0x7800000, v5
	v_cndmask_b32_e32 v3, v5, v6, vcc_lo
	s_delay_alu instid0(VALU_DEP_1) | instskip(NEXT) | instid1(VALU_DEP_1)
	v_and_or_b32 v2, 0x80000000, v2, v3
	v_cvt_i32_f32_e32 v2, v2
.LBB70_76:
	s_mov_b32 s16, 0
	s_mov_b32 s15, -1
.LBB70_77:
	s_and_not1_b32 vcc_lo, exec_lo, s16
	s_cbranch_vccnz .LBB70_90
; %bb.78:
	s_cmp_gt_i32 s0, 14
	s_cbranch_scc0 .LBB70_81
; %bb.79:
	s_cmp_eq_u32 s0, 15
	s_cbranch_scc0 .LBB70_84
; %bb.80:
	s_wait_loadcnt 0x0
	global_load_u16 v2, v[0:1], off
	s_mov_b32 s15, -1
	s_mov_b32 s17, 0
	s_wait_loadcnt 0x0
	v_lshlrev_b32_e32 v2, 16, v2
	s_delay_alu instid0(VALU_DEP_1)
	v_cvt_i32_f32_e32 v2, v2
	s_branch .LBB70_85
.LBB70_81:
	s_mov_b32 s16, -1
                                        ; implicit-def: $vgpr2
	s_branch .LBB70_86
.LBB70_82:
	s_and_not1_saveexec_b32 s15, s15
	s_cbranch_execz .LBB70_63
.LBB70_83:
	v_cmp_ne_u16_e32 vcc_lo, 0, v3
	s_and_not1_b32 s16, s16, exec_lo
	s_and_b32 s20, vcc_lo, exec_lo
	s_delay_alu instid0(SALU_CYCLE_1)
	s_or_b32 s16, s16, s20
	s_or_b32 exec_lo, exec_lo, s15
	v_mov_b32_e32 v2, 0
	s_and_saveexec_b32 s15, s16
	s_cbranch_execnz .LBB70_64
	s_branch .LBB70_65
.LBB70_84:
	s_mov_b32 s17, -1
                                        ; implicit-def: $vgpr2
.LBB70_85:
	s_mov_b32 s16, 0
.LBB70_86:
	s_delay_alu instid0(SALU_CYCLE_1)
	s_and_b32 vcc_lo, exec_lo, s16
	s_cbranch_vccz .LBB70_90
; %bb.87:
	s_cmp_eq_u32 s0, 11
	s_cbranch_scc0 .LBB70_89
; %bb.88:
	s_wait_loadcnt 0x0
	global_load_u8 v2, v[0:1], off
	s_mov_b32 s17, 0
	s_mov_b32 s15, -1
	s_wait_loadcnt 0x0
	v_cmp_ne_u16_e32 vcc_lo, 0, v2
	v_cndmask_b32_e64 v2, 0, 1, vcc_lo
	s_branch .LBB70_90
.LBB70_89:
	s_mov_b32 s17, -1
                                        ; implicit-def: $vgpr2
.LBB70_90:
	s_branch .LBB70_10
.LBB70_91:
	s_cmp_lt_i32 s0, 5
	s_cbranch_scc1 .LBB70_96
; %bb.92:
	s_cmp_lt_i32 s0, 8
	s_cbranch_scc1 .LBB70_97
; %bb.93:
	;; [unrolled: 3-line block ×3, first 2 shown]
	s_cmp_gt_i32 s0, 9
	s_cbranch_scc0 .LBB70_99
; %bb.95:
	s_wait_loadcnt 0x0
	global_load_b64 v[2:3], v[0:1], off
	s_mov_b32 s15, 0
	s_wait_loadcnt 0x0
	v_cvt_i32_f64_e32 v2, v[2:3]
	s_branch .LBB70_100
.LBB70_96:
                                        ; implicit-def: $vgpr2
	s_branch .LBB70_118
.LBB70_97:
	s_mov_b32 s15, -1
                                        ; implicit-def: $vgpr2
	s_branch .LBB70_106
.LBB70_98:
	s_mov_b32 s15, -1
                                        ; implicit-def: $vgpr2
	s_branch .LBB70_103
.LBB70_99:
	s_mov_b32 s15, -1
                                        ; implicit-def: $vgpr2
.LBB70_100:
	s_delay_alu instid0(SALU_CYCLE_1)
	s_and_not1_b32 vcc_lo, exec_lo, s15
	s_cbranch_vccnz .LBB70_102
; %bb.101:
	s_wait_loadcnt 0x0
	global_load_b32 v2, v[0:1], off
	s_wait_loadcnt 0x0
	v_cvt_i32_f32_e32 v2, v2
.LBB70_102:
	s_mov_b32 s15, 0
.LBB70_103:
	s_delay_alu instid0(SALU_CYCLE_1)
	s_and_not1_b32 vcc_lo, exec_lo, s15
	s_cbranch_vccnz .LBB70_105
; %bb.104:
	s_wait_loadcnt 0x0
	global_load_b32 v2, v[0:1], off
	s_wait_loadcnt 0x0
	v_cvt_f32_f16_e32 v2, v2
	s_delay_alu instid0(VALU_DEP_1)
	v_cvt_i32_f32_e32 v2, v2
.LBB70_105:
	s_mov_b32 s15, 0
.LBB70_106:
	s_delay_alu instid0(SALU_CYCLE_1)
	s_and_not1_b32 vcc_lo, exec_lo, s15
	s_cbranch_vccnz .LBB70_117
; %bb.107:
	s_cmp_lt_i32 s0, 6
	s_cbranch_scc1 .LBB70_110
; %bb.108:
	s_cmp_gt_i32 s0, 6
	s_cbranch_scc0 .LBB70_111
; %bb.109:
	s_wait_loadcnt 0x0
	global_load_b64 v[2:3], v[0:1], off
	s_mov_b32 s15, 0
	s_wait_loadcnt 0x0
	v_cvt_i32_f64_e32 v2, v[2:3]
	s_branch .LBB70_112
.LBB70_110:
	s_mov_b32 s15, -1
                                        ; implicit-def: $vgpr2
	s_branch .LBB70_115
.LBB70_111:
	s_mov_b32 s15, -1
                                        ; implicit-def: $vgpr2
.LBB70_112:
	s_delay_alu instid0(SALU_CYCLE_1)
	s_and_not1_b32 vcc_lo, exec_lo, s15
	s_cbranch_vccnz .LBB70_114
; %bb.113:
	s_wait_loadcnt 0x0
	global_load_b32 v2, v[0:1], off
	s_wait_loadcnt 0x0
	v_cvt_i32_f32_e32 v2, v2
.LBB70_114:
	s_mov_b32 s15, 0
.LBB70_115:
	s_delay_alu instid0(SALU_CYCLE_1)
	s_and_not1_b32 vcc_lo, exec_lo, s15
	s_cbranch_vccnz .LBB70_117
; %bb.116:
	s_wait_loadcnt 0x0
	global_load_u16 v2, v[0:1], off
	s_wait_loadcnt 0x0
	v_cvt_f32_f16_e32 v2, v2
	s_delay_alu instid0(VALU_DEP_1)
	v_cvt_i32_f32_e32 v2, v2
.LBB70_117:
	s_cbranch_execnz .LBB70_137
.LBB70_118:
	s_cmp_lt_i32 s0, 2
	s_cbranch_scc1 .LBB70_122
; %bb.119:
	s_cmp_lt_i32 s0, 3
	s_cbranch_scc1 .LBB70_123
; %bb.120:
	s_cmp_gt_i32 s0, 3
	s_cbranch_scc0 .LBB70_124
; %bb.121:
	s_wait_loadcnt 0x0
	global_load_b32 v2, v[0:1], off
	s_mov_b32 s15, 0
	s_branch .LBB70_125
.LBB70_122:
	s_mov_b32 s15, -1
                                        ; implicit-def: $vgpr2
	s_branch .LBB70_131
.LBB70_123:
	s_mov_b32 s15, -1
                                        ; implicit-def: $vgpr2
	s_branch .LBB70_128
.LBB70_124:
	s_mov_b32 s15, -1
                                        ; implicit-def: $vgpr2
.LBB70_125:
	s_delay_alu instid0(SALU_CYCLE_1)
	s_and_not1_b32 vcc_lo, exec_lo, s15
	s_cbranch_vccnz .LBB70_127
; %bb.126:
	s_wait_loadcnt 0x0
	global_load_b32 v2, v[0:1], off
.LBB70_127:
	s_mov_b32 s15, 0
.LBB70_128:
	s_delay_alu instid0(SALU_CYCLE_1)
	s_and_not1_b32 vcc_lo, exec_lo, s15
	s_cbranch_vccnz .LBB70_130
; %bb.129:
	s_wait_loadcnt 0x0
	global_load_i16 v2, v[0:1], off
.LBB70_130:
	s_mov_b32 s15, 0
.LBB70_131:
	s_delay_alu instid0(SALU_CYCLE_1)
	s_and_not1_b32 vcc_lo, exec_lo, s15
	s_cbranch_vccnz .LBB70_137
; %bb.132:
	s_cmp_gt_i32 s0, 0
	s_mov_b32 s0, 0
	s_cbranch_scc0 .LBB70_134
; %bb.133:
	s_wait_loadcnt 0x0
	global_load_i8 v2, v[0:1], off
	s_branch .LBB70_135
.LBB70_134:
	s_mov_b32 s0, -1
                                        ; implicit-def: $vgpr2
.LBB70_135:
	s_delay_alu instid0(SALU_CYCLE_1)
	s_and_not1_b32 vcc_lo, exec_lo, s0
	s_cbranch_vccnz .LBB70_137
; %bb.136:
	s_wait_loadcnt 0x0
	global_load_u8 v2, v[0:1], off
.LBB70_137:
	s_branch .LBB70_11
.LBB70_138:
	s_mov_b32 s20, 0
	s_mov_b32 s16, 0
	;; [unrolled: 1-line block ×3, first 2 shown]
                                        ; implicit-def: $vgpr4
	s_branch .LBB70_220
.LBB70_139:
	s_mov_b32 s22, -1
	s_mov_b32 s21, 0
.LBB70_140:
	s_and_b32 vcc_lo, exec_lo, s22
	s_cbranch_vccz .LBB70_143
; %bb.141:
	s_cmp_eq_u32 s20, 44
	s_mov_b32 s15, -1
	s_cbranch_scc0 .LBB70_143
; %bb.142:
	s_wait_xcnt 0x0
	v_mov_b32_e32 v2, 0
	s_mov_b32 s21, -1
	s_mov_b32 s15, 0
	s_mov_b32 s22, 0
	global_store_b8 v[0:1], v2, off
	s_branch .LBB70_144
.LBB70_143:
	s_mov_b32 s22, 0
.LBB70_144:
	s_delay_alu instid0(SALU_CYCLE_1)
	s_and_b32 vcc_lo, exec_lo, s22
	s_cbranch_vccz .LBB70_147
; %bb.145:
	s_cmp_eq_u32 s20, 29
	s_mov_b32 s15, -1
	s_cbranch_scc0 .LBB70_147
; %bb.146:
	s_wait_xcnt 0x0
	v_mov_b64_e32 v[2:3], 0
	s_mov_b32 s21, -1
	s_mov_b32 s15, 0
	s_mov_b32 s22, 0
	global_store_b64 v[0:1], v[2:3], off
	s_branch .LBB70_148
.LBB70_147:
	s_mov_b32 s22, 0
.LBB70_148:
	s_delay_alu instid0(SALU_CYCLE_1)
	s_and_b32 vcc_lo, exec_lo, s22
	s_cbranch_vccz .LBB70_158
; %bb.149:
	s_cmp_lt_i32 s20, 27
	s_mov_b32 s21, -1
	s_cbranch_scc1 .LBB70_155
; %bb.150:
	s_cmp_gt_i32 s20, 27
	s_cbranch_scc0 .LBB70_152
; %bb.151:
	s_wait_xcnt 0x0
	v_mov_b32_e32 v2, 0
	s_mov_b32 s21, 0
	global_store_b32 v[0:1], v2, off
.LBB70_152:
	s_and_not1_b32 vcc_lo, exec_lo, s21
	s_cbranch_vccnz .LBB70_154
; %bb.153:
	s_wait_xcnt 0x0
	v_mov_b32_e32 v2, 0
	global_store_b16 v[0:1], v2, off
.LBB70_154:
	s_mov_b32 s21, 0
.LBB70_155:
	s_delay_alu instid0(SALU_CYCLE_1)
	s_and_not1_b32 vcc_lo, exec_lo, s21
	s_cbranch_vccnz .LBB70_157
; %bb.156:
	s_wait_xcnt 0x0
	v_mov_b32_e32 v2, 0
	global_store_b8 v[0:1], v2, off
.LBB70_157:
	s_mov_b32 s21, -1
.LBB70_158:
	s_mov_b32 s22, 0
.LBB70_159:
	s_delay_alu instid0(SALU_CYCLE_1)
	s_and_b32 vcc_lo, exec_lo, s22
	s_cbranch_vccz .LBB70_178
; %bb.160:
	s_cmp_gt_i32 s20, 22
	s_mov_b32 s22, -1
	s_cbranch_scc0 .LBB70_170
; %bb.161:
	s_cmp_lt_i32 s20, 24
	s_mov_b32 s21, -1
	s_cbranch_scc1 .LBB70_167
; %bb.162:
	s_cmp_gt_i32 s20, 24
	s_cbranch_scc0 .LBB70_164
; %bb.163:
	s_wait_xcnt 0x0
	v_mov_b32_e32 v2, 0
	s_mov_b32 s21, 0
	global_store_b8 v[0:1], v2, off
.LBB70_164:
	s_and_not1_b32 vcc_lo, exec_lo, s21
	s_cbranch_vccnz .LBB70_166
; %bb.165:
	s_wait_xcnt 0x0
	v_mov_b32_e32 v2, 0
	global_store_b8 v[0:1], v2, off
.LBB70_166:
	s_mov_b32 s21, 0
.LBB70_167:
	s_delay_alu instid0(SALU_CYCLE_1)
	s_and_not1_b32 vcc_lo, exec_lo, s21
	s_cbranch_vccnz .LBB70_169
; %bb.168:
	s_wait_xcnt 0x0
	v_mov_b32_e32 v2, 0
	global_store_b8 v[0:1], v2, off
.LBB70_169:
	s_mov_b32 s22, 0
	s_mov_b32 s21, -1
.LBB70_170:
	s_and_not1_b32 vcc_lo, exec_lo, s22
	s_cbranch_vccnz .LBB70_178
; %bb.171:
	s_cmp_gt_i32 s20, 14
	s_mov_b32 s22, -1
	s_cbranch_scc0 .LBB70_175
; %bb.172:
	s_cmp_eq_u32 s20, 15
	s_mov_b32 s15, -1
	s_cbranch_scc0 .LBB70_174
; %bb.173:
	s_wait_xcnt 0x0
	v_mov_b32_e32 v2, 0
	s_mov_b32 s21, -1
	s_mov_b32 s15, 0
	global_store_b16 v[0:1], v2, off
.LBB70_174:
	s_mov_b32 s22, 0
.LBB70_175:
	s_delay_alu instid0(SALU_CYCLE_1)
	s_and_b32 vcc_lo, exec_lo, s22
	s_cbranch_vccz .LBB70_178
; %bb.176:
	s_cmp_eq_u32 s20, 11
	s_mov_b32 s15, -1
	s_cbranch_scc0 .LBB70_178
; %bb.177:
	s_wait_xcnt 0x0
	v_mov_b32_e32 v2, 0
	s_mov_b32 s21, -1
	s_mov_b32 s15, 0
	global_store_b8 v[0:1], v2, off
.LBB70_178:
	s_branch .LBB70_21
.LBB70_179:
	s_and_b32 s16, 0xffff, s16
	s_mov_b32 s20, -1
	s_cmp_lt_i32 s16, 5
	s_cbranch_scc1 .LBB70_200
; %bb.180:
	s_cmp_lt_i32 s16, 8
	s_cbranch_scc1 .LBB70_190
; %bb.181:
	;; [unrolled: 3-line block ×3, first 2 shown]
	s_cmp_gt_i32 s16, 9
	s_cbranch_scc0 .LBB70_184
; %bb.183:
	v_mov_b32_e32 v6, 0
	s_mov_b32 s20, 0
	s_delay_alu instid0(VALU_DEP_1)
	v_dual_mov_b32 v7, v6 :: v_dual_mov_b32 v8, v6
	v_mov_b32_e32 v9, v6
	global_store_b128 v[0:1], v[6:9], off
.LBB70_184:
	s_and_not1_b32 vcc_lo, exec_lo, s20
	s_cbranch_vccnz .LBB70_186
; %bb.185:
	s_wait_xcnt 0x0
	v_mov_b64_e32 v[2:3], 0
	global_store_b64 v[0:1], v[2:3], off
.LBB70_186:
	s_mov_b32 s20, 0
.LBB70_187:
	s_delay_alu instid0(SALU_CYCLE_1)
	s_and_not1_b32 vcc_lo, exec_lo, s20
	s_cbranch_vccnz .LBB70_189
; %bb.188:
	s_wait_xcnt 0x0
	v_mov_b32_e32 v2, 0
	global_store_b32 v[0:1], v2, off
.LBB70_189:
	s_mov_b32 s20, 0
.LBB70_190:
	s_delay_alu instid0(SALU_CYCLE_1)
	s_and_not1_b32 vcc_lo, exec_lo, s20
	s_cbranch_vccnz .LBB70_199
; %bb.191:
	s_cmp_lt_i32 s16, 6
	s_mov_b32 s20, -1
	s_cbranch_scc1 .LBB70_197
; %bb.192:
	s_cmp_gt_i32 s16, 6
	s_cbranch_scc0 .LBB70_194
; %bb.193:
	s_wait_xcnt 0x0
	v_mov_b64_e32 v[2:3], 0
	s_mov_b32 s20, 0
	global_store_b64 v[0:1], v[2:3], off
.LBB70_194:
	s_and_not1_b32 vcc_lo, exec_lo, s20
	s_cbranch_vccnz .LBB70_196
; %bb.195:
	s_wait_xcnt 0x0
	v_mov_b32_e32 v2, 0
	global_store_b32 v[0:1], v2, off
.LBB70_196:
	s_mov_b32 s20, 0
.LBB70_197:
	s_delay_alu instid0(SALU_CYCLE_1)
	s_and_not1_b32 vcc_lo, exec_lo, s20
	s_cbranch_vccnz .LBB70_199
; %bb.198:
	s_wait_xcnt 0x0
	v_mov_b32_e32 v2, 0
	global_store_b16 v[0:1], v2, off
.LBB70_199:
	s_mov_b32 s20, 0
.LBB70_200:
	s_delay_alu instid0(SALU_CYCLE_1)
	s_and_not1_b32 vcc_lo, exec_lo, s20
	s_cbranch_vccnz .LBB70_216
; %bb.201:
	s_cmp_lt_i32 s16, 2
	s_mov_b32 s20, -1
	s_cbranch_scc1 .LBB70_211
; %bb.202:
	s_cmp_lt_i32 s16, 3
	s_cbranch_scc1 .LBB70_208
; %bb.203:
	s_cmp_gt_i32 s16, 3
	s_cbranch_scc0 .LBB70_205
; %bb.204:
	s_wait_xcnt 0x0
	v_mov_b64_e32 v[2:3], 0
	s_mov_b32 s20, 0
	global_store_b64 v[0:1], v[2:3], off
.LBB70_205:
	s_and_not1_b32 vcc_lo, exec_lo, s20
	s_cbranch_vccnz .LBB70_207
; %bb.206:
	s_wait_xcnt 0x0
	v_mov_b32_e32 v2, 0
	global_store_b32 v[0:1], v2, off
.LBB70_207:
	s_mov_b32 s20, 0
.LBB70_208:
	s_delay_alu instid0(SALU_CYCLE_1)
	s_and_not1_b32 vcc_lo, exec_lo, s20
	s_cbranch_vccnz .LBB70_210
; %bb.209:
	s_wait_xcnt 0x0
	v_mov_b32_e32 v2, 0
	global_store_b16 v[0:1], v2, off
.LBB70_210:
	s_mov_b32 s20, 0
.LBB70_211:
	s_delay_alu instid0(SALU_CYCLE_1)
	s_and_not1_b32 vcc_lo, exec_lo, s20
	s_cbranch_vccnz .LBB70_216
; %bb.212:
	s_cmp_gt_i32 s16, 0
	s_mov_b32 s16, -1
	s_cbranch_scc0 .LBB70_214
; %bb.213:
	s_wait_xcnt 0x0
	v_mov_b32_e32 v2, 0
	s_mov_b32 s16, 0
	global_store_b8 v[0:1], v2, off
.LBB70_214:
	s_and_not1_b32 vcc_lo, exec_lo, s16
	s_cbranch_vccnz .LBB70_216
; %bb.215:
	s_wait_xcnt 0x0
	v_mov_b32_e32 v2, 0
	global_store_b8 v[0:1], v2, off
.LBB70_216:
	s_branch .LBB70_22
.LBB70_217:
	s_mov_b32 s20, 0
                                        ; implicit-def: $vgpr4
.LBB70_218:
	s_and_b32 s15, s15, exec_lo
	s_xor_b32 s16, exec_lo, -1
	s_and_b32 s20, s20, exec_lo
.LBB70_219:
	s_wait_xcnt 0x0
	s_or_b32 exec_lo, exec_lo, s0
.LBB70_220:
	s_delay_alu instid0(SALU_CYCLE_1)
	s_and_b32 s15, s15, exec_lo
	s_and_b32 s16, s16, exec_lo
	;; [unrolled: 1-line block ×3, first 2 shown]
	s_or_not1_b32 s21, s20, exec_lo
.LBB70_221:
	s_wait_xcnt 0x0
	s_or_b32 exec_lo, exec_lo, s18
	s_mov_b32 s20, 0
	s_mov_b32 s0, 0
                                        ; implicit-def: $vgpr0_vgpr1
                                        ; implicit-def: $vgpr2
	s_and_saveexec_b32 s18, s21
	s_cbranch_execz .LBB70_230
; %bb.222:
	s_mov_b32 s0, -1
	s_mov_b32 s19, s17
	s_mov_b32 s21, s16
	;; [unrolled: 1-line block ×3, first 2 shown]
	s_mov_b32 s22, exec_lo
	v_cmpx_gt_i32_e64 s13, v4
	s_cbranch_execz .LBB70_448
; %bb.223:
	v_mul_lo_u32 v0, v4, s9
	s_and_b32 s0, 0xffff, s2
	s_delay_alu instid0(SALU_CYCLE_1) | instskip(NEXT) | instid1(VALU_DEP_1)
	s_cmp_lt_i32 s0, 11
	v_ashrrev_i32_e32 v1, 31, v0
	s_delay_alu instid0(VALU_DEP_1)
	v_add_nc_u64_e32 v[0:1], s[6:7], v[0:1]
	s_cbranch_scc1 .LBB70_233
; %bb.224:
	s_cmp_gt_i32 s0, 25
	s_cbranch_scc0 .LBB70_243
; %bb.225:
	s_cmp_gt_i32 s0, 28
	s_cbranch_scc0 .LBB70_245
	;; [unrolled: 3-line block ×4, first 2 shown]
; %bb.228:
	s_cmp_eq_u32 s0, 46
	s_mov_b32 s21, 0
	s_cbranch_scc0 .LBB70_251
; %bb.229:
	s_wait_loadcnt 0x0
	global_load_b32 v2, v[0:1], off
	s_mov_b32 s20, -1
	s_mov_b32 s19, 0
	s_wait_loadcnt 0x0
	v_lshlrev_b32_e32 v2, 16, v2
	s_delay_alu instid0(VALU_DEP_1)
	v_cvt_i32_f32_e32 v2, v2
	s_branch .LBB70_253
.LBB70_230:
	s_or_b32 exec_lo, exec_lo, s18
	s_mov_b32 s13, 0
	s_and_saveexec_b32 s18, s17
	s_cbranch_execnz .LBB70_752
.LBB70_231:
	s_or_b32 exec_lo, exec_lo, s18
	s_and_saveexec_b32 s17, s19
	s_delay_alu instid0(SALU_CYCLE_1)
	s_xor_b32 s17, exec_lo, s17
	s_cbranch_execz .LBB70_753
.LBB70_232:
	s_wait_loadcnt 0x0
	global_load_u8 v2, v[0:1], off
	s_or_b32 s0, s0, exec_lo
	s_wait_loadcnt 0x0
	v_cmp_ne_u16_e32 vcc_lo, 0, v2
	v_cndmask_b32_e64 v2, 0, 1, vcc_lo
	s_wait_xcnt 0x0
	s_or_b32 exec_lo, exec_lo, s17
	s_and_saveexec_b32 s17, s20
	s_cbranch_execz .LBB70_799
	s_branch .LBB70_754
.LBB70_233:
	s_mov_b32 s20, 0
	s_mov_b32 s19, s17
                                        ; implicit-def: $vgpr2
	s_cbranch_execnz .LBB70_314
.LBB70_234:
	s_and_not1_b32 vcc_lo, exec_lo, s20
	s_cbranch_vccnz .LBB70_362
.LBB70_235:
	s_wait_loadcnt 0x0
	s_delay_alu instid0(VALU_DEP_1)
	v_cmp_le_i32_e32 vcc_lo, s10, v2
	v_cmp_gt_i32_e64 s0, s12, v2
	s_mov_b32 s23, 0
	s_mov_b32 s21, -1
	s_mov_b32 s20, s15
	s_and_b32 s0, vcc_lo, s0
	s_delay_alu instid0(SALU_CYCLE_1)
	s_and_b32 s24, s11, s0
	s_wait_xcnt 0x0
	s_and_saveexec_b32 s0, s24
	s_cbranch_execz .LBB70_446
; %bb.236:
	v_mul_lo_u32 v0, v4, s8
	s_and_b32 s21, s14, 0xff
	s_delay_alu instid0(SALU_CYCLE_1) | instskip(NEXT) | instid1(VALU_DEP_1)
	s_cmp_lt_i32 s21, 11
	v_ashrrev_i32_e32 v1, 31, v0
	s_delay_alu instid0(VALU_DEP_1)
	v_add_nc_u64_e32 v[0:1], s[4:5], v[0:1]
	s_cbranch_scc1 .LBB70_244
; %bb.237:
	s_and_b32 s23, 0xffff, s21
	s_delay_alu instid0(SALU_CYCLE_1)
	s_cmp_gt_i32 s23, 25
	s_cbranch_scc0 .LBB70_246
; %bb.238:
	s_cmp_gt_i32 s23, 28
	s_cbranch_scc0 .LBB70_248
; %bb.239:
	;; [unrolled: 3-line block ×4, first 2 shown]
	s_mov_b32 s25, 0
	s_mov_b32 s20, -1
	s_cmp_eq_u32 s23, 46
	s_mov_b32 s24, 0
	s_cbranch_scc0 .LBB70_364
; %bb.242:
	v_mov_b32_e32 v2, 0
	s_mov_b32 s24, -1
	s_mov_b32 s20, 0
	global_store_b32 v[0:1], v2, off
	s_branch .LBB70_364
.LBB70_243:
	s_mov_b32 s21, -1
	s_mov_b32 s20, 0
	s_mov_b32 s19, s17
                                        ; implicit-def: $vgpr2
	s_branch .LBB70_280
.LBB70_244:
	s_mov_b32 s23, -1
	s_mov_b32 s24, 0
	s_mov_b32 s20, s15
	s_branch .LBB70_403
.LBB70_245:
	s_mov_b32 s21, -1
	s_mov_b32 s20, 0
	s_mov_b32 s19, s17
                                        ; implicit-def: $vgpr2
	s_branch .LBB70_263
.LBB70_246:
	s_mov_b32 s25, -1
	s_mov_b32 s24, 0
	s_mov_b32 s20, s15
	s_branch .LBB70_383
.LBB70_247:
	s_mov_b32 s21, -1
	s_mov_b32 s20, 0
	s_mov_b32 s19, s17
                                        ; implicit-def: $vgpr2
	s_branch .LBB70_258
.LBB70_248:
	s_mov_b32 s25, -1
	s_mov_b32 s24, 0
	s_mov_b32 s20, s15
	s_branch .LBB70_372
.LBB70_249:
	s_mov_b32 s21, -1
	s_mov_b32 s20, 0
	s_mov_b32 s19, s17
	s_branch .LBB70_252
.LBB70_250:
	s_mov_b32 s25, -1
	s_mov_b32 s24, 0
	s_mov_b32 s20, s15
	s_branch .LBB70_368
.LBB70_251:
	s_mov_b32 s19, -1
	s_mov_b32 s20, 0
.LBB70_252:
                                        ; implicit-def: $vgpr2
.LBB70_253:
	s_and_b32 vcc_lo, exec_lo, s21
	s_cbranch_vccz .LBB70_257
; %bb.254:
	s_cmp_eq_u32 s0, 44
	s_cbranch_scc0 .LBB70_256
; %bb.255:
	s_wait_loadcnt 0x0
	global_load_u8 v2, v[0:1], off
	s_mov_b32 s19, 0
	s_mov_b32 s20, -1
	s_wait_loadcnt 0x0
	v_lshlrev_b32_e32 v3, 23, v2
	v_cmp_ne_u32_e32 vcc_lo, 0, v2
	s_delay_alu instid0(VALU_DEP_2) | instskip(NEXT) | instid1(VALU_DEP_1)
	v_cvt_i32_f32_e32 v3, v3
	v_cndmask_b32_e32 v2, 0, v3, vcc_lo
	s_branch .LBB70_257
.LBB70_256:
	s_mov_b32 s19, -1
                                        ; implicit-def: $vgpr2
.LBB70_257:
	s_mov_b32 s21, 0
.LBB70_258:
	s_delay_alu instid0(SALU_CYCLE_1)
	s_and_b32 vcc_lo, exec_lo, s21
	s_cbranch_vccz .LBB70_262
; %bb.259:
	s_cmp_eq_u32 s0, 29
	s_cbranch_scc0 .LBB70_261
; %bb.260:
	s_wait_loadcnt 0x0
	global_load_b32 v2, v[0:1], off
	s_mov_b32 s20, -1
	s_mov_b32 s19, 0
	s_branch .LBB70_262
.LBB70_261:
	s_mov_b32 s19, -1
                                        ; implicit-def: $vgpr2
.LBB70_262:
	s_mov_b32 s21, 0
.LBB70_263:
	s_delay_alu instid0(SALU_CYCLE_1)
	s_and_b32 vcc_lo, exec_lo, s21
	s_cbranch_vccz .LBB70_279
; %bb.264:
	s_cmp_lt_i32 s0, 27
	s_cbranch_scc1 .LBB70_267
; %bb.265:
	s_cmp_gt_i32 s0, 27
	s_cbranch_scc0 .LBB70_268
; %bb.266:
	s_wait_loadcnt 0x0
	global_load_b32 v2, v[0:1], off
	s_mov_b32 s20, 0
	s_branch .LBB70_269
.LBB70_267:
	s_mov_b32 s20, -1
                                        ; implicit-def: $vgpr2
	s_branch .LBB70_272
.LBB70_268:
	s_mov_b32 s20, -1
                                        ; implicit-def: $vgpr2
.LBB70_269:
	s_delay_alu instid0(SALU_CYCLE_1)
	s_and_not1_b32 vcc_lo, exec_lo, s20
	s_cbranch_vccnz .LBB70_271
; %bb.270:
	s_wait_loadcnt 0x0
	global_load_u16 v2, v[0:1], off
.LBB70_271:
	s_mov_b32 s20, 0
.LBB70_272:
	s_delay_alu instid0(SALU_CYCLE_1)
	s_and_not1_b32 vcc_lo, exec_lo, s20
	s_cbranch_vccnz .LBB70_278
; %bb.273:
	global_load_u8 v3, v[0:1], off
	s_mov_b32 s21, 0
	s_mov_b32 s20, exec_lo
	s_wait_loadcnt 0x0
	v_cmpx_lt_i16_e32 0x7f, v3
	s_xor_b32 s20, exec_lo, s20
	s_cbranch_execz .LBB70_290
; %bb.274:
	v_cmp_ne_u16_e32 vcc_lo, 0x80, v3
	s_and_b32 s21, vcc_lo, exec_lo
	s_and_not1_saveexec_b32 s20, s20
	s_cbranch_execnz .LBB70_291
.LBB70_275:
	s_or_b32 exec_lo, exec_lo, s20
	v_mov_b32_e32 v2, 0
	s_and_saveexec_b32 s20, s21
	s_cbranch_execz .LBB70_277
.LBB70_276:
	v_and_b32_e32 v2, 0xffff, v3
	s_delay_alu instid0(VALU_DEP_1) | instskip(SKIP_1) | instid1(VALU_DEP_2)
	v_dual_lshlrev_b32 v3, 24, v3 :: v_dual_bitop2_b32 v5, 7, v2 bitop3:0x40
	v_bfe_u32 v8, v2, 3, 4
	v_and_b32_e32 v3, 0x80000000, v3
	s_delay_alu instid0(VALU_DEP_3) | instskip(NEXT) | instid1(VALU_DEP_3)
	v_clz_i32_u32_e32 v6, v5
	v_cmp_eq_u32_e32 vcc_lo, 0, v8
	s_delay_alu instid0(VALU_DEP_2) | instskip(NEXT) | instid1(VALU_DEP_1)
	v_min_u32_e32 v6, 32, v6
	v_subrev_nc_u32_e32 v7, 28, v6
	v_sub_nc_u32_e32 v6, 29, v6
	s_delay_alu instid0(VALU_DEP_2) | instskip(NEXT) | instid1(VALU_DEP_2)
	v_lshlrev_b32_e32 v2, v7, v2
	v_cndmask_b32_e32 v6, v8, v6, vcc_lo
	s_delay_alu instid0(VALU_DEP_2) | instskip(NEXT) | instid1(VALU_DEP_1)
	v_and_b32_e32 v2, 7, v2
	v_cndmask_b32_e32 v2, v5, v2, vcc_lo
	s_delay_alu instid0(VALU_DEP_3) | instskip(NEXT) | instid1(VALU_DEP_2)
	v_lshl_add_u32 v5, v6, 23, 0x3b800000
	v_lshlrev_b32_e32 v2, 20, v2
	s_delay_alu instid0(VALU_DEP_1) | instskip(NEXT) | instid1(VALU_DEP_1)
	v_or3_b32 v2, v3, v5, v2
	v_cvt_i32_f32_e32 v2, v2
.LBB70_277:
	s_or_b32 exec_lo, exec_lo, s20
.LBB70_278:
	s_mov_b32 s20, -1
.LBB70_279:
	s_mov_b32 s21, 0
.LBB70_280:
	s_delay_alu instid0(SALU_CYCLE_1)
	s_and_b32 vcc_lo, exec_lo, s21
	s_cbranch_vccz .LBB70_313
; %bb.281:
	s_cmp_gt_i32 s0, 22
	s_cbranch_scc0 .LBB70_289
; %bb.282:
	s_cmp_lt_i32 s0, 24
	s_cbranch_scc1 .LBB70_292
; %bb.283:
	s_cmp_gt_i32 s0, 24
	s_cbranch_scc0 .LBB70_293
; %bb.284:
	global_load_u8 v3, v[0:1], off
	s_mov_b32 s21, 0
	s_mov_b32 s20, exec_lo
	s_wait_loadcnt 0x0
	v_cmpx_lt_i16_e32 0x7f, v3
	s_xor_b32 s20, exec_lo, s20
	s_cbranch_execz .LBB70_305
; %bb.285:
	v_cmp_ne_u16_e32 vcc_lo, 0x80, v3
	s_and_b32 s21, vcc_lo, exec_lo
	s_and_not1_saveexec_b32 s20, s20
	s_cbranch_execnz .LBB70_306
.LBB70_286:
	s_or_b32 exec_lo, exec_lo, s20
	v_mov_b32_e32 v2, 0
	s_and_saveexec_b32 s20, s21
	s_cbranch_execz .LBB70_288
.LBB70_287:
	v_and_b32_e32 v2, 0xffff, v3
	s_delay_alu instid0(VALU_DEP_1) | instskip(SKIP_1) | instid1(VALU_DEP_2)
	v_dual_lshlrev_b32 v3, 24, v3 :: v_dual_bitop2_b32 v5, 3, v2 bitop3:0x40
	v_bfe_u32 v8, v2, 2, 5
	v_and_b32_e32 v3, 0x80000000, v3
	s_delay_alu instid0(VALU_DEP_3) | instskip(NEXT) | instid1(VALU_DEP_3)
	v_clz_i32_u32_e32 v6, v5
	v_cmp_eq_u32_e32 vcc_lo, 0, v8
	s_delay_alu instid0(VALU_DEP_2) | instskip(NEXT) | instid1(VALU_DEP_1)
	v_min_u32_e32 v6, 32, v6
	v_subrev_nc_u32_e32 v7, 29, v6
	v_sub_nc_u32_e32 v6, 30, v6
	s_delay_alu instid0(VALU_DEP_2) | instskip(NEXT) | instid1(VALU_DEP_2)
	v_lshlrev_b32_e32 v2, v7, v2
	v_cndmask_b32_e32 v6, v8, v6, vcc_lo
	s_delay_alu instid0(VALU_DEP_2) | instskip(NEXT) | instid1(VALU_DEP_1)
	v_and_b32_e32 v2, 3, v2
	v_cndmask_b32_e32 v2, v5, v2, vcc_lo
	s_delay_alu instid0(VALU_DEP_3) | instskip(NEXT) | instid1(VALU_DEP_2)
	v_lshl_add_u32 v5, v6, 23, 0x37800000
	v_lshlrev_b32_e32 v2, 21, v2
	s_delay_alu instid0(VALU_DEP_1) | instskip(NEXT) | instid1(VALU_DEP_1)
	v_or3_b32 v2, v3, v5, v2
	v_cvt_i32_f32_e32 v2, v2
.LBB70_288:
	s_or_b32 exec_lo, exec_lo, s20
	s_mov_b32 s20, 0
	s_branch .LBB70_294
.LBB70_289:
	s_mov_b32 s21, -1
                                        ; implicit-def: $vgpr2
	s_branch .LBB70_300
.LBB70_290:
	s_and_not1_saveexec_b32 s20, s20
	s_cbranch_execz .LBB70_275
.LBB70_291:
	v_cmp_ne_u16_e32 vcc_lo, 0, v3
	s_and_not1_b32 s21, s21, exec_lo
	s_and_b32 s23, vcc_lo, exec_lo
	s_delay_alu instid0(SALU_CYCLE_1)
	s_or_b32 s21, s21, s23
	s_or_b32 exec_lo, exec_lo, s20
	v_mov_b32_e32 v2, 0
	s_and_saveexec_b32 s20, s21
	s_cbranch_execnz .LBB70_276
	s_branch .LBB70_277
.LBB70_292:
	s_mov_b32 s20, -1
                                        ; implicit-def: $vgpr2
	s_branch .LBB70_297
.LBB70_293:
	s_mov_b32 s20, -1
                                        ; implicit-def: $vgpr2
.LBB70_294:
	s_delay_alu instid0(SALU_CYCLE_1)
	s_and_b32 vcc_lo, exec_lo, s20
	s_cbranch_vccz .LBB70_296
; %bb.295:
	s_wait_loadcnt 0x0
	global_load_u8 v2, v[0:1], off
	s_wait_loadcnt 0x0
	v_lshlrev_b32_e32 v2, 24, v2
	s_delay_alu instid0(VALU_DEP_1) | instskip(NEXT) | instid1(VALU_DEP_1)
	v_and_b32_e32 v3, 0x7f000000, v2
	v_clz_i32_u32_e32 v5, v3
	v_add_nc_u32_e32 v7, 0x1000000, v3
	v_cmp_ne_u32_e32 vcc_lo, 0, v3
	s_delay_alu instid0(VALU_DEP_3) | instskip(NEXT) | instid1(VALU_DEP_1)
	v_min_u32_e32 v5, 32, v5
	v_sub_nc_u32_e64 v5, v5, 4 clamp
	s_delay_alu instid0(VALU_DEP_1) | instskip(NEXT) | instid1(VALU_DEP_1)
	v_dual_lshlrev_b32 v6, v5, v3 :: v_dual_lshlrev_b32 v5, 23, v5
	v_lshrrev_b32_e32 v6, 4, v6
	s_delay_alu instid0(VALU_DEP_1) | instskip(NEXT) | instid1(VALU_DEP_1)
	v_dual_sub_nc_u32 v5, v6, v5 :: v_dual_ashrrev_i32 v6, 8, v7
	v_add_nc_u32_e32 v5, 0x3c000000, v5
	s_delay_alu instid0(VALU_DEP_1) | instskip(NEXT) | instid1(VALU_DEP_1)
	v_and_or_b32 v5, 0x7f800000, v6, v5
	v_cndmask_b32_e32 v3, 0, v5, vcc_lo
	s_delay_alu instid0(VALU_DEP_1) | instskip(NEXT) | instid1(VALU_DEP_1)
	v_and_or_b32 v2, 0x80000000, v2, v3
	v_cvt_i32_f32_e32 v2, v2
.LBB70_296:
	s_mov_b32 s20, 0
.LBB70_297:
	s_delay_alu instid0(SALU_CYCLE_1)
	s_and_not1_b32 vcc_lo, exec_lo, s20
	s_cbranch_vccnz .LBB70_299
; %bb.298:
	s_wait_loadcnt 0x0
	global_load_u8 v2, v[0:1], off
	s_wait_loadcnt 0x0
	v_lshlrev_b32_e32 v3, 25, v2
	v_lshlrev_b16 v2, 8, v2
	s_delay_alu instid0(VALU_DEP_2) | instskip(NEXT) | instid1(VALU_DEP_2)
	v_cmp_gt_u32_e32 vcc_lo, 0x8000000, v3
	v_and_or_b32 v6, 0x7f00, v2, 0.5
	v_lshrrev_b32_e32 v5, 4, v3
	v_bfe_i32 v2, v2, 0, 16
	s_delay_alu instid0(VALU_DEP_3) | instskip(NEXT) | instid1(VALU_DEP_3)
	v_add_f32_e32 v6, -0.5, v6
	v_or_b32_e32 v5, 0x70000000, v5
	s_delay_alu instid0(VALU_DEP_1) | instskip(NEXT) | instid1(VALU_DEP_1)
	v_mul_f32_e32 v5, 0x7800000, v5
	v_cndmask_b32_e32 v3, v5, v6, vcc_lo
	s_delay_alu instid0(VALU_DEP_1) | instskip(NEXT) | instid1(VALU_DEP_1)
	v_and_or_b32 v2, 0x80000000, v2, v3
	v_cvt_i32_f32_e32 v2, v2
.LBB70_299:
	s_mov_b32 s21, 0
	s_mov_b32 s20, -1
.LBB70_300:
	s_and_not1_b32 vcc_lo, exec_lo, s21
	s_cbranch_vccnz .LBB70_313
; %bb.301:
	s_cmp_gt_i32 s0, 14
	s_cbranch_scc0 .LBB70_304
; %bb.302:
	s_cmp_eq_u32 s0, 15
	s_cbranch_scc0 .LBB70_307
; %bb.303:
	s_wait_loadcnt 0x0
	global_load_u16 v2, v[0:1], off
	s_mov_b32 s20, -1
	s_mov_b32 s19, 0
	s_wait_loadcnt 0x0
	v_lshlrev_b32_e32 v2, 16, v2
	s_delay_alu instid0(VALU_DEP_1)
	v_cvt_i32_f32_e32 v2, v2
	s_branch .LBB70_308
.LBB70_304:
	s_mov_b32 s21, -1
                                        ; implicit-def: $vgpr2
	s_branch .LBB70_309
.LBB70_305:
	s_and_not1_saveexec_b32 s20, s20
	s_cbranch_execz .LBB70_286
.LBB70_306:
	v_cmp_ne_u16_e32 vcc_lo, 0, v3
	s_and_not1_b32 s21, s21, exec_lo
	s_and_b32 s23, vcc_lo, exec_lo
	s_delay_alu instid0(SALU_CYCLE_1)
	s_or_b32 s21, s21, s23
	s_or_b32 exec_lo, exec_lo, s20
	v_mov_b32_e32 v2, 0
	s_and_saveexec_b32 s20, s21
	s_cbranch_execnz .LBB70_287
	s_branch .LBB70_288
.LBB70_307:
	s_mov_b32 s19, -1
                                        ; implicit-def: $vgpr2
.LBB70_308:
	s_mov_b32 s21, 0
.LBB70_309:
	s_delay_alu instid0(SALU_CYCLE_1)
	s_and_b32 vcc_lo, exec_lo, s21
	s_cbranch_vccz .LBB70_313
; %bb.310:
	s_cmp_eq_u32 s0, 11
	s_cbranch_scc0 .LBB70_312
; %bb.311:
	s_wait_loadcnt 0x0
	global_load_u8 v2, v[0:1], off
	s_mov_b32 s19, 0
	s_mov_b32 s20, -1
	s_wait_loadcnt 0x0
	v_cmp_ne_u16_e32 vcc_lo, 0, v2
	v_cndmask_b32_e64 v2, 0, 1, vcc_lo
	s_branch .LBB70_313
.LBB70_312:
	s_mov_b32 s19, -1
                                        ; implicit-def: $vgpr2
.LBB70_313:
	s_branch .LBB70_234
.LBB70_314:
	s_cmp_lt_i32 s0, 5
	s_cbranch_scc1 .LBB70_319
; %bb.315:
	s_cmp_lt_i32 s0, 8
	s_cbranch_scc1 .LBB70_320
; %bb.316:
	s_cmp_lt_i32 s0, 9
	s_cbranch_scc1 .LBB70_321
; %bb.317:
	s_cmp_gt_i32 s0, 9
	s_cbranch_scc0 .LBB70_322
; %bb.318:
	s_wait_loadcnt 0x0
	global_load_b64 v[2:3], v[0:1], off
	s_mov_b32 s20, 0
	s_wait_loadcnt 0x0
	v_cvt_i32_f64_e32 v2, v[2:3]
	s_branch .LBB70_323
.LBB70_319:
	s_mov_b32 s20, -1
                                        ; implicit-def: $vgpr2
	s_branch .LBB70_341
.LBB70_320:
	s_mov_b32 s20, -1
                                        ; implicit-def: $vgpr2
	s_branch .LBB70_329
.LBB70_321:
	s_mov_b32 s20, -1
                                        ; implicit-def: $vgpr2
	s_branch .LBB70_326
.LBB70_322:
	s_mov_b32 s20, -1
                                        ; implicit-def: $vgpr2
.LBB70_323:
	s_delay_alu instid0(SALU_CYCLE_1)
	s_and_not1_b32 vcc_lo, exec_lo, s20
	s_cbranch_vccnz .LBB70_325
; %bb.324:
	s_wait_loadcnt 0x0
	global_load_b32 v2, v[0:1], off
	s_wait_loadcnt 0x0
	v_cvt_i32_f32_e32 v2, v2
.LBB70_325:
	s_mov_b32 s20, 0
.LBB70_326:
	s_delay_alu instid0(SALU_CYCLE_1)
	s_and_not1_b32 vcc_lo, exec_lo, s20
	s_cbranch_vccnz .LBB70_328
; %bb.327:
	s_wait_loadcnt 0x0
	global_load_b32 v2, v[0:1], off
	s_wait_loadcnt 0x0
	v_cvt_f32_f16_e32 v2, v2
	s_delay_alu instid0(VALU_DEP_1)
	v_cvt_i32_f32_e32 v2, v2
.LBB70_328:
	s_mov_b32 s20, 0
.LBB70_329:
	s_delay_alu instid0(SALU_CYCLE_1)
	s_and_not1_b32 vcc_lo, exec_lo, s20
	s_cbranch_vccnz .LBB70_340
; %bb.330:
	s_cmp_lt_i32 s0, 6
	s_cbranch_scc1 .LBB70_333
; %bb.331:
	s_cmp_gt_i32 s0, 6
	s_cbranch_scc0 .LBB70_334
; %bb.332:
	s_wait_loadcnt 0x0
	global_load_b64 v[2:3], v[0:1], off
	s_mov_b32 s20, 0
	s_wait_loadcnt 0x0
	v_cvt_i32_f64_e32 v2, v[2:3]
	s_branch .LBB70_335
.LBB70_333:
	s_mov_b32 s20, -1
                                        ; implicit-def: $vgpr2
	s_branch .LBB70_338
.LBB70_334:
	s_mov_b32 s20, -1
                                        ; implicit-def: $vgpr2
.LBB70_335:
	s_delay_alu instid0(SALU_CYCLE_1)
	s_and_not1_b32 vcc_lo, exec_lo, s20
	s_cbranch_vccnz .LBB70_337
; %bb.336:
	s_wait_loadcnt 0x0
	global_load_b32 v2, v[0:1], off
	s_wait_loadcnt 0x0
	v_cvt_i32_f32_e32 v2, v2
.LBB70_337:
	s_mov_b32 s20, 0
.LBB70_338:
	s_delay_alu instid0(SALU_CYCLE_1)
	s_and_not1_b32 vcc_lo, exec_lo, s20
	s_cbranch_vccnz .LBB70_340
; %bb.339:
	s_wait_loadcnt 0x0
	global_load_u16 v2, v[0:1], off
	s_wait_loadcnt 0x0
	v_cvt_f32_f16_e32 v2, v2
	s_delay_alu instid0(VALU_DEP_1)
	v_cvt_i32_f32_e32 v2, v2
.LBB70_340:
	s_mov_b32 s20, 0
.LBB70_341:
	s_delay_alu instid0(SALU_CYCLE_1)
	s_and_not1_b32 vcc_lo, exec_lo, s20
	s_cbranch_vccnz .LBB70_361
; %bb.342:
	s_cmp_lt_i32 s0, 2
	s_cbranch_scc1 .LBB70_346
; %bb.343:
	s_cmp_lt_i32 s0, 3
	s_cbranch_scc1 .LBB70_347
; %bb.344:
	s_cmp_gt_i32 s0, 3
	s_cbranch_scc0 .LBB70_348
; %bb.345:
	s_wait_loadcnt 0x0
	global_load_b32 v2, v[0:1], off
	s_mov_b32 s20, 0
	s_branch .LBB70_349
.LBB70_346:
	s_mov_b32 s20, -1
                                        ; implicit-def: $vgpr2
	s_branch .LBB70_355
.LBB70_347:
	s_mov_b32 s20, -1
                                        ; implicit-def: $vgpr2
	s_branch .LBB70_352
.LBB70_348:
	s_mov_b32 s20, -1
                                        ; implicit-def: $vgpr2
.LBB70_349:
	s_delay_alu instid0(SALU_CYCLE_1)
	s_and_not1_b32 vcc_lo, exec_lo, s20
	s_cbranch_vccnz .LBB70_351
; %bb.350:
	s_wait_loadcnt 0x0
	global_load_b32 v2, v[0:1], off
.LBB70_351:
	s_mov_b32 s20, 0
.LBB70_352:
	s_delay_alu instid0(SALU_CYCLE_1)
	s_and_not1_b32 vcc_lo, exec_lo, s20
	s_cbranch_vccnz .LBB70_354
; %bb.353:
	s_wait_loadcnt 0x0
	global_load_i16 v2, v[0:1], off
.LBB70_354:
	s_mov_b32 s20, 0
.LBB70_355:
	s_delay_alu instid0(SALU_CYCLE_1)
	s_and_not1_b32 vcc_lo, exec_lo, s20
	s_cbranch_vccnz .LBB70_361
; %bb.356:
	s_cmp_gt_i32 s0, 0
	s_mov_b32 s0, 0
	s_cbranch_scc0 .LBB70_358
; %bb.357:
	s_wait_loadcnt 0x0
	global_load_i8 v2, v[0:1], off
	s_branch .LBB70_359
.LBB70_358:
	s_mov_b32 s0, -1
                                        ; implicit-def: $vgpr2
.LBB70_359:
	s_delay_alu instid0(SALU_CYCLE_1)
	s_and_not1_b32 vcc_lo, exec_lo, s0
	s_cbranch_vccnz .LBB70_361
; %bb.360:
	s_wait_loadcnt 0x0
	global_load_u8 v2, v[0:1], off
.LBB70_361:
	s_branch .LBB70_235
.LBB70_362:
	s_mov_b32 s23, 0
	s_mov_b32 s20, s15
	;; [unrolled: 1-line block ×3, first 2 shown]
                                        ; implicit-def: $vgpr4
	s_branch .LBB70_447
.LBB70_363:
	s_mov_b32 s25, -1
	s_mov_b32 s24, 0
	s_mov_b32 s20, s15
.LBB70_364:
	s_and_b32 vcc_lo, exec_lo, s25
	s_cbranch_vccz .LBB70_367
; %bb.365:
	s_cmp_eq_u32 s23, 44
	s_mov_b32 s20, -1
	s_cbranch_scc0 .LBB70_367
; %bb.366:
	s_wait_xcnt 0x0
	v_mov_b32_e32 v2, 0
	s_mov_b32 s24, -1
	s_mov_b32 s20, 0
	global_store_b8 v[0:1], v2, off
.LBB70_367:
	s_mov_b32 s25, 0
.LBB70_368:
	s_delay_alu instid0(SALU_CYCLE_1)
	s_and_b32 vcc_lo, exec_lo, s25
	s_cbranch_vccz .LBB70_371
; %bb.369:
	s_cmp_eq_u32 s23, 29
	s_mov_b32 s20, -1
	s_cbranch_scc0 .LBB70_371
; %bb.370:
	s_wait_xcnt 0x0
	v_mov_b64_e32 v[2:3], 0
	s_mov_b32 s24, -1
	s_mov_b32 s20, 0
	s_mov_b32 s25, 0
	global_store_b64 v[0:1], v[2:3], off
	s_branch .LBB70_372
.LBB70_371:
	s_mov_b32 s25, 0
.LBB70_372:
	s_delay_alu instid0(SALU_CYCLE_1)
	s_and_b32 vcc_lo, exec_lo, s25
	s_cbranch_vccz .LBB70_382
; %bb.373:
	s_cmp_lt_i32 s23, 27
	s_mov_b32 s24, -1
	s_cbranch_scc1 .LBB70_379
; %bb.374:
	s_cmp_gt_i32 s23, 27
	s_cbranch_scc0 .LBB70_376
; %bb.375:
	s_wait_xcnt 0x0
	v_mov_b32_e32 v2, 0
	s_mov_b32 s24, 0
	global_store_b32 v[0:1], v2, off
.LBB70_376:
	s_and_not1_b32 vcc_lo, exec_lo, s24
	s_cbranch_vccnz .LBB70_378
; %bb.377:
	s_wait_xcnt 0x0
	v_mov_b32_e32 v2, 0
	global_store_b16 v[0:1], v2, off
.LBB70_378:
	s_mov_b32 s24, 0
.LBB70_379:
	s_delay_alu instid0(SALU_CYCLE_1)
	s_and_not1_b32 vcc_lo, exec_lo, s24
	s_cbranch_vccnz .LBB70_381
; %bb.380:
	s_wait_xcnt 0x0
	v_mov_b32_e32 v2, 0
	global_store_b8 v[0:1], v2, off
.LBB70_381:
	s_mov_b32 s24, -1
.LBB70_382:
	s_mov_b32 s25, 0
.LBB70_383:
	s_delay_alu instid0(SALU_CYCLE_1)
	s_and_b32 vcc_lo, exec_lo, s25
	s_cbranch_vccz .LBB70_402
; %bb.384:
	s_cmp_gt_i32 s23, 22
	s_mov_b32 s25, -1
	s_cbranch_scc0 .LBB70_394
; %bb.385:
	s_cmp_lt_i32 s23, 24
	s_mov_b32 s24, -1
	s_cbranch_scc1 .LBB70_391
; %bb.386:
	s_cmp_gt_i32 s23, 24
	s_cbranch_scc0 .LBB70_388
; %bb.387:
	s_wait_xcnt 0x0
	v_mov_b32_e32 v2, 0
	s_mov_b32 s24, 0
	global_store_b8 v[0:1], v2, off
.LBB70_388:
	s_and_not1_b32 vcc_lo, exec_lo, s24
	s_cbranch_vccnz .LBB70_390
; %bb.389:
	s_wait_xcnt 0x0
	v_mov_b32_e32 v2, 0
	global_store_b8 v[0:1], v2, off
.LBB70_390:
	s_mov_b32 s24, 0
.LBB70_391:
	s_delay_alu instid0(SALU_CYCLE_1)
	s_and_not1_b32 vcc_lo, exec_lo, s24
	s_cbranch_vccnz .LBB70_393
; %bb.392:
	s_wait_xcnt 0x0
	v_mov_b32_e32 v2, 0
	global_store_b8 v[0:1], v2, off
.LBB70_393:
	s_mov_b32 s25, 0
	s_mov_b32 s24, -1
.LBB70_394:
	s_and_not1_b32 vcc_lo, exec_lo, s25
	s_cbranch_vccnz .LBB70_402
; %bb.395:
	s_cmp_gt_i32 s23, 14
	s_mov_b32 s25, -1
	s_cbranch_scc0 .LBB70_399
; %bb.396:
	s_cmp_eq_u32 s23, 15
	s_mov_b32 s20, -1
	s_cbranch_scc0 .LBB70_398
; %bb.397:
	s_wait_xcnt 0x0
	v_mov_b32_e32 v2, 0
	s_mov_b32 s24, -1
	s_mov_b32 s20, 0
	global_store_b16 v[0:1], v2, off
.LBB70_398:
	s_mov_b32 s25, 0
.LBB70_399:
	s_delay_alu instid0(SALU_CYCLE_1)
	s_and_b32 vcc_lo, exec_lo, s25
	s_cbranch_vccz .LBB70_402
; %bb.400:
	s_cmp_eq_u32 s23, 11
	s_mov_b32 s20, -1
	s_cbranch_scc0 .LBB70_402
; %bb.401:
	s_wait_xcnt 0x0
	v_mov_b32_e32 v2, 0
	s_mov_b32 s24, -1
	s_mov_b32 s20, 0
	global_store_b8 v[0:1], v2, off
.LBB70_402:
	s_mov_b32 s23, 0
.LBB70_403:
	s_delay_alu instid0(SALU_CYCLE_1)
	s_and_b32 vcc_lo, exec_lo, s23
	s_cbranch_vccz .LBB70_442
; %bb.404:
	s_and_b32 s21, 0xffff, s21
	s_mov_b32 s23, -1
	s_cmp_lt_i32 s21, 5
	s_cbranch_scc1 .LBB70_425
; %bb.405:
	s_cmp_lt_i32 s21, 8
	s_cbranch_scc1 .LBB70_415
; %bb.406:
	;; [unrolled: 3-line block ×3, first 2 shown]
	s_cmp_gt_i32 s21, 9
	s_cbranch_scc0 .LBB70_409
; %bb.408:
	v_mov_b32_e32 v6, 0
	s_mov_b32 s23, 0
	s_delay_alu instid0(VALU_DEP_1)
	v_dual_mov_b32 v7, v6 :: v_dual_mov_b32 v8, v6
	v_mov_b32_e32 v9, v6
	global_store_b128 v[0:1], v[6:9], off
.LBB70_409:
	s_and_not1_b32 vcc_lo, exec_lo, s23
	s_cbranch_vccnz .LBB70_411
; %bb.410:
	s_wait_xcnt 0x0
	v_mov_b64_e32 v[2:3], 0
	global_store_b64 v[0:1], v[2:3], off
.LBB70_411:
	s_mov_b32 s23, 0
.LBB70_412:
	s_delay_alu instid0(SALU_CYCLE_1)
	s_and_not1_b32 vcc_lo, exec_lo, s23
	s_cbranch_vccnz .LBB70_414
; %bb.413:
	s_wait_xcnt 0x0
	v_mov_b32_e32 v2, 0
	global_store_b32 v[0:1], v2, off
.LBB70_414:
	s_mov_b32 s23, 0
.LBB70_415:
	s_delay_alu instid0(SALU_CYCLE_1)
	s_and_not1_b32 vcc_lo, exec_lo, s23
	s_cbranch_vccnz .LBB70_424
; %bb.416:
	s_cmp_lt_i32 s21, 6
	s_mov_b32 s23, -1
	s_cbranch_scc1 .LBB70_422
; %bb.417:
	s_cmp_gt_i32 s21, 6
	s_cbranch_scc0 .LBB70_419
; %bb.418:
	s_wait_xcnt 0x0
	v_mov_b64_e32 v[2:3], 0
	s_mov_b32 s23, 0
	global_store_b64 v[0:1], v[2:3], off
.LBB70_419:
	s_and_not1_b32 vcc_lo, exec_lo, s23
	s_cbranch_vccnz .LBB70_421
; %bb.420:
	s_wait_xcnt 0x0
	v_mov_b32_e32 v2, 0
	global_store_b32 v[0:1], v2, off
.LBB70_421:
	s_mov_b32 s23, 0
.LBB70_422:
	s_delay_alu instid0(SALU_CYCLE_1)
	s_and_not1_b32 vcc_lo, exec_lo, s23
	s_cbranch_vccnz .LBB70_424
; %bb.423:
	s_wait_xcnt 0x0
	v_mov_b32_e32 v2, 0
	global_store_b16 v[0:1], v2, off
.LBB70_424:
	s_mov_b32 s23, 0
.LBB70_425:
	s_delay_alu instid0(SALU_CYCLE_1)
	s_and_not1_b32 vcc_lo, exec_lo, s23
	s_cbranch_vccnz .LBB70_441
; %bb.426:
	s_cmp_lt_i32 s21, 2
	s_mov_b32 s23, -1
	s_cbranch_scc1 .LBB70_436
; %bb.427:
	s_cmp_lt_i32 s21, 3
	s_cbranch_scc1 .LBB70_433
; %bb.428:
	s_cmp_gt_i32 s21, 3
	s_cbranch_scc0 .LBB70_430
; %bb.429:
	s_wait_xcnt 0x0
	v_mov_b64_e32 v[2:3], 0
	s_mov_b32 s23, 0
	global_store_b64 v[0:1], v[2:3], off
.LBB70_430:
	s_and_not1_b32 vcc_lo, exec_lo, s23
	s_cbranch_vccnz .LBB70_432
; %bb.431:
	s_wait_xcnt 0x0
	v_mov_b32_e32 v2, 0
	global_store_b32 v[0:1], v2, off
.LBB70_432:
	s_mov_b32 s23, 0
.LBB70_433:
	s_delay_alu instid0(SALU_CYCLE_1)
	s_and_not1_b32 vcc_lo, exec_lo, s23
	s_cbranch_vccnz .LBB70_435
; %bb.434:
	s_wait_xcnt 0x0
	v_mov_b32_e32 v2, 0
	global_store_b16 v[0:1], v2, off
.LBB70_435:
	s_mov_b32 s23, 0
.LBB70_436:
	s_delay_alu instid0(SALU_CYCLE_1)
	s_and_not1_b32 vcc_lo, exec_lo, s23
	s_cbranch_vccnz .LBB70_441
; %bb.437:
	s_cmp_gt_i32 s21, 0
	s_mov_b32 s21, -1
	s_cbranch_scc0 .LBB70_439
; %bb.438:
	s_wait_xcnt 0x0
	v_mov_b32_e32 v2, 0
	s_mov_b32 s21, 0
	global_store_b8 v[0:1], v2, off
.LBB70_439:
	s_and_not1_b32 vcc_lo, exec_lo, s21
	s_cbranch_vccnz .LBB70_441
; %bb.440:
	s_wait_xcnt 0x0
	v_mov_b32_e32 v2, 0
	global_store_b8 v[0:1], v2, off
.LBB70_441:
	s_mov_b32 s24, -1
.LBB70_442:
	s_delay_alu instid0(SALU_CYCLE_1)
	s_and_not1_b32 vcc_lo, exec_lo, s24
	s_cbranch_vccnz .LBB70_444
; %bb.443:
	v_add_nc_u32_e32 v4, 0x80, v4
	s_mov_b32 s23, -1
	s_branch .LBB70_445
.LBB70_444:
	s_mov_b32 s23, 0
                                        ; implicit-def: $vgpr4
.LBB70_445:
	s_and_not1_b32 s21, s15, exec_lo
	s_and_b32 s20, s20, exec_lo
	s_and_b32 s23, s23, exec_lo
	s_or_b32 s20, s21, s20
	s_xor_b32 s21, exec_lo, -1
.LBB70_446:
	s_wait_xcnt 0x0
	s_or_b32 exec_lo, exec_lo, s0
.LBB70_447:
	s_delay_alu instid0(SALU_CYCLE_1)
	s_and_not1_b32 s0, s15, exec_lo
	s_and_b32 s20, s20, exec_lo
	s_and_b32 s21, s21, exec_lo
	s_or_b32 s20, s0, s20
	s_and_not1_b32 s0, s16, exec_lo
	s_and_not1_b32 s24, s17, exec_lo
	s_and_b32 s19, s19, exec_lo
	s_or_b32 s21, s0, s21
	s_or_b32 s19, s24, s19
	s_or_not1_b32 s0, s23, exec_lo
.LBB70_448:
	s_wait_xcnt 0x0
	s_or_b32 exec_lo, exec_lo, s22
	s_mov_b32 s23, 0
	s_mov_b32 s24, 0
	s_mov_b32 s25, 0
                                        ; implicit-def: $vgpr0_vgpr1
                                        ; implicit-def: $vgpr2
	s_and_saveexec_b32 s22, s0
	s_cbranch_execz .LBB70_751
; %bb.449:
	s_mov_b32 s29, -1
	s_mov_b32 s0, s19
	s_mov_b32 s24, s21
	;; [unrolled: 1-line block ×3, first 2 shown]
	s_mov_b32 s23, exec_lo
	v_cmpx_gt_i32_e64 s13, v4
	s_cbranch_execz .LBB70_673
; %bb.450:
	v_mul_lo_u32 v0, v4, s9
	s_and_b32 s0, 0xffff, s2
	s_delay_alu instid0(SALU_CYCLE_1) | instskip(NEXT) | instid1(VALU_DEP_1)
	s_cmp_lt_i32 s0, 11
	v_ashrrev_i32_e32 v1, 31, v0
	s_delay_alu instid0(VALU_DEP_1)
	v_add_nc_u64_e32 v[0:1], s[6:7], v[0:1]
	s_cbranch_scc1 .LBB70_457
; %bb.451:
	s_cmp_gt_i32 s0, 25
	s_cbranch_scc0 .LBB70_458
; %bb.452:
	s_cmp_gt_i32 s0, 28
	s_cbranch_scc0 .LBB70_459
	;; [unrolled: 3-line block ×4, first 2 shown]
; %bb.455:
	s_cmp_eq_u32 s0, 46
	s_mov_b32 s26, 0
	s_cbranch_scc0 .LBB70_462
; %bb.456:
	s_wait_loadcnt 0x0
	global_load_b32 v2, v[0:1], off
	s_mov_b32 s25, -1
	s_mov_b32 s24, 0
	s_wait_loadcnt 0x0
	v_lshlrev_b32_e32 v2, 16, v2
	s_delay_alu instid0(VALU_DEP_1)
	v_cvt_i32_f32_e32 v2, v2
	s_branch .LBB70_464
.LBB70_457:
	s_mov_b32 s26, -1
	s_mov_b32 s25, 0
	s_mov_b32 s24, s19
                                        ; implicit-def: $vgpr2
	s_branch .LBB70_525
.LBB70_458:
	s_mov_b32 s26, -1
	s_mov_b32 s25, 0
	s_mov_b32 s24, s19
                                        ; implicit-def: $vgpr2
	s_branch .LBB70_491
.LBB70_459:
	s_mov_b32 s26, -1
	s_mov_b32 s25, 0
	s_mov_b32 s24, s19
                                        ; implicit-def: $vgpr2
	s_branch .LBB70_474
.LBB70_460:
	s_mov_b32 s26, -1
	s_mov_b32 s25, 0
	s_mov_b32 s24, s19
                                        ; implicit-def: $vgpr2
	s_branch .LBB70_469
.LBB70_461:
	s_mov_b32 s26, -1
	s_mov_b32 s25, 0
	s_mov_b32 s24, s19
	s_branch .LBB70_463
.LBB70_462:
	s_mov_b32 s24, -1
	s_mov_b32 s25, 0
.LBB70_463:
                                        ; implicit-def: $vgpr2
.LBB70_464:
	s_and_b32 vcc_lo, exec_lo, s26
	s_cbranch_vccz .LBB70_468
; %bb.465:
	s_cmp_eq_u32 s0, 44
	s_cbranch_scc0 .LBB70_467
; %bb.466:
	s_wait_loadcnt 0x0
	global_load_u8 v2, v[0:1], off
	s_mov_b32 s24, 0
	s_mov_b32 s25, -1
	s_wait_loadcnt 0x0
	v_lshlrev_b32_e32 v3, 23, v2
	v_cmp_ne_u32_e32 vcc_lo, 0, v2
	s_delay_alu instid0(VALU_DEP_2) | instskip(NEXT) | instid1(VALU_DEP_1)
	v_cvt_i32_f32_e32 v3, v3
	v_cndmask_b32_e32 v2, 0, v3, vcc_lo
	s_branch .LBB70_468
.LBB70_467:
	s_mov_b32 s24, -1
                                        ; implicit-def: $vgpr2
.LBB70_468:
	s_mov_b32 s26, 0
.LBB70_469:
	s_delay_alu instid0(SALU_CYCLE_1)
	s_and_b32 vcc_lo, exec_lo, s26
	s_cbranch_vccz .LBB70_473
; %bb.470:
	s_cmp_eq_u32 s0, 29
	s_cbranch_scc0 .LBB70_472
; %bb.471:
	s_wait_loadcnt 0x0
	global_load_b32 v2, v[0:1], off
	s_mov_b32 s25, -1
	s_mov_b32 s24, 0
	s_branch .LBB70_473
.LBB70_472:
	s_mov_b32 s24, -1
                                        ; implicit-def: $vgpr2
.LBB70_473:
	s_mov_b32 s26, 0
.LBB70_474:
	s_delay_alu instid0(SALU_CYCLE_1)
	s_and_b32 vcc_lo, exec_lo, s26
	s_cbranch_vccz .LBB70_490
; %bb.475:
	s_cmp_lt_i32 s0, 27
	s_cbranch_scc1 .LBB70_478
; %bb.476:
	s_cmp_gt_i32 s0, 27
	s_cbranch_scc0 .LBB70_479
; %bb.477:
	s_wait_loadcnt 0x0
	global_load_b32 v2, v[0:1], off
	s_mov_b32 s25, 0
	s_branch .LBB70_480
.LBB70_478:
	s_mov_b32 s25, -1
                                        ; implicit-def: $vgpr2
	s_branch .LBB70_483
.LBB70_479:
	s_mov_b32 s25, -1
                                        ; implicit-def: $vgpr2
.LBB70_480:
	s_delay_alu instid0(SALU_CYCLE_1)
	s_and_not1_b32 vcc_lo, exec_lo, s25
	s_cbranch_vccnz .LBB70_482
; %bb.481:
	s_wait_loadcnt 0x0
	global_load_u16 v2, v[0:1], off
.LBB70_482:
	s_mov_b32 s25, 0
.LBB70_483:
	s_delay_alu instid0(SALU_CYCLE_1)
	s_and_not1_b32 vcc_lo, exec_lo, s25
	s_cbranch_vccnz .LBB70_489
; %bb.484:
	global_load_u8 v3, v[0:1], off
	s_mov_b32 s26, 0
	s_mov_b32 s25, exec_lo
	s_wait_loadcnt 0x0
	v_cmpx_lt_i16_e32 0x7f, v3
	s_xor_b32 s25, exec_lo, s25
	s_cbranch_execz .LBB70_501
; %bb.485:
	v_cmp_ne_u16_e32 vcc_lo, 0x80, v3
	s_and_b32 s26, vcc_lo, exec_lo
	s_and_not1_saveexec_b32 s25, s25
	s_cbranch_execnz .LBB70_502
.LBB70_486:
	s_or_b32 exec_lo, exec_lo, s25
	v_mov_b32_e32 v2, 0
	s_and_saveexec_b32 s25, s26
	s_cbranch_execz .LBB70_488
.LBB70_487:
	v_and_b32_e32 v2, 0xffff, v3
	s_delay_alu instid0(VALU_DEP_1) | instskip(SKIP_1) | instid1(VALU_DEP_2)
	v_dual_lshlrev_b32 v3, 24, v3 :: v_dual_bitop2_b32 v5, 7, v2 bitop3:0x40
	v_bfe_u32 v8, v2, 3, 4
	v_and_b32_e32 v3, 0x80000000, v3
	s_delay_alu instid0(VALU_DEP_3) | instskip(NEXT) | instid1(VALU_DEP_3)
	v_clz_i32_u32_e32 v6, v5
	v_cmp_eq_u32_e32 vcc_lo, 0, v8
	s_delay_alu instid0(VALU_DEP_2) | instskip(NEXT) | instid1(VALU_DEP_1)
	v_min_u32_e32 v6, 32, v6
	v_subrev_nc_u32_e32 v7, 28, v6
	v_sub_nc_u32_e32 v6, 29, v6
	s_delay_alu instid0(VALU_DEP_2) | instskip(NEXT) | instid1(VALU_DEP_2)
	v_lshlrev_b32_e32 v2, v7, v2
	v_cndmask_b32_e32 v6, v8, v6, vcc_lo
	s_delay_alu instid0(VALU_DEP_2) | instskip(NEXT) | instid1(VALU_DEP_1)
	v_and_b32_e32 v2, 7, v2
	v_cndmask_b32_e32 v2, v5, v2, vcc_lo
	s_delay_alu instid0(VALU_DEP_3) | instskip(NEXT) | instid1(VALU_DEP_2)
	v_lshl_add_u32 v5, v6, 23, 0x3b800000
	v_lshlrev_b32_e32 v2, 20, v2
	s_delay_alu instid0(VALU_DEP_1) | instskip(NEXT) | instid1(VALU_DEP_1)
	v_or3_b32 v2, v3, v5, v2
	v_cvt_i32_f32_e32 v2, v2
.LBB70_488:
	s_or_b32 exec_lo, exec_lo, s25
.LBB70_489:
	s_mov_b32 s25, -1
.LBB70_490:
	s_mov_b32 s26, 0
.LBB70_491:
	s_delay_alu instid0(SALU_CYCLE_1)
	s_and_b32 vcc_lo, exec_lo, s26
	s_cbranch_vccz .LBB70_524
; %bb.492:
	s_cmp_gt_i32 s0, 22
	s_cbranch_scc0 .LBB70_500
; %bb.493:
	s_cmp_lt_i32 s0, 24
	s_cbranch_scc1 .LBB70_503
; %bb.494:
	s_cmp_gt_i32 s0, 24
	s_cbranch_scc0 .LBB70_504
; %bb.495:
	global_load_u8 v3, v[0:1], off
	s_mov_b32 s26, 0
	s_mov_b32 s25, exec_lo
	s_wait_loadcnt 0x0
	v_cmpx_lt_i16_e32 0x7f, v3
	s_xor_b32 s25, exec_lo, s25
	s_cbranch_execz .LBB70_516
; %bb.496:
	v_cmp_ne_u16_e32 vcc_lo, 0x80, v3
	s_and_b32 s26, vcc_lo, exec_lo
	s_and_not1_saveexec_b32 s25, s25
	s_cbranch_execnz .LBB70_517
.LBB70_497:
	s_or_b32 exec_lo, exec_lo, s25
	v_mov_b32_e32 v2, 0
	s_and_saveexec_b32 s25, s26
	s_cbranch_execz .LBB70_499
.LBB70_498:
	v_and_b32_e32 v2, 0xffff, v3
	s_delay_alu instid0(VALU_DEP_1) | instskip(SKIP_1) | instid1(VALU_DEP_2)
	v_dual_lshlrev_b32 v3, 24, v3 :: v_dual_bitop2_b32 v5, 3, v2 bitop3:0x40
	v_bfe_u32 v8, v2, 2, 5
	v_and_b32_e32 v3, 0x80000000, v3
	s_delay_alu instid0(VALU_DEP_3) | instskip(NEXT) | instid1(VALU_DEP_3)
	v_clz_i32_u32_e32 v6, v5
	v_cmp_eq_u32_e32 vcc_lo, 0, v8
	s_delay_alu instid0(VALU_DEP_2) | instskip(NEXT) | instid1(VALU_DEP_1)
	v_min_u32_e32 v6, 32, v6
	v_subrev_nc_u32_e32 v7, 29, v6
	v_sub_nc_u32_e32 v6, 30, v6
	s_delay_alu instid0(VALU_DEP_2) | instskip(NEXT) | instid1(VALU_DEP_2)
	v_lshlrev_b32_e32 v2, v7, v2
	v_cndmask_b32_e32 v6, v8, v6, vcc_lo
	s_delay_alu instid0(VALU_DEP_2) | instskip(NEXT) | instid1(VALU_DEP_1)
	v_and_b32_e32 v2, 3, v2
	v_cndmask_b32_e32 v2, v5, v2, vcc_lo
	s_delay_alu instid0(VALU_DEP_3) | instskip(NEXT) | instid1(VALU_DEP_2)
	v_lshl_add_u32 v5, v6, 23, 0x37800000
	v_lshlrev_b32_e32 v2, 21, v2
	s_delay_alu instid0(VALU_DEP_1) | instskip(NEXT) | instid1(VALU_DEP_1)
	v_or3_b32 v2, v3, v5, v2
	v_cvt_i32_f32_e32 v2, v2
.LBB70_499:
	s_or_b32 exec_lo, exec_lo, s25
	s_mov_b32 s25, 0
	s_branch .LBB70_505
.LBB70_500:
	s_mov_b32 s26, -1
                                        ; implicit-def: $vgpr2
	s_branch .LBB70_511
.LBB70_501:
	s_and_not1_saveexec_b32 s25, s25
	s_cbranch_execz .LBB70_486
.LBB70_502:
	v_cmp_ne_u16_e32 vcc_lo, 0, v3
	s_and_not1_b32 s26, s26, exec_lo
	s_and_b32 s27, vcc_lo, exec_lo
	s_delay_alu instid0(SALU_CYCLE_1)
	s_or_b32 s26, s26, s27
	s_or_b32 exec_lo, exec_lo, s25
	v_mov_b32_e32 v2, 0
	s_and_saveexec_b32 s25, s26
	s_cbranch_execnz .LBB70_487
	s_branch .LBB70_488
.LBB70_503:
	s_mov_b32 s25, -1
                                        ; implicit-def: $vgpr2
	s_branch .LBB70_508
.LBB70_504:
	s_mov_b32 s25, -1
                                        ; implicit-def: $vgpr2
.LBB70_505:
	s_delay_alu instid0(SALU_CYCLE_1)
	s_and_b32 vcc_lo, exec_lo, s25
	s_cbranch_vccz .LBB70_507
; %bb.506:
	s_wait_loadcnt 0x0
	global_load_u8 v2, v[0:1], off
	s_wait_loadcnt 0x0
	v_lshlrev_b32_e32 v2, 24, v2
	s_delay_alu instid0(VALU_DEP_1) | instskip(NEXT) | instid1(VALU_DEP_1)
	v_and_b32_e32 v3, 0x7f000000, v2
	v_clz_i32_u32_e32 v5, v3
	v_add_nc_u32_e32 v7, 0x1000000, v3
	v_cmp_ne_u32_e32 vcc_lo, 0, v3
	s_delay_alu instid0(VALU_DEP_3) | instskip(NEXT) | instid1(VALU_DEP_1)
	v_min_u32_e32 v5, 32, v5
	v_sub_nc_u32_e64 v5, v5, 4 clamp
	s_delay_alu instid0(VALU_DEP_1) | instskip(NEXT) | instid1(VALU_DEP_1)
	v_dual_lshlrev_b32 v6, v5, v3 :: v_dual_lshlrev_b32 v5, 23, v5
	v_lshrrev_b32_e32 v6, 4, v6
	s_delay_alu instid0(VALU_DEP_1) | instskip(NEXT) | instid1(VALU_DEP_1)
	v_dual_sub_nc_u32 v5, v6, v5 :: v_dual_ashrrev_i32 v6, 8, v7
	v_add_nc_u32_e32 v5, 0x3c000000, v5
	s_delay_alu instid0(VALU_DEP_1) | instskip(NEXT) | instid1(VALU_DEP_1)
	v_and_or_b32 v5, 0x7f800000, v6, v5
	v_cndmask_b32_e32 v3, 0, v5, vcc_lo
	s_delay_alu instid0(VALU_DEP_1) | instskip(NEXT) | instid1(VALU_DEP_1)
	v_and_or_b32 v2, 0x80000000, v2, v3
	v_cvt_i32_f32_e32 v2, v2
.LBB70_507:
	s_mov_b32 s25, 0
.LBB70_508:
	s_delay_alu instid0(SALU_CYCLE_1)
	s_and_not1_b32 vcc_lo, exec_lo, s25
	s_cbranch_vccnz .LBB70_510
; %bb.509:
	s_wait_loadcnt 0x0
	global_load_u8 v2, v[0:1], off
	s_wait_loadcnt 0x0
	v_lshlrev_b32_e32 v3, 25, v2
	v_lshlrev_b16 v2, 8, v2
	s_delay_alu instid0(VALU_DEP_2) | instskip(NEXT) | instid1(VALU_DEP_2)
	v_cmp_gt_u32_e32 vcc_lo, 0x8000000, v3
	v_and_or_b32 v6, 0x7f00, v2, 0.5
	v_lshrrev_b32_e32 v5, 4, v3
	v_bfe_i32 v2, v2, 0, 16
	s_delay_alu instid0(VALU_DEP_3) | instskip(NEXT) | instid1(VALU_DEP_3)
	v_add_f32_e32 v6, -0.5, v6
	v_or_b32_e32 v5, 0x70000000, v5
	s_delay_alu instid0(VALU_DEP_1) | instskip(NEXT) | instid1(VALU_DEP_1)
	v_mul_f32_e32 v5, 0x7800000, v5
	v_cndmask_b32_e32 v3, v5, v6, vcc_lo
	s_delay_alu instid0(VALU_DEP_1) | instskip(NEXT) | instid1(VALU_DEP_1)
	v_and_or_b32 v2, 0x80000000, v2, v3
	v_cvt_i32_f32_e32 v2, v2
.LBB70_510:
	s_mov_b32 s26, 0
	s_mov_b32 s25, -1
.LBB70_511:
	s_and_not1_b32 vcc_lo, exec_lo, s26
	s_cbranch_vccnz .LBB70_524
; %bb.512:
	s_cmp_gt_i32 s0, 14
	s_cbranch_scc0 .LBB70_515
; %bb.513:
	s_cmp_eq_u32 s0, 15
	s_cbranch_scc0 .LBB70_518
; %bb.514:
	s_wait_loadcnt 0x0
	global_load_u16 v2, v[0:1], off
	s_mov_b32 s25, -1
	s_mov_b32 s24, 0
	s_wait_loadcnt 0x0
	v_lshlrev_b32_e32 v2, 16, v2
	s_delay_alu instid0(VALU_DEP_1)
	v_cvt_i32_f32_e32 v2, v2
	s_branch .LBB70_519
.LBB70_515:
	s_mov_b32 s26, -1
                                        ; implicit-def: $vgpr2
	s_branch .LBB70_520
.LBB70_516:
	s_and_not1_saveexec_b32 s25, s25
	s_cbranch_execz .LBB70_497
.LBB70_517:
	v_cmp_ne_u16_e32 vcc_lo, 0, v3
	s_and_not1_b32 s26, s26, exec_lo
	s_and_b32 s27, vcc_lo, exec_lo
	s_delay_alu instid0(SALU_CYCLE_1)
	s_or_b32 s26, s26, s27
	s_or_b32 exec_lo, exec_lo, s25
	v_mov_b32_e32 v2, 0
	s_and_saveexec_b32 s25, s26
	s_cbranch_execnz .LBB70_498
	s_branch .LBB70_499
.LBB70_518:
	s_mov_b32 s24, -1
                                        ; implicit-def: $vgpr2
.LBB70_519:
	s_mov_b32 s26, 0
.LBB70_520:
	s_delay_alu instid0(SALU_CYCLE_1)
	s_and_b32 vcc_lo, exec_lo, s26
	s_cbranch_vccz .LBB70_524
; %bb.521:
	s_cmp_eq_u32 s0, 11
	s_cbranch_scc0 .LBB70_523
; %bb.522:
	s_wait_loadcnt 0x0
	global_load_u8 v2, v[0:1], off
	s_mov_b32 s24, 0
	s_mov_b32 s25, -1
	s_wait_loadcnt 0x0
	v_cmp_ne_u16_e32 vcc_lo, 0, v2
	v_cndmask_b32_e64 v2, 0, 1, vcc_lo
	s_branch .LBB70_524
.LBB70_523:
	s_mov_b32 s24, -1
                                        ; implicit-def: $vgpr2
.LBB70_524:
	s_mov_b32 s26, 0
.LBB70_525:
	s_delay_alu instid0(SALU_CYCLE_1)
	s_and_b32 vcc_lo, exec_lo, s26
	s_cbranch_vccz .LBB70_574
; %bb.526:
	s_cmp_lt_i32 s0, 5
	s_cbranch_scc1 .LBB70_531
; %bb.527:
	s_cmp_lt_i32 s0, 8
	s_cbranch_scc1 .LBB70_532
	;; [unrolled: 3-line block ×3, first 2 shown]
; %bb.529:
	s_cmp_gt_i32 s0, 9
	s_cbranch_scc0 .LBB70_534
; %bb.530:
	s_wait_loadcnt 0x0
	global_load_b64 v[2:3], v[0:1], off
	s_mov_b32 s25, 0
	s_wait_loadcnt 0x0
	v_cvt_i32_f64_e32 v2, v[2:3]
	s_branch .LBB70_535
.LBB70_531:
	s_mov_b32 s25, -1
                                        ; implicit-def: $vgpr2
	s_branch .LBB70_553
.LBB70_532:
	s_mov_b32 s25, -1
                                        ; implicit-def: $vgpr2
	s_branch .LBB70_541
.LBB70_533:
	s_mov_b32 s25, -1
                                        ; implicit-def: $vgpr2
	s_branch .LBB70_538
.LBB70_534:
	s_mov_b32 s25, -1
                                        ; implicit-def: $vgpr2
.LBB70_535:
	s_delay_alu instid0(SALU_CYCLE_1)
	s_and_not1_b32 vcc_lo, exec_lo, s25
	s_cbranch_vccnz .LBB70_537
; %bb.536:
	s_wait_loadcnt 0x0
	global_load_b32 v2, v[0:1], off
	s_wait_loadcnt 0x0
	v_cvt_i32_f32_e32 v2, v2
.LBB70_537:
	s_mov_b32 s25, 0
.LBB70_538:
	s_delay_alu instid0(SALU_CYCLE_1)
	s_and_not1_b32 vcc_lo, exec_lo, s25
	s_cbranch_vccnz .LBB70_540
; %bb.539:
	s_wait_loadcnt 0x0
	global_load_b32 v2, v[0:1], off
	s_wait_loadcnt 0x0
	v_cvt_f32_f16_e32 v2, v2
	s_delay_alu instid0(VALU_DEP_1)
	v_cvt_i32_f32_e32 v2, v2
.LBB70_540:
	s_mov_b32 s25, 0
.LBB70_541:
	s_delay_alu instid0(SALU_CYCLE_1)
	s_and_not1_b32 vcc_lo, exec_lo, s25
	s_cbranch_vccnz .LBB70_552
; %bb.542:
	s_cmp_lt_i32 s0, 6
	s_cbranch_scc1 .LBB70_545
; %bb.543:
	s_cmp_gt_i32 s0, 6
	s_cbranch_scc0 .LBB70_546
; %bb.544:
	s_wait_loadcnt 0x0
	global_load_b64 v[2:3], v[0:1], off
	s_mov_b32 s25, 0
	s_wait_loadcnt 0x0
	v_cvt_i32_f64_e32 v2, v[2:3]
	s_branch .LBB70_547
.LBB70_545:
	s_mov_b32 s25, -1
                                        ; implicit-def: $vgpr2
	s_branch .LBB70_550
.LBB70_546:
	s_mov_b32 s25, -1
                                        ; implicit-def: $vgpr2
.LBB70_547:
	s_delay_alu instid0(SALU_CYCLE_1)
	s_and_not1_b32 vcc_lo, exec_lo, s25
	s_cbranch_vccnz .LBB70_549
; %bb.548:
	s_wait_loadcnt 0x0
	global_load_b32 v2, v[0:1], off
	s_wait_loadcnt 0x0
	v_cvt_i32_f32_e32 v2, v2
.LBB70_549:
	s_mov_b32 s25, 0
.LBB70_550:
	s_delay_alu instid0(SALU_CYCLE_1)
	s_and_not1_b32 vcc_lo, exec_lo, s25
	s_cbranch_vccnz .LBB70_552
; %bb.551:
	s_wait_loadcnt 0x0
	global_load_u16 v2, v[0:1], off
	s_wait_loadcnt 0x0
	v_cvt_f32_f16_e32 v2, v2
	s_delay_alu instid0(VALU_DEP_1)
	v_cvt_i32_f32_e32 v2, v2
.LBB70_552:
	s_mov_b32 s25, 0
.LBB70_553:
	s_delay_alu instid0(SALU_CYCLE_1)
	s_and_not1_b32 vcc_lo, exec_lo, s25
	s_cbranch_vccnz .LBB70_573
; %bb.554:
	s_cmp_lt_i32 s0, 2
	s_cbranch_scc1 .LBB70_558
; %bb.555:
	s_cmp_lt_i32 s0, 3
	s_cbranch_scc1 .LBB70_559
; %bb.556:
	s_cmp_gt_i32 s0, 3
	s_cbranch_scc0 .LBB70_560
; %bb.557:
	s_wait_loadcnt 0x0
	global_load_b32 v2, v[0:1], off
	s_mov_b32 s25, 0
	s_branch .LBB70_561
.LBB70_558:
	s_mov_b32 s25, -1
                                        ; implicit-def: $vgpr2
	s_branch .LBB70_567
.LBB70_559:
	s_mov_b32 s25, -1
                                        ; implicit-def: $vgpr2
	s_branch .LBB70_564
.LBB70_560:
	s_mov_b32 s25, -1
                                        ; implicit-def: $vgpr2
.LBB70_561:
	s_delay_alu instid0(SALU_CYCLE_1)
	s_and_not1_b32 vcc_lo, exec_lo, s25
	s_cbranch_vccnz .LBB70_563
; %bb.562:
	s_wait_loadcnt 0x0
	global_load_b32 v2, v[0:1], off
.LBB70_563:
	s_mov_b32 s25, 0
.LBB70_564:
	s_delay_alu instid0(SALU_CYCLE_1)
	s_and_not1_b32 vcc_lo, exec_lo, s25
	s_cbranch_vccnz .LBB70_566
; %bb.565:
	s_wait_loadcnt 0x0
	global_load_i16 v2, v[0:1], off
.LBB70_566:
	s_mov_b32 s25, 0
.LBB70_567:
	s_delay_alu instid0(SALU_CYCLE_1)
	s_and_not1_b32 vcc_lo, exec_lo, s25
	s_cbranch_vccnz .LBB70_573
; %bb.568:
	s_cmp_gt_i32 s0, 0
	s_mov_b32 s0, 0
	s_cbranch_scc0 .LBB70_570
; %bb.569:
	s_wait_loadcnt 0x0
	global_load_i8 v2, v[0:1], off
	s_branch .LBB70_571
.LBB70_570:
	s_mov_b32 s0, -1
                                        ; implicit-def: $vgpr2
.LBB70_571:
	s_delay_alu instid0(SALU_CYCLE_1)
	s_and_not1_b32 vcc_lo, exec_lo, s0
	s_cbranch_vccnz .LBB70_573
; %bb.572:
	s_wait_loadcnt 0x0
	global_load_u8 v2, v[0:1], off
.LBB70_573:
	s_mov_b32 s25, -1
.LBB70_574:
	s_delay_alu instid0(SALU_CYCLE_1)
	s_and_not1_b32 vcc_lo, exec_lo, s25
	s_cbranch_vccnz .LBB70_583
; %bb.575:
	s_wait_loadcnt 0x0
	s_delay_alu instid0(VALU_DEP_1)
	v_cmp_le_i32_e32 vcc_lo, s10, v2
	v_cmp_gt_i32_e64 s0, s12, v2
	s_mov_b32 s26, 0
	s_mov_b32 s27, -1
	s_mov_b32 s25, s20
	s_and_b32 s0, vcc_lo, s0
	s_delay_alu instid0(SALU_CYCLE_1)
	s_and_b32 s28, s11, s0
	s_wait_xcnt 0x0
	s_and_saveexec_b32 s0, s28
	s_cbranch_execz .LBB70_671
; %bb.576:
	v_mul_lo_u32 v0, v4, s8
	s_and_b32 s26, s14, 0xff
	s_delay_alu instid0(SALU_CYCLE_1) | instskip(NEXT) | instid1(VALU_DEP_1)
	s_cmp_lt_i32 s26, 11
	v_ashrrev_i32_e32 v1, 31, v0
	s_delay_alu instid0(VALU_DEP_1)
	v_add_nc_u64_e32 v[0:1], s[4:5], v[0:1]
	s_cbranch_scc1 .LBB70_584
; %bb.577:
	s_and_b32 s27, 0xffff, s26
	s_delay_alu instid0(SALU_CYCLE_1)
	s_cmp_gt_i32 s27, 25
	s_cbranch_scc0 .LBB70_585
; %bb.578:
	s_cmp_gt_i32 s27, 28
	s_cbranch_scc0 .LBB70_586
; %bb.579:
	;; [unrolled: 3-line block ×4, first 2 shown]
	s_mov_b32 s29, 0
	s_mov_b32 s25, -1
	s_cmp_eq_u32 s27, 46
	s_mov_b32 s28, 0
	s_cbranch_scc0 .LBB70_589
; %bb.582:
	v_mov_b32_e32 v2, 0
	s_mov_b32 s28, -1
	s_mov_b32 s25, 0
	global_store_b32 v[0:1], v2, off
	s_branch .LBB70_589
.LBB70_583:
	s_mov_b32 s26, 0
	s_mov_b32 s25, s20
	;; [unrolled: 1-line block ×3, first 2 shown]
                                        ; implicit-def: $vgpr4
	s_branch .LBB70_672
.LBB70_584:
	s_mov_b32 s28, 0
	s_mov_b32 s25, s20
	s_branch .LBB70_628
.LBB70_585:
	s_mov_b32 s28, 0
	s_mov_b32 s25, s20
	s_branch .LBB70_608
.LBB70_586:
	s_mov_b32 s28, 0
	s_mov_b32 s25, s20
	s_branch .LBB70_597
.LBB70_587:
	s_mov_b32 s28, 0
	s_mov_b32 s25, s20
	s_branch .LBB70_593
.LBB70_588:
	s_mov_b32 s28, 0
	s_mov_b32 s25, s20
.LBB70_589:
	s_and_b32 vcc_lo, exec_lo, s29
	s_cbranch_vccz .LBB70_592
; %bb.590:
	s_cmp_eq_u32 s27, 44
	s_mov_b32 s25, -1
	s_cbranch_scc0 .LBB70_592
; %bb.591:
	s_wait_xcnt 0x0
	v_mov_b32_e32 v2, 0
	s_mov_b32 s28, -1
	s_mov_b32 s25, 0
	global_store_b8 v[0:1], v2, off
.LBB70_592:
	s_mov_b32 s29, 0
.LBB70_593:
	s_delay_alu instid0(SALU_CYCLE_1)
	s_and_b32 vcc_lo, exec_lo, s29
	s_cbranch_vccz .LBB70_596
; %bb.594:
	s_cmp_eq_u32 s27, 29
	s_mov_b32 s25, -1
	s_cbranch_scc0 .LBB70_596
; %bb.595:
	s_wait_xcnt 0x0
	v_mov_b64_e32 v[2:3], 0
	s_mov_b32 s28, -1
	s_mov_b32 s25, 0
	s_mov_b32 s29, 0
	global_store_b64 v[0:1], v[2:3], off
	s_branch .LBB70_597
.LBB70_596:
	s_mov_b32 s29, 0
.LBB70_597:
	s_delay_alu instid0(SALU_CYCLE_1)
	s_and_b32 vcc_lo, exec_lo, s29
	s_cbranch_vccz .LBB70_607
; %bb.598:
	s_cmp_lt_i32 s27, 27
	s_mov_b32 s28, -1
	s_cbranch_scc1 .LBB70_604
; %bb.599:
	s_cmp_gt_i32 s27, 27
	s_cbranch_scc0 .LBB70_601
; %bb.600:
	s_wait_xcnt 0x0
	v_mov_b32_e32 v2, 0
	s_mov_b32 s28, 0
	global_store_b32 v[0:1], v2, off
.LBB70_601:
	s_and_not1_b32 vcc_lo, exec_lo, s28
	s_cbranch_vccnz .LBB70_603
; %bb.602:
	s_wait_xcnt 0x0
	v_mov_b32_e32 v2, 0
	global_store_b16 v[0:1], v2, off
.LBB70_603:
	s_mov_b32 s28, 0
.LBB70_604:
	s_delay_alu instid0(SALU_CYCLE_1)
	s_and_not1_b32 vcc_lo, exec_lo, s28
	s_cbranch_vccnz .LBB70_606
; %bb.605:
	s_wait_xcnt 0x0
	v_mov_b32_e32 v2, 0
	global_store_b8 v[0:1], v2, off
.LBB70_606:
	s_mov_b32 s28, -1
.LBB70_607:
	s_mov_b32 s29, 0
.LBB70_608:
	s_delay_alu instid0(SALU_CYCLE_1)
	s_and_b32 vcc_lo, exec_lo, s29
	s_cbranch_vccz .LBB70_627
; %bb.609:
	s_cmp_gt_i32 s27, 22
	s_mov_b32 s29, -1
	s_cbranch_scc0 .LBB70_619
; %bb.610:
	s_cmp_lt_i32 s27, 24
	s_mov_b32 s28, -1
	s_cbranch_scc1 .LBB70_616
; %bb.611:
	s_cmp_gt_i32 s27, 24
	s_cbranch_scc0 .LBB70_613
; %bb.612:
	s_wait_xcnt 0x0
	v_mov_b32_e32 v2, 0
	s_mov_b32 s28, 0
	global_store_b8 v[0:1], v2, off
.LBB70_613:
	s_and_not1_b32 vcc_lo, exec_lo, s28
	s_cbranch_vccnz .LBB70_615
; %bb.614:
	s_wait_xcnt 0x0
	v_mov_b32_e32 v2, 0
	global_store_b8 v[0:1], v2, off
.LBB70_615:
	s_mov_b32 s28, 0
.LBB70_616:
	s_delay_alu instid0(SALU_CYCLE_1)
	s_and_not1_b32 vcc_lo, exec_lo, s28
	s_cbranch_vccnz .LBB70_618
; %bb.617:
	s_wait_xcnt 0x0
	v_mov_b32_e32 v2, 0
	global_store_b8 v[0:1], v2, off
.LBB70_618:
	s_mov_b32 s29, 0
	s_mov_b32 s28, -1
.LBB70_619:
	s_and_not1_b32 vcc_lo, exec_lo, s29
	s_cbranch_vccnz .LBB70_627
; %bb.620:
	s_cmp_gt_i32 s27, 14
	s_mov_b32 s29, -1
	s_cbranch_scc0 .LBB70_624
; %bb.621:
	s_cmp_eq_u32 s27, 15
	s_mov_b32 s25, -1
	s_cbranch_scc0 .LBB70_623
; %bb.622:
	s_wait_xcnt 0x0
	v_mov_b32_e32 v2, 0
	s_mov_b32 s28, -1
	s_mov_b32 s25, 0
	global_store_b16 v[0:1], v2, off
.LBB70_623:
	s_mov_b32 s29, 0
.LBB70_624:
	s_delay_alu instid0(SALU_CYCLE_1)
	s_and_b32 vcc_lo, exec_lo, s29
	s_cbranch_vccz .LBB70_627
; %bb.625:
	s_cmp_eq_u32 s27, 11
	s_mov_b32 s25, -1
	s_cbranch_scc0 .LBB70_627
; %bb.626:
	s_wait_xcnt 0x0
	v_mov_b32_e32 v2, 0
	s_mov_b32 s28, -1
	s_mov_b32 s25, 0
	global_store_b8 v[0:1], v2, off
.LBB70_627:
	s_mov_b32 s27, 0
.LBB70_628:
	s_delay_alu instid0(SALU_CYCLE_1)
	s_and_b32 vcc_lo, exec_lo, s27
	s_cbranch_vccz .LBB70_667
; %bb.629:
	s_and_b32 s26, 0xffff, s26
	s_mov_b32 s27, -1
	s_cmp_lt_i32 s26, 5
	s_cbranch_scc1 .LBB70_650
; %bb.630:
	s_cmp_lt_i32 s26, 8
	s_cbranch_scc1 .LBB70_640
; %bb.631:
	;; [unrolled: 3-line block ×3, first 2 shown]
	s_cmp_gt_i32 s26, 9
	s_cbranch_scc0 .LBB70_634
; %bb.633:
	v_mov_b32_e32 v6, 0
	s_mov_b32 s27, 0
	s_delay_alu instid0(VALU_DEP_1)
	v_dual_mov_b32 v7, v6 :: v_dual_mov_b32 v8, v6
	v_mov_b32_e32 v9, v6
	global_store_b128 v[0:1], v[6:9], off
.LBB70_634:
	s_and_not1_b32 vcc_lo, exec_lo, s27
	s_cbranch_vccnz .LBB70_636
; %bb.635:
	s_wait_xcnt 0x0
	v_mov_b64_e32 v[2:3], 0
	global_store_b64 v[0:1], v[2:3], off
.LBB70_636:
	s_mov_b32 s27, 0
.LBB70_637:
	s_delay_alu instid0(SALU_CYCLE_1)
	s_and_not1_b32 vcc_lo, exec_lo, s27
	s_cbranch_vccnz .LBB70_639
; %bb.638:
	s_wait_xcnt 0x0
	v_mov_b32_e32 v2, 0
	global_store_b32 v[0:1], v2, off
.LBB70_639:
	s_mov_b32 s27, 0
.LBB70_640:
	s_delay_alu instid0(SALU_CYCLE_1)
	s_and_not1_b32 vcc_lo, exec_lo, s27
	s_cbranch_vccnz .LBB70_649
; %bb.641:
	s_cmp_lt_i32 s26, 6
	s_mov_b32 s27, -1
	s_cbranch_scc1 .LBB70_647
; %bb.642:
	s_cmp_gt_i32 s26, 6
	s_cbranch_scc0 .LBB70_644
; %bb.643:
	s_wait_xcnt 0x0
	v_mov_b64_e32 v[2:3], 0
	s_mov_b32 s27, 0
	global_store_b64 v[0:1], v[2:3], off
.LBB70_644:
	s_and_not1_b32 vcc_lo, exec_lo, s27
	s_cbranch_vccnz .LBB70_646
; %bb.645:
	s_wait_xcnt 0x0
	v_mov_b32_e32 v2, 0
	global_store_b32 v[0:1], v2, off
.LBB70_646:
	s_mov_b32 s27, 0
.LBB70_647:
	s_delay_alu instid0(SALU_CYCLE_1)
	s_and_not1_b32 vcc_lo, exec_lo, s27
	s_cbranch_vccnz .LBB70_649
; %bb.648:
	s_wait_xcnt 0x0
	v_mov_b32_e32 v2, 0
	global_store_b16 v[0:1], v2, off
.LBB70_649:
	s_mov_b32 s27, 0
.LBB70_650:
	s_delay_alu instid0(SALU_CYCLE_1)
	s_and_not1_b32 vcc_lo, exec_lo, s27
	s_cbranch_vccnz .LBB70_666
; %bb.651:
	s_cmp_lt_i32 s26, 2
	s_mov_b32 s27, -1
	s_cbranch_scc1 .LBB70_661
; %bb.652:
	s_cmp_lt_i32 s26, 3
	s_cbranch_scc1 .LBB70_658
; %bb.653:
	s_cmp_gt_i32 s26, 3
	s_cbranch_scc0 .LBB70_655
; %bb.654:
	s_wait_xcnt 0x0
	v_mov_b64_e32 v[2:3], 0
	s_mov_b32 s27, 0
	global_store_b64 v[0:1], v[2:3], off
.LBB70_655:
	s_and_not1_b32 vcc_lo, exec_lo, s27
	s_cbranch_vccnz .LBB70_657
; %bb.656:
	s_wait_xcnt 0x0
	v_mov_b32_e32 v2, 0
	global_store_b32 v[0:1], v2, off
.LBB70_657:
	s_mov_b32 s27, 0
.LBB70_658:
	s_delay_alu instid0(SALU_CYCLE_1)
	s_and_not1_b32 vcc_lo, exec_lo, s27
	s_cbranch_vccnz .LBB70_660
; %bb.659:
	s_wait_xcnt 0x0
	v_mov_b32_e32 v2, 0
	global_store_b16 v[0:1], v2, off
.LBB70_660:
	s_mov_b32 s27, 0
.LBB70_661:
	s_delay_alu instid0(SALU_CYCLE_1)
	s_and_not1_b32 vcc_lo, exec_lo, s27
	s_cbranch_vccnz .LBB70_666
; %bb.662:
	s_cmp_gt_i32 s26, 0
	s_mov_b32 s26, -1
	s_cbranch_scc0 .LBB70_664
; %bb.663:
	s_wait_xcnt 0x0
	v_mov_b32_e32 v2, 0
	s_mov_b32 s26, 0
	global_store_b8 v[0:1], v2, off
.LBB70_664:
	s_and_not1_b32 vcc_lo, exec_lo, s26
	s_cbranch_vccnz .LBB70_666
; %bb.665:
	s_wait_xcnt 0x0
	v_mov_b32_e32 v2, 0
	global_store_b8 v[0:1], v2, off
.LBB70_666:
	s_mov_b32 s28, -1
.LBB70_667:
	s_delay_alu instid0(SALU_CYCLE_1)
	s_and_not1_b32 vcc_lo, exec_lo, s28
	s_cbranch_vccnz .LBB70_669
; %bb.668:
	v_add_nc_u32_e32 v4, 0x80, v4
	s_mov_b32 s26, -1
	s_branch .LBB70_670
.LBB70_669:
	s_mov_b32 s26, 0
                                        ; implicit-def: $vgpr4
.LBB70_670:
	s_and_not1_b32 s27, s20, exec_lo
	s_and_b32 s25, s25, exec_lo
	s_and_b32 s26, s26, exec_lo
	s_or_b32 s25, s27, s25
	s_xor_b32 s27, exec_lo, -1
.LBB70_671:
	s_wait_xcnt 0x0
	s_or_b32 exec_lo, exec_lo, s0
.LBB70_672:
	s_delay_alu instid0(SALU_CYCLE_1)
	s_and_not1_b32 s0, s20, exec_lo
	s_and_b32 s25, s25, exec_lo
	s_and_b32 s27, s27, exec_lo
	s_or_b32 s25, s0, s25
	s_and_not1_b32 s0, s21, exec_lo
	s_and_not1_b32 s28, s19, exec_lo
	s_and_b32 s29, s24, exec_lo
	s_or_b32 s24, s0, s27
	s_or_b32 s0, s28, s29
	s_or_not1_b32 s29, s26, exec_lo
.LBB70_673:
	s_wait_xcnt 0x0
	s_or_b32 exec_lo, exec_lo, s23
	s_mov_b32 s26, 0
	s_mov_b32 s27, 0
	;; [unrolled: 1-line block ×3, first 2 shown]
                                        ; implicit-def: $vgpr0_vgpr1
                                        ; implicit-def: $vgpr2
	s_and_saveexec_b32 s23, s29
	s_cbranch_execz .LBB70_750
; %bb.674:
	v_cmp_gt_i32_e32 vcc_lo, s13, v4
	s_mov_b32 s30, s0
	s_mov_b32 s29, 0
	;; [unrolled: 1-line block ×3, first 2 shown]
                                        ; implicit-def: $vgpr0_vgpr1
                                        ; implicit-def: $vgpr2
	s_and_saveexec_b32 s13, vcc_lo
	s_cbranch_execz .LBB70_749
; %bb.675:
	v_mul_lo_u32 v0, v4, s9
	s_and_b32 s26, 0xffff, s2
	s_delay_alu instid0(SALU_CYCLE_1) | instskip(NEXT) | instid1(VALU_DEP_1)
	s_cmp_lt_i32 s26, 11
	v_ashrrev_i32_e32 v1, 31, v0
	s_delay_alu instid0(VALU_DEP_1)
	v_add_nc_u64_e32 v[0:1], s[6:7], v[0:1]
	s_cbranch_scc1 .LBB70_682
; %bb.676:
	s_cmp_gt_i32 s26, 25
	s_cbranch_scc0 .LBB70_683
; %bb.677:
	s_cmp_gt_i32 s26, 28
	s_cbranch_scc0 .LBB70_684
	;; [unrolled: 3-line block ×4, first 2 shown]
; %bb.680:
	s_cmp_eq_u32 s26, 46
	s_mov_b32 s30, 0
	s_cbranch_scc0 .LBB70_687
; %bb.681:
	s_wait_loadcnt 0x0
	global_load_b32 v2, v[0:1], off
	s_mov_b32 s29, -1
	s_wait_loadcnt 0x0
	v_lshlrev_b32_e32 v2, 16, v2
	s_delay_alu instid0(VALU_DEP_1)
	v_cvt_i32_f32_e32 v2, v2
	s_branch .LBB70_689
.LBB70_682:
	s_mov_b32 s26, -1
	s_mov_b32 s27, s0
                                        ; implicit-def: $vgpr2
	s_branch .LBB70_748
.LBB70_683:
	s_mov_b32 s30, -1
	s_mov_b32 s27, s0
                                        ; implicit-def: $vgpr2
	s_branch .LBB70_716
.LBB70_684:
	s_mov_b32 s30, -1
	s_mov_b32 s27, s0
                                        ; implicit-def: $vgpr2
	s_branch .LBB70_699
.LBB70_685:
	s_mov_b32 s30, -1
	s_mov_b32 s27, s0
                                        ; implicit-def: $vgpr2
	s_branch .LBB70_694
.LBB70_686:
	s_mov_b32 s30, -1
	s_mov_b32 s27, s0
	s_branch .LBB70_688
.LBB70_687:
	s_mov_b32 s27, -1
.LBB70_688:
                                        ; implicit-def: $vgpr2
.LBB70_689:
	s_and_b32 vcc_lo, exec_lo, s30
	s_cbranch_vccz .LBB70_693
; %bb.690:
	s_cmp_eq_u32 s26, 44
	s_cbranch_scc0 .LBB70_692
; %bb.691:
	s_wait_loadcnt 0x0
	global_load_u8 v2, v[0:1], off
	s_mov_b32 s27, 0
	s_mov_b32 s29, -1
	s_wait_loadcnt 0x0
	v_lshlrev_b32_e32 v3, 23, v2
	v_cmp_ne_u32_e32 vcc_lo, 0, v2
	s_delay_alu instid0(VALU_DEP_2) | instskip(NEXT) | instid1(VALU_DEP_1)
	v_cvt_i32_f32_e32 v3, v3
	v_cndmask_b32_e32 v2, 0, v3, vcc_lo
	s_branch .LBB70_693
.LBB70_692:
	s_mov_b32 s27, -1
                                        ; implicit-def: $vgpr2
.LBB70_693:
	s_mov_b32 s30, 0
.LBB70_694:
	s_delay_alu instid0(SALU_CYCLE_1)
	s_and_b32 vcc_lo, exec_lo, s30
	s_cbranch_vccz .LBB70_698
; %bb.695:
	s_cmp_eq_u32 s26, 29
	s_cbranch_scc0 .LBB70_697
; %bb.696:
	s_wait_loadcnt 0x0
	global_load_b32 v2, v[0:1], off
	s_mov_b32 s27, 0
	s_mov_b32 s29, -1
	s_branch .LBB70_698
.LBB70_697:
	s_mov_b32 s27, -1
                                        ; implicit-def: $vgpr2
.LBB70_698:
	s_mov_b32 s30, 0
.LBB70_699:
	s_delay_alu instid0(SALU_CYCLE_1)
	s_and_b32 vcc_lo, exec_lo, s30
	s_cbranch_vccz .LBB70_715
; %bb.700:
	s_cmp_lt_i32 s26, 27
	s_cbranch_scc1 .LBB70_703
; %bb.701:
	s_cmp_gt_i32 s26, 27
	s_cbranch_scc0 .LBB70_704
; %bb.702:
	s_wait_loadcnt 0x0
	global_load_b32 v2, v[0:1], off
	s_mov_b32 s29, 0
	s_branch .LBB70_705
.LBB70_703:
	s_mov_b32 s29, -1
                                        ; implicit-def: $vgpr2
	s_branch .LBB70_708
.LBB70_704:
	s_mov_b32 s29, -1
                                        ; implicit-def: $vgpr2
.LBB70_705:
	s_delay_alu instid0(SALU_CYCLE_1)
	s_and_not1_b32 vcc_lo, exec_lo, s29
	s_cbranch_vccnz .LBB70_707
; %bb.706:
	s_wait_loadcnt 0x0
	global_load_u16 v2, v[0:1], off
.LBB70_707:
	s_mov_b32 s29, 0
.LBB70_708:
	s_delay_alu instid0(SALU_CYCLE_1)
	s_and_not1_b32 vcc_lo, exec_lo, s29
	s_cbranch_vccnz .LBB70_714
; %bb.709:
	global_load_u8 v3, v[0:1], off
	s_mov_b32 s30, 0
	s_mov_b32 s29, exec_lo
	s_wait_loadcnt 0x0
	v_cmpx_lt_i16_e32 0x7f, v3
	s_xor_b32 s29, exec_lo, s29
	s_cbranch_execz .LBB70_726
; %bb.710:
	v_cmp_ne_u16_e32 vcc_lo, 0x80, v3
	s_and_b32 s30, vcc_lo, exec_lo
	s_and_not1_saveexec_b32 s29, s29
	s_cbranch_execnz .LBB70_727
.LBB70_711:
	s_or_b32 exec_lo, exec_lo, s29
	v_mov_b32_e32 v2, 0
	s_and_saveexec_b32 s29, s30
	s_cbranch_execz .LBB70_713
.LBB70_712:
	v_and_b32_e32 v2, 0xffff, v3
	s_delay_alu instid0(VALU_DEP_1) | instskip(SKIP_1) | instid1(VALU_DEP_2)
	v_dual_lshlrev_b32 v3, 24, v3 :: v_dual_bitop2_b32 v5, 7, v2 bitop3:0x40
	v_bfe_u32 v8, v2, 3, 4
	v_and_b32_e32 v3, 0x80000000, v3
	s_delay_alu instid0(VALU_DEP_3) | instskip(NEXT) | instid1(VALU_DEP_3)
	v_clz_i32_u32_e32 v6, v5
	v_cmp_eq_u32_e32 vcc_lo, 0, v8
	s_delay_alu instid0(VALU_DEP_2) | instskip(NEXT) | instid1(VALU_DEP_1)
	v_min_u32_e32 v6, 32, v6
	v_subrev_nc_u32_e32 v7, 28, v6
	v_sub_nc_u32_e32 v6, 29, v6
	s_delay_alu instid0(VALU_DEP_2) | instskip(NEXT) | instid1(VALU_DEP_2)
	v_lshlrev_b32_e32 v2, v7, v2
	v_cndmask_b32_e32 v6, v8, v6, vcc_lo
	s_delay_alu instid0(VALU_DEP_2) | instskip(NEXT) | instid1(VALU_DEP_1)
	v_and_b32_e32 v2, 7, v2
	v_cndmask_b32_e32 v2, v5, v2, vcc_lo
	s_delay_alu instid0(VALU_DEP_3) | instskip(NEXT) | instid1(VALU_DEP_2)
	v_lshl_add_u32 v5, v6, 23, 0x3b800000
	v_lshlrev_b32_e32 v2, 20, v2
	s_delay_alu instid0(VALU_DEP_1) | instskip(NEXT) | instid1(VALU_DEP_1)
	v_or3_b32 v2, v3, v5, v2
	v_cvt_i32_f32_e32 v2, v2
.LBB70_713:
	s_or_b32 exec_lo, exec_lo, s29
.LBB70_714:
	s_mov_b32 s29, -1
.LBB70_715:
	s_mov_b32 s30, 0
.LBB70_716:
	s_delay_alu instid0(SALU_CYCLE_1)
	s_and_b32 vcc_lo, exec_lo, s30
	s_cbranch_vccz .LBB70_747
; %bb.717:
	s_cmp_gt_i32 s26, 22
	s_cbranch_scc0 .LBB70_725
; %bb.718:
	s_cmp_lt_i32 s26, 24
	s_cbranch_scc1 .LBB70_728
; %bb.719:
	s_cmp_gt_i32 s26, 24
	s_cbranch_scc0 .LBB70_729
; %bb.720:
	global_load_u8 v3, v[0:1], off
	s_mov_b32 s29, 0
	s_mov_b32 s28, exec_lo
	s_wait_loadcnt 0x0
	v_cmpx_lt_i16_e32 0x7f, v3
	s_xor_b32 s28, exec_lo, s28
	s_cbranch_execz .LBB70_741
; %bb.721:
	v_cmp_ne_u16_e32 vcc_lo, 0x80, v3
	s_and_b32 s29, vcc_lo, exec_lo
	s_and_not1_saveexec_b32 s28, s28
	s_cbranch_execnz .LBB70_742
.LBB70_722:
	s_or_b32 exec_lo, exec_lo, s28
	v_mov_b32_e32 v2, 0
	s_and_saveexec_b32 s28, s29
	s_cbranch_execz .LBB70_724
.LBB70_723:
	v_and_b32_e32 v2, 0xffff, v3
	s_delay_alu instid0(VALU_DEP_1) | instskip(SKIP_1) | instid1(VALU_DEP_2)
	v_dual_lshlrev_b32 v3, 24, v3 :: v_dual_bitop2_b32 v5, 3, v2 bitop3:0x40
	v_bfe_u32 v8, v2, 2, 5
	v_and_b32_e32 v3, 0x80000000, v3
	s_delay_alu instid0(VALU_DEP_3) | instskip(NEXT) | instid1(VALU_DEP_3)
	v_clz_i32_u32_e32 v6, v5
	v_cmp_eq_u32_e32 vcc_lo, 0, v8
	s_delay_alu instid0(VALU_DEP_2) | instskip(NEXT) | instid1(VALU_DEP_1)
	v_min_u32_e32 v6, 32, v6
	v_subrev_nc_u32_e32 v7, 29, v6
	v_sub_nc_u32_e32 v6, 30, v6
	s_delay_alu instid0(VALU_DEP_2) | instskip(NEXT) | instid1(VALU_DEP_2)
	v_lshlrev_b32_e32 v2, v7, v2
	v_cndmask_b32_e32 v6, v8, v6, vcc_lo
	s_delay_alu instid0(VALU_DEP_2) | instskip(NEXT) | instid1(VALU_DEP_1)
	v_and_b32_e32 v2, 3, v2
	v_cndmask_b32_e32 v2, v5, v2, vcc_lo
	s_delay_alu instid0(VALU_DEP_3) | instskip(NEXT) | instid1(VALU_DEP_2)
	v_lshl_add_u32 v5, v6, 23, 0x37800000
	v_lshlrev_b32_e32 v2, 21, v2
	s_delay_alu instid0(VALU_DEP_1) | instskip(NEXT) | instid1(VALU_DEP_1)
	v_or3_b32 v2, v3, v5, v2
	v_cvt_i32_f32_e32 v2, v2
.LBB70_724:
	s_or_b32 exec_lo, exec_lo, s28
	s_mov_b32 s28, 0
	s_branch .LBB70_730
.LBB70_725:
	s_mov_b32 s28, -1
                                        ; implicit-def: $vgpr2
	s_branch .LBB70_736
.LBB70_726:
	s_and_not1_saveexec_b32 s29, s29
	s_cbranch_execz .LBB70_711
.LBB70_727:
	v_cmp_ne_u16_e32 vcc_lo, 0, v3
	s_and_not1_b32 s30, s30, exec_lo
	s_and_b32 s31, vcc_lo, exec_lo
	s_delay_alu instid0(SALU_CYCLE_1)
	s_or_b32 s30, s30, s31
	s_or_b32 exec_lo, exec_lo, s29
	v_mov_b32_e32 v2, 0
	s_and_saveexec_b32 s29, s30
	s_cbranch_execnz .LBB70_712
	s_branch .LBB70_713
.LBB70_728:
	s_mov_b32 s28, -1
                                        ; implicit-def: $vgpr2
	s_branch .LBB70_733
.LBB70_729:
	s_mov_b32 s28, -1
                                        ; implicit-def: $vgpr2
.LBB70_730:
	s_delay_alu instid0(SALU_CYCLE_1)
	s_and_b32 vcc_lo, exec_lo, s28
	s_cbranch_vccz .LBB70_732
; %bb.731:
	s_wait_loadcnt 0x0
	global_load_u8 v2, v[0:1], off
	s_wait_loadcnt 0x0
	v_lshlrev_b32_e32 v2, 24, v2
	s_delay_alu instid0(VALU_DEP_1) | instskip(NEXT) | instid1(VALU_DEP_1)
	v_and_b32_e32 v3, 0x7f000000, v2
	v_clz_i32_u32_e32 v5, v3
	v_add_nc_u32_e32 v7, 0x1000000, v3
	v_cmp_ne_u32_e32 vcc_lo, 0, v3
	s_delay_alu instid0(VALU_DEP_3) | instskip(NEXT) | instid1(VALU_DEP_1)
	v_min_u32_e32 v5, 32, v5
	v_sub_nc_u32_e64 v5, v5, 4 clamp
	s_delay_alu instid0(VALU_DEP_1) | instskip(NEXT) | instid1(VALU_DEP_1)
	v_dual_lshlrev_b32 v6, v5, v3 :: v_dual_lshlrev_b32 v5, 23, v5
	v_lshrrev_b32_e32 v6, 4, v6
	s_delay_alu instid0(VALU_DEP_1) | instskip(NEXT) | instid1(VALU_DEP_1)
	v_dual_sub_nc_u32 v5, v6, v5 :: v_dual_ashrrev_i32 v6, 8, v7
	v_add_nc_u32_e32 v5, 0x3c000000, v5
	s_delay_alu instid0(VALU_DEP_1) | instskip(NEXT) | instid1(VALU_DEP_1)
	v_and_or_b32 v5, 0x7f800000, v6, v5
	v_cndmask_b32_e32 v3, 0, v5, vcc_lo
	s_delay_alu instid0(VALU_DEP_1) | instskip(NEXT) | instid1(VALU_DEP_1)
	v_and_or_b32 v2, 0x80000000, v2, v3
	v_cvt_i32_f32_e32 v2, v2
.LBB70_732:
	s_mov_b32 s28, 0
.LBB70_733:
	s_delay_alu instid0(SALU_CYCLE_1)
	s_and_not1_b32 vcc_lo, exec_lo, s28
	s_cbranch_vccnz .LBB70_735
; %bb.734:
	s_wait_loadcnt 0x0
	global_load_u8 v2, v[0:1], off
	s_wait_loadcnt 0x0
	v_lshlrev_b32_e32 v3, 25, v2
	v_lshlrev_b16 v2, 8, v2
	s_delay_alu instid0(VALU_DEP_2) | instskip(NEXT) | instid1(VALU_DEP_2)
	v_cmp_gt_u32_e32 vcc_lo, 0x8000000, v3
	v_and_or_b32 v6, 0x7f00, v2, 0.5
	v_lshrrev_b32_e32 v5, 4, v3
	v_bfe_i32 v2, v2, 0, 16
	s_delay_alu instid0(VALU_DEP_3) | instskip(NEXT) | instid1(VALU_DEP_3)
	v_add_f32_e32 v6, -0.5, v6
	v_or_b32_e32 v5, 0x70000000, v5
	s_delay_alu instid0(VALU_DEP_1) | instskip(NEXT) | instid1(VALU_DEP_1)
	v_mul_f32_e32 v5, 0x7800000, v5
	v_cndmask_b32_e32 v3, v5, v6, vcc_lo
	s_delay_alu instid0(VALU_DEP_1) | instskip(NEXT) | instid1(VALU_DEP_1)
	v_and_or_b32 v2, 0x80000000, v2, v3
	v_cvt_i32_f32_e32 v2, v2
.LBB70_735:
	s_mov_b32 s28, 0
	s_mov_b32 s29, -1
.LBB70_736:
	s_and_not1_b32 vcc_lo, exec_lo, s28
	s_mov_b32 s28, 0
	s_cbranch_vccnz .LBB70_747
; %bb.737:
	s_cmp_gt_i32 s26, 14
	s_cbranch_scc0 .LBB70_740
; %bb.738:
	s_cmp_eq_u32 s26, 15
	s_cbranch_scc0 .LBB70_743
; %bb.739:
	s_wait_loadcnt 0x0
	global_load_u16 v2, v[0:1], off
	s_mov_b32 s27, 0
	s_mov_b32 s29, -1
	s_wait_loadcnt 0x0
	v_lshlrev_b32_e32 v2, 16, v2
	s_delay_alu instid0(VALU_DEP_1)
	v_cvt_i32_f32_e32 v2, v2
	s_branch .LBB70_745
.LBB70_740:
	s_mov_b32 s28, -1
	s_branch .LBB70_744
.LBB70_741:
	s_and_not1_saveexec_b32 s28, s28
	s_cbranch_execz .LBB70_722
.LBB70_742:
	v_cmp_ne_u16_e32 vcc_lo, 0, v3
	s_and_not1_b32 s29, s29, exec_lo
	s_and_b32 s30, vcc_lo, exec_lo
	s_delay_alu instid0(SALU_CYCLE_1)
	s_or_b32 s29, s29, s30
	s_or_b32 exec_lo, exec_lo, s28
	v_mov_b32_e32 v2, 0
	s_and_saveexec_b32 s28, s29
	s_cbranch_execnz .LBB70_723
	s_branch .LBB70_724
.LBB70_743:
	s_mov_b32 s27, -1
.LBB70_744:
                                        ; implicit-def: $vgpr2
.LBB70_745:
	s_and_b32 vcc_lo, exec_lo, s28
	s_mov_b32 s28, 0
	s_cbranch_vccz .LBB70_747
; %bb.746:
	s_cmp_lg_u32 s26, 11
	s_mov_b32 s28, -1
	s_cselect_b32 s26, -1, 0
	s_and_not1_b32 s27, s27, exec_lo
	s_and_b32 s26, s26, exec_lo
	s_delay_alu instid0(SALU_CYCLE_1)
	s_or_b32 s27, s27, s26
.LBB70_747:
	s_mov_b32 s26, 0
.LBB70_748:
	s_and_not1_b32 s30, s0, exec_lo
	s_and_b32 s27, s27, exec_lo
	s_and_b32 s31, s29, exec_lo
	;; [unrolled: 1-line block ×4, first 2 shown]
	s_or_b32 s30, s30, s27
.LBB70_749:
	s_wait_xcnt 0x0
	s_or_b32 exec_lo, exec_lo, s13
	s_delay_alu instid0(SALU_CYCLE_1)
	s_and_not1_b32 s0, s0, exec_lo
	s_and_b32 s13, s30, exec_lo
	s_and_b32 s28, s31, exec_lo
	;; [unrolled: 1-line block ×4, first 2 shown]
	s_or_b32 s0, s0, s13
.LBB70_750:
	s_or_b32 exec_lo, exec_lo, s23
	s_delay_alu instid0(SALU_CYCLE_1)
	s_and_not1_b32 s13, s20, exec_lo
	s_and_b32 s20, s25, exec_lo
	s_and_not1_b32 s21, s21, exec_lo
	s_and_b32 s23, s24, exec_lo
	s_or_b32 s20, s13, s20
	s_and_not1_b32 s13, s19, exec_lo
	s_and_b32 s0, s0, exec_lo
	s_or_b32 s21, s21, s23
	s_and_b32 s25, s28, exec_lo
	s_and_b32 s24, s27, exec_lo
	;; [unrolled: 1-line block ×3, first 2 shown]
	s_or_b32 s19, s13, s0
.LBB70_751:
	s_or_b32 exec_lo, exec_lo, s22
	s_delay_alu instid0(SALU_CYCLE_1)
	s_and_not1_b32 s0, s15, exec_lo
	s_and_b32 s13, s20, exec_lo
	s_and_not1_b32 s16, s16, exec_lo
	s_and_b32 s20, s21, exec_lo
	s_or_b32 s15, s0, s13
	s_and_not1_b32 s13, s17, exec_lo
	s_and_b32 s17, s19, exec_lo
	s_or_b32 s16, s16, s20
	s_and_b32 s0, s25, exec_lo
	s_and_b32 s20, s24, exec_lo
	;; [unrolled: 1-line block ×3, first 2 shown]
	s_or_b32 s17, s13, s17
	s_or_b32 exec_lo, exec_lo, s18
	s_mov_b32 s13, 0
	s_and_saveexec_b32 s18, s17
	s_cbranch_execz .LBB70_231
.LBB70_752:
	s_mov_b32 s13, exec_lo
	s_and_not1_b32 s19, s19, exec_lo
	s_trap 2
	s_or_b32 exec_lo, exec_lo, s18
	s_and_saveexec_b32 s17, s19
	s_delay_alu instid0(SALU_CYCLE_1)
	s_xor_b32 s17, exec_lo, s17
	s_cbranch_execnz .LBB70_232
.LBB70_753:
	s_or_b32 exec_lo, exec_lo, s17
	s_and_saveexec_b32 s17, s20
	s_cbranch_execz .LBB70_799
.LBB70_754:
	s_sext_i32_i16 s18, s2
	s_delay_alu instid0(SALU_CYCLE_1)
	s_cmp_lt_i32 s18, 5
	s_cbranch_scc1 .LBB70_759
; %bb.755:
	s_cmp_lt_i32 s18, 8
	s_cbranch_scc1 .LBB70_760
; %bb.756:
	;; [unrolled: 3-line block ×3, first 2 shown]
	s_cmp_gt_i32 s18, 9
	s_cbranch_scc0 .LBB70_762
; %bb.758:
	s_wait_loadcnt 0x0
	global_load_b64 v[2:3], v[0:1], off
	s_mov_b32 s18, 0
	s_wait_loadcnt 0x0
	v_cvt_i32_f64_e32 v2, v[2:3]
	s_branch .LBB70_763
.LBB70_759:
                                        ; implicit-def: $vgpr2
	s_branch .LBB70_780
.LBB70_760:
                                        ; implicit-def: $vgpr2
	s_branch .LBB70_769
.LBB70_761:
	s_mov_b32 s18, -1
                                        ; implicit-def: $vgpr2
	s_branch .LBB70_766
.LBB70_762:
	s_mov_b32 s18, -1
                                        ; implicit-def: $vgpr2
.LBB70_763:
	s_delay_alu instid0(SALU_CYCLE_1)
	s_and_not1_b32 vcc_lo, exec_lo, s18
	s_cbranch_vccnz .LBB70_765
; %bb.764:
	s_wait_loadcnt 0x0
	global_load_b32 v2, v[0:1], off
	s_wait_loadcnt 0x0
	v_cvt_i32_f32_e32 v2, v2
.LBB70_765:
	s_mov_b32 s18, 0
.LBB70_766:
	s_delay_alu instid0(SALU_CYCLE_1)
	s_and_not1_b32 vcc_lo, exec_lo, s18
	s_cbranch_vccnz .LBB70_768
; %bb.767:
	s_wait_loadcnt 0x0
	global_load_b32 v2, v[0:1], off
	s_wait_loadcnt 0x0
	v_cvt_f32_f16_e32 v2, v2
	s_delay_alu instid0(VALU_DEP_1)
	v_cvt_i32_f32_e32 v2, v2
.LBB70_768:
	s_cbranch_execnz .LBB70_779
.LBB70_769:
	s_sext_i32_i16 s18, s2
	s_delay_alu instid0(SALU_CYCLE_1)
	s_cmp_lt_i32 s18, 6
	s_cbranch_scc1 .LBB70_772
; %bb.770:
	s_cmp_gt_i32 s18, 6
	s_cbranch_scc0 .LBB70_773
; %bb.771:
	s_wait_loadcnt 0x0
	global_load_b64 v[2:3], v[0:1], off
	s_mov_b32 s18, 0
	s_wait_loadcnt 0x0
	v_cvt_i32_f64_e32 v2, v[2:3]
	s_branch .LBB70_774
.LBB70_772:
	s_mov_b32 s18, -1
                                        ; implicit-def: $vgpr2
	s_branch .LBB70_777
.LBB70_773:
	s_mov_b32 s18, -1
                                        ; implicit-def: $vgpr2
.LBB70_774:
	s_delay_alu instid0(SALU_CYCLE_1)
	s_and_not1_b32 vcc_lo, exec_lo, s18
	s_cbranch_vccnz .LBB70_776
; %bb.775:
	s_wait_loadcnt 0x0
	global_load_b32 v2, v[0:1], off
	s_wait_loadcnt 0x0
	v_cvt_i32_f32_e32 v2, v2
.LBB70_776:
	s_mov_b32 s18, 0
.LBB70_777:
	s_delay_alu instid0(SALU_CYCLE_1)
	s_and_not1_b32 vcc_lo, exec_lo, s18
	s_cbranch_vccnz .LBB70_779
; %bb.778:
	s_wait_loadcnt 0x0
	global_load_u16 v2, v[0:1], off
	s_wait_loadcnt 0x0
	v_cvt_f32_f16_e32 v2, v2
	s_delay_alu instid0(VALU_DEP_1)
	v_cvt_i32_f32_e32 v2, v2
.LBB70_779:
	s_cbranch_execnz .LBB70_798
.LBB70_780:
	s_sext_i32_i16 s18, s2
	s_delay_alu instid0(SALU_CYCLE_1)
	s_cmp_lt_i32 s18, 2
	s_cbranch_scc1 .LBB70_784
; %bb.781:
	s_cmp_lt_i32 s18, 3
	s_cbranch_scc1 .LBB70_785
; %bb.782:
	s_cmp_gt_i32 s18, 3
	s_cbranch_scc0 .LBB70_786
; %bb.783:
	s_wait_loadcnt 0x0
	global_load_b32 v2, v[0:1], off
	s_mov_b32 s18, 0
	s_branch .LBB70_787
.LBB70_784:
                                        ; implicit-def: $vgpr2
	s_branch .LBB70_793
.LBB70_785:
	s_mov_b32 s18, -1
                                        ; implicit-def: $vgpr2
	s_branch .LBB70_790
.LBB70_786:
	s_mov_b32 s18, -1
                                        ; implicit-def: $vgpr2
.LBB70_787:
	s_delay_alu instid0(SALU_CYCLE_1)
	s_and_not1_b32 vcc_lo, exec_lo, s18
	s_cbranch_vccnz .LBB70_789
; %bb.788:
	s_wait_loadcnt 0x0
	global_load_b32 v2, v[0:1], off
.LBB70_789:
	s_mov_b32 s18, 0
.LBB70_790:
	s_delay_alu instid0(SALU_CYCLE_1)
	s_and_not1_b32 vcc_lo, exec_lo, s18
	s_cbranch_vccnz .LBB70_792
; %bb.791:
	s_wait_loadcnt 0x0
	global_load_i16 v2, v[0:1], off
.LBB70_792:
	s_cbranch_execnz .LBB70_798
.LBB70_793:
	s_sext_i32_i16 s18, s2
	s_delay_alu instid0(SALU_CYCLE_1)
	s_cmp_gt_i32 s18, 0
	s_mov_b32 s18, 0
	s_cbranch_scc0 .LBB70_795
; %bb.794:
	s_wait_loadcnt 0x0
	global_load_i8 v2, v[0:1], off
	s_branch .LBB70_796
.LBB70_795:
	s_mov_b32 s18, -1
                                        ; implicit-def: $vgpr2
.LBB70_796:
	s_delay_alu instid0(SALU_CYCLE_1)
	s_and_not1_b32 vcc_lo, exec_lo, s18
	s_cbranch_vccnz .LBB70_798
; %bb.797:
	s_wait_loadcnt 0x0
	global_load_u8 v2, v[0:1], off
.LBB70_798:
	s_or_b32 s0, s0, exec_lo
.LBB70_799:
	s_wait_xcnt 0x0
	s_or_b32 exec_lo, exec_lo, s17
	s_mov_b32 s18, 0
	s_and_saveexec_b32 s17, s0
	s_delay_alu instid0(SALU_CYCLE_1)
	s_xor_b32 s17, exec_lo, s17
	s_cbranch_execz .LBB70_801
; %bb.800:
	s_wait_loadcnt 0x0
	s_delay_alu instid0(VALU_DEP_1) | instskip(SKIP_3) | instid1(SALU_CYCLE_1)
	v_cmp_le_i32_e32 vcc_lo, s10, v2
	v_cmp_gt_i32_e64 s0, s12, v2
	s_mov_b32 s18, exec_lo
	s_and_b32 s0, vcc_lo, s0
	s_and_b32 s0, s11, s0
	s_and_not1_b32 s11, s16, exec_lo
	s_xor_b32 s0, s0, -1
	s_delay_alu instid0(SALU_CYCLE_1) | instskip(NEXT) | instid1(SALU_CYCLE_1)
	s_and_b32 s0, s0, exec_lo
	s_or_b32 s16, s11, s0
.LBB70_801:
	s_or_b32 exec_lo, exec_lo, s17
	s_and_saveexec_b32 s0, s16
	s_cbranch_execnz .LBB70_814
.LBB70_802:
	s_or_b32 exec_lo, exec_lo, s0
	s_mov_b32 s16, 0
	s_mov_b32 s17, 0
                                        ; implicit-def: $sgpr0
                                        ; implicit-def: $vgpr0_vgpr1
	s_and_saveexec_b32 s11, s18
	s_cbranch_execz .LBB70_810
; %bb.803:
	v_mul_lo_u32 v0, v4, s8
	s_and_b32 s0, s14, 0xff
	s_delay_alu instid0(SALU_CYCLE_1) | instskip(NEXT) | instid1(VALU_DEP_1)
	s_cmp_lt_i32 s0, 11
	v_ashrrev_i32_e32 v1, 31, v0
	s_delay_alu instid0(VALU_DEP_1)
	v_add_nc_u64_e32 v[0:1], s[4:5], v[0:1]
	s_cbranch_scc1 .LBB70_813
; %bb.804:
	s_and_b32 s17, 0xffff, s0
	s_mov_b32 s18, -1
	s_cmp_gt_i32 s17, 25
	s_mov_b32 s16, s15
	s_cbranch_scc0 .LBB70_834
; %bb.805:
	s_cmp_gt_i32 s17, 28
	s_mov_b32 s16, s15
	s_cbranch_scc0 .LBB70_824
; %bb.806:
	;; [unrolled: 4-line block ×4, first 2 shown]
	s_cmp_eq_u32 s17, 46
	s_mov_b32 s16, -1
	s_cbranch_scc0 .LBB70_815
; %bb.809:
	s_wait_loadcnt 0x0
	v_mov_b32_e32 v2, 0
	s_mov_b32 s16, 0
	s_mov_b32 s18, 0
	global_store_b32 v[0:1], v2, off
	s_branch .LBB70_816
.LBB70_810:
	s_or_b32 exec_lo, exec_lo, s11
	s_and_saveexec_b32 s11, s15
	s_cbranch_execnz .LBB70_854
.LBB70_811:
	s_or_b32 exec_lo, exec_lo, s11
	s_and_saveexec_b32 s11, s16
	s_delay_alu instid0(SALU_CYCLE_1)
	s_xor_b32 s11, exec_lo, s11
	s_cbranch_execz .LBB70_855
.LBB70_812:
	s_wait_loadcnt 0x0
	v_mov_b32_e32 v2, 0
	global_store_b8 v[0:1], v2, off
	s_wait_xcnt 0x0
	s_or_b32 exec_lo, exec_lo, s11
	s_and_saveexec_b32 s11, s17
	s_delay_alu instid0(SALU_CYCLE_1)
	s_xor_b32 s11, exec_lo, s11
	s_cbranch_execz .LBB70_893
	s_branch .LBB70_856
.LBB70_813:
	s_mov_b32 s19, 0
	s_mov_b32 s18, -1
	s_mov_b32 s16, s15
	s_branch .LBB70_853
.LBB70_814:
	s_or_b32 s13, s13, exec_lo
	s_and_not1_b32 s18, s18, exec_lo
	s_trap 2
	s_branch .LBB70_802
.LBB70_815:
	s_mov_b32 s18, 0
.LBB70_816:
	s_delay_alu instid0(SALU_CYCLE_1)
	s_and_b32 vcc_lo, exec_lo, s18
	s_cbranch_vccz .LBB70_819
; %bb.817:
	s_cmp_eq_u32 s17, 44
	s_mov_b32 s16, -1
	s_cbranch_scc0 .LBB70_819
; %bb.818:
	s_wait_loadcnt 0x0
	v_mov_b32_e32 v2, 0
	s_mov_b32 s16, 0
	s_mov_b32 s18, 0
	global_store_b8 v[0:1], v2, off
	s_branch .LBB70_820
.LBB70_819:
	s_mov_b32 s18, 0
.LBB70_820:
	s_delay_alu instid0(SALU_CYCLE_1)
	s_and_b32 vcc_lo, exec_lo, s18
	s_cbranch_vccz .LBB70_823
; %bb.821:
	s_cmp_eq_u32 s17, 29
	s_mov_b32 s16, -1
	s_cbranch_scc0 .LBB70_823
; %bb.822:
	s_wait_loadcnt 0x0
	v_mov_b64_e32 v[2:3], 0
	s_mov_b32 s16, 0
	s_mov_b32 s18, 0
	global_store_b64 v[0:1], v[2:3], off
	s_branch .LBB70_824
.LBB70_823:
	s_mov_b32 s18, 0
.LBB70_824:
	s_delay_alu instid0(SALU_CYCLE_1)
	s_and_b32 vcc_lo, exec_lo, s18
	s_cbranch_vccz .LBB70_833
; %bb.825:
	s_cmp_lt_i32 s17, 27
	s_mov_b32 s18, -1
	s_cbranch_scc1 .LBB70_831
; %bb.826:
	s_cmp_gt_i32 s17, 27
	s_cbranch_scc0 .LBB70_828
; %bb.827:
	s_wait_loadcnt 0x0
	v_mov_b32_e32 v2, 0
	s_mov_b32 s18, 0
	global_store_b32 v[0:1], v2, off
.LBB70_828:
	s_and_not1_b32 vcc_lo, exec_lo, s18
	s_cbranch_vccnz .LBB70_830
; %bb.829:
	s_wait_loadcnt 0x0
	v_mov_b32_e32 v2, 0
	global_store_b16 v[0:1], v2, off
.LBB70_830:
	s_mov_b32 s18, 0
.LBB70_831:
	s_delay_alu instid0(SALU_CYCLE_1)
	s_and_not1_b32 vcc_lo, exec_lo, s18
	s_cbranch_vccnz .LBB70_833
; %bb.832:
	s_wait_loadcnt 0x0
	v_mov_b32_e32 v2, 0
	global_store_b8 v[0:1], v2, off
.LBB70_833:
	s_mov_b32 s18, 0
.LBB70_834:
	s_delay_alu instid0(SALU_CYCLE_1)
	s_and_b32 vcc_lo, exec_lo, s18
	s_mov_b32 s18, 0
	s_cbranch_vccz .LBB70_852
; %bb.835:
	s_cmp_gt_i32 s17, 22
	s_mov_b32 s19, -1
	s_cbranch_scc0 .LBB70_845
; %bb.836:
	s_cmp_lt_i32 s17, 24
	s_cbranch_scc1 .LBB70_842
; %bb.837:
	s_cmp_gt_i32 s17, 24
	s_cbranch_scc0 .LBB70_839
; %bb.838:
	s_wait_loadcnt 0x0
	v_mov_b32_e32 v2, 0
	s_mov_b32 s19, 0
	global_store_b8 v[0:1], v2, off
.LBB70_839:
	s_and_not1_b32 vcc_lo, exec_lo, s19
	s_cbranch_vccnz .LBB70_841
; %bb.840:
	s_wait_loadcnt 0x0
	v_mov_b32_e32 v2, 0
	global_store_b8 v[0:1], v2, off
.LBB70_841:
	s_mov_b32 s19, 0
.LBB70_842:
	s_delay_alu instid0(SALU_CYCLE_1)
	s_and_not1_b32 vcc_lo, exec_lo, s19
	s_cbranch_vccnz .LBB70_844
; %bb.843:
	s_wait_loadcnt 0x0
	v_mov_b32_e32 v2, 0
	global_store_b8 v[0:1], v2, off
.LBB70_844:
	s_mov_b32 s19, 0
.LBB70_845:
	s_delay_alu instid0(SALU_CYCLE_1)
	s_and_not1_b32 vcc_lo, exec_lo, s19
	s_mov_b32 s19, 0
	s_cbranch_vccnz .LBB70_853
; %bb.846:
	s_cmp_gt_i32 s17, 14
	s_mov_b32 s19, -1
	s_cbranch_scc0 .LBB70_850
; %bb.847:
	s_cmp_eq_u32 s17, 15
	s_mov_b32 s16, -1
	s_cbranch_scc0 .LBB70_849
; %bb.848:
	s_wait_loadcnt 0x0
	v_mov_b32_e32 v2, 0
	s_mov_b32 s16, 0
	global_store_b16 v[0:1], v2, off
.LBB70_849:
	s_mov_b32 s19, 0
.LBB70_850:
	s_delay_alu instid0(SALU_CYCLE_1)
	s_and_b32 vcc_lo, exec_lo, s19
	s_mov_b32 s19, 0
	s_cbranch_vccz .LBB70_853
; %bb.851:
	s_cmp_lg_u32 s17, 11
	s_mov_b32 s19, -1
	s_cselect_b32 s17, -1, 0
	s_and_not1_b32 s16, s16, exec_lo
	s_and_b32 s17, s17, exec_lo
	s_delay_alu instid0(SALU_CYCLE_1)
	s_or_b32 s16, s16, s17
	s_branch .LBB70_853
.LBB70_852:
	s_mov_b32 s19, 0
.LBB70_853:
	s_and_b32 s17, s18, exec_lo
	s_and_not1_b32 s15, s15, exec_lo
	s_and_b32 s18, s16, exec_lo
	s_and_b32 s16, s19, exec_lo
	s_or_b32 s15, s15, s18
	s_wait_xcnt 0x0
	s_or_b32 exec_lo, exec_lo, s11
	s_and_saveexec_b32 s11, s15
	s_cbranch_execz .LBB70_811
.LBB70_854:
	s_or_b32 s13, s13, exec_lo
	s_and_not1_b32 s16, s16, exec_lo
	s_trap 2
	s_or_b32 exec_lo, exec_lo, s11
	s_and_saveexec_b32 s11, s16
	s_delay_alu instid0(SALU_CYCLE_1)
	s_xor_b32 s11, exec_lo, s11
	s_cbranch_execnz .LBB70_812
.LBB70_855:
	s_or_b32 exec_lo, exec_lo, s11
	s_and_saveexec_b32 s11, s17
	s_delay_alu instid0(SALU_CYCLE_1)
	s_xor_b32 s11, exec_lo, s11
	s_cbranch_execz .LBB70_893
.LBB70_856:
	s_sext_i32_i16 s16, s0
	s_mov_b32 s15, -1
	s_cmp_lt_i32 s16, 5
	s_cbranch_scc1 .LBB70_877
; %bb.857:
	s_cmp_lt_i32 s16, 8
	s_cbranch_scc1 .LBB70_867
; %bb.858:
	s_cmp_lt_i32 s16, 9
	s_cbranch_scc1 .LBB70_864
; %bb.859:
	s_cmp_gt_i32 s16, 9
	s_cbranch_scc0 .LBB70_861
; %bb.860:
	s_wait_loadcnt 0x0
	v_mov_b32_e32 v2, 0
	s_mov_b32 s15, 0
	s_delay_alu instid0(VALU_DEP_1)
	v_dual_mov_b32 v3, v2 :: v_dual_mov_b32 v4, v2
	v_mov_b32_e32 v5, v2
	global_store_b128 v[0:1], v[2:5], off
.LBB70_861:
	s_and_not1_b32 vcc_lo, exec_lo, s15
	s_cbranch_vccnz .LBB70_863
; %bb.862:
	s_wait_loadcnt 0x0
	v_mov_b64_e32 v[2:3], 0
	global_store_b64 v[0:1], v[2:3], off
.LBB70_863:
	s_mov_b32 s15, 0
.LBB70_864:
	s_delay_alu instid0(SALU_CYCLE_1)
	s_and_not1_b32 vcc_lo, exec_lo, s15
	s_cbranch_vccnz .LBB70_866
; %bb.865:
	s_wait_loadcnt 0x0
	v_mov_b32_e32 v2, 0
	global_store_b32 v[0:1], v2, off
.LBB70_866:
	s_mov_b32 s15, 0
.LBB70_867:
	s_delay_alu instid0(SALU_CYCLE_1)
	s_and_not1_b32 vcc_lo, exec_lo, s15
	s_cbranch_vccnz .LBB70_876
; %bb.868:
	s_sext_i32_i16 s16, s0
	s_mov_b32 s15, -1
	s_cmp_lt_i32 s16, 6
	s_cbranch_scc1 .LBB70_874
; %bb.869:
	s_cmp_gt_i32 s16, 6
	s_cbranch_scc0 .LBB70_871
; %bb.870:
	s_wait_loadcnt 0x0
	v_mov_b64_e32 v[2:3], 0
	s_mov_b32 s15, 0
	global_store_b64 v[0:1], v[2:3], off
.LBB70_871:
	s_and_not1_b32 vcc_lo, exec_lo, s15
	s_cbranch_vccnz .LBB70_873
; %bb.872:
	s_wait_loadcnt 0x0
	v_mov_b32_e32 v2, 0
	global_store_b32 v[0:1], v2, off
.LBB70_873:
	s_mov_b32 s15, 0
.LBB70_874:
	s_delay_alu instid0(SALU_CYCLE_1)
	s_and_not1_b32 vcc_lo, exec_lo, s15
	s_cbranch_vccnz .LBB70_876
; %bb.875:
	s_wait_loadcnt 0x0
	v_mov_b32_e32 v2, 0
	global_store_b16 v[0:1], v2, off
.LBB70_876:
	s_mov_b32 s15, 0
.LBB70_877:
	s_delay_alu instid0(SALU_CYCLE_1)
	s_and_not1_b32 vcc_lo, exec_lo, s15
	s_cbranch_vccnz .LBB70_893
; %bb.878:
	s_sext_i32_i16 s16, s0
	s_mov_b32 s15, -1
	s_cmp_lt_i32 s16, 2
	s_cbranch_scc1 .LBB70_888
; %bb.879:
	s_cmp_lt_i32 s16, 3
	s_cbranch_scc1 .LBB70_885
; %bb.880:
	s_cmp_gt_i32 s16, 3
	s_cbranch_scc0 .LBB70_882
; %bb.881:
	s_wait_loadcnt 0x0
	v_mov_b64_e32 v[2:3], 0
	s_mov_b32 s15, 0
	global_store_b64 v[0:1], v[2:3], off
.LBB70_882:
	s_and_not1_b32 vcc_lo, exec_lo, s15
	s_cbranch_vccnz .LBB70_884
; %bb.883:
	s_wait_loadcnt 0x0
	v_mov_b32_e32 v2, 0
	global_store_b32 v[0:1], v2, off
.LBB70_884:
	s_mov_b32 s15, 0
.LBB70_885:
	s_delay_alu instid0(SALU_CYCLE_1)
	s_and_not1_b32 vcc_lo, exec_lo, s15
	s_cbranch_vccnz .LBB70_887
; %bb.886:
	s_wait_loadcnt 0x0
	v_mov_b32_e32 v2, 0
	global_store_b16 v[0:1], v2, off
.LBB70_887:
	s_mov_b32 s15, 0
.LBB70_888:
	s_delay_alu instid0(SALU_CYCLE_1)
	s_and_not1_b32 vcc_lo, exec_lo, s15
	s_cbranch_vccnz .LBB70_893
; %bb.889:
	s_sext_i32_i16 s0, s0
	s_delay_alu instid0(SALU_CYCLE_1)
	s_cmp_gt_i32 s0, 0
	s_mov_b32 s0, -1
	s_cbranch_scc0 .LBB70_891
; %bb.890:
	s_wait_loadcnt 0x0
	v_mov_b32_e32 v2, 0
	s_mov_b32 s0, 0
	global_store_b8 v[0:1], v2, off
.LBB70_891:
	s_and_not1_b32 vcc_lo, exec_lo, s0
	s_cbranch_vccnz .LBB70_893
; %bb.892:
	s_wait_loadcnt 0x0
	v_mov_b32_e32 v2, 0
	global_store_b8 v[0:1], v2, off
.LBB70_893:
	s_wait_xcnt 0x0
	s_or_b32 exec_lo, exec_lo, s11
	s_delay_alu instid0(SALU_CYCLE_1)
	s_and_b32 s11, s13, exec_lo
                                        ; implicit-def: $vgpr4
.LBB70_894:
	s_or_saveexec_b32 s3, s3
	s_mov_b32 s15, 0
                                        ; implicit-def: $sgpr0
                                        ; implicit-def: $vgpr2_vgpr3
	s_xor_b32 exec_lo, exec_lo, s3
	s_cbranch_execz .LBB70_1729
; %bb.895:
	v_mul_lo_u32 v0, s9, v4
	s_and_b32 s15, 0xffff, s2
	s_delay_alu instid0(SALU_CYCLE_1) | instskip(NEXT) | instid1(VALU_DEP_1)
	s_cmp_lt_i32 s15, 11
	v_ashrrev_i32_e32 v1, 31, v0
	s_wait_loadcnt 0x0
	s_delay_alu instid0(VALU_DEP_1)
	v_add_nc_u64_e32 v[2:3], s[6:7], v[0:1]
	s_cbranch_scc1 .LBB70_902
; %bb.896:
	s_cmp_gt_i32 s15, 25
	s_mov_b32 s2, 0
	s_cbranch_scc0 .LBB70_913
; %bb.897:
	s_cmp_gt_i32 s15, 28
	s_cbranch_scc0 .LBB70_914
; %bb.898:
	s_cmp_gt_i32 s15, 43
	;; [unrolled: 3-line block ×3, first 2 shown]
	s_cbranch_scc0 .LBB70_928
; %bb.900:
	s_cmp_eq_u32 s15, 46
	s_cbranch_scc0 .LBB70_931
; %bb.901:
	global_load_b32 v1, v[2:3], off
	s_mov_b32 s0, 0
	s_mov_b32 s13, -1
	s_wait_loadcnt 0x0
	v_lshlrev_b32_e32 v1, 16, v1
	s_delay_alu instid0(VALU_DEP_1)
	v_cvt_i32_f32_e32 v1, v1
	s_branch .LBB70_933
.LBB70_902:
	s_mov_b32 s13, 0
	s_mov_b32 s1, s11
                                        ; implicit-def: $vgpr1
	s_cbranch_execnz .LBB70_993
.LBB70_903:
	s_and_not1_b32 vcc_lo, exec_lo, s13
	s_cbranch_vccnz .LBB70_1038
.LBB70_904:
	s_wait_loadcnt 0x0
	s_delay_alu instid0(VALU_DEP_1)
	v_cmp_gt_i32_e32 vcc_lo, s10, v1
	v_cmp_le_i32_e64 s0, s12, v1
	s_get_pc_i64 s[16:17]
	s_add_nc_u64 s[16:17], s[16:17], .str.5@rel64+4
	s_or_b32 s0, vcc_lo, s0
	s_cmp_eq_u64 s[16:17], 0
	s_cselect_b32 s2, -1, 0
	s_delay_alu instid0(SALU_CYCLE_1) | instskip(SKIP_2) | instid1(SALU_CYCLE_1)
	s_or_b32 s0, s2, s0
	s_wait_xcnt 0x0
	s_and_saveexec_b32 s2, s0
	s_xor_b32 s0, exec_lo, s2
	s_cbranch_execnz .LBB70_1288
.LBB70_905:
	s_or_saveexec_b32 s2, s0
	s_mov_b32 s13, 0
	s_mov_b32 s17, 0
                                        ; implicit-def: $sgpr0
                                        ; implicit-def: $vgpr2_vgpr3
	s_xor_b32 exec_lo, exec_lo, s2
	s_cbranch_execz .LBB70_1727
; %bb.906:
	s_lshl_b32 s18, s9, 7
	s_cmp_lt_i32 s15, 11
	v_add_nc_u32_e32 v0, s18, v0
	s_delay_alu instid0(VALU_DEP_1) | instskip(NEXT) | instid1(VALU_DEP_1)
	v_ashrrev_i32_e32 v1, 31, v0
	v_add_nc_u64_e32 v[2:3], s[6:7], v[0:1]
	s_cbranch_scc1 .LBB70_915
; %bb.907:
	s_cmp_gt_i32 s15, 25
	s_cbranch_scc0 .LBB70_927
; %bb.908:
	s_cmp_gt_i32 s15, 28
	s_cbranch_scc0 .LBB70_929
	;; [unrolled: 3-line block ×4, first 2 shown]
; %bb.911:
	s_cmp_eq_u32 s15, 46
	s_mov_b32 s9, 0
	s_cbranch_scc0 .LBB70_1042
; %bb.912:
	global_load_b32 v1, v[2:3], off
	s_mov_b32 s0, 0
	s_mov_b32 s16, -1
	s_wait_loadcnt 0x0
	v_lshlrev_b32_e32 v1, 16, v1
	s_delay_alu instid0(VALU_DEP_1)
	v_cvt_i32_f32_e32 v1, v1
	s_branch .LBB70_1044
.LBB70_913:
	s_mov_b32 s13, 0
	s_mov_b32 s0, 0
                                        ; implicit-def: $vgpr1
	s_cbranch_execnz .LBB70_960
	s_branch .LBB70_989
.LBB70_914:
	s_mov_b32 s13, 0
	s_mov_b32 s0, 0
                                        ; implicit-def: $vgpr1
	s_cbranch_execz .LBB70_959
	s_branch .LBB70_944
.LBB70_915:
	s_mov_b32 s16, 0
	s_mov_b32 s9, s1
                                        ; implicit-def: $vgpr1
	s_cbranch_execnz .LBB70_1107
.LBB70_916:
	s_and_not1_b32 vcc_lo, exec_lo, s16
	s_cbranch_vccnz .LBB70_1155
.LBB70_917:
	s_wait_loadcnt 0x0
	s_delay_alu instid0(VALU_DEP_1) | instskip(SKIP_4) | instid1(SALU_CYCLE_1)
	v_cmp_gt_i32_e32 vcc_lo, s10, v1
	v_cmp_le_i32_e64 s0, s12, v1
	s_or_b32 s0, vcc_lo, s0
	s_wait_xcnt 0x0
	s_and_saveexec_b32 s13, s0
	s_xor_b32 s0, exec_lo, s13
	s_cbranch_execnz .LBB70_1775
.LBB70_918:
	s_or_saveexec_b32 s13, s0
	s_mov_b32 s16, 0
	s_mov_b32 s17, 0
                                        ; implicit-def: $sgpr0
                                        ; implicit-def: $vgpr2_vgpr3
	s_xor_b32 exec_lo, exec_lo, s13
	s_cbranch_execz .LBB70_1725
; %bb.919:
	v_add_nc_u32_e32 v0, s18, v0
	s_cmp_lt_i32 s15, 11
	s_delay_alu instid0(VALU_DEP_1) | instskip(NEXT) | instid1(VALU_DEP_1)
	v_ashrrev_i32_e32 v1, 31, v0
	v_add_nc_u64_e32 v[2:3], s[6:7], v[0:1]
	s_cbranch_scc1 .LBB70_930
; %bb.920:
	s_cmp_gt_i32 s15, 25
	s_cbranch_scc0 .LBB70_938
; %bb.921:
	s_cmp_gt_i32 s15, 28
	s_cbranch_scc0 .LBB70_1041
	;; [unrolled: 3-line block ×4, first 2 shown]
; %bb.924:
	s_cmp_eq_u32 s15, 46
	s_cbranch_scc0 .LBB70_1158
; %bb.925:
	global_load_b32 v1, v[2:3], off
	s_mov_b32 s0, 0
	s_mov_b32 s19, -1
	s_wait_loadcnt 0x0
	v_lshlrev_b32_e32 v1, 16, v1
	s_delay_alu instid0(VALU_DEP_1)
	v_cvt_i32_f32_e32 v1, v1
	s_branch .LBB70_1160
.LBB70_926:
	s_mov_b32 s13, 0
	s_mov_b32 s0, 0
                                        ; implicit-def: $vgpr1
	s_cbranch_execnz .LBB70_940
	s_branch .LBB70_943
.LBB70_927:
	s_mov_b32 s9, -1
	s_mov_b32 s16, 0
	s_mov_b32 s0, 0
                                        ; implicit-def: $vgpr1
	s_branch .LBB70_1072
.LBB70_928:
	s_mov_b32 s1, -1
	s_mov_b32 s13, 0
	s_mov_b32 s0, 0
	s_branch .LBB70_932
.LBB70_929:
	s_mov_b32 s9, -1
	s_mov_b32 s16, 0
	s_mov_b32 s0, 0
                                        ; implicit-def: $vgpr1
	s_branch .LBB70_1055
.LBB70_930:
	s_mov_b32 s0, -1
	s_mov_b32 s19, 0
	s_mov_b32 s16, s9
                                        ; implicit-def: $vgpr1
	s_branch .LBB70_1222
.LBB70_931:
	s_mov_b32 s0, -1
	s_mov_b32 s13, 0
.LBB70_932:
                                        ; implicit-def: $vgpr1
.LBB70_933:
	s_and_b32 vcc_lo, exec_lo, s1
	s_cbranch_vccz .LBB70_936
; %bb.934:
	s_cmp_eq_u32 s15, 44
	s_cbranch_scc0 .LBB70_939
; %bb.935:
	global_load_u8 v1, v[2:3], off
	s_mov_b32 s0, 0
	s_mov_b32 s13, -1
	s_wait_loadcnt 0x0
	v_lshlrev_b32_e32 v5, 23, v1
	v_cmp_ne_u32_e32 vcc_lo, 0, v1
	s_delay_alu instid0(VALU_DEP_2) | instskip(NEXT) | instid1(VALU_DEP_1)
	v_cvt_i32_f32_e32 v5, v5
	v_cndmask_b32_e32 v1, 0, v5, vcc_lo
.LBB70_936:
	s_branch .LBB70_943
.LBB70_937:
	s_mov_b32 s9, -1
	s_mov_b32 s16, 0
	s_mov_b32 s0, 0
                                        ; implicit-def: $vgpr1
	s_branch .LBB70_1050
.LBB70_938:
	s_mov_b32 s16, -1
	s_mov_b32 s19, 0
	s_mov_b32 s0, 0
                                        ; implicit-def: $vgpr1
	s_branch .LBB70_1187
.LBB70_939:
	s_mov_b32 s0, -1
                                        ; implicit-def: $vgpr1
	s_branch .LBB70_943
.LBB70_940:
	s_cmp_eq_u32 s15, 29
	s_cbranch_scc0 .LBB70_942
; %bb.941:
	global_load_b32 v1, v[2:3], off
	s_mov_b32 s0, 0
	s_mov_b32 s13, -1
	s_branch .LBB70_943
.LBB70_942:
	s_mov_b32 s0, -1
                                        ; implicit-def: $vgpr1
.LBB70_943:
	s_branch .LBB70_959
.LBB70_944:
	s_cmp_lt_i32 s15, 27
	s_cbranch_scc1 .LBB70_947
; %bb.945:
	s_cmp_gt_i32 s15, 27
	s_cbranch_scc0 .LBB70_948
; %bb.946:
	s_wait_loadcnt 0x0
	global_load_b32 v1, v[2:3], off
	s_mov_b32 s1, 0
	s_branch .LBB70_949
.LBB70_947:
	s_mov_b32 s1, -1
                                        ; implicit-def: $vgpr1
	s_branch .LBB70_952
.LBB70_948:
	s_mov_b32 s1, -1
                                        ; implicit-def: $vgpr1
.LBB70_949:
	s_delay_alu instid0(SALU_CYCLE_1)
	s_and_not1_b32 vcc_lo, exec_lo, s1
	s_cbranch_vccnz .LBB70_951
; %bb.950:
	s_wait_loadcnt 0x0
	global_load_u16 v1, v[2:3], off
.LBB70_951:
	s_mov_b32 s1, 0
.LBB70_952:
	s_delay_alu instid0(SALU_CYCLE_1)
	s_and_not1_b32 vcc_lo, exec_lo, s1
	s_cbranch_vccnz .LBB70_958
; %bb.953:
	global_load_u8 v5, v[2:3], off
	s_mov_b32 s13, 0
	s_mov_b32 s1, exec_lo
	s_wait_loadcnt 0x0
	v_cmpx_lt_i16_e32 0x7f, v5
	s_xor_b32 s1, exec_lo, s1
	s_cbranch_execz .LBB70_969
; %bb.954:
	v_cmp_ne_u16_e32 vcc_lo, 0x80, v5
	s_and_b32 s13, vcc_lo, exec_lo
	s_and_not1_saveexec_b32 s1, s1
	s_cbranch_execnz .LBB70_970
.LBB70_955:
	s_or_b32 exec_lo, exec_lo, s1
	v_mov_b32_e32 v1, 0
	s_and_saveexec_b32 s1, s13
	s_cbranch_execz .LBB70_957
.LBB70_956:
	v_and_b32_e32 v1, 0xffff, v5
	s_delay_alu instid0(VALU_DEP_1) | instskip(SKIP_1) | instid1(VALU_DEP_2)
	v_and_b32_e32 v6, 7, v1
	v_bfe_u32 v9, v1, 3, 4
	v_clz_i32_u32_e32 v7, v6
	s_delay_alu instid0(VALU_DEP_2) | instskip(NEXT) | instid1(VALU_DEP_2)
	v_cmp_eq_u32_e32 vcc_lo, 0, v9
	v_min_u32_e32 v7, 32, v7
	s_delay_alu instid0(VALU_DEP_1) | instskip(NEXT) | instid1(VALU_DEP_1)
	v_subrev_nc_u32_e32 v8, 28, v7
	v_dual_lshlrev_b32 v1, v8, v1 :: v_dual_sub_nc_u32 v7, 29, v7
	s_delay_alu instid0(VALU_DEP_1) | instskip(NEXT) | instid1(VALU_DEP_2)
	v_and_b32_e32 v1, 7, v1
	v_dual_lshlrev_b32 v5, 24, v5 :: v_dual_cndmask_b32 v7, v9, v7, vcc_lo
	s_delay_alu instid0(VALU_DEP_2) | instskip(NEXT) | instid1(VALU_DEP_2)
	v_cndmask_b32_e32 v1, v6, v1, vcc_lo
	v_and_b32_e32 v5, 0x80000000, v5
	s_delay_alu instid0(VALU_DEP_3) | instskip(NEXT) | instid1(VALU_DEP_3)
	v_lshl_add_u32 v6, v7, 23, 0x3b800000
	v_lshlrev_b32_e32 v1, 20, v1
	s_delay_alu instid0(VALU_DEP_1) | instskip(NEXT) | instid1(VALU_DEP_1)
	v_or3_b32 v1, v5, v6, v1
	v_cvt_i32_f32_e32 v1, v1
.LBB70_957:
	s_or_b32 exec_lo, exec_lo, s1
.LBB70_958:
	s_mov_b32 s13, -1
.LBB70_959:
	s_branch .LBB70_989
.LBB70_960:
	s_cmp_gt_i32 s15, 22
	s_cbranch_scc0 .LBB70_968
; %bb.961:
	s_cmp_lt_i32 s15, 24
	s_cbranch_scc1 .LBB70_971
; %bb.962:
	s_cmp_gt_i32 s15, 24
	s_cbranch_scc0 .LBB70_972
; %bb.963:
	global_load_u8 v5, v[2:3], off
	s_mov_b32 s1, exec_lo
	s_wait_loadcnt 0x0
	v_cmpx_lt_i16_e32 0x7f, v5
	s_xor_b32 s1, exec_lo, s1
	s_cbranch_execz .LBB70_983
; %bb.964:
	v_cmp_ne_u16_e32 vcc_lo, 0x80, v5
	s_and_b32 s2, vcc_lo, exec_lo
	s_and_not1_saveexec_b32 s1, s1
	s_cbranch_execnz .LBB70_984
.LBB70_965:
	s_or_b32 exec_lo, exec_lo, s1
	v_mov_b32_e32 v1, 0
	s_and_saveexec_b32 s1, s2
	s_cbranch_execz .LBB70_967
.LBB70_966:
	v_and_b32_e32 v1, 0xffff, v5
	s_delay_alu instid0(VALU_DEP_1) | instskip(SKIP_1) | instid1(VALU_DEP_2)
	v_and_b32_e32 v6, 3, v1
	v_bfe_u32 v9, v1, 2, 5
	v_clz_i32_u32_e32 v7, v6
	s_delay_alu instid0(VALU_DEP_2) | instskip(NEXT) | instid1(VALU_DEP_2)
	v_cmp_eq_u32_e32 vcc_lo, 0, v9
	v_min_u32_e32 v7, 32, v7
	s_delay_alu instid0(VALU_DEP_1) | instskip(NEXT) | instid1(VALU_DEP_1)
	v_subrev_nc_u32_e32 v8, 29, v7
	v_dual_lshlrev_b32 v1, v8, v1 :: v_dual_sub_nc_u32 v7, 30, v7
	s_delay_alu instid0(VALU_DEP_1) | instskip(NEXT) | instid1(VALU_DEP_2)
	v_and_b32_e32 v1, 3, v1
	v_dual_lshlrev_b32 v5, 24, v5 :: v_dual_cndmask_b32 v7, v9, v7, vcc_lo
	s_delay_alu instid0(VALU_DEP_2) | instskip(NEXT) | instid1(VALU_DEP_2)
	v_cndmask_b32_e32 v1, v6, v1, vcc_lo
	v_and_b32_e32 v5, 0x80000000, v5
	s_delay_alu instid0(VALU_DEP_3) | instskip(NEXT) | instid1(VALU_DEP_3)
	v_lshl_add_u32 v6, v7, 23, 0x37800000
	v_lshlrev_b32_e32 v1, 21, v1
	s_delay_alu instid0(VALU_DEP_1) | instskip(NEXT) | instid1(VALU_DEP_1)
	v_or3_b32 v1, v5, v6, v1
	v_cvt_i32_f32_e32 v1, v1
.LBB70_967:
	s_or_b32 exec_lo, exec_lo, s1
	s_mov_b32 s1, 0
	s_branch .LBB70_973
.LBB70_968:
                                        ; implicit-def: $vgpr1
	s_mov_b32 s2, 0
	s_branch .LBB70_979
.LBB70_969:
	s_and_not1_saveexec_b32 s1, s1
	s_cbranch_execz .LBB70_955
.LBB70_970:
	v_cmp_ne_u16_e32 vcc_lo, 0, v5
	s_and_not1_b32 s13, s13, exec_lo
	s_and_b32 s16, vcc_lo, exec_lo
	s_delay_alu instid0(SALU_CYCLE_1)
	s_or_b32 s13, s13, s16
	s_or_b32 exec_lo, exec_lo, s1
	v_mov_b32_e32 v1, 0
	s_and_saveexec_b32 s1, s13
	s_cbranch_execnz .LBB70_956
	s_branch .LBB70_957
.LBB70_971:
	s_mov_b32 s1, -1
                                        ; implicit-def: $vgpr1
	s_branch .LBB70_976
.LBB70_972:
	s_mov_b32 s1, -1
                                        ; implicit-def: $vgpr1
.LBB70_973:
	s_delay_alu instid0(SALU_CYCLE_1)
	s_and_b32 vcc_lo, exec_lo, s1
	s_cbranch_vccz .LBB70_975
; %bb.974:
	s_wait_loadcnt 0x0
	global_load_u8 v1, v[2:3], off
	s_wait_loadcnt 0x0
	v_lshlrev_b32_e32 v1, 24, v1
	s_delay_alu instid0(VALU_DEP_1) | instskip(NEXT) | instid1(VALU_DEP_1)
	v_and_b32_e32 v5, 0x7f000000, v1
	v_clz_i32_u32_e32 v6, v5
	v_cmp_ne_u32_e32 vcc_lo, 0, v5
	v_add_nc_u32_e32 v8, 0x1000000, v5
	s_delay_alu instid0(VALU_DEP_3) | instskip(NEXT) | instid1(VALU_DEP_1)
	v_min_u32_e32 v6, 32, v6
	v_sub_nc_u32_e64 v6, v6, 4 clamp
	s_delay_alu instid0(VALU_DEP_1) | instskip(NEXT) | instid1(VALU_DEP_1)
	v_dual_lshlrev_b32 v7, v6, v5 :: v_dual_lshlrev_b32 v6, 23, v6
	v_lshrrev_b32_e32 v7, 4, v7
	s_delay_alu instid0(VALU_DEP_1) | instskip(NEXT) | instid1(VALU_DEP_1)
	v_dual_sub_nc_u32 v6, v7, v6 :: v_dual_ashrrev_i32 v7, 8, v8
	v_add_nc_u32_e32 v6, 0x3c000000, v6
	s_delay_alu instid0(VALU_DEP_1) | instskip(NEXT) | instid1(VALU_DEP_1)
	v_and_or_b32 v6, 0x7f800000, v7, v6
	v_cndmask_b32_e32 v5, 0, v6, vcc_lo
	s_delay_alu instid0(VALU_DEP_1) | instskip(NEXT) | instid1(VALU_DEP_1)
	v_and_or_b32 v1, 0x80000000, v1, v5
	v_cvt_i32_f32_e32 v1, v1
.LBB70_975:
	s_mov_b32 s1, 0
.LBB70_976:
	s_delay_alu instid0(SALU_CYCLE_1)
	s_and_not1_b32 vcc_lo, exec_lo, s1
	s_cbranch_vccnz .LBB70_978
; %bb.977:
	s_wait_loadcnt 0x0
	global_load_u8 v1, v[2:3], off
	s_wait_loadcnt 0x0
	v_lshlrev_b32_e32 v5, 25, v1
	v_lshlrev_b16 v1, 8, v1
	s_delay_alu instid0(VALU_DEP_1) | instskip(SKIP_1) | instid1(VALU_DEP_2)
	v_and_or_b32 v7, 0x7f00, v1, 0.5
	v_bfe_i32 v1, v1, 0, 16
	v_dual_add_f32 v7, -0.5, v7 :: v_dual_lshrrev_b32 v6, 4, v5
	v_cmp_gt_u32_e32 vcc_lo, 0x8000000, v5
	s_delay_alu instid0(VALU_DEP_2) | instskip(NEXT) | instid1(VALU_DEP_1)
	v_or_b32_e32 v6, 0x70000000, v6
	v_mul_f32_e32 v6, 0x7800000, v6
	s_delay_alu instid0(VALU_DEP_1) | instskip(NEXT) | instid1(VALU_DEP_1)
	v_cndmask_b32_e32 v5, v6, v7, vcc_lo
	v_and_or_b32 v1, 0x80000000, v1, v5
	s_delay_alu instid0(VALU_DEP_1)
	v_cvt_i32_f32_e32 v1, v1
.LBB70_978:
	s_mov_b32 s13, -1
	s_mov_b32 s2, 0
	s_cbranch_execnz .LBB70_989
.LBB70_979:
	s_cmp_gt_i32 s15, 14
	s_cbranch_scc0 .LBB70_982
; %bb.980:
	s_cmp_eq_u32 s15, 15
	s_cbranch_scc0 .LBB70_985
; %bb.981:
	s_wait_loadcnt 0x0
	global_load_u16 v1, v[2:3], off
	s_mov_b32 s0, 0
	s_mov_b32 s13, -1
	s_wait_loadcnt 0x0
	v_lshlrev_b32_e32 v1, 16, v1
	s_delay_alu instid0(VALU_DEP_1)
	v_cvt_i32_f32_e32 v1, v1
	s_branch .LBB70_986
.LBB70_982:
	s_mov_b32 s1, -1
                                        ; implicit-def: $vgpr1
	s_branch .LBB70_987
.LBB70_983:
	s_and_not1_saveexec_b32 s1, s1
	s_cbranch_execz .LBB70_965
.LBB70_984:
	v_cmp_ne_u16_e32 vcc_lo, 0, v5
	s_and_not1_b32 s2, s2, exec_lo
	s_and_b32 s13, vcc_lo, exec_lo
	s_delay_alu instid0(SALU_CYCLE_1)
	s_or_b32 s2, s2, s13
	s_or_b32 exec_lo, exec_lo, s1
	v_mov_b32_e32 v1, 0
	s_and_saveexec_b32 s1, s2
	s_cbranch_execnz .LBB70_966
	s_branch .LBB70_967
.LBB70_985:
	s_mov_b32 s0, -1
                                        ; implicit-def: $vgpr1
.LBB70_986:
	s_mov_b32 s1, 0
.LBB70_987:
	s_delay_alu instid0(SALU_CYCLE_1)
	s_and_b32 vcc_lo, exec_lo, s1
	s_cbranch_vccz .LBB70_989
; %bb.988:
	s_cmp_lg_u32 s15, 11
	s_mov_b32 s2, -1
	s_cselect_b32 s0, -1, 0
.LBB70_989:
	s_delay_alu instid0(SALU_CYCLE_1)
	s_and_b32 vcc_lo, exec_lo, s0
	s_mov_b32 s1, s11
	s_cbranch_vccnz .LBB70_1039
; %bb.990:
	s_and_not1_b32 vcc_lo, exec_lo, s2
	s_cbranch_vccnz .LBB70_992
.LBB70_991:
	s_wait_loadcnt 0x0
	global_load_u8 v1, v[2:3], off
	s_mov_b32 s13, -1
	s_wait_loadcnt 0x0
	v_cmp_ne_u16_e32 vcc_lo, 0, v1
	v_cndmask_b32_e64 v1, 0, 1, vcc_lo
.LBB70_992:
	s_branch .LBB70_903
.LBB70_993:
	s_cmp_lt_i32 s15, 5
	s_cbranch_scc1 .LBB70_998
; %bb.994:
	s_cmp_lt_i32 s15, 8
	s_cbranch_scc1 .LBB70_999
; %bb.995:
	;; [unrolled: 3-line block ×3, first 2 shown]
	s_cmp_gt_i32 s15, 9
	s_cbranch_scc0 .LBB70_1001
; %bb.997:
	global_load_b64 v[6:7], v[2:3], off
	s_mov_b32 s0, 0
	s_wait_loadcnt 0x0
	v_cvt_i32_f64_e32 v1, v[6:7]
	s_branch .LBB70_1002
.LBB70_998:
                                        ; implicit-def: $vgpr1
	s_branch .LBB70_1019
.LBB70_999:
                                        ; implicit-def: $vgpr1
	s_branch .LBB70_1008
.LBB70_1000:
	s_mov_b32 s0, -1
                                        ; implicit-def: $vgpr1
	s_branch .LBB70_1005
.LBB70_1001:
	s_mov_b32 s0, -1
                                        ; implicit-def: $vgpr1
.LBB70_1002:
	s_delay_alu instid0(SALU_CYCLE_1)
	s_and_not1_b32 vcc_lo, exec_lo, s0
	s_cbranch_vccnz .LBB70_1004
; %bb.1003:
	s_wait_loadcnt 0x0
	global_load_b32 v1, v[2:3], off
	s_wait_loadcnt 0x0
	v_cvt_i32_f32_e32 v1, v1
.LBB70_1004:
	s_mov_b32 s0, 0
.LBB70_1005:
	s_delay_alu instid0(SALU_CYCLE_1)
	s_and_not1_b32 vcc_lo, exec_lo, s0
	s_cbranch_vccnz .LBB70_1007
; %bb.1006:
	s_wait_loadcnt 0x0
	global_load_b32 v1, v[2:3], off
	s_wait_loadcnt 0x0
	v_cvt_f32_f16_e32 v1, v1
	s_delay_alu instid0(VALU_DEP_1)
	v_cvt_i32_f32_e32 v1, v1
.LBB70_1007:
	s_cbranch_execnz .LBB70_1018
.LBB70_1008:
	s_cmp_lt_i32 s15, 6
	s_cbranch_scc1 .LBB70_1011
; %bb.1009:
	s_cmp_gt_i32 s15, 6
	s_cbranch_scc0 .LBB70_1012
; %bb.1010:
	global_load_b64 v[6:7], v[2:3], off
	s_mov_b32 s0, 0
	s_wait_loadcnt 0x0
	v_cvt_i32_f64_e32 v1, v[6:7]
	s_branch .LBB70_1013
.LBB70_1011:
	s_mov_b32 s0, -1
                                        ; implicit-def: $vgpr1
	s_branch .LBB70_1016
.LBB70_1012:
	s_mov_b32 s0, -1
                                        ; implicit-def: $vgpr1
.LBB70_1013:
	s_delay_alu instid0(SALU_CYCLE_1)
	s_and_not1_b32 vcc_lo, exec_lo, s0
	s_cbranch_vccnz .LBB70_1015
; %bb.1014:
	s_wait_loadcnt 0x0
	global_load_b32 v1, v[2:3], off
	s_wait_loadcnt 0x0
	v_cvt_i32_f32_e32 v1, v1
.LBB70_1015:
	s_mov_b32 s0, 0
.LBB70_1016:
	s_delay_alu instid0(SALU_CYCLE_1)
	s_and_not1_b32 vcc_lo, exec_lo, s0
	s_cbranch_vccnz .LBB70_1018
; %bb.1017:
	s_wait_loadcnt 0x0
	global_load_u16 v1, v[2:3], off
	s_wait_loadcnt 0x0
	v_cvt_f32_f16_e32 v1, v1
	s_delay_alu instid0(VALU_DEP_1)
	v_cvt_i32_f32_e32 v1, v1
.LBB70_1018:
	s_cbranch_execnz .LBB70_1037
.LBB70_1019:
	s_cmp_lt_i32 s15, 2
	s_cbranch_scc1 .LBB70_1023
; %bb.1020:
	s_cmp_lt_i32 s15, 3
	s_cbranch_scc1 .LBB70_1024
; %bb.1021:
	s_cmp_gt_i32 s15, 3
	s_cbranch_scc0 .LBB70_1025
; %bb.1022:
	s_wait_loadcnt 0x0
	global_load_b32 v1, v[2:3], off
	s_mov_b32 s0, 0
	s_branch .LBB70_1026
.LBB70_1023:
                                        ; implicit-def: $vgpr1
	s_branch .LBB70_1032
.LBB70_1024:
	s_mov_b32 s0, -1
                                        ; implicit-def: $vgpr1
	s_branch .LBB70_1029
.LBB70_1025:
	s_mov_b32 s0, -1
                                        ; implicit-def: $vgpr1
.LBB70_1026:
	s_delay_alu instid0(SALU_CYCLE_1)
	s_and_not1_b32 vcc_lo, exec_lo, s0
	s_cbranch_vccnz .LBB70_1028
; %bb.1027:
	s_wait_loadcnt 0x0
	global_load_b32 v1, v[2:3], off
.LBB70_1028:
	s_mov_b32 s0, 0
.LBB70_1029:
	s_delay_alu instid0(SALU_CYCLE_1)
	s_and_not1_b32 vcc_lo, exec_lo, s0
	s_cbranch_vccnz .LBB70_1031
; %bb.1030:
	s_wait_loadcnt 0x0
	global_load_i16 v1, v[2:3], off
.LBB70_1031:
	s_cbranch_execnz .LBB70_1037
.LBB70_1032:
	s_cmp_gt_i32 s15, 0
	s_mov_b32 s0, 0
	s_cbranch_scc0 .LBB70_1034
; %bb.1033:
	s_wait_loadcnt 0x0
	global_load_i8 v1, v[2:3], off
	s_branch .LBB70_1035
.LBB70_1034:
	s_mov_b32 s0, -1
                                        ; implicit-def: $vgpr1
.LBB70_1035:
	s_delay_alu instid0(SALU_CYCLE_1)
	s_and_not1_b32 vcc_lo, exec_lo, s0
	s_cbranch_vccnz .LBB70_1037
; %bb.1036:
	s_wait_loadcnt 0x0
	global_load_u8 v1, v[2:3], off
.LBB70_1037:
	s_branch .LBB70_904
.LBB70_1038:
	s_mov_b32 s13, 0
	s_mov_b32 s17, 0
                                        ; implicit-def: $sgpr0
                                        ; implicit-def: $vgpr2_vgpr3
	s_branch .LBB70_1728
.LBB70_1039:
	s_or_b32 s1, s11, exec_lo
	s_trap 2
	s_cbranch_execz .LBB70_991
	s_branch .LBB70_992
.LBB70_1040:
	s_mov_b32 s9, -1
	s_mov_b32 s16, 0
	s_mov_b32 s0, 0
	s_branch .LBB70_1043
.LBB70_1041:
	s_mov_b32 s16, -1
	s_mov_b32 s19, 0
	s_mov_b32 s0, 0
                                        ; implicit-def: $vgpr1
	s_branch .LBB70_1170
.LBB70_1042:
	s_mov_b32 s0, -1
	s_mov_b32 s16, 0
.LBB70_1043:
                                        ; implicit-def: $vgpr1
.LBB70_1044:
	s_and_b32 vcc_lo, exec_lo, s9
	s_cbranch_vccz .LBB70_1049
; %bb.1045:
	s_cmp_eq_u32 s15, 44
	s_cbranch_scc0 .LBB70_1048
; %bb.1046:
	global_load_u8 v1, v[2:3], off
	s_mov_b32 s0, 0
	s_mov_b32 s16, -1
	s_wait_loadcnt 0x0
	v_lshlrev_b32_e32 v5, 23, v1
	v_cmp_ne_u32_e32 vcc_lo, 0, v1
	s_delay_alu instid0(VALU_DEP_2) | instskip(NEXT) | instid1(VALU_DEP_1)
	v_cvt_i32_f32_e32 v5, v5
	v_cndmask_b32_e32 v1, 0, v5, vcc_lo
	s_branch .LBB70_1049
.LBB70_1047:
	s_mov_b32 s16, -1
	s_mov_b32 s19, 0
	s_mov_b32 s0, 0
                                        ; implicit-def: $vgpr1
	s_branch .LBB70_1165
.LBB70_1048:
	s_mov_b32 s0, -1
                                        ; implicit-def: $vgpr1
.LBB70_1049:
	s_mov_b32 s9, 0
.LBB70_1050:
	s_delay_alu instid0(SALU_CYCLE_1)
	s_and_b32 vcc_lo, exec_lo, s9
	s_cbranch_vccz .LBB70_1054
; %bb.1051:
	s_cmp_eq_u32 s15, 29
	s_cbranch_scc0 .LBB70_1053
; %bb.1052:
	global_load_b32 v1, v[2:3], off
	s_mov_b32 s0, 0
	s_mov_b32 s16, -1
	s_branch .LBB70_1054
.LBB70_1053:
	s_mov_b32 s0, -1
                                        ; implicit-def: $vgpr1
.LBB70_1054:
	s_mov_b32 s9, 0
.LBB70_1055:
	s_delay_alu instid0(SALU_CYCLE_1)
	s_and_b32 vcc_lo, exec_lo, s9
	s_cbranch_vccz .LBB70_1071
; %bb.1056:
	s_cmp_lt_i32 s15, 27
	s_cbranch_scc1 .LBB70_1059
; %bb.1057:
	s_cmp_gt_i32 s15, 27
	s_cbranch_scc0 .LBB70_1060
; %bb.1058:
	s_wait_loadcnt 0x0
	global_load_b32 v1, v[2:3], off
	s_mov_b32 s9, 0
	s_branch .LBB70_1061
.LBB70_1059:
	s_mov_b32 s9, -1
                                        ; implicit-def: $vgpr1
	s_branch .LBB70_1064
.LBB70_1060:
	s_mov_b32 s9, -1
                                        ; implicit-def: $vgpr1
.LBB70_1061:
	s_delay_alu instid0(SALU_CYCLE_1)
	s_and_not1_b32 vcc_lo, exec_lo, s9
	s_cbranch_vccnz .LBB70_1063
; %bb.1062:
	s_wait_loadcnt 0x0
	global_load_u16 v1, v[2:3], off
.LBB70_1063:
	s_mov_b32 s9, 0
.LBB70_1064:
	s_delay_alu instid0(SALU_CYCLE_1)
	s_and_not1_b32 vcc_lo, exec_lo, s9
	s_cbranch_vccnz .LBB70_1070
; %bb.1065:
	global_load_u8 v5, v[2:3], off
	s_mov_b32 s16, 0
	s_mov_b32 s9, exec_lo
	s_wait_loadcnt 0x0
	v_cmpx_lt_i16_e32 0x7f, v5
	s_xor_b32 s9, exec_lo, s9
	s_cbranch_execz .LBB70_1082
; %bb.1066:
	v_cmp_ne_u16_e32 vcc_lo, 0x80, v5
	s_and_b32 s16, vcc_lo, exec_lo
	s_and_not1_saveexec_b32 s9, s9
	s_cbranch_execnz .LBB70_1083
.LBB70_1067:
	s_or_b32 exec_lo, exec_lo, s9
	v_mov_b32_e32 v1, 0
	s_and_saveexec_b32 s9, s16
	s_cbranch_execz .LBB70_1069
.LBB70_1068:
	v_and_b32_e32 v1, 0xffff, v5
	s_delay_alu instid0(VALU_DEP_1) | instskip(SKIP_1) | instid1(VALU_DEP_2)
	v_and_b32_e32 v6, 7, v1
	v_bfe_u32 v9, v1, 3, 4
	v_clz_i32_u32_e32 v7, v6
	s_delay_alu instid0(VALU_DEP_2) | instskip(NEXT) | instid1(VALU_DEP_2)
	v_cmp_eq_u32_e32 vcc_lo, 0, v9
	v_min_u32_e32 v7, 32, v7
	s_delay_alu instid0(VALU_DEP_1) | instskip(NEXT) | instid1(VALU_DEP_1)
	v_subrev_nc_u32_e32 v8, 28, v7
	v_dual_lshlrev_b32 v1, v8, v1 :: v_dual_sub_nc_u32 v7, 29, v7
	s_delay_alu instid0(VALU_DEP_1) | instskip(NEXT) | instid1(VALU_DEP_2)
	v_and_b32_e32 v1, 7, v1
	v_dual_lshlrev_b32 v5, 24, v5 :: v_dual_cndmask_b32 v7, v9, v7, vcc_lo
	s_delay_alu instid0(VALU_DEP_2) | instskip(NEXT) | instid1(VALU_DEP_2)
	v_cndmask_b32_e32 v1, v6, v1, vcc_lo
	v_and_b32_e32 v5, 0x80000000, v5
	s_delay_alu instid0(VALU_DEP_3) | instskip(NEXT) | instid1(VALU_DEP_3)
	v_lshl_add_u32 v6, v7, 23, 0x3b800000
	v_lshlrev_b32_e32 v1, 20, v1
	s_delay_alu instid0(VALU_DEP_1) | instskip(NEXT) | instid1(VALU_DEP_1)
	v_or3_b32 v1, v5, v6, v1
	v_cvt_i32_f32_e32 v1, v1
.LBB70_1069:
	s_or_b32 exec_lo, exec_lo, s9
.LBB70_1070:
	s_mov_b32 s16, -1
.LBB70_1071:
	s_mov_b32 s9, 0
.LBB70_1072:
	s_delay_alu instid0(SALU_CYCLE_1)
	s_and_b32 vcc_lo, exec_lo, s9
	s_cbranch_vccz .LBB70_1103
; %bb.1073:
	s_cmp_gt_i32 s15, 22
	s_cbranch_scc0 .LBB70_1081
; %bb.1074:
	s_cmp_lt_i32 s15, 24
	s_cbranch_scc1 .LBB70_1084
; %bb.1075:
	s_cmp_gt_i32 s15, 24
	s_cbranch_scc0 .LBB70_1085
; %bb.1076:
	global_load_u8 v5, v[2:3], off
	s_mov_b32 s9, exec_lo
	s_wait_loadcnt 0x0
	v_cmpx_lt_i16_e32 0x7f, v5
	s_xor_b32 s9, exec_lo, s9
	s_cbranch_execz .LBB70_1097
; %bb.1077:
	v_cmp_ne_u16_e32 vcc_lo, 0x80, v5
	s_and_b32 s13, vcc_lo, exec_lo
	s_and_not1_saveexec_b32 s9, s9
	s_cbranch_execnz .LBB70_1098
.LBB70_1078:
	s_or_b32 exec_lo, exec_lo, s9
	v_mov_b32_e32 v1, 0
	s_and_saveexec_b32 s9, s13
	s_cbranch_execz .LBB70_1080
.LBB70_1079:
	v_and_b32_e32 v1, 0xffff, v5
	s_delay_alu instid0(VALU_DEP_1) | instskip(SKIP_1) | instid1(VALU_DEP_2)
	v_and_b32_e32 v6, 3, v1
	v_bfe_u32 v9, v1, 2, 5
	v_clz_i32_u32_e32 v7, v6
	s_delay_alu instid0(VALU_DEP_2) | instskip(NEXT) | instid1(VALU_DEP_2)
	v_cmp_eq_u32_e32 vcc_lo, 0, v9
	v_min_u32_e32 v7, 32, v7
	s_delay_alu instid0(VALU_DEP_1) | instskip(NEXT) | instid1(VALU_DEP_1)
	v_subrev_nc_u32_e32 v8, 29, v7
	v_dual_lshlrev_b32 v1, v8, v1 :: v_dual_sub_nc_u32 v7, 30, v7
	s_delay_alu instid0(VALU_DEP_1) | instskip(NEXT) | instid1(VALU_DEP_2)
	v_and_b32_e32 v1, 3, v1
	v_dual_lshlrev_b32 v5, 24, v5 :: v_dual_cndmask_b32 v7, v9, v7, vcc_lo
	s_delay_alu instid0(VALU_DEP_2) | instskip(NEXT) | instid1(VALU_DEP_2)
	v_cndmask_b32_e32 v1, v6, v1, vcc_lo
	v_and_b32_e32 v5, 0x80000000, v5
	s_delay_alu instid0(VALU_DEP_3) | instskip(NEXT) | instid1(VALU_DEP_3)
	v_lshl_add_u32 v6, v7, 23, 0x37800000
	v_lshlrev_b32_e32 v1, 21, v1
	s_delay_alu instid0(VALU_DEP_1) | instskip(NEXT) | instid1(VALU_DEP_1)
	v_or3_b32 v1, v5, v6, v1
	v_cvt_i32_f32_e32 v1, v1
.LBB70_1080:
	s_or_b32 exec_lo, exec_lo, s9
	s_mov_b32 s9, 0
	s_branch .LBB70_1086
.LBB70_1081:
	s_mov_b32 s9, -1
                                        ; implicit-def: $vgpr1
	s_branch .LBB70_1092
.LBB70_1082:
	s_and_not1_saveexec_b32 s9, s9
	s_cbranch_execz .LBB70_1067
.LBB70_1083:
	v_cmp_ne_u16_e32 vcc_lo, 0, v5
	s_and_not1_b32 s16, s16, exec_lo
	s_and_b32 s17, vcc_lo, exec_lo
	s_delay_alu instid0(SALU_CYCLE_1)
	s_or_b32 s16, s16, s17
	s_or_b32 exec_lo, exec_lo, s9
	v_mov_b32_e32 v1, 0
	s_and_saveexec_b32 s9, s16
	s_cbranch_execnz .LBB70_1068
	s_branch .LBB70_1069
.LBB70_1084:
	s_mov_b32 s9, -1
                                        ; implicit-def: $vgpr1
	s_branch .LBB70_1089
.LBB70_1085:
	s_mov_b32 s9, -1
                                        ; implicit-def: $vgpr1
.LBB70_1086:
	s_delay_alu instid0(SALU_CYCLE_1)
	s_and_b32 vcc_lo, exec_lo, s9
	s_cbranch_vccz .LBB70_1088
; %bb.1087:
	s_wait_loadcnt 0x0
	global_load_u8 v1, v[2:3], off
	s_wait_loadcnt 0x0
	v_lshlrev_b32_e32 v1, 24, v1
	s_delay_alu instid0(VALU_DEP_1) | instskip(NEXT) | instid1(VALU_DEP_1)
	v_and_b32_e32 v5, 0x7f000000, v1
	v_clz_i32_u32_e32 v6, v5
	v_cmp_ne_u32_e32 vcc_lo, 0, v5
	v_add_nc_u32_e32 v8, 0x1000000, v5
	s_delay_alu instid0(VALU_DEP_3) | instskip(NEXT) | instid1(VALU_DEP_1)
	v_min_u32_e32 v6, 32, v6
	v_sub_nc_u32_e64 v6, v6, 4 clamp
	s_delay_alu instid0(VALU_DEP_1) | instskip(NEXT) | instid1(VALU_DEP_1)
	v_dual_lshlrev_b32 v7, v6, v5 :: v_dual_lshlrev_b32 v6, 23, v6
	v_lshrrev_b32_e32 v7, 4, v7
	s_delay_alu instid0(VALU_DEP_1) | instskip(NEXT) | instid1(VALU_DEP_1)
	v_dual_sub_nc_u32 v6, v7, v6 :: v_dual_ashrrev_i32 v7, 8, v8
	v_add_nc_u32_e32 v6, 0x3c000000, v6
	s_delay_alu instid0(VALU_DEP_1) | instskip(NEXT) | instid1(VALU_DEP_1)
	v_and_or_b32 v6, 0x7f800000, v7, v6
	v_cndmask_b32_e32 v5, 0, v6, vcc_lo
	s_delay_alu instid0(VALU_DEP_1) | instskip(NEXT) | instid1(VALU_DEP_1)
	v_and_or_b32 v1, 0x80000000, v1, v5
	v_cvt_i32_f32_e32 v1, v1
.LBB70_1088:
	s_mov_b32 s9, 0
.LBB70_1089:
	s_delay_alu instid0(SALU_CYCLE_1)
	s_and_not1_b32 vcc_lo, exec_lo, s9
	s_cbranch_vccnz .LBB70_1091
; %bb.1090:
	s_wait_loadcnt 0x0
	global_load_u8 v1, v[2:3], off
	s_wait_loadcnt 0x0
	v_lshlrev_b32_e32 v5, 25, v1
	v_lshlrev_b16 v1, 8, v1
	s_delay_alu instid0(VALU_DEP_1) | instskip(SKIP_1) | instid1(VALU_DEP_2)
	v_and_or_b32 v7, 0x7f00, v1, 0.5
	v_bfe_i32 v1, v1, 0, 16
	v_dual_add_f32 v7, -0.5, v7 :: v_dual_lshrrev_b32 v6, 4, v5
	v_cmp_gt_u32_e32 vcc_lo, 0x8000000, v5
	s_delay_alu instid0(VALU_DEP_2) | instskip(NEXT) | instid1(VALU_DEP_1)
	v_or_b32_e32 v6, 0x70000000, v6
	v_mul_f32_e32 v6, 0x7800000, v6
	s_delay_alu instid0(VALU_DEP_1) | instskip(NEXT) | instid1(VALU_DEP_1)
	v_cndmask_b32_e32 v5, v6, v7, vcc_lo
	v_and_or_b32 v1, 0x80000000, v1, v5
	s_delay_alu instid0(VALU_DEP_1)
	v_cvt_i32_f32_e32 v1, v1
.LBB70_1091:
	s_mov_b32 s9, 0
	s_mov_b32 s16, -1
.LBB70_1092:
	s_and_not1_b32 vcc_lo, exec_lo, s9
	s_mov_b32 s13, 0
	s_cbranch_vccnz .LBB70_1103
; %bb.1093:
	s_cmp_gt_i32 s15, 14
	s_cbranch_scc0 .LBB70_1096
; %bb.1094:
	s_cmp_eq_u32 s15, 15
	s_cbranch_scc0 .LBB70_1099
; %bb.1095:
	s_wait_loadcnt 0x0
	global_load_u16 v1, v[2:3], off
	s_mov_b32 s0, 0
	s_mov_b32 s16, -1
	s_wait_loadcnt 0x0
	v_lshlrev_b32_e32 v1, 16, v1
	s_delay_alu instid0(VALU_DEP_1)
	v_cvt_i32_f32_e32 v1, v1
	s_branch .LBB70_1100
.LBB70_1096:
	s_mov_b32 s9, -1
                                        ; implicit-def: $vgpr1
	s_branch .LBB70_1101
.LBB70_1097:
	s_and_not1_saveexec_b32 s9, s9
	s_cbranch_execz .LBB70_1078
.LBB70_1098:
	v_cmp_ne_u16_e32 vcc_lo, 0, v5
	s_and_not1_b32 s13, s13, exec_lo
	s_and_b32 s16, vcc_lo, exec_lo
	s_delay_alu instid0(SALU_CYCLE_1)
	s_or_b32 s13, s13, s16
	s_or_b32 exec_lo, exec_lo, s9
	v_mov_b32_e32 v1, 0
	s_and_saveexec_b32 s9, s13
	s_cbranch_execnz .LBB70_1079
	s_branch .LBB70_1080
.LBB70_1099:
	s_mov_b32 s0, -1
                                        ; implicit-def: $vgpr1
.LBB70_1100:
	s_mov_b32 s9, 0
.LBB70_1101:
	s_delay_alu instid0(SALU_CYCLE_1)
	s_and_b32 vcc_lo, exec_lo, s9
	s_cbranch_vccz .LBB70_1103
; %bb.1102:
	s_cmp_lg_u32 s15, 11
	s_mov_b32 s13, -1
	s_cselect_b32 s0, -1, 0
.LBB70_1103:
	s_delay_alu instid0(SALU_CYCLE_1)
	s_and_b32 vcc_lo, exec_lo, s0
	s_mov_b32 s9, s1
	s_cbranch_vccnz .LBB70_1156
; %bb.1104:
	s_and_not1_b32 vcc_lo, exec_lo, s13
	s_cbranch_vccnz .LBB70_1106
.LBB70_1105:
	s_wait_loadcnt 0x0
	global_load_u8 v1, v[2:3], off
	s_mov_b32 s16, -1
	s_wait_loadcnt 0x0
	v_cmp_ne_u16_e32 vcc_lo, 0, v1
	v_cndmask_b32_e64 v1, 0, 1, vcc_lo
.LBB70_1106:
	s_branch .LBB70_916
.LBB70_1107:
	s_cmp_lt_i32 s15, 5
	s_cbranch_scc1 .LBB70_1112
; %bb.1108:
	s_cmp_lt_i32 s15, 8
	s_cbranch_scc1 .LBB70_1113
; %bb.1109:
	;; [unrolled: 3-line block ×3, first 2 shown]
	s_cmp_gt_i32 s15, 9
	s_cbranch_scc0 .LBB70_1115
; %bb.1111:
	global_load_b64 v[6:7], v[2:3], off
	s_mov_b32 s0, 0
	s_wait_loadcnt 0x0
	v_cvt_i32_f64_e32 v1, v[6:7]
	s_branch .LBB70_1116
.LBB70_1112:
	s_mov_b32 s0, -1
                                        ; implicit-def: $vgpr1
	s_branch .LBB70_1134
.LBB70_1113:
	s_mov_b32 s0, -1
                                        ; implicit-def: $vgpr1
	s_branch .LBB70_1122
.LBB70_1114:
	s_mov_b32 s0, -1
                                        ; implicit-def: $vgpr1
	s_branch .LBB70_1119
.LBB70_1115:
	s_mov_b32 s0, -1
                                        ; implicit-def: $vgpr1
.LBB70_1116:
	s_delay_alu instid0(SALU_CYCLE_1)
	s_and_not1_b32 vcc_lo, exec_lo, s0
	s_cbranch_vccnz .LBB70_1118
; %bb.1117:
	s_wait_loadcnt 0x0
	global_load_b32 v1, v[2:3], off
	s_wait_loadcnt 0x0
	v_cvt_i32_f32_e32 v1, v1
.LBB70_1118:
	s_mov_b32 s0, 0
.LBB70_1119:
	s_delay_alu instid0(SALU_CYCLE_1)
	s_and_not1_b32 vcc_lo, exec_lo, s0
	s_cbranch_vccnz .LBB70_1121
; %bb.1120:
	s_wait_loadcnt 0x0
	global_load_b32 v1, v[2:3], off
	s_wait_loadcnt 0x0
	v_cvt_f32_f16_e32 v1, v1
	s_delay_alu instid0(VALU_DEP_1)
	v_cvt_i32_f32_e32 v1, v1
.LBB70_1121:
	s_mov_b32 s0, 0
.LBB70_1122:
	s_delay_alu instid0(SALU_CYCLE_1)
	s_and_not1_b32 vcc_lo, exec_lo, s0
	s_cbranch_vccnz .LBB70_1133
; %bb.1123:
	s_cmp_lt_i32 s15, 6
	s_cbranch_scc1 .LBB70_1126
; %bb.1124:
	s_cmp_gt_i32 s15, 6
	s_cbranch_scc0 .LBB70_1127
; %bb.1125:
	global_load_b64 v[6:7], v[2:3], off
	s_mov_b32 s0, 0
	s_wait_loadcnt 0x0
	v_cvt_i32_f64_e32 v1, v[6:7]
	s_branch .LBB70_1128
.LBB70_1126:
	s_mov_b32 s0, -1
                                        ; implicit-def: $vgpr1
	s_branch .LBB70_1131
.LBB70_1127:
	s_mov_b32 s0, -1
                                        ; implicit-def: $vgpr1
.LBB70_1128:
	s_delay_alu instid0(SALU_CYCLE_1)
	s_and_not1_b32 vcc_lo, exec_lo, s0
	s_cbranch_vccnz .LBB70_1130
; %bb.1129:
	s_wait_loadcnt 0x0
	global_load_b32 v1, v[2:3], off
	s_wait_loadcnt 0x0
	v_cvt_i32_f32_e32 v1, v1
.LBB70_1130:
	s_mov_b32 s0, 0
.LBB70_1131:
	s_delay_alu instid0(SALU_CYCLE_1)
	s_and_not1_b32 vcc_lo, exec_lo, s0
	s_cbranch_vccnz .LBB70_1133
; %bb.1132:
	s_wait_loadcnt 0x0
	global_load_u16 v1, v[2:3], off
	s_wait_loadcnt 0x0
	v_cvt_f32_f16_e32 v1, v1
	s_delay_alu instid0(VALU_DEP_1)
	v_cvt_i32_f32_e32 v1, v1
.LBB70_1133:
	s_mov_b32 s0, 0
.LBB70_1134:
	s_delay_alu instid0(SALU_CYCLE_1)
	s_and_not1_b32 vcc_lo, exec_lo, s0
	s_cbranch_vccnz .LBB70_1154
; %bb.1135:
	s_cmp_lt_i32 s15, 2
	s_cbranch_scc1 .LBB70_1139
; %bb.1136:
	s_cmp_lt_i32 s15, 3
	s_cbranch_scc1 .LBB70_1140
; %bb.1137:
	s_cmp_gt_i32 s15, 3
	s_cbranch_scc0 .LBB70_1141
; %bb.1138:
	s_wait_loadcnt 0x0
	global_load_b32 v1, v[2:3], off
	s_mov_b32 s0, 0
	s_branch .LBB70_1142
.LBB70_1139:
	s_mov_b32 s0, -1
                                        ; implicit-def: $vgpr1
	s_branch .LBB70_1148
.LBB70_1140:
	s_mov_b32 s0, -1
                                        ; implicit-def: $vgpr1
	s_branch .LBB70_1145
.LBB70_1141:
	s_mov_b32 s0, -1
                                        ; implicit-def: $vgpr1
.LBB70_1142:
	s_delay_alu instid0(SALU_CYCLE_1)
	s_and_not1_b32 vcc_lo, exec_lo, s0
	s_cbranch_vccnz .LBB70_1144
; %bb.1143:
	s_wait_loadcnt 0x0
	global_load_b32 v1, v[2:3], off
.LBB70_1144:
	s_mov_b32 s0, 0
.LBB70_1145:
	s_delay_alu instid0(SALU_CYCLE_1)
	s_and_not1_b32 vcc_lo, exec_lo, s0
	s_cbranch_vccnz .LBB70_1147
; %bb.1146:
	s_wait_loadcnt 0x0
	global_load_i16 v1, v[2:3], off
.LBB70_1147:
	s_mov_b32 s0, 0
.LBB70_1148:
	s_delay_alu instid0(SALU_CYCLE_1)
	s_and_not1_b32 vcc_lo, exec_lo, s0
	s_cbranch_vccnz .LBB70_1154
; %bb.1149:
	s_cmp_gt_i32 s15, 0
	s_mov_b32 s0, 0
	s_cbranch_scc0 .LBB70_1151
; %bb.1150:
	s_wait_loadcnt 0x0
	global_load_i8 v1, v[2:3], off
	s_branch .LBB70_1152
.LBB70_1151:
	s_mov_b32 s0, -1
                                        ; implicit-def: $vgpr1
.LBB70_1152:
	s_delay_alu instid0(SALU_CYCLE_1)
	s_and_not1_b32 vcc_lo, exec_lo, s0
	s_cbranch_vccnz .LBB70_1154
; %bb.1153:
	s_wait_loadcnt 0x0
	global_load_u8 v1, v[2:3], off
.LBB70_1154:
	s_branch .LBB70_917
.LBB70_1155:
	s_mov_b32 s16, 0
	s_mov_b32 s17, 0
                                        ; implicit-def: $sgpr0
                                        ; implicit-def: $vgpr2_vgpr3
	s_branch .LBB70_1726
.LBB70_1156:
	s_or_b32 s9, s1, exec_lo
	s_trap 2
	s_cbranch_execz .LBB70_1105
	s_branch .LBB70_1106
.LBB70_1157:
	s_mov_b32 s16, -1
	s_mov_b32 s19, 0
	s_mov_b32 s0, 0
	s_branch .LBB70_1159
.LBB70_1158:
	s_mov_b32 s0, -1
	s_mov_b32 s19, 0
.LBB70_1159:
                                        ; implicit-def: $vgpr1
.LBB70_1160:
	s_and_b32 vcc_lo, exec_lo, s16
	s_cbranch_vccz .LBB70_1164
; %bb.1161:
	s_cmp_eq_u32 s15, 44
	s_cbranch_scc0 .LBB70_1163
; %bb.1162:
	global_load_u8 v1, v[2:3], off
	s_mov_b32 s0, 0
	s_mov_b32 s19, -1
	s_wait_loadcnt 0x0
	v_lshlrev_b32_e32 v5, 23, v1
	v_cmp_ne_u32_e32 vcc_lo, 0, v1
	s_delay_alu instid0(VALU_DEP_2) | instskip(NEXT) | instid1(VALU_DEP_1)
	v_cvt_i32_f32_e32 v5, v5
	v_cndmask_b32_e32 v1, 0, v5, vcc_lo
	s_branch .LBB70_1164
.LBB70_1163:
	s_mov_b32 s0, -1
                                        ; implicit-def: $vgpr1
.LBB70_1164:
	s_mov_b32 s16, 0
.LBB70_1165:
	s_delay_alu instid0(SALU_CYCLE_1)
	s_and_b32 vcc_lo, exec_lo, s16
	s_cbranch_vccz .LBB70_1169
; %bb.1166:
	s_cmp_eq_u32 s15, 29
	s_cbranch_scc0 .LBB70_1168
; %bb.1167:
	global_load_b32 v1, v[2:3], off
	s_mov_b32 s0, 0
	s_mov_b32 s19, -1
	s_branch .LBB70_1169
.LBB70_1168:
	s_mov_b32 s0, -1
                                        ; implicit-def: $vgpr1
.LBB70_1169:
	s_mov_b32 s16, 0
.LBB70_1170:
	s_delay_alu instid0(SALU_CYCLE_1)
	s_and_b32 vcc_lo, exec_lo, s16
	s_cbranch_vccz .LBB70_1186
; %bb.1171:
	s_cmp_lt_i32 s15, 27
	s_cbranch_scc1 .LBB70_1174
; %bb.1172:
	s_cmp_gt_i32 s15, 27
	s_cbranch_scc0 .LBB70_1175
; %bb.1173:
	s_wait_loadcnt 0x0
	global_load_b32 v1, v[2:3], off
	s_mov_b32 s16, 0
	s_branch .LBB70_1176
.LBB70_1174:
	s_mov_b32 s16, -1
                                        ; implicit-def: $vgpr1
	s_branch .LBB70_1179
.LBB70_1175:
	s_mov_b32 s16, -1
                                        ; implicit-def: $vgpr1
.LBB70_1176:
	s_delay_alu instid0(SALU_CYCLE_1)
	s_and_not1_b32 vcc_lo, exec_lo, s16
	s_cbranch_vccnz .LBB70_1178
; %bb.1177:
	s_wait_loadcnt 0x0
	global_load_u16 v1, v[2:3], off
.LBB70_1178:
	s_mov_b32 s16, 0
.LBB70_1179:
	s_delay_alu instid0(SALU_CYCLE_1)
	s_and_not1_b32 vcc_lo, exec_lo, s16
	s_cbranch_vccnz .LBB70_1185
; %bb.1180:
	global_load_u8 v5, v[2:3], off
	s_mov_b32 s19, 0
	s_mov_b32 s16, exec_lo
	s_wait_loadcnt 0x0
	v_cmpx_lt_i16_e32 0x7f, v5
	s_xor_b32 s16, exec_lo, s16
	s_cbranch_execz .LBB70_1197
; %bb.1181:
	v_cmp_ne_u16_e32 vcc_lo, 0x80, v5
	s_and_b32 s19, vcc_lo, exec_lo
	s_and_not1_saveexec_b32 s16, s16
	s_cbranch_execnz .LBB70_1198
.LBB70_1182:
	s_or_b32 exec_lo, exec_lo, s16
	v_mov_b32_e32 v1, 0
	s_and_saveexec_b32 s16, s19
	s_cbranch_execz .LBB70_1184
.LBB70_1183:
	v_and_b32_e32 v1, 0xffff, v5
	s_delay_alu instid0(VALU_DEP_1) | instskip(SKIP_1) | instid1(VALU_DEP_2)
	v_and_b32_e32 v6, 7, v1
	v_bfe_u32 v9, v1, 3, 4
	v_clz_i32_u32_e32 v7, v6
	s_delay_alu instid0(VALU_DEP_2) | instskip(NEXT) | instid1(VALU_DEP_2)
	v_cmp_eq_u32_e32 vcc_lo, 0, v9
	v_min_u32_e32 v7, 32, v7
	s_delay_alu instid0(VALU_DEP_1) | instskip(NEXT) | instid1(VALU_DEP_1)
	v_subrev_nc_u32_e32 v8, 28, v7
	v_dual_lshlrev_b32 v1, v8, v1 :: v_dual_sub_nc_u32 v7, 29, v7
	s_delay_alu instid0(VALU_DEP_1) | instskip(NEXT) | instid1(VALU_DEP_2)
	v_and_b32_e32 v1, 7, v1
	v_dual_lshlrev_b32 v5, 24, v5 :: v_dual_cndmask_b32 v7, v9, v7, vcc_lo
	s_delay_alu instid0(VALU_DEP_2) | instskip(NEXT) | instid1(VALU_DEP_2)
	v_cndmask_b32_e32 v1, v6, v1, vcc_lo
	v_and_b32_e32 v5, 0x80000000, v5
	s_delay_alu instid0(VALU_DEP_3) | instskip(NEXT) | instid1(VALU_DEP_3)
	v_lshl_add_u32 v6, v7, 23, 0x3b800000
	v_lshlrev_b32_e32 v1, 20, v1
	s_delay_alu instid0(VALU_DEP_1) | instskip(NEXT) | instid1(VALU_DEP_1)
	v_or3_b32 v1, v5, v6, v1
	v_cvt_i32_f32_e32 v1, v1
.LBB70_1184:
	s_or_b32 exec_lo, exec_lo, s16
.LBB70_1185:
	s_mov_b32 s19, -1
.LBB70_1186:
	s_mov_b32 s16, 0
.LBB70_1187:
	s_delay_alu instid0(SALU_CYCLE_1)
	s_and_b32 vcc_lo, exec_lo, s16
	s_cbranch_vccz .LBB70_1218
; %bb.1188:
	s_cmp_gt_i32 s15, 22
	s_cbranch_scc0 .LBB70_1196
; %bb.1189:
	s_cmp_lt_i32 s15, 24
	s_cbranch_scc1 .LBB70_1199
; %bb.1190:
	s_cmp_gt_i32 s15, 24
	s_cbranch_scc0 .LBB70_1200
; %bb.1191:
	global_load_u8 v5, v[2:3], off
	s_mov_b32 s16, exec_lo
	s_wait_loadcnt 0x0
	v_cmpx_lt_i16_e32 0x7f, v5
	s_xor_b32 s16, exec_lo, s16
	s_cbranch_execz .LBB70_1212
; %bb.1192:
	v_cmp_ne_u16_e32 vcc_lo, 0x80, v5
	s_and_b32 s17, vcc_lo, exec_lo
	s_and_not1_saveexec_b32 s16, s16
	s_cbranch_execnz .LBB70_1213
.LBB70_1193:
	s_or_b32 exec_lo, exec_lo, s16
	v_mov_b32_e32 v1, 0
	s_and_saveexec_b32 s16, s17
	s_cbranch_execz .LBB70_1195
.LBB70_1194:
	v_and_b32_e32 v1, 0xffff, v5
	s_delay_alu instid0(VALU_DEP_1) | instskip(SKIP_1) | instid1(VALU_DEP_2)
	v_and_b32_e32 v6, 3, v1
	v_bfe_u32 v9, v1, 2, 5
	v_clz_i32_u32_e32 v7, v6
	s_delay_alu instid0(VALU_DEP_2) | instskip(NEXT) | instid1(VALU_DEP_2)
	v_cmp_eq_u32_e32 vcc_lo, 0, v9
	v_min_u32_e32 v7, 32, v7
	s_delay_alu instid0(VALU_DEP_1) | instskip(NEXT) | instid1(VALU_DEP_1)
	v_subrev_nc_u32_e32 v8, 29, v7
	v_dual_lshlrev_b32 v1, v8, v1 :: v_dual_sub_nc_u32 v7, 30, v7
	s_delay_alu instid0(VALU_DEP_1) | instskip(NEXT) | instid1(VALU_DEP_2)
	v_and_b32_e32 v1, 3, v1
	v_dual_lshlrev_b32 v5, 24, v5 :: v_dual_cndmask_b32 v7, v9, v7, vcc_lo
	s_delay_alu instid0(VALU_DEP_2) | instskip(NEXT) | instid1(VALU_DEP_2)
	v_cndmask_b32_e32 v1, v6, v1, vcc_lo
	v_and_b32_e32 v5, 0x80000000, v5
	s_delay_alu instid0(VALU_DEP_3) | instskip(NEXT) | instid1(VALU_DEP_3)
	v_lshl_add_u32 v6, v7, 23, 0x37800000
	v_lshlrev_b32_e32 v1, 21, v1
	s_delay_alu instid0(VALU_DEP_1) | instskip(NEXT) | instid1(VALU_DEP_1)
	v_or3_b32 v1, v5, v6, v1
	v_cvt_i32_f32_e32 v1, v1
.LBB70_1195:
	s_or_b32 exec_lo, exec_lo, s16
	s_mov_b32 s16, 0
	s_branch .LBB70_1201
.LBB70_1196:
	s_mov_b32 s16, -1
                                        ; implicit-def: $vgpr1
	s_branch .LBB70_1207
.LBB70_1197:
	s_and_not1_saveexec_b32 s16, s16
	s_cbranch_execz .LBB70_1182
.LBB70_1198:
	v_cmp_ne_u16_e32 vcc_lo, 0, v5
	s_and_not1_b32 s19, s19, exec_lo
	s_and_b32 s20, vcc_lo, exec_lo
	s_delay_alu instid0(SALU_CYCLE_1)
	s_or_b32 s19, s19, s20
	s_or_b32 exec_lo, exec_lo, s16
	v_mov_b32_e32 v1, 0
	s_and_saveexec_b32 s16, s19
	s_cbranch_execnz .LBB70_1183
	s_branch .LBB70_1184
.LBB70_1199:
	s_mov_b32 s16, -1
                                        ; implicit-def: $vgpr1
	s_branch .LBB70_1204
.LBB70_1200:
	s_mov_b32 s16, -1
                                        ; implicit-def: $vgpr1
.LBB70_1201:
	s_delay_alu instid0(SALU_CYCLE_1)
	s_and_b32 vcc_lo, exec_lo, s16
	s_cbranch_vccz .LBB70_1203
; %bb.1202:
	s_wait_loadcnt 0x0
	global_load_u8 v1, v[2:3], off
	s_wait_loadcnt 0x0
	v_lshlrev_b32_e32 v1, 24, v1
	s_delay_alu instid0(VALU_DEP_1) | instskip(NEXT) | instid1(VALU_DEP_1)
	v_and_b32_e32 v5, 0x7f000000, v1
	v_clz_i32_u32_e32 v6, v5
	v_cmp_ne_u32_e32 vcc_lo, 0, v5
	v_add_nc_u32_e32 v8, 0x1000000, v5
	s_delay_alu instid0(VALU_DEP_3) | instskip(NEXT) | instid1(VALU_DEP_1)
	v_min_u32_e32 v6, 32, v6
	v_sub_nc_u32_e64 v6, v6, 4 clamp
	s_delay_alu instid0(VALU_DEP_1) | instskip(NEXT) | instid1(VALU_DEP_1)
	v_dual_lshlrev_b32 v7, v6, v5 :: v_dual_lshlrev_b32 v6, 23, v6
	v_lshrrev_b32_e32 v7, 4, v7
	s_delay_alu instid0(VALU_DEP_1) | instskip(NEXT) | instid1(VALU_DEP_1)
	v_dual_sub_nc_u32 v6, v7, v6 :: v_dual_ashrrev_i32 v7, 8, v8
	v_add_nc_u32_e32 v6, 0x3c000000, v6
	s_delay_alu instid0(VALU_DEP_1) | instskip(NEXT) | instid1(VALU_DEP_1)
	v_and_or_b32 v6, 0x7f800000, v7, v6
	v_cndmask_b32_e32 v5, 0, v6, vcc_lo
	s_delay_alu instid0(VALU_DEP_1) | instskip(NEXT) | instid1(VALU_DEP_1)
	v_and_or_b32 v1, 0x80000000, v1, v5
	v_cvt_i32_f32_e32 v1, v1
.LBB70_1203:
	s_mov_b32 s16, 0
.LBB70_1204:
	s_delay_alu instid0(SALU_CYCLE_1)
	s_and_not1_b32 vcc_lo, exec_lo, s16
	s_cbranch_vccnz .LBB70_1206
; %bb.1205:
	s_wait_loadcnt 0x0
	global_load_u8 v1, v[2:3], off
	s_wait_loadcnt 0x0
	v_lshlrev_b32_e32 v5, 25, v1
	v_lshlrev_b16 v1, 8, v1
	s_delay_alu instid0(VALU_DEP_1) | instskip(SKIP_1) | instid1(VALU_DEP_2)
	v_and_or_b32 v7, 0x7f00, v1, 0.5
	v_bfe_i32 v1, v1, 0, 16
	v_dual_add_f32 v7, -0.5, v7 :: v_dual_lshrrev_b32 v6, 4, v5
	v_cmp_gt_u32_e32 vcc_lo, 0x8000000, v5
	s_delay_alu instid0(VALU_DEP_2) | instskip(NEXT) | instid1(VALU_DEP_1)
	v_or_b32_e32 v6, 0x70000000, v6
	v_mul_f32_e32 v6, 0x7800000, v6
	s_delay_alu instid0(VALU_DEP_1) | instskip(NEXT) | instid1(VALU_DEP_1)
	v_cndmask_b32_e32 v5, v6, v7, vcc_lo
	v_and_or_b32 v1, 0x80000000, v1, v5
	s_delay_alu instid0(VALU_DEP_1)
	v_cvt_i32_f32_e32 v1, v1
.LBB70_1206:
	s_mov_b32 s16, 0
	s_mov_b32 s19, -1
.LBB70_1207:
	s_and_not1_b32 vcc_lo, exec_lo, s16
	s_mov_b32 s17, 0
	s_cbranch_vccnz .LBB70_1218
; %bb.1208:
	s_cmp_gt_i32 s15, 14
	s_cbranch_scc0 .LBB70_1211
; %bb.1209:
	s_cmp_eq_u32 s15, 15
	s_cbranch_scc0 .LBB70_1214
; %bb.1210:
	s_wait_loadcnt 0x0
	global_load_u16 v1, v[2:3], off
	s_mov_b32 s0, 0
	s_mov_b32 s19, -1
	s_wait_loadcnt 0x0
	v_lshlrev_b32_e32 v1, 16, v1
	s_delay_alu instid0(VALU_DEP_1)
	v_cvt_i32_f32_e32 v1, v1
	s_branch .LBB70_1215
.LBB70_1211:
	s_mov_b32 s16, -1
                                        ; implicit-def: $vgpr1
	s_branch .LBB70_1216
.LBB70_1212:
	s_and_not1_saveexec_b32 s16, s16
	s_cbranch_execz .LBB70_1193
.LBB70_1213:
	v_cmp_ne_u16_e32 vcc_lo, 0, v5
	s_and_not1_b32 s17, s17, exec_lo
	s_and_b32 s19, vcc_lo, exec_lo
	s_delay_alu instid0(SALU_CYCLE_1)
	s_or_b32 s17, s17, s19
	s_or_b32 exec_lo, exec_lo, s16
	v_mov_b32_e32 v1, 0
	s_and_saveexec_b32 s16, s17
	s_cbranch_execnz .LBB70_1194
	s_branch .LBB70_1195
.LBB70_1214:
	s_mov_b32 s0, -1
                                        ; implicit-def: $vgpr1
.LBB70_1215:
	s_mov_b32 s16, 0
.LBB70_1216:
	s_delay_alu instid0(SALU_CYCLE_1)
	s_and_b32 vcc_lo, exec_lo, s16
	s_cbranch_vccz .LBB70_1218
; %bb.1217:
	s_cmp_lg_u32 s15, 11
	s_mov_b32 s17, -1
	s_cselect_b32 s0, -1, 0
.LBB70_1218:
	s_delay_alu instid0(SALU_CYCLE_1)
	s_and_b32 vcc_lo, exec_lo, s0
	s_mov_b32 s16, s9
	s_cbranch_vccnz .LBB70_1285
; %bb.1219:
	s_and_not1_b32 vcc_lo, exec_lo, s17
	s_cbranch_vccnz .LBB70_1221
.LBB70_1220:
	s_wait_loadcnt 0x0
	global_load_u8 v1, v[2:3], off
	s_mov_b32 s19, -1
	s_wait_loadcnt 0x0
	v_cmp_ne_u16_e32 vcc_lo, 0, v1
	v_cndmask_b32_e64 v1, 0, 1, vcc_lo
.LBB70_1221:
	s_mov_b32 s0, 0
.LBB70_1222:
	s_delay_alu instid0(SALU_CYCLE_1)
	s_and_b32 vcc_lo, exec_lo, s0
	s_cbranch_vccz .LBB70_1271
; %bb.1223:
	s_cmp_lt_i32 s15, 5
	s_cbranch_scc1 .LBB70_1228
; %bb.1224:
	s_cmp_lt_i32 s15, 8
	s_cbranch_scc1 .LBB70_1229
	;; [unrolled: 3-line block ×3, first 2 shown]
; %bb.1226:
	s_cmp_gt_i32 s15, 9
	s_cbranch_scc0 .LBB70_1231
; %bb.1227:
	global_load_b64 v[6:7], v[2:3], off
	s_mov_b32 s0, 0
	s_wait_loadcnt 0x0
	v_cvt_i32_f64_e32 v1, v[6:7]
	s_branch .LBB70_1232
.LBB70_1228:
	s_mov_b32 s0, -1
                                        ; implicit-def: $vgpr1
	s_branch .LBB70_1250
.LBB70_1229:
	s_mov_b32 s0, -1
                                        ; implicit-def: $vgpr1
	s_branch .LBB70_1238
.LBB70_1230:
	s_mov_b32 s0, -1
                                        ; implicit-def: $vgpr1
	s_branch .LBB70_1235
.LBB70_1231:
	s_mov_b32 s0, -1
                                        ; implicit-def: $vgpr1
.LBB70_1232:
	s_delay_alu instid0(SALU_CYCLE_1)
	s_and_not1_b32 vcc_lo, exec_lo, s0
	s_cbranch_vccnz .LBB70_1234
; %bb.1233:
	s_wait_loadcnt 0x0
	global_load_b32 v1, v[2:3], off
	s_wait_loadcnt 0x0
	v_cvt_i32_f32_e32 v1, v1
.LBB70_1234:
	s_mov_b32 s0, 0
.LBB70_1235:
	s_delay_alu instid0(SALU_CYCLE_1)
	s_and_not1_b32 vcc_lo, exec_lo, s0
	s_cbranch_vccnz .LBB70_1237
; %bb.1236:
	s_wait_loadcnt 0x0
	global_load_b32 v1, v[2:3], off
	s_wait_loadcnt 0x0
	v_cvt_f32_f16_e32 v1, v1
	s_delay_alu instid0(VALU_DEP_1)
	v_cvt_i32_f32_e32 v1, v1
.LBB70_1237:
	s_mov_b32 s0, 0
.LBB70_1238:
	s_delay_alu instid0(SALU_CYCLE_1)
	s_and_not1_b32 vcc_lo, exec_lo, s0
	s_cbranch_vccnz .LBB70_1249
; %bb.1239:
	s_cmp_lt_i32 s15, 6
	s_cbranch_scc1 .LBB70_1242
; %bb.1240:
	s_cmp_gt_i32 s15, 6
	s_cbranch_scc0 .LBB70_1243
; %bb.1241:
	global_load_b64 v[6:7], v[2:3], off
	s_mov_b32 s0, 0
	s_wait_loadcnt 0x0
	v_cvt_i32_f64_e32 v1, v[6:7]
	s_branch .LBB70_1244
.LBB70_1242:
	s_mov_b32 s0, -1
                                        ; implicit-def: $vgpr1
	s_branch .LBB70_1247
.LBB70_1243:
	s_mov_b32 s0, -1
                                        ; implicit-def: $vgpr1
.LBB70_1244:
	s_delay_alu instid0(SALU_CYCLE_1)
	s_and_not1_b32 vcc_lo, exec_lo, s0
	s_cbranch_vccnz .LBB70_1246
; %bb.1245:
	s_wait_loadcnt 0x0
	global_load_b32 v1, v[2:3], off
	s_wait_loadcnt 0x0
	v_cvt_i32_f32_e32 v1, v1
.LBB70_1246:
	s_mov_b32 s0, 0
.LBB70_1247:
	s_delay_alu instid0(SALU_CYCLE_1)
	s_and_not1_b32 vcc_lo, exec_lo, s0
	s_cbranch_vccnz .LBB70_1249
; %bb.1248:
	s_wait_loadcnt 0x0
	global_load_u16 v1, v[2:3], off
	s_wait_loadcnt 0x0
	v_cvt_f32_f16_e32 v1, v1
	s_delay_alu instid0(VALU_DEP_1)
	v_cvt_i32_f32_e32 v1, v1
.LBB70_1249:
	s_mov_b32 s0, 0
.LBB70_1250:
	s_delay_alu instid0(SALU_CYCLE_1)
	s_and_not1_b32 vcc_lo, exec_lo, s0
	s_cbranch_vccnz .LBB70_1270
; %bb.1251:
	s_cmp_lt_i32 s15, 2
	s_cbranch_scc1 .LBB70_1255
; %bb.1252:
	s_cmp_lt_i32 s15, 3
	s_cbranch_scc1 .LBB70_1256
; %bb.1253:
	s_cmp_gt_i32 s15, 3
	s_cbranch_scc0 .LBB70_1257
; %bb.1254:
	s_wait_loadcnt 0x0
	global_load_b32 v1, v[2:3], off
	s_mov_b32 s0, 0
	s_branch .LBB70_1258
.LBB70_1255:
	s_mov_b32 s0, -1
                                        ; implicit-def: $vgpr1
	s_branch .LBB70_1264
.LBB70_1256:
	s_mov_b32 s0, -1
                                        ; implicit-def: $vgpr1
	s_branch .LBB70_1261
.LBB70_1257:
	s_mov_b32 s0, -1
                                        ; implicit-def: $vgpr1
.LBB70_1258:
	s_delay_alu instid0(SALU_CYCLE_1)
	s_and_not1_b32 vcc_lo, exec_lo, s0
	s_cbranch_vccnz .LBB70_1260
; %bb.1259:
	s_wait_loadcnt 0x0
	global_load_b32 v1, v[2:3], off
.LBB70_1260:
	s_mov_b32 s0, 0
.LBB70_1261:
	s_delay_alu instid0(SALU_CYCLE_1)
	s_and_not1_b32 vcc_lo, exec_lo, s0
	s_cbranch_vccnz .LBB70_1263
; %bb.1262:
	s_wait_loadcnt 0x0
	global_load_i16 v1, v[2:3], off
.LBB70_1263:
	s_mov_b32 s0, 0
.LBB70_1264:
	s_delay_alu instid0(SALU_CYCLE_1)
	s_and_not1_b32 vcc_lo, exec_lo, s0
	s_cbranch_vccnz .LBB70_1270
; %bb.1265:
	s_cmp_gt_i32 s15, 0
	s_mov_b32 s0, 0
	s_cbranch_scc0 .LBB70_1267
; %bb.1266:
	s_wait_loadcnt 0x0
	global_load_i8 v1, v[2:3], off
	s_branch .LBB70_1268
.LBB70_1267:
	s_mov_b32 s0, -1
                                        ; implicit-def: $vgpr1
.LBB70_1268:
	s_delay_alu instid0(SALU_CYCLE_1)
	s_and_not1_b32 vcc_lo, exec_lo, s0
	s_cbranch_vccnz .LBB70_1270
; %bb.1269:
	s_wait_loadcnt 0x0
	global_load_u8 v1, v[2:3], off
.LBB70_1270:
	s_mov_b32 s19, -1
.LBB70_1271:
	s_delay_alu instid0(SALU_CYCLE_1)
	s_and_not1_b32 vcc_lo, exec_lo, s19
	s_cbranch_vccnz .LBB70_1281
; %bb.1272:
	s_wait_loadcnt 0x0
	s_delay_alu instid0(VALU_DEP_1) | instskip(SKIP_4) | instid1(SALU_CYCLE_1)
	v_cmp_gt_i32_e32 vcc_lo, s10, v1
	v_cmp_le_i32_e64 s0, s12, v1
	s_or_b32 s0, vcc_lo, s0
	s_wait_xcnt 0x0
	s_and_saveexec_b32 s17, s0
	s_xor_b32 s0, exec_lo, s17
	s_cbranch_execnz .LBB70_1778
.LBB70_1273:
	s_or_saveexec_b32 s17, s0
	s_mov_b32 s19, 0
	s_mov_b32 s20, 0
                                        ; implicit-def: $sgpr0
                                        ; implicit-def: $vgpr2_vgpr3
	s_xor_b32 exec_lo, exec_lo, s17
	s_cbranch_execz .LBB70_1723
; %bb.1274:
	v_add_nc_u32_e32 v0, s18, v0
	s_cmp_lt_i32 s15, 11
	s_delay_alu instid0(VALU_DEP_1) | instskip(NEXT) | instid1(VALU_DEP_1)
	v_ashrrev_i32_e32 v1, 31, v0
	v_add_nc_u64_e32 v[0:1], s[6:7], v[0:1]
	s_cbranch_scc1 .LBB70_1282
; %bb.1275:
	s_cmp_gt_i32 s15, 25
	s_mov_b32 s7, 0
	s_cbranch_scc0 .LBB70_1283
; %bb.1276:
	s_cmp_gt_i32 s15, 28
	s_cbranch_scc0 .LBB70_1284
; %bb.1277:
	s_cmp_gt_i32 s15, 43
	;; [unrolled: 3-line block ×3, first 2 shown]
	s_cbranch_scc0 .LBB70_1287
; %bb.1279:
	s_cmp_eq_u32 s15, 46
	s_mov_b32 s6, 0
	s_cbranch_scc0 .LBB70_1289
; %bb.1280:
	global_load_b32 v2, v[0:1], off
	s_mov_b32 s0, 0
	s_mov_b32 s18, -1
	s_wait_loadcnt 0x0
	v_lshlrev_b32_e32 v2, 16, v2
	s_delay_alu instid0(VALU_DEP_1)
	v_cvt_i32_f32_e32 v2, v2
	s_branch .LBB70_1291
.LBB70_1281:
	s_mov_b32 s19, 0
	s_mov_b32 s20, 0
                                        ; implicit-def: $sgpr0
                                        ; implicit-def: $vgpr2_vgpr3
	s_branch .LBB70_1724
.LBB70_1282:
	s_mov_b32 s0, -1
	s_mov_b32 s18, 0
	s_mov_b32 s6, s16
                                        ; implicit-def: $vgpr2
	s_branch .LBB70_1353
.LBB70_1283:
	s_mov_b32 s6, -1
	s_mov_b32 s18, 0
	s_mov_b32 s0, 0
                                        ; implicit-def: $vgpr2
	s_branch .LBB70_1318
.LBB70_1284:
	s_mov_b32 s6, -1
	s_mov_b32 s18, 0
	s_mov_b32 s0, 0
                                        ; implicit-def: $vgpr2
	s_branch .LBB70_1301
.LBB70_1285:
	s_or_b32 s16, s9, exec_lo
	s_trap 2
	s_cbranch_execz .LBB70_1220
	s_branch .LBB70_1221
.LBB70_1286:
	s_mov_b32 s6, -1
	s_mov_b32 s18, 0
	s_mov_b32 s0, 0
                                        ; implicit-def: $vgpr2
	s_branch .LBB70_1296
.LBB70_1287:
	s_mov_b32 s6, -1
	s_mov_b32 s18, 0
	s_mov_b32 s0, 0
	s_branch .LBB70_1290
.LBB70_1288:
	s_or_b32 s1, s1, exec_lo
	s_trap 2
                                        ; implicit-def: $vgpr0
                                        ; implicit-def: $vgpr4
	s_branch .LBB70_905
.LBB70_1289:
	s_mov_b32 s0, -1
	s_mov_b32 s18, 0
.LBB70_1290:
                                        ; implicit-def: $vgpr2
.LBB70_1291:
	s_and_b32 vcc_lo, exec_lo, s6
	s_cbranch_vccz .LBB70_1295
; %bb.1292:
	s_cmp_eq_u32 s15, 44
	s_cbranch_scc0 .LBB70_1294
; %bb.1293:
	global_load_u8 v2, v[0:1], off
	s_mov_b32 s0, 0
	s_mov_b32 s18, -1
	s_wait_loadcnt 0x0
	v_lshlrev_b32_e32 v3, 23, v2
	v_cmp_ne_u32_e32 vcc_lo, 0, v2
	s_delay_alu instid0(VALU_DEP_2) | instskip(NEXT) | instid1(VALU_DEP_1)
	v_cvt_i32_f32_e32 v3, v3
	v_cndmask_b32_e32 v2, 0, v3, vcc_lo
	s_branch .LBB70_1295
.LBB70_1294:
	s_mov_b32 s0, -1
                                        ; implicit-def: $vgpr2
.LBB70_1295:
	s_mov_b32 s6, 0
.LBB70_1296:
	s_delay_alu instid0(SALU_CYCLE_1)
	s_and_b32 vcc_lo, exec_lo, s6
	s_cbranch_vccz .LBB70_1300
; %bb.1297:
	s_cmp_eq_u32 s15, 29
	s_cbranch_scc0 .LBB70_1299
; %bb.1298:
	global_load_b32 v2, v[0:1], off
	s_mov_b32 s0, 0
	s_mov_b32 s18, -1
	s_branch .LBB70_1300
.LBB70_1299:
	s_mov_b32 s0, -1
                                        ; implicit-def: $vgpr2
.LBB70_1300:
	s_mov_b32 s6, 0
.LBB70_1301:
	s_delay_alu instid0(SALU_CYCLE_1)
	s_and_b32 vcc_lo, exec_lo, s6
	s_cbranch_vccz .LBB70_1317
; %bb.1302:
	s_cmp_lt_i32 s15, 27
	s_cbranch_scc1 .LBB70_1305
; %bb.1303:
	s_cmp_gt_i32 s15, 27
	s_cbranch_scc0 .LBB70_1306
; %bb.1304:
	s_wait_loadcnt 0x0
	global_load_b32 v2, v[0:1], off
	s_mov_b32 s6, 0
	s_branch .LBB70_1307
.LBB70_1305:
	s_mov_b32 s6, -1
                                        ; implicit-def: $vgpr2
	s_branch .LBB70_1310
.LBB70_1306:
	s_mov_b32 s6, -1
                                        ; implicit-def: $vgpr2
.LBB70_1307:
	s_delay_alu instid0(SALU_CYCLE_1)
	s_and_not1_b32 vcc_lo, exec_lo, s6
	s_cbranch_vccnz .LBB70_1309
; %bb.1308:
	s_wait_loadcnt 0x0
	global_load_u16 v2, v[0:1], off
.LBB70_1309:
	s_mov_b32 s6, 0
.LBB70_1310:
	s_delay_alu instid0(SALU_CYCLE_1)
	s_and_not1_b32 vcc_lo, exec_lo, s6
	s_cbranch_vccnz .LBB70_1316
; %bb.1311:
	global_load_u8 v3, v[0:1], off
	s_mov_b32 s18, 0
	s_mov_b32 s6, exec_lo
	s_wait_loadcnt 0x0
	v_cmpx_lt_i16_e32 0x7f, v3
	s_xor_b32 s6, exec_lo, s6
	s_cbranch_execz .LBB70_1328
; %bb.1312:
	v_cmp_ne_u16_e32 vcc_lo, 0x80, v3
	s_and_b32 s18, vcc_lo, exec_lo
	s_and_not1_saveexec_b32 s6, s6
	s_cbranch_execnz .LBB70_1329
.LBB70_1313:
	s_or_b32 exec_lo, exec_lo, s6
	v_mov_b32_e32 v2, 0
	s_and_saveexec_b32 s6, s18
	s_cbranch_execz .LBB70_1315
.LBB70_1314:
	v_and_b32_e32 v2, 0xffff, v3
	s_delay_alu instid0(VALU_DEP_1) | instskip(SKIP_1) | instid1(VALU_DEP_2)
	v_dual_lshlrev_b32 v3, 24, v3 :: v_dual_bitop2_b32 v5, 7, v2 bitop3:0x40
	v_bfe_u32 v8, v2, 3, 4
	v_and_b32_e32 v3, 0x80000000, v3
	s_delay_alu instid0(VALU_DEP_3) | instskip(NEXT) | instid1(VALU_DEP_3)
	v_clz_i32_u32_e32 v6, v5
	v_cmp_eq_u32_e32 vcc_lo, 0, v8
	s_delay_alu instid0(VALU_DEP_2) | instskip(NEXT) | instid1(VALU_DEP_1)
	v_min_u32_e32 v6, 32, v6
	v_subrev_nc_u32_e32 v7, 28, v6
	v_sub_nc_u32_e32 v6, 29, v6
	s_delay_alu instid0(VALU_DEP_2) | instskip(NEXT) | instid1(VALU_DEP_2)
	v_lshlrev_b32_e32 v2, v7, v2
	v_cndmask_b32_e32 v6, v8, v6, vcc_lo
	s_delay_alu instid0(VALU_DEP_2) | instskip(NEXT) | instid1(VALU_DEP_1)
	v_and_b32_e32 v2, 7, v2
	v_cndmask_b32_e32 v2, v5, v2, vcc_lo
	s_delay_alu instid0(VALU_DEP_3) | instskip(NEXT) | instid1(VALU_DEP_2)
	v_lshl_add_u32 v5, v6, 23, 0x3b800000
	v_lshlrev_b32_e32 v2, 20, v2
	s_delay_alu instid0(VALU_DEP_1) | instskip(NEXT) | instid1(VALU_DEP_1)
	v_or3_b32 v2, v3, v5, v2
	v_cvt_i32_f32_e32 v2, v2
.LBB70_1315:
	s_or_b32 exec_lo, exec_lo, s6
.LBB70_1316:
	s_mov_b32 s18, -1
.LBB70_1317:
	s_mov_b32 s6, 0
.LBB70_1318:
	s_delay_alu instid0(SALU_CYCLE_1)
	s_and_b32 vcc_lo, exec_lo, s6
	s_cbranch_vccz .LBB70_1349
; %bb.1319:
	s_cmp_gt_i32 s15, 22
	s_cbranch_scc0 .LBB70_1327
; %bb.1320:
	s_cmp_lt_i32 s15, 24
	s_cbranch_scc1 .LBB70_1330
; %bb.1321:
	s_cmp_gt_i32 s15, 24
	s_cbranch_scc0 .LBB70_1331
; %bb.1322:
	global_load_u8 v3, v[0:1], off
	s_mov_b32 s6, exec_lo
	s_wait_loadcnt 0x0
	v_cmpx_lt_i16_e32 0x7f, v3
	s_xor_b32 s6, exec_lo, s6
	s_cbranch_execz .LBB70_1343
; %bb.1323:
	v_cmp_ne_u16_e32 vcc_lo, 0x80, v3
	s_and_b32 s7, vcc_lo, exec_lo
	s_and_not1_saveexec_b32 s6, s6
	s_cbranch_execnz .LBB70_1344
.LBB70_1324:
	s_or_b32 exec_lo, exec_lo, s6
	v_mov_b32_e32 v2, 0
	s_and_saveexec_b32 s6, s7
	s_cbranch_execz .LBB70_1326
.LBB70_1325:
	v_and_b32_e32 v2, 0xffff, v3
	s_delay_alu instid0(VALU_DEP_1) | instskip(SKIP_1) | instid1(VALU_DEP_2)
	v_dual_lshlrev_b32 v3, 24, v3 :: v_dual_bitop2_b32 v5, 3, v2 bitop3:0x40
	v_bfe_u32 v8, v2, 2, 5
	v_and_b32_e32 v3, 0x80000000, v3
	s_delay_alu instid0(VALU_DEP_3) | instskip(NEXT) | instid1(VALU_DEP_3)
	v_clz_i32_u32_e32 v6, v5
	v_cmp_eq_u32_e32 vcc_lo, 0, v8
	s_delay_alu instid0(VALU_DEP_2) | instskip(NEXT) | instid1(VALU_DEP_1)
	v_min_u32_e32 v6, 32, v6
	v_subrev_nc_u32_e32 v7, 29, v6
	v_sub_nc_u32_e32 v6, 30, v6
	s_delay_alu instid0(VALU_DEP_2) | instskip(NEXT) | instid1(VALU_DEP_2)
	v_lshlrev_b32_e32 v2, v7, v2
	v_cndmask_b32_e32 v6, v8, v6, vcc_lo
	s_delay_alu instid0(VALU_DEP_2) | instskip(NEXT) | instid1(VALU_DEP_1)
	v_and_b32_e32 v2, 3, v2
	v_cndmask_b32_e32 v2, v5, v2, vcc_lo
	s_delay_alu instid0(VALU_DEP_3) | instskip(NEXT) | instid1(VALU_DEP_2)
	v_lshl_add_u32 v5, v6, 23, 0x37800000
	v_lshlrev_b32_e32 v2, 21, v2
	s_delay_alu instid0(VALU_DEP_1) | instskip(NEXT) | instid1(VALU_DEP_1)
	v_or3_b32 v2, v3, v5, v2
	v_cvt_i32_f32_e32 v2, v2
.LBB70_1326:
	s_or_b32 exec_lo, exec_lo, s6
	s_mov_b32 s6, 0
	s_branch .LBB70_1332
.LBB70_1327:
	s_mov_b32 s6, -1
                                        ; implicit-def: $vgpr2
	s_branch .LBB70_1338
.LBB70_1328:
	s_and_not1_saveexec_b32 s6, s6
	s_cbranch_execz .LBB70_1313
.LBB70_1329:
	v_cmp_ne_u16_e32 vcc_lo, 0, v3
	s_and_not1_b32 s18, s18, exec_lo
	s_and_b32 s19, vcc_lo, exec_lo
	s_delay_alu instid0(SALU_CYCLE_1)
	s_or_b32 s18, s18, s19
	s_or_b32 exec_lo, exec_lo, s6
	v_mov_b32_e32 v2, 0
	s_and_saveexec_b32 s6, s18
	s_cbranch_execnz .LBB70_1314
	s_branch .LBB70_1315
.LBB70_1330:
	s_mov_b32 s6, -1
                                        ; implicit-def: $vgpr2
	s_branch .LBB70_1335
.LBB70_1331:
	s_mov_b32 s6, -1
                                        ; implicit-def: $vgpr2
.LBB70_1332:
	s_delay_alu instid0(SALU_CYCLE_1)
	s_and_b32 vcc_lo, exec_lo, s6
	s_cbranch_vccz .LBB70_1334
; %bb.1333:
	s_wait_loadcnt 0x0
	global_load_u8 v2, v[0:1], off
	s_wait_loadcnt 0x0
	v_lshlrev_b32_e32 v2, 24, v2
	s_delay_alu instid0(VALU_DEP_1) | instskip(NEXT) | instid1(VALU_DEP_1)
	v_and_b32_e32 v3, 0x7f000000, v2
	v_clz_i32_u32_e32 v5, v3
	v_add_nc_u32_e32 v7, 0x1000000, v3
	v_cmp_ne_u32_e32 vcc_lo, 0, v3
	s_delay_alu instid0(VALU_DEP_3) | instskip(NEXT) | instid1(VALU_DEP_1)
	v_min_u32_e32 v5, 32, v5
	v_sub_nc_u32_e64 v5, v5, 4 clamp
	s_delay_alu instid0(VALU_DEP_1) | instskip(NEXT) | instid1(VALU_DEP_1)
	v_dual_lshlrev_b32 v6, v5, v3 :: v_dual_lshlrev_b32 v5, 23, v5
	v_lshrrev_b32_e32 v6, 4, v6
	s_delay_alu instid0(VALU_DEP_1) | instskip(NEXT) | instid1(VALU_DEP_1)
	v_dual_sub_nc_u32 v5, v6, v5 :: v_dual_ashrrev_i32 v6, 8, v7
	v_add_nc_u32_e32 v5, 0x3c000000, v5
	s_delay_alu instid0(VALU_DEP_1) | instskip(NEXT) | instid1(VALU_DEP_1)
	v_and_or_b32 v5, 0x7f800000, v6, v5
	v_cndmask_b32_e32 v3, 0, v5, vcc_lo
	s_delay_alu instid0(VALU_DEP_1) | instskip(NEXT) | instid1(VALU_DEP_1)
	v_and_or_b32 v2, 0x80000000, v2, v3
	v_cvt_i32_f32_e32 v2, v2
.LBB70_1334:
	s_mov_b32 s6, 0
.LBB70_1335:
	s_delay_alu instid0(SALU_CYCLE_1)
	s_and_not1_b32 vcc_lo, exec_lo, s6
	s_cbranch_vccnz .LBB70_1337
; %bb.1336:
	s_wait_loadcnt 0x0
	global_load_u8 v2, v[0:1], off
	s_wait_loadcnt 0x0
	v_lshlrev_b32_e32 v3, 25, v2
	v_lshlrev_b16 v2, 8, v2
	s_delay_alu instid0(VALU_DEP_2) | instskip(NEXT) | instid1(VALU_DEP_2)
	v_cmp_gt_u32_e32 vcc_lo, 0x8000000, v3
	v_and_or_b32 v6, 0x7f00, v2, 0.5
	v_lshrrev_b32_e32 v5, 4, v3
	v_bfe_i32 v2, v2, 0, 16
	s_delay_alu instid0(VALU_DEP_3) | instskip(NEXT) | instid1(VALU_DEP_3)
	v_add_f32_e32 v6, -0.5, v6
	v_or_b32_e32 v5, 0x70000000, v5
	s_delay_alu instid0(VALU_DEP_1) | instskip(NEXT) | instid1(VALU_DEP_1)
	v_mul_f32_e32 v5, 0x7800000, v5
	v_cndmask_b32_e32 v3, v5, v6, vcc_lo
	s_delay_alu instid0(VALU_DEP_1) | instskip(NEXT) | instid1(VALU_DEP_1)
	v_and_or_b32 v2, 0x80000000, v2, v3
	v_cvt_i32_f32_e32 v2, v2
.LBB70_1337:
	s_mov_b32 s6, 0
	s_mov_b32 s18, -1
.LBB70_1338:
	s_and_not1_b32 vcc_lo, exec_lo, s6
	s_mov_b32 s7, 0
	s_cbranch_vccnz .LBB70_1349
; %bb.1339:
	s_cmp_gt_i32 s15, 14
	s_cbranch_scc0 .LBB70_1342
; %bb.1340:
	s_cmp_eq_u32 s15, 15
	s_cbranch_scc0 .LBB70_1345
; %bb.1341:
	s_wait_loadcnt 0x0
	global_load_u16 v2, v[0:1], off
	s_mov_b32 s0, 0
	s_mov_b32 s18, -1
	s_wait_loadcnt 0x0
	v_lshlrev_b32_e32 v2, 16, v2
	s_delay_alu instid0(VALU_DEP_1)
	v_cvt_i32_f32_e32 v2, v2
	s_branch .LBB70_1346
.LBB70_1342:
	s_mov_b32 s6, -1
                                        ; implicit-def: $vgpr2
	s_branch .LBB70_1347
.LBB70_1343:
	s_and_not1_saveexec_b32 s6, s6
	s_cbranch_execz .LBB70_1324
.LBB70_1344:
	v_cmp_ne_u16_e32 vcc_lo, 0, v3
	s_and_not1_b32 s7, s7, exec_lo
	s_and_b32 s18, vcc_lo, exec_lo
	s_delay_alu instid0(SALU_CYCLE_1)
	s_or_b32 s7, s7, s18
	s_or_b32 exec_lo, exec_lo, s6
	v_mov_b32_e32 v2, 0
	s_and_saveexec_b32 s6, s7
	s_cbranch_execnz .LBB70_1325
	s_branch .LBB70_1326
.LBB70_1345:
	s_mov_b32 s0, -1
                                        ; implicit-def: $vgpr2
.LBB70_1346:
	s_mov_b32 s6, 0
.LBB70_1347:
	s_delay_alu instid0(SALU_CYCLE_1)
	s_and_b32 vcc_lo, exec_lo, s6
	s_cbranch_vccz .LBB70_1349
; %bb.1348:
	s_cmp_lg_u32 s15, 11
	s_mov_b32 s7, -1
	s_cselect_b32 s0, -1, 0
.LBB70_1349:
	s_delay_alu instid0(SALU_CYCLE_1)
	s_and_b32 vcc_lo, exec_lo, s0
	s_mov_b32 s6, s16
	s_cbranch_vccnz .LBB70_1772
; %bb.1350:
	s_and_not1_b32 vcc_lo, exec_lo, s7
	s_cbranch_vccnz .LBB70_1352
.LBB70_1351:
	s_wait_loadcnt 0x0
	global_load_u8 v2, v[0:1], off
	s_mov_b32 s18, -1
	s_wait_loadcnt 0x0
	v_cmp_ne_u16_e32 vcc_lo, 0, v2
	v_cndmask_b32_e64 v2, 0, 1, vcc_lo
.LBB70_1352:
	s_mov_b32 s0, 0
.LBB70_1353:
	s_delay_alu instid0(SALU_CYCLE_1)
	s_and_b32 vcc_lo, exec_lo, s0
	s_cbranch_vccz .LBB70_1402
; %bb.1354:
	s_cmp_lt_i32 s15, 5
	s_cbranch_scc1 .LBB70_1359
; %bb.1355:
	s_cmp_lt_i32 s15, 8
	s_cbranch_scc1 .LBB70_1360
	;; [unrolled: 3-line block ×3, first 2 shown]
; %bb.1357:
	s_cmp_gt_i32 s15, 9
	s_cbranch_scc0 .LBB70_1362
; %bb.1358:
	s_wait_loadcnt 0x0
	global_load_b64 v[2:3], v[0:1], off
	s_mov_b32 s0, 0
	s_wait_loadcnt 0x0
	v_cvt_i32_f64_e32 v2, v[2:3]
	s_branch .LBB70_1363
.LBB70_1359:
	s_mov_b32 s0, -1
                                        ; implicit-def: $vgpr2
	s_branch .LBB70_1381
.LBB70_1360:
	s_mov_b32 s0, -1
                                        ; implicit-def: $vgpr2
	s_branch .LBB70_1369
.LBB70_1361:
	s_mov_b32 s0, -1
                                        ; implicit-def: $vgpr2
	s_branch .LBB70_1366
.LBB70_1362:
	s_mov_b32 s0, -1
                                        ; implicit-def: $vgpr2
.LBB70_1363:
	s_delay_alu instid0(SALU_CYCLE_1)
	s_and_not1_b32 vcc_lo, exec_lo, s0
	s_cbranch_vccnz .LBB70_1365
; %bb.1364:
	s_wait_loadcnt 0x0
	global_load_b32 v2, v[0:1], off
	s_wait_loadcnt 0x0
	v_cvt_i32_f32_e32 v2, v2
.LBB70_1365:
	s_mov_b32 s0, 0
.LBB70_1366:
	s_delay_alu instid0(SALU_CYCLE_1)
	s_and_not1_b32 vcc_lo, exec_lo, s0
	s_cbranch_vccnz .LBB70_1368
; %bb.1367:
	s_wait_loadcnt 0x0
	global_load_b32 v2, v[0:1], off
	s_wait_loadcnt 0x0
	v_cvt_f32_f16_e32 v2, v2
	s_delay_alu instid0(VALU_DEP_1)
	v_cvt_i32_f32_e32 v2, v2
.LBB70_1368:
	s_mov_b32 s0, 0
.LBB70_1369:
	s_delay_alu instid0(SALU_CYCLE_1)
	s_and_not1_b32 vcc_lo, exec_lo, s0
	s_cbranch_vccnz .LBB70_1380
; %bb.1370:
	s_cmp_lt_i32 s15, 6
	s_cbranch_scc1 .LBB70_1373
; %bb.1371:
	s_cmp_gt_i32 s15, 6
	s_cbranch_scc0 .LBB70_1374
; %bb.1372:
	s_wait_loadcnt 0x0
	global_load_b64 v[2:3], v[0:1], off
	s_mov_b32 s0, 0
	s_wait_loadcnt 0x0
	v_cvt_i32_f64_e32 v2, v[2:3]
	s_branch .LBB70_1375
.LBB70_1373:
	s_mov_b32 s0, -1
                                        ; implicit-def: $vgpr2
	s_branch .LBB70_1378
.LBB70_1374:
	s_mov_b32 s0, -1
                                        ; implicit-def: $vgpr2
.LBB70_1375:
	s_delay_alu instid0(SALU_CYCLE_1)
	s_and_not1_b32 vcc_lo, exec_lo, s0
	s_cbranch_vccnz .LBB70_1377
; %bb.1376:
	s_wait_loadcnt 0x0
	global_load_b32 v2, v[0:1], off
	s_wait_loadcnt 0x0
	v_cvt_i32_f32_e32 v2, v2
.LBB70_1377:
	s_mov_b32 s0, 0
.LBB70_1378:
	s_delay_alu instid0(SALU_CYCLE_1)
	s_and_not1_b32 vcc_lo, exec_lo, s0
	s_cbranch_vccnz .LBB70_1380
; %bb.1379:
	s_wait_loadcnt 0x0
	global_load_u16 v2, v[0:1], off
	s_wait_loadcnt 0x0
	v_cvt_f32_f16_e32 v2, v2
	s_delay_alu instid0(VALU_DEP_1)
	v_cvt_i32_f32_e32 v2, v2
.LBB70_1380:
	s_mov_b32 s0, 0
.LBB70_1381:
	s_delay_alu instid0(SALU_CYCLE_1)
	s_and_not1_b32 vcc_lo, exec_lo, s0
	s_cbranch_vccnz .LBB70_1401
; %bb.1382:
	s_cmp_lt_i32 s15, 2
	s_cbranch_scc1 .LBB70_1386
; %bb.1383:
	s_cmp_lt_i32 s15, 3
	s_cbranch_scc1 .LBB70_1387
; %bb.1384:
	s_cmp_gt_i32 s15, 3
	s_cbranch_scc0 .LBB70_1388
; %bb.1385:
	s_wait_loadcnt 0x0
	global_load_b32 v2, v[0:1], off
	s_mov_b32 s0, 0
	s_branch .LBB70_1389
.LBB70_1386:
	s_mov_b32 s0, -1
                                        ; implicit-def: $vgpr2
	s_branch .LBB70_1395
.LBB70_1387:
	s_mov_b32 s0, -1
                                        ; implicit-def: $vgpr2
	s_branch .LBB70_1392
.LBB70_1388:
	s_mov_b32 s0, -1
                                        ; implicit-def: $vgpr2
.LBB70_1389:
	s_delay_alu instid0(SALU_CYCLE_1)
	s_and_not1_b32 vcc_lo, exec_lo, s0
	s_cbranch_vccnz .LBB70_1391
; %bb.1390:
	s_wait_loadcnt 0x0
	global_load_b32 v2, v[0:1], off
.LBB70_1391:
	s_mov_b32 s0, 0
.LBB70_1392:
	s_delay_alu instid0(SALU_CYCLE_1)
	s_and_not1_b32 vcc_lo, exec_lo, s0
	s_cbranch_vccnz .LBB70_1394
; %bb.1393:
	s_wait_loadcnt 0x0
	global_load_i16 v2, v[0:1], off
.LBB70_1394:
	s_mov_b32 s0, 0
.LBB70_1395:
	s_delay_alu instid0(SALU_CYCLE_1)
	s_and_not1_b32 vcc_lo, exec_lo, s0
	s_cbranch_vccnz .LBB70_1401
; %bb.1396:
	s_cmp_gt_i32 s15, 0
	s_mov_b32 s0, 0
	s_cbranch_scc0 .LBB70_1398
; %bb.1397:
	s_wait_loadcnt 0x0
	global_load_i8 v2, v[0:1], off
	s_branch .LBB70_1399
.LBB70_1398:
	s_mov_b32 s0, -1
                                        ; implicit-def: $vgpr2
.LBB70_1399:
	s_delay_alu instid0(SALU_CYCLE_1)
	s_and_not1_b32 vcc_lo, exec_lo, s0
	s_cbranch_vccnz .LBB70_1401
; %bb.1400:
	s_wait_loadcnt 0x0
	global_load_u8 v2, v[0:1], off
.LBB70_1401:
	s_mov_b32 s18, -1
.LBB70_1402:
	s_delay_alu instid0(SALU_CYCLE_1)
	s_and_not1_b32 vcc_lo, exec_lo, s18
	s_cbranch_vccnz .LBB70_1453
; %bb.1403:
	s_wait_loadcnt 0x0
	s_delay_alu instid0(VALU_DEP_1) | instskip(SKIP_4) | instid1(SALU_CYCLE_1)
	v_cmp_gt_i32_e32 vcc_lo, s10, v2
	v_cmp_le_i32_e64 s0, s12, v2
	s_or_b32 s0, vcc_lo, s0
	s_wait_xcnt 0x0
	s_and_saveexec_b32 s7, s0
	s_xor_b32 s0, exec_lo, s7
	s_cbranch_execnz .LBB70_1780
.LBB70_1404:
	s_or_saveexec_b32 s7, s0
	s_mov_b32 s10, 0
	s_mov_b32 s12, 0
                                        ; implicit-def: $sgpr0
                                        ; implicit-def: $vgpr2_vgpr3
	s_xor_b32 exec_lo, exec_lo, s7
	s_cbranch_execz .LBB70_1721
; %bb.1405:
	v_mul_lo_u32 v0, s8, v4
	s_and_b32 s0, s14, 0xff
	s_delay_alu instid0(SALU_CYCLE_1) | instskip(NEXT) | instid1(VALU_DEP_1)
	s_cmp_lt_i32 s0, 11
	v_ashrrev_i32_e32 v1, 31, v0
	s_delay_alu instid0(VALU_DEP_1)
	v_add_nc_u64_e32 v[2:3], s[4:5], v[0:1]
	s_cbranch_scc1 .LBB70_1454
; %bb.1406:
	s_and_b32 s10, 0xffff, s0
	s_mov_b32 s18, -1
	s_mov_b32 s15, 0
	s_cmp_gt_i32 s10, 25
	s_mov_b32 s14, 0
	s_cbranch_scc0 .LBB70_1431
; %bb.1407:
	s_cmp_gt_i32 s10, 28
	s_cbranch_scc0 .LBB70_1420
; %bb.1408:
	s_cmp_gt_i32 s10, 43
	;; [unrolled: 3-line block ×3, first 2 shown]
	s_cbranch_scc0 .LBB70_1412
; %bb.1410:
	s_mov_b32 s12, -1
	s_mov_b32 s18, 0
	s_cmp_eq_u32 s10, 46
	s_cbranch_scc0 .LBB70_1412
; %bb.1411:
	v_mov_b32_e32 v1, 0
	s_mov_b32 s12, 0
	s_mov_b32 s14, -1
	global_store_b32 v[2:3], v1, off
.LBB70_1412:
	s_and_b32 vcc_lo, exec_lo, s18
	s_cbranch_vccz .LBB70_1415
; %bb.1413:
	s_cmp_eq_u32 s10, 44
	s_mov_b32 s12, -1
	s_cbranch_scc0 .LBB70_1415
; %bb.1414:
	s_wait_xcnt 0x0
	v_mov_b32_e32 v1, 0
	s_mov_b32 s12, 0
	s_mov_b32 s14, -1
	global_store_b8 v[2:3], v1, off
.LBB70_1415:
	s_mov_b32 s18, 0
.LBB70_1416:
	s_delay_alu instid0(SALU_CYCLE_1)
	s_and_b32 vcc_lo, exec_lo, s18
	s_cbranch_vccz .LBB70_1419
; %bb.1417:
	s_cmp_eq_u32 s10, 29
	s_mov_b32 s12, -1
	s_cbranch_scc0 .LBB70_1419
; %bb.1418:
	v_mov_b64_e32 v[4:5], 0
	s_mov_b32 s12, 0
	s_mov_b32 s14, -1
	global_store_b64 v[2:3], v[4:5], off
.LBB70_1419:
	s_mov_b32 s18, 0
.LBB70_1420:
	s_delay_alu instid0(SALU_CYCLE_1)
	s_and_b32 vcc_lo, exec_lo, s18
	s_cbranch_vccz .LBB70_1430
; %bb.1421:
	s_cmp_lt_i32 s10, 27
	s_mov_b32 s14, -1
	s_cbranch_scc1 .LBB70_1427
; %bb.1422:
	s_cmp_gt_i32 s10, 27
	s_cbranch_scc0 .LBB70_1424
; %bb.1423:
	s_wait_xcnt 0x0
	v_mov_b32_e32 v1, 0
	s_mov_b32 s14, 0
	global_store_b32 v[2:3], v1, off
.LBB70_1424:
	s_and_not1_b32 vcc_lo, exec_lo, s14
	s_cbranch_vccnz .LBB70_1426
; %bb.1425:
	s_wait_xcnt 0x0
	v_mov_b32_e32 v1, 0
	global_store_b16 v[2:3], v1, off
.LBB70_1426:
	s_mov_b32 s14, 0
.LBB70_1427:
	s_delay_alu instid0(SALU_CYCLE_1)
	s_and_not1_b32 vcc_lo, exec_lo, s14
	s_cbranch_vccnz .LBB70_1429
; %bb.1428:
	s_wait_xcnt 0x0
	v_mov_b32_e32 v1, 0
	global_store_b8 v[2:3], v1, off
.LBB70_1429:
	s_mov_b32 s14, -1
.LBB70_1430:
	s_mov_b32 s18, 0
.LBB70_1431:
	s_delay_alu instid0(SALU_CYCLE_1)
	s_and_b32 vcc_lo, exec_lo, s18
	s_cbranch_vccz .LBB70_1449
; %bb.1432:
	s_cmp_gt_i32 s10, 22
	s_mov_b32 s15, -1
	s_cbranch_scc0 .LBB70_1442
; %bb.1433:
	s_cmp_lt_i32 s10, 24
	s_mov_b32 s14, -1
	s_cbranch_scc1 .LBB70_1439
; %bb.1434:
	s_cmp_gt_i32 s10, 24
	s_cbranch_scc0 .LBB70_1436
; %bb.1435:
	s_wait_xcnt 0x0
	v_mov_b32_e32 v1, 0
	s_mov_b32 s14, 0
	global_store_b8 v[2:3], v1, off
.LBB70_1436:
	s_and_not1_b32 vcc_lo, exec_lo, s14
	s_cbranch_vccnz .LBB70_1438
; %bb.1437:
	s_wait_xcnt 0x0
	v_mov_b32_e32 v1, 0
	global_store_b8 v[2:3], v1, off
.LBB70_1438:
	s_mov_b32 s14, 0
.LBB70_1439:
	s_delay_alu instid0(SALU_CYCLE_1)
	s_and_not1_b32 vcc_lo, exec_lo, s14
	s_cbranch_vccnz .LBB70_1441
; %bb.1440:
	s_wait_xcnt 0x0
	v_mov_b32_e32 v1, 0
	global_store_b8 v[2:3], v1, off
.LBB70_1441:
	s_mov_b32 s15, 0
	s_mov_b32 s14, -1
.LBB70_1442:
	s_and_not1_b32 vcc_lo, exec_lo, s15
	s_mov_b32 s15, 0
	s_cbranch_vccnz .LBB70_1449
; %bb.1443:
	s_cmp_gt_i32 s10, 14
	s_mov_b32 s15, -1
	s_cbranch_scc0 .LBB70_1447
; %bb.1444:
	s_cmp_eq_u32 s10, 15
	s_mov_b32 s12, -1
	s_cbranch_scc0 .LBB70_1446
; %bb.1445:
	s_wait_xcnt 0x0
	v_mov_b32_e32 v1, 0
	s_mov_b32 s12, 0
	s_mov_b32 s14, -1
	global_store_b16 v[2:3], v1, off
.LBB70_1446:
	s_mov_b32 s15, 0
.LBB70_1447:
	s_delay_alu instid0(SALU_CYCLE_1)
	s_and_b32 vcc_lo, exec_lo, s15
	s_mov_b32 s15, 0
	s_cbranch_vccz .LBB70_1449
; %bb.1448:
	s_cmp_lg_u32 s10, 11
	s_mov_b32 s15, -1
	s_cselect_b32 s12, -1, 0
.LBB70_1449:
	s_delay_alu instid0(SALU_CYCLE_1)
	s_and_b32 vcc_lo, exec_lo, s12
	s_mov_b32 s10, s6
	s_cbranch_vccnz .LBB70_1774
; %bb.1450:
	s_and_not1_b32 vcc_lo, exec_lo, s15
	s_cbranch_vccnz .LBB70_1452
.LBB70_1451:
	s_wait_xcnt 0x0
	v_mov_b32_e32 v1, 0
	s_mov_b32 s14, -1
	global_store_b8 v[2:3], v1, off
.LBB70_1452:
	s_mov_b32 s12, 0
	s_branch .LBB70_1455
.LBB70_1453:
	s_mov_b32 s10, 0
	s_mov_b32 s12, 0
                                        ; implicit-def: $sgpr0
                                        ; implicit-def: $vgpr2_vgpr3
	s_branch .LBB70_1722
.LBB70_1454:
	s_mov_b32 s12, -1
	s_mov_b32 s14, 0
	s_mov_b32 s10, s6
.LBB70_1455:
	s_and_b32 vcc_lo, exec_lo, s12
	s_cbranch_vccz .LBB70_1494
; %bb.1456:
	s_and_b32 s12, 0xffff, s0
	s_mov_b32 s14, -1
	s_cmp_lt_i32 s12, 5
	s_cbranch_scc1 .LBB70_1477
; %bb.1457:
	s_cmp_lt_i32 s12, 8
	s_cbranch_scc1 .LBB70_1467
; %bb.1458:
	;; [unrolled: 3-line block ×3, first 2 shown]
	s_cmp_gt_i32 s12, 9
	s_cbranch_scc0 .LBB70_1461
; %bb.1460:
	s_wait_xcnt 0x0
	v_mov_b32_e32 v4, 0
	s_mov_b32 s14, 0
	s_delay_alu instid0(VALU_DEP_1)
	v_dual_mov_b32 v5, v4 :: v_dual_mov_b32 v6, v4
	v_mov_b32_e32 v7, v4
	global_store_b128 v[2:3], v[4:7], off
.LBB70_1461:
	s_and_not1_b32 vcc_lo, exec_lo, s14
	s_cbranch_vccnz .LBB70_1463
; %bb.1462:
	s_wait_xcnt 0x0
	v_mov_b64_e32 v[4:5], 0
	global_store_b64 v[2:3], v[4:5], off
.LBB70_1463:
	s_mov_b32 s14, 0
.LBB70_1464:
	s_delay_alu instid0(SALU_CYCLE_1)
	s_and_not1_b32 vcc_lo, exec_lo, s14
	s_cbranch_vccnz .LBB70_1466
; %bb.1465:
	s_wait_xcnt 0x0
	v_mov_b32_e32 v1, 0
	global_store_b32 v[2:3], v1, off
.LBB70_1466:
	s_mov_b32 s14, 0
.LBB70_1467:
	s_delay_alu instid0(SALU_CYCLE_1)
	s_and_not1_b32 vcc_lo, exec_lo, s14
	s_cbranch_vccnz .LBB70_1476
; %bb.1468:
	s_cmp_lt_i32 s12, 6
	s_mov_b32 s14, -1
	s_cbranch_scc1 .LBB70_1474
; %bb.1469:
	s_cmp_gt_i32 s12, 6
	s_cbranch_scc0 .LBB70_1471
; %bb.1470:
	s_wait_xcnt 0x0
	v_mov_b64_e32 v[4:5], 0
	s_mov_b32 s14, 0
	global_store_b64 v[2:3], v[4:5], off
.LBB70_1471:
	s_and_not1_b32 vcc_lo, exec_lo, s14
	s_cbranch_vccnz .LBB70_1473
; %bb.1472:
	s_wait_xcnt 0x0
	v_mov_b32_e32 v1, 0
	global_store_b32 v[2:3], v1, off
.LBB70_1473:
	s_mov_b32 s14, 0
.LBB70_1474:
	s_delay_alu instid0(SALU_CYCLE_1)
	s_and_not1_b32 vcc_lo, exec_lo, s14
	s_cbranch_vccnz .LBB70_1476
; %bb.1475:
	s_wait_xcnt 0x0
	v_mov_b32_e32 v1, 0
	global_store_b16 v[2:3], v1, off
.LBB70_1476:
	s_mov_b32 s14, 0
.LBB70_1477:
	s_delay_alu instid0(SALU_CYCLE_1)
	s_and_not1_b32 vcc_lo, exec_lo, s14
	s_cbranch_vccnz .LBB70_1493
; %bb.1478:
	s_cmp_lt_i32 s12, 2
	s_mov_b32 s14, -1
	s_cbranch_scc1 .LBB70_1488
; %bb.1479:
	s_cmp_lt_i32 s12, 3
	s_cbranch_scc1 .LBB70_1485
; %bb.1480:
	s_cmp_gt_i32 s12, 3
	s_cbranch_scc0 .LBB70_1482
; %bb.1481:
	s_wait_xcnt 0x0
	v_mov_b64_e32 v[4:5], 0
	s_mov_b32 s14, 0
	global_store_b64 v[2:3], v[4:5], off
.LBB70_1482:
	s_and_not1_b32 vcc_lo, exec_lo, s14
	s_cbranch_vccnz .LBB70_1484
; %bb.1483:
	s_wait_xcnt 0x0
	v_mov_b32_e32 v1, 0
	global_store_b32 v[2:3], v1, off
.LBB70_1484:
	s_mov_b32 s14, 0
.LBB70_1485:
	s_delay_alu instid0(SALU_CYCLE_1)
	s_and_not1_b32 vcc_lo, exec_lo, s14
	s_cbranch_vccnz .LBB70_1487
; %bb.1486:
	s_wait_xcnt 0x0
	v_mov_b32_e32 v1, 0
	global_store_b16 v[2:3], v1, off
.LBB70_1487:
	s_mov_b32 s14, 0
.LBB70_1488:
	s_delay_alu instid0(SALU_CYCLE_1)
	s_and_not1_b32 vcc_lo, exec_lo, s14
	s_cbranch_vccnz .LBB70_1493
; %bb.1489:
	s_cmp_gt_i32 s12, 0
	s_mov_b32 s12, -1
	s_cbranch_scc0 .LBB70_1491
; %bb.1490:
	s_wait_xcnt 0x0
	v_mov_b32_e32 v1, 0
	s_mov_b32 s12, 0
	global_store_b8 v[2:3], v1, off
.LBB70_1491:
	s_and_not1_b32 vcc_lo, exec_lo, s12
	s_cbranch_vccnz .LBB70_1493
; %bb.1492:
	s_wait_xcnt 0x0
	v_mov_b32_e32 v1, 0
	global_store_b8 v[2:3], v1, off
.LBB70_1493:
	s_mov_b32 s14, -1
.LBB70_1494:
	s_delay_alu instid0(SALU_CYCLE_1)
	s_and_not1_b32 vcc_lo, exec_lo, s14
	s_cbranch_vccnz .LBB70_1719
; %bb.1495:
	s_lshl_b32 s8, s8, 7
	s_cmp_lt_i32 s0, 11
	v_add_nc_u32_e32 v0, s8, v0
	s_wait_xcnt 0x0
	s_delay_alu instid0(VALU_DEP_1) | instskip(NEXT) | instid1(VALU_DEP_1)
	v_ashrrev_i32_e32 v1, 31, v0
	v_add_nc_u64_e32 v[2:3], s[4:5], v[0:1]
	s_cbranch_scc1 .LBB70_1543
; %bb.1496:
	s_and_b32 s12, 0xffff, s0
	s_mov_b32 s19, -1
	s_mov_b32 s18, 0
	s_cmp_gt_i32 s12, 25
	s_mov_b32 s15, 0
	s_mov_b32 s14, 0
	s_cbranch_scc0 .LBB70_1521
; %bb.1497:
	s_cmp_gt_i32 s12, 28
	s_cbranch_scc0 .LBB70_1510
; %bb.1498:
	s_cmp_gt_i32 s12, 43
	;; [unrolled: 3-line block ×3, first 2 shown]
	s_cbranch_scc0 .LBB70_1502
; %bb.1500:
	s_mov_b32 s14, -1
	s_mov_b32 s19, 0
	s_cmp_eq_u32 s12, 46
	s_cbranch_scc0 .LBB70_1502
; %bb.1501:
	v_mov_b32_e32 v1, 0
	s_mov_b32 s14, 0
	s_mov_b32 s15, -1
	global_store_b32 v[2:3], v1, off
.LBB70_1502:
	s_and_b32 vcc_lo, exec_lo, s19
	s_cbranch_vccz .LBB70_1505
; %bb.1503:
	s_cmp_eq_u32 s12, 44
	s_mov_b32 s14, -1
	s_cbranch_scc0 .LBB70_1505
; %bb.1504:
	s_wait_xcnt 0x0
	v_mov_b32_e32 v1, 0
	s_mov_b32 s14, 0
	s_mov_b32 s15, -1
	global_store_b8 v[2:3], v1, off
.LBB70_1505:
	s_mov_b32 s19, 0
.LBB70_1506:
	s_delay_alu instid0(SALU_CYCLE_1)
	s_and_b32 vcc_lo, exec_lo, s19
	s_cbranch_vccz .LBB70_1509
; %bb.1507:
	s_cmp_eq_u32 s12, 29
	s_mov_b32 s14, -1
	s_cbranch_scc0 .LBB70_1509
; %bb.1508:
	v_mov_b64_e32 v[4:5], 0
	s_mov_b32 s14, 0
	s_mov_b32 s15, -1
	global_store_b64 v[2:3], v[4:5], off
.LBB70_1509:
	s_mov_b32 s19, 0
.LBB70_1510:
	s_delay_alu instid0(SALU_CYCLE_1)
	s_and_b32 vcc_lo, exec_lo, s19
	s_cbranch_vccz .LBB70_1520
; %bb.1511:
	s_cmp_lt_i32 s12, 27
	s_mov_b32 s15, -1
	s_cbranch_scc1 .LBB70_1517
; %bb.1512:
	s_cmp_gt_i32 s12, 27
	s_cbranch_scc0 .LBB70_1514
; %bb.1513:
	s_wait_xcnt 0x0
	v_mov_b32_e32 v1, 0
	s_mov_b32 s15, 0
	global_store_b32 v[2:3], v1, off
.LBB70_1514:
	s_and_not1_b32 vcc_lo, exec_lo, s15
	s_cbranch_vccnz .LBB70_1516
; %bb.1515:
	s_wait_xcnt 0x0
	v_mov_b32_e32 v1, 0
	global_store_b16 v[2:3], v1, off
.LBB70_1516:
	s_mov_b32 s15, 0
.LBB70_1517:
	s_delay_alu instid0(SALU_CYCLE_1)
	s_and_not1_b32 vcc_lo, exec_lo, s15
	s_cbranch_vccnz .LBB70_1519
; %bb.1518:
	s_wait_xcnt 0x0
	v_mov_b32_e32 v1, 0
	global_store_b8 v[2:3], v1, off
.LBB70_1519:
	s_mov_b32 s15, -1
.LBB70_1520:
	s_mov_b32 s19, 0
.LBB70_1521:
	s_delay_alu instid0(SALU_CYCLE_1)
	s_and_b32 vcc_lo, exec_lo, s19
	s_cbranch_vccz .LBB70_1539
; %bb.1522:
	s_cmp_gt_i32 s12, 22
	s_mov_b32 s18, -1
	s_cbranch_scc0 .LBB70_1532
; %bb.1523:
	s_cmp_lt_i32 s12, 24
	s_mov_b32 s15, -1
	s_cbranch_scc1 .LBB70_1529
; %bb.1524:
	s_cmp_gt_i32 s12, 24
	s_cbranch_scc0 .LBB70_1526
; %bb.1525:
	s_wait_xcnt 0x0
	v_mov_b32_e32 v1, 0
	s_mov_b32 s15, 0
	global_store_b8 v[2:3], v1, off
.LBB70_1526:
	s_and_not1_b32 vcc_lo, exec_lo, s15
	s_cbranch_vccnz .LBB70_1528
; %bb.1527:
	s_wait_xcnt 0x0
	v_mov_b32_e32 v1, 0
	global_store_b8 v[2:3], v1, off
.LBB70_1528:
	s_mov_b32 s15, 0
.LBB70_1529:
	s_delay_alu instid0(SALU_CYCLE_1)
	s_and_not1_b32 vcc_lo, exec_lo, s15
	s_cbranch_vccnz .LBB70_1531
; %bb.1530:
	s_wait_xcnt 0x0
	v_mov_b32_e32 v1, 0
	global_store_b8 v[2:3], v1, off
.LBB70_1531:
	s_mov_b32 s18, 0
	s_mov_b32 s15, -1
.LBB70_1532:
	s_and_not1_b32 vcc_lo, exec_lo, s18
	s_mov_b32 s18, 0
	s_cbranch_vccnz .LBB70_1539
; %bb.1533:
	s_cmp_gt_i32 s12, 14
	s_mov_b32 s18, -1
	s_cbranch_scc0 .LBB70_1537
; %bb.1534:
	s_cmp_eq_u32 s12, 15
	s_mov_b32 s14, -1
	s_cbranch_scc0 .LBB70_1536
; %bb.1535:
	s_wait_xcnt 0x0
	v_mov_b32_e32 v1, 0
	s_mov_b32 s14, 0
	s_mov_b32 s15, -1
	global_store_b16 v[2:3], v1, off
.LBB70_1536:
	s_mov_b32 s18, 0
.LBB70_1537:
	s_delay_alu instid0(SALU_CYCLE_1)
	s_and_b32 vcc_lo, exec_lo, s18
	s_mov_b32 s18, 0
	s_cbranch_vccz .LBB70_1539
; %bb.1538:
	s_cmp_lg_u32 s12, 11
	s_mov_b32 s18, -1
	s_cselect_b32 s14, -1, 0
.LBB70_1539:
	s_delay_alu instid0(SALU_CYCLE_1)
	s_and_b32 vcc_lo, exec_lo, s14
	s_cbranch_vccnz .LBB70_1776
; %bb.1540:
	s_and_not1_b32 vcc_lo, exec_lo, s18
	s_cbranch_vccnz .LBB70_1542
.LBB70_1541:
	s_wait_xcnt 0x0
	v_mov_b32_e32 v1, 0
	s_mov_b32 s15, -1
	global_store_b8 v[2:3], v1, off
.LBB70_1542:
	s_mov_b32 s12, 0
	s_branch .LBB70_1544
.LBB70_1543:
	s_mov_b32 s12, -1
	s_mov_b32 s15, 0
.LBB70_1544:
	s_and_b32 vcc_lo, exec_lo, s12
	s_cbranch_vccz .LBB70_1583
; %bb.1545:
	s_and_b32 s12, 0xffff, s0
	s_mov_b32 s14, -1
	s_cmp_lt_i32 s12, 5
	s_cbranch_scc1 .LBB70_1566
; %bb.1546:
	s_cmp_lt_i32 s12, 8
	s_cbranch_scc1 .LBB70_1556
; %bb.1547:
	;; [unrolled: 3-line block ×3, first 2 shown]
	s_cmp_gt_i32 s12, 9
	s_cbranch_scc0 .LBB70_1550
; %bb.1549:
	s_wait_xcnt 0x0
	v_mov_b32_e32 v4, 0
	s_mov_b32 s14, 0
	s_delay_alu instid0(VALU_DEP_1)
	v_dual_mov_b32 v5, v4 :: v_dual_mov_b32 v6, v4
	v_mov_b32_e32 v7, v4
	global_store_b128 v[2:3], v[4:7], off
.LBB70_1550:
	s_and_not1_b32 vcc_lo, exec_lo, s14
	s_cbranch_vccnz .LBB70_1552
; %bb.1551:
	s_wait_xcnt 0x0
	v_mov_b64_e32 v[4:5], 0
	global_store_b64 v[2:3], v[4:5], off
.LBB70_1552:
	s_mov_b32 s14, 0
.LBB70_1553:
	s_delay_alu instid0(SALU_CYCLE_1)
	s_and_not1_b32 vcc_lo, exec_lo, s14
	s_cbranch_vccnz .LBB70_1555
; %bb.1554:
	s_wait_xcnt 0x0
	v_mov_b32_e32 v1, 0
	global_store_b32 v[2:3], v1, off
.LBB70_1555:
	s_mov_b32 s14, 0
.LBB70_1556:
	s_delay_alu instid0(SALU_CYCLE_1)
	s_and_not1_b32 vcc_lo, exec_lo, s14
	s_cbranch_vccnz .LBB70_1565
; %bb.1557:
	s_cmp_lt_i32 s12, 6
	s_mov_b32 s14, -1
	s_cbranch_scc1 .LBB70_1563
; %bb.1558:
	s_cmp_gt_i32 s12, 6
	s_cbranch_scc0 .LBB70_1560
; %bb.1559:
	s_wait_xcnt 0x0
	v_mov_b64_e32 v[4:5], 0
	s_mov_b32 s14, 0
	global_store_b64 v[2:3], v[4:5], off
.LBB70_1560:
	s_and_not1_b32 vcc_lo, exec_lo, s14
	s_cbranch_vccnz .LBB70_1562
; %bb.1561:
	s_wait_xcnt 0x0
	v_mov_b32_e32 v1, 0
	global_store_b32 v[2:3], v1, off
.LBB70_1562:
	s_mov_b32 s14, 0
.LBB70_1563:
	s_delay_alu instid0(SALU_CYCLE_1)
	s_and_not1_b32 vcc_lo, exec_lo, s14
	s_cbranch_vccnz .LBB70_1565
; %bb.1564:
	s_wait_xcnt 0x0
	v_mov_b32_e32 v1, 0
	global_store_b16 v[2:3], v1, off
.LBB70_1565:
	s_mov_b32 s14, 0
.LBB70_1566:
	s_delay_alu instid0(SALU_CYCLE_1)
	s_and_not1_b32 vcc_lo, exec_lo, s14
	s_cbranch_vccnz .LBB70_1582
; %bb.1567:
	s_cmp_lt_i32 s12, 2
	s_mov_b32 s14, -1
	s_cbranch_scc1 .LBB70_1577
; %bb.1568:
	s_cmp_lt_i32 s12, 3
	s_cbranch_scc1 .LBB70_1574
; %bb.1569:
	s_cmp_gt_i32 s12, 3
	s_cbranch_scc0 .LBB70_1571
; %bb.1570:
	s_wait_xcnt 0x0
	v_mov_b64_e32 v[4:5], 0
	s_mov_b32 s14, 0
	global_store_b64 v[2:3], v[4:5], off
.LBB70_1571:
	s_and_not1_b32 vcc_lo, exec_lo, s14
	s_cbranch_vccnz .LBB70_1573
; %bb.1572:
	s_wait_xcnt 0x0
	v_mov_b32_e32 v1, 0
	global_store_b32 v[2:3], v1, off
.LBB70_1573:
	s_mov_b32 s14, 0
.LBB70_1574:
	s_delay_alu instid0(SALU_CYCLE_1)
	s_and_not1_b32 vcc_lo, exec_lo, s14
	s_cbranch_vccnz .LBB70_1576
; %bb.1575:
	s_wait_xcnt 0x0
	v_mov_b32_e32 v1, 0
	global_store_b16 v[2:3], v1, off
.LBB70_1576:
	s_mov_b32 s14, 0
.LBB70_1577:
	s_delay_alu instid0(SALU_CYCLE_1)
	s_and_not1_b32 vcc_lo, exec_lo, s14
	s_cbranch_vccnz .LBB70_1582
; %bb.1578:
	s_cmp_gt_i32 s12, 0
	s_mov_b32 s12, -1
	s_cbranch_scc0 .LBB70_1580
; %bb.1579:
	s_wait_xcnt 0x0
	v_mov_b32_e32 v1, 0
	s_mov_b32 s12, 0
	global_store_b8 v[2:3], v1, off
.LBB70_1580:
	s_and_not1_b32 vcc_lo, exec_lo, s12
	s_cbranch_vccnz .LBB70_1582
; %bb.1581:
	s_wait_xcnt 0x0
	v_mov_b32_e32 v1, 0
	global_store_b8 v[2:3], v1, off
.LBB70_1582:
	s_mov_b32 s15, -1
.LBB70_1583:
	s_delay_alu instid0(SALU_CYCLE_1)
	s_and_not1_b32 vcc_lo, exec_lo, s15
	s_cbranch_vccnz .LBB70_1719
; %bb.1584:
	v_add_nc_u32_e32 v0, s8, v0
	s_cmp_lt_i32 s0, 11
	s_wait_xcnt 0x0
	s_delay_alu instid0(VALU_DEP_1) | instskip(NEXT) | instid1(VALU_DEP_1)
	v_ashrrev_i32_e32 v1, 31, v0
	v_add_nc_u64_e32 v[2:3], s[4:5], v[0:1]
	s_cbranch_scc1 .LBB70_1632
; %bb.1585:
	s_and_b32 s12, 0xffff, s0
	s_mov_b32 s19, -1
	s_mov_b32 s18, 0
	s_cmp_gt_i32 s12, 25
	s_mov_b32 s15, 0
	s_mov_b32 s14, 0
	s_cbranch_scc0 .LBB70_1610
; %bb.1586:
	s_cmp_gt_i32 s12, 28
	s_cbranch_scc0 .LBB70_1599
; %bb.1587:
	s_cmp_gt_i32 s12, 43
	;; [unrolled: 3-line block ×3, first 2 shown]
	s_cbranch_scc0 .LBB70_1591
; %bb.1589:
	s_mov_b32 s14, -1
	s_mov_b32 s19, 0
	s_cmp_eq_u32 s12, 46
	s_cbranch_scc0 .LBB70_1591
; %bb.1590:
	v_mov_b32_e32 v1, 0
	s_mov_b32 s14, 0
	s_mov_b32 s15, -1
	global_store_b32 v[2:3], v1, off
.LBB70_1591:
	s_and_b32 vcc_lo, exec_lo, s19
	s_cbranch_vccz .LBB70_1594
; %bb.1592:
	s_cmp_eq_u32 s12, 44
	s_mov_b32 s14, -1
	s_cbranch_scc0 .LBB70_1594
; %bb.1593:
	s_wait_xcnt 0x0
	v_mov_b32_e32 v1, 0
	s_mov_b32 s14, 0
	s_mov_b32 s15, -1
	global_store_b8 v[2:3], v1, off
.LBB70_1594:
	s_mov_b32 s19, 0
.LBB70_1595:
	s_delay_alu instid0(SALU_CYCLE_1)
	s_and_b32 vcc_lo, exec_lo, s19
	s_cbranch_vccz .LBB70_1598
; %bb.1596:
	s_cmp_eq_u32 s12, 29
	s_mov_b32 s14, -1
	s_cbranch_scc0 .LBB70_1598
; %bb.1597:
	v_mov_b64_e32 v[4:5], 0
	s_mov_b32 s14, 0
	s_mov_b32 s15, -1
	global_store_b64 v[2:3], v[4:5], off
.LBB70_1598:
	s_mov_b32 s19, 0
.LBB70_1599:
	s_delay_alu instid0(SALU_CYCLE_1)
	s_and_b32 vcc_lo, exec_lo, s19
	s_cbranch_vccz .LBB70_1609
; %bb.1600:
	s_cmp_lt_i32 s12, 27
	s_mov_b32 s15, -1
	s_cbranch_scc1 .LBB70_1606
; %bb.1601:
	s_cmp_gt_i32 s12, 27
	s_cbranch_scc0 .LBB70_1603
; %bb.1602:
	s_wait_xcnt 0x0
	v_mov_b32_e32 v1, 0
	s_mov_b32 s15, 0
	global_store_b32 v[2:3], v1, off
.LBB70_1603:
	s_and_not1_b32 vcc_lo, exec_lo, s15
	s_cbranch_vccnz .LBB70_1605
; %bb.1604:
	s_wait_xcnt 0x0
	v_mov_b32_e32 v1, 0
	global_store_b16 v[2:3], v1, off
.LBB70_1605:
	s_mov_b32 s15, 0
.LBB70_1606:
	s_delay_alu instid0(SALU_CYCLE_1)
	s_and_not1_b32 vcc_lo, exec_lo, s15
	s_cbranch_vccnz .LBB70_1608
; %bb.1607:
	s_wait_xcnt 0x0
	v_mov_b32_e32 v1, 0
	global_store_b8 v[2:3], v1, off
.LBB70_1608:
	s_mov_b32 s15, -1
.LBB70_1609:
	s_mov_b32 s19, 0
.LBB70_1610:
	s_delay_alu instid0(SALU_CYCLE_1)
	s_and_b32 vcc_lo, exec_lo, s19
	s_cbranch_vccz .LBB70_1628
; %bb.1611:
	s_cmp_gt_i32 s12, 22
	s_mov_b32 s18, -1
	s_cbranch_scc0 .LBB70_1621
; %bb.1612:
	s_cmp_lt_i32 s12, 24
	s_mov_b32 s15, -1
	s_cbranch_scc1 .LBB70_1618
; %bb.1613:
	s_cmp_gt_i32 s12, 24
	s_cbranch_scc0 .LBB70_1615
; %bb.1614:
	s_wait_xcnt 0x0
	v_mov_b32_e32 v1, 0
	s_mov_b32 s15, 0
	global_store_b8 v[2:3], v1, off
.LBB70_1615:
	s_and_not1_b32 vcc_lo, exec_lo, s15
	s_cbranch_vccnz .LBB70_1617
; %bb.1616:
	s_wait_xcnt 0x0
	v_mov_b32_e32 v1, 0
	global_store_b8 v[2:3], v1, off
.LBB70_1617:
	s_mov_b32 s15, 0
.LBB70_1618:
	s_delay_alu instid0(SALU_CYCLE_1)
	s_and_not1_b32 vcc_lo, exec_lo, s15
	s_cbranch_vccnz .LBB70_1620
; %bb.1619:
	s_wait_xcnt 0x0
	v_mov_b32_e32 v1, 0
	global_store_b8 v[2:3], v1, off
.LBB70_1620:
	s_mov_b32 s18, 0
	s_mov_b32 s15, -1
.LBB70_1621:
	s_and_not1_b32 vcc_lo, exec_lo, s18
	s_mov_b32 s18, 0
	s_cbranch_vccnz .LBB70_1628
; %bb.1622:
	s_cmp_gt_i32 s12, 14
	s_mov_b32 s18, -1
	s_cbranch_scc0 .LBB70_1626
; %bb.1623:
	s_cmp_eq_u32 s12, 15
	s_mov_b32 s14, -1
	s_cbranch_scc0 .LBB70_1625
; %bb.1624:
	s_wait_xcnt 0x0
	v_mov_b32_e32 v1, 0
	s_mov_b32 s14, 0
	s_mov_b32 s15, -1
	global_store_b16 v[2:3], v1, off
.LBB70_1625:
	s_mov_b32 s18, 0
.LBB70_1626:
	s_delay_alu instid0(SALU_CYCLE_1)
	s_and_b32 vcc_lo, exec_lo, s18
	s_mov_b32 s18, 0
	s_cbranch_vccz .LBB70_1628
; %bb.1627:
	s_cmp_lg_u32 s12, 11
	s_mov_b32 s18, -1
	s_cselect_b32 s14, -1, 0
.LBB70_1628:
	s_delay_alu instid0(SALU_CYCLE_1)
	s_and_b32 vcc_lo, exec_lo, s14
	s_cbranch_vccnz .LBB70_1777
; %bb.1629:
	s_and_not1_b32 vcc_lo, exec_lo, s18
	s_cbranch_vccnz .LBB70_1631
.LBB70_1630:
	s_wait_xcnt 0x0
	v_mov_b32_e32 v1, 0
	s_mov_b32 s15, -1
	global_store_b8 v[2:3], v1, off
.LBB70_1631:
	s_mov_b32 s12, 0
	s_branch .LBB70_1633
.LBB70_1632:
	s_mov_b32 s12, -1
	s_mov_b32 s15, 0
.LBB70_1633:
	s_and_b32 vcc_lo, exec_lo, s12
	s_cbranch_vccz .LBB70_1672
; %bb.1634:
	s_and_b32 s12, 0xffff, s0
	s_mov_b32 s14, -1
	s_cmp_lt_i32 s12, 5
	s_cbranch_scc1 .LBB70_1655
; %bb.1635:
	s_cmp_lt_i32 s12, 8
	s_cbranch_scc1 .LBB70_1645
; %bb.1636:
	;; [unrolled: 3-line block ×3, first 2 shown]
	s_cmp_gt_i32 s12, 9
	s_cbranch_scc0 .LBB70_1639
; %bb.1638:
	s_wait_xcnt 0x0
	v_mov_b32_e32 v4, 0
	s_mov_b32 s14, 0
	s_delay_alu instid0(VALU_DEP_1)
	v_dual_mov_b32 v5, v4 :: v_dual_mov_b32 v6, v4
	v_mov_b32_e32 v7, v4
	global_store_b128 v[2:3], v[4:7], off
.LBB70_1639:
	s_and_not1_b32 vcc_lo, exec_lo, s14
	s_cbranch_vccnz .LBB70_1641
; %bb.1640:
	s_wait_xcnt 0x0
	v_mov_b64_e32 v[4:5], 0
	global_store_b64 v[2:3], v[4:5], off
.LBB70_1641:
	s_mov_b32 s14, 0
.LBB70_1642:
	s_delay_alu instid0(SALU_CYCLE_1)
	s_and_not1_b32 vcc_lo, exec_lo, s14
	s_cbranch_vccnz .LBB70_1644
; %bb.1643:
	s_wait_xcnt 0x0
	v_mov_b32_e32 v1, 0
	global_store_b32 v[2:3], v1, off
.LBB70_1644:
	s_mov_b32 s14, 0
.LBB70_1645:
	s_delay_alu instid0(SALU_CYCLE_1)
	s_and_not1_b32 vcc_lo, exec_lo, s14
	s_cbranch_vccnz .LBB70_1654
; %bb.1646:
	s_cmp_lt_i32 s12, 6
	s_mov_b32 s14, -1
	s_cbranch_scc1 .LBB70_1652
; %bb.1647:
	s_cmp_gt_i32 s12, 6
	s_cbranch_scc0 .LBB70_1649
; %bb.1648:
	s_wait_xcnt 0x0
	v_mov_b64_e32 v[4:5], 0
	s_mov_b32 s14, 0
	global_store_b64 v[2:3], v[4:5], off
.LBB70_1649:
	s_and_not1_b32 vcc_lo, exec_lo, s14
	s_cbranch_vccnz .LBB70_1651
; %bb.1650:
	s_wait_xcnt 0x0
	v_mov_b32_e32 v1, 0
	global_store_b32 v[2:3], v1, off
.LBB70_1651:
	s_mov_b32 s14, 0
.LBB70_1652:
	s_delay_alu instid0(SALU_CYCLE_1)
	s_and_not1_b32 vcc_lo, exec_lo, s14
	s_cbranch_vccnz .LBB70_1654
; %bb.1653:
	s_wait_xcnt 0x0
	v_mov_b32_e32 v1, 0
	global_store_b16 v[2:3], v1, off
.LBB70_1654:
	s_mov_b32 s14, 0
.LBB70_1655:
	s_delay_alu instid0(SALU_CYCLE_1)
	s_and_not1_b32 vcc_lo, exec_lo, s14
	s_cbranch_vccnz .LBB70_1671
; %bb.1656:
	s_cmp_lt_i32 s12, 2
	s_mov_b32 s14, -1
	s_cbranch_scc1 .LBB70_1666
; %bb.1657:
	s_cmp_lt_i32 s12, 3
	s_cbranch_scc1 .LBB70_1663
; %bb.1658:
	s_cmp_gt_i32 s12, 3
	s_cbranch_scc0 .LBB70_1660
; %bb.1659:
	s_wait_xcnt 0x0
	v_mov_b64_e32 v[4:5], 0
	s_mov_b32 s14, 0
	global_store_b64 v[2:3], v[4:5], off
.LBB70_1660:
	s_and_not1_b32 vcc_lo, exec_lo, s14
	s_cbranch_vccnz .LBB70_1662
; %bb.1661:
	s_wait_xcnt 0x0
	v_mov_b32_e32 v1, 0
	global_store_b32 v[2:3], v1, off
.LBB70_1662:
	s_mov_b32 s14, 0
.LBB70_1663:
	s_delay_alu instid0(SALU_CYCLE_1)
	s_and_not1_b32 vcc_lo, exec_lo, s14
	s_cbranch_vccnz .LBB70_1665
; %bb.1664:
	s_wait_xcnt 0x0
	v_mov_b32_e32 v1, 0
	global_store_b16 v[2:3], v1, off
.LBB70_1665:
	s_mov_b32 s14, 0
.LBB70_1666:
	s_delay_alu instid0(SALU_CYCLE_1)
	s_and_not1_b32 vcc_lo, exec_lo, s14
	s_cbranch_vccnz .LBB70_1671
; %bb.1667:
	s_cmp_gt_i32 s12, 0
	s_mov_b32 s12, -1
	s_cbranch_scc0 .LBB70_1669
; %bb.1668:
	s_wait_xcnt 0x0
	v_mov_b32_e32 v1, 0
	s_mov_b32 s12, 0
	global_store_b8 v[2:3], v1, off
.LBB70_1669:
	s_and_not1_b32 vcc_lo, exec_lo, s12
	s_cbranch_vccnz .LBB70_1671
; %bb.1670:
	s_wait_xcnt 0x0
	v_mov_b32_e32 v1, 0
	global_store_b8 v[2:3], v1, off
.LBB70_1671:
	s_mov_b32 s15, -1
.LBB70_1672:
	s_delay_alu instid0(SALU_CYCLE_1)
	s_and_not1_b32 vcc_lo, exec_lo, s15
	s_cbranch_vccnz .LBB70_1719
; %bb.1673:
	v_add_nc_u32_e32 v0, s8, v0
	s_cmp_lt_i32 s0, 11
	s_wait_xcnt 0x0
	s_delay_alu instid0(VALU_DEP_1) | instskip(NEXT) | instid1(VALU_DEP_1)
	v_ashrrev_i32_e32 v1, 31, v0
	v_add_nc_u64_e32 v[2:3], s[4:5], v[0:1]
	s_cbranch_scc1 .LBB70_1773
; %bb.1674:
	s_and_b32 s5, 0xffff, s0
	s_mov_b32 s12, -1
	s_mov_b32 s4, 0
	s_cmp_gt_i32 s5, 25
	s_mov_b32 s8, 0
	s_cbranch_scc0 .LBB70_1699
; %bb.1675:
	s_cmp_gt_i32 s5, 28
	s_cbranch_scc0 .LBB70_1689
; %bb.1676:
	s_cmp_gt_i32 s5, 43
	;; [unrolled: 3-line block ×3, first 2 shown]
	s_cbranch_scc0 .LBB70_1681
; %bb.1678:
	s_cmp_eq_u32 s5, 46
	s_mov_b32 s8, -1
	s_cbranch_scc0 .LBB70_1680
; %bb.1679:
	v_mov_b32_e32 v0, 0
	s_mov_b32 s8, 0
	global_store_b32 v[2:3], v0, off
.LBB70_1680:
	s_mov_b32 s12, 0
.LBB70_1681:
	s_delay_alu instid0(SALU_CYCLE_1)
	s_and_b32 vcc_lo, exec_lo, s12
	s_cbranch_vccz .LBB70_1684
; %bb.1682:
	s_cmp_eq_u32 s5, 44
	s_mov_b32 s8, -1
	s_cbranch_scc0 .LBB70_1684
; %bb.1683:
	s_wait_xcnt 0x0
	v_mov_b32_e32 v0, 0
	s_mov_b32 s8, 0
	global_store_b8 v[2:3], v0, off
.LBB70_1684:
	s_mov_b32 s12, 0
.LBB70_1685:
	s_delay_alu instid0(SALU_CYCLE_1)
	s_and_b32 vcc_lo, exec_lo, s12
	s_cbranch_vccz .LBB70_1688
; %bb.1686:
	s_cmp_eq_u32 s5, 29
	s_mov_b32 s8, -1
	s_cbranch_scc0 .LBB70_1688
; %bb.1687:
	s_wait_xcnt 0x0
	v_mov_b64_e32 v[0:1], 0
	s_mov_b32 s8, 0
	global_store_b64 v[2:3], v[0:1], off
.LBB70_1688:
	s_mov_b32 s12, 0
.LBB70_1689:
	s_delay_alu instid0(SALU_CYCLE_1)
	s_and_b32 vcc_lo, exec_lo, s12
	s_cbranch_vccz .LBB70_1698
; %bb.1690:
	s_cmp_lt_i32 s5, 27
	s_mov_b32 s12, -1
	s_cbranch_scc1 .LBB70_1696
; %bb.1691:
	s_cmp_gt_i32 s5, 27
	s_cbranch_scc0 .LBB70_1693
; %bb.1692:
	s_wait_xcnt 0x0
	v_mov_b32_e32 v0, 0
	s_mov_b32 s12, 0
	global_store_b32 v[2:3], v0, off
.LBB70_1693:
	s_and_not1_b32 vcc_lo, exec_lo, s12
	s_cbranch_vccnz .LBB70_1695
; %bb.1694:
	s_wait_xcnt 0x0
	v_mov_b32_e32 v0, 0
	global_store_b16 v[2:3], v0, off
.LBB70_1695:
	s_mov_b32 s12, 0
.LBB70_1696:
	s_delay_alu instid0(SALU_CYCLE_1)
	s_and_not1_b32 vcc_lo, exec_lo, s12
	s_cbranch_vccnz .LBB70_1698
; %bb.1697:
	s_wait_xcnt 0x0
	v_mov_b32_e32 v0, 0
	global_store_b8 v[2:3], v0, off
.LBB70_1698:
	s_mov_b32 s12, 0
.LBB70_1699:
	s_delay_alu instid0(SALU_CYCLE_1)
	s_and_b32 vcc_lo, exec_lo, s12
	s_cbranch_vccz .LBB70_1717
; %bb.1700:
	s_cmp_gt_i32 s5, 22
	s_mov_b32 s4, -1
	s_cbranch_scc0 .LBB70_1710
; %bb.1701:
	s_cmp_lt_i32 s5, 24
	s_cbranch_scc1 .LBB70_1707
; %bb.1702:
	s_cmp_gt_i32 s5, 24
	s_cbranch_scc0 .LBB70_1704
; %bb.1703:
	s_wait_xcnt 0x0
	v_mov_b32_e32 v0, 0
	s_mov_b32 s4, 0
	global_store_b8 v[2:3], v0, off
.LBB70_1704:
	s_and_not1_b32 vcc_lo, exec_lo, s4
	s_cbranch_vccnz .LBB70_1706
; %bb.1705:
	s_wait_xcnt 0x0
	v_mov_b32_e32 v0, 0
	global_store_b8 v[2:3], v0, off
.LBB70_1706:
	s_mov_b32 s4, 0
.LBB70_1707:
	s_delay_alu instid0(SALU_CYCLE_1)
	s_and_not1_b32 vcc_lo, exec_lo, s4
	s_cbranch_vccnz .LBB70_1709
; %bb.1708:
	s_wait_xcnt 0x0
	v_mov_b32_e32 v0, 0
	global_store_b8 v[2:3], v0, off
.LBB70_1709:
	s_mov_b32 s4, 0
.LBB70_1710:
	s_delay_alu instid0(SALU_CYCLE_1)
	s_and_not1_b32 vcc_lo, exec_lo, s4
	s_mov_b32 s4, 0
	s_cbranch_vccnz .LBB70_1717
; %bb.1711:
	s_cmp_gt_i32 s5, 14
	s_mov_b32 s4, -1
	s_cbranch_scc0 .LBB70_1715
; %bb.1712:
	s_cmp_eq_u32 s5, 15
	s_mov_b32 s8, -1
	s_cbranch_scc0 .LBB70_1714
; %bb.1713:
	s_wait_xcnt 0x0
	v_mov_b32_e32 v0, 0
	s_mov_b32 s8, 0
	global_store_b16 v[2:3], v0, off
.LBB70_1714:
	s_mov_b32 s4, 0
.LBB70_1715:
	s_delay_alu instid0(SALU_CYCLE_1)
	s_and_b32 vcc_lo, exec_lo, s4
	s_mov_b32 s4, 0
	s_cbranch_vccz .LBB70_1717
; %bb.1716:
	s_cmp_lg_u32 s5, 11
	s_mov_b32 s4, -1
	s_cselect_b32 s8, -1, 0
.LBB70_1717:
	s_delay_alu instid0(SALU_CYCLE_1)
	s_and_b32 vcc_lo, exec_lo, s8
	s_cbranch_vccnz .LBB70_1779
.LBB70_1718:
	s_mov_b32 s5, 0
	s_branch .LBB70_1720
.LBB70_1719:
	s_mov_b32 s5, 0
	s_mov_b32 s4, 0
                                        ; implicit-def: $sgpr0
                                        ; implicit-def: $vgpr2_vgpr3
.LBB70_1720:
	s_and_b32 s12, s5, exec_lo
	s_and_not1_b32 s5, s6, exec_lo
	s_and_b32 s6, s10, exec_lo
	s_and_b32 s10, s4, exec_lo
	s_or_b32 s6, s5, s6
.LBB70_1721:
	s_wait_xcnt 0x0
	s_or_b32 exec_lo, exec_lo, s7
.LBB70_1722:
	s_delay_alu instid0(SALU_CYCLE_1)
	s_and_not1_b32 s4, s16, exec_lo
	s_and_b32 s5, s6, exec_lo
	s_and_b32 s20, s12, exec_lo
	;; [unrolled: 1-line block ×3, first 2 shown]
	s_or_b32 s16, s4, s5
.LBB70_1723:
	s_wait_xcnt 0x0
	s_or_b32 exec_lo, exec_lo, s17
.LBB70_1724:
	s_delay_alu instid0(SALU_CYCLE_1)
	s_and_not1_b32 s4, s9, exec_lo
	s_and_b32 s5, s16, exec_lo
	s_and_b32 s17, s20, exec_lo
	;; [unrolled: 1-line block ×3, first 2 shown]
	s_or_b32 s9, s4, s5
.LBB70_1725:
	s_wait_xcnt 0x0
	s_or_b32 exec_lo, exec_lo, s13
.LBB70_1726:
	s_delay_alu instid0(SALU_CYCLE_1)
	s_and_not1_b32 s1, s1, exec_lo
	s_and_b32 s4, s9, exec_lo
	s_and_b32 s17, s17, exec_lo
	;; [unrolled: 1-line block ×3, first 2 shown]
	s_or_b32 s1, s1, s4
.LBB70_1727:
	s_wait_xcnt 0x0
	s_or_b32 exec_lo, exec_lo, s2
.LBB70_1728:
	s_delay_alu instid0(SALU_CYCLE_1)
	s_and_not1_b32 s2, s11, exec_lo
	s_and_b32 s4, s1, exec_lo
	s_and_b32 s15, s17, exec_lo
	;; [unrolled: 1-line block ×3, first 2 shown]
	s_or_b32 s11, s2, s4
.LBB70_1729:
	s_wait_xcnt 0x0
	s_or_b32 exec_lo, exec_lo, s3
	s_and_saveexec_b32 s2, s11
	s_cbranch_execz .LBB70_1732
; %bb.1730:
	; divergent unreachable
	s_or_b32 exec_lo, exec_lo, s2
	s_and_saveexec_b32 s2, s1
	s_delay_alu instid0(SALU_CYCLE_1)
	s_xor_b32 s1, exec_lo, s2
	s_cbranch_execnz .LBB70_1733
.LBB70_1731:
	s_or_b32 exec_lo, exec_lo, s1
	s_and_saveexec_b32 s1, s15
	s_cbranch_execnz .LBB70_1734
	s_branch .LBB70_1771
.LBB70_1732:
	s_or_b32 exec_lo, exec_lo, s2
	s_and_saveexec_b32 s2, s1
	s_delay_alu instid0(SALU_CYCLE_1)
	s_xor_b32 s1, exec_lo, s2
	s_cbranch_execz .LBB70_1731
.LBB70_1733:
	v_mov_b32_e32 v0, 0
	s_wait_loadcnt 0x0
	global_store_b8 v[2:3], v0, off
	s_wait_xcnt 0x0
	s_or_b32 exec_lo, exec_lo, s1
	s_and_saveexec_b32 s1, s15
	s_cbranch_execz .LBB70_1771
.LBB70_1734:
	s_sext_i32_i16 s2, s0
	s_mov_b32 s1, -1
	s_cmp_lt_i32 s2, 5
	s_cbranch_scc1 .LBB70_1755
; %bb.1735:
	s_cmp_lt_i32 s2, 8
	s_cbranch_scc1 .LBB70_1745
; %bb.1736:
	;; [unrolled: 3-line block ×3, first 2 shown]
	s_cmp_gt_i32 s2, 9
	s_cbranch_scc0 .LBB70_1739
; %bb.1738:
	v_mov_b32_e32 v4, 0
	s_mov_b32 s1, 0
	s_delay_alu instid0(VALU_DEP_1)
	v_dual_mov_b32 v5, v4 :: v_dual_mov_b32 v6, v4
	v_mov_b32_e32 v7, v4
	s_wait_loadcnt 0x0
	global_store_b128 v[2:3], v[4:7], off
.LBB70_1739:
	s_and_not1_b32 vcc_lo, exec_lo, s1
	s_cbranch_vccnz .LBB70_1741
; %bb.1740:
	s_wait_loadcnt 0x0
	v_mov_b64_e32 v[0:1], 0
	global_store_b64 v[2:3], v[0:1], off
.LBB70_1741:
	s_mov_b32 s1, 0
.LBB70_1742:
	s_delay_alu instid0(SALU_CYCLE_1)
	s_and_not1_b32 vcc_lo, exec_lo, s1
	s_cbranch_vccnz .LBB70_1744
; %bb.1743:
	s_wait_xcnt 0x0
	v_mov_b32_e32 v0, 0
	s_wait_loadcnt 0x0
	global_store_b32 v[2:3], v0, off
.LBB70_1744:
	s_mov_b32 s1, 0
.LBB70_1745:
	s_delay_alu instid0(SALU_CYCLE_1)
	s_and_not1_b32 vcc_lo, exec_lo, s1
	s_cbranch_vccnz .LBB70_1754
; %bb.1746:
	s_sext_i32_i16 s2, s0
	s_mov_b32 s1, -1
	s_cmp_lt_i32 s2, 6
	s_cbranch_scc1 .LBB70_1752
; %bb.1747:
	s_cmp_gt_i32 s2, 6
	s_cbranch_scc0 .LBB70_1749
; %bb.1748:
	s_wait_loadcnt 0x0
	v_mov_b64_e32 v[0:1], 0
	s_mov_b32 s1, 0
	global_store_b64 v[2:3], v[0:1], off
.LBB70_1749:
	s_and_not1_b32 vcc_lo, exec_lo, s1
	s_cbranch_vccnz .LBB70_1751
; %bb.1750:
	s_wait_xcnt 0x0
	v_mov_b32_e32 v0, 0
	s_wait_loadcnt 0x0
	global_store_b32 v[2:3], v0, off
.LBB70_1751:
	s_mov_b32 s1, 0
.LBB70_1752:
	s_delay_alu instid0(SALU_CYCLE_1)
	s_and_not1_b32 vcc_lo, exec_lo, s1
	s_cbranch_vccnz .LBB70_1754
; %bb.1753:
	s_wait_xcnt 0x0
	v_mov_b32_e32 v0, 0
	s_wait_loadcnt 0x0
	global_store_b16 v[2:3], v0, off
.LBB70_1754:
	s_mov_b32 s1, 0
.LBB70_1755:
	s_delay_alu instid0(SALU_CYCLE_1)
	s_and_not1_b32 vcc_lo, exec_lo, s1
	s_cbranch_vccnz .LBB70_1771
; %bb.1756:
	s_sext_i32_i16 s2, s0
	s_mov_b32 s1, -1
	s_cmp_lt_i32 s2, 2
	s_cbranch_scc1 .LBB70_1766
; %bb.1757:
	s_cmp_lt_i32 s2, 3
	s_cbranch_scc1 .LBB70_1763
; %bb.1758:
	s_cmp_gt_i32 s2, 3
	s_cbranch_scc0 .LBB70_1760
; %bb.1759:
	s_wait_loadcnt 0x0
	v_mov_b64_e32 v[0:1], 0
	s_mov_b32 s1, 0
	global_store_b64 v[2:3], v[0:1], off
.LBB70_1760:
	s_and_not1_b32 vcc_lo, exec_lo, s1
	s_cbranch_vccnz .LBB70_1762
; %bb.1761:
	s_wait_xcnt 0x0
	v_mov_b32_e32 v0, 0
	s_wait_loadcnt 0x0
	global_store_b32 v[2:3], v0, off
.LBB70_1762:
	s_mov_b32 s1, 0
.LBB70_1763:
	s_delay_alu instid0(SALU_CYCLE_1)
	s_and_not1_b32 vcc_lo, exec_lo, s1
	s_cbranch_vccnz .LBB70_1765
; %bb.1764:
	s_wait_xcnt 0x0
	v_mov_b32_e32 v0, 0
	s_wait_loadcnt 0x0
	global_store_b16 v[2:3], v0, off
.LBB70_1765:
	s_mov_b32 s1, 0
.LBB70_1766:
	s_delay_alu instid0(SALU_CYCLE_1)
	s_and_not1_b32 vcc_lo, exec_lo, s1
	s_cbranch_vccnz .LBB70_1771
; %bb.1767:
	s_sext_i32_i16 s0, s0
	s_delay_alu instid0(SALU_CYCLE_1)
	s_cmp_gt_i32 s0, 0
	s_mov_b32 s0, -1
	s_cbranch_scc0 .LBB70_1769
; %bb.1768:
	s_wait_xcnt 0x0
	v_mov_b32_e32 v0, 0
	s_mov_b32 s0, 0
	s_wait_loadcnt 0x0
	global_store_b8 v[2:3], v0, off
.LBB70_1769:
	s_and_not1_b32 vcc_lo, exec_lo, s0
	s_cbranch_vccnz .LBB70_1771
; %bb.1770:
	s_wait_xcnt 0x0
	v_mov_b32_e32 v0, 0
	s_wait_loadcnt 0x0
	global_store_b8 v[2:3], v0, off
	s_endpgm
.LBB70_1771:
	s_endpgm
.LBB70_1772:
	s_or_b32 s6, s16, exec_lo
	s_trap 2
	s_cbranch_execz .LBB70_1351
	s_branch .LBB70_1352
.LBB70_1773:
	s_mov_b32 s4, 0
	s_mov_b32 s5, -1
	s_branch .LBB70_1720
.LBB70_1774:
	s_or_b32 s10, s6, exec_lo
	s_trap 2
	s_cbranch_execz .LBB70_1451
	s_branch .LBB70_1452
.LBB70_1775:
	s_or_b32 s9, s9, exec_lo
	s_trap 2
                                        ; implicit-def: $vgpr0
                                        ; implicit-def: $vgpr4
	s_branch .LBB70_918
.LBB70_1776:
	s_or_b32 s10, s10, exec_lo
	s_trap 2
	s_cbranch_execz .LBB70_1541
	s_branch .LBB70_1542
.LBB70_1777:
	s_or_b32 s10, s10, exec_lo
	s_trap 2
	s_cbranch_execz .LBB70_1630
	s_branch .LBB70_1631
.LBB70_1778:
	s_or_b32 s16, s16, exec_lo
	s_trap 2
                                        ; implicit-def: $vgpr0
                                        ; implicit-def: $vgpr4
	s_branch .LBB70_1273
.LBB70_1779:
	s_mov_b32 s4, 0
	s_or_b32 s10, s10, exec_lo
	s_trap 2
	s_branch .LBB70_1718
.LBB70_1780:
	s_or_b32 s6, s6, exec_lo
	s_trap 2
                                        ; implicit-def: $vgpr4
	s_branch .LBB70_1404
	.section	.rodata,"a",@progbits
	.p2align	6, 0x0
	.amdhsa_kernel _ZN2at6native32elementwise_kernel_manual_unrollILi128ELi4EZNS0_15gpu_kernel_implIZZZNS0_12_GLOBAL__N_142_validate_compressed_sparse_indices_kernelILNS3_8CDimNameE1ENS3_18CUDAKernelLauncherENS3_14EmptyVecKernelENS3_8DummyVecELm8EEEvRKNS_6TensorESB_lllENKUlvE0_clEvENKUlvE_clEvEUliE_EEvRNS_18TensorIteratorBaseERKT_EUlibE_EEviT1_
		.amdhsa_group_segment_fixed_size 0
		.amdhsa_private_segment_fixed_size 0
		.amdhsa_kernarg_size 56
		.amdhsa_user_sgpr_count 2
		.amdhsa_user_sgpr_dispatch_ptr 0
		.amdhsa_user_sgpr_queue_ptr 0
		.amdhsa_user_sgpr_kernarg_segment_ptr 1
		.amdhsa_user_sgpr_dispatch_id 0
		.amdhsa_user_sgpr_kernarg_preload_length 0
		.amdhsa_user_sgpr_kernarg_preload_offset 0
		.amdhsa_user_sgpr_private_segment_size 0
		.amdhsa_wavefront_size32 1
		.amdhsa_uses_dynamic_stack 0
		.amdhsa_enable_private_segment 0
		.amdhsa_system_sgpr_workgroup_id_x 1
		.amdhsa_system_sgpr_workgroup_id_y 0
		.amdhsa_system_sgpr_workgroup_id_z 0
		.amdhsa_system_sgpr_workgroup_info 0
		.amdhsa_system_vgpr_workitem_id 0
		.amdhsa_next_free_vgpr 10
		.amdhsa_next_free_sgpr 32
		.amdhsa_named_barrier_count 0
		.amdhsa_reserve_vcc 1
		.amdhsa_float_round_mode_32 0
		.amdhsa_float_round_mode_16_64 0
		.amdhsa_float_denorm_mode_32 3
		.amdhsa_float_denorm_mode_16_64 3
		.amdhsa_fp16_overflow 0
		.amdhsa_memory_ordered 1
		.amdhsa_forward_progress 1
		.amdhsa_inst_pref_size 219
		.amdhsa_round_robin_scheduling 0
		.amdhsa_exception_fp_ieee_invalid_op 0
		.amdhsa_exception_fp_denorm_src 0
		.amdhsa_exception_fp_ieee_div_zero 0
		.amdhsa_exception_fp_ieee_overflow 0
		.amdhsa_exception_fp_ieee_underflow 0
		.amdhsa_exception_fp_ieee_inexact 0
		.amdhsa_exception_int_div_zero 0
	.end_amdhsa_kernel
	.section	.text._ZN2at6native32elementwise_kernel_manual_unrollILi128ELi4EZNS0_15gpu_kernel_implIZZZNS0_12_GLOBAL__N_142_validate_compressed_sparse_indices_kernelILNS3_8CDimNameE1ENS3_18CUDAKernelLauncherENS3_14EmptyVecKernelENS3_8DummyVecELm8EEEvRKNS_6TensorESB_lllENKUlvE0_clEvENKUlvE_clEvEUliE_EEvRNS_18TensorIteratorBaseERKT_EUlibE_EEviT1_,"axG",@progbits,_ZN2at6native32elementwise_kernel_manual_unrollILi128ELi4EZNS0_15gpu_kernel_implIZZZNS0_12_GLOBAL__N_142_validate_compressed_sparse_indices_kernelILNS3_8CDimNameE1ENS3_18CUDAKernelLauncherENS3_14EmptyVecKernelENS3_8DummyVecELm8EEEvRKNS_6TensorESB_lllENKUlvE0_clEvENKUlvE_clEvEUliE_EEvRNS_18TensorIteratorBaseERKT_EUlibE_EEviT1_,comdat
.Lfunc_end70:
	.size	_ZN2at6native32elementwise_kernel_manual_unrollILi128ELi4EZNS0_15gpu_kernel_implIZZZNS0_12_GLOBAL__N_142_validate_compressed_sparse_indices_kernelILNS3_8CDimNameE1ENS3_18CUDAKernelLauncherENS3_14EmptyVecKernelENS3_8DummyVecELm8EEEvRKNS_6TensorESB_lllENKUlvE0_clEvENKUlvE_clEvEUliE_EEvRNS_18TensorIteratorBaseERKT_EUlibE_EEviT1_, .Lfunc_end70-_ZN2at6native32elementwise_kernel_manual_unrollILi128ELi4EZNS0_15gpu_kernel_implIZZZNS0_12_GLOBAL__N_142_validate_compressed_sparse_indices_kernelILNS3_8CDimNameE1ENS3_18CUDAKernelLauncherENS3_14EmptyVecKernelENS3_8DummyVecELm8EEEvRKNS_6TensorESB_lllENKUlvE0_clEvENKUlvE_clEvEUliE_EEvRNS_18TensorIteratorBaseERKT_EUlibE_EEviT1_
                                        ; -- End function
	.set _ZN2at6native32elementwise_kernel_manual_unrollILi128ELi4EZNS0_15gpu_kernel_implIZZZNS0_12_GLOBAL__N_142_validate_compressed_sparse_indices_kernelILNS3_8CDimNameE1ENS3_18CUDAKernelLauncherENS3_14EmptyVecKernelENS3_8DummyVecELm8EEEvRKNS_6TensorESB_lllENKUlvE0_clEvENKUlvE_clEvEUliE_EEvRNS_18TensorIteratorBaseERKT_EUlibE_EEviT1_.num_vgpr, 10
	.set _ZN2at6native32elementwise_kernel_manual_unrollILi128ELi4EZNS0_15gpu_kernel_implIZZZNS0_12_GLOBAL__N_142_validate_compressed_sparse_indices_kernelILNS3_8CDimNameE1ENS3_18CUDAKernelLauncherENS3_14EmptyVecKernelENS3_8DummyVecELm8EEEvRKNS_6TensorESB_lllENKUlvE0_clEvENKUlvE_clEvEUliE_EEvRNS_18TensorIteratorBaseERKT_EUlibE_EEviT1_.num_agpr, 0
	.set _ZN2at6native32elementwise_kernel_manual_unrollILi128ELi4EZNS0_15gpu_kernel_implIZZZNS0_12_GLOBAL__N_142_validate_compressed_sparse_indices_kernelILNS3_8CDimNameE1ENS3_18CUDAKernelLauncherENS3_14EmptyVecKernelENS3_8DummyVecELm8EEEvRKNS_6TensorESB_lllENKUlvE0_clEvENKUlvE_clEvEUliE_EEvRNS_18TensorIteratorBaseERKT_EUlibE_EEviT1_.numbered_sgpr, 32
	.set _ZN2at6native32elementwise_kernel_manual_unrollILi128ELi4EZNS0_15gpu_kernel_implIZZZNS0_12_GLOBAL__N_142_validate_compressed_sparse_indices_kernelILNS3_8CDimNameE1ENS3_18CUDAKernelLauncherENS3_14EmptyVecKernelENS3_8DummyVecELm8EEEvRKNS_6TensorESB_lllENKUlvE0_clEvENKUlvE_clEvEUliE_EEvRNS_18TensorIteratorBaseERKT_EUlibE_EEviT1_.num_named_barrier, 0
	.set _ZN2at6native32elementwise_kernel_manual_unrollILi128ELi4EZNS0_15gpu_kernel_implIZZZNS0_12_GLOBAL__N_142_validate_compressed_sparse_indices_kernelILNS3_8CDimNameE1ENS3_18CUDAKernelLauncherENS3_14EmptyVecKernelENS3_8DummyVecELm8EEEvRKNS_6TensorESB_lllENKUlvE0_clEvENKUlvE_clEvEUliE_EEvRNS_18TensorIteratorBaseERKT_EUlibE_EEviT1_.private_seg_size, 0
	.set _ZN2at6native32elementwise_kernel_manual_unrollILi128ELi4EZNS0_15gpu_kernel_implIZZZNS0_12_GLOBAL__N_142_validate_compressed_sparse_indices_kernelILNS3_8CDimNameE1ENS3_18CUDAKernelLauncherENS3_14EmptyVecKernelENS3_8DummyVecELm8EEEvRKNS_6TensorESB_lllENKUlvE0_clEvENKUlvE_clEvEUliE_EEvRNS_18TensorIteratorBaseERKT_EUlibE_EEviT1_.uses_vcc, 1
	.set _ZN2at6native32elementwise_kernel_manual_unrollILi128ELi4EZNS0_15gpu_kernel_implIZZZNS0_12_GLOBAL__N_142_validate_compressed_sparse_indices_kernelILNS3_8CDimNameE1ENS3_18CUDAKernelLauncherENS3_14EmptyVecKernelENS3_8DummyVecELm8EEEvRKNS_6TensorESB_lllENKUlvE0_clEvENKUlvE_clEvEUliE_EEvRNS_18TensorIteratorBaseERKT_EUlibE_EEviT1_.uses_flat_scratch, 0
	.set _ZN2at6native32elementwise_kernel_manual_unrollILi128ELi4EZNS0_15gpu_kernel_implIZZZNS0_12_GLOBAL__N_142_validate_compressed_sparse_indices_kernelILNS3_8CDimNameE1ENS3_18CUDAKernelLauncherENS3_14EmptyVecKernelENS3_8DummyVecELm8EEEvRKNS_6TensorESB_lllENKUlvE0_clEvENKUlvE_clEvEUliE_EEvRNS_18TensorIteratorBaseERKT_EUlibE_EEviT1_.has_dyn_sized_stack, 0
	.set _ZN2at6native32elementwise_kernel_manual_unrollILi128ELi4EZNS0_15gpu_kernel_implIZZZNS0_12_GLOBAL__N_142_validate_compressed_sparse_indices_kernelILNS3_8CDimNameE1ENS3_18CUDAKernelLauncherENS3_14EmptyVecKernelENS3_8DummyVecELm8EEEvRKNS_6TensorESB_lllENKUlvE0_clEvENKUlvE_clEvEUliE_EEvRNS_18TensorIteratorBaseERKT_EUlibE_EEviT1_.has_recursion, 0
	.set _ZN2at6native32elementwise_kernel_manual_unrollILi128ELi4EZNS0_15gpu_kernel_implIZZZNS0_12_GLOBAL__N_142_validate_compressed_sparse_indices_kernelILNS3_8CDimNameE1ENS3_18CUDAKernelLauncherENS3_14EmptyVecKernelENS3_8DummyVecELm8EEEvRKNS_6TensorESB_lllENKUlvE0_clEvENKUlvE_clEvEUliE_EEvRNS_18TensorIteratorBaseERKT_EUlibE_EEviT1_.has_indirect_call, 0
	.section	.AMDGPU.csdata,"",@progbits
; Kernel info:
; codeLenInByte = 28000
; TotalNumSgprs: 34
; NumVgprs: 10
; ScratchSize: 0
; MemoryBound: 1
; FloatMode: 240
; IeeeMode: 1
; LDSByteSize: 0 bytes/workgroup (compile time only)
; SGPRBlocks: 0
; VGPRBlocks: 0
; NumSGPRsForWavesPerEU: 34
; NumVGPRsForWavesPerEU: 10
; NamedBarCnt: 0
; Occupancy: 16
; WaveLimiterHint : 0
; COMPUTE_PGM_RSRC2:SCRATCH_EN: 0
; COMPUTE_PGM_RSRC2:USER_SGPR: 2
; COMPUTE_PGM_RSRC2:TRAP_HANDLER: 0
; COMPUTE_PGM_RSRC2:TGID_X_EN: 1
; COMPUTE_PGM_RSRC2:TGID_Y_EN: 0
; COMPUTE_PGM_RSRC2:TGID_Z_EN: 0
; COMPUTE_PGM_RSRC2:TIDIG_COMP_CNT: 0
	.section	.text._ZN2at6native32elementwise_kernel_manual_unrollILi128ELi4EZNS0_15gpu_kernel_implIZZZNS0_12_GLOBAL__N_142_validate_compressed_sparse_indices_kernelILNS3_8CDimNameE1ENS3_18CUDAKernelLauncherENS3_14EmptyVecKernelENS3_8DummyVecELm8EEEvRKNS_6TensorESB_lllENKUlvE0_clEvENKUlvE_clEvEUliE_EEvRNS_18TensorIteratorBaseERKT_EUlibE0_EEviT1_,"axG",@progbits,_ZN2at6native32elementwise_kernel_manual_unrollILi128ELi4EZNS0_15gpu_kernel_implIZZZNS0_12_GLOBAL__N_142_validate_compressed_sparse_indices_kernelILNS3_8CDimNameE1ENS3_18CUDAKernelLauncherENS3_14EmptyVecKernelENS3_8DummyVecELm8EEEvRKNS_6TensorESB_lllENKUlvE0_clEvENKUlvE_clEvEUliE_EEvRNS_18TensorIteratorBaseERKT_EUlibE0_EEviT1_,comdat
	.globl	_ZN2at6native32elementwise_kernel_manual_unrollILi128ELi4EZNS0_15gpu_kernel_implIZZZNS0_12_GLOBAL__N_142_validate_compressed_sparse_indices_kernelILNS3_8CDimNameE1ENS3_18CUDAKernelLauncherENS3_14EmptyVecKernelENS3_8DummyVecELm8EEEvRKNS_6TensorESB_lllENKUlvE0_clEvENKUlvE_clEvEUliE_EEvRNS_18TensorIteratorBaseERKT_EUlibE0_EEviT1_ ; -- Begin function _ZN2at6native32elementwise_kernel_manual_unrollILi128ELi4EZNS0_15gpu_kernel_implIZZZNS0_12_GLOBAL__N_142_validate_compressed_sparse_indices_kernelILNS3_8CDimNameE1ENS3_18CUDAKernelLauncherENS3_14EmptyVecKernelENS3_8DummyVecELm8EEEvRKNS_6TensorESB_lllENKUlvE0_clEvENKUlvE_clEvEUliE_EEvRNS_18TensorIteratorBaseERKT_EUlibE0_EEviT1_
	.p2align	8
	.type	_ZN2at6native32elementwise_kernel_manual_unrollILi128ELi4EZNS0_15gpu_kernel_implIZZZNS0_12_GLOBAL__N_142_validate_compressed_sparse_indices_kernelILNS3_8CDimNameE1ENS3_18CUDAKernelLauncherENS3_14EmptyVecKernelENS3_8DummyVecELm8EEEvRKNS_6TensorESB_lllENKUlvE0_clEvENKUlvE_clEvEUliE_EEvRNS_18TensorIteratorBaseERKT_EUlibE0_EEviT1_,@function
_ZN2at6native32elementwise_kernel_manual_unrollILi128ELi4EZNS0_15gpu_kernel_implIZZZNS0_12_GLOBAL__N_142_validate_compressed_sparse_indices_kernelILNS3_8CDimNameE1ENS3_18CUDAKernelLauncherENS3_14EmptyVecKernelENS3_8DummyVecELm8EEEvRKNS_6TensorESB_lllENKUlvE0_clEvENKUlvE_clEvEUliE_EEvRNS_18TensorIteratorBaseERKT_EUlibE0_EEviT1_: ; @_ZN2at6native32elementwise_kernel_manual_unrollILi128ELi4EZNS0_15gpu_kernel_implIZZZNS0_12_GLOBAL__N_142_validate_compressed_sparse_indices_kernelILNS3_8CDimNameE1ENS3_18CUDAKernelLauncherENS3_14EmptyVecKernelENS3_8DummyVecELm8EEEvRKNS_6TensorESB_lllENKUlvE0_clEvENKUlvE_clEvEUliE_EEvRNS_18TensorIteratorBaseERKT_EUlibE0_EEviT1_
; %bb.0:
	s_clause 0x1
	s_load_b32 s28, s[0:1], 0x8
	s_load_b32 s39, s[0:1], 0x0
	s_bfe_u32 s2, ttmp6, 0x4000c
	s_and_b32 s3, ttmp6, 15
	s_add_co_i32 s2, s2, 1
	s_getreg_b32 s4, hwreg(HW_REG_IB_STS2, 6, 4)
	s_mul_i32 s2, ttmp9, s2
	s_mov_b32 s30, 0
	s_add_co_i32 s3, s3, s2
	s_cmp_eq_u32 s4, 0
	s_mov_b32 s22, -1
	s_cselect_b32 s2, ttmp9, s3
	s_mov_b32 s10, 0
	v_lshl_or_b32 v0, s2, 9, v0
	s_add_nc_u64 s[2:3], s[0:1], 8
	s_wait_xcnt 0x0
	s_mov_b32 s0, exec_lo
	s_delay_alu instid0(VALU_DEP_1) | instskip(SKIP_2) | instid1(SALU_CYCLE_1)
	v_or_b32_e32 v9, 0x180, v0
	s_wait_kmcnt 0x0
	s_add_co_i32 s29, s28, -1
	s_cmp_gt_u32 s29, 1
	s_cselect_b32 s31, -1, 0
	v_cmpx_le_i32_e64 s39, v9
	s_xor_b32 s33, exec_lo, s0
	s_cbranch_execz .LBB71_959
; %bb.1:
	s_clause 0x6
	s_load_b128 s[8:11], s[2:3], 0x4
	s_load_b32 s34, s[2:3], 0x168
	s_load_b64 s[0:1], s[2:3], 0x14
	s_load_b32 s35, s[2:3], 0x158
	s_load_b32 s36, s[2:3], 0x160
	s_load_b128 s[12:15], s[2:3], 0xc4
	s_load_b128 s[4:7], s[2:3], 0x148
	s_cmp_lg_u32 s28, 0
	s_get_pc_i64 s[24:25]
	s_add_nc_u64 s[24:25], s[24:25], .str.5@rel64+4
	s_cselect_b32 s41, -1, 0
	s_min_u32 s40, s29, 15
	s_cmp_gt_u32 s28, 1
	s_mov_b32 s17, 0
	s_cselect_b32 s38, -1, 0
	s_add_nc_u64 s[20:21], s[2:3], 0xc4
	s_mov_b32 s19, s17
	s_mov_b32 s44, s17
	;; [unrolled: 1-line block ×4, first 2 shown]
	s_mov_b32 s45, exec_lo
	s_wait_kmcnt 0x0
	s_mov_b32 s16, s9
	s_bfe_u32 s37, s34, 0x80008
	s_cmp_lg_u64 s[24:25], 0
	s_mov_b32 s18, s0
	s_cselect_b32 s9, -1, 0
	v_cmpx_gt_i32_e64 s39, v0
	s_cbranch_execz .LBB71_236
; %bb.2:
	s_and_not1_b32 vcc_lo, exec_lo, s31
	s_cbranch_vccnz .LBB71_8
; %bb.3:
	s_and_not1_b32 vcc_lo, exec_lo, s41
	s_cbranch_vccnz .LBB71_9
; %bb.4:
	s_add_co_i32 s0, s40, 1
	s_cmp_eq_u32 s29, 2
	s_cbranch_scc1 .LBB71_10
; %bb.5:
	v_dual_mov_b32 v2, 0 :: v_dual_mov_b32 v4, 0
	v_mov_b32_e32 v1, v0
	s_and_b32 s22, s0, 28
	s_mov_b32 s23, 0
	s_mov_b64 s[24:25], s[2:3]
	s_mov_b64 s[26:27], s[20:21]
.LBB71_6:                               ; =>This Inner Loop Header: Depth=1
	s_clause 0x1
	s_load_b256 s[48:55], s[24:25], 0x4
	s_load_b128 s[64:67], s[24:25], 0x24
	s_load_b256 s[56:63], s[26:27], 0x0
	s_add_co_i32 s23, s23, 4
	s_wait_xcnt 0x0
	s_add_nc_u64 s[24:25], s[24:25], 48
	s_cmp_lg_u32 s22, s23
	s_add_nc_u64 s[26:27], s[26:27], 32
	s_wait_kmcnt 0x0
	v_mul_hi_u32 v3, s49, v1
	s_delay_alu instid0(VALU_DEP_1) | instskip(NEXT) | instid1(VALU_DEP_1)
	v_add_nc_u32_e32 v3, v1, v3
	v_lshrrev_b32_e32 v3, s50, v3
	s_delay_alu instid0(VALU_DEP_1) | instskip(NEXT) | instid1(VALU_DEP_1)
	v_mul_hi_u32 v5, s52, v3
	v_add_nc_u32_e32 v5, v3, v5
	s_delay_alu instid0(VALU_DEP_1) | instskip(NEXT) | instid1(VALU_DEP_1)
	v_lshrrev_b32_e32 v5, s53, v5
	v_mul_hi_u32 v6, s55, v5
	s_delay_alu instid0(VALU_DEP_1) | instskip(SKIP_1) | instid1(VALU_DEP_1)
	v_add_nc_u32_e32 v6, v5, v6
	v_mul_lo_u32 v7, v3, s48
	v_sub_nc_u32_e32 v1, v1, v7
	v_mul_lo_u32 v7, v5, s51
	s_delay_alu instid0(VALU_DEP_4) | instskip(NEXT) | instid1(VALU_DEP_3)
	v_lshrrev_b32_e32 v6, s64, v6
	v_mad_u32 v4, v1, s57, v4
	v_mad_u32 v1, v1, s56, v2
	s_delay_alu instid0(VALU_DEP_4) | instskip(NEXT) | instid1(VALU_DEP_4)
	v_sub_nc_u32_e32 v2, v3, v7
	v_mul_hi_u32 v8, s66, v6
	v_mul_lo_u32 v3, v6, s54
	s_delay_alu instid0(VALU_DEP_3) | instskip(SKIP_1) | instid1(VALU_DEP_3)
	v_mad_u32 v4, v2, s59, v4
	v_mad_u32 v2, v2, s58, v1
	v_dual_add_nc_u32 v7, v6, v8 :: v_dual_sub_nc_u32 v3, v5, v3
	s_delay_alu instid0(VALU_DEP_1) | instskip(NEXT) | instid1(VALU_DEP_2)
	v_lshrrev_b32_e32 v1, s67, v7
	v_mad_u32 v4, v3, s61, v4
	s_delay_alu instid0(VALU_DEP_4) | instskip(NEXT) | instid1(VALU_DEP_3)
	v_mad_u32 v2, v3, s60, v2
	v_mul_lo_u32 v5, v1, s65
	s_delay_alu instid0(VALU_DEP_1) | instskip(NEXT) | instid1(VALU_DEP_1)
	v_sub_nc_u32_e32 v3, v6, v5
	v_mad_u32 v4, v3, s63, v4
	s_delay_alu instid0(VALU_DEP_4)
	v_mad_u32 v2, v3, s62, v2
	s_cbranch_scc1 .LBB71_6
; %bb.7:
	s_delay_alu instid0(VALU_DEP_2)
	v_mov_b32_e32 v3, v4
	s_and_b32 s0, s0, 3
	s_mov_b32 s23, 0
	s_cmp_eq_u32 s0, 0
	s_cbranch_scc0 .LBB71_11
	s_branch .LBB71_14
.LBB71_8:
                                        ; implicit-def: $vgpr4
                                        ; implicit-def: $vgpr2
	s_branch .LBB71_15
.LBB71_9:
	v_dual_mov_b32 v4, 0 :: v_dual_mov_b32 v2, 0
	s_branch .LBB71_14
.LBB71_10:
	v_mov_b64_e32 v[2:3], 0
	v_mov_b32_e32 v1, v0
	s_mov_b32 s22, 0
                                        ; implicit-def: $vgpr4
	s_and_b32 s0, s0, 3
	s_mov_b32 s23, 0
	s_cmp_eq_u32 s0, 0
	s_cbranch_scc1 .LBB71_14
.LBB71_11:
	s_lshl_b32 s24, s22, 3
	s_mov_b32 s25, s23
	s_mul_u64 s[26:27], s[22:23], 12
	s_add_nc_u64 s[24:25], s[2:3], s[24:25]
	s_delay_alu instid0(SALU_CYCLE_1)
	s_add_nc_u64 s[22:23], s[24:25], 0xc4
	s_add_nc_u64 s[24:25], s[2:3], s[26:27]
.LBB71_12:                              ; =>This Inner Loop Header: Depth=1
	s_load_b96 s[48:50], s[24:25], 0x4
	s_load_b64 s[26:27], s[22:23], 0x0
	s_add_co_i32 s0, s0, -1
	s_wait_xcnt 0x0
	s_add_nc_u64 s[24:25], s[24:25], 12
	s_cmp_lg_u32 s0, 0
	s_add_nc_u64 s[22:23], s[22:23], 8
	s_wait_kmcnt 0x0
	v_mul_hi_u32 v4, s49, v1
	s_delay_alu instid0(VALU_DEP_1) | instskip(NEXT) | instid1(VALU_DEP_1)
	v_add_nc_u32_e32 v4, v1, v4
	v_lshrrev_b32_e32 v4, s50, v4
	s_delay_alu instid0(VALU_DEP_1) | instskip(NEXT) | instid1(VALU_DEP_1)
	v_mul_lo_u32 v5, v4, s48
	v_sub_nc_u32_e32 v1, v1, v5
	s_delay_alu instid0(VALU_DEP_1)
	v_mad_u32 v3, v1, s27, v3
	v_mad_u32 v2, v1, s26, v2
	v_mov_b32_e32 v1, v4
	s_cbranch_scc1 .LBB71_12
; %bb.13:
	s_delay_alu instid0(VALU_DEP_3)
	v_mov_b32_e32 v4, v3
.LBB71_14:
	s_cbranch_execnz .LBB71_17
.LBB71_15:
	v_mov_b32_e32 v1, 0
	s_and_not1_b32 vcc_lo, exec_lo, s38
	s_delay_alu instid0(VALU_DEP_1) | instskip(NEXT) | instid1(VALU_DEP_1)
	v_mul_u64_e32 v[2:3], s[16:17], v[0:1]
	v_add_nc_u32_e32 v2, v0, v3
	s_delay_alu instid0(VALU_DEP_1) | instskip(NEXT) | instid1(VALU_DEP_1)
	v_lshrrev_b32_e32 v6, s10, v2
	v_mul_lo_u32 v2, v6, s8
	s_delay_alu instid0(VALU_DEP_1) | instskip(NEXT) | instid1(VALU_DEP_1)
	v_sub_nc_u32_e32 v2, v0, v2
	v_mul_lo_u32 v4, v2, s13
	v_mul_lo_u32 v2, v2, s12
	s_cbranch_vccnz .LBB71_17
; %bb.16:
	v_mov_b32_e32 v7, v1
	s_delay_alu instid0(VALU_DEP_1) | instskip(NEXT) | instid1(VALU_DEP_1)
	v_mul_u64_e32 v[8:9], s[18:19], v[6:7]
	v_add_nc_u32_e32 v1, v6, v9
	s_delay_alu instid0(VALU_DEP_1) | instskip(NEXT) | instid1(VALU_DEP_1)
	v_lshrrev_b32_e32 v1, s1, v1
	v_mul_lo_u32 v1, v1, s11
	s_delay_alu instid0(VALU_DEP_1) | instskip(NEXT) | instid1(VALU_DEP_1)
	v_sub_nc_u32_e32 v1, v6, v1
	v_mad_u32 v2, v1, s14, v2
	v_mad_u32 v4, v1, s15, v4
.LBB71_17:
	v_mov_b32_e32 v5, 0
	s_and_b32 s0, 0xffff, s37
	s_delay_alu instid0(SALU_CYCLE_1) | instskip(NEXT) | instid1(VALU_DEP_1)
	s_cmp_lt_i32 s0, 11
	v_add_nc_u64_e32 v[4:5], s[6:7], v[4:5]
	s_cbranch_scc1 .LBB71_24
; %bb.18:
	s_cmp_gt_i32 s0, 25
	s_cbranch_scc0 .LBB71_34
; %bb.19:
	s_cmp_gt_i32 s0, 28
	s_cbranch_scc0 .LBB71_38
	;; [unrolled: 3-line block ×4, first 2 shown]
; %bb.22:
	s_cmp_eq_u32 s0, 46
	s_mov_b32 s24, 0
	s_cbranch_scc0 .LBB71_44
; %bb.23:
	global_load_b32 v1, v[4:5], off
	s_mov_b32 s23, -1
	s_mov_b32 s22, 0
	s_wait_loadcnt 0x0
	v_lshlrev_b32_e32 v1, 16, v1
	s_delay_alu instid0(VALU_DEP_1)
	v_cvt_i32_f32_e32 v1, v1
	s_branch .LBB71_46
.LBB71_24:
	s_mov_b32 s22, 0
	s_mov_b32 s23, 0
                                        ; implicit-def: $vgpr1
	s_cbranch_execnz .LBB71_106
.LBB71_25:
	s_and_not1_b32 vcc_lo, exec_lo, s23
	s_cbranch_vccnz .LBB71_153
.LBB71_26:
	s_wait_loadcnt 0x0
	s_delay_alu instid0(VALU_DEP_1)
	v_cmp_le_i32_e32 vcc_lo, s35, v1
	v_cmp_gt_i32_e64 s0, s36, v1
	s_mov_b32 s24, -1
	s_mov_b32 s23, 0
	s_mov_b32 s25, 0
	s_and_b32 s0, vcc_lo, s0
	s_delay_alu instid0(SALU_CYCLE_1) | instskip(NEXT) | instid1(SALU_CYCLE_1)
	s_and_b32 s26, s9, s0
	s_and_saveexec_b32 s0, s26
	s_cbranch_execz .LBB71_234
; %bb.27:
	v_mov_b32_e32 v3, 0
	s_and_b32 s24, s34, 0xff
	s_delay_alu instid0(SALU_CYCLE_1) | instskip(NEXT) | instid1(VALU_DEP_1)
	s_cmp_lt_i32 s24, 11
	v_add_nc_u64_e32 v[2:3], s[4:5], v[2:3]
	s_cbranch_scc1 .LBB71_35
; %bb.28:
	s_and_b32 s25, 0xffff, s24
	s_delay_alu instid0(SALU_CYCLE_1)
	s_cmp_gt_i32 s25, 25
	s_cbranch_scc0 .LBB71_39
; %bb.29:
	s_cmp_gt_i32 s25, 28
	s_cbranch_scc0 .LBB71_41
; %bb.30:
	;; [unrolled: 3-line block ×4, first 2 shown]
	s_mov_b32 s27, 0
	s_mov_b32 s23, -1
	s_cmp_eq_u32 s25, 46
	s_mov_b32 s26, 0
	s_cbranch_scc0 .LBB71_155
; %bb.33:
	v_mov_b32_e32 v1, 0
	s_mov_b32 s26, -1
	s_mov_b32 s23, 0
	global_store_b32 v[2:3], v1, off
	s_branch .LBB71_155
.LBB71_34:
	s_mov_b32 s22, 0
	s_mov_b32 s23, 0
                                        ; implicit-def: $vgpr1
	s_cbranch_execnz .LBB71_73
	s_branch .LBB71_105
.LBB71_35:
	s_mov_b32 s26, 0
	s_cbranch_execnz .LBB71_194
.LBB71_36:
	s_and_not1_b32 vcc_lo, exec_lo, s26
	s_cbranch_vccnz .LBB71_232
.LBB71_37:
	v_add_nc_u32_e32 v0, 0x80, v0
	s_mov_b32 s26, -1
	s_branch .LBB71_233
.LBB71_38:
	s_mov_b32 s24, -1
	s_mov_b32 s22, 0
	s_mov_b32 s23, 0
                                        ; implicit-def: $vgpr1
	s_branch .LBB71_56
.LBB71_39:
	s_mov_b32 s27, -1
	s_mov_b32 s26, 0
	s_branch .LBB71_174
.LBB71_40:
	s_mov_b32 s24, -1
	s_mov_b32 s22, 0
	s_mov_b32 s23, 0
                                        ; implicit-def: $vgpr1
	s_branch .LBB71_51
.LBB71_41:
	s_mov_b32 s27, -1
	s_mov_b32 s26, 0
	s_branch .LBB71_163
.LBB71_42:
	s_mov_b32 s24, -1
	s_mov_b32 s22, 0
	s_branch .LBB71_45
.LBB71_43:
	s_mov_b32 s27, -1
	s_mov_b32 s26, 0
	s_branch .LBB71_159
.LBB71_44:
	s_mov_b32 s22, -1
.LBB71_45:
	s_mov_b32 s23, 0
                                        ; implicit-def: $vgpr1
.LBB71_46:
	s_and_b32 vcc_lo, exec_lo, s24
	s_cbranch_vccz .LBB71_50
; %bb.47:
	s_cmp_eq_u32 s0, 44
	s_cbranch_scc0 .LBB71_49
; %bb.48:
	global_load_u8 v1, v[4:5], off
	s_mov_b32 s22, 0
	s_mov_b32 s23, -1
	s_wait_loadcnt 0x0
	v_lshlrev_b32_e32 v3, 23, v1
	v_cmp_ne_u32_e32 vcc_lo, 0, v1
	s_delay_alu instid0(VALU_DEP_2) | instskip(NEXT) | instid1(VALU_DEP_1)
	v_cvt_i32_f32_e32 v3, v3
	v_cndmask_b32_e32 v1, 0, v3, vcc_lo
	s_branch .LBB71_50
.LBB71_49:
	s_mov_b32 s22, -1
                                        ; implicit-def: $vgpr1
.LBB71_50:
	s_mov_b32 s24, 0
.LBB71_51:
	s_delay_alu instid0(SALU_CYCLE_1)
	s_and_b32 vcc_lo, exec_lo, s24
	s_cbranch_vccz .LBB71_55
; %bb.52:
	s_cmp_eq_u32 s0, 29
	s_cbranch_scc0 .LBB71_54
; %bb.53:
	global_load_b32 v1, v[4:5], off
	s_mov_b32 s23, -1
	s_mov_b32 s22, 0
	s_branch .LBB71_55
.LBB71_54:
	s_mov_b32 s22, -1
                                        ; implicit-def: $vgpr1
.LBB71_55:
	s_mov_b32 s24, 0
.LBB71_56:
	s_delay_alu instid0(SALU_CYCLE_1)
	s_and_b32 vcc_lo, exec_lo, s24
	s_cbranch_vccz .LBB71_72
; %bb.57:
	s_cmp_lt_i32 s0, 27
	s_cbranch_scc1 .LBB71_60
; %bb.58:
	s_cmp_gt_i32 s0, 27
	s_cbranch_scc0 .LBB71_61
; %bb.59:
	s_wait_loadcnt 0x0
	global_load_b32 v1, v[4:5], off
	s_mov_b32 s23, 0
	s_branch .LBB71_62
.LBB71_60:
	s_mov_b32 s23, -1
                                        ; implicit-def: $vgpr1
	s_branch .LBB71_65
.LBB71_61:
	s_mov_b32 s23, -1
                                        ; implicit-def: $vgpr1
.LBB71_62:
	s_delay_alu instid0(SALU_CYCLE_1)
	s_and_not1_b32 vcc_lo, exec_lo, s23
	s_cbranch_vccnz .LBB71_64
; %bb.63:
	s_wait_loadcnt 0x0
	global_load_u16 v1, v[4:5], off
.LBB71_64:
	s_mov_b32 s23, 0
.LBB71_65:
	s_delay_alu instid0(SALU_CYCLE_1)
	s_and_not1_b32 vcc_lo, exec_lo, s23
	s_cbranch_vccnz .LBB71_71
; %bb.66:
	global_load_u8 v3, v[4:5], off
	s_mov_b32 s24, 0
	s_mov_b32 s23, exec_lo
	s_wait_loadcnt 0x0
	v_cmpx_lt_i16_e32 0x7f, v3
	s_xor_b32 s23, exec_lo, s23
	s_cbranch_execz .LBB71_82
; %bb.67:
	v_cmp_ne_u16_e32 vcc_lo, 0x80, v3
	s_and_b32 s24, vcc_lo, exec_lo
	s_and_not1_saveexec_b32 s23, s23
	s_cbranch_execnz .LBB71_83
.LBB71_68:
	s_or_b32 exec_lo, exec_lo, s23
	v_mov_b32_e32 v1, 0
	s_and_saveexec_b32 s23, s24
	s_cbranch_execz .LBB71_70
.LBB71_69:
	v_and_b32_e32 v1, 0xffff, v3
	s_delay_alu instid0(VALU_DEP_1) | instskip(SKIP_1) | instid1(VALU_DEP_2)
	v_and_b32_e32 v6, 7, v1
	v_bfe_u32 v9, v1, 3, 4
	v_clz_i32_u32_e32 v7, v6
	s_delay_alu instid0(VALU_DEP_2) | instskip(NEXT) | instid1(VALU_DEP_2)
	v_cmp_eq_u32_e32 vcc_lo, 0, v9
	v_min_u32_e32 v7, 32, v7
	s_delay_alu instid0(VALU_DEP_1) | instskip(NEXT) | instid1(VALU_DEP_1)
	v_subrev_nc_u32_e32 v8, 28, v7
	v_dual_lshlrev_b32 v1, v8, v1 :: v_dual_sub_nc_u32 v7, 29, v7
	s_delay_alu instid0(VALU_DEP_1) | instskip(NEXT) | instid1(VALU_DEP_1)
	v_dual_lshlrev_b32 v3, 24, v3 :: v_dual_bitop2_b32 v1, 7, v1 bitop3:0x40
	v_dual_cndmask_b32 v1, v6, v1, vcc_lo :: v_dual_cndmask_b32 v7, v9, v7, vcc_lo
	s_delay_alu instid0(VALU_DEP_2) | instskip(NEXT) | instid1(VALU_DEP_2)
	v_and_b32_e32 v3, 0x80000000, v3
	v_lshlrev_b32_e32 v1, 20, v1
	s_delay_alu instid0(VALU_DEP_3) | instskip(NEXT) | instid1(VALU_DEP_1)
	v_lshl_add_u32 v6, v7, 23, 0x3b800000
	v_or3_b32 v1, v3, v6, v1
	s_delay_alu instid0(VALU_DEP_1)
	v_cvt_i32_f32_e32 v1, v1
.LBB71_70:
	s_or_b32 exec_lo, exec_lo, s23
.LBB71_71:
	s_mov_b32 s23, -1
.LBB71_72:
	s_branch .LBB71_105
.LBB71_73:
	s_cmp_gt_i32 s0, 22
	s_cbranch_scc0 .LBB71_81
; %bb.74:
	s_cmp_lt_i32 s0, 24
	s_cbranch_scc1 .LBB71_84
; %bb.75:
	s_cmp_gt_i32 s0, 24
	s_cbranch_scc0 .LBB71_85
; %bb.76:
	global_load_u8 v3, v[4:5], off
	s_mov_b32 s24, 0
	s_mov_b32 s23, exec_lo
	s_wait_loadcnt 0x0
	v_cmpx_lt_i16_e32 0x7f, v3
	s_xor_b32 s23, exec_lo, s23
	s_cbranch_execz .LBB71_97
; %bb.77:
	v_cmp_ne_u16_e32 vcc_lo, 0x80, v3
	s_and_b32 s24, vcc_lo, exec_lo
	s_and_not1_saveexec_b32 s23, s23
	s_cbranch_execnz .LBB71_98
.LBB71_78:
	s_or_b32 exec_lo, exec_lo, s23
	v_mov_b32_e32 v1, 0
	s_and_saveexec_b32 s23, s24
	s_cbranch_execz .LBB71_80
.LBB71_79:
	v_and_b32_e32 v1, 0xffff, v3
	s_delay_alu instid0(VALU_DEP_1) | instskip(SKIP_1) | instid1(VALU_DEP_2)
	v_and_b32_e32 v6, 3, v1
	v_bfe_u32 v9, v1, 2, 5
	v_clz_i32_u32_e32 v7, v6
	s_delay_alu instid0(VALU_DEP_2) | instskip(NEXT) | instid1(VALU_DEP_2)
	v_cmp_eq_u32_e32 vcc_lo, 0, v9
	v_min_u32_e32 v7, 32, v7
	s_delay_alu instid0(VALU_DEP_1) | instskip(NEXT) | instid1(VALU_DEP_1)
	v_subrev_nc_u32_e32 v8, 29, v7
	v_dual_lshlrev_b32 v1, v8, v1 :: v_dual_sub_nc_u32 v7, 30, v7
	s_delay_alu instid0(VALU_DEP_1) | instskip(NEXT) | instid1(VALU_DEP_1)
	v_dual_lshlrev_b32 v3, 24, v3 :: v_dual_bitop2_b32 v1, 3, v1 bitop3:0x40
	v_dual_cndmask_b32 v1, v6, v1, vcc_lo :: v_dual_cndmask_b32 v7, v9, v7, vcc_lo
	s_delay_alu instid0(VALU_DEP_2) | instskip(NEXT) | instid1(VALU_DEP_2)
	v_and_b32_e32 v3, 0x80000000, v3
	v_lshlrev_b32_e32 v1, 21, v1
	s_delay_alu instid0(VALU_DEP_3) | instskip(NEXT) | instid1(VALU_DEP_1)
	v_lshl_add_u32 v6, v7, 23, 0x37800000
	v_or3_b32 v1, v3, v6, v1
	s_delay_alu instid0(VALU_DEP_1)
	v_cvt_i32_f32_e32 v1, v1
.LBB71_80:
	s_or_b32 exec_lo, exec_lo, s23
	s_mov_b32 s23, 0
	s_branch .LBB71_86
.LBB71_81:
	s_mov_b32 s24, -1
                                        ; implicit-def: $vgpr1
	s_branch .LBB71_92
.LBB71_82:
	s_and_not1_saveexec_b32 s23, s23
	s_cbranch_execz .LBB71_68
.LBB71_83:
	v_cmp_ne_u16_e32 vcc_lo, 0, v3
	s_and_not1_b32 s24, s24, exec_lo
	s_and_b32 s25, vcc_lo, exec_lo
	s_delay_alu instid0(SALU_CYCLE_1)
	s_or_b32 s24, s24, s25
	s_or_b32 exec_lo, exec_lo, s23
	v_mov_b32_e32 v1, 0
	s_and_saveexec_b32 s23, s24
	s_cbranch_execnz .LBB71_69
	s_branch .LBB71_70
.LBB71_84:
	s_mov_b32 s23, -1
                                        ; implicit-def: $vgpr1
	s_branch .LBB71_89
.LBB71_85:
	s_mov_b32 s23, -1
                                        ; implicit-def: $vgpr1
.LBB71_86:
	s_delay_alu instid0(SALU_CYCLE_1)
	s_and_b32 vcc_lo, exec_lo, s23
	s_cbranch_vccz .LBB71_88
; %bb.87:
	s_wait_loadcnt 0x0
	global_load_u8 v1, v[4:5], off
	s_wait_loadcnt 0x0
	v_lshlrev_b32_e32 v1, 24, v1
	s_delay_alu instid0(VALU_DEP_1) | instskip(NEXT) | instid1(VALU_DEP_1)
	v_and_b32_e32 v3, 0x7f000000, v1
	v_clz_i32_u32_e32 v6, v3
	v_cmp_ne_u32_e32 vcc_lo, 0, v3
	v_add_nc_u32_e32 v8, 0x1000000, v3
	s_delay_alu instid0(VALU_DEP_3) | instskip(NEXT) | instid1(VALU_DEP_1)
	v_min_u32_e32 v6, 32, v6
	v_sub_nc_u32_e64 v6, v6, 4 clamp
	s_delay_alu instid0(VALU_DEP_1) | instskip(NEXT) | instid1(VALU_DEP_1)
	v_dual_lshlrev_b32 v7, v6, v3 :: v_dual_lshlrev_b32 v6, 23, v6
	v_lshrrev_b32_e32 v7, 4, v7
	s_delay_alu instid0(VALU_DEP_1) | instskip(NEXT) | instid1(VALU_DEP_1)
	v_dual_sub_nc_u32 v6, v7, v6 :: v_dual_ashrrev_i32 v7, 8, v8
	v_add_nc_u32_e32 v6, 0x3c000000, v6
	s_delay_alu instid0(VALU_DEP_1) | instskip(NEXT) | instid1(VALU_DEP_1)
	v_and_or_b32 v6, 0x7f800000, v7, v6
	v_cndmask_b32_e32 v3, 0, v6, vcc_lo
	s_delay_alu instid0(VALU_DEP_1) | instskip(NEXT) | instid1(VALU_DEP_1)
	v_and_or_b32 v1, 0x80000000, v1, v3
	v_cvt_i32_f32_e32 v1, v1
.LBB71_88:
	s_mov_b32 s23, 0
.LBB71_89:
	s_delay_alu instid0(SALU_CYCLE_1)
	s_and_not1_b32 vcc_lo, exec_lo, s23
	s_cbranch_vccnz .LBB71_91
; %bb.90:
	s_wait_loadcnt 0x0
	global_load_u8 v1, v[4:5], off
	s_wait_loadcnt 0x0
	v_lshlrev_b32_e32 v3, 25, v1
	v_lshlrev_b16 v1, 8, v1
	s_delay_alu instid0(VALU_DEP_1) | instskip(SKIP_1) | instid1(VALU_DEP_2)
	v_and_or_b32 v7, 0x7f00, v1, 0.5
	v_bfe_i32 v1, v1, 0, 16
	v_add_f32_e32 v7, -0.5, v7
	v_lshrrev_b32_e32 v6, 4, v3
	v_cmp_gt_u32_e32 vcc_lo, 0x8000000, v3
	s_delay_alu instid0(VALU_DEP_2) | instskip(NEXT) | instid1(VALU_DEP_1)
	v_or_b32_e32 v6, 0x70000000, v6
	v_mul_f32_e32 v6, 0x7800000, v6
	s_delay_alu instid0(VALU_DEP_1) | instskip(NEXT) | instid1(VALU_DEP_1)
	v_cndmask_b32_e32 v3, v6, v7, vcc_lo
	v_and_or_b32 v1, 0x80000000, v1, v3
	s_delay_alu instid0(VALU_DEP_1)
	v_cvt_i32_f32_e32 v1, v1
.LBB71_91:
	s_mov_b32 s24, 0
	s_mov_b32 s23, -1
.LBB71_92:
	s_and_not1_b32 vcc_lo, exec_lo, s24
	s_cbranch_vccnz .LBB71_105
; %bb.93:
	s_cmp_gt_i32 s0, 14
	s_cbranch_scc0 .LBB71_96
; %bb.94:
	s_cmp_eq_u32 s0, 15
	s_cbranch_scc0 .LBB71_99
; %bb.95:
	s_wait_loadcnt 0x0
	global_load_u16 v1, v[4:5], off
	s_mov_b32 s23, -1
	s_mov_b32 s22, 0
	s_wait_loadcnt 0x0
	v_lshlrev_b32_e32 v1, 16, v1
	s_delay_alu instid0(VALU_DEP_1)
	v_cvt_i32_f32_e32 v1, v1
	s_branch .LBB71_100
.LBB71_96:
	s_mov_b32 s24, -1
                                        ; implicit-def: $vgpr1
	s_branch .LBB71_101
.LBB71_97:
	s_and_not1_saveexec_b32 s23, s23
	s_cbranch_execz .LBB71_78
.LBB71_98:
	v_cmp_ne_u16_e32 vcc_lo, 0, v3
	s_and_not1_b32 s24, s24, exec_lo
	s_and_b32 s25, vcc_lo, exec_lo
	s_delay_alu instid0(SALU_CYCLE_1)
	s_or_b32 s24, s24, s25
	s_or_b32 exec_lo, exec_lo, s23
	v_mov_b32_e32 v1, 0
	s_and_saveexec_b32 s23, s24
	s_cbranch_execnz .LBB71_79
	s_branch .LBB71_80
.LBB71_99:
	s_mov_b32 s22, -1
                                        ; implicit-def: $vgpr1
.LBB71_100:
	s_mov_b32 s24, 0
.LBB71_101:
	s_delay_alu instid0(SALU_CYCLE_1)
	s_and_b32 vcc_lo, exec_lo, s24
	s_cbranch_vccz .LBB71_105
; %bb.102:
	s_cmp_eq_u32 s0, 11
	s_cbranch_scc0 .LBB71_104
; %bb.103:
	s_wait_loadcnt 0x0
	global_load_u8 v1, v[4:5], off
	s_mov_b32 s22, 0
	s_mov_b32 s23, -1
	s_wait_loadcnt 0x0
	v_cmp_ne_u16_e32 vcc_lo, 0, v1
	v_cndmask_b32_e64 v1, 0, 1, vcc_lo
	s_branch .LBB71_105
.LBB71_104:
	s_mov_b32 s22, -1
                                        ; implicit-def: $vgpr1
.LBB71_105:
	s_branch .LBB71_25
.LBB71_106:
	s_cmp_lt_i32 s0, 5
	s_cbranch_scc1 .LBB71_111
; %bb.107:
	s_cmp_lt_i32 s0, 8
	s_cbranch_scc1 .LBB71_112
; %bb.108:
	s_cmp_lt_i32 s0, 9
	s_cbranch_scc1 .LBB71_113
; %bb.109:
	s_cmp_gt_i32 s0, 9
	s_cbranch_scc0 .LBB71_114
; %bb.110:
	global_load_b64 v[6:7], v[4:5], off
	s_mov_b32 s23, 0
	s_wait_loadcnt 0x0
	v_cvt_i32_f64_e32 v1, v[6:7]
	s_branch .LBB71_115
.LBB71_111:
                                        ; implicit-def: $vgpr1
	s_branch .LBB71_133
.LBB71_112:
	s_mov_b32 s23, -1
                                        ; implicit-def: $vgpr1
	s_branch .LBB71_121
.LBB71_113:
	s_mov_b32 s23, -1
                                        ; implicit-def: $vgpr1
	s_branch .LBB71_118
.LBB71_114:
	s_mov_b32 s23, -1
                                        ; implicit-def: $vgpr1
.LBB71_115:
	s_delay_alu instid0(SALU_CYCLE_1)
	s_and_not1_b32 vcc_lo, exec_lo, s23
	s_cbranch_vccnz .LBB71_117
; %bb.116:
	s_wait_loadcnt 0x0
	global_load_b32 v1, v[4:5], off
	s_wait_loadcnt 0x0
	v_cvt_i32_f32_e32 v1, v1
.LBB71_117:
	s_mov_b32 s23, 0
.LBB71_118:
	s_delay_alu instid0(SALU_CYCLE_1)
	s_and_not1_b32 vcc_lo, exec_lo, s23
	s_cbranch_vccnz .LBB71_120
; %bb.119:
	s_wait_loadcnt 0x0
	global_load_b32 v1, v[4:5], off
	s_wait_loadcnt 0x0
	v_cvt_f32_f16_e32 v1, v1
	s_delay_alu instid0(VALU_DEP_1)
	v_cvt_i32_f32_e32 v1, v1
.LBB71_120:
	s_mov_b32 s23, 0
.LBB71_121:
	s_delay_alu instid0(SALU_CYCLE_1)
	s_and_not1_b32 vcc_lo, exec_lo, s23
	s_cbranch_vccnz .LBB71_132
; %bb.122:
	s_cmp_lt_i32 s0, 6
	s_cbranch_scc1 .LBB71_125
; %bb.123:
	s_cmp_gt_i32 s0, 6
	s_cbranch_scc0 .LBB71_126
; %bb.124:
	global_load_b64 v[6:7], v[4:5], off
	s_mov_b32 s23, 0
	s_wait_loadcnt 0x0
	v_cvt_i32_f64_e32 v1, v[6:7]
	s_branch .LBB71_127
.LBB71_125:
	s_mov_b32 s23, -1
                                        ; implicit-def: $vgpr1
	s_branch .LBB71_130
.LBB71_126:
	s_mov_b32 s23, -1
                                        ; implicit-def: $vgpr1
.LBB71_127:
	s_delay_alu instid0(SALU_CYCLE_1)
	s_and_not1_b32 vcc_lo, exec_lo, s23
	s_cbranch_vccnz .LBB71_129
; %bb.128:
	s_wait_loadcnt 0x0
	global_load_b32 v1, v[4:5], off
	s_wait_loadcnt 0x0
	v_cvt_i32_f32_e32 v1, v1
.LBB71_129:
	s_mov_b32 s23, 0
.LBB71_130:
	s_delay_alu instid0(SALU_CYCLE_1)
	s_and_not1_b32 vcc_lo, exec_lo, s23
	s_cbranch_vccnz .LBB71_132
; %bb.131:
	s_wait_loadcnt 0x0
	global_load_u16 v1, v[4:5], off
	s_wait_loadcnt 0x0
	v_cvt_f32_f16_e32 v1, v1
	s_delay_alu instid0(VALU_DEP_1)
	v_cvt_i32_f32_e32 v1, v1
.LBB71_132:
	s_cbranch_execnz .LBB71_152
.LBB71_133:
	s_cmp_lt_i32 s0, 2
	s_cbranch_scc1 .LBB71_137
; %bb.134:
	s_cmp_lt_i32 s0, 3
	s_cbranch_scc1 .LBB71_138
; %bb.135:
	s_cmp_gt_i32 s0, 3
	s_cbranch_scc0 .LBB71_139
; %bb.136:
	s_wait_loadcnt 0x0
	global_load_b32 v1, v[4:5], off
	s_mov_b32 s23, 0
	s_branch .LBB71_140
.LBB71_137:
	s_mov_b32 s23, -1
                                        ; implicit-def: $vgpr1
	s_branch .LBB71_146
.LBB71_138:
	s_mov_b32 s23, -1
                                        ; implicit-def: $vgpr1
	s_branch .LBB71_143
.LBB71_139:
	s_mov_b32 s23, -1
                                        ; implicit-def: $vgpr1
.LBB71_140:
	s_delay_alu instid0(SALU_CYCLE_1)
	s_and_not1_b32 vcc_lo, exec_lo, s23
	s_cbranch_vccnz .LBB71_142
; %bb.141:
	s_wait_loadcnt 0x0
	global_load_b32 v1, v[4:5], off
.LBB71_142:
	s_mov_b32 s23, 0
.LBB71_143:
	s_delay_alu instid0(SALU_CYCLE_1)
	s_and_not1_b32 vcc_lo, exec_lo, s23
	s_cbranch_vccnz .LBB71_145
; %bb.144:
	s_wait_loadcnt 0x0
	global_load_i16 v1, v[4:5], off
.LBB71_145:
	s_mov_b32 s23, 0
.LBB71_146:
	s_delay_alu instid0(SALU_CYCLE_1)
	s_and_not1_b32 vcc_lo, exec_lo, s23
	s_cbranch_vccnz .LBB71_152
; %bb.147:
	s_cmp_gt_i32 s0, 0
	s_mov_b32 s0, 0
	s_cbranch_scc0 .LBB71_149
; %bb.148:
	s_wait_loadcnt 0x0
	global_load_i8 v1, v[4:5], off
	s_branch .LBB71_150
.LBB71_149:
	s_mov_b32 s0, -1
                                        ; implicit-def: $vgpr1
.LBB71_150:
	s_delay_alu instid0(SALU_CYCLE_1)
	s_and_not1_b32 vcc_lo, exec_lo, s0
	s_cbranch_vccnz .LBB71_152
; %bb.151:
	s_wait_loadcnt 0x0
	global_load_u8 v1, v[4:5], off
.LBB71_152:
	s_branch .LBB71_26
.LBB71_153:
	s_mov_b32 s23, 0
	s_mov_b32 s24, 0
	;; [unrolled: 1-line block ×3, first 2 shown]
                                        ; implicit-def: $vgpr0
	s_branch .LBB71_235
.LBB71_154:
	s_mov_b32 s27, -1
	s_mov_b32 s26, 0
.LBB71_155:
	s_and_b32 vcc_lo, exec_lo, s27
	s_cbranch_vccz .LBB71_158
; %bb.156:
	s_cmp_eq_u32 s25, 44
	s_mov_b32 s23, -1
	s_cbranch_scc0 .LBB71_158
; %bb.157:
	s_wait_xcnt 0x0
	v_mov_b32_e32 v1, 0
	s_mov_b32 s26, -1
	s_mov_b32 s23, 0
	s_mov_b32 s27, 0
	global_store_b8 v[2:3], v1, off
	s_branch .LBB71_159
.LBB71_158:
	s_mov_b32 s27, 0
.LBB71_159:
	s_delay_alu instid0(SALU_CYCLE_1)
	s_and_b32 vcc_lo, exec_lo, s27
	s_cbranch_vccz .LBB71_162
; %bb.160:
	s_cmp_eq_u32 s25, 29
	s_mov_b32 s23, -1
	s_cbranch_scc0 .LBB71_162
; %bb.161:
	v_mov_b64_e32 v[4:5], 0
	s_mov_b32 s26, -1
	s_mov_b32 s23, 0
	s_mov_b32 s27, 0
	global_store_b64 v[2:3], v[4:5], off
	s_branch .LBB71_163
.LBB71_162:
	s_mov_b32 s27, 0
.LBB71_163:
	s_delay_alu instid0(SALU_CYCLE_1)
	s_and_b32 vcc_lo, exec_lo, s27
	s_cbranch_vccz .LBB71_173
; %bb.164:
	s_cmp_lt_i32 s25, 27
	s_mov_b32 s26, -1
	s_cbranch_scc1 .LBB71_170
; %bb.165:
	s_cmp_gt_i32 s25, 27
	s_cbranch_scc0 .LBB71_167
; %bb.166:
	s_wait_xcnt 0x0
	v_mov_b32_e32 v1, 0
	s_mov_b32 s26, 0
	global_store_b32 v[2:3], v1, off
.LBB71_167:
	s_and_not1_b32 vcc_lo, exec_lo, s26
	s_cbranch_vccnz .LBB71_169
; %bb.168:
	s_wait_xcnt 0x0
	v_mov_b32_e32 v1, 0
	global_store_b16 v[2:3], v1, off
.LBB71_169:
	s_mov_b32 s26, 0
.LBB71_170:
	s_delay_alu instid0(SALU_CYCLE_1)
	s_and_not1_b32 vcc_lo, exec_lo, s26
	s_cbranch_vccnz .LBB71_172
; %bb.171:
	s_wait_xcnt 0x0
	v_mov_b32_e32 v1, 0
	global_store_b8 v[2:3], v1, off
.LBB71_172:
	s_mov_b32 s26, -1
.LBB71_173:
	s_mov_b32 s27, 0
.LBB71_174:
	s_delay_alu instid0(SALU_CYCLE_1)
	s_and_b32 vcc_lo, exec_lo, s27
	s_cbranch_vccz .LBB71_193
; %bb.175:
	s_cmp_gt_i32 s25, 22
	s_mov_b32 s27, -1
	s_cbranch_scc0 .LBB71_185
; %bb.176:
	s_cmp_lt_i32 s25, 24
	s_mov_b32 s26, -1
	s_cbranch_scc1 .LBB71_182
; %bb.177:
	s_cmp_gt_i32 s25, 24
	s_cbranch_scc0 .LBB71_179
; %bb.178:
	s_wait_xcnt 0x0
	v_mov_b32_e32 v1, 0
	s_mov_b32 s26, 0
	global_store_b8 v[2:3], v1, off
.LBB71_179:
	s_and_not1_b32 vcc_lo, exec_lo, s26
	s_cbranch_vccnz .LBB71_181
; %bb.180:
	s_wait_xcnt 0x0
	v_mov_b32_e32 v1, 0
	global_store_b8 v[2:3], v1, off
.LBB71_181:
	s_mov_b32 s26, 0
.LBB71_182:
	s_delay_alu instid0(SALU_CYCLE_1)
	s_and_not1_b32 vcc_lo, exec_lo, s26
	s_cbranch_vccnz .LBB71_184
; %bb.183:
	s_wait_xcnt 0x0
	v_mov_b32_e32 v1, 0
	global_store_b8 v[2:3], v1, off
.LBB71_184:
	s_mov_b32 s27, 0
	s_mov_b32 s26, -1
.LBB71_185:
	s_and_not1_b32 vcc_lo, exec_lo, s27
	s_cbranch_vccnz .LBB71_193
; %bb.186:
	s_cmp_gt_i32 s25, 14
	s_mov_b32 s27, -1
	s_cbranch_scc0 .LBB71_190
; %bb.187:
	s_cmp_eq_u32 s25, 15
	s_mov_b32 s23, -1
	s_cbranch_scc0 .LBB71_189
; %bb.188:
	s_wait_xcnt 0x0
	v_mov_b32_e32 v1, 0
	s_mov_b32 s26, -1
	s_mov_b32 s23, 0
	global_store_b16 v[2:3], v1, off
.LBB71_189:
	s_mov_b32 s27, 0
.LBB71_190:
	s_delay_alu instid0(SALU_CYCLE_1)
	s_and_b32 vcc_lo, exec_lo, s27
	s_cbranch_vccz .LBB71_193
; %bb.191:
	s_cmp_eq_u32 s25, 11
	s_mov_b32 s23, -1
	s_cbranch_scc0 .LBB71_193
; %bb.192:
	s_wait_xcnt 0x0
	v_mov_b32_e32 v1, 0
	s_mov_b32 s26, -1
	s_mov_b32 s23, 0
	global_store_b8 v[2:3], v1, off
.LBB71_193:
	s_branch .LBB71_36
.LBB71_194:
	s_and_b32 s24, 0xffff, s24
	s_mov_b32 s25, -1
	s_cmp_lt_i32 s24, 5
	s_cbranch_scc1 .LBB71_215
; %bb.195:
	s_cmp_lt_i32 s24, 8
	s_cbranch_scc1 .LBB71_205
; %bb.196:
	;; [unrolled: 3-line block ×3, first 2 shown]
	s_cmp_gt_i32 s24, 9
	s_cbranch_scc0 .LBB71_199
; %bb.198:
	s_wait_xcnt 0x0
	v_mov_b32_e32 v4, 0
	s_mov_b32 s25, 0
	s_delay_alu instid0(VALU_DEP_1)
	v_dual_mov_b32 v5, v4 :: v_dual_mov_b32 v6, v4
	v_mov_b32_e32 v7, v4
	global_store_b128 v[2:3], v[4:7], off
.LBB71_199:
	s_and_not1_b32 vcc_lo, exec_lo, s25
	s_cbranch_vccnz .LBB71_201
; %bb.200:
	s_wait_xcnt 0x0
	v_mov_b64_e32 v[4:5], 0
	global_store_b64 v[2:3], v[4:5], off
.LBB71_201:
	s_mov_b32 s25, 0
.LBB71_202:
	s_delay_alu instid0(SALU_CYCLE_1)
	s_and_not1_b32 vcc_lo, exec_lo, s25
	s_cbranch_vccnz .LBB71_204
; %bb.203:
	s_wait_xcnt 0x0
	v_mov_b32_e32 v1, 0
	global_store_b32 v[2:3], v1, off
.LBB71_204:
	s_mov_b32 s25, 0
.LBB71_205:
	s_delay_alu instid0(SALU_CYCLE_1)
	s_and_not1_b32 vcc_lo, exec_lo, s25
	s_cbranch_vccnz .LBB71_214
; %bb.206:
	s_cmp_lt_i32 s24, 6
	s_mov_b32 s25, -1
	s_cbranch_scc1 .LBB71_212
; %bb.207:
	s_cmp_gt_i32 s24, 6
	s_cbranch_scc0 .LBB71_209
; %bb.208:
	s_wait_xcnt 0x0
	v_mov_b64_e32 v[4:5], 0
	s_mov_b32 s25, 0
	global_store_b64 v[2:3], v[4:5], off
.LBB71_209:
	s_and_not1_b32 vcc_lo, exec_lo, s25
	s_cbranch_vccnz .LBB71_211
; %bb.210:
	s_wait_xcnt 0x0
	v_mov_b32_e32 v1, 0
	global_store_b32 v[2:3], v1, off
.LBB71_211:
	s_mov_b32 s25, 0
.LBB71_212:
	s_delay_alu instid0(SALU_CYCLE_1)
	s_and_not1_b32 vcc_lo, exec_lo, s25
	s_cbranch_vccnz .LBB71_214
; %bb.213:
	s_wait_xcnt 0x0
	v_mov_b32_e32 v1, 0
	global_store_b16 v[2:3], v1, off
.LBB71_214:
	s_mov_b32 s25, 0
.LBB71_215:
	s_delay_alu instid0(SALU_CYCLE_1)
	s_and_not1_b32 vcc_lo, exec_lo, s25
	s_cbranch_vccnz .LBB71_231
; %bb.216:
	s_cmp_lt_i32 s24, 2
	s_mov_b32 s25, -1
	s_cbranch_scc1 .LBB71_226
; %bb.217:
	s_cmp_lt_i32 s24, 3
	s_cbranch_scc1 .LBB71_223
; %bb.218:
	s_cmp_gt_i32 s24, 3
	s_cbranch_scc0 .LBB71_220
; %bb.219:
	s_wait_xcnt 0x0
	v_mov_b64_e32 v[4:5], 0
	s_mov_b32 s25, 0
	global_store_b64 v[2:3], v[4:5], off
.LBB71_220:
	s_and_not1_b32 vcc_lo, exec_lo, s25
	s_cbranch_vccnz .LBB71_222
; %bb.221:
	s_wait_xcnt 0x0
	v_mov_b32_e32 v1, 0
	global_store_b32 v[2:3], v1, off
.LBB71_222:
	s_mov_b32 s25, 0
.LBB71_223:
	s_delay_alu instid0(SALU_CYCLE_1)
	s_and_not1_b32 vcc_lo, exec_lo, s25
	s_cbranch_vccnz .LBB71_225
; %bb.224:
	s_wait_xcnt 0x0
	v_mov_b32_e32 v1, 0
	global_store_b16 v[2:3], v1, off
.LBB71_225:
	s_mov_b32 s25, 0
.LBB71_226:
	s_delay_alu instid0(SALU_CYCLE_1)
	s_and_not1_b32 vcc_lo, exec_lo, s25
	s_cbranch_vccnz .LBB71_231
; %bb.227:
	s_cmp_gt_i32 s24, 0
	s_mov_b32 s24, -1
	s_cbranch_scc0 .LBB71_229
; %bb.228:
	s_wait_xcnt 0x0
	v_mov_b32_e32 v1, 0
	s_mov_b32 s24, 0
	global_store_b8 v[2:3], v1, off
.LBB71_229:
	s_and_not1_b32 vcc_lo, exec_lo, s24
	s_cbranch_vccnz .LBB71_231
; %bb.230:
	s_wait_xcnt 0x0
	v_mov_b32_e32 v1, 0
	global_store_b8 v[2:3], v1, off
.LBB71_231:
	s_branch .LBB71_37
.LBB71_232:
	s_mov_b32 s26, 0
                                        ; implicit-def: $vgpr0
.LBB71_233:
	s_and_b32 s25, s23, exec_lo
	s_xor_b32 s24, exec_lo, -1
	s_and_b32 s23, s26, exec_lo
.LBB71_234:
	s_wait_xcnt 0x0
	s_or_b32 exec_lo, exec_lo, s0
.LBB71_235:
	s_delay_alu instid0(SALU_CYCLE_1)
	s_and_b32 s42, s25, exec_lo
	s_and_b32 s43, s24, exec_lo
	;; [unrolled: 1-line block ×3, first 2 shown]
	s_or_not1_b32 s22, s23, exec_lo
.LBB71_236:
	s_wait_xcnt 0x0
	s_or_b32 exec_lo, exec_lo, s45
	s_mov_b32 s23, 0
	s_mov_b32 s0, 0
                                        ; implicit-def: $vgpr4_vgpr5
                                        ; implicit-def: $vgpr2
                                        ; implicit-def: $vgpr1
	s_and_saveexec_b32 s45, s22
	s_cbranch_execz .LBB71_244
; %bb.237:
	s_mov_b32 s0, -1
	s_mov_b32 s46, s44
	s_mov_b32 s48, s43
	;; [unrolled: 1-line block ×3, first 2 shown]
	s_mov_b32 s49, exec_lo
	v_cmpx_gt_i32_e64 s39, v0
	s_cbranch_execz .LBB71_479
; %bb.238:
	s_and_not1_b32 vcc_lo, exec_lo, s31
	s_cbranch_vccnz .LBB71_247
; %bb.239:
	s_and_not1_b32 vcc_lo, exec_lo, s41
	s_cbranch_vccnz .LBB71_248
; %bb.240:
	s_add_co_i32 s0, s40, 1
	s_cmp_eq_u32 s29, 2
	s_cbranch_scc1 .LBB71_249
; %bb.241:
	v_dual_mov_b32 v2, 0 :: v_dual_mov_b32 v4, 0
	s_wait_loadcnt 0x0
	v_mov_b32_e32 v1, v0
	s_and_b32 s22, s0, 28
	s_mov_b64 s[24:25], s[2:3]
	s_mov_b64 s[26:27], s[20:21]
.LBB71_242:                             ; =>This Inner Loop Header: Depth=1
	s_clause 0x1
	s_load_b256 s[52:59], s[24:25], 0x4
	s_load_b128 s[68:71], s[24:25], 0x24
	s_load_b256 s[60:67], s[26:27], 0x0
	s_add_co_i32 s23, s23, 4
	s_wait_xcnt 0x0
	s_add_nc_u64 s[24:25], s[24:25], 48
	s_cmp_eq_u32 s22, s23
	s_add_nc_u64 s[26:27], s[26:27], 32
	s_wait_kmcnt 0x0
	v_mul_hi_u32 v3, s53, v1
	s_delay_alu instid0(VALU_DEP_1) | instskip(NEXT) | instid1(VALU_DEP_1)
	v_add_nc_u32_e32 v3, v1, v3
	v_lshrrev_b32_e32 v3, s54, v3
	s_delay_alu instid0(VALU_DEP_1) | instskip(NEXT) | instid1(VALU_DEP_1)
	v_mul_hi_u32 v5, s56, v3
	v_add_nc_u32_e32 v5, v3, v5
	s_delay_alu instid0(VALU_DEP_1) | instskip(NEXT) | instid1(VALU_DEP_1)
	v_lshrrev_b32_e32 v5, s57, v5
	v_mul_hi_u32 v6, s59, v5
	s_delay_alu instid0(VALU_DEP_1) | instskip(SKIP_1) | instid1(VALU_DEP_1)
	v_add_nc_u32_e32 v6, v5, v6
	v_mul_lo_u32 v7, v3, s52
	v_sub_nc_u32_e32 v1, v1, v7
	v_mul_lo_u32 v7, v5, s55
	s_delay_alu instid0(VALU_DEP_4) | instskip(NEXT) | instid1(VALU_DEP_3)
	v_lshrrev_b32_e32 v6, s68, v6
	v_mad_u32 v4, v1, s61, v4
	v_mad_u32 v1, v1, s60, v2
	s_delay_alu instid0(VALU_DEP_4) | instskip(NEXT) | instid1(VALU_DEP_4)
	v_sub_nc_u32_e32 v2, v3, v7
	v_mul_hi_u32 v8, s70, v6
	v_mul_lo_u32 v3, v6, s58
	s_delay_alu instid0(VALU_DEP_3) | instskip(SKIP_1) | instid1(VALU_DEP_3)
	v_mad_u32 v4, v2, s63, v4
	v_mad_u32 v2, v2, s62, v1
	v_dual_add_nc_u32 v7, v6, v8 :: v_dual_sub_nc_u32 v3, v5, v3
	s_delay_alu instid0(VALU_DEP_1) | instskip(NEXT) | instid1(VALU_DEP_2)
	v_lshrrev_b32_e32 v1, s71, v7
	v_mad_u32 v4, v3, s65, v4
	s_delay_alu instid0(VALU_DEP_4) | instskip(NEXT) | instid1(VALU_DEP_3)
	v_mad_u32 v2, v3, s64, v2
	v_mul_lo_u32 v5, v1, s69
	s_delay_alu instid0(VALU_DEP_1) | instskip(NEXT) | instid1(VALU_DEP_1)
	v_sub_nc_u32_e32 v3, v6, v5
	v_mad_u32 v4, v3, s67, v4
	s_delay_alu instid0(VALU_DEP_4)
	v_mad_u32 v2, v3, s66, v2
	s_cbranch_scc0 .LBB71_242
; %bb.243:
	s_delay_alu instid0(VALU_DEP_2)
	v_mov_b32_e32 v3, v4
	s_branch .LBB71_250
.LBB71_244:
	s_or_b32 exec_lo, exec_lo, s45
	s_mov_b32 s1, 0
	s_and_saveexec_b32 s6, s44
	s_cbranch_execnz .LBB71_817
.LBB71_245:
	s_or_b32 exec_lo, exec_lo, s6
	s_and_saveexec_b32 s6, s17
	s_delay_alu instid0(SALU_CYCLE_1)
	s_xor_b32 s6, exec_lo, s6
	s_cbranch_execz .LBB71_818
.LBB71_246:
	global_load_u8 v0, v[4:5], off
	s_or_b32 s0, s0, exec_lo
	s_wait_loadcnt 0x0
	v_cmp_ne_u16_e32 vcc_lo, 0, v0
	v_cndmask_b32_e64 v1, 0, 1, vcc_lo
	s_wait_xcnt 0x0
	s_or_b32 exec_lo, exec_lo, s6
	s_and_saveexec_b32 s6, s23
	s_cbranch_execz .LBB71_864
	s_branch .LBB71_819
.LBB71_247:
                                        ; implicit-def: $vgpr4
                                        ; implicit-def: $vgpr2
	s_and_not1_b32 vcc_lo, exec_lo, s0
	s_cbranch_vccnz .LBB71_257
	s_branch .LBB71_255
.LBB71_248:
	v_dual_mov_b32 v4, 0 :: v_dual_mov_b32 v2, 0
	s_branch .LBB71_254
.LBB71_249:
	v_mov_b64_e32 v[2:3], 0
	s_wait_loadcnt 0x0
	v_mov_b32_e32 v1, v0
	s_mov_b32 s22, 0
                                        ; implicit-def: $vgpr4
.LBB71_250:
	s_and_b32 s0, s0, 3
	s_mov_b32 s23, 0
	s_cmp_eq_u32 s0, 0
	s_cbranch_scc1 .LBB71_254
; %bb.251:
	s_lshl_b32 s24, s22, 3
	s_mov_b32 s25, s23
	s_mul_u64 s[26:27], s[22:23], 12
	s_add_nc_u64 s[24:25], s[2:3], s[24:25]
	s_delay_alu instid0(SALU_CYCLE_1)
	s_add_nc_u64 s[22:23], s[24:25], 0xc4
	s_add_nc_u64 s[24:25], s[2:3], s[26:27]
.LBB71_252:                             ; =>This Inner Loop Header: Depth=1
	s_load_b96 s[52:54], s[24:25], 0x4
	s_load_b64 s[26:27], s[22:23], 0x0
	s_add_co_i32 s0, s0, -1
	s_wait_xcnt 0x0
	s_add_nc_u64 s[24:25], s[24:25], 12
	s_cmp_lg_u32 s0, 0
	s_add_nc_u64 s[22:23], s[22:23], 8
	s_wait_kmcnt 0x0
	v_mul_hi_u32 v4, s53, v1
	s_delay_alu instid0(VALU_DEP_1) | instskip(NEXT) | instid1(VALU_DEP_1)
	v_add_nc_u32_e32 v4, v1, v4
	v_lshrrev_b32_e32 v4, s54, v4
	s_delay_alu instid0(VALU_DEP_1) | instskip(NEXT) | instid1(VALU_DEP_1)
	v_mul_lo_u32 v5, v4, s52
	v_sub_nc_u32_e32 v1, v1, v5
	s_delay_alu instid0(VALU_DEP_1)
	v_mad_u32 v3, v1, s27, v3
	v_mad_u32 v2, v1, s26, v2
	v_mov_b32_e32 v1, v4
	s_cbranch_scc1 .LBB71_252
; %bb.253:
	s_delay_alu instid0(VALU_DEP_3)
	v_mov_b32_e32 v4, v3
.LBB71_254:
	s_cbranch_execnz .LBB71_257
.LBB71_255:
	s_wait_loadcnt 0x0
	v_mov_b32_e32 v1, 0
	s_and_not1_b32 vcc_lo, exec_lo, s38
	s_delay_alu instid0(VALU_DEP_1) | instskip(NEXT) | instid1(VALU_DEP_1)
	v_mul_u64_e32 v[2:3], s[16:17], v[0:1]
	v_add_nc_u32_e32 v2, v0, v3
	s_delay_alu instid0(VALU_DEP_1) | instskip(NEXT) | instid1(VALU_DEP_1)
	v_lshrrev_b32_e32 v6, s10, v2
	v_mul_lo_u32 v2, v6, s8
	s_delay_alu instid0(VALU_DEP_1) | instskip(NEXT) | instid1(VALU_DEP_1)
	v_sub_nc_u32_e32 v2, v0, v2
	v_mul_lo_u32 v4, v2, s13
	v_mul_lo_u32 v2, v2, s12
	s_cbranch_vccnz .LBB71_257
; %bb.256:
	v_mov_b32_e32 v7, v1
	s_delay_alu instid0(VALU_DEP_1) | instskip(NEXT) | instid1(VALU_DEP_1)
	v_mul_u64_e32 v[8:9], s[18:19], v[6:7]
	v_add_nc_u32_e32 v1, v6, v9
	s_delay_alu instid0(VALU_DEP_1) | instskip(NEXT) | instid1(VALU_DEP_1)
	v_lshrrev_b32_e32 v1, s1, v1
	v_mul_lo_u32 v1, v1, s11
	s_delay_alu instid0(VALU_DEP_1) | instskip(NEXT) | instid1(VALU_DEP_1)
	v_sub_nc_u32_e32 v1, v6, v1
	v_mad_u32 v2, v1, s14, v2
	v_mad_u32 v4, v1, s15, v4
.LBB71_257:
	v_mov_b32_e32 v5, 0
	s_and_b32 s0, 0xffff, s37
	s_delay_alu instid0(SALU_CYCLE_1) | instskip(NEXT) | instid1(VALU_DEP_1)
	s_cmp_lt_i32 s0, 11
	v_add_nc_u64_e32 v[4:5], s[6:7], v[4:5]
	s_cbranch_scc1 .LBB71_264
; %bb.258:
	s_cmp_gt_i32 s0, 25
	s_cbranch_scc0 .LBB71_274
; %bb.259:
	s_cmp_gt_i32 s0, 28
	s_cbranch_scc0 .LBB71_276
	;; [unrolled: 3-line block ×4, first 2 shown]
; %bb.262:
	s_cmp_eq_u32 s0, 46
	s_mov_b32 s24, 0
	s_cbranch_scc0 .LBB71_282
; %bb.263:
	s_wait_loadcnt 0x0
	global_load_b32 v1, v[4:5], off
	s_mov_b32 s23, -1
	s_mov_b32 s22, 0
	s_wait_loadcnt 0x0
	v_lshlrev_b32_e32 v1, 16, v1
	s_delay_alu instid0(VALU_DEP_1)
	v_cvt_i32_f32_e32 v1, v1
	s_branch .LBB71_284
.LBB71_264:
	s_mov_b32 s23, 0
	s_mov_b32 s22, s44
                                        ; implicit-def: $vgpr1
	s_cbranch_execnz .LBB71_345
.LBB71_265:
	s_and_not1_b32 vcc_lo, exec_lo, s23
	s_cbranch_vccnz .LBB71_393
.LBB71_266:
	s_wait_loadcnt 0x0
	s_delay_alu instid0(VALU_DEP_1)
	v_cmp_le_i32_e32 vcc_lo, s35, v1
	v_cmp_gt_i32_e64 s0, s36, v1
	s_mov_b32 s23, 0
	s_mov_b32 s24, -1
	s_mov_b32 s25, s42
	s_and_b32 s0, vcc_lo, s0
	s_delay_alu instid0(SALU_CYCLE_1)
	s_and_b32 s26, s9, s0
	s_wait_xcnt 0x0
	s_and_saveexec_b32 s0, s26
	s_cbranch_execz .LBB71_477
; %bb.267:
	v_mov_b32_e32 v3, 0
	s_and_b32 s24, s34, 0xff
	s_delay_alu instid0(SALU_CYCLE_1) | instskip(NEXT) | instid1(VALU_DEP_1)
	s_cmp_lt_i32 s24, 11
	v_add_nc_u64_e32 v[2:3], s[4:5], v[2:3]
	s_cbranch_scc1 .LBB71_275
; %bb.268:
	s_and_b32 s25, 0xffff, s24
	s_delay_alu instid0(SALU_CYCLE_1)
	s_cmp_gt_i32 s25, 25
	s_cbranch_scc0 .LBB71_277
; %bb.269:
	s_cmp_gt_i32 s25, 28
	s_cbranch_scc0 .LBB71_279
; %bb.270:
	;; [unrolled: 3-line block ×4, first 2 shown]
	s_mov_b32 s27, 0
	s_mov_b32 s23, -1
	s_cmp_eq_u32 s25, 46
	s_mov_b32 s26, 0
	s_cbranch_scc0 .LBB71_395
; %bb.273:
	v_mov_b32_e32 v1, 0
	s_mov_b32 s26, -1
	s_mov_b32 s23, 0
	global_store_b32 v[2:3], v1, off
	s_branch .LBB71_395
.LBB71_274:
	s_mov_b32 s24, -1
	s_mov_b32 s23, 0
	s_mov_b32 s22, s44
                                        ; implicit-def: $vgpr1
	s_branch .LBB71_311
.LBB71_275:
	s_mov_b32 s25, -1
	s_mov_b32 s26, 0
	s_mov_b32 s23, s42
	s_branch .LBB71_434
.LBB71_276:
	s_mov_b32 s24, -1
	s_mov_b32 s23, 0
	s_mov_b32 s22, s44
                                        ; implicit-def: $vgpr1
	s_branch .LBB71_294
.LBB71_277:
	s_mov_b32 s27, -1
	s_mov_b32 s26, 0
	s_mov_b32 s23, s42
	s_branch .LBB71_414
.LBB71_278:
	s_mov_b32 s24, -1
	s_mov_b32 s23, 0
	s_mov_b32 s22, s44
                                        ; implicit-def: $vgpr1
	s_branch .LBB71_289
.LBB71_279:
	s_mov_b32 s27, -1
	s_mov_b32 s26, 0
	s_mov_b32 s23, s42
	s_branch .LBB71_403
.LBB71_280:
	s_mov_b32 s24, -1
	s_mov_b32 s23, 0
	s_mov_b32 s22, s44
	s_branch .LBB71_283
.LBB71_281:
	s_mov_b32 s27, -1
	s_mov_b32 s26, 0
	s_mov_b32 s23, s42
	s_branch .LBB71_399
.LBB71_282:
	s_mov_b32 s22, -1
	s_mov_b32 s23, 0
.LBB71_283:
                                        ; implicit-def: $vgpr1
.LBB71_284:
	s_and_b32 vcc_lo, exec_lo, s24
	s_cbranch_vccz .LBB71_288
; %bb.285:
	s_cmp_eq_u32 s0, 44
	s_cbranch_scc0 .LBB71_287
; %bb.286:
	s_wait_loadcnt 0x0
	global_load_u8 v1, v[4:5], off
	s_mov_b32 s22, 0
	s_mov_b32 s23, -1
	s_wait_loadcnt 0x0
	v_lshlrev_b32_e32 v3, 23, v1
	v_cmp_ne_u32_e32 vcc_lo, 0, v1
	s_delay_alu instid0(VALU_DEP_2) | instskip(NEXT) | instid1(VALU_DEP_1)
	v_cvt_i32_f32_e32 v3, v3
	v_cndmask_b32_e32 v1, 0, v3, vcc_lo
	s_branch .LBB71_288
.LBB71_287:
	s_mov_b32 s22, -1
                                        ; implicit-def: $vgpr1
.LBB71_288:
	s_mov_b32 s24, 0
.LBB71_289:
	s_delay_alu instid0(SALU_CYCLE_1)
	s_and_b32 vcc_lo, exec_lo, s24
	s_cbranch_vccz .LBB71_293
; %bb.290:
	s_cmp_eq_u32 s0, 29
	s_cbranch_scc0 .LBB71_292
; %bb.291:
	s_wait_loadcnt 0x0
	global_load_b32 v1, v[4:5], off
	s_mov_b32 s23, -1
	s_mov_b32 s22, 0
	s_branch .LBB71_293
.LBB71_292:
	s_mov_b32 s22, -1
                                        ; implicit-def: $vgpr1
.LBB71_293:
	s_mov_b32 s24, 0
.LBB71_294:
	s_delay_alu instid0(SALU_CYCLE_1)
	s_and_b32 vcc_lo, exec_lo, s24
	s_cbranch_vccz .LBB71_310
; %bb.295:
	s_cmp_lt_i32 s0, 27
	s_cbranch_scc1 .LBB71_298
; %bb.296:
	s_cmp_gt_i32 s0, 27
	s_cbranch_scc0 .LBB71_299
; %bb.297:
	s_wait_loadcnt 0x0
	global_load_b32 v1, v[4:5], off
	s_mov_b32 s23, 0
	s_branch .LBB71_300
.LBB71_298:
	s_mov_b32 s23, -1
                                        ; implicit-def: $vgpr1
	s_branch .LBB71_303
.LBB71_299:
	s_mov_b32 s23, -1
                                        ; implicit-def: $vgpr1
.LBB71_300:
	s_delay_alu instid0(SALU_CYCLE_1)
	s_and_not1_b32 vcc_lo, exec_lo, s23
	s_cbranch_vccnz .LBB71_302
; %bb.301:
	s_wait_loadcnt 0x0
	global_load_u16 v1, v[4:5], off
.LBB71_302:
	s_mov_b32 s23, 0
.LBB71_303:
	s_delay_alu instid0(SALU_CYCLE_1)
	s_and_not1_b32 vcc_lo, exec_lo, s23
	s_cbranch_vccnz .LBB71_309
; %bb.304:
	global_load_u8 v3, v[4:5], off
	s_mov_b32 s24, 0
	s_mov_b32 s23, exec_lo
	s_wait_loadcnt 0x0
	v_cmpx_lt_i16_e32 0x7f, v3
	s_xor_b32 s23, exec_lo, s23
	s_cbranch_execz .LBB71_321
; %bb.305:
	v_cmp_ne_u16_e32 vcc_lo, 0x80, v3
	s_and_b32 s24, vcc_lo, exec_lo
	s_and_not1_saveexec_b32 s23, s23
	s_cbranch_execnz .LBB71_322
.LBB71_306:
	s_or_b32 exec_lo, exec_lo, s23
	v_mov_b32_e32 v1, 0
	s_and_saveexec_b32 s23, s24
	s_cbranch_execz .LBB71_308
.LBB71_307:
	v_and_b32_e32 v1, 0xffff, v3
	s_delay_alu instid0(VALU_DEP_1) | instskip(SKIP_1) | instid1(VALU_DEP_2)
	v_and_b32_e32 v6, 7, v1
	v_bfe_u32 v9, v1, 3, 4
	v_clz_i32_u32_e32 v7, v6
	s_delay_alu instid0(VALU_DEP_2) | instskip(NEXT) | instid1(VALU_DEP_2)
	v_cmp_eq_u32_e32 vcc_lo, 0, v9
	v_min_u32_e32 v7, 32, v7
	s_delay_alu instid0(VALU_DEP_1) | instskip(NEXT) | instid1(VALU_DEP_1)
	v_subrev_nc_u32_e32 v8, 28, v7
	v_dual_lshlrev_b32 v1, v8, v1 :: v_dual_sub_nc_u32 v7, 29, v7
	s_delay_alu instid0(VALU_DEP_1) | instskip(NEXT) | instid1(VALU_DEP_1)
	v_dual_lshlrev_b32 v3, 24, v3 :: v_dual_bitop2_b32 v1, 7, v1 bitop3:0x40
	v_dual_cndmask_b32 v1, v6, v1, vcc_lo :: v_dual_cndmask_b32 v7, v9, v7, vcc_lo
	s_delay_alu instid0(VALU_DEP_2) | instskip(NEXT) | instid1(VALU_DEP_2)
	v_and_b32_e32 v3, 0x80000000, v3
	v_lshlrev_b32_e32 v1, 20, v1
	s_delay_alu instid0(VALU_DEP_3) | instskip(NEXT) | instid1(VALU_DEP_1)
	v_lshl_add_u32 v6, v7, 23, 0x3b800000
	v_or3_b32 v1, v3, v6, v1
	s_delay_alu instid0(VALU_DEP_1)
	v_cvt_i32_f32_e32 v1, v1
.LBB71_308:
	s_or_b32 exec_lo, exec_lo, s23
.LBB71_309:
	s_mov_b32 s23, -1
.LBB71_310:
	s_mov_b32 s24, 0
.LBB71_311:
	s_delay_alu instid0(SALU_CYCLE_1)
	s_and_b32 vcc_lo, exec_lo, s24
	s_cbranch_vccz .LBB71_344
; %bb.312:
	s_cmp_gt_i32 s0, 22
	s_cbranch_scc0 .LBB71_320
; %bb.313:
	s_cmp_lt_i32 s0, 24
	s_cbranch_scc1 .LBB71_323
; %bb.314:
	s_cmp_gt_i32 s0, 24
	s_cbranch_scc0 .LBB71_324
; %bb.315:
	global_load_u8 v3, v[4:5], off
	s_mov_b32 s24, 0
	s_mov_b32 s23, exec_lo
	s_wait_loadcnt 0x0
	v_cmpx_lt_i16_e32 0x7f, v3
	s_xor_b32 s23, exec_lo, s23
	s_cbranch_execz .LBB71_336
; %bb.316:
	v_cmp_ne_u16_e32 vcc_lo, 0x80, v3
	s_and_b32 s24, vcc_lo, exec_lo
	s_and_not1_saveexec_b32 s23, s23
	s_cbranch_execnz .LBB71_337
.LBB71_317:
	s_or_b32 exec_lo, exec_lo, s23
	v_mov_b32_e32 v1, 0
	s_and_saveexec_b32 s23, s24
	s_cbranch_execz .LBB71_319
.LBB71_318:
	v_and_b32_e32 v1, 0xffff, v3
	s_delay_alu instid0(VALU_DEP_1) | instskip(SKIP_1) | instid1(VALU_DEP_2)
	v_and_b32_e32 v6, 3, v1
	v_bfe_u32 v9, v1, 2, 5
	v_clz_i32_u32_e32 v7, v6
	s_delay_alu instid0(VALU_DEP_2) | instskip(NEXT) | instid1(VALU_DEP_2)
	v_cmp_eq_u32_e32 vcc_lo, 0, v9
	v_min_u32_e32 v7, 32, v7
	s_delay_alu instid0(VALU_DEP_1) | instskip(NEXT) | instid1(VALU_DEP_1)
	v_subrev_nc_u32_e32 v8, 29, v7
	v_dual_lshlrev_b32 v1, v8, v1 :: v_dual_sub_nc_u32 v7, 30, v7
	s_delay_alu instid0(VALU_DEP_1) | instskip(NEXT) | instid1(VALU_DEP_1)
	v_dual_lshlrev_b32 v3, 24, v3 :: v_dual_bitop2_b32 v1, 3, v1 bitop3:0x40
	v_dual_cndmask_b32 v1, v6, v1, vcc_lo :: v_dual_cndmask_b32 v7, v9, v7, vcc_lo
	s_delay_alu instid0(VALU_DEP_2) | instskip(NEXT) | instid1(VALU_DEP_2)
	v_and_b32_e32 v3, 0x80000000, v3
	v_lshlrev_b32_e32 v1, 21, v1
	s_delay_alu instid0(VALU_DEP_3) | instskip(NEXT) | instid1(VALU_DEP_1)
	v_lshl_add_u32 v6, v7, 23, 0x37800000
	v_or3_b32 v1, v3, v6, v1
	s_delay_alu instid0(VALU_DEP_1)
	v_cvt_i32_f32_e32 v1, v1
.LBB71_319:
	s_or_b32 exec_lo, exec_lo, s23
	s_mov_b32 s23, 0
	s_branch .LBB71_325
.LBB71_320:
	s_mov_b32 s24, -1
                                        ; implicit-def: $vgpr1
	s_branch .LBB71_331
.LBB71_321:
	s_and_not1_saveexec_b32 s23, s23
	s_cbranch_execz .LBB71_306
.LBB71_322:
	v_cmp_ne_u16_e32 vcc_lo, 0, v3
	s_and_not1_b32 s24, s24, exec_lo
	s_and_b32 s25, vcc_lo, exec_lo
	s_delay_alu instid0(SALU_CYCLE_1)
	s_or_b32 s24, s24, s25
	s_or_b32 exec_lo, exec_lo, s23
	v_mov_b32_e32 v1, 0
	s_and_saveexec_b32 s23, s24
	s_cbranch_execnz .LBB71_307
	s_branch .LBB71_308
.LBB71_323:
	s_mov_b32 s23, -1
                                        ; implicit-def: $vgpr1
	s_branch .LBB71_328
.LBB71_324:
	s_mov_b32 s23, -1
                                        ; implicit-def: $vgpr1
.LBB71_325:
	s_delay_alu instid0(SALU_CYCLE_1)
	s_and_b32 vcc_lo, exec_lo, s23
	s_cbranch_vccz .LBB71_327
; %bb.326:
	s_wait_loadcnt 0x0
	global_load_u8 v1, v[4:5], off
	s_wait_loadcnt 0x0
	v_lshlrev_b32_e32 v1, 24, v1
	s_delay_alu instid0(VALU_DEP_1) | instskip(NEXT) | instid1(VALU_DEP_1)
	v_and_b32_e32 v3, 0x7f000000, v1
	v_clz_i32_u32_e32 v6, v3
	v_cmp_ne_u32_e32 vcc_lo, 0, v3
	v_add_nc_u32_e32 v8, 0x1000000, v3
	s_delay_alu instid0(VALU_DEP_3) | instskip(NEXT) | instid1(VALU_DEP_1)
	v_min_u32_e32 v6, 32, v6
	v_sub_nc_u32_e64 v6, v6, 4 clamp
	s_delay_alu instid0(VALU_DEP_1) | instskip(NEXT) | instid1(VALU_DEP_1)
	v_dual_lshlrev_b32 v7, v6, v3 :: v_dual_lshlrev_b32 v6, 23, v6
	v_lshrrev_b32_e32 v7, 4, v7
	s_delay_alu instid0(VALU_DEP_1) | instskip(NEXT) | instid1(VALU_DEP_1)
	v_dual_sub_nc_u32 v6, v7, v6 :: v_dual_ashrrev_i32 v7, 8, v8
	v_add_nc_u32_e32 v6, 0x3c000000, v6
	s_delay_alu instid0(VALU_DEP_1) | instskip(NEXT) | instid1(VALU_DEP_1)
	v_and_or_b32 v6, 0x7f800000, v7, v6
	v_cndmask_b32_e32 v3, 0, v6, vcc_lo
	s_delay_alu instid0(VALU_DEP_1) | instskip(NEXT) | instid1(VALU_DEP_1)
	v_and_or_b32 v1, 0x80000000, v1, v3
	v_cvt_i32_f32_e32 v1, v1
.LBB71_327:
	s_mov_b32 s23, 0
.LBB71_328:
	s_delay_alu instid0(SALU_CYCLE_1)
	s_and_not1_b32 vcc_lo, exec_lo, s23
	s_cbranch_vccnz .LBB71_330
; %bb.329:
	s_wait_loadcnt 0x0
	global_load_u8 v1, v[4:5], off
	s_wait_loadcnt 0x0
	v_lshlrev_b32_e32 v3, 25, v1
	v_lshlrev_b16 v1, 8, v1
	s_delay_alu instid0(VALU_DEP_1) | instskip(SKIP_1) | instid1(VALU_DEP_2)
	v_and_or_b32 v7, 0x7f00, v1, 0.5
	v_bfe_i32 v1, v1, 0, 16
	v_add_f32_e32 v7, -0.5, v7
	v_lshrrev_b32_e32 v6, 4, v3
	v_cmp_gt_u32_e32 vcc_lo, 0x8000000, v3
	s_delay_alu instid0(VALU_DEP_2) | instskip(NEXT) | instid1(VALU_DEP_1)
	v_or_b32_e32 v6, 0x70000000, v6
	v_mul_f32_e32 v6, 0x7800000, v6
	s_delay_alu instid0(VALU_DEP_1) | instskip(NEXT) | instid1(VALU_DEP_1)
	v_cndmask_b32_e32 v3, v6, v7, vcc_lo
	v_and_or_b32 v1, 0x80000000, v1, v3
	s_delay_alu instid0(VALU_DEP_1)
	v_cvt_i32_f32_e32 v1, v1
.LBB71_330:
	s_mov_b32 s24, 0
	s_mov_b32 s23, -1
.LBB71_331:
	s_and_not1_b32 vcc_lo, exec_lo, s24
	s_cbranch_vccnz .LBB71_344
; %bb.332:
	s_cmp_gt_i32 s0, 14
	s_cbranch_scc0 .LBB71_335
; %bb.333:
	s_cmp_eq_u32 s0, 15
	s_cbranch_scc0 .LBB71_338
; %bb.334:
	s_wait_loadcnt 0x0
	global_load_u16 v1, v[4:5], off
	s_mov_b32 s23, -1
	s_mov_b32 s22, 0
	s_wait_loadcnt 0x0
	v_lshlrev_b32_e32 v1, 16, v1
	s_delay_alu instid0(VALU_DEP_1)
	v_cvt_i32_f32_e32 v1, v1
	s_branch .LBB71_339
.LBB71_335:
	s_mov_b32 s24, -1
                                        ; implicit-def: $vgpr1
	s_branch .LBB71_340
.LBB71_336:
	s_and_not1_saveexec_b32 s23, s23
	s_cbranch_execz .LBB71_317
.LBB71_337:
	v_cmp_ne_u16_e32 vcc_lo, 0, v3
	s_and_not1_b32 s24, s24, exec_lo
	s_and_b32 s25, vcc_lo, exec_lo
	s_delay_alu instid0(SALU_CYCLE_1)
	s_or_b32 s24, s24, s25
	s_or_b32 exec_lo, exec_lo, s23
	v_mov_b32_e32 v1, 0
	s_and_saveexec_b32 s23, s24
	s_cbranch_execnz .LBB71_318
	s_branch .LBB71_319
.LBB71_338:
	s_mov_b32 s22, -1
                                        ; implicit-def: $vgpr1
.LBB71_339:
	s_mov_b32 s24, 0
.LBB71_340:
	s_delay_alu instid0(SALU_CYCLE_1)
	s_and_b32 vcc_lo, exec_lo, s24
	s_cbranch_vccz .LBB71_344
; %bb.341:
	s_cmp_eq_u32 s0, 11
	s_cbranch_scc0 .LBB71_343
; %bb.342:
	s_wait_loadcnt 0x0
	global_load_u8 v1, v[4:5], off
	s_mov_b32 s22, 0
	s_mov_b32 s23, -1
	s_wait_loadcnt 0x0
	v_cmp_ne_u16_e32 vcc_lo, 0, v1
	v_cndmask_b32_e64 v1, 0, 1, vcc_lo
	s_branch .LBB71_344
.LBB71_343:
	s_mov_b32 s22, -1
                                        ; implicit-def: $vgpr1
.LBB71_344:
	s_branch .LBB71_265
.LBB71_345:
	s_cmp_lt_i32 s0, 5
	s_cbranch_scc1 .LBB71_350
; %bb.346:
	s_cmp_lt_i32 s0, 8
	s_cbranch_scc1 .LBB71_351
; %bb.347:
	;; [unrolled: 3-line block ×3, first 2 shown]
	s_cmp_gt_i32 s0, 9
	s_cbranch_scc0 .LBB71_353
; %bb.349:
	global_load_b64 v[6:7], v[4:5], off
	s_mov_b32 s23, 0
	s_wait_loadcnt 0x0
	v_cvt_i32_f64_e32 v1, v[6:7]
	s_branch .LBB71_354
.LBB71_350:
	s_mov_b32 s23, -1
                                        ; implicit-def: $vgpr1
	s_branch .LBB71_372
.LBB71_351:
	s_mov_b32 s23, -1
                                        ; implicit-def: $vgpr1
	s_branch .LBB71_360
.LBB71_352:
	s_mov_b32 s23, -1
                                        ; implicit-def: $vgpr1
	s_branch .LBB71_357
.LBB71_353:
	s_mov_b32 s23, -1
                                        ; implicit-def: $vgpr1
.LBB71_354:
	s_delay_alu instid0(SALU_CYCLE_1)
	s_and_not1_b32 vcc_lo, exec_lo, s23
	s_cbranch_vccnz .LBB71_356
; %bb.355:
	s_wait_loadcnt 0x0
	global_load_b32 v1, v[4:5], off
	s_wait_loadcnt 0x0
	v_cvt_i32_f32_e32 v1, v1
.LBB71_356:
	s_mov_b32 s23, 0
.LBB71_357:
	s_delay_alu instid0(SALU_CYCLE_1)
	s_and_not1_b32 vcc_lo, exec_lo, s23
	s_cbranch_vccnz .LBB71_359
; %bb.358:
	s_wait_loadcnt 0x0
	global_load_b32 v1, v[4:5], off
	s_wait_loadcnt 0x0
	v_cvt_f32_f16_e32 v1, v1
	s_delay_alu instid0(VALU_DEP_1)
	v_cvt_i32_f32_e32 v1, v1
.LBB71_359:
	s_mov_b32 s23, 0
.LBB71_360:
	s_delay_alu instid0(SALU_CYCLE_1)
	s_and_not1_b32 vcc_lo, exec_lo, s23
	s_cbranch_vccnz .LBB71_371
; %bb.361:
	s_cmp_lt_i32 s0, 6
	s_cbranch_scc1 .LBB71_364
; %bb.362:
	s_cmp_gt_i32 s0, 6
	s_cbranch_scc0 .LBB71_365
; %bb.363:
	global_load_b64 v[6:7], v[4:5], off
	s_mov_b32 s23, 0
	s_wait_loadcnt 0x0
	v_cvt_i32_f64_e32 v1, v[6:7]
	s_branch .LBB71_366
.LBB71_364:
	s_mov_b32 s23, -1
                                        ; implicit-def: $vgpr1
	s_branch .LBB71_369
.LBB71_365:
	s_mov_b32 s23, -1
                                        ; implicit-def: $vgpr1
.LBB71_366:
	s_delay_alu instid0(SALU_CYCLE_1)
	s_and_not1_b32 vcc_lo, exec_lo, s23
	s_cbranch_vccnz .LBB71_368
; %bb.367:
	s_wait_loadcnt 0x0
	global_load_b32 v1, v[4:5], off
	s_wait_loadcnt 0x0
	v_cvt_i32_f32_e32 v1, v1
.LBB71_368:
	s_mov_b32 s23, 0
.LBB71_369:
	s_delay_alu instid0(SALU_CYCLE_1)
	s_and_not1_b32 vcc_lo, exec_lo, s23
	s_cbranch_vccnz .LBB71_371
; %bb.370:
	s_wait_loadcnt 0x0
	global_load_u16 v1, v[4:5], off
	s_wait_loadcnt 0x0
	v_cvt_f32_f16_e32 v1, v1
	s_delay_alu instid0(VALU_DEP_1)
	v_cvt_i32_f32_e32 v1, v1
.LBB71_371:
	s_mov_b32 s23, 0
.LBB71_372:
	s_delay_alu instid0(SALU_CYCLE_1)
	s_and_not1_b32 vcc_lo, exec_lo, s23
	s_cbranch_vccnz .LBB71_392
; %bb.373:
	s_cmp_lt_i32 s0, 2
	s_cbranch_scc1 .LBB71_377
; %bb.374:
	s_cmp_lt_i32 s0, 3
	s_cbranch_scc1 .LBB71_378
; %bb.375:
	s_cmp_gt_i32 s0, 3
	s_cbranch_scc0 .LBB71_379
; %bb.376:
	s_wait_loadcnt 0x0
	global_load_b32 v1, v[4:5], off
	s_mov_b32 s23, 0
	s_branch .LBB71_380
.LBB71_377:
	s_mov_b32 s23, -1
                                        ; implicit-def: $vgpr1
	s_branch .LBB71_386
.LBB71_378:
	s_mov_b32 s23, -1
                                        ; implicit-def: $vgpr1
	s_branch .LBB71_383
.LBB71_379:
	s_mov_b32 s23, -1
                                        ; implicit-def: $vgpr1
.LBB71_380:
	s_delay_alu instid0(SALU_CYCLE_1)
	s_and_not1_b32 vcc_lo, exec_lo, s23
	s_cbranch_vccnz .LBB71_382
; %bb.381:
	s_wait_loadcnt 0x0
	global_load_b32 v1, v[4:5], off
.LBB71_382:
	s_mov_b32 s23, 0
.LBB71_383:
	s_delay_alu instid0(SALU_CYCLE_1)
	s_and_not1_b32 vcc_lo, exec_lo, s23
	s_cbranch_vccnz .LBB71_385
; %bb.384:
	s_wait_loadcnt 0x0
	global_load_i16 v1, v[4:5], off
.LBB71_385:
	s_mov_b32 s23, 0
.LBB71_386:
	s_delay_alu instid0(SALU_CYCLE_1)
	s_and_not1_b32 vcc_lo, exec_lo, s23
	s_cbranch_vccnz .LBB71_392
; %bb.387:
	s_cmp_gt_i32 s0, 0
	s_mov_b32 s0, 0
	s_cbranch_scc0 .LBB71_389
; %bb.388:
	s_wait_loadcnt 0x0
	global_load_i8 v1, v[4:5], off
	s_branch .LBB71_390
.LBB71_389:
	s_mov_b32 s0, -1
                                        ; implicit-def: $vgpr1
.LBB71_390:
	s_delay_alu instid0(SALU_CYCLE_1)
	s_and_not1_b32 vcc_lo, exec_lo, s0
	s_cbranch_vccnz .LBB71_392
; %bb.391:
	s_wait_loadcnt 0x0
	global_load_u8 v1, v[4:5], off
.LBB71_392:
	s_branch .LBB71_266
.LBB71_393:
	s_mov_b32 s23, 0
	s_mov_b32 s25, s42
	;; [unrolled: 1-line block ×3, first 2 shown]
                                        ; implicit-def: $vgpr0
	s_branch .LBB71_478
.LBB71_394:
	s_mov_b32 s27, -1
	s_mov_b32 s26, 0
	s_mov_b32 s23, s42
.LBB71_395:
	s_and_b32 vcc_lo, exec_lo, s27
	s_cbranch_vccz .LBB71_398
; %bb.396:
	s_cmp_eq_u32 s25, 44
	s_mov_b32 s23, -1
	s_cbranch_scc0 .LBB71_398
; %bb.397:
	s_wait_xcnt 0x0
	v_mov_b32_e32 v1, 0
	s_mov_b32 s26, -1
	s_mov_b32 s23, 0
	global_store_b8 v[2:3], v1, off
.LBB71_398:
	s_mov_b32 s27, 0
.LBB71_399:
	s_delay_alu instid0(SALU_CYCLE_1)
	s_and_b32 vcc_lo, exec_lo, s27
	s_cbranch_vccz .LBB71_402
; %bb.400:
	s_cmp_eq_u32 s25, 29
	s_mov_b32 s23, -1
	s_cbranch_scc0 .LBB71_402
; %bb.401:
	v_mov_b64_e32 v[4:5], 0
	s_mov_b32 s26, -1
	s_mov_b32 s23, 0
	s_mov_b32 s27, 0
	global_store_b64 v[2:3], v[4:5], off
	s_branch .LBB71_403
.LBB71_402:
	s_mov_b32 s27, 0
.LBB71_403:
	s_delay_alu instid0(SALU_CYCLE_1)
	s_and_b32 vcc_lo, exec_lo, s27
	s_cbranch_vccz .LBB71_413
; %bb.404:
	s_cmp_lt_i32 s25, 27
	s_mov_b32 s26, -1
	s_cbranch_scc1 .LBB71_410
; %bb.405:
	s_cmp_gt_i32 s25, 27
	s_cbranch_scc0 .LBB71_407
; %bb.406:
	s_wait_xcnt 0x0
	v_mov_b32_e32 v1, 0
	s_mov_b32 s26, 0
	global_store_b32 v[2:3], v1, off
.LBB71_407:
	s_and_not1_b32 vcc_lo, exec_lo, s26
	s_cbranch_vccnz .LBB71_409
; %bb.408:
	s_wait_xcnt 0x0
	v_mov_b32_e32 v1, 0
	global_store_b16 v[2:3], v1, off
.LBB71_409:
	s_mov_b32 s26, 0
.LBB71_410:
	s_delay_alu instid0(SALU_CYCLE_1)
	s_and_not1_b32 vcc_lo, exec_lo, s26
	s_cbranch_vccnz .LBB71_412
; %bb.411:
	s_wait_xcnt 0x0
	v_mov_b32_e32 v1, 0
	global_store_b8 v[2:3], v1, off
.LBB71_412:
	s_mov_b32 s26, -1
.LBB71_413:
	s_mov_b32 s27, 0
.LBB71_414:
	s_delay_alu instid0(SALU_CYCLE_1)
	s_and_b32 vcc_lo, exec_lo, s27
	s_cbranch_vccz .LBB71_433
; %bb.415:
	s_cmp_gt_i32 s25, 22
	s_mov_b32 s27, -1
	s_cbranch_scc0 .LBB71_425
; %bb.416:
	s_cmp_lt_i32 s25, 24
	s_mov_b32 s26, -1
	s_cbranch_scc1 .LBB71_422
; %bb.417:
	s_cmp_gt_i32 s25, 24
	s_cbranch_scc0 .LBB71_419
; %bb.418:
	s_wait_xcnt 0x0
	v_mov_b32_e32 v1, 0
	s_mov_b32 s26, 0
	global_store_b8 v[2:3], v1, off
.LBB71_419:
	s_and_not1_b32 vcc_lo, exec_lo, s26
	s_cbranch_vccnz .LBB71_421
; %bb.420:
	s_wait_xcnt 0x0
	v_mov_b32_e32 v1, 0
	global_store_b8 v[2:3], v1, off
.LBB71_421:
	s_mov_b32 s26, 0
.LBB71_422:
	s_delay_alu instid0(SALU_CYCLE_1)
	s_and_not1_b32 vcc_lo, exec_lo, s26
	s_cbranch_vccnz .LBB71_424
; %bb.423:
	s_wait_xcnt 0x0
	v_mov_b32_e32 v1, 0
	global_store_b8 v[2:3], v1, off
.LBB71_424:
	s_mov_b32 s27, 0
	s_mov_b32 s26, -1
.LBB71_425:
	s_and_not1_b32 vcc_lo, exec_lo, s27
	s_cbranch_vccnz .LBB71_433
; %bb.426:
	s_cmp_gt_i32 s25, 14
	s_mov_b32 s27, -1
	s_cbranch_scc0 .LBB71_430
; %bb.427:
	s_cmp_eq_u32 s25, 15
	s_mov_b32 s23, -1
	s_cbranch_scc0 .LBB71_429
; %bb.428:
	s_wait_xcnt 0x0
	v_mov_b32_e32 v1, 0
	s_mov_b32 s26, -1
	s_mov_b32 s23, 0
	global_store_b16 v[2:3], v1, off
.LBB71_429:
	s_mov_b32 s27, 0
.LBB71_430:
	s_delay_alu instid0(SALU_CYCLE_1)
	s_and_b32 vcc_lo, exec_lo, s27
	s_cbranch_vccz .LBB71_433
; %bb.431:
	s_cmp_eq_u32 s25, 11
	s_mov_b32 s23, -1
	s_cbranch_scc0 .LBB71_433
; %bb.432:
	s_wait_xcnt 0x0
	v_mov_b32_e32 v1, 0
	s_mov_b32 s26, -1
	s_mov_b32 s23, 0
	global_store_b8 v[2:3], v1, off
.LBB71_433:
	s_mov_b32 s25, 0
.LBB71_434:
	s_delay_alu instid0(SALU_CYCLE_1)
	s_and_b32 vcc_lo, exec_lo, s25
	s_cbranch_vccz .LBB71_473
; %bb.435:
	s_and_b32 s24, 0xffff, s24
	s_mov_b32 s25, -1
	s_cmp_lt_i32 s24, 5
	s_cbranch_scc1 .LBB71_456
; %bb.436:
	s_cmp_lt_i32 s24, 8
	s_cbranch_scc1 .LBB71_446
; %bb.437:
	;; [unrolled: 3-line block ×3, first 2 shown]
	s_cmp_gt_i32 s24, 9
	s_cbranch_scc0 .LBB71_440
; %bb.439:
	s_wait_xcnt 0x0
	v_mov_b32_e32 v4, 0
	s_mov_b32 s25, 0
	s_delay_alu instid0(VALU_DEP_1)
	v_dual_mov_b32 v5, v4 :: v_dual_mov_b32 v6, v4
	v_mov_b32_e32 v7, v4
	global_store_b128 v[2:3], v[4:7], off
.LBB71_440:
	s_and_not1_b32 vcc_lo, exec_lo, s25
	s_cbranch_vccnz .LBB71_442
; %bb.441:
	s_wait_xcnt 0x0
	v_mov_b64_e32 v[4:5], 0
	global_store_b64 v[2:3], v[4:5], off
.LBB71_442:
	s_mov_b32 s25, 0
.LBB71_443:
	s_delay_alu instid0(SALU_CYCLE_1)
	s_and_not1_b32 vcc_lo, exec_lo, s25
	s_cbranch_vccnz .LBB71_445
; %bb.444:
	s_wait_xcnt 0x0
	v_mov_b32_e32 v1, 0
	global_store_b32 v[2:3], v1, off
.LBB71_445:
	s_mov_b32 s25, 0
.LBB71_446:
	s_delay_alu instid0(SALU_CYCLE_1)
	s_and_not1_b32 vcc_lo, exec_lo, s25
	s_cbranch_vccnz .LBB71_455
; %bb.447:
	s_cmp_lt_i32 s24, 6
	s_mov_b32 s25, -1
	s_cbranch_scc1 .LBB71_453
; %bb.448:
	s_cmp_gt_i32 s24, 6
	s_cbranch_scc0 .LBB71_450
; %bb.449:
	s_wait_xcnt 0x0
	v_mov_b64_e32 v[4:5], 0
	s_mov_b32 s25, 0
	global_store_b64 v[2:3], v[4:5], off
.LBB71_450:
	s_and_not1_b32 vcc_lo, exec_lo, s25
	s_cbranch_vccnz .LBB71_452
; %bb.451:
	s_wait_xcnt 0x0
	v_mov_b32_e32 v1, 0
	global_store_b32 v[2:3], v1, off
.LBB71_452:
	s_mov_b32 s25, 0
.LBB71_453:
	s_delay_alu instid0(SALU_CYCLE_1)
	s_and_not1_b32 vcc_lo, exec_lo, s25
	s_cbranch_vccnz .LBB71_455
; %bb.454:
	s_wait_xcnt 0x0
	v_mov_b32_e32 v1, 0
	global_store_b16 v[2:3], v1, off
.LBB71_455:
	s_mov_b32 s25, 0
.LBB71_456:
	s_delay_alu instid0(SALU_CYCLE_1)
	s_and_not1_b32 vcc_lo, exec_lo, s25
	s_cbranch_vccnz .LBB71_472
; %bb.457:
	s_cmp_lt_i32 s24, 2
	s_mov_b32 s25, -1
	s_cbranch_scc1 .LBB71_467
; %bb.458:
	s_cmp_lt_i32 s24, 3
	s_cbranch_scc1 .LBB71_464
; %bb.459:
	s_cmp_gt_i32 s24, 3
	s_cbranch_scc0 .LBB71_461
; %bb.460:
	s_wait_xcnt 0x0
	v_mov_b64_e32 v[4:5], 0
	s_mov_b32 s25, 0
	global_store_b64 v[2:3], v[4:5], off
.LBB71_461:
	s_and_not1_b32 vcc_lo, exec_lo, s25
	s_cbranch_vccnz .LBB71_463
; %bb.462:
	s_wait_xcnt 0x0
	v_mov_b32_e32 v1, 0
	global_store_b32 v[2:3], v1, off
.LBB71_463:
	s_mov_b32 s25, 0
.LBB71_464:
	s_delay_alu instid0(SALU_CYCLE_1)
	s_and_not1_b32 vcc_lo, exec_lo, s25
	s_cbranch_vccnz .LBB71_466
; %bb.465:
	s_wait_xcnt 0x0
	v_mov_b32_e32 v1, 0
	global_store_b16 v[2:3], v1, off
.LBB71_466:
	s_mov_b32 s25, 0
.LBB71_467:
	s_delay_alu instid0(SALU_CYCLE_1)
	s_and_not1_b32 vcc_lo, exec_lo, s25
	s_cbranch_vccnz .LBB71_472
; %bb.468:
	s_cmp_gt_i32 s24, 0
	s_mov_b32 s24, -1
	s_cbranch_scc0 .LBB71_470
; %bb.469:
	s_wait_xcnt 0x0
	v_mov_b32_e32 v1, 0
	s_mov_b32 s24, 0
	global_store_b8 v[2:3], v1, off
.LBB71_470:
	s_and_not1_b32 vcc_lo, exec_lo, s24
	s_cbranch_vccnz .LBB71_472
; %bb.471:
	s_wait_xcnt 0x0
	v_mov_b32_e32 v1, 0
	global_store_b8 v[2:3], v1, off
.LBB71_472:
	s_mov_b32 s26, -1
.LBB71_473:
	s_delay_alu instid0(SALU_CYCLE_1)
	s_and_not1_b32 vcc_lo, exec_lo, s26
	s_cbranch_vccnz .LBB71_475
; %bb.474:
	v_add_nc_u32_e32 v0, 0x80, v0
	s_mov_b32 s26, -1
	s_branch .LBB71_476
.LBB71_475:
	s_mov_b32 s26, 0
                                        ; implicit-def: $vgpr0
.LBB71_476:
	s_and_not1_b32 s24, s42, exec_lo
	s_and_b32 s23, s23, exec_lo
	s_delay_alu instid0(SALU_CYCLE_1)
	s_or_b32 s25, s24, s23
	s_xor_b32 s24, exec_lo, -1
	s_and_b32 s23, s26, exec_lo
.LBB71_477:
	s_wait_xcnt 0x0
	s_or_b32 exec_lo, exec_lo, s0
.LBB71_478:
	s_delay_alu instid0(SALU_CYCLE_1)
	s_and_not1_b32 s0, s42, exec_lo
	s_and_b32 s25, s25, exec_lo
	s_and_b32 s24, s24, exec_lo
	s_or_b32 s47, s0, s25
	s_and_not1_b32 s0, s43, exec_lo
	s_and_not1_b32 s25, s44, exec_lo
	s_and_b32 s22, s22, exec_lo
	s_or_b32 s48, s0, s24
	s_or_b32 s46, s25, s22
	s_or_not1_b32 s0, s23, exec_lo
.LBB71_479:
	s_wait_xcnt 0x0
	s_or_b32 exec_lo, exec_lo, s49
	s_mov_b32 s22, 0
	s_mov_b32 s23, 0
	;; [unrolled: 1-line block ×3, first 2 shown]
                                        ; implicit-def: $vgpr4_vgpr5
                                        ; implicit-def: $vgpr2
                                        ; implicit-def: $vgpr1
	s_and_saveexec_b32 s49, s0
	s_cbranch_execz .LBB71_816
; %bb.480:
	s_mov_b32 s25, -1
	s_mov_b32 s0, s46
	s_mov_b32 s27, s48
	s_mov_b32 s26, s47
	s_mov_b32 s50, exec_lo
	v_cmpx_gt_i32_e64 s39, v0
	s_cbranch_execz .LBB71_721
; %bb.481:
	s_and_not1_b32 vcc_lo, exec_lo, s31
	s_cbranch_vccnz .LBB71_487
; %bb.482:
	s_and_not1_b32 vcc_lo, exec_lo, s41
	s_cbranch_vccnz .LBB71_488
; %bb.483:
	s_add_co_i32 s0, s40, 1
	s_cmp_eq_u32 s29, 2
	s_cbranch_scc1 .LBB71_489
; %bb.484:
	v_dual_mov_b32 v2, 0 :: v_dual_mov_b32 v4, 0
	s_wait_loadcnt 0x0
	v_mov_b32_e32 v1, v0
	s_and_b32 s22, s0, 28
	s_mov_b64 s[24:25], s[2:3]
	s_mov_b64 s[26:27], s[20:21]
.LBB71_485:                             ; =>This Inner Loop Header: Depth=1
	s_clause 0x1
	s_load_b256 s[52:59], s[24:25], 0x4
	s_load_b128 s[68:71], s[24:25], 0x24
	s_load_b256 s[60:67], s[26:27], 0x0
	s_add_co_i32 s23, s23, 4
	s_wait_xcnt 0x0
	s_add_nc_u64 s[24:25], s[24:25], 48
	s_cmp_eq_u32 s22, s23
	s_add_nc_u64 s[26:27], s[26:27], 32
	s_wait_kmcnt 0x0
	v_mul_hi_u32 v3, s53, v1
	s_delay_alu instid0(VALU_DEP_1) | instskip(NEXT) | instid1(VALU_DEP_1)
	v_add_nc_u32_e32 v3, v1, v3
	v_lshrrev_b32_e32 v3, s54, v3
	s_delay_alu instid0(VALU_DEP_1) | instskip(NEXT) | instid1(VALU_DEP_1)
	v_mul_hi_u32 v5, s56, v3
	v_add_nc_u32_e32 v5, v3, v5
	s_delay_alu instid0(VALU_DEP_1) | instskip(NEXT) | instid1(VALU_DEP_1)
	v_lshrrev_b32_e32 v5, s57, v5
	v_mul_hi_u32 v6, s59, v5
	s_delay_alu instid0(VALU_DEP_1) | instskip(SKIP_1) | instid1(VALU_DEP_1)
	v_add_nc_u32_e32 v6, v5, v6
	v_mul_lo_u32 v7, v3, s52
	v_sub_nc_u32_e32 v1, v1, v7
	v_mul_lo_u32 v7, v5, s55
	s_delay_alu instid0(VALU_DEP_4) | instskip(NEXT) | instid1(VALU_DEP_3)
	v_lshrrev_b32_e32 v6, s68, v6
	v_mad_u32 v4, v1, s61, v4
	v_mad_u32 v1, v1, s60, v2
	s_delay_alu instid0(VALU_DEP_4) | instskip(NEXT) | instid1(VALU_DEP_4)
	v_sub_nc_u32_e32 v2, v3, v7
	v_mul_hi_u32 v8, s70, v6
	v_mul_lo_u32 v3, v6, s58
	s_delay_alu instid0(VALU_DEP_3) | instskip(SKIP_1) | instid1(VALU_DEP_3)
	v_mad_u32 v4, v2, s63, v4
	v_mad_u32 v2, v2, s62, v1
	v_dual_add_nc_u32 v7, v6, v8 :: v_dual_sub_nc_u32 v3, v5, v3
	s_delay_alu instid0(VALU_DEP_1) | instskip(NEXT) | instid1(VALU_DEP_2)
	v_lshrrev_b32_e32 v1, s71, v7
	v_mad_u32 v4, v3, s65, v4
	s_delay_alu instid0(VALU_DEP_4) | instskip(NEXT) | instid1(VALU_DEP_3)
	v_mad_u32 v2, v3, s64, v2
	v_mul_lo_u32 v5, v1, s69
	s_delay_alu instid0(VALU_DEP_1) | instskip(NEXT) | instid1(VALU_DEP_1)
	v_sub_nc_u32_e32 v3, v6, v5
	v_mad_u32 v4, v3, s67, v4
	s_delay_alu instid0(VALU_DEP_4)
	v_mad_u32 v2, v3, s66, v2
	s_cbranch_scc0 .LBB71_485
; %bb.486:
	s_delay_alu instid0(VALU_DEP_2)
	v_mov_b32_e32 v3, v4
	s_branch .LBB71_490
.LBB71_487:
	s_mov_b32 s0, -1
                                        ; implicit-def: $vgpr4
                                        ; implicit-def: $vgpr2
	s_branch .LBB71_495
.LBB71_488:
	v_dual_mov_b32 v4, 0 :: v_dual_mov_b32 v2, 0
	s_branch .LBB71_494
.LBB71_489:
	v_mov_b64_e32 v[2:3], 0
	s_wait_loadcnt 0x0
	v_mov_b32_e32 v1, v0
                                        ; implicit-def: $vgpr4
.LBB71_490:
	s_and_b32 s0, s0, 3
	s_mov_b32 s23, 0
	s_cmp_eq_u32 s0, 0
	s_cbranch_scc1 .LBB71_494
; %bb.491:
	s_lshl_b32 s24, s22, 3
	s_mov_b32 s25, s23
	s_mul_u64 s[26:27], s[22:23], 12
	s_add_nc_u64 s[24:25], s[2:3], s[24:25]
	s_delay_alu instid0(SALU_CYCLE_1)
	s_add_nc_u64 s[22:23], s[24:25], 0xc4
	s_add_nc_u64 s[24:25], s[2:3], s[26:27]
.LBB71_492:                             ; =>This Inner Loop Header: Depth=1
	s_load_b96 s[52:54], s[24:25], 0x4
	s_load_b64 s[26:27], s[22:23], 0x0
	s_add_co_i32 s0, s0, -1
	s_wait_xcnt 0x0
	s_add_nc_u64 s[24:25], s[24:25], 12
	s_cmp_lg_u32 s0, 0
	s_add_nc_u64 s[22:23], s[22:23], 8
	s_wait_kmcnt 0x0
	v_mul_hi_u32 v4, s53, v1
	s_delay_alu instid0(VALU_DEP_1) | instskip(NEXT) | instid1(VALU_DEP_1)
	v_add_nc_u32_e32 v4, v1, v4
	v_lshrrev_b32_e32 v4, s54, v4
	s_delay_alu instid0(VALU_DEP_1) | instskip(NEXT) | instid1(VALU_DEP_1)
	v_mul_lo_u32 v5, v4, s52
	v_sub_nc_u32_e32 v1, v1, v5
	s_delay_alu instid0(VALU_DEP_1)
	v_mad_u32 v3, v1, s27, v3
	v_mad_u32 v2, v1, s26, v2
	v_mov_b32_e32 v1, v4
	s_cbranch_scc1 .LBB71_492
; %bb.493:
	s_delay_alu instid0(VALU_DEP_3)
	v_mov_b32_e32 v4, v3
.LBB71_494:
	s_mov_b32 s0, 0
.LBB71_495:
	s_delay_alu instid0(SALU_CYCLE_1)
	s_and_not1_b32 vcc_lo, exec_lo, s0
	s_cbranch_vccnz .LBB71_498
; %bb.496:
	s_wait_loadcnt 0x0
	v_mov_b32_e32 v1, 0
	s_and_not1_b32 vcc_lo, exec_lo, s38
	s_delay_alu instid0(VALU_DEP_1) | instskip(NEXT) | instid1(VALU_DEP_1)
	v_mul_u64_e32 v[2:3], s[16:17], v[0:1]
	v_add_nc_u32_e32 v2, v0, v3
	s_delay_alu instid0(VALU_DEP_1) | instskip(NEXT) | instid1(VALU_DEP_1)
	v_lshrrev_b32_e32 v6, s10, v2
	v_mul_lo_u32 v2, v6, s8
	s_delay_alu instid0(VALU_DEP_1) | instskip(NEXT) | instid1(VALU_DEP_1)
	v_sub_nc_u32_e32 v2, v0, v2
	v_mul_lo_u32 v4, v2, s13
	v_mul_lo_u32 v2, v2, s12
	s_cbranch_vccnz .LBB71_498
; %bb.497:
	v_mov_b32_e32 v7, v1
	s_delay_alu instid0(VALU_DEP_1) | instskip(NEXT) | instid1(VALU_DEP_1)
	v_mul_u64_e32 v[8:9], s[18:19], v[6:7]
	v_add_nc_u32_e32 v1, v6, v9
	s_delay_alu instid0(VALU_DEP_1) | instskip(NEXT) | instid1(VALU_DEP_1)
	v_lshrrev_b32_e32 v1, s1, v1
	v_mul_lo_u32 v1, v1, s11
	s_delay_alu instid0(VALU_DEP_1) | instskip(NEXT) | instid1(VALU_DEP_1)
	v_sub_nc_u32_e32 v1, v6, v1
	v_mad_u32 v2, v1, s14, v2
	v_mad_u32 v4, v1, s15, v4
.LBB71_498:
	v_mov_b32_e32 v5, 0
	s_and_b32 s0, 0xffff, s37
	s_delay_alu instid0(SALU_CYCLE_1) | instskip(NEXT) | instid1(VALU_DEP_1)
	s_cmp_lt_i32 s0, 11
	v_add_nc_u64_e32 v[4:5], s[6:7], v[4:5]
	s_cbranch_scc1 .LBB71_505
; %bb.499:
	s_cmp_gt_i32 s0, 25
	s_cbranch_scc0 .LBB71_506
; %bb.500:
	s_cmp_gt_i32 s0, 28
	s_cbranch_scc0 .LBB71_507
	;; [unrolled: 3-line block ×4, first 2 shown]
; %bb.503:
	s_cmp_eq_u32 s0, 46
	s_mov_b32 s24, 0
	s_cbranch_scc0 .LBB71_510
; %bb.504:
	s_wait_loadcnt 0x0
	global_load_b32 v1, v[4:5], off
	s_mov_b32 s23, -1
	s_mov_b32 s22, 0
	s_wait_loadcnt 0x0
	v_lshlrev_b32_e32 v1, 16, v1
	s_delay_alu instid0(VALU_DEP_1)
	v_cvt_i32_f32_e32 v1, v1
	s_branch .LBB71_512
.LBB71_505:
	s_mov_b32 s24, -1
	s_mov_b32 s23, 0
	s_mov_b32 s22, s46
                                        ; implicit-def: $vgpr1
	s_branch .LBB71_573
.LBB71_506:
	s_mov_b32 s24, -1
	s_mov_b32 s23, 0
	s_mov_b32 s22, s46
                                        ; implicit-def: $vgpr1
	s_branch .LBB71_539
.LBB71_507:
	s_mov_b32 s24, -1
	s_mov_b32 s23, 0
	s_mov_b32 s22, s46
                                        ; implicit-def: $vgpr1
	s_branch .LBB71_522
.LBB71_508:
	s_mov_b32 s24, -1
	s_mov_b32 s23, 0
	s_mov_b32 s22, s46
                                        ; implicit-def: $vgpr1
	s_branch .LBB71_517
.LBB71_509:
	s_mov_b32 s24, -1
	s_mov_b32 s23, 0
	s_mov_b32 s22, s46
	s_branch .LBB71_511
.LBB71_510:
	s_mov_b32 s22, -1
	s_mov_b32 s23, 0
.LBB71_511:
                                        ; implicit-def: $vgpr1
.LBB71_512:
	s_and_b32 vcc_lo, exec_lo, s24
	s_cbranch_vccz .LBB71_516
; %bb.513:
	s_cmp_eq_u32 s0, 44
	s_cbranch_scc0 .LBB71_515
; %bb.514:
	s_wait_loadcnt 0x0
	global_load_u8 v1, v[4:5], off
	s_mov_b32 s22, 0
	s_mov_b32 s23, -1
	s_wait_loadcnt 0x0
	v_lshlrev_b32_e32 v3, 23, v1
	v_cmp_ne_u32_e32 vcc_lo, 0, v1
	s_delay_alu instid0(VALU_DEP_2) | instskip(NEXT) | instid1(VALU_DEP_1)
	v_cvt_i32_f32_e32 v3, v3
	v_cndmask_b32_e32 v1, 0, v3, vcc_lo
	s_branch .LBB71_516
.LBB71_515:
	s_mov_b32 s22, -1
                                        ; implicit-def: $vgpr1
.LBB71_516:
	s_mov_b32 s24, 0
.LBB71_517:
	s_delay_alu instid0(SALU_CYCLE_1)
	s_and_b32 vcc_lo, exec_lo, s24
	s_cbranch_vccz .LBB71_521
; %bb.518:
	s_cmp_eq_u32 s0, 29
	s_cbranch_scc0 .LBB71_520
; %bb.519:
	s_wait_loadcnt 0x0
	global_load_b32 v1, v[4:5], off
	s_mov_b32 s23, -1
	s_mov_b32 s22, 0
	s_branch .LBB71_521
.LBB71_520:
	s_mov_b32 s22, -1
                                        ; implicit-def: $vgpr1
.LBB71_521:
	s_mov_b32 s24, 0
.LBB71_522:
	s_delay_alu instid0(SALU_CYCLE_1)
	s_and_b32 vcc_lo, exec_lo, s24
	s_cbranch_vccz .LBB71_538
; %bb.523:
	s_cmp_lt_i32 s0, 27
	s_cbranch_scc1 .LBB71_526
; %bb.524:
	s_cmp_gt_i32 s0, 27
	s_cbranch_scc0 .LBB71_527
; %bb.525:
	s_wait_loadcnt 0x0
	global_load_b32 v1, v[4:5], off
	s_mov_b32 s23, 0
	s_branch .LBB71_528
.LBB71_526:
	s_mov_b32 s23, -1
                                        ; implicit-def: $vgpr1
	s_branch .LBB71_531
.LBB71_527:
	s_mov_b32 s23, -1
                                        ; implicit-def: $vgpr1
.LBB71_528:
	s_delay_alu instid0(SALU_CYCLE_1)
	s_and_not1_b32 vcc_lo, exec_lo, s23
	s_cbranch_vccnz .LBB71_530
; %bb.529:
	s_wait_loadcnt 0x0
	global_load_u16 v1, v[4:5], off
.LBB71_530:
	s_mov_b32 s23, 0
.LBB71_531:
	s_delay_alu instid0(SALU_CYCLE_1)
	s_and_not1_b32 vcc_lo, exec_lo, s23
	s_cbranch_vccnz .LBB71_537
; %bb.532:
	global_load_u8 v3, v[4:5], off
	s_mov_b32 s24, 0
	s_mov_b32 s23, exec_lo
	s_wait_loadcnt 0x0
	v_cmpx_lt_i16_e32 0x7f, v3
	s_xor_b32 s23, exec_lo, s23
	s_cbranch_execz .LBB71_549
; %bb.533:
	v_cmp_ne_u16_e32 vcc_lo, 0x80, v3
	s_and_b32 s24, vcc_lo, exec_lo
	s_and_not1_saveexec_b32 s23, s23
	s_cbranch_execnz .LBB71_550
.LBB71_534:
	s_or_b32 exec_lo, exec_lo, s23
	v_mov_b32_e32 v1, 0
	s_and_saveexec_b32 s23, s24
	s_cbranch_execz .LBB71_536
.LBB71_535:
	v_and_b32_e32 v1, 0xffff, v3
	s_delay_alu instid0(VALU_DEP_1) | instskip(SKIP_1) | instid1(VALU_DEP_2)
	v_and_b32_e32 v6, 7, v1
	v_bfe_u32 v9, v1, 3, 4
	v_clz_i32_u32_e32 v7, v6
	s_delay_alu instid0(VALU_DEP_2) | instskip(NEXT) | instid1(VALU_DEP_2)
	v_cmp_eq_u32_e32 vcc_lo, 0, v9
	v_min_u32_e32 v7, 32, v7
	s_delay_alu instid0(VALU_DEP_1) | instskip(NEXT) | instid1(VALU_DEP_1)
	v_subrev_nc_u32_e32 v8, 28, v7
	v_dual_lshlrev_b32 v1, v8, v1 :: v_dual_sub_nc_u32 v7, 29, v7
	s_delay_alu instid0(VALU_DEP_1) | instskip(NEXT) | instid1(VALU_DEP_1)
	v_dual_lshlrev_b32 v3, 24, v3 :: v_dual_bitop2_b32 v1, 7, v1 bitop3:0x40
	v_dual_cndmask_b32 v1, v6, v1, vcc_lo :: v_dual_cndmask_b32 v7, v9, v7, vcc_lo
	s_delay_alu instid0(VALU_DEP_2) | instskip(NEXT) | instid1(VALU_DEP_2)
	v_and_b32_e32 v3, 0x80000000, v3
	v_lshlrev_b32_e32 v1, 20, v1
	s_delay_alu instid0(VALU_DEP_3) | instskip(NEXT) | instid1(VALU_DEP_1)
	v_lshl_add_u32 v6, v7, 23, 0x3b800000
	v_or3_b32 v1, v3, v6, v1
	s_delay_alu instid0(VALU_DEP_1)
	v_cvt_i32_f32_e32 v1, v1
.LBB71_536:
	s_or_b32 exec_lo, exec_lo, s23
.LBB71_537:
	s_mov_b32 s23, -1
.LBB71_538:
	s_mov_b32 s24, 0
.LBB71_539:
	s_delay_alu instid0(SALU_CYCLE_1)
	s_and_b32 vcc_lo, exec_lo, s24
	s_cbranch_vccz .LBB71_572
; %bb.540:
	s_cmp_gt_i32 s0, 22
	s_cbranch_scc0 .LBB71_548
; %bb.541:
	s_cmp_lt_i32 s0, 24
	s_cbranch_scc1 .LBB71_551
; %bb.542:
	s_cmp_gt_i32 s0, 24
	s_cbranch_scc0 .LBB71_552
; %bb.543:
	global_load_u8 v3, v[4:5], off
	s_mov_b32 s24, 0
	s_mov_b32 s23, exec_lo
	s_wait_loadcnt 0x0
	v_cmpx_lt_i16_e32 0x7f, v3
	s_xor_b32 s23, exec_lo, s23
	s_cbranch_execz .LBB71_564
; %bb.544:
	v_cmp_ne_u16_e32 vcc_lo, 0x80, v3
	s_and_b32 s24, vcc_lo, exec_lo
	s_and_not1_saveexec_b32 s23, s23
	s_cbranch_execnz .LBB71_565
.LBB71_545:
	s_or_b32 exec_lo, exec_lo, s23
	v_mov_b32_e32 v1, 0
	s_and_saveexec_b32 s23, s24
	s_cbranch_execz .LBB71_547
.LBB71_546:
	v_and_b32_e32 v1, 0xffff, v3
	s_delay_alu instid0(VALU_DEP_1) | instskip(SKIP_1) | instid1(VALU_DEP_2)
	v_and_b32_e32 v6, 3, v1
	v_bfe_u32 v9, v1, 2, 5
	v_clz_i32_u32_e32 v7, v6
	s_delay_alu instid0(VALU_DEP_2) | instskip(NEXT) | instid1(VALU_DEP_2)
	v_cmp_eq_u32_e32 vcc_lo, 0, v9
	v_min_u32_e32 v7, 32, v7
	s_delay_alu instid0(VALU_DEP_1) | instskip(NEXT) | instid1(VALU_DEP_1)
	v_subrev_nc_u32_e32 v8, 29, v7
	v_dual_lshlrev_b32 v1, v8, v1 :: v_dual_sub_nc_u32 v7, 30, v7
	s_delay_alu instid0(VALU_DEP_1) | instskip(NEXT) | instid1(VALU_DEP_1)
	v_dual_lshlrev_b32 v3, 24, v3 :: v_dual_bitop2_b32 v1, 3, v1 bitop3:0x40
	v_dual_cndmask_b32 v1, v6, v1, vcc_lo :: v_dual_cndmask_b32 v7, v9, v7, vcc_lo
	s_delay_alu instid0(VALU_DEP_2) | instskip(NEXT) | instid1(VALU_DEP_2)
	v_and_b32_e32 v3, 0x80000000, v3
	v_lshlrev_b32_e32 v1, 21, v1
	s_delay_alu instid0(VALU_DEP_3) | instskip(NEXT) | instid1(VALU_DEP_1)
	v_lshl_add_u32 v6, v7, 23, 0x37800000
	v_or3_b32 v1, v3, v6, v1
	s_delay_alu instid0(VALU_DEP_1)
	v_cvt_i32_f32_e32 v1, v1
.LBB71_547:
	s_or_b32 exec_lo, exec_lo, s23
	s_mov_b32 s23, 0
	s_branch .LBB71_553
.LBB71_548:
	s_mov_b32 s24, -1
                                        ; implicit-def: $vgpr1
	s_branch .LBB71_559
.LBB71_549:
	s_and_not1_saveexec_b32 s23, s23
	s_cbranch_execz .LBB71_534
.LBB71_550:
	v_cmp_ne_u16_e32 vcc_lo, 0, v3
	s_and_not1_b32 s24, s24, exec_lo
	s_and_b32 s25, vcc_lo, exec_lo
	s_delay_alu instid0(SALU_CYCLE_1)
	s_or_b32 s24, s24, s25
	s_or_b32 exec_lo, exec_lo, s23
	v_mov_b32_e32 v1, 0
	s_and_saveexec_b32 s23, s24
	s_cbranch_execnz .LBB71_535
	s_branch .LBB71_536
.LBB71_551:
	s_mov_b32 s23, -1
                                        ; implicit-def: $vgpr1
	s_branch .LBB71_556
.LBB71_552:
	s_mov_b32 s23, -1
                                        ; implicit-def: $vgpr1
.LBB71_553:
	s_delay_alu instid0(SALU_CYCLE_1)
	s_and_b32 vcc_lo, exec_lo, s23
	s_cbranch_vccz .LBB71_555
; %bb.554:
	s_wait_loadcnt 0x0
	global_load_u8 v1, v[4:5], off
	s_wait_loadcnt 0x0
	v_lshlrev_b32_e32 v1, 24, v1
	s_delay_alu instid0(VALU_DEP_1) | instskip(NEXT) | instid1(VALU_DEP_1)
	v_and_b32_e32 v3, 0x7f000000, v1
	v_clz_i32_u32_e32 v6, v3
	v_cmp_ne_u32_e32 vcc_lo, 0, v3
	v_add_nc_u32_e32 v8, 0x1000000, v3
	s_delay_alu instid0(VALU_DEP_3) | instskip(NEXT) | instid1(VALU_DEP_1)
	v_min_u32_e32 v6, 32, v6
	v_sub_nc_u32_e64 v6, v6, 4 clamp
	s_delay_alu instid0(VALU_DEP_1) | instskip(NEXT) | instid1(VALU_DEP_1)
	v_dual_lshlrev_b32 v7, v6, v3 :: v_dual_lshlrev_b32 v6, 23, v6
	v_lshrrev_b32_e32 v7, 4, v7
	s_delay_alu instid0(VALU_DEP_1) | instskip(NEXT) | instid1(VALU_DEP_1)
	v_dual_sub_nc_u32 v6, v7, v6 :: v_dual_ashrrev_i32 v7, 8, v8
	v_add_nc_u32_e32 v6, 0x3c000000, v6
	s_delay_alu instid0(VALU_DEP_1) | instskip(NEXT) | instid1(VALU_DEP_1)
	v_and_or_b32 v6, 0x7f800000, v7, v6
	v_cndmask_b32_e32 v3, 0, v6, vcc_lo
	s_delay_alu instid0(VALU_DEP_1) | instskip(NEXT) | instid1(VALU_DEP_1)
	v_and_or_b32 v1, 0x80000000, v1, v3
	v_cvt_i32_f32_e32 v1, v1
.LBB71_555:
	s_mov_b32 s23, 0
.LBB71_556:
	s_delay_alu instid0(SALU_CYCLE_1)
	s_and_not1_b32 vcc_lo, exec_lo, s23
	s_cbranch_vccnz .LBB71_558
; %bb.557:
	s_wait_loadcnt 0x0
	global_load_u8 v1, v[4:5], off
	s_wait_loadcnt 0x0
	v_lshlrev_b32_e32 v3, 25, v1
	v_lshlrev_b16 v1, 8, v1
	s_delay_alu instid0(VALU_DEP_1) | instskip(SKIP_1) | instid1(VALU_DEP_2)
	v_and_or_b32 v7, 0x7f00, v1, 0.5
	v_bfe_i32 v1, v1, 0, 16
	v_add_f32_e32 v7, -0.5, v7
	v_lshrrev_b32_e32 v6, 4, v3
	v_cmp_gt_u32_e32 vcc_lo, 0x8000000, v3
	s_delay_alu instid0(VALU_DEP_2) | instskip(NEXT) | instid1(VALU_DEP_1)
	v_or_b32_e32 v6, 0x70000000, v6
	v_mul_f32_e32 v6, 0x7800000, v6
	s_delay_alu instid0(VALU_DEP_1) | instskip(NEXT) | instid1(VALU_DEP_1)
	v_cndmask_b32_e32 v3, v6, v7, vcc_lo
	v_and_or_b32 v1, 0x80000000, v1, v3
	s_delay_alu instid0(VALU_DEP_1)
	v_cvt_i32_f32_e32 v1, v1
.LBB71_558:
	s_mov_b32 s24, 0
	s_mov_b32 s23, -1
.LBB71_559:
	s_and_not1_b32 vcc_lo, exec_lo, s24
	s_cbranch_vccnz .LBB71_572
; %bb.560:
	s_cmp_gt_i32 s0, 14
	s_cbranch_scc0 .LBB71_563
; %bb.561:
	s_cmp_eq_u32 s0, 15
	s_cbranch_scc0 .LBB71_566
; %bb.562:
	s_wait_loadcnt 0x0
	global_load_u16 v1, v[4:5], off
	s_mov_b32 s23, -1
	s_mov_b32 s22, 0
	s_wait_loadcnt 0x0
	v_lshlrev_b32_e32 v1, 16, v1
	s_delay_alu instid0(VALU_DEP_1)
	v_cvt_i32_f32_e32 v1, v1
	s_branch .LBB71_567
.LBB71_563:
	s_mov_b32 s24, -1
                                        ; implicit-def: $vgpr1
	s_branch .LBB71_568
.LBB71_564:
	s_and_not1_saveexec_b32 s23, s23
	s_cbranch_execz .LBB71_545
.LBB71_565:
	v_cmp_ne_u16_e32 vcc_lo, 0, v3
	s_and_not1_b32 s24, s24, exec_lo
	s_and_b32 s25, vcc_lo, exec_lo
	s_delay_alu instid0(SALU_CYCLE_1)
	s_or_b32 s24, s24, s25
	s_or_b32 exec_lo, exec_lo, s23
	v_mov_b32_e32 v1, 0
	s_and_saveexec_b32 s23, s24
	s_cbranch_execnz .LBB71_546
	s_branch .LBB71_547
.LBB71_566:
	s_mov_b32 s22, -1
                                        ; implicit-def: $vgpr1
.LBB71_567:
	s_mov_b32 s24, 0
.LBB71_568:
	s_delay_alu instid0(SALU_CYCLE_1)
	s_and_b32 vcc_lo, exec_lo, s24
	s_cbranch_vccz .LBB71_572
; %bb.569:
	s_cmp_eq_u32 s0, 11
	s_cbranch_scc0 .LBB71_571
; %bb.570:
	s_wait_loadcnt 0x0
	global_load_u8 v1, v[4:5], off
	s_mov_b32 s22, 0
	s_mov_b32 s23, -1
	s_wait_loadcnt 0x0
	v_cmp_ne_u16_e32 vcc_lo, 0, v1
	v_cndmask_b32_e64 v1, 0, 1, vcc_lo
	s_branch .LBB71_572
.LBB71_571:
	s_mov_b32 s22, -1
                                        ; implicit-def: $vgpr1
.LBB71_572:
	s_mov_b32 s24, 0
.LBB71_573:
	s_delay_alu instid0(SALU_CYCLE_1)
	s_and_b32 vcc_lo, exec_lo, s24
	s_cbranch_vccz .LBB71_622
; %bb.574:
	s_cmp_lt_i32 s0, 5
	s_cbranch_scc1 .LBB71_579
; %bb.575:
	s_cmp_lt_i32 s0, 8
	s_cbranch_scc1 .LBB71_580
	;; [unrolled: 3-line block ×3, first 2 shown]
; %bb.577:
	s_cmp_gt_i32 s0, 9
	s_cbranch_scc0 .LBB71_582
; %bb.578:
	global_load_b64 v[6:7], v[4:5], off
	s_mov_b32 s23, 0
	s_wait_loadcnt 0x0
	v_cvt_i32_f64_e32 v1, v[6:7]
	s_branch .LBB71_583
.LBB71_579:
	s_mov_b32 s23, -1
                                        ; implicit-def: $vgpr1
	s_branch .LBB71_601
.LBB71_580:
	s_mov_b32 s23, -1
                                        ; implicit-def: $vgpr1
	s_branch .LBB71_589
.LBB71_581:
	s_mov_b32 s23, -1
                                        ; implicit-def: $vgpr1
	s_branch .LBB71_586
.LBB71_582:
	s_mov_b32 s23, -1
                                        ; implicit-def: $vgpr1
.LBB71_583:
	s_delay_alu instid0(SALU_CYCLE_1)
	s_and_not1_b32 vcc_lo, exec_lo, s23
	s_cbranch_vccnz .LBB71_585
; %bb.584:
	s_wait_loadcnt 0x0
	global_load_b32 v1, v[4:5], off
	s_wait_loadcnt 0x0
	v_cvt_i32_f32_e32 v1, v1
.LBB71_585:
	s_mov_b32 s23, 0
.LBB71_586:
	s_delay_alu instid0(SALU_CYCLE_1)
	s_and_not1_b32 vcc_lo, exec_lo, s23
	s_cbranch_vccnz .LBB71_588
; %bb.587:
	s_wait_loadcnt 0x0
	global_load_b32 v1, v[4:5], off
	s_wait_loadcnt 0x0
	v_cvt_f32_f16_e32 v1, v1
	s_delay_alu instid0(VALU_DEP_1)
	v_cvt_i32_f32_e32 v1, v1
.LBB71_588:
	s_mov_b32 s23, 0
.LBB71_589:
	s_delay_alu instid0(SALU_CYCLE_1)
	s_and_not1_b32 vcc_lo, exec_lo, s23
	s_cbranch_vccnz .LBB71_600
; %bb.590:
	s_cmp_lt_i32 s0, 6
	s_cbranch_scc1 .LBB71_593
; %bb.591:
	s_cmp_gt_i32 s0, 6
	s_cbranch_scc0 .LBB71_594
; %bb.592:
	global_load_b64 v[6:7], v[4:5], off
	s_mov_b32 s23, 0
	s_wait_loadcnt 0x0
	v_cvt_i32_f64_e32 v1, v[6:7]
	s_branch .LBB71_595
.LBB71_593:
	s_mov_b32 s23, -1
                                        ; implicit-def: $vgpr1
	s_branch .LBB71_598
.LBB71_594:
	s_mov_b32 s23, -1
                                        ; implicit-def: $vgpr1
.LBB71_595:
	s_delay_alu instid0(SALU_CYCLE_1)
	s_and_not1_b32 vcc_lo, exec_lo, s23
	s_cbranch_vccnz .LBB71_597
; %bb.596:
	s_wait_loadcnt 0x0
	global_load_b32 v1, v[4:5], off
	s_wait_loadcnt 0x0
	v_cvt_i32_f32_e32 v1, v1
.LBB71_597:
	s_mov_b32 s23, 0
.LBB71_598:
	s_delay_alu instid0(SALU_CYCLE_1)
	s_and_not1_b32 vcc_lo, exec_lo, s23
	s_cbranch_vccnz .LBB71_600
; %bb.599:
	s_wait_loadcnt 0x0
	global_load_u16 v1, v[4:5], off
	s_wait_loadcnt 0x0
	v_cvt_f32_f16_e32 v1, v1
	s_delay_alu instid0(VALU_DEP_1)
	v_cvt_i32_f32_e32 v1, v1
.LBB71_600:
	s_mov_b32 s23, 0
.LBB71_601:
	s_delay_alu instid0(SALU_CYCLE_1)
	s_and_not1_b32 vcc_lo, exec_lo, s23
	s_cbranch_vccnz .LBB71_621
; %bb.602:
	s_cmp_lt_i32 s0, 2
	s_cbranch_scc1 .LBB71_606
; %bb.603:
	s_cmp_lt_i32 s0, 3
	s_cbranch_scc1 .LBB71_607
; %bb.604:
	s_cmp_gt_i32 s0, 3
	s_cbranch_scc0 .LBB71_608
; %bb.605:
	s_wait_loadcnt 0x0
	global_load_b32 v1, v[4:5], off
	s_mov_b32 s23, 0
	s_branch .LBB71_609
.LBB71_606:
	s_mov_b32 s23, -1
                                        ; implicit-def: $vgpr1
	s_branch .LBB71_615
.LBB71_607:
	s_mov_b32 s23, -1
                                        ; implicit-def: $vgpr1
	s_branch .LBB71_612
.LBB71_608:
	s_mov_b32 s23, -1
                                        ; implicit-def: $vgpr1
.LBB71_609:
	s_delay_alu instid0(SALU_CYCLE_1)
	s_and_not1_b32 vcc_lo, exec_lo, s23
	s_cbranch_vccnz .LBB71_611
; %bb.610:
	s_wait_loadcnt 0x0
	global_load_b32 v1, v[4:5], off
.LBB71_611:
	s_mov_b32 s23, 0
.LBB71_612:
	s_delay_alu instid0(SALU_CYCLE_1)
	s_and_not1_b32 vcc_lo, exec_lo, s23
	s_cbranch_vccnz .LBB71_614
; %bb.613:
	s_wait_loadcnt 0x0
	global_load_i16 v1, v[4:5], off
.LBB71_614:
	s_mov_b32 s23, 0
.LBB71_615:
	s_delay_alu instid0(SALU_CYCLE_1)
	s_and_not1_b32 vcc_lo, exec_lo, s23
	s_cbranch_vccnz .LBB71_621
; %bb.616:
	s_cmp_gt_i32 s0, 0
	s_mov_b32 s0, 0
	s_cbranch_scc0 .LBB71_618
; %bb.617:
	s_wait_loadcnt 0x0
	global_load_i8 v1, v[4:5], off
	s_branch .LBB71_619
.LBB71_618:
	s_mov_b32 s0, -1
                                        ; implicit-def: $vgpr1
.LBB71_619:
	s_delay_alu instid0(SALU_CYCLE_1)
	s_and_not1_b32 vcc_lo, exec_lo, s0
	s_cbranch_vccnz .LBB71_621
; %bb.620:
	s_wait_loadcnt 0x0
	global_load_u8 v1, v[4:5], off
.LBB71_621:
	s_mov_b32 s23, -1
.LBB71_622:
	s_delay_alu instid0(SALU_CYCLE_1)
	s_and_not1_b32 vcc_lo, exec_lo, s23
	s_cbranch_vccnz .LBB71_631
; %bb.623:
	s_wait_loadcnt 0x0
	s_delay_alu instid0(VALU_DEP_1)
	v_cmp_le_i32_e32 vcc_lo, s35, v1
	v_cmp_gt_i32_e64 s0, s36, v1
	s_mov_b32 s23, 0
	s_mov_b32 s24, -1
	s_mov_b32 s25, s47
	s_and_b32 s0, vcc_lo, s0
	s_delay_alu instid0(SALU_CYCLE_1)
	s_and_b32 s26, s9, s0
	s_wait_xcnt 0x0
	s_and_saveexec_b32 s0, s26
	s_cbranch_execz .LBB71_719
; %bb.624:
	v_mov_b32_e32 v3, 0
	s_and_b32 s24, s34, 0xff
	s_delay_alu instid0(SALU_CYCLE_1) | instskip(NEXT) | instid1(VALU_DEP_1)
	s_cmp_lt_i32 s24, 11
	v_add_nc_u64_e32 v[2:3], s[4:5], v[2:3]
	s_cbranch_scc1 .LBB71_632
; %bb.625:
	s_and_b32 s25, 0xffff, s24
	s_delay_alu instid0(SALU_CYCLE_1)
	s_cmp_gt_i32 s25, 25
	s_cbranch_scc0 .LBB71_633
; %bb.626:
	s_cmp_gt_i32 s25, 28
	s_cbranch_scc0 .LBB71_634
; %bb.627:
	s_cmp_gt_i32 s25, 43
	s_cbranch_scc0 .LBB71_635
; %bb.628:
	s_cmp_gt_i32 s25, 45
	s_cbranch_scc0 .LBB71_636
; %bb.629:
	s_mov_b32 s27, 0
	s_mov_b32 s23, -1
	s_cmp_eq_u32 s25, 46
	s_mov_b32 s26, 0
	s_cbranch_scc0 .LBB71_637
; %bb.630:
	v_mov_b32_e32 v1, 0
	s_mov_b32 s26, -1
	s_mov_b32 s23, 0
	global_store_b32 v[2:3], v1, off
	s_branch .LBB71_637
.LBB71_631:
	s_mov_b32 s23, 0
	s_mov_b32 s25, s47
	;; [unrolled: 1-line block ×3, first 2 shown]
                                        ; implicit-def: $vgpr0
	s_branch .LBB71_720
.LBB71_632:
	s_mov_b32 s25, -1
	s_mov_b32 s26, 0
	s_mov_b32 s23, s47
	s_branch .LBB71_676
.LBB71_633:
	s_mov_b32 s27, -1
	s_mov_b32 s26, 0
	s_mov_b32 s23, s47
	s_branch .LBB71_656
.LBB71_634:
	s_mov_b32 s27, -1
	s_mov_b32 s26, 0
	s_mov_b32 s23, s47
	s_branch .LBB71_645
.LBB71_635:
	s_mov_b32 s27, -1
	s_mov_b32 s26, 0
	s_mov_b32 s23, s47
	s_branch .LBB71_641
.LBB71_636:
	s_mov_b32 s27, -1
	s_mov_b32 s26, 0
	s_mov_b32 s23, s47
.LBB71_637:
	s_and_b32 vcc_lo, exec_lo, s27
	s_cbranch_vccz .LBB71_640
; %bb.638:
	s_cmp_eq_u32 s25, 44
	s_mov_b32 s23, -1
	s_cbranch_scc0 .LBB71_640
; %bb.639:
	s_wait_xcnt 0x0
	v_mov_b32_e32 v1, 0
	s_mov_b32 s26, -1
	s_mov_b32 s23, 0
	global_store_b8 v[2:3], v1, off
.LBB71_640:
	s_mov_b32 s27, 0
.LBB71_641:
	s_delay_alu instid0(SALU_CYCLE_1)
	s_and_b32 vcc_lo, exec_lo, s27
	s_cbranch_vccz .LBB71_644
; %bb.642:
	s_cmp_eq_u32 s25, 29
	s_mov_b32 s23, -1
	s_cbranch_scc0 .LBB71_644
; %bb.643:
	v_mov_b64_e32 v[4:5], 0
	s_mov_b32 s26, -1
	s_mov_b32 s23, 0
	s_mov_b32 s27, 0
	global_store_b64 v[2:3], v[4:5], off
	s_branch .LBB71_645
.LBB71_644:
	s_mov_b32 s27, 0
.LBB71_645:
	s_delay_alu instid0(SALU_CYCLE_1)
	s_and_b32 vcc_lo, exec_lo, s27
	s_cbranch_vccz .LBB71_655
; %bb.646:
	s_cmp_lt_i32 s25, 27
	s_mov_b32 s26, -1
	s_cbranch_scc1 .LBB71_652
; %bb.647:
	s_cmp_gt_i32 s25, 27
	s_cbranch_scc0 .LBB71_649
; %bb.648:
	s_wait_xcnt 0x0
	v_mov_b32_e32 v1, 0
	s_mov_b32 s26, 0
	global_store_b32 v[2:3], v1, off
.LBB71_649:
	s_and_not1_b32 vcc_lo, exec_lo, s26
	s_cbranch_vccnz .LBB71_651
; %bb.650:
	s_wait_xcnt 0x0
	v_mov_b32_e32 v1, 0
	global_store_b16 v[2:3], v1, off
.LBB71_651:
	s_mov_b32 s26, 0
.LBB71_652:
	s_delay_alu instid0(SALU_CYCLE_1)
	s_and_not1_b32 vcc_lo, exec_lo, s26
	s_cbranch_vccnz .LBB71_654
; %bb.653:
	s_wait_xcnt 0x0
	v_mov_b32_e32 v1, 0
	global_store_b8 v[2:3], v1, off
.LBB71_654:
	s_mov_b32 s26, -1
.LBB71_655:
	s_mov_b32 s27, 0
.LBB71_656:
	s_delay_alu instid0(SALU_CYCLE_1)
	s_and_b32 vcc_lo, exec_lo, s27
	s_cbranch_vccz .LBB71_675
; %bb.657:
	s_cmp_gt_i32 s25, 22
	s_mov_b32 s27, -1
	s_cbranch_scc0 .LBB71_667
; %bb.658:
	s_cmp_lt_i32 s25, 24
	s_mov_b32 s26, -1
	s_cbranch_scc1 .LBB71_664
; %bb.659:
	s_cmp_gt_i32 s25, 24
	s_cbranch_scc0 .LBB71_661
; %bb.660:
	s_wait_xcnt 0x0
	v_mov_b32_e32 v1, 0
	s_mov_b32 s26, 0
	global_store_b8 v[2:3], v1, off
.LBB71_661:
	s_and_not1_b32 vcc_lo, exec_lo, s26
	s_cbranch_vccnz .LBB71_663
; %bb.662:
	s_wait_xcnt 0x0
	v_mov_b32_e32 v1, 0
	global_store_b8 v[2:3], v1, off
.LBB71_663:
	s_mov_b32 s26, 0
.LBB71_664:
	s_delay_alu instid0(SALU_CYCLE_1)
	s_and_not1_b32 vcc_lo, exec_lo, s26
	s_cbranch_vccnz .LBB71_666
; %bb.665:
	s_wait_xcnt 0x0
	v_mov_b32_e32 v1, 0
	global_store_b8 v[2:3], v1, off
.LBB71_666:
	s_mov_b32 s27, 0
	s_mov_b32 s26, -1
.LBB71_667:
	s_and_not1_b32 vcc_lo, exec_lo, s27
	s_cbranch_vccnz .LBB71_675
; %bb.668:
	s_cmp_gt_i32 s25, 14
	s_mov_b32 s27, -1
	s_cbranch_scc0 .LBB71_672
; %bb.669:
	s_cmp_eq_u32 s25, 15
	s_mov_b32 s23, -1
	s_cbranch_scc0 .LBB71_671
; %bb.670:
	s_wait_xcnt 0x0
	v_mov_b32_e32 v1, 0
	s_mov_b32 s26, -1
	s_mov_b32 s23, 0
	global_store_b16 v[2:3], v1, off
.LBB71_671:
	s_mov_b32 s27, 0
.LBB71_672:
	s_delay_alu instid0(SALU_CYCLE_1)
	s_and_b32 vcc_lo, exec_lo, s27
	s_cbranch_vccz .LBB71_675
; %bb.673:
	s_cmp_eq_u32 s25, 11
	s_mov_b32 s23, -1
	s_cbranch_scc0 .LBB71_675
; %bb.674:
	s_wait_xcnt 0x0
	v_mov_b32_e32 v1, 0
	s_mov_b32 s26, -1
	s_mov_b32 s23, 0
	global_store_b8 v[2:3], v1, off
.LBB71_675:
	s_mov_b32 s25, 0
.LBB71_676:
	s_delay_alu instid0(SALU_CYCLE_1)
	s_and_b32 vcc_lo, exec_lo, s25
	s_cbranch_vccz .LBB71_715
; %bb.677:
	s_and_b32 s24, 0xffff, s24
	s_mov_b32 s25, -1
	s_cmp_lt_i32 s24, 5
	s_cbranch_scc1 .LBB71_698
; %bb.678:
	s_cmp_lt_i32 s24, 8
	s_cbranch_scc1 .LBB71_688
; %bb.679:
	;; [unrolled: 3-line block ×3, first 2 shown]
	s_cmp_gt_i32 s24, 9
	s_cbranch_scc0 .LBB71_682
; %bb.681:
	s_wait_xcnt 0x0
	v_mov_b32_e32 v4, 0
	s_mov_b32 s25, 0
	s_delay_alu instid0(VALU_DEP_1)
	v_dual_mov_b32 v5, v4 :: v_dual_mov_b32 v6, v4
	v_mov_b32_e32 v7, v4
	global_store_b128 v[2:3], v[4:7], off
.LBB71_682:
	s_and_not1_b32 vcc_lo, exec_lo, s25
	s_cbranch_vccnz .LBB71_684
; %bb.683:
	s_wait_xcnt 0x0
	v_mov_b64_e32 v[4:5], 0
	global_store_b64 v[2:3], v[4:5], off
.LBB71_684:
	s_mov_b32 s25, 0
.LBB71_685:
	s_delay_alu instid0(SALU_CYCLE_1)
	s_and_not1_b32 vcc_lo, exec_lo, s25
	s_cbranch_vccnz .LBB71_687
; %bb.686:
	s_wait_xcnt 0x0
	v_mov_b32_e32 v1, 0
	global_store_b32 v[2:3], v1, off
.LBB71_687:
	s_mov_b32 s25, 0
.LBB71_688:
	s_delay_alu instid0(SALU_CYCLE_1)
	s_and_not1_b32 vcc_lo, exec_lo, s25
	s_cbranch_vccnz .LBB71_697
; %bb.689:
	s_cmp_lt_i32 s24, 6
	s_mov_b32 s25, -1
	s_cbranch_scc1 .LBB71_695
; %bb.690:
	s_cmp_gt_i32 s24, 6
	s_cbranch_scc0 .LBB71_692
; %bb.691:
	s_wait_xcnt 0x0
	v_mov_b64_e32 v[4:5], 0
	s_mov_b32 s25, 0
	global_store_b64 v[2:3], v[4:5], off
.LBB71_692:
	s_and_not1_b32 vcc_lo, exec_lo, s25
	s_cbranch_vccnz .LBB71_694
; %bb.693:
	s_wait_xcnt 0x0
	v_mov_b32_e32 v1, 0
	global_store_b32 v[2:3], v1, off
.LBB71_694:
	s_mov_b32 s25, 0
.LBB71_695:
	s_delay_alu instid0(SALU_CYCLE_1)
	s_and_not1_b32 vcc_lo, exec_lo, s25
	s_cbranch_vccnz .LBB71_697
; %bb.696:
	s_wait_xcnt 0x0
	v_mov_b32_e32 v1, 0
	global_store_b16 v[2:3], v1, off
.LBB71_697:
	s_mov_b32 s25, 0
.LBB71_698:
	s_delay_alu instid0(SALU_CYCLE_1)
	s_and_not1_b32 vcc_lo, exec_lo, s25
	s_cbranch_vccnz .LBB71_714
; %bb.699:
	s_cmp_lt_i32 s24, 2
	s_mov_b32 s25, -1
	s_cbranch_scc1 .LBB71_709
; %bb.700:
	s_cmp_lt_i32 s24, 3
	s_cbranch_scc1 .LBB71_706
; %bb.701:
	s_cmp_gt_i32 s24, 3
	s_cbranch_scc0 .LBB71_703
; %bb.702:
	s_wait_xcnt 0x0
	v_mov_b64_e32 v[4:5], 0
	s_mov_b32 s25, 0
	global_store_b64 v[2:3], v[4:5], off
.LBB71_703:
	s_and_not1_b32 vcc_lo, exec_lo, s25
	s_cbranch_vccnz .LBB71_705
; %bb.704:
	s_wait_xcnt 0x0
	v_mov_b32_e32 v1, 0
	global_store_b32 v[2:3], v1, off
.LBB71_705:
	s_mov_b32 s25, 0
.LBB71_706:
	s_delay_alu instid0(SALU_CYCLE_1)
	s_and_not1_b32 vcc_lo, exec_lo, s25
	s_cbranch_vccnz .LBB71_708
; %bb.707:
	s_wait_xcnt 0x0
	v_mov_b32_e32 v1, 0
	global_store_b16 v[2:3], v1, off
.LBB71_708:
	s_mov_b32 s25, 0
.LBB71_709:
	s_delay_alu instid0(SALU_CYCLE_1)
	s_and_not1_b32 vcc_lo, exec_lo, s25
	s_cbranch_vccnz .LBB71_714
; %bb.710:
	s_cmp_gt_i32 s24, 0
	s_mov_b32 s24, -1
	s_cbranch_scc0 .LBB71_712
; %bb.711:
	s_wait_xcnt 0x0
	v_mov_b32_e32 v1, 0
	s_mov_b32 s24, 0
	global_store_b8 v[2:3], v1, off
.LBB71_712:
	s_and_not1_b32 vcc_lo, exec_lo, s24
	s_cbranch_vccnz .LBB71_714
; %bb.713:
	s_wait_xcnt 0x0
	v_mov_b32_e32 v1, 0
	global_store_b8 v[2:3], v1, off
.LBB71_714:
	s_mov_b32 s26, -1
.LBB71_715:
	s_delay_alu instid0(SALU_CYCLE_1)
	s_and_not1_b32 vcc_lo, exec_lo, s26
	s_cbranch_vccnz .LBB71_717
; %bb.716:
	v_add_nc_u32_e32 v0, 0x80, v0
	s_mov_b32 s26, -1
	s_branch .LBB71_718
.LBB71_717:
	s_mov_b32 s26, 0
                                        ; implicit-def: $vgpr0
.LBB71_718:
	s_and_not1_b32 s24, s47, exec_lo
	s_and_b32 s23, s23, exec_lo
	s_delay_alu instid0(SALU_CYCLE_1)
	s_or_b32 s25, s24, s23
	s_xor_b32 s24, exec_lo, -1
	s_and_b32 s23, s26, exec_lo
.LBB71_719:
	s_wait_xcnt 0x0
	s_or_b32 exec_lo, exec_lo, s0
.LBB71_720:
	s_delay_alu instid0(SALU_CYCLE_1)
	s_and_not1_b32 s0, s47, exec_lo
	s_and_b32 s25, s25, exec_lo
	s_and_b32 s24, s24, exec_lo
	s_or_b32 s26, s0, s25
	s_and_not1_b32 s0, s48, exec_lo
	s_and_not1_b32 s25, s46, exec_lo
	s_and_b32 s22, s22, exec_lo
	s_or_b32 s27, s0, s24
	s_or_b32 s0, s25, s22
	s_or_not1_b32 s25, s23, exec_lo
.LBB71_721:
	s_wait_xcnt 0x0
	s_or_b32 exec_lo, exec_lo, s50
	s_mov_b32 s22, 0
	s_mov_b32 s23, 0
	;; [unrolled: 1-line block ×3, first 2 shown]
                                        ; implicit-def: $vgpr4_vgpr5
                                        ; implicit-def: $vgpr2
                                        ; implicit-def: $vgpr1
	s_and_saveexec_b32 s50, s25
	s_cbranch_execz .LBB71_815
; %bb.722:
	v_cmp_gt_i32_e32 vcc_lo, s39, v0
	s_mov_b32 s25, s0
                                        ; implicit-def: $vgpr4_vgpr5
                                        ; implicit-def: $vgpr2
                                        ; implicit-def: $vgpr1
	s_and_saveexec_b32 s39, vcc_lo
	s_cbranch_execz .LBB71_814
; %bb.723:
	s_and_not1_b32 vcc_lo, exec_lo, s31
	s_cbranch_vccnz .LBB71_729
; %bb.724:
	s_and_not1_b32 vcc_lo, exec_lo, s41
	s_cbranch_vccnz .LBB71_730
; %bb.725:
	s_add_co_i32 s40, s40, 1
	s_cmp_eq_u32 s29, 2
	s_cbranch_scc1 .LBB71_731
; %bb.726:
	v_dual_mov_b32 v2, 0 :: v_dual_mov_b32 v4, 0
	s_wait_loadcnt 0x0
	v_mov_b32_e32 v1, v0
	s_and_b32 s22, s40, 28
	s_mov_b64 s[24:25], s[2:3]
.LBB71_727:                             ; =>This Inner Loop Header: Depth=1
	s_clause 0x1
	s_load_b256 s[52:59], s[24:25], 0x4
	s_load_b128 s[68:71], s[24:25], 0x24
	s_load_b256 s[60:67], s[20:21], 0x0
	s_add_co_i32 s23, s23, 4
	s_wait_xcnt 0x0
	s_add_nc_u64 s[24:25], s[24:25], 48
	s_cmp_eq_u32 s22, s23
	s_add_nc_u64 s[20:21], s[20:21], 32
	s_wait_kmcnt 0x0
	v_mul_hi_u32 v3, s53, v1
	s_delay_alu instid0(VALU_DEP_1) | instskip(NEXT) | instid1(VALU_DEP_1)
	v_add_nc_u32_e32 v3, v1, v3
	v_lshrrev_b32_e32 v3, s54, v3
	s_delay_alu instid0(VALU_DEP_1) | instskip(NEXT) | instid1(VALU_DEP_1)
	v_mul_hi_u32 v5, s56, v3
	v_add_nc_u32_e32 v5, v3, v5
	s_delay_alu instid0(VALU_DEP_1) | instskip(NEXT) | instid1(VALU_DEP_1)
	v_lshrrev_b32_e32 v5, s57, v5
	v_mul_hi_u32 v6, s59, v5
	s_delay_alu instid0(VALU_DEP_1) | instskip(SKIP_1) | instid1(VALU_DEP_1)
	v_add_nc_u32_e32 v6, v5, v6
	v_mul_lo_u32 v7, v3, s52
	v_sub_nc_u32_e32 v1, v1, v7
	v_mul_lo_u32 v7, v5, s55
	s_delay_alu instid0(VALU_DEP_4) | instskip(NEXT) | instid1(VALU_DEP_3)
	v_lshrrev_b32_e32 v6, s68, v6
	v_mad_u32 v4, v1, s61, v4
	v_mad_u32 v1, v1, s60, v2
	s_delay_alu instid0(VALU_DEP_4) | instskip(NEXT) | instid1(VALU_DEP_4)
	v_sub_nc_u32_e32 v2, v3, v7
	v_mul_hi_u32 v8, s70, v6
	v_mul_lo_u32 v3, v6, s58
	s_delay_alu instid0(VALU_DEP_3) | instskip(SKIP_1) | instid1(VALU_DEP_3)
	v_mad_u32 v4, v2, s63, v4
	v_mad_u32 v2, v2, s62, v1
	v_dual_add_nc_u32 v7, v6, v8 :: v_dual_sub_nc_u32 v3, v5, v3
	s_delay_alu instid0(VALU_DEP_1) | instskip(NEXT) | instid1(VALU_DEP_2)
	v_lshrrev_b32_e32 v1, s71, v7
	v_mad_u32 v4, v3, s65, v4
	s_delay_alu instid0(VALU_DEP_4) | instskip(NEXT) | instid1(VALU_DEP_3)
	v_mad_u32 v2, v3, s64, v2
	v_mul_lo_u32 v5, v1, s69
	s_delay_alu instid0(VALU_DEP_1) | instskip(NEXT) | instid1(VALU_DEP_1)
	v_sub_nc_u32_e32 v3, v6, v5
	v_mad_u32 v4, v3, s67, v4
	s_delay_alu instid0(VALU_DEP_4)
	v_mad_u32 v2, v3, s66, v2
	s_cbranch_scc0 .LBB71_727
; %bb.728:
	s_delay_alu instid0(VALU_DEP_2)
	v_mov_b32_e32 v3, v4
	s_branch .LBB71_732
.LBB71_729:
	s_mov_b32 s20, -1
                                        ; implicit-def: $vgpr4
                                        ; implicit-def: $vgpr2
	s_branch .LBB71_737
.LBB71_730:
	v_dual_mov_b32 v4, 0 :: v_dual_mov_b32 v2, 0
	s_branch .LBB71_736
.LBB71_731:
	v_mov_b64_e32 v[2:3], 0
	s_wait_loadcnt 0x0
	v_mov_b32_e32 v1, v0
                                        ; implicit-def: $vgpr4
.LBB71_732:
	s_and_b32 s24, s40, 3
	s_mov_b32 s23, 0
	s_cmp_eq_u32 s24, 0
	s_cbranch_scc1 .LBB71_736
; %bb.733:
	s_lshl_b32 s20, s22, 3
	s_mov_b32 s21, s23
	s_mul_u64 s[22:23], s[22:23], 12
	s_add_nc_u64 s[20:21], s[2:3], s[20:21]
	s_add_nc_u64 s[22:23], s[2:3], s[22:23]
	;; [unrolled: 1-line block ×3, first 2 shown]
.LBB71_734:                             ; =>This Inner Loop Header: Depth=1
	s_load_b96 s[52:54], s[22:23], 0x4
	s_load_b64 s[40:41], s[20:21], 0x0
	s_add_co_i32 s24, s24, -1
	s_wait_xcnt 0x0
	s_add_nc_u64 s[22:23], s[22:23], 12
	s_cmp_lg_u32 s24, 0
	s_add_nc_u64 s[20:21], s[20:21], 8
	s_wait_kmcnt 0x0
	v_mul_hi_u32 v4, s53, v1
	s_delay_alu instid0(VALU_DEP_1) | instskip(NEXT) | instid1(VALU_DEP_1)
	v_add_nc_u32_e32 v4, v1, v4
	v_lshrrev_b32_e32 v4, s54, v4
	s_delay_alu instid0(VALU_DEP_1) | instskip(NEXT) | instid1(VALU_DEP_1)
	v_mul_lo_u32 v5, v4, s52
	v_sub_nc_u32_e32 v1, v1, v5
	s_delay_alu instid0(VALU_DEP_1)
	v_mad_u32 v3, v1, s41, v3
	v_mad_u32 v2, v1, s40, v2
	v_mov_b32_e32 v1, v4
	s_cbranch_scc1 .LBB71_734
; %bb.735:
	s_delay_alu instid0(VALU_DEP_3)
	v_mov_b32_e32 v4, v3
.LBB71_736:
	s_mov_b32 s20, 0
.LBB71_737:
	s_delay_alu instid0(SALU_CYCLE_1)
	s_and_not1_b32 vcc_lo, exec_lo, s20
	s_cbranch_vccnz .LBB71_740
; %bb.738:
	s_wait_loadcnt 0x0
	v_mov_b32_e32 v1, 0
	s_and_not1_b32 vcc_lo, exec_lo, s38
	s_delay_alu instid0(VALU_DEP_1) | instskip(NEXT) | instid1(VALU_DEP_1)
	v_mul_u64_e32 v[2:3], s[16:17], v[0:1]
	v_add_nc_u32_e32 v2, v0, v3
	s_delay_alu instid0(VALU_DEP_1) | instskip(NEXT) | instid1(VALU_DEP_1)
	v_lshrrev_b32_e32 v6, s10, v2
	v_mul_lo_u32 v2, v6, s8
	s_delay_alu instid0(VALU_DEP_1) | instskip(NEXT) | instid1(VALU_DEP_1)
	v_sub_nc_u32_e32 v0, v0, v2
	v_mul_lo_u32 v4, v0, s13
	v_mul_lo_u32 v2, v0, s12
	s_cbranch_vccnz .LBB71_740
; %bb.739:
	v_mov_b32_e32 v7, v1
	s_delay_alu instid0(VALU_DEP_1) | instskip(NEXT) | instid1(VALU_DEP_1)
	v_mul_u64_e32 v[0:1], s[18:19], v[6:7]
	v_add_nc_u32_e32 v0, v6, v1
	s_delay_alu instid0(VALU_DEP_1) | instskip(NEXT) | instid1(VALU_DEP_1)
	v_lshrrev_b32_e32 v0, s1, v0
	v_mul_lo_u32 v0, v0, s11
	s_delay_alu instid0(VALU_DEP_1) | instskip(NEXT) | instid1(VALU_DEP_1)
	v_sub_nc_u32_e32 v0, v6, v0
	v_mad_u32 v2, v0, s14, v2
	v_mad_u32 v4, v0, s15, v4
.LBB71_740:
	v_mov_b32_e32 v5, 0
	s_and_b32 s1, 0xffff, s37
	s_delay_alu instid0(SALU_CYCLE_1) | instskip(NEXT) | instid1(VALU_DEP_1)
	s_cmp_lt_i32 s1, 11
	v_add_nc_u64_e32 v[4:5], s[6:7], v[4:5]
	s_cbranch_scc1 .LBB71_747
; %bb.741:
	s_cmp_gt_i32 s1, 25
	s_mov_b32 s7, 0
	s_cbranch_scc0 .LBB71_748
; %bb.742:
	s_cmp_gt_i32 s1, 28
	s_cbranch_scc0 .LBB71_749
; %bb.743:
	s_cmp_gt_i32 s1, 43
	;; [unrolled: 3-line block ×3, first 2 shown]
	s_cbranch_scc0 .LBB71_751
; %bb.745:
	s_cmp_eq_u32 s1, 46
	s_mov_b32 s10, 0
	s_cbranch_scc0 .LBB71_752
; %bb.746:
	global_load_b32 v0, v[4:5], off
	s_mov_b32 s6, 0
	s_mov_b32 s8, -1
	s_wait_loadcnt 0x0
	v_lshlrev_b32_e32 v0, 16, v0
	s_delay_alu instid0(VALU_DEP_1)
	v_cvt_i32_f32_e32 v1, v0
	s_branch .LBB71_754
.LBB71_747:
	s_mov_b32 s1, -1
	s_mov_b32 s8, 0
	s_mov_b32 s7, 0
	;; [unrolled: 1-line block ×3, first 2 shown]
                                        ; implicit-def: $vgpr1
	s_branch .LBB71_813
.LBB71_748:
	s_mov_b32 s10, -1
	s_mov_b32 s8, 0
	s_mov_b32 s6, s0
                                        ; implicit-def: $vgpr1
	s_branch .LBB71_781
.LBB71_749:
	s_mov_b32 s10, -1
	s_mov_b32 s8, 0
	s_mov_b32 s6, s0
                                        ; implicit-def: $vgpr1
	s_branch .LBB71_764
.LBB71_750:
	s_mov_b32 s10, -1
	s_mov_b32 s8, 0
	s_mov_b32 s6, s0
                                        ; implicit-def: $vgpr1
	s_branch .LBB71_759
.LBB71_751:
	s_mov_b32 s10, -1
	s_mov_b32 s8, 0
	s_mov_b32 s6, s0
	s_branch .LBB71_753
.LBB71_752:
	s_mov_b32 s6, -1
	s_mov_b32 s8, 0
.LBB71_753:
                                        ; implicit-def: $vgpr1
.LBB71_754:
	s_and_b32 vcc_lo, exec_lo, s10
	s_cbranch_vccz .LBB71_758
; %bb.755:
	s_cmp_eq_u32 s1, 44
	s_cbranch_scc0 .LBB71_757
; %bb.756:
	global_load_u8 v0, v[4:5], off
	s_mov_b32 s6, 0
	s_mov_b32 s8, -1
	s_wait_loadcnt 0x0
	v_lshlrev_b32_e32 v1, 23, v0
	v_cmp_ne_u32_e32 vcc_lo, 0, v0
	s_delay_alu instid0(VALU_DEP_2) | instskip(NEXT) | instid1(VALU_DEP_1)
	v_cvt_i32_f32_e32 v1, v1
	v_cndmask_b32_e32 v1, 0, v1, vcc_lo
	s_branch .LBB71_758
.LBB71_757:
	s_mov_b32 s6, -1
                                        ; implicit-def: $vgpr1
.LBB71_758:
	s_mov_b32 s10, 0
.LBB71_759:
	s_delay_alu instid0(SALU_CYCLE_1)
	s_and_b32 vcc_lo, exec_lo, s10
	s_cbranch_vccz .LBB71_763
; %bb.760:
	s_cmp_eq_u32 s1, 29
	s_cbranch_scc0 .LBB71_762
; %bb.761:
	s_wait_loadcnt 0x0
	global_load_b32 v1, v[4:5], off
	s_mov_b32 s6, 0
	s_mov_b32 s8, -1
	s_branch .LBB71_763
.LBB71_762:
	s_mov_b32 s6, -1
                                        ; implicit-def: $vgpr1
.LBB71_763:
	s_mov_b32 s10, 0
.LBB71_764:
	s_delay_alu instid0(SALU_CYCLE_1)
	s_and_b32 vcc_lo, exec_lo, s10
	s_cbranch_vccz .LBB71_780
; %bb.765:
	s_cmp_lt_i32 s1, 27
	s_cbranch_scc1 .LBB71_768
; %bb.766:
	s_cmp_gt_i32 s1, 27
	s_cbranch_scc0 .LBB71_769
; %bb.767:
	s_wait_loadcnt 0x0
	global_load_b32 v1, v[4:5], off
	s_mov_b32 s8, 0
	s_branch .LBB71_770
.LBB71_768:
	s_mov_b32 s8, -1
                                        ; implicit-def: $vgpr1
	s_branch .LBB71_773
.LBB71_769:
	s_mov_b32 s8, -1
                                        ; implicit-def: $vgpr1
.LBB71_770:
	s_delay_alu instid0(SALU_CYCLE_1)
	s_and_not1_b32 vcc_lo, exec_lo, s8
	s_cbranch_vccnz .LBB71_772
; %bb.771:
	s_wait_loadcnt 0x0
	global_load_u16 v1, v[4:5], off
.LBB71_772:
	s_mov_b32 s8, 0
.LBB71_773:
	s_delay_alu instid0(SALU_CYCLE_1)
	s_and_not1_b32 vcc_lo, exec_lo, s8
	s_cbranch_vccnz .LBB71_779
; %bb.774:
	global_load_u8 v0, v[4:5], off
	s_mov_b32 s10, 0
	s_mov_b32 s8, exec_lo
	s_wait_loadcnt 0x0
	v_cmpx_lt_i16_e32 0x7f, v0
	s_xor_b32 s8, exec_lo, s8
	s_cbranch_execz .LBB71_791
; %bb.775:
	v_cmp_ne_u16_e32 vcc_lo, 0x80, v0
	s_and_b32 s10, vcc_lo, exec_lo
	s_and_not1_saveexec_b32 s8, s8
	s_cbranch_execnz .LBB71_792
.LBB71_776:
	s_or_b32 exec_lo, exec_lo, s8
	v_mov_b32_e32 v1, 0
	s_and_saveexec_b32 s8, s10
	s_cbranch_execz .LBB71_778
.LBB71_777:
	v_and_b32_e32 v1, 0xffff, v0
	s_delay_alu instid0(VALU_DEP_1) | instskip(SKIP_1) | instid1(VALU_DEP_2)
	v_and_b32_e32 v3, 7, v1
	v_bfe_u32 v8, v1, 3, 4
	v_clz_i32_u32_e32 v6, v3
	s_delay_alu instid0(VALU_DEP_2) | instskip(NEXT) | instid1(VALU_DEP_2)
	v_cmp_eq_u32_e32 vcc_lo, 0, v8
	v_min_u32_e32 v6, 32, v6
	s_delay_alu instid0(VALU_DEP_1) | instskip(NEXT) | instid1(VALU_DEP_1)
	v_subrev_nc_u32_e32 v7, 28, v6
	v_dual_lshlrev_b32 v1, v7, v1 :: v_dual_sub_nc_u32 v6, 29, v6
	s_delay_alu instid0(VALU_DEP_1) | instskip(NEXT) | instid1(VALU_DEP_1)
	v_dual_lshlrev_b32 v0, 24, v0 :: v_dual_bitop2_b32 v1, 7, v1 bitop3:0x40
	v_dual_cndmask_b32 v6, v8, v6 :: v_dual_cndmask_b32 v1, v3, v1
	s_delay_alu instid0(VALU_DEP_2) | instskip(NEXT) | instid1(VALU_DEP_2)
	v_and_b32_e32 v0, 0x80000000, v0
	v_lshl_add_u32 v3, v6, 23, 0x3b800000
	s_delay_alu instid0(VALU_DEP_3) | instskip(NEXT) | instid1(VALU_DEP_1)
	v_lshlrev_b32_e32 v1, 20, v1
	v_or3_b32 v0, v0, v3, v1
	s_delay_alu instid0(VALU_DEP_1)
	v_cvt_i32_f32_e32 v1, v0
.LBB71_778:
	s_or_b32 exec_lo, exec_lo, s8
.LBB71_779:
	s_mov_b32 s8, -1
.LBB71_780:
	s_mov_b32 s10, 0
.LBB71_781:
	s_delay_alu instid0(SALU_CYCLE_1)
	s_and_b32 vcc_lo, exec_lo, s10
	s_cbranch_vccz .LBB71_812
; %bb.782:
	s_cmp_gt_i32 s1, 22
	s_cbranch_scc0 .LBB71_790
; %bb.783:
	s_cmp_lt_i32 s1, 24
	s_cbranch_scc1 .LBB71_793
; %bb.784:
	s_cmp_gt_i32 s1, 24
	s_cbranch_scc0 .LBB71_794
; %bb.785:
	global_load_u8 v0, v[4:5], off
	s_mov_b32 s8, 0
	s_mov_b32 s7, exec_lo
	s_wait_loadcnt 0x0
	v_cmpx_lt_i16_e32 0x7f, v0
	s_xor_b32 s7, exec_lo, s7
	s_cbranch_execz .LBB71_806
; %bb.786:
	v_cmp_ne_u16_e32 vcc_lo, 0x80, v0
	s_and_b32 s8, vcc_lo, exec_lo
	s_and_not1_saveexec_b32 s7, s7
	s_cbranch_execnz .LBB71_807
.LBB71_787:
	s_or_b32 exec_lo, exec_lo, s7
	v_mov_b32_e32 v1, 0
	s_and_saveexec_b32 s7, s8
	s_cbranch_execz .LBB71_789
.LBB71_788:
	v_and_b32_e32 v1, 0xffff, v0
	s_delay_alu instid0(VALU_DEP_1) | instskip(SKIP_1) | instid1(VALU_DEP_2)
	v_and_b32_e32 v3, 3, v1
	v_bfe_u32 v8, v1, 2, 5
	v_clz_i32_u32_e32 v6, v3
	s_delay_alu instid0(VALU_DEP_2) | instskip(NEXT) | instid1(VALU_DEP_2)
	v_cmp_eq_u32_e32 vcc_lo, 0, v8
	v_min_u32_e32 v6, 32, v6
	s_delay_alu instid0(VALU_DEP_1) | instskip(NEXT) | instid1(VALU_DEP_1)
	v_subrev_nc_u32_e32 v7, 29, v6
	v_dual_lshlrev_b32 v1, v7, v1 :: v_dual_sub_nc_u32 v6, 30, v6
	s_delay_alu instid0(VALU_DEP_1) | instskip(NEXT) | instid1(VALU_DEP_1)
	v_dual_lshlrev_b32 v0, 24, v0 :: v_dual_bitop2_b32 v1, 3, v1 bitop3:0x40
	v_dual_cndmask_b32 v6, v8, v6 :: v_dual_cndmask_b32 v1, v3, v1
	s_delay_alu instid0(VALU_DEP_2) | instskip(NEXT) | instid1(VALU_DEP_2)
	v_and_b32_e32 v0, 0x80000000, v0
	v_lshl_add_u32 v3, v6, 23, 0x37800000
	s_delay_alu instid0(VALU_DEP_3) | instskip(NEXT) | instid1(VALU_DEP_1)
	v_lshlrev_b32_e32 v1, 21, v1
	v_or3_b32 v0, v0, v3, v1
	s_delay_alu instid0(VALU_DEP_1)
	v_cvt_i32_f32_e32 v1, v0
.LBB71_789:
	s_or_b32 exec_lo, exec_lo, s7
	s_mov_b32 s7, 0
	s_branch .LBB71_795
.LBB71_790:
	s_mov_b32 s7, -1
                                        ; implicit-def: $vgpr1
	s_branch .LBB71_801
.LBB71_791:
	s_and_not1_saveexec_b32 s8, s8
	s_cbranch_execz .LBB71_776
.LBB71_792:
	v_cmp_ne_u16_e32 vcc_lo, 0, v0
	s_and_not1_b32 s10, s10, exec_lo
	s_and_b32 s11, vcc_lo, exec_lo
	s_delay_alu instid0(SALU_CYCLE_1)
	s_or_b32 s10, s10, s11
	s_or_b32 exec_lo, exec_lo, s8
	v_mov_b32_e32 v1, 0
	s_and_saveexec_b32 s8, s10
	s_cbranch_execnz .LBB71_777
	s_branch .LBB71_778
.LBB71_793:
	s_mov_b32 s7, -1
                                        ; implicit-def: $vgpr1
	s_branch .LBB71_798
.LBB71_794:
	s_mov_b32 s7, -1
                                        ; implicit-def: $vgpr1
.LBB71_795:
	s_delay_alu instid0(SALU_CYCLE_1)
	s_and_b32 vcc_lo, exec_lo, s7
	s_cbranch_vccz .LBB71_797
; %bb.796:
	global_load_u8 v0, v[4:5], off
	s_wait_loadcnt 0x0
	v_lshlrev_b32_e32 v0, 24, v0
	s_delay_alu instid0(VALU_DEP_1) | instskip(NEXT) | instid1(VALU_DEP_1)
	v_and_b32_e32 v1, 0x7f000000, v0
	v_clz_i32_u32_e32 v3, v1
	v_add_nc_u32_e32 v7, 0x1000000, v1
	v_cmp_ne_u32_e32 vcc_lo, 0, v1
	s_delay_alu instid0(VALU_DEP_3) | instskip(NEXT) | instid1(VALU_DEP_1)
	v_min_u32_e32 v3, 32, v3
	v_sub_nc_u32_e64 v3, v3, 4 clamp
	s_delay_alu instid0(VALU_DEP_1) | instskip(NEXT) | instid1(VALU_DEP_1)
	v_dual_lshlrev_b32 v6, v3, v1 :: v_dual_lshlrev_b32 v3, 23, v3
	v_lshrrev_b32_e32 v6, 4, v6
	s_delay_alu instid0(VALU_DEP_1) | instskip(SKIP_1) | instid1(VALU_DEP_2)
	v_sub_nc_u32_e32 v3, v6, v3
	v_ashrrev_i32_e32 v6, 8, v7
	v_add_nc_u32_e32 v3, 0x3c000000, v3
	s_delay_alu instid0(VALU_DEP_1) | instskip(NEXT) | instid1(VALU_DEP_1)
	v_and_or_b32 v3, 0x7f800000, v6, v3
	v_cndmask_b32_e32 v1, 0, v3, vcc_lo
	s_delay_alu instid0(VALU_DEP_1) | instskip(NEXT) | instid1(VALU_DEP_1)
	v_and_or_b32 v0, 0x80000000, v0, v1
	v_cvt_i32_f32_e32 v1, v0
.LBB71_797:
	s_mov_b32 s7, 0
.LBB71_798:
	s_delay_alu instid0(SALU_CYCLE_1)
	s_and_not1_b32 vcc_lo, exec_lo, s7
	s_cbranch_vccnz .LBB71_800
; %bb.799:
	global_load_u8 v0, v[4:5], off
	s_wait_loadcnt 0x0
	v_lshlrev_b32_e32 v1, 25, v0
	v_lshlrev_b16 v0, 8, v0
	s_delay_alu instid0(VALU_DEP_1) | instskip(SKIP_1) | instid1(VALU_DEP_2)
	v_and_or_b32 v6, 0x7f00, v0, 0.5
	v_bfe_i32 v0, v0, 0, 16
	v_dual_add_f32 v6, -0.5, v6 :: v_dual_lshrrev_b32 v3, 4, v1
	v_cmp_gt_u32_e32 vcc_lo, 0x8000000, v1
	s_delay_alu instid0(VALU_DEP_2) | instskip(NEXT) | instid1(VALU_DEP_1)
	v_or_b32_e32 v3, 0x70000000, v3
	v_mul_f32_e32 v3, 0x7800000, v3
	s_delay_alu instid0(VALU_DEP_1) | instskip(NEXT) | instid1(VALU_DEP_1)
	v_cndmask_b32_e32 v1, v3, v6, vcc_lo
	v_and_or_b32 v0, 0x80000000, v0, v1
	s_delay_alu instid0(VALU_DEP_1)
	v_cvt_i32_f32_e32 v1, v0
.LBB71_800:
	s_mov_b32 s7, 0
	s_mov_b32 s8, -1
.LBB71_801:
	s_and_not1_b32 vcc_lo, exec_lo, s7
	s_mov_b32 s7, 0
	s_cbranch_vccnz .LBB71_812
; %bb.802:
	s_cmp_gt_i32 s1, 14
	s_cbranch_scc0 .LBB71_805
; %bb.803:
	s_cmp_eq_u32 s1, 15
	s_cbranch_scc0 .LBB71_808
; %bb.804:
	global_load_u16 v0, v[4:5], off
	s_mov_b32 s6, 0
	s_mov_b32 s8, -1
	s_wait_loadcnt 0x0
	v_lshlrev_b32_e32 v0, 16, v0
	s_delay_alu instid0(VALU_DEP_1)
	v_cvt_i32_f32_e32 v1, v0
	s_branch .LBB71_810
.LBB71_805:
	s_mov_b32 s7, -1
	s_branch .LBB71_809
.LBB71_806:
	s_and_not1_saveexec_b32 s7, s7
	s_cbranch_execz .LBB71_787
.LBB71_807:
	v_cmp_ne_u16_e32 vcc_lo, 0, v0
	s_and_not1_b32 s8, s8, exec_lo
	s_and_b32 s10, vcc_lo, exec_lo
	s_delay_alu instid0(SALU_CYCLE_1)
	s_or_b32 s8, s8, s10
	s_or_b32 exec_lo, exec_lo, s7
	v_mov_b32_e32 v1, 0
	s_and_saveexec_b32 s7, s8
	s_cbranch_execnz .LBB71_788
	s_branch .LBB71_789
.LBB71_808:
	s_mov_b32 s6, -1
.LBB71_809:
                                        ; implicit-def: $vgpr1
.LBB71_810:
	s_and_b32 vcc_lo, exec_lo, s7
	s_mov_b32 s7, 0
	s_cbranch_vccz .LBB71_812
; %bb.811:
	s_cmp_lg_u32 s1, 11
	s_mov_b32 s7, -1
	s_cselect_b32 s1, -1, 0
	s_and_not1_b32 s6, s6, exec_lo
	s_and_b32 s1, s1, exec_lo
	s_delay_alu instid0(SALU_CYCLE_1)
	s_or_b32 s6, s6, s1
.LBB71_812:
	s_mov_b32 s1, 0
.LBB71_813:
	s_delay_alu instid0(SALU_CYCLE_1)
	s_and_b32 s23, s1, exec_lo
	s_and_not1_b32 s1, s0, exec_lo
	s_and_b32 s6, s6, exec_lo
	s_and_b32 s24, s8, exec_lo
	;; [unrolled: 1-line block ×3, first 2 shown]
	s_or_b32 s25, s1, s6
.LBB71_814:
	s_wait_xcnt 0x0
	s_or_b32 exec_lo, exec_lo, s39
	s_delay_alu instid0(SALU_CYCLE_1)
	s_and_not1_b32 s0, s0, exec_lo
	s_and_b32 s1, s25, exec_lo
	s_and_b32 s24, s24, exec_lo
	;; [unrolled: 1-line block ×4, first 2 shown]
	s_or_b32 s0, s0, s1
.LBB71_815:
	s_or_b32 exec_lo, exec_lo, s50
	s_delay_alu instid0(SALU_CYCLE_1)
	s_and_not1_b32 s1, s47, exec_lo
	s_and_b32 s6, s26, exec_lo
	s_and_not1_b32 s7, s48, exec_lo
	s_and_b32 s8, s27, exec_lo
	s_or_b32 s47, s1, s6
	s_and_not1_b32 s1, s46, exec_lo
	s_and_b32 s0, s0, exec_lo
	s_or_b32 s48, s7, s8
	s_and_b32 s24, s24, exec_lo
	s_and_b32 s23, s23, exec_lo
	;; [unrolled: 1-line block ×3, first 2 shown]
	s_or_b32 s46, s1, s0
.LBB71_816:
	s_or_b32 exec_lo, exec_lo, s49
	s_delay_alu instid0(SALU_CYCLE_1)
	s_and_not1_b32 s0, s42, exec_lo
	s_and_b32 s1, s47, exec_lo
	s_and_not1_b32 s6, s43, exec_lo
	s_and_b32 s7, s48, exec_lo
	s_or_b32 s42, s0, s1
	s_or_b32 s43, s6, s7
	s_and_not1_b32 s1, s44, exec_lo
	s_and_b32 s6, s46, exec_lo
	s_and_b32 s0, s24, exec_lo
	s_and_b32 s23, s23, exec_lo
	s_and_b32 s17, s22, exec_lo
	s_or_b32 s44, s1, s6
	s_or_b32 exec_lo, exec_lo, s45
	s_mov_b32 s1, 0
	s_and_saveexec_b32 s6, s44
	s_cbranch_execz .LBB71_245
.LBB71_817:
	s_mov_b32 s1, exec_lo
	s_and_not1_b32 s17, s17, exec_lo
	s_trap 2
	s_or_b32 exec_lo, exec_lo, s6
	s_and_saveexec_b32 s6, s17
	s_delay_alu instid0(SALU_CYCLE_1)
	s_xor_b32 s6, exec_lo, s6
	s_cbranch_execnz .LBB71_246
.LBB71_818:
	s_or_b32 exec_lo, exec_lo, s6
	s_and_saveexec_b32 s6, s23
	s_cbranch_execz .LBB71_864
.LBB71_819:
	s_sext_i32_i16 s7, s37
	s_delay_alu instid0(SALU_CYCLE_1)
	s_cmp_lt_i32 s7, 5
	s_cbranch_scc1 .LBB71_824
; %bb.820:
	s_cmp_lt_i32 s7, 8
	s_cbranch_scc1 .LBB71_825
; %bb.821:
	;; [unrolled: 3-line block ×3, first 2 shown]
	s_cmp_gt_i32 s7, 9
	s_cbranch_scc0 .LBB71_827
; %bb.823:
	s_wait_loadcnt 0x0
	global_load_b64 v[0:1], v[4:5], off
	s_mov_b32 s7, 0
	s_wait_loadcnt 0x0
	v_cvt_i32_f64_e32 v1, v[0:1]
	s_branch .LBB71_828
.LBB71_824:
                                        ; implicit-def: $vgpr1
	s_branch .LBB71_845
.LBB71_825:
                                        ; implicit-def: $vgpr1
	s_branch .LBB71_834
.LBB71_826:
	s_mov_b32 s7, -1
                                        ; implicit-def: $vgpr1
	s_branch .LBB71_831
.LBB71_827:
	s_mov_b32 s7, -1
                                        ; implicit-def: $vgpr1
.LBB71_828:
	s_delay_alu instid0(SALU_CYCLE_1)
	s_and_not1_b32 vcc_lo, exec_lo, s7
	s_cbranch_vccnz .LBB71_830
; %bb.829:
	global_load_b32 v0, v[4:5], off
	s_wait_loadcnt 0x0
	v_cvt_i32_f32_e32 v1, v0
.LBB71_830:
	s_mov_b32 s7, 0
.LBB71_831:
	s_delay_alu instid0(SALU_CYCLE_1)
	s_and_not1_b32 vcc_lo, exec_lo, s7
	s_cbranch_vccnz .LBB71_833
; %bb.832:
	global_load_b32 v0, v[4:5], off
	s_wait_loadcnt 0x0
	v_cvt_f32_f16_e32 v0, v0
	s_delay_alu instid0(VALU_DEP_1)
	v_cvt_i32_f32_e32 v1, v0
.LBB71_833:
	s_cbranch_execnz .LBB71_844
.LBB71_834:
	s_sext_i32_i16 s7, s37
	s_delay_alu instid0(SALU_CYCLE_1)
	s_cmp_lt_i32 s7, 6
	s_cbranch_scc1 .LBB71_837
; %bb.835:
	s_cmp_gt_i32 s7, 6
	s_cbranch_scc0 .LBB71_838
; %bb.836:
	s_wait_loadcnt 0x0
	global_load_b64 v[0:1], v[4:5], off
	s_mov_b32 s7, 0
	s_wait_loadcnt 0x0
	v_cvt_i32_f64_e32 v1, v[0:1]
	s_branch .LBB71_839
.LBB71_837:
	s_mov_b32 s7, -1
                                        ; implicit-def: $vgpr1
	s_branch .LBB71_842
.LBB71_838:
	s_mov_b32 s7, -1
                                        ; implicit-def: $vgpr1
.LBB71_839:
	s_delay_alu instid0(SALU_CYCLE_1)
	s_and_not1_b32 vcc_lo, exec_lo, s7
	s_cbranch_vccnz .LBB71_841
; %bb.840:
	global_load_b32 v0, v[4:5], off
	s_wait_loadcnt 0x0
	v_cvt_i32_f32_e32 v1, v0
.LBB71_841:
	s_mov_b32 s7, 0
.LBB71_842:
	s_delay_alu instid0(SALU_CYCLE_1)
	s_and_not1_b32 vcc_lo, exec_lo, s7
	s_cbranch_vccnz .LBB71_844
; %bb.843:
	global_load_u16 v0, v[4:5], off
	s_wait_loadcnt 0x0
	v_cvt_f32_f16_e32 v0, v0
	s_delay_alu instid0(VALU_DEP_1)
	v_cvt_i32_f32_e32 v1, v0
.LBB71_844:
	s_cbranch_execnz .LBB71_863
.LBB71_845:
	s_sext_i32_i16 s7, s37
	s_delay_alu instid0(SALU_CYCLE_1)
	s_cmp_lt_i32 s7, 2
	s_cbranch_scc1 .LBB71_849
; %bb.846:
	s_cmp_lt_i32 s7, 3
	s_cbranch_scc1 .LBB71_850
; %bb.847:
	s_cmp_gt_i32 s7, 3
	s_cbranch_scc0 .LBB71_851
; %bb.848:
	s_wait_loadcnt 0x0
	global_load_b32 v1, v[4:5], off
	s_mov_b32 s7, 0
	s_branch .LBB71_852
.LBB71_849:
                                        ; implicit-def: $vgpr1
	s_branch .LBB71_858
.LBB71_850:
	s_mov_b32 s7, -1
                                        ; implicit-def: $vgpr1
	s_branch .LBB71_855
.LBB71_851:
	s_mov_b32 s7, -1
                                        ; implicit-def: $vgpr1
.LBB71_852:
	s_delay_alu instid0(SALU_CYCLE_1)
	s_and_not1_b32 vcc_lo, exec_lo, s7
	s_cbranch_vccnz .LBB71_854
; %bb.853:
	s_wait_loadcnt 0x0
	global_load_b32 v1, v[4:5], off
.LBB71_854:
	s_mov_b32 s7, 0
.LBB71_855:
	s_delay_alu instid0(SALU_CYCLE_1)
	s_and_not1_b32 vcc_lo, exec_lo, s7
	s_cbranch_vccnz .LBB71_857
; %bb.856:
	s_wait_loadcnt 0x0
	global_load_i16 v1, v[4:5], off
.LBB71_857:
	s_cbranch_execnz .LBB71_863
.LBB71_858:
	s_sext_i32_i16 s7, s37
	s_delay_alu instid0(SALU_CYCLE_1)
	s_cmp_gt_i32 s7, 0
	s_mov_b32 s7, 0
	s_cbranch_scc0 .LBB71_860
; %bb.859:
	s_wait_loadcnt 0x0
	global_load_i8 v1, v[4:5], off
	s_branch .LBB71_861
.LBB71_860:
	s_mov_b32 s7, -1
                                        ; implicit-def: $vgpr1
.LBB71_861:
	s_delay_alu instid0(SALU_CYCLE_1)
	s_and_not1_b32 vcc_lo, exec_lo, s7
	s_cbranch_vccnz .LBB71_863
; %bb.862:
	s_wait_loadcnt 0x0
	global_load_u8 v1, v[4:5], off
.LBB71_863:
	s_or_b32 s0, s0, exec_lo
.LBB71_864:
	s_wait_xcnt 0x0
	s_or_b32 exec_lo, exec_lo, s6
	s_mov_b32 s8, 0
	s_and_saveexec_b32 s6, s0
	s_delay_alu instid0(SALU_CYCLE_1)
	s_xor_b32 s6, exec_lo, s6
	s_cbranch_execz .LBB71_866
; %bb.865:
	s_wait_loadcnt 0x0
	s_delay_alu instid0(VALU_DEP_1) | instskip(SKIP_4) | instid1(SALU_CYCLE_1)
	v_cmp_le_i32_e32 vcc_lo, s35, v1
	v_cmp_gt_i32_e64 s0, s36, v1
	s_and_not1_b32 s7, s43, exec_lo
	s_mov_b32 s8, exec_lo
	s_and_b32 s0, vcc_lo, s0
	s_and_b32 s0, s9, s0
	s_delay_alu instid0(SALU_CYCLE_1) | instskip(NEXT) | instid1(SALU_CYCLE_1)
	s_xor_b32 s0, s0, -1
	s_and_b32 s0, s0, exec_lo
	s_delay_alu instid0(SALU_CYCLE_1)
	s_or_b32 s43, s7, s0
.LBB71_866:
	s_or_b32 exec_lo, exec_lo, s6
	s_and_saveexec_b32 s0, s43
	s_cbranch_execnz .LBB71_879
.LBB71_867:
	s_or_b32 exec_lo, exec_lo, s0
	s_mov_b32 s9, 0
	s_mov_b32 s7, 0
                                        ; implicit-def: $sgpr0
                                        ; implicit-def: $vgpr0_vgpr1
	s_and_saveexec_b32 s6, s8
	s_cbranch_execz .LBB71_875
; %bb.868:
	v_mov_b32_e32 v3, 0
	s_and_b32 s0, s34, 0xff
	s_delay_alu instid0(SALU_CYCLE_1) | instskip(SKIP_1) | instid1(VALU_DEP_1)
	s_cmp_lt_i32 s0, 11
	s_wait_loadcnt 0x0
	v_add_nc_u64_e32 v[0:1], s[4:5], v[2:3]
	s_cbranch_scc1 .LBB71_878
; %bb.869:
	s_and_b32 s5, 0xffff, s0
	s_mov_b32 s7, -1
	s_cmp_gt_i32 s5, 25
	s_mov_b32 s4, s42
	s_cbranch_scc0 .LBB71_899
; %bb.870:
	s_cmp_gt_i32 s5, 28
	s_mov_b32 s4, s42
	s_cbranch_scc0 .LBB71_889
; %bb.871:
	s_cmp_gt_i32 s5, 43
	s_mov_b32 s4, s42
	s_cbranch_scc0 .LBB71_885
; %bb.872:
	s_cmp_gt_i32 s5, 45
	s_mov_b32 s4, s42
	s_cbranch_scc0 .LBB71_881
; %bb.873:
	s_cmp_eq_u32 s5, 46
	s_mov_b32 s4, -1
	s_cbranch_scc0 .LBB71_880
; %bb.874:
	v_mov_b32_e32 v2, 0
	s_mov_b32 s4, 0
	s_mov_b32 s7, 0
	global_store_b32 v[0:1], v2, off
	s_branch .LBB71_881
.LBB71_875:
	s_or_b32 exec_lo, exec_lo, s6
	s_and_saveexec_b32 s4, s42
	s_cbranch_execnz .LBB71_919
.LBB71_876:
	s_or_b32 exec_lo, exec_lo, s4
	s_and_saveexec_b32 s4, s9
	s_delay_alu instid0(SALU_CYCLE_1)
	s_xor_b32 s4, exec_lo, s4
	s_cbranch_execz .LBB71_920
.LBB71_877:
	v_mov_b32_e32 v2, 0
	s_wait_loadcnt 0x0
	global_store_b8 v[0:1], v2, off
	s_wait_xcnt 0x0
	s_or_b32 exec_lo, exec_lo, s4
	s_and_saveexec_b32 s4, s7
	s_delay_alu instid0(SALU_CYCLE_1)
	s_xor_b32 s4, exec_lo, s4
	s_cbranch_execz .LBB71_958
	s_branch .LBB71_921
.LBB71_878:
	s_mov_b32 s8, 0
	s_mov_b32 s7, -1
	s_mov_b32 s4, s42
	s_branch .LBB71_918
.LBB71_879:
	s_or_b32 s1, s1, exec_lo
	s_and_not1_b32 s8, s8, exec_lo
	s_trap 2
	s_branch .LBB71_867
.LBB71_880:
	s_mov_b32 s7, 0
.LBB71_881:
	s_delay_alu instid0(SALU_CYCLE_1)
	s_and_b32 vcc_lo, exec_lo, s7
	s_cbranch_vccz .LBB71_884
; %bb.882:
	s_cmp_eq_u32 s5, 44
	s_mov_b32 s4, -1
	s_cbranch_scc0 .LBB71_884
; %bb.883:
	s_wait_xcnt 0x0
	v_mov_b32_e32 v2, 0
	s_mov_b32 s4, 0
	s_mov_b32 s7, 0
	global_store_b8 v[0:1], v2, off
	s_branch .LBB71_885
.LBB71_884:
	s_mov_b32 s7, 0
.LBB71_885:
	s_delay_alu instid0(SALU_CYCLE_1)
	s_and_b32 vcc_lo, exec_lo, s7
	s_cbranch_vccz .LBB71_888
; %bb.886:
	s_cmp_eq_u32 s5, 29
	s_mov_b32 s4, -1
	s_cbranch_scc0 .LBB71_888
; %bb.887:
	s_wait_xcnt 0x0
	v_mov_b64_e32 v[2:3], 0
	s_mov_b32 s4, 0
	s_mov_b32 s7, 0
	global_store_b64 v[0:1], v[2:3], off
	s_branch .LBB71_889
.LBB71_888:
	s_mov_b32 s7, 0
.LBB71_889:
	s_delay_alu instid0(SALU_CYCLE_1)
	s_and_b32 vcc_lo, exec_lo, s7
	s_cbranch_vccz .LBB71_898
; %bb.890:
	s_cmp_lt_i32 s5, 27
	s_mov_b32 s7, -1
	s_cbranch_scc1 .LBB71_896
; %bb.891:
	s_cmp_gt_i32 s5, 27
	s_cbranch_scc0 .LBB71_893
; %bb.892:
	s_wait_xcnt 0x0
	v_mov_b32_e32 v2, 0
	s_mov_b32 s7, 0
	global_store_b32 v[0:1], v2, off
.LBB71_893:
	s_and_not1_b32 vcc_lo, exec_lo, s7
	s_cbranch_vccnz .LBB71_895
; %bb.894:
	s_wait_xcnt 0x0
	v_mov_b32_e32 v2, 0
	global_store_b16 v[0:1], v2, off
.LBB71_895:
	s_mov_b32 s7, 0
.LBB71_896:
	s_delay_alu instid0(SALU_CYCLE_1)
	s_and_not1_b32 vcc_lo, exec_lo, s7
	s_cbranch_vccnz .LBB71_898
; %bb.897:
	s_wait_xcnt 0x0
	v_mov_b32_e32 v2, 0
	global_store_b8 v[0:1], v2, off
.LBB71_898:
	s_mov_b32 s7, 0
.LBB71_899:
	s_delay_alu instid0(SALU_CYCLE_1)
	s_and_b32 vcc_lo, exec_lo, s7
	s_mov_b32 s7, 0
	s_cbranch_vccz .LBB71_917
; %bb.900:
	s_cmp_gt_i32 s5, 22
	s_mov_b32 s8, -1
	s_cbranch_scc0 .LBB71_910
; %bb.901:
	s_cmp_lt_i32 s5, 24
	s_cbranch_scc1 .LBB71_907
; %bb.902:
	s_cmp_gt_i32 s5, 24
	s_cbranch_scc0 .LBB71_904
; %bb.903:
	s_wait_xcnt 0x0
	v_mov_b32_e32 v2, 0
	s_mov_b32 s8, 0
	global_store_b8 v[0:1], v2, off
.LBB71_904:
	s_and_not1_b32 vcc_lo, exec_lo, s8
	s_cbranch_vccnz .LBB71_906
; %bb.905:
	s_wait_xcnt 0x0
	v_mov_b32_e32 v2, 0
	global_store_b8 v[0:1], v2, off
.LBB71_906:
	s_mov_b32 s8, 0
.LBB71_907:
	s_delay_alu instid0(SALU_CYCLE_1)
	s_and_not1_b32 vcc_lo, exec_lo, s8
	s_cbranch_vccnz .LBB71_909
; %bb.908:
	s_wait_xcnt 0x0
	v_mov_b32_e32 v2, 0
	global_store_b8 v[0:1], v2, off
.LBB71_909:
	s_mov_b32 s8, 0
.LBB71_910:
	s_delay_alu instid0(SALU_CYCLE_1)
	s_and_not1_b32 vcc_lo, exec_lo, s8
	s_mov_b32 s8, 0
	s_cbranch_vccnz .LBB71_918
; %bb.911:
	s_cmp_gt_i32 s5, 14
	s_mov_b32 s8, -1
	s_cbranch_scc0 .LBB71_915
; %bb.912:
	s_cmp_eq_u32 s5, 15
	s_mov_b32 s4, -1
	s_cbranch_scc0 .LBB71_914
; %bb.913:
	s_wait_xcnt 0x0
	v_mov_b32_e32 v2, 0
	s_mov_b32 s4, 0
	global_store_b16 v[0:1], v2, off
.LBB71_914:
	s_mov_b32 s8, 0
.LBB71_915:
	s_delay_alu instid0(SALU_CYCLE_1)
	s_and_b32 vcc_lo, exec_lo, s8
	s_mov_b32 s8, 0
	s_cbranch_vccz .LBB71_918
; %bb.916:
	s_cmp_lg_u32 s5, 11
	s_mov_b32 s8, -1
	s_cselect_b32 s5, -1, 0
	s_and_not1_b32 s4, s4, exec_lo
	s_and_b32 s5, s5, exec_lo
	s_delay_alu instid0(SALU_CYCLE_1)
	s_or_b32 s4, s4, s5
	s_branch .LBB71_918
.LBB71_917:
	s_mov_b32 s8, 0
.LBB71_918:
	s_and_not1_b32 s5, s42, exec_lo
	s_and_b32 s4, s4, exec_lo
	s_and_b32 s7, s7, exec_lo
	;; [unrolled: 1-line block ×3, first 2 shown]
	s_or_b32 s42, s5, s4
	s_wait_xcnt 0x0
	s_or_b32 exec_lo, exec_lo, s6
	s_and_saveexec_b32 s4, s42
	s_cbranch_execz .LBB71_876
.LBB71_919:
	s_or_b32 s1, s1, exec_lo
	s_and_not1_b32 s9, s9, exec_lo
	s_trap 2
	s_or_b32 exec_lo, exec_lo, s4
	s_and_saveexec_b32 s4, s9
	s_delay_alu instid0(SALU_CYCLE_1)
	s_xor_b32 s4, exec_lo, s4
	s_cbranch_execnz .LBB71_877
.LBB71_920:
	s_or_b32 exec_lo, exec_lo, s4
	s_and_saveexec_b32 s4, s7
	s_delay_alu instid0(SALU_CYCLE_1)
	s_xor_b32 s4, exec_lo, s4
	s_cbranch_execz .LBB71_958
.LBB71_921:
	s_sext_i32_i16 s6, s0
	s_mov_b32 s5, -1
	s_cmp_lt_i32 s6, 5
	s_cbranch_scc1 .LBB71_942
; %bb.922:
	s_cmp_lt_i32 s6, 8
	s_cbranch_scc1 .LBB71_932
; %bb.923:
	;; [unrolled: 3-line block ×3, first 2 shown]
	s_cmp_gt_i32 s6, 9
	s_cbranch_scc0 .LBB71_926
; %bb.925:
	v_mov_b32_e32 v2, 0
	s_mov_b32 s5, 0
	s_delay_alu instid0(VALU_DEP_1)
	v_dual_mov_b32 v3, v2 :: v_dual_mov_b32 v4, v2
	v_mov_b32_e32 v5, v2
	s_wait_loadcnt 0x0
	global_store_b128 v[0:1], v[2:5], off
.LBB71_926:
	s_and_not1_b32 vcc_lo, exec_lo, s5
	s_cbranch_vccnz .LBB71_928
; %bb.927:
	s_wait_xcnt 0x0
	v_mov_b64_e32 v[2:3], 0
	s_wait_loadcnt 0x0
	global_store_b64 v[0:1], v[2:3], off
.LBB71_928:
	s_mov_b32 s5, 0
.LBB71_929:
	s_delay_alu instid0(SALU_CYCLE_1)
	s_and_not1_b32 vcc_lo, exec_lo, s5
	s_cbranch_vccnz .LBB71_931
; %bb.930:
	s_wait_xcnt 0x0
	v_mov_b32_e32 v2, 0
	s_wait_loadcnt 0x0
	global_store_b32 v[0:1], v2, off
.LBB71_931:
	s_mov_b32 s5, 0
.LBB71_932:
	s_delay_alu instid0(SALU_CYCLE_1)
	s_and_not1_b32 vcc_lo, exec_lo, s5
	s_cbranch_vccnz .LBB71_941
; %bb.933:
	s_sext_i32_i16 s6, s0
	s_mov_b32 s5, -1
	s_cmp_lt_i32 s6, 6
	s_cbranch_scc1 .LBB71_939
; %bb.934:
	s_cmp_gt_i32 s6, 6
	s_cbranch_scc0 .LBB71_936
; %bb.935:
	s_wait_xcnt 0x0
	v_mov_b64_e32 v[2:3], 0
	s_mov_b32 s5, 0
	s_wait_loadcnt 0x0
	global_store_b64 v[0:1], v[2:3], off
.LBB71_936:
	s_and_not1_b32 vcc_lo, exec_lo, s5
	s_cbranch_vccnz .LBB71_938
; %bb.937:
	s_wait_xcnt 0x0
	v_mov_b32_e32 v2, 0
	s_wait_loadcnt 0x0
	global_store_b32 v[0:1], v2, off
.LBB71_938:
	s_mov_b32 s5, 0
.LBB71_939:
	s_delay_alu instid0(SALU_CYCLE_1)
	s_and_not1_b32 vcc_lo, exec_lo, s5
	s_cbranch_vccnz .LBB71_941
; %bb.940:
	s_wait_xcnt 0x0
	v_mov_b32_e32 v2, 0
	s_wait_loadcnt 0x0
	global_store_b16 v[0:1], v2, off
.LBB71_941:
	s_mov_b32 s5, 0
.LBB71_942:
	s_delay_alu instid0(SALU_CYCLE_1)
	s_and_not1_b32 vcc_lo, exec_lo, s5
	s_cbranch_vccnz .LBB71_958
; %bb.943:
	s_sext_i32_i16 s6, s0
	s_mov_b32 s5, -1
	s_cmp_lt_i32 s6, 2
	s_cbranch_scc1 .LBB71_953
; %bb.944:
	s_cmp_lt_i32 s6, 3
	s_cbranch_scc1 .LBB71_950
; %bb.945:
	s_cmp_gt_i32 s6, 3
	s_cbranch_scc0 .LBB71_947
; %bb.946:
	s_wait_xcnt 0x0
	v_mov_b64_e32 v[2:3], 0
	s_mov_b32 s5, 0
	s_wait_loadcnt 0x0
	global_store_b64 v[0:1], v[2:3], off
.LBB71_947:
	s_and_not1_b32 vcc_lo, exec_lo, s5
	s_cbranch_vccnz .LBB71_949
; %bb.948:
	s_wait_xcnt 0x0
	v_mov_b32_e32 v2, 0
	s_wait_loadcnt 0x0
	global_store_b32 v[0:1], v2, off
.LBB71_949:
	s_mov_b32 s5, 0
.LBB71_950:
	s_delay_alu instid0(SALU_CYCLE_1)
	s_and_not1_b32 vcc_lo, exec_lo, s5
	s_cbranch_vccnz .LBB71_952
; %bb.951:
	s_wait_xcnt 0x0
	v_mov_b32_e32 v2, 0
	s_wait_loadcnt 0x0
	global_store_b16 v[0:1], v2, off
.LBB71_952:
	s_mov_b32 s5, 0
.LBB71_953:
	s_delay_alu instid0(SALU_CYCLE_1)
	s_and_not1_b32 vcc_lo, exec_lo, s5
	s_cbranch_vccnz .LBB71_958
; %bb.954:
	s_sext_i32_i16 s0, s0
	s_delay_alu instid0(SALU_CYCLE_1)
	s_cmp_gt_i32 s0, 0
	s_mov_b32 s0, -1
	s_cbranch_scc0 .LBB71_956
; %bb.955:
	s_wait_xcnt 0x0
	v_mov_b32_e32 v2, 0
	s_mov_b32 s0, 0
	s_wait_loadcnt 0x0
	global_store_b8 v[0:1], v2, off
.LBB71_956:
	s_and_not1_b32 vcc_lo, exec_lo, s0
	s_cbranch_vccnz .LBB71_958
; %bb.957:
	s_wait_xcnt 0x0
	v_mov_b32_e32 v2, 0
	s_wait_loadcnt 0x0
	global_store_b8 v[0:1], v2, off
.LBB71_958:
	s_wait_xcnt 0x0
	s_or_b32 exec_lo, exec_lo, s4
	s_delay_alu instid0(SALU_CYCLE_1)
	s_and_b32 s10, s1, exec_lo
                                        ; implicit-def: $vgpr9
                                        ; implicit-def: $vgpr0
.LBB71_959:
	s_or_saveexec_b32 s11, s33
	s_mov_b32 s4, 0
                                        ; implicit-def: $vgpr14_vgpr15
                                        ; implicit-def: $sgpr0
	s_xor_b32 exec_lo, exec_lo, s11
	s_cbranch_execz .LBB71_1854
; %bb.960:
	s_wait_loadcnt 0x0
	v_cndmask_b32_e64 v1, 0, 1, s31
	s_and_not1_b32 vcc_lo, exec_lo, s31
	s_cbranch_vccnz .LBB71_966
; %bb.961:
	s_cmp_lg_u32 s28, 0
	s_mov_b32 s8, 0
	s_cbranch_scc0 .LBB71_967
; %bb.962:
	s_min_u32 s1, s29, 15
	s_delay_alu instid0(SALU_CYCLE_1)
	s_add_co_i32 s1, s1, 1
	s_cmp_eq_u32 s29, 2
	s_cbranch_scc1 .LBB71_968
; %bb.963:
	v_dual_mov_b32 v6, 0 :: v_dual_mov_b32 v14, 0
	v_mov_b32_e32 v2, v0
	s_and_b32 s0, s1, 28
	s_add_nc_u64 s[4:5], s[2:3], 0xc4
	s_mov_b32 s9, 0
	s_mov_b64 s[6:7], s[2:3]
.LBB71_964:                             ; =>This Inner Loop Header: Depth=1
	s_clause 0x1
	s_load_b256 s[12:19], s[6:7], 0x4
	s_load_b128 s[36:39], s[6:7], 0x24
	s_load_b256 s[20:27], s[4:5], 0x0
	s_add_co_i32 s9, s9, 4
	s_wait_xcnt 0x0
	s_add_nc_u64 s[6:7], s[6:7], 48
	s_cmp_lg_u32 s0, s9
	s_add_nc_u64 s[4:5], s[4:5], 32
	s_wait_kmcnt 0x0
	v_mul_hi_u32 v3, s13, v2
	s_delay_alu instid0(VALU_DEP_1) | instskip(NEXT) | instid1(VALU_DEP_1)
	v_add_nc_u32_e32 v3, v2, v3
	v_lshrrev_b32_e32 v3, s14, v3
	s_delay_alu instid0(VALU_DEP_1) | instskip(NEXT) | instid1(VALU_DEP_1)
	v_mul_hi_u32 v4, s16, v3
	v_add_nc_u32_e32 v4, v3, v4
	s_delay_alu instid0(VALU_DEP_1) | instskip(NEXT) | instid1(VALU_DEP_1)
	v_lshrrev_b32_e32 v4, s17, v4
	v_mul_hi_u32 v5, s19, v4
	s_delay_alu instid0(VALU_DEP_1) | instskip(SKIP_1) | instid1(VALU_DEP_1)
	v_add_nc_u32_e32 v5, v4, v5
	v_mul_lo_u32 v7, v3, s12
	v_sub_nc_u32_e32 v2, v2, v7
	v_mul_lo_u32 v7, v4, s15
	s_delay_alu instid0(VALU_DEP_4) | instskip(NEXT) | instid1(VALU_DEP_3)
	v_lshrrev_b32_e32 v5, s36, v5
	v_mad_u32 v10, v2, s21, v14
	v_mad_u32 v2, v2, s20, v6
	s_delay_alu instid0(VALU_DEP_4) | instskip(NEXT) | instid1(VALU_DEP_4)
	v_sub_nc_u32_e32 v3, v3, v7
	v_mul_hi_u32 v8, s38, v5
	v_mul_lo_u32 v6, v5, s18
	s_delay_alu instid0(VALU_DEP_1) | instskip(NEXT) | instid1(VALU_DEP_4)
	v_dual_add_nc_u32 v7, v5, v8 :: v_dual_sub_nc_u32 v4, v4, v6
	v_mad_u32 v8, v3, s23, v10
	v_mad_u32 v3, v3, s22, v2
	s_delay_alu instid0(VALU_DEP_3) | instskip(NEXT) | instid1(VALU_DEP_1)
	v_lshrrev_b32_e32 v2, s39, v7
	v_mul_lo_u32 v6, v2, s37
	s_delay_alu instid0(VALU_DEP_4) | instskip(NEXT) | instid1(VALU_DEP_4)
	v_mad_u32 v7, v4, s25, v8
	v_mad_u32 v3, v4, s24, v3
	s_delay_alu instid0(VALU_DEP_3) | instskip(NEXT) | instid1(VALU_DEP_1)
	v_sub_nc_u32_e32 v4, v5, v6
	v_mad_u32 v14, v4, s27, v7
	s_delay_alu instid0(VALU_DEP_3)
	v_mad_u32 v6, v4, s26, v3
	s_cbranch_scc1 .LBB71_964
; %bb.965:
	s_delay_alu instid0(VALU_DEP_2)
	v_mov_b32_e32 v7, v14
	s_and_b32 s6, s1, 3
	s_mov_b32 s1, 0
	s_cmp_eq_u32 s6, 0
	s_cbranch_scc0 .LBB71_969
	s_branch .LBB71_972
.LBB71_966:
	s_mov_b32 s8, -1
                                        ; implicit-def: $vgpr14
                                        ; implicit-def: $vgpr6
	s_branch .LBB71_972
.LBB71_967:
	v_dual_mov_b32 v14, 0 :: v_dual_mov_b32 v6, 0
	s_branch .LBB71_972
.LBB71_968:
	v_mov_b64_e32 v[6:7], 0
	v_mov_b32_e32 v2, v0
	s_mov_b32 s0, 0
                                        ; implicit-def: $vgpr14
	s_and_b32 s6, s1, 3
	s_mov_b32 s1, 0
	s_cmp_eq_u32 s6, 0
	s_cbranch_scc1 .LBB71_972
.LBB71_969:
	s_lshl_b32 s4, s0, 3
	s_mov_b32 s5, s1
	s_mul_u64 s[12:13], s[0:1], 12
	s_add_nc_u64 s[4:5], s[2:3], s[4:5]
	s_delay_alu instid0(SALU_CYCLE_1)
	s_add_nc_u64 s[0:1], s[4:5], 0xc4
	s_add_nc_u64 s[4:5], s[2:3], s[12:13]
.LBB71_970:                             ; =>This Inner Loop Header: Depth=1
	s_load_b96 s[12:14], s[4:5], 0x4
	s_add_co_i32 s6, s6, -1
	s_wait_xcnt 0x0
	s_add_nc_u64 s[4:5], s[4:5], 12
	s_cmp_lg_u32 s6, 0
	s_wait_kmcnt 0x0
	v_mul_hi_u32 v3, s13, v2
	s_delay_alu instid0(VALU_DEP_1) | instskip(NEXT) | instid1(VALU_DEP_1)
	v_add_nc_u32_e32 v3, v2, v3
	v_lshrrev_b32_e32 v3, s14, v3
	s_load_b64 s[14:15], s[0:1], 0x0
	s_wait_xcnt 0x0
	s_add_nc_u64 s[0:1], s[0:1], 8
	s_delay_alu instid0(VALU_DEP_1) | instskip(NEXT) | instid1(VALU_DEP_1)
	v_mul_lo_u32 v4, v3, s12
	v_sub_nc_u32_e32 v2, v2, v4
	s_wait_kmcnt 0x0
	s_delay_alu instid0(VALU_DEP_1)
	v_mad_u32 v7, v2, s15, v7
	v_mad_u32 v6, v2, s14, v6
	v_mov_b32_e32 v2, v3
	s_cbranch_scc1 .LBB71_970
; %bb.971:
	s_delay_alu instid0(VALU_DEP_3)
	v_mov_b32_e32 v14, v7
.LBB71_972:
	s_and_not1_b32 vcc_lo, exec_lo, s8
	s_cbranch_vccnz .LBB71_975
; %bb.973:
	s_clause 0x1
	s_load_b96 s[4:6], s[2:3], 0x4
	s_load_b64 s[0:1], s[2:3], 0xc4
	s_cmp_lt_u32 s28, 2
	s_wait_kmcnt 0x0
	v_mul_hi_u32 v2, s5, v0
	s_delay_alu instid0(VALU_DEP_1) | instskip(NEXT) | instid1(VALU_DEP_1)
	v_add_nc_u32_e32 v2, v0, v2
	v_lshrrev_b32_e32 v2, s6, v2
	s_delay_alu instid0(VALU_DEP_1) | instskip(NEXT) | instid1(VALU_DEP_1)
	v_mul_lo_u32 v3, v2, s4
	v_sub_nc_u32_e32 v3, v0, v3
	s_delay_alu instid0(VALU_DEP_1)
	v_mul_lo_u32 v14, v3, s1
	v_mul_lo_u32 v6, v3, s0
	s_cbranch_scc1 .LBB71_975
; %bb.974:
	s_clause 0x1
	s_load_b96 s[4:6], s[2:3], 0x10
	s_load_b64 s[0:1], s[2:3], 0xcc
	s_wait_kmcnt 0x0
	v_mul_hi_u32 v3, s5, v2
	s_delay_alu instid0(VALU_DEP_1) | instskip(NEXT) | instid1(VALU_DEP_1)
	v_add_nc_u32_e32 v3, v2, v3
	v_lshrrev_b32_e32 v3, s6, v3
	s_delay_alu instid0(VALU_DEP_1) | instskip(NEXT) | instid1(VALU_DEP_1)
	v_mul_lo_u32 v3, v3, s4
	v_sub_nc_u32_e32 v2, v2, v3
	s_delay_alu instid0(VALU_DEP_1)
	v_mad_u32 v6, v2, s0, v6
	v_mad_u32 v14, v2, s1, v14
.LBB71_975:
	v_cmp_ne_u32_e32 vcc_lo, 1, v1
	v_add_nc_u32_e32 v2, 0x80, v0
	s_cbranch_vccnz .LBB71_981
; %bb.976:
	s_cmp_lg_u32 s28, 0
	s_mov_b32 s8, 0
	s_cbranch_scc0 .LBB71_982
; %bb.977:
	s_min_u32 s1, s29, 15
	s_delay_alu instid0(SALU_CYCLE_1)
	s_add_co_i32 s1, s1, 1
	s_cmp_eq_u32 s29, 2
	s_cbranch_scc1 .LBB71_983
; %bb.978:
	v_dual_mov_b32 v4, 0 :: v_dual_mov_b32 v12, 0
	v_mov_b32_e32 v3, v2
	s_and_b32 s0, s1, 28
	s_add_nc_u64 s[4:5], s[2:3], 0xc4
	s_mov_b32 s9, 0
	s_mov_b64 s[6:7], s[2:3]
.LBB71_979:                             ; =>This Inner Loop Header: Depth=1
	s_clause 0x1
	s_load_b256 s[12:19], s[6:7], 0x4
	s_load_b128 s[36:39], s[6:7], 0x24
	s_load_b256 s[20:27], s[4:5], 0x0
	s_add_co_i32 s9, s9, 4
	s_wait_xcnt 0x0
	s_add_nc_u64 s[6:7], s[6:7], 48
	s_cmp_lg_u32 s0, s9
	s_add_nc_u64 s[4:5], s[4:5], 32
	s_wait_kmcnt 0x0
	v_mul_hi_u32 v5, s13, v3
	s_delay_alu instid0(VALU_DEP_1) | instskip(NEXT) | instid1(VALU_DEP_1)
	v_add_nc_u32_e32 v5, v3, v5
	v_lshrrev_b32_e32 v5, s14, v5
	s_delay_alu instid0(VALU_DEP_1) | instskip(NEXT) | instid1(VALU_DEP_1)
	v_mul_hi_u32 v7, s16, v5
	v_add_nc_u32_e32 v7, v5, v7
	s_delay_alu instid0(VALU_DEP_1) | instskip(NEXT) | instid1(VALU_DEP_1)
	v_lshrrev_b32_e32 v7, s17, v7
	v_mul_hi_u32 v8, s19, v7
	s_delay_alu instid0(VALU_DEP_1) | instskip(SKIP_1) | instid1(VALU_DEP_1)
	v_add_nc_u32_e32 v8, v7, v8
	v_mul_lo_u32 v10, v5, s12
	v_sub_nc_u32_e32 v3, v3, v10
	v_mul_lo_u32 v10, v7, s15
	s_delay_alu instid0(VALU_DEP_4) | instskip(NEXT) | instid1(VALU_DEP_3)
	v_lshrrev_b32_e32 v8, s36, v8
	v_mad_u32 v12, v3, s21, v12
	v_mad_u32 v3, v3, s20, v4
	s_delay_alu instid0(VALU_DEP_4) | instskip(NEXT) | instid1(VALU_DEP_4)
	v_sub_nc_u32_e32 v4, v5, v10
	v_mul_hi_u32 v11, s38, v8
	v_mul_lo_u32 v5, v8, s18
	s_delay_alu instid0(VALU_DEP_1) | instskip(NEXT) | instid1(VALU_DEP_4)
	v_dual_add_nc_u32 v10, v8, v11 :: v_dual_sub_nc_u32 v5, v7, v5
	v_mad_u32 v11, v4, s23, v12
	v_mad_u32 v4, v4, s22, v3
	s_delay_alu instid0(VALU_DEP_3) | instskip(NEXT) | instid1(VALU_DEP_1)
	v_lshrrev_b32_e32 v3, s39, v10
	v_mul_lo_u32 v7, v3, s37
	s_delay_alu instid0(VALU_DEP_4) | instskip(NEXT) | instid1(VALU_DEP_4)
	v_mad_u32 v10, v5, s25, v11
	v_mad_u32 v4, v5, s24, v4
	s_delay_alu instid0(VALU_DEP_3) | instskip(NEXT) | instid1(VALU_DEP_1)
	v_sub_nc_u32_e32 v5, v8, v7
	v_mad_u32 v12, v5, s27, v10
	s_delay_alu instid0(VALU_DEP_3)
	v_mad_u32 v4, v5, s26, v4
	s_cbranch_scc1 .LBB71_979
; %bb.980:
	s_delay_alu instid0(VALU_DEP_2)
	v_mov_b32_e32 v5, v12
	s_and_b32 s6, s1, 3
	s_mov_b32 s1, 0
	s_cmp_eq_u32 s6, 0
	s_cbranch_scc0 .LBB71_984
	s_branch .LBB71_987
.LBB71_981:
	s_mov_b32 s8, -1
                                        ; implicit-def: $vgpr12
                                        ; implicit-def: $vgpr4
	s_branch .LBB71_987
.LBB71_982:
	v_dual_mov_b32 v12, 0 :: v_dual_mov_b32 v4, 0
	s_branch .LBB71_987
.LBB71_983:
	v_mov_b64_e32 v[4:5], 0
	v_mov_b32_e32 v3, v2
	s_mov_b32 s0, 0
                                        ; implicit-def: $vgpr12
	s_and_b32 s6, s1, 3
	s_mov_b32 s1, 0
	s_cmp_eq_u32 s6, 0
	s_cbranch_scc1 .LBB71_987
.LBB71_984:
	s_lshl_b32 s4, s0, 3
	s_mov_b32 s5, s1
	s_mul_u64 s[12:13], s[0:1], 12
	s_add_nc_u64 s[4:5], s[2:3], s[4:5]
	s_delay_alu instid0(SALU_CYCLE_1)
	s_add_nc_u64 s[0:1], s[4:5], 0xc4
	s_add_nc_u64 s[4:5], s[2:3], s[12:13]
.LBB71_985:                             ; =>This Inner Loop Header: Depth=1
	s_load_b96 s[12:14], s[4:5], 0x4
	s_add_co_i32 s6, s6, -1
	s_wait_xcnt 0x0
	s_add_nc_u64 s[4:5], s[4:5], 12
	s_cmp_lg_u32 s6, 0
	s_wait_kmcnt 0x0
	v_mul_hi_u32 v7, s13, v3
	s_delay_alu instid0(VALU_DEP_1) | instskip(NEXT) | instid1(VALU_DEP_1)
	v_add_nc_u32_e32 v7, v3, v7
	v_lshrrev_b32_e32 v7, s14, v7
	s_load_b64 s[14:15], s[0:1], 0x0
	s_wait_xcnt 0x0
	s_add_nc_u64 s[0:1], s[0:1], 8
	s_delay_alu instid0(VALU_DEP_1) | instskip(NEXT) | instid1(VALU_DEP_1)
	v_mul_lo_u32 v8, v7, s12
	v_sub_nc_u32_e32 v3, v3, v8
	s_wait_kmcnt 0x0
	s_delay_alu instid0(VALU_DEP_1)
	v_mad_u32 v5, v3, s15, v5
	v_mad_u32 v4, v3, s14, v4
	v_mov_b32_e32 v3, v7
	s_cbranch_scc1 .LBB71_985
; %bb.986:
	s_delay_alu instid0(VALU_DEP_3)
	v_mov_b32_e32 v12, v5
.LBB71_987:
	s_and_not1_b32 vcc_lo, exec_lo, s8
	s_cbranch_vccnz .LBB71_990
; %bb.988:
	s_clause 0x1
	s_load_b96 s[4:6], s[2:3], 0x4
	s_load_b64 s[0:1], s[2:3], 0xc4
	s_cmp_lt_u32 s28, 2
	s_wait_kmcnt 0x0
	v_mul_hi_u32 v3, s5, v2
	s_delay_alu instid0(VALU_DEP_1) | instskip(NEXT) | instid1(VALU_DEP_1)
	v_add_nc_u32_e32 v3, v2, v3
	v_lshrrev_b32_e32 v3, s6, v3
	s_delay_alu instid0(VALU_DEP_1) | instskip(NEXT) | instid1(VALU_DEP_1)
	v_mul_lo_u32 v4, v3, s4
	v_sub_nc_u32_e32 v2, v2, v4
	s_delay_alu instid0(VALU_DEP_1)
	v_mul_lo_u32 v12, v2, s1
	v_mul_lo_u32 v4, v2, s0
	s_cbranch_scc1 .LBB71_990
; %bb.989:
	s_clause 0x1
	s_load_b96 s[4:6], s[2:3], 0x10
	s_load_b64 s[0:1], s[2:3], 0xcc
	s_wait_kmcnt 0x0
	v_mul_hi_u32 v2, s5, v3
	s_delay_alu instid0(VALU_DEP_1) | instskip(NEXT) | instid1(VALU_DEP_1)
	v_add_nc_u32_e32 v2, v3, v2
	v_lshrrev_b32_e32 v2, s6, v2
	s_delay_alu instid0(VALU_DEP_1) | instskip(NEXT) | instid1(VALU_DEP_1)
	v_mul_lo_u32 v2, v2, s4
	v_sub_nc_u32_e32 v2, v3, v2
	s_delay_alu instid0(VALU_DEP_1)
	v_mad_u32 v4, v2, s0, v4
	v_mad_u32 v12, v2, s1, v12
.LBB71_990:
	v_cmp_ne_u32_e32 vcc_lo, 1, v1
	v_add_nc_u32_e32 v0, 0x100, v0
	s_cbranch_vccnz .LBB71_996
; %bb.991:
	s_cmp_lg_u32 s28, 0
	s_mov_b32 s8, 0
	s_cbranch_scc0 .LBB71_997
; %bb.992:
	s_min_u32 s1, s29, 15
	s_delay_alu instid0(SALU_CYCLE_1)
	s_add_co_i32 s1, s1, 1
	s_cmp_eq_u32 s29, 2
	s_cbranch_scc1 .LBB71_998
; %bb.993:
	v_dual_mov_b32 v2, 0 :: v_dual_mov_b32 v10, 0
	v_mov_b32_e32 v5, v0
	s_and_b32 s0, s1, 28
	s_add_nc_u64 s[4:5], s[2:3], 0xc4
	s_mov_b32 s9, 0
	s_mov_b64 s[6:7], s[2:3]
.LBB71_994:                             ; =>This Inner Loop Header: Depth=1
	s_clause 0x1
	s_load_b256 s[12:19], s[6:7], 0x4
	s_load_b128 s[36:39], s[6:7], 0x24
	s_load_b256 s[20:27], s[4:5], 0x0
	s_add_co_i32 s9, s9, 4
	s_wait_xcnt 0x0
	s_add_nc_u64 s[6:7], s[6:7], 48
	s_cmp_lg_u32 s0, s9
	s_add_nc_u64 s[4:5], s[4:5], 32
	s_wait_kmcnt 0x0
	v_mul_hi_u32 v3, s13, v5
	s_delay_alu instid0(VALU_DEP_1) | instskip(NEXT) | instid1(VALU_DEP_1)
	v_add_nc_u32_e32 v3, v5, v3
	v_lshrrev_b32_e32 v3, s14, v3
	s_delay_alu instid0(VALU_DEP_1) | instskip(NEXT) | instid1(VALU_DEP_1)
	v_mul_hi_u32 v7, s16, v3
	v_add_nc_u32_e32 v7, v3, v7
	s_delay_alu instid0(VALU_DEP_1) | instskip(NEXT) | instid1(VALU_DEP_1)
	v_lshrrev_b32_e32 v7, s17, v7
	v_mul_hi_u32 v8, s19, v7
	s_delay_alu instid0(VALU_DEP_1) | instskip(NEXT) | instid1(VALU_DEP_1)
	v_add_nc_u32_e32 v8, v7, v8
	v_lshrrev_b32_e32 v8, s36, v8
	v_mul_lo_u32 v11, v3, s12
	s_delay_alu instid0(VALU_DEP_2) | instskip(NEXT) | instid1(VALU_DEP_2)
	v_mul_hi_u32 v13, s38, v8
	v_sub_nc_u32_e32 v5, v5, v11
	s_delay_alu instid0(VALU_DEP_1) | instskip(SKIP_1) | instid1(VALU_DEP_4)
	v_mad_u32 v10, v5, s21, v10
	v_mad_u32 v2, v5, s20, v2
	v_add_nc_u32_e32 v5, v8, v13
	s_delay_alu instid0(VALU_DEP_1) | instskip(SKIP_1) | instid1(VALU_DEP_1)
	v_lshrrev_b32_e32 v5, s39, v5
	v_mul_lo_u32 v11, v7, s15
	v_sub_nc_u32_e32 v3, v3, v11
	v_mul_lo_u32 v11, v8, s18
	s_delay_alu instid0(VALU_DEP_2) | instskip(SKIP_1) | instid1(VALU_DEP_3)
	v_mad_u32 v10, v3, s23, v10
	v_mad_u32 v2, v3, s22, v2
	v_sub_nc_u32_e32 v3, v7, v11
	v_mul_lo_u32 v7, v5, s37
	s_delay_alu instid0(VALU_DEP_2) | instskip(NEXT) | instid1(VALU_DEP_4)
	v_mad_u32 v10, v3, s25, v10
	v_mad_u32 v2, v3, s24, v2
	s_delay_alu instid0(VALU_DEP_3) | instskip(NEXT) | instid1(VALU_DEP_1)
	v_sub_nc_u32_e32 v3, v8, v7
	v_mad_u32 v10, v3, s27, v10
	s_delay_alu instid0(VALU_DEP_3)
	v_mad_u32 v2, v3, s26, v2
	s_cbranch_scc1 .LBB71_994
; %bb.995:
	s_delay_alu instid0(VALU_DEP_2)
	v_mov_b32_e32 v3, v10
	s_and_b32 s6, s1, 3
	s_mov_b32 s1, 0
	s_cmp_eq_u32 s6, 0
	s_cbranch_scc0 .LBB71_999
	s_branch .LBB71_1002
.LBB71_996:
	s_mov_b32 s8, -1
                                        ; implicit-def: $vgpr10
                                        ; implicit-def: $vgpr2
	s_branch .LBB71_1002
.LBB71_997:
	v_dual_mov_b32 v10, 0 :: v_dual_mov_b32 v2, 0
	s_branch .LBB71_1002
.LBB71_998:
	v_mov_b64_e32 v[2:3], 0
	v_mov_b32_e32 v5, v0
	s_mov_b32 s0, 0
                                        ; implicit-def: $vgpr10
	s_and_b32 s6, s1, 3
	s_mov_b32 s1, 0
	s_cmp_eq_u32 s6, 0
	s_cbranch_scc1 .LBB71_1002
.LBB71_999:
	s_lshl_b32 s4, s0, 3
	s_mov_b32 s5, s1
	s_mul_u64 s[12:13], s[0:1], 12
	s_add_nc_u64 s[4:5], s[2:3], s[4:5]
	s_delay_alu instid0(SALU_CYCLE_1)
	s_add_nc_u64 s[0:1], s[4:5], 0xc4
	s_add_nc_u64 s[4:5], s[2:3], s[12:13]
.LBB71_1000:                            ; =>This Inner Loop Header: Depth=1
	s_load_b96 s[12:14], s[4:5], 0x4
	s_add_co_i32 s6, s6, -1
	s_wait_xcnt 0x0
	s_add_nc_u64 s[4:5], s[4:5], 12
	s_cmp_lg_u32 s6, 0
	s_wait_kmcnt 0x0
	v_mul_hi_u32 v7, s13, v5
	s_delay_alu instid0(VALU_DEP_1) | instskip(NEXT) | instid1(VALU_DEP_1)
	v_add_nc_u32_e32 v7, v5, v7
	v_lshrrev_b32_e32 v7, s14, v7
	s_load_b64 s[14:15], s[0:1], 0x0
	s_wait_xcnt 0x0
	s_add_nc_u64 s[0:1], s[0:1], 8
	s_delay_alu instid0(VALU_DEP_1) | instskip(NEXT) | instid1(VALU_DEP_1)
	v_mul_lo_u32 v8, v7, s12
	v_sub_nc_u32_e32 v5, v5, v8
	s_wait_kmcnt 0x0
	s_delay_alu instid0(VALU_DEP_1)
	v_mad_u32 v3, v5, s15, v3
	v_mad_u32 v2, v5, s14, v2
	v_mov_b32_e32 v5, v7
	s_cbranch_scc1 .LBB71_1000
; %bb.1001:
	s_delay_alu instid0(VALU_DEP_3)
	v_mov_b32_e32 v10, v3
.LBB71_1002:
	s_and_not1_b32 vcc_lo, exec_lo, s8
	s_cbranch_vccnz .LBB71_1005
; %bb.1003:
	s_clause 0x1
	s_load_b96 s[4:6], s[2:3], 0x4
	s_load_b64 s[0:1], s[2:3], 0xc4
	s_cmp_lt_u32 s28, 2
	s_wait_kmcnt 0x0
	v_mul_hi_u32 v2, s5, v0
	s_delay_alu instid0(VALU_DEP_1) | instskip(NEXT) | instid1(VALU_DEP_1)
	v_add_nc_u32_e32 v2, v0, v2
	v_lshrrev_b32_e32 v3, s6, v2
	s_delay_alu instid0(VALU_DEP_1) | instskip(NEXT) | instid1(VALU_DEP_1)
	v_mul_lo_u32 v2, v3, s4
	v_sub_nc_u32_e32 v0, v0, v2
	s_delay_alu instid0(VALU_DEP_1)
	v_mul_lo_u32 v10, v0, s1
	v_mul_lo_u32 v2, v0, s0
	s_cbranch_scc1 .LBB71_1005
; %bb.1004:
	s_clause 0x1
	s_load_b96 s[4:6], s[2:3], 0x10
	s_load_b64 s[0:1], s[2:3], 0xcc
	s_wait_kmcnt 0x0
	v_mul_hi_u32 v0, s5, v3
	s_delay_alu instid0(VALU_DEP_1) | instskip(NEXT) | instid1(VALU_DEP_1)
	v_add_nc_u32_e32 v0, v3, v0
	v_lshrrev_b32_e32 v0, s6, v0
	s_delay_alu instid0(VALU_DEP_1) | instskip(NEXT) | instid1(VALU_DEP_1)
	v_mul_lo_u32 v0, v0, s4
	v_sub_nc_u32_e32 v0, v3, v0
	s_delay_alu instid0(VALU_DEP_1)
	v_mad_u32 v2, v0, s0, v2
	v_mad_u32 v10, v0, s1, v10
.LBB71_1005:
	v_cmp_ne_u32_e32 vcc_lo, 1, v1
	s_cbranch_vccnz .LBB71_1011
; %bb.1006:
	s_cmp_lg_u32 s28, 0
	s_mov_b32 s8, 0
	s_cbranch_scc0 .LBB71_1012
; %bb.1007:
	s_min_u32 s1, s29, 15
	s_delay_alu instid0(SALU_CYCLE_1)
	s_add_co_i32 s1, s1, 1
	s_cmp_eq_u32 s29, 2
	s_cbranch_scc1 .LBB71_1013
; %bb.1008:
	v_dual_mov_b32 v0, 0 :: v_dual_mov_b32 v8, 0
	v_mov_b32_e32 v3, v9
	s_and_b32 s0, s1, 28
	s_add_nc_u64 s[4:5], s[2:3], 0xc4
	s_mov_b32 s9, 0
	s_mov_b64 s[6:7], s[2:3]
.LBB71_1009:                            ; =>This Inner Loop Header: Depth=1
	s_clause 0x1
	s_load_b256 s[12:19], s[6:7], 0x4
	s_load_b128 s[36:39], s[6:7], 0x24
	s_load_b256 s[20:27], s[4:5], 0x0
	s_add_co_i32 s9, s9, 4
	s_wait_xcnt 0x0
	s_add_nc_u64 s[6:7], s[6:7], 48
	s_cmp_lg_u32 s0, s9
	s_add_nc_u64 s[4:5], s[4:5], 32
	s_wait_kmcnt 0x0
	v_mul_hi_u32 v1, s13, v3
	s_delay_alu instid0(VALU_DEP_1) | instskip(NEXT) | instid1(VALU_DEP_1)
	v_add_nc_u32_e32 v1, v3, v1
	v_lshrrev_b32_e32 v1, s14, v1
	s_delay_alu instid0(VALU_DEP_1) | instskip(NEXT) | instid1(VALU_DEP_1)
	v_mul_lo_u32 v11, v1, s12
	v_sub_nc_u32_e32 v3, v3, v11
	v_mul_hi_u32 v5, s16, v1
	s_delay_alu instid0(VALU_DEP_2) | instskip(SKIP_1) | instid1(VALU_DEP_3)
	v_mad_u32 v8, v3, s21, v8
	v_mad_u32 v0, v3, s20, v0
	v_add_nc_u32_e32 v5, v1, v5
	s_delay_alu instid0(VALU_DEP_1) | instskip(NEXT) | instid1(VALU_DEP_1)
	v_lshrrev_b32_e32 v5, s17, v5
	v_mul_lo_u32 v11, v5, s15
	s_delay_alu instid0(VALU_DEP_1) | instskip(SKIP_1) | instid1(VALU_DEP_2)
	v_sub_nc_u32_e32 v1, v1, v11
	v_mul_hi_u32 v7, s19, v5
	v_mad_u32 v8, v1, s23, v8
	v_mad_u32 v0, v1, s22, v0
	s_delay_alu instid0(VALU_DEP_3) | instskip(NEXT) | instid1(VALU_DEP_1)
	v_add_nc_u32_e32 v7, v5, v7
	v_lshrrev_b32_e32 v7, s36, v7
	s_delay_alu instid0(VALU_DEP_1) | instskip(SKIP_1) | instid1(VALU_DEP_1)
	v_mul_hi_u32 v13, s38, v7
	v_mul_lo_u32 v11, v7, s18
	v_dual_add_nc_u32 v3, v7, v13 :: v_dual_sub_nc_u32 v1, v5, v11
	s_delay_alu instid0(VALU_DEP_1) | instskip(NEXT) | instid1(VALU_DEP_2)
	v_lshrrev_b32_e32 v3, s39, v3
	v_mad_u32 v8, v1, s25, v8
	v_mad_u32 v0, v1, s24, v0
	s_delay_alu instid0(VALU_DEP_3) | instskip(NEXT) | instid1(VALU_DEP_1)
	v_mul_lo_u32 v5, v3, s37
	v_sub_nc_u32_e32 v1, v7, v5
	s_delay_alu instid0(VALU_DEP_1) | instskip(NEXT) | instid1(VALU_DEP_4)
	v_mad_u32 v8, v1, s27, v8
	v_mad_u32 v0, v1, s26, v0
	s_cbranch_scc1 .LBB71_1009
; %bb.1010:
	s_delay_alu instid0(VALU_DEP_2)
	v_mov_b32_e32 v1, v8
	s_and_b32 s6, s1, 3
	s_mov_b32 s1, 0
	s_cmp_eq_u32 s6, 0
	s_cbranch_scc0 .LBB71_1014
	s_branch .LBB71_1017
.LBB71_1011:
	s_mov_b32 s8, -1
                                        ; implicit-def: $vgpr8
                                        ; implicit-def: $vgpr0
	s_branch .LBB71_1017
.LBB71_1012:
	v_dual_mov_b32 v8, 0 :: v_dual_mov_b32 v0, 0
	s_branch .LBB71_1017
.LBB71_1013:
	v_mov_b64_e32 v[0:1], 0
	v_mov_b32_e32 v3, v9
	s_mov_b32 s0, 0
                                        ; implicit-def: $vgpr8
	s_and_b32 s6, s1, 3
	s_mov_b32 s1, 0
	s_cmp_eq_u32 s6, 0
	s_cbranch_scc1 .LBB71_1017
.LBB71_1014:
	s_lshl_b32 s4, s0, 3
	s_mov_b32 s5, s1
	s_mul_u64 s[12:13], s[0:1], 12
	s_add_nc_u64 s[4:5], s[2:3], s[4:5]
	s_delay_alu instid0(SALU_CYCLE_1)
	s_add_nc_u64 s[0:1], s[4:5], 0xc4
	s_add_nc_u64 s[4:5], s[2:3], s[12:13]
.LBB71_1015:                            ; =>This Inner Loop Header: Depth=1
	s_load_b96 s[12:14], s[4:5], 0x4
	s_add_co_i32 s6, s6, -1
	s_wait_xcnt 0x0
	s_add_nc_u64 s[4:5], s[4:5], 12
	s_cmp_lg_u32 s6, 0
	s_wait_kmcnt 0x0
	v_mul_hi_u32 v5, s13, v3
	s_delay_alu instid0(VALU_DEP_1) | instskip(NEXT) | instid1(VALU_DEP_1)
	v_add_nc_u32_e32 v5, v3, v5
	v_lshrrev_b32_e32 v5, s14, v5
	s_load_b64 s[14:15], s[0:1], 0x0
	s_wait_xcnt 0x0
	s_add_nc_u64 s[0:1], s[0:1], 8
	s_delay_alu instid0(VALU_DEP_1) | instskip(NEXT) | instid1(VALU_DEP_1)
	v_mul_lo_u32 v7, v5, s12
	v_sub_nc_u32_e32 v3, v3, v7
	s_wait_kmcnt 0x0
	s_delay_alu instid0(VALU_DEP_1)
	v_mad_u32 v1, v3, s15, v1
	v_mad_u32 v0, v3, s14, v0
	v_mov_b32_e32 v3, v5
	s_cbranch_scc1 .LBB71_1015
; %bb.1016:
	s_delay_alu instid0(VALU_DEP_3)
	v_mov_b32_e32 v8, v1
.LBB71_1017:
	s_and_not1_b32 vcc_lo, exec_lo, s8
	s_cbranch_vccnz .LBB71_1020
; %bb.1018:
	s_clause 0x1
	s_load_b96 s[4:6], s[2:3], 0x4
	s_load_b64 s[0:1], s[2:3], 0xc4
	s_cmp_lt_u32 s28, 2
	s_wait_kmcnt 0x0
	v_mul_hi_u32 v0, s5, v9
	s_delay_alu instid0(VALU_DEP_1) | instskip(NEXT) | instid1(VALU_DEP_1)
	v_add_nc_u32_e32 v0, v9, v0
	v_lshrrev_b32_e32 v1, s6, v0
	s_delay_alu instid0(VALU_DEP_1) | instskip(NEXT) | instid1(VALU_DEP_1)
	v_mul_lo_u32 v0, v1, s4
	v_sub_nc_u32_e32 v0, v9, v0
	s_delay_alu instid0(VALU_DEP_1)
	v_mul_lo_u32 v8, v0, s1
	v_mul_lo_u32 v0, v0, s0
	s_cbranch_scc1 .LBB71_1020
; %bb.1019:
	s_clause 0x1
	s_load_b96 s[4:6], s[2:3], 0x10
	s_load_b64 s[0:1], s[2:3], 0xcc
	s_wait_kmcnt 0x0
	v_mul_hi_u32 v3, s5, v1
	s_delay_alu instid0(VALU_DEP_1) | instskip(NEXT) | instid1(VALU_DEP_1)
	v_add_nc_u32_e32 v3, v1, v3
	v_lshrrev_b32_e32 v3, s6, v3
	s_delay_alu instid0(VALU_DEP_1) | instskip(NEXT) | instid1(VALU_DEP_1)
	v_mul_lo_u32 v3, v3, s4
	v_sub_nc_u32_e32 v1, v1, v3
	s_delay_alu instid0(VALU_DEP_1)
	v_mad_u32 v0, v1, s0, v0
	v_mad_u32 v8, v1, s1, v8
.LBB71_1020:
	v_mov_b32_e32 v15, 0
	s_load_b128 s[4:7], s[2:3], 0x148
	global_load_u8 v1, v15, s[2:3] offset:361
	s_wait_kmcnt 0x0
	v_add_nc_u64_e32 v[14:15], s[6:7], v[14:15]
	s_wait_loadcnt 0x0
	v_and_b32_e32 v3, 0xffff, v1
	v_readfirstlane_b32 s12, v1
	s_delay_alu instid0(VALU_DEP_2)
	v_cmp_gt_i32_e32 vcc_lo, 11, v3
	s_cbranch_vccnz .LBB71_1027
; %bb.1021:
	s_and_b32 s0, 0xffff, s12
	s_mov_b32 s8, 0
	s_cmp_gt_i32 s0, 25
	s_cbranch_scc0 .LBB71_1038
; %bb.1022:
	s_cmp_gt_i32 s0, 28
	s_cbranch_scc0 .LBB71_1039
; %bb.1023:
	;; [unrolled: 3-line block ×4, first 2 shown]
	s_cmp_eq_u32 s0, 46
	s_mov_b32 s13, 0
	s_cbranch_scc0 .LBB71_1056
; %bb.1026:
	global_load_b32 v1, v[14:15], off
	s_mov_b32 s1, 0
	s_mov_b32 s9, -1
	s_wait_loadcnt 0x0
	v_lshlrev_b32_e32 v1, 16, v1
	s_delay_alu instid0(VALU_DEP_1)
	v_cvt_i32_f32_e32 v1, v1
	s_branch .LBB71_1058
.LBB71_1027:
	s_mov_b32 s9, 0
	s_mov_b32 s1, s10
                                        ; implicit-def: $vgpr1
	s_cbranch_execnz .LBB71_1118
.LBB71_1028:
	s_and_not1_b32 vcc_lo, exec_lo, s9
	s_cbranch_vccnz .LBB71_1163
.LBB71_1029:
	s_clause 0x1
	s_load_b32 s16, s[2:3], 0x158
	s_load_b64 s[8:9], s[2:3], 0x160
	s_get_pc_i64 s[14:15]
	s_add_nc_u64 s[14:15], s[14:15], .str.5@rel64+4
	s_wait_loadcnt 0x0
	s_wait_kmcnt 0x0
	s_delay_alu instid0(VALU_DEP_1) | instskip(SKIP_4) | instid1(SALU_CYCLE_1)
	v_cmp_gt_i32_e32 vcc_lo, s16, v1
	v_cmp_le_i32_e64 s0, s8, v1
	s_or_b32 s0, vcc_lo, s0
	s_cmp_eq_u64 s[14:15], 0
	s_cselect_b32 s9, -1, 0
	s_or_b32 s0, s9, s0
	s_delay_alu instid0(SALU_CYCLE_1) | instskip(NEXT) | instid1(SALU_CYCLE_1)
	s_and_saveexec_b32 s9, s0
	s_xor_b32 s0, exec_lo, s9
	s_cbranch_execnz .LBB71_1413
.LBB71_1030:
	s_or_saveexec_b32 s9, s0
	s_mov_b32 s13, 0
	s_mov_b32 s15, 0
                                        ; implicit-def: $vgpr14_vgpr15
                                        ; implicit-def: $sgpr0
	s_xor_b32 exec_lo, exec_lo, s9
	s_cbranch_execz .LBB71_1852
; %bb.1031:
	v_mov_b32_e32 v13, 0
	s_and_b32 s17, 0xffff, s12
	s_delay_alu instid0(SALU_CYCLE_1) | instskip(NEXT) | instid1(VALU_DEP_1)
	s_cmp_lt_i32 s17, 11
	v_add_nc_u64_e32 v[12:13], s[6:7], v[12:13]
	s_cbranch_scc1 .LBB71_1040
; %bb.1032:
	s_cmp_gt_i32 s17, 25
	s_cbranch_scc0 .LBB71_1052
; %bb.1033:
	s_cmp_gt_i32 s17, 28
	s_cbranch_scc0 .LBB71_1054
	;; [unrolled: 3-line block ×4, first 2 shown]
; %bb.1036:
	s_cmp_eq_u32 s17, 46
	s_mov_b32 s12, 0
	s_cbranch_scc0 .LBB71_1167
; %bb.1037:
	global_load_b32 v1, v[12:13], off
	s_mov_b32 s0, 0
	s_mov_b32 s14, -1
	s_wait_loadcnt 0x0
	v_lshlrev_b32_e32 v1, 16, v1
	s_delay_alu instid0(VALU_DEP_1)
	v_cvt_i32_f32_e32 v1, v1
	s_branch .LBB71_1169
.LBB71_1038:
	s_mov_b32 s9, 0
	s_mov_b32 s1, 0
                                        ; implicit-def: $vgpr1
	s_cbranch_execnz .LBB71_1085
	s_branch .LBB71_1114
.LBB71_1039:
	s_mov_b32 s9, 0
	s_mov_b32 s1, 0
                                        ; implicit-def: $vgpr1
	s_cbranch_execz .LBB71_1084
	s_branch .LBB71_1069
.LBB71_1040:
	s_mov_b32 s14, 0
	s_mov_b32 s12, s1
                                        ; implicit-def: $vgpr1
	s_cbranch_execnz .LBB71_1232
.LBB71_1041:
	s_and_not1_b32 vcc_lo, exec_lo, s14
	s_cbranch_vccnz .LBB71_1280
.LBB71_1042:
	s_wait_loadcnt 0x0
	s_delay_alu instid0(VALU_DEP_1) | instskip(SKIP_4) | instid1(SALU_CYCLE_1)
	v_cmp_gt_i32_e32 vcc_lo, s16, v1
	v_cmp_le_i32_e64 s0, s8, v1
	s_or_b32 s0, vcc_lo, s0
	s_wait_xcnt 0x0
	s_and_saveexec_b32 s13, s0
	s_xor_b32 s0, exec_lo, s13
	s_cbranch_execnz .LBB71_1900
.LBB71_1043:
	s_or_saveexec_b32 s13, s0
	s_mov_b32 s14, 0
	s_mov_b32 s15, 0
                                        ; implicit-def: $vgpr14_vgpr15
                                        ; implicit-def: $sgpr0
	s_xor_b32 exec_lo, exec_lo, s13
	s_cbranch_execz .LBB71_1850
; %bb.1044:
	v_mov_b32_e32 v11, 0
	s_cmp_lt_i32 s17, 11
	s_delay_alu instid0(VALU_DEP_1)
	v_add_nc_u64_e32 v[10:11], s[6:7], v[10:11]
	s_cbranch_scc1 .LBB71_1055
; %bb.1045:
	s_cmp_gt_i32 s17, 25
	s_cbranch_scc0 .LBB71_1063
; %bb.1046:
	s_cmp_gt_i32 s17, 28
	s_cbranch_scc0 .LBB71_1166
	;; [unrolled: 3-line block ×4, first 2 shown]
; %bb.1049:
	s_cmp_eq_u32 s17, 46
	s_cbranch_scc0 .LBB71_1283
; %bb.1050:
	global_load_b32 v1, v[10:11], off
	s_mov_b32 s0, 0
	s_mov_b32 s18, -1
	s_wait_loadcnt 0x0
	v_lshlrev_b32_e32 v1, 16, v1
	s_delay_alu instid0(VALU_DEP_1)
	v_cvt_i32_f32_e32 v1, v1
	s_branch .LBB71_1285
.LBB71_1051:
	s_mov_b32 s9, 0
	s_mov_b32 s1, 0
                                        ; implicit-def: $vgpr1
	s_cbranch_execnz .LBB71_1065
	s_branch .LBB71_1068
.LBB71_1052:
	s_mov_b32 s12, -1
	s_mov_b32 s14, 0
	s_mov_b32 s0, 0
                                        ; implicit-def: $vgpr1
	s_branch .LBB71_1197
.LBB71_1053:
	s_mov_b32 s13, -1
	s_mov_b32 s9, 0
	s_mov_b32 s1, 0
	s_branch .LBB71_1057
.LBB71_1054:
	s_mov_b32 s12, -1
	s_mov_b32 s14, 0
	s_mov_b32 s0, 0
                                        ; implicit-def: $vgpr1
	s_branch .LBB71_1180
.LBB71_1055:
	s_mov_b32 s0, -1
	s_mov_b32 s18, 0
	s_mov_b32 s14, s12
                                        ; implicit-def: $vgpr1
	s_branch .LBB71_1347
.LBB71_1056:
	s_mov_b32 s1, -1
	s_mov_b32 s9, 0
.LBB71_1057:
                                        ; implicit-def: $vgpr1
.LBB71_1058:
	s_and_b32 vcc_lo, exec_lo, s13
	s_cbranch_vccz .LBB71_1061
; %bb.1059:
	s_cmp_eq_u32 s0, 44
	s_cbranch_scc0 .LBB71_1064
; %bb.1060:
	global_load_u8 v1, v[14:15], off
	s_mov_b32 s1, 0
	s_mov_b32 s9, -1
	s_wait_loadcnt 0x0
	v_lshlrev_b32_e32 v3, 23, v1
	v_cmp_ne_u32_e32 vcc_lo, 0, v1
	s_delay_alu instid0(VALU_DEP_2) | instskip(NEXT) | instid1(VALU_DEP_1)
	v_cvt_i32_f32_e32 v3, v3
	v_cndmask_b32_e32 v1, 0, v3, vcc_lo
.LBB71_1061:
	s_branch .LBB71_1068
.LBB71_1062:
	s_mov_b32 s12, -1
	s_mov_b32 s14, 0
	s_mov_b32 s0, 0
                                        ; implicit-def: $vgpr1
	s_branch .LBB71_1175
.LBB71_1063:
	s_mov_b32 s14, -1
	s_mov_b32 s18, 0
	s_mov_b32 s0, 0
                                        ; implicit-def: $vgpr1
	s_branch .LBB71_1312
.LBB71_1064:
	s_mov_b32 s1, -1
                                        ; implicit-def: $vgpr1
	s_branch .LBB71_1068
.LBB71_1065:
	s_cmp_eq_u32 s0, 29
	s_cbranch_scc0 .LBB71_1067
; %bb.1066:
	global_load_b32 v1, v[14:15], off
	s_mov_b32 s1, 0
	s_mov_b32 s9, -1
	s_branch .LBB71_1068
.LBB71_1067:
	s_mov_b32 s1, -1
                                        ; implicit-def: $vgpr1
.LBB71_1068:
	s_branch .LBB71_1084
.LBB71_1069:
	s_cmp_lt_i32 s0, 27
	s_cbranch_scc1 .LBB71_1072
; %bb.1070:
	s_cmp_gt_i32 s0, 27
	s_cbranch_scc0 .LBB71_1073
; %bb.1071:
	s_wait_loadcnt 0x0
	global_load_b32 v1, v[14:15], off
	s_mov_b32 s9, 0
	s_branch .LBB71_1074
.LBB71_1072:
	s_mov_b32 s9, -1
                                        ; implicit-def: $vgpr1
	s_branch .LBB71_1077
.LBB71_1073:
	s_mov_b32 s9, -1
                                        ; implicit-def: $vgpr1
.LBB71_1074:
	s_delay_alu instid0(SALU_CYCLE_1)
	s_and_not1_b32 vcc_lo, exec_lo, s9
	s_cbranch_vccnz .LBB71_1076
; %bb.1075:
	s_wait_loadcnt 0x0
	global_load_u16 v1, v[14:15], off
.LBB71_1076:
	s_mov_b32 s9, 0
.LBB71_1077:
	s_delay_alu instid0(SALU_CYCLE_1)
	s_and_not1_b32 vcc_lo, exec_lo, s9
	s_cbranch_vccnz .LBB71_1083
; %bb.1078:
	global_load_u8 v3, v[14:15], off
	s_mov_b32 s13, 0
	s_mov_b32 s9, exec_lo
	s_wait_loadcnt 0x0
	v_cmpx_lt_i16_e32 0x7f, v3
	s_xor_b32 s9, exec_lo, s9
	s_cbranch_execz .LBB71_1094
; %bb.1079:
	v_cmp_ne_u16_e32 vcc_lo, 0x80, v3
	s_and_b32 s13, vcc_lo, exec_lo
	s_and_not1_saveexec_b32 s9, s9
	s_cbranch_execnz .LBB71_1095
.LBB71_1080:
	s_or_b32 exec_lo, exec_lo, s9
	v_mov_b32_e32 v1, 0
	s_and_saveexec_b32 s9, s13
	s_cbranch_execz .LBB71_1082
.LBB71_1081:
	v_and_b32_e32 v1, 0xffff, v3
	s_delay_alu instid0(VALU_DEP_1) | instskip(SKIP_1) | instid1(VALU_DEP_2)
	v_and_b32_e32 v5, 7, v1
	v_bfe_u32 v11, v1, 3, 4
	v_clz_i32_u32_e32 v7, v5
	s_delay_alu instid0(VALU_DEP_2) | instskip(NEXT) | instid1(VALU_DEP_2)
	v_cmp_eq_u32_e32 vcc_lo, 0, v11
	v_min_u32_e32 v7, 32, v7
	s_delay_alu instid0(VALU_DEP_1) | instskip(NEXT) | instid1(VALU_DEP_1)
	v_subrev_nc_u32_e32 v9, 28, v7
	v_dual_lshlrev_b32 v1, v9, v1 :: v_dual_sub_nc_u32 v7, 29, v7
	s_delay_alu instid0(VALU_DEP_1) | instskip(NEXT) | instid1(VALU_DEP_1)
	v_dual_lshlrev_b32 v3, 24, v3 :: v_dual_bitop2_b32 v1, 7, v1 bitop3:0x40
	v_dual_cndmask_b32 v1, v5, v1, vcc_lo :: v_dual_cndmask_b32 v7, v11, v7, vcc_lo
	s_delay_alu instid0(VALU_DEP_2) | instskip(NEXT) | instid1(VALU_DEP_2)
	v_and_b32_e32 v3, 0x80000000, v3
	v_lshlrev_b32_e32 v1, 20, v1
	s_delay_alu instid0(VALU_DEP_3) | instskip(NEXT) | instid1(VALU_DEP_1)
	v_lshl_add_u32 v5, v7, 23, 0x3b800000
	v_or3_b32 v1, v3, v5, v1
	s_delay_alu instid0(VALU_DEP_1)
	v_cvt_i32_f32_e32 v1, v1
.LBB71_1082:
	s_or_b32 exec_lo, exec_lo, s9
.LBB71_1083:
	s_mov_b32 s9, -1
.LBB71_1084:
	s_branch .LBB71_1114
.LBB71_1085:
	s_cmp_gt_i32 s0, 22
	s_cbranch_scc0 .LBB71_1093
; %bb.1086:
	s_cmp_lt_i32 s0, 24
	s_cbranch_scc1 .LBB71_1096
; %bb.1087:
	s_cmp_gt_i32 s0, 24
	s_cbranch_scc0 .LBB71_1097
; %bb.1088:
	global_load_u8 v3, v[14:15], off
	s_mov_b32 s9, 0
	s_mov_b32 s8, exec_lo
	s_wait_loadcnt 0x0
	v_cmpx_lt_i16_e32 0x7f, v3
	s_xor_b32 s8, exec_lo, s8
	s_cbranch_execz .LBB71_1108
; %bb.1089:
	v_cmp_ne_u16_e32 vcc_lo, 0x80, v3
	s_and_b32 s9, vcc_lo, exec_lo
	s_and_not1_saveexec_b32 s8, s8
	s_cbranch_execnz .LBB71_1109
.LBB71_1090:
	s_or_b32 exec_lo, exec_lo, s8
	v_mov_b32_e32 v1, 0
	s_and_saveexec_b32 s8, s9
	s_cbranch_execz .LBB71_1092
.LBB71_1091:
	v_and_b32_e32 v1, 0xffff, v3
	s_delay_alu instid0(VALU_DEP_1) | instskip(SKIP_1) | instid1(VALU_DEP_2)
	v_and_b32_e32 v5, 3, v1
	v_bfe_u32 v11, v1, 2, 5
	v_clz_i32_u32_e32 v7, v5
	s_delay_alu instid0(VALU_DEP_2) | instskip(NEXT) | instid1(VALU_DEP_2)
	v_cmp_eq_u32_e32 vcc_lo, 0, v11
	v_min_u32_e32 v7, 32, v7
	s_delay_alu instid0(VALU_DEP_1) | instskip(NEXT) | instid1(VALU_DEP_1)
	v_subrev_nc_u32_e32 v9, 29, v7
	v_dual_lshlrev_b32 v1, v9, v1 :: v_dual_sub_nc_u32 v7, 30, v7
	s_delay_alu instid0(VALU_DEP_1) | instskip(NEXT) | instid1(VALU_DEP_1)
	v_dual_lshlrev_b32 v3, 24, v3 :: v_dual_bitop2_b32 v1, 3, v1 bitop3:0x40
	v_dual_cndmask_b32 v1, v5, v1, vcc_lo :: v_dual_cndmask_b32 v7, v11, v7, vcc_lo
	s_delay_alu instid0(VALU_DEP_2) | instskip(NEXT) | instid1(VALU_DEP_2)
	v_and_b32_e32 v3, 0x80000000, v3
	v_lshlrev_b32_e32 v1, 21, v1
	s_delay_alu instid0(VALU_DEP_3) | instskip(NEXT) | instid1(VALU_DEP_1)
	v_lshl_add_u32 v5, v7, 23, 0x37800000
	v_or3_b32 v1, v3, v5, v1
	s_delay_alu instid0(VALU_DEP_1)
	v_cvt_i32_f32_e32 v1, v1
.LBB71_1092:
	s_or_b32 exec_lo, exec_lo, s8
	s_mov_b32 s8, 0
	s_branch .LBB71_1098
.LBB71_1093:
                                        ; implicit-def: $vgpr1
	s_mov_b32 s8, 0
	s_branch .LBB71_1104
.LBB71_1094:
	s_and_not1_saveexec_b32 s9, s9
	s_cbranch_execz .LBB71_1080
.LBB71_1095:
	v_cmp_ne_u16_e32 vcc_lo, 0, v3
	s_and_not1_b32 s13, s13, exec_lo
	s_and_b32 s14, vcc_lo, exec_lo
	s_delay_alu instid0(SALU_CYCLE_1)
	s_or_b32 s13, s13, s14
	s_or_b32 exec_lo, exec_lo, s9
	v_mov_b32_e32 v1, 0
	s_and_saveexec_b32 s9, s13
	s_cbranch_execnz .LBB71_1081
	s_branch .LBB71_1082
.LBB71_1096:
	s_mov_b32 s8, -1
                                        ; implicit-def: $vgpr1
	s_branch .LBB71_1101
.LBB71_1097:
	s_mov_b32 s8, -1
                                        ; implicit-def: $vgpr1
.LBB71_1098:
	s_delay_alu instid0(SALU_CYCLE_1)
	s_and_b32 vcc_lo, exec_lo, s8
	s_cbranch_vccz .LBB71_1100
; %bb.1099:
	s_wait_loadcnt 0x0
	global_load_u8 v1, v[14:15], off
	s_wait_loadcnt 0x0
	v_lshlrev_b32_e32 v1, 24, v1
	s_delay_alu instid0(VALU_DEP_1) | instskip(NEXT) | instid1(VALU_DEP_1)
	v_and_b32_e32 v3, 0x7f000000, v1
	v_clz_i32_u32_e32 v5, v3
	v_add_nc_u32_e32 v9, 0x1000000, v3
	v_cmp_ne_u32_e32 vcc_lo, 0, v3
	s_delay_alu instid0(VALU_DEP_3) | instskip(NEXT) | instid1(VALU_DEP_1)
	v_min_u32_e32 v5, 32, v5
	v_sub_nc_u32_e64 v5, v5, 4 clamp
	s_delay_alu instid0(VALU_DEP_1) | instskip(NEXT) | instid1(VALU_DEP_1)
	v_dual_lshlrev_b32 v7, v5, v3 :: v_dual_lshlrev_b32 v5, 23, v5
	v_lshrrev_b32_e32 v7, 4, v7
	s_delay_alu instid0(VALU_DEP_1) | instskip(SKIP_1) | instid1(VALU_DEP_2)
	v_sub_nc_u32_e32 v5, v7, v5
	v_ashrrev_i32_e32 v7, 8, v9
	v_add_nc_u32_e32 v5, 0x3c000000, v5
	s_delay_alu instid0(VALU_DEP_1) | instskip(NEXT) | instid1(VALU_DEP_1)
	v_and_or_b32 v5, 0x7f800000, v7, v5
	v_cndmask_b32_e32 v3, 0, v5, vcc_lo
	s_delay_alu instid0(VALU_DEP_1) | instskip(NEXT) | instid1(VALU_DEP_1)
	v_and_or_b32 v1, 0x80000000, v1, v3
	v_cvt_i32_f32_e32 v1, v1
.LBB71_1100:
	s_mov_b32 s8, 0
.LBB71_1101:
	s_delay_alu instid0(SALU_CYCLE_1)
	s_and_not1_b32 vcc_lo, exec_lo, s8
	s_cbranch_vccnz .LBB71_1103
; %bb.1102:
	s_wait_loadcnt 0x0
	global_load_u8 v1, v[14:15], off
	s_wait_loadcnt 0x0
	v_lshlrev_b32_e32 v3, 25, v1
	v_lshlrev_b16 v1, 8, v1
	s_delay_alu instid0(VALU_DEP_1) | instskip(SKIP_1) | instid1(VALU_DEP_2)
	v_and_or_b32 v7, 0x7f00, v1, 0.5
	v_bfe_i32 v1, v1, 0, 16
	v_add_f32_e32 v7, -0.5, v7
	v_lshrrev_b32_e32 v5, 4, v3
	v_cmp_gt_u32_e32 vcc_lo, 0x8000000, v3
	s_delay_alu instid0(VALU_DEP_2) | instskip(NEXT) | instid1(VALU_DEP_1)
	v_or_b32_e32 v5, 0x70000000, v5
	v_mul_f32_e32 v5, 0x7800000, v5
	s_delay_alu instid0(VALU_DEP_1) | instskip(NEXT) | instid1(VALU_DEP_1)
	v_cndmask_b32_e32 v3, v5, v7, vcc_lo
	v_and_or_b32 v1, 0x80000000, v1, v3
	s_delay_alu instid0(VALU_DEP_1)
	v_cvt_i32_f32_e32 v1, v1
.LBB71_1103:
	s_mov_b32 s9, -1
	s_mov_b32 s8, 0
	s_cbranch_execnz .LBB71_1114
.LBB71_1104:
	s_cmp_gt_i32 s0, 14
	s_cbranch_scc0 .LBB71_1107
; %bb.1105:
	s_cmp_eq_u32 s0, 15
	s_cbranch_scc0 .LBB71_1110
; %bb.1106:
	s_wait_loadcnt 0x0
	global_load_u16 v1, v[14:15], off
	s_mov_b32 s1, 0
	s_mov_b32 s9, -1
	s_wait_loadcnt 0x0
	v_lshlrev_b32_e32 v1, 16, v1
	s_delay_alu instid0(VALU_DEP_1)
	v_cvt_i32_f32_e32 v1, v1
	s_branch .LBB71_1112
.LBB71_1107:
	s_mov_b32 s8, -1
	s_branch .LBB71_1111
.LBB71_1108:
	s_and_not1_saveexec_b32 s8, s8
	s_cbranch_execz .LBB71_1090
.LBB71_1109:
	v_cmp_ne_u16_e32 vcc_lo, 0, v3
	s_and_not1_b32 s9, s9, exec_lo
	s_and_b32 s13, vcc_lo, exec_lo
	s_delay_alu instid0(SALU_CYCLE_1)
	s_or_b32 s9, s9, s13
	s_or_b32 exec_lo, exec_lo, s8
	v_mov_b32_e32 v1, 0
	s_and_saveexec_b32 s8, s9
	s_cbranch_execnz .LBB71_1091
	s_branch .LBB71_1092
.LBB71_1110:
	s_mov_b32 s1, -1
.LBB71_1111:
                                        ; implicit-def: $vgpr1
.LBB71_1112:
	s_and_b32 vcc_lo, exec_lo, s8
	s_mov_b32 s8, 0
	s_cbranch_vccz .LBB71_1114
; %bb.1113:
	s_cmp_lg_u32 s0, 11
	s_mov_b32 s8, -1
	s_cselect_b32 s1, -1, 0
.LBB71_1114:
	s_delay_alu instid0(SALU_CYCLE_1)
	s_and_b32 vcc_lo, exec_lo, s1
	s_mov_b32 s1, s10
	s_cbranch_vccnz .LBB71_1164
; %bb.1115:
	s_and_not1_b32 vcc_lo, exec_lo, s8
	s_cbranch_vccnz .LBB71_1117
.LBB71_1116:
	s_wait_loadcnt 0x0
	global_load_u8 v1, v[14:15], off
	s_mov_b32 s9, -1
	s_wait_loadcnt 0x0
	v_cmp_ne_u16_e32 vcc_lo, 0, v1
	v_cndmask_b32_e64 v1, 0, 1, vcc_lo
.LBB71_1117:
	s_branch .LBB71_1028
.LBB71_1118:
	s_and_b32 s0, 0xffff, s12
	s_delay_alu instid0(SALU_CYCLE_1)
	s_cmp_lt_i32 s0, 5
	s_cbranch_scc1 .LBB71_1123
; %bb.1119:
	s_cmp_lt_i32 s0, 8
	s_cbranch_scc1 .LBB71_1124
; %bb.1120:
	;; [unrolled: 3-line block ×3, first 2 shown]
	s_cmp_gt_i32 s0, 9
	s_cbranch_scc0 .LBB71_1126
; %bb.1122:
	global_load_b64 v[16:17], v[14:15], off
	s_mov_b32 s8, 0
	s_wait_loadcnt 0x0
	v_cvt_i32_f64_e32 v1, v[16:17]
	s_branch .LBB71_1127
.LBB71_1123:
                                        ; implicit-def: $vgpr1
	s_branch .LBB71_1144
.LBB71_1124:
                                        ; implicit-def: $vgpr1
	s_branch .LBB71_1133
.LBB71_1125:
	s_mov_b32 s8, -1
                                        ; implicit-def: $vgpr1
	s_branch .LBB71_1130
.LBB71_1126:
	s_mov_b32 s8, -1
                                        ; implicit-def: $vgpr1
.LBB71_1127:
	s_delay_alu instid0(SALU_CYCLE_1)
	s_and_not1_b32 vcc_lo, exec_lo, s8
	s_cbranch_vccnz .LBB71_1129
; %bb.1128:
	s_wait_loadcnt 0x0
	global_load_b32 v1, v[14:15], off
	s_wait_loadcnt 0x0
	v_cvt_i32_f32_e32 v1, v1
.LBB71_1129:
	s_mov_b32 s8, 0
.LBB71_1130:
	s_delay_alu instid0(SALU_CYCLE_1)
	s_and_not1_b32 vcc_lo, exec_lo, s8
	s_cbranch_vccnz .LBB71_1132
; %bb.1131:
	s_wait_loadcnt 0x0
	global_load_b32 v1, v[14:15], off
	s_wait_loadcnt 0x0
	v_cvt_f32_f16_e32 v1, v1
	s_delay_alu instid0(VALU_DEP_1)
	v_cvt_i32_f32_e32 v1, v1
.LBB71_1132:
	s_cbranch_execnz .LBB71_1143
.LBB71_1133:
	s_cmp_lt_i32 s0, 6
	s_cbranch_scc1 .LBB71_1136
; %bb.1134:
	s_cmp_gt_i32 s0, 6
	s_cbranch_scc0 .LBB71_1137
; %bb.1135:
	global_load_b64 v[16:17], v[14:15], off
	s_mov_b32 s8, 0
	s_wait_loadcnt 0x0
	v_cvt_i32_f64_e32 v1, v[16:17]
	s_branch .LBB71_1138
.LBB71_1136:
	s_mov_b32 s8, -1
                                        ; implicit-def: $vgpr1
	s_branch .LBB71_1141
.LBB71_1137:
	s_mov_b32 s8, -1
                                        ; implicit-def: $vgpr1
.LBB71_1138:
	s_delay_alu instid0(SALU_CYCLE_1)
	s_and_not1_b32 vcc_lo, exec_lo, s8
	s_cbranch_vccnz .LBB71_1140
; %bb.1139:
	s_wait_loadcnt 0x0
	global_load_b32 v1, v[14:15], off
	s_wait_loadcnt 0x0
	v_cvt_i32_f32_e32 v1, v1
.LBB71_1140:
	s_mov_b32 s8, 0
.LBB71_1141:
	s_delay_alu instid0(SALU_CYCLE_1)
	s_and_not1_b32 vcc_lo, exec_lo, s8
	s_cbranch_vccnz .LBB71_1143
; %bb.1142:
	s_wait_loadcnt 0x0
	global_load_u16 v1, v[14:15], off
	s_wait_loadcnt 0x0
	v_cvt_f32_f16_e32 v1, v1
	s_delay_alu instid0(VALU_DEP_1)
	v_cvt_i32_f32_e32 v1, v1
.LBB71_1143:
	s_cbranch_execnz .LBB71_1162
.LBB71_1144:
	s_cmp_lt_i32 s0, 2
	s_cbranch_scc1 .LBB71_1148
; %bb.1145:
	s_cmp_lt_i32 s0, 3
	s_cbranch_scc1 .LBB71_1149
; %bb.1146:
	s_cmp_gt_i32 s0, 3
	s_cbranch_scc0 .LBB71_1150
; %bb.1147:
	s_wait_loadcnt 0x0
	global_load_b32 v1, v[14:15], off
	s_mov_b32 s8, 0
	s_branch .LBB71_1151
.LBB71_1148:
                                        ; implicit-def: $vgpr1
	s_branch .LBB71_1157
.LBB71_1149:
	s_mov_b32 s8, -1
                                        ; implicit-def: $vgpr1
	s_branch .LBB71_1154
.LBB71_1150:
	s_mov_b32 s8, -1
                                        ; implicit-def: $vgpr1
.LBB71_1151:
	s_delay_alu instid0(SALU_CYCLE_1)
	s_and_not1_b32 vcc_lo, exec_lo, s8
	s_cbranch_vccnz .LBB71_1153
; %bb.1152:
	s_wait_loadcnt 0x0
	global_load_b32 v1, v[14:15], off
.LBB71_1153:
	s_mov_b32 s8, 0
.LBB71_1154:
	s_delay_alu instid0(SALU_CYCLE_1)
	s_and_not1_b32 vcc_lo, exec_lo, s8
	s_cbranch_vccnz .LBB71_1156
; %bb.1155:
	s_wait_loadcnt 0x0
	global_load_i16 v1, v[14:15], off
.LBB71_1156:
	s_cbranch_execnz .LBB71_1162
.LBB71_1157:
	s_cmp_gt_i32 s0, 0
	s_mov_b32 s0, 0
	s_cbranch_scc0 .LBB71_1159
; %bb.1158:
	s_wait_loadcnt 0x0
	global_load_i8 v1, v[14:15], off
	s_branch .LBB71_1160
.LBB71_1159:
	s_mov_b32 s0, -1
                                        ; implicit-def: $vgpr1
.LBB71_1160:
	s_delay_alu instid0(SALU_CYCLE_1)
	s_and_not1_b32 vcc_lo, exec_lo, s0
	s_cbranch_vccnz .LBB71_1162
; %bb.1161:
	s_wait_loadcnt 0x0
	global_load_u8 v1, v[14:15], off
.LBB71_1162:
	s_branch .LBB71_1029
.LBB71_1163:
	s_mov_b32 s13, 0
	s_mov_b32 s15, 0
                                        ; implicit-def: $vgpr14_vgpr15
                                        ; implicit-def: $sgpr0
	s_branch .LBB71_1853
.LBB71_1164:
	s_or_b32 s1, s10, exec_lo
	s_trap 2
	s_cbranch_execz .LBB71_1116
	s_branch .LBB71_1117
.LBB71_1165:
	s_mov_b32 s12, -1
	s_mov_b32 s14, 0
	s_mov_b32 s0, 0
	s_branch .LBB71_1168
.LBB71_1166:
	s_mov_b32 s14, -1
	s_mov_b32 s18, 0
	s_mov_b32 s0, 0
                                        ; implicit-def: $vgpr1
	s_branch .LBB71_1295
.LBB71_1167:
	s_mov_b32 s0, -1
	s_mov_b32 s14, 0
.LBB71_1168:
                                        ; implicit-def: $vgpr1
.LBB71_1169:
	s_and_b32 vcc_lo, exec_lo, s12
	s_cbranch_vccz .LBB71_1174
; %bb.1170:
	s_cmp_eq_u32 s17, 44
	s_cbranch_scc0 .LBB71_1173
; %bb.1171:
	global_load_u8 v1, v[12:13], off
	s_mov_b32 s0, 0
	s_mov_b32 s14, -1
	s_wait_loadcnt 0x0
	v_lshlrev_b32_e32 v3, 23, v1
	v_cmp_ne_u32_e32 vcc_lo, 0, v1
	s_delay_alu instid0(VALU_DEP_2) | instskip(NEXT) | instid1(VALU_DEP_1)
	v_cvt_i32_f32_e32 v3, v3
	v_cndmask_b32_e32 v1, 0, v3, vcc_lo
	s_branch .LBB71_1174
.LBB71_1172:
	s_mov_b32 s14, -1
	s_mov_b32 s18, 0
	s_mov_b32 s0, 0
                                        ; implicit-def: $vgpr1
	s_branch .LBB71_1290
.LBB71_1173:
	s_mov_b32 s0, -1
                                        ; implicit-def: $vgpr1
.LBB71_1174:
	s_mov_b32 s12, 0
.LBB71_1175:
	s_delay_alu instid0(SALU_CYCLE_1)
	s_and_b32 vcc_lo, exec_lo, s12
	s_cbranch_vccz .LBB71_1179
; %bb.1176:
	s_cmp_eq_u32 s17, 29
	s_cbranch_scc0 .LBB71_1178
; %bb.1177:
	global_load_b32 v1, v[12:13], off
	s_mov_b32 s0, 0
	s_mov_b32 s14, -1
	s_branch .LBB71_1179
.LBB71_1178:
	s_mov_b32 s0, -1
                                        ; implicit-def: $vgpr1
.LBB71_1179:
	s_mov_b32 s12, 0
.LBB71_1180:
	s_delay_alu instid0(SALU_CYCLE_1)
	s_and_b32 vcc_lo, exec_lo, s12
	s_cbranch_vccz .LBB71_1196
; %bb.1181:
	s_cmp_lt_i32 s17, 27
	s_cbranch_scc1 .LBB71_1184
; %bb.1182:
	s_cmp_gt_i32 s17, 27
	s_cbranch_scc0 .LBB71_1185
; %bb.1183:
	s_wait_loadcnt 0x0
	global_load_b32 v1, v[12:13], off
	s_mov_b32 s12, 0
	s_branch .LBB71_1186
.LBB71_1184:
	s_mov_b32 s12, -1
                                        ; implicit-def: $vgpr1
	s_branch .LBB71_1189
.LBB71_1185:
	s_mov_b32 s12, -1
                                        ; implicit-def: $vgpr1
.LBB71_1186:
	s_delay_alu instid0(SALU_CYCLE_1)
	s_and_not1_b32 vcc_lo, exec_lo, s12
	s_cbranch_vccnz .LBB71_1188
; %bb.1187:
	s_wait_loadcnt 0x0
	global_load_u16 v1, v[12:13], off
.LBB71_1188:
	s_mov_b32 s12, 0
.LBB71_1189:
	s_delay_alu instid0(SALU_CYCLE_1)
	s_and_not1_b32 vcc_lo, exec_lo, s12
	s_cbranch_vccnz .LBB71_1195
; %bb.1190:
	global_load_u8 v3, v[12:13], off
	s_mov_b32 s14, 0
	s_mov_b32 s12, exec_lo
	s_wait_loadcnt 0x0
	v_cmpx_lt_i16_e32 0x7f, v3
	s_xor_b32 s12, exec_lo, s12
	s_cbranch_execz .LBB71_1207
; %bb.1191:
	v_cmp_ne_u16_e32 vcc_lo, 0x80, v3
	s_and_b32 s14, vcc_lo, exec_lo
	s_and_not1_saveexec_b32 s12, s12
	s_cbranch_execnz .LBB71_1208
.LBB71_1192:
	s_or_b32 exec_lo, exec_lo, s12
	v_mov_b32_e32 v1, 0
	s_and_saveexec_b32 s12, s14
	s_cbranch_execz .LBB71_1194
.LBB71_1193:
	v_and_b32_e32 v1, 0xffff, v3
	s_delay_alu instid0(VALU_DEP_1) | instskip(SKIP_1) | instid1(VALU_DEP_2)
	v_and_b32_e32 v5, 7, v1
	v_bfe_u32 v11, v1, 3, 4
	v_clz_i32_u32_e32 v7, v5
	s_delay_alu instid0(VALU_DEP_2) | instskip(NEXT) | instid1(VALU_DEP_2)
	v_cmp_eq_u32_e32 vcc_lo, 0, v11
	v_min_u32_e32 v7, 32, v7
	s_delay_alu instid0(VALU_DEP_1) | instskip(NEXT) | instid1(VALU_DEP_1)
	v_subrev_nc_u32_e32 v9, 28, v7
	v_dual_lshlrev_b32 v1, v9, v1 :: v_dual_sub_nc_u32 v7, 29, v7
	s_delay_alu instid0(VALU_DEP_1) | instskip(NEXT) | instid1(VALU_DEP_1)
	v_dual_lshlrev_b32 v3, 24, v3 :: v_dual_bitop2_b32 v1, 7, v1 bitop3:0x40
	v_dual_cndmask_b32 v1, v5, v1, vcc_lo :: v_dual_cndmask_b32 v7, v11, v7, vcc_lo
	s_delay_alu instid0(VALU_DEP_2) | instskip(NEXT) | instid1(VALU_DEP_2)
	v_and_b32_e32 v3, 0x80000000, v3
	v_lshlrev_b32_e32 v1, 20, v1
	s_delay_alu instid0(VALU_DEP_3) | instskip(NEXT) | instid1(VALU_DEP_1)
	v_lshl_add_u32 v5, v7, 23, 0x3b800000
	v_or3_b32 v1, v3, v5, v1
	s_delay_alu instid0(VALU_DEP_1)
	v_cvt_i32_f32_e32 v1, v1
.LBB71_1194:
	s_or_b32 exec_lo, exec_lo, s12
.LBB71_1195:
	s_mov_b32 s14, -1
.LBB71_1196:
	s_mov_b32 s12, 0
.LBB71_1197:
	s_delay_alu instid0(SALU_CYCLE_1)
	s_and_b32 vcc_lo, exec_lo, s12
	s_cbranch_vccz .LBB71_1228
; %bb.1198:
	s_cmp_gt_i32 s17, 22
	s_cbranch_scc0 .LBB71_1206
; %bb.1199:
	s_cmp_lt_i32 s17, 24
	s_cbranch_scc1 .LBB71_1209
; %bb.1200:
	s_cmp_gt_i32 s17, 24
	s_cbranch_scc0 .LBB71_1210
; %bb.1201:
	global_load_u8 v3, v[12:13], off
	s_mov_b32 s12, exec_lo
	s_wait_loadcnt 0x0
	v_cmpx_lt_i16_e32 0x7f, v3
	s_xor_b32 s12, exec_lo, s12
	s_cbranch_execz .LBB71_1222
; %bb.1202:
	v_cmp_ne_u16_e32 vcc_lo, 0x80, v3
	s_and_b32 s13, vcc_lo, exec_lo
	s_and_not1_saveexec_b32 s12, s12
	s_cbranch_execnz .LBB71_1223
.LBB71_1203:
	s_or_b32 exec_lo, exec_lo, s12
	v_mov_b32_e32 v1, 0
	s_and_saveexec_b32 s12, s13
	s_cbranch_execz .LBB71_1205
.LBB71_1204:
	v_and_b32_e32 v1, 0xffff, v3
	s_delay_alu instid0(VALU_DEP_1) | instskip(SKIP_1) | instid1(VALU_DEP_2)
	v_and_b32_e32 v5, 3, v1
	v_bfe_u32 v11, v1, 2, 5
	v_clz_i32_u32_e32 v7, v5
	s_delay_alu instid0(VALU_DEP_2) | instskip(NEXT) | instid1(VALU_DEP_2)
	v_cmp_eq_u32_e32 vcc_lo, 0, v11
	v_min_u32_e32 v7, 32, v7
	s_delay_alu instid0(VALU_DEP_1) | instskip(NEXT) | instid1(VALU_DEP_1)
	v_subrev_nc_u32_e32 v9, 29, v7
	v_dual_lshlrev_b32 v1, v9, v1 :: v_dual_sub_nc_u32 v7, 30, v7
	s_delay_alu instid0(VALU_DEP_1) | instskip(NEXT) | instid1(VALU_DEP_1)
	v_dual_lshlrev_b32 v3, 24, v3 :: v_dual_bitop2_b32 v1, 3, v1 bitop3:0x40
	v_dual_cndmask_b32 v1, v5, v1, vcc_lo :: v_dual_cndmask_b32 v7, v11, v7, vcc_lo
	s_delay_alu instid0(VALU_DEP_2) | instskip(NEXT) | instid1(VALU_DEP_2)
	v_and_b32_e32 v3, 0x80000000, v3
	v_lshlrev_b32_e32 v1, 21, v1
	s_delay_alu instid0(VALU_DEP_3) | instskip(NEXT) | instid1(VALU_DEP_1)
	v_lshl_add_u32 v5, v7, 23, 0x37800000
	v_or3_b32 v1, v3, v5, v1
	s_delay_alu instid0(VALU_DEP_1)
	v_cvt_i32_f32_e32 v1, v1
.LBB71_1205:
	s_or_b32 exec_lo, exec_lo, s12
	s_mov_b32 s12, 0
	s_branch .LBB71_1211
.LBB71_1206:
	s_mov_b32 s12, -1
                                        ; implicit-def: $vgpr1
	s_branch .LBB71_1217
.LBB71_1207:
	s_and_not1_saveexec_b32 s12, s12
	s_cbranch_execz .LBB71_1192
.LBB71_1208:
	v_cmp_ne_u16_e32 vcc_lo, 0, v3
	s_and_not1_b32 s14, s14, exec_lo
	s_and_b32 s15, vcc_lo, exec_lo
	s_delay_alu instid0(SALU_CYCLE_1)
	s_or_b32 s14, s14, s15
	s_or_b32 exec_lo, exec_lo, s12
	v_mov_b32_e32 v1, 0
	s_and_saveexec_b32 s12, s14
	s_cbranch_execnz .LBB71_1193
	s_branch .LBB71_1194
.LBB71_1209:
	s_mov_b32 s12, -1
                                        ; implicit-def: $vgpr1
	s_branch .LBB71_1214
.LBB71_1210:
	s_mov_b32 s12, -1
                                        ; implicit-def: $vgpr1
.LBB71_1211:
	s_delay_alu instid0(SALU_CYCLE_1)
	s_and_b32 vcc_lo, exec_lo, s12
	s_cbranch_vccz .LBB71_1213
; %bb.1212:
	s_wait_loadcnt 0x0
	global_load_u8 v1, v[12:13], off
	s_wait_loadcnt 0x0
	v_lshlrev_b32_e32 v1, 24, v1
	s_delay_alu instid0(VALU_DEP_1) | instskip(NEXT) | instid1(VALU_DEP_1)
	v_and_b32_e32 v3, 0x7f000000, v1
	v_clz_i32_u32_e32 v5, v3
	v_add_nc_u32_e32 v9, 0x1000000, v3
	v_cmp_ne_u32_e32 vcc_lo, 0, v3
	s_delay_alu instid0(VALU_DEP_3) | instskip(NEXT) | instid1(VALU_DEP_1)
	v_min_u32_e32 v5, 32, v5
	v_sub_nc_u32_e64 v5, v5, 4 clamp
	s_delay_alu instid0(VALU_DEP_1) | instskip(NEXT) | instid1(VALU_DEP_1)
	v_dual_lshlrev_b32 v7, v5, v3 :: v_dual_lshlrev_b32 v5, 23, v5
	v_lshrrev_b32_e32 v7, 4, v7
	s_delay_alu instid0(VALU_DEP_1) | instskip(SKIP_1) | instid1(VALU_DEP_2)
	v_sub_nc_u32_e32 v5, v7, v5
	v_ashrrev_i32_e32 v7, 8, v9
	v_add_nc_u32_e32 v5, 0x3c000000, v5
	s_delay_alu instid0(VALU_DEP_1) | instskip(NEXT) | instid1(VALU_DEP_1)
	v_and_or_b32 v5, 0x7f800000, v7, v5
	v_cndmask_b32_e32 v3, 0, v5, vcc_lo
	s_delay_alu instid0(VALU_DEP_1) | instskip(NEXT) | instid1(VALU_DEP_1)
	v_and_or_b32 v1, 0x80000000, v1, v3
	v_cvt_i32_f32_e32 v1, v1
.LBB71_1213:
	s_mov_b32 s12, 0
.LBB71_1214:
	s_delay_alu instid0(SALU_CYCLE_1)
	s_and_not1_b32 vcc_lo, exec_lo, s12
	s_cbranch_vccnz .LBB71_1216
; %bb.1215:
	s_wait_loadcnt 0x0
	global_load_u8 v1, v[12:13], off
	s_wait_loadcnt 0x0
	v_lshlrev_b32_e32 v3, 25, v1
	v_lshlrev_b16 v1, 8, v1
	s_delay_alu instid0(VALU_DEP_1) | instskip(SKIP_1) | instid1(VALU_DEP_2)
	v_and_or_b32 v7, 0x7f00, v1, 0.5
	v_bfe_i32 v1, v1, 0, 16
	v_add_f32_e32 v7, -0.5, v7
	v_lshrrev_b32_e32 v5, 4, v3
	v_cmp_gt_u32_e32 vcc_lo, 0x8000000, v3
	s_delay_alu instid0(VALU_DEP_2) | instskip(NEXT) | instid1(VALU_DEP_1)
	v_or_b32_e32 v5, 0x70000000, v5
	v_mul_f32_e32 v5, 0x7800000, v5
	s_delay_alu instid0(VALU_DEP_1) | instskip(NEXT) | instid1(VALU_DEP_1)
	v_cndmask_b32_e32 v3, v5, v7, vcc_lo
	v_and_or_b32 v1, 0x80000000, v1, v3
	s_delay_alu instid0(VALU_DEP_1)
	v_cvt_i32_f32_e32 v1, v1
.LBB71_1216:
	s_mov_b32 s12, 0
	s_mov_b32 s14, -1
.LBB71_1217:
	s_and_not1_b32 vcc_lo, exec_lo, s12
	s_mov_b32 s13, 0
	s_cbranch_vccnz .LBB71_1228
; %bb.1218:
	s_cmp_gt_i32 s17, 14
	s_cbranch_scc0 .LBB71_1221
; %bb.1219:
	s_cmp_eq_u32 s17, 15
	s_cbranch_scc0 .LBB71_1224
; %bb.1220:
	s_wait_loadcnt 0x0
	global_load_u16 v1, v[12:13], off
	s_mov_b32 s0, 0
	s_mov_b32 s14, -1
	s_wait_loadcnt 0x0
	v_lshlrev_b32_e32 v1, 16, v1
	s_delay_alu instid0(VALU_DEP_1)
	v_cvt_i32_f32_e32 v1, v1
	s_branch .LBB71_1225
.LBB71_1221:
	s_mov_b32 s12, -1
                                        ; implicit-def: $vgpr1
	s_branch .LBB71_1226
.LBB71_1222:
	s_and_not1_saveexec_b32 s12, s12
	s_cbranch_execz .LBB71_1203
.LBB71_1223:
	v_cmp_ne_u16_e32 vcc_lo, 0, v3
	s_and_not1_b32 s13, s13, exec_lo
	s_and_b32 s14, vcc_lo, exec_lo
	s_delay_alu instid0(SALU_CYCLE_1)
	s_or_b32 s13, s13, s14
	s_or_b32 exec_lo, exec_lo, s12
	v_mov_b32_e32 v1, 0
	s_and_saveexec_b32 s12, s13
	s_cbranch_execnz .LBB71_1204
	s_branch .LBB71_1205
.LBB71_1224:
	s_mov_b32 s0, -1
                                        ; implicit-def: $vgpr1
.LBB71_1225:
	s_mov_b32 s12, 0
.LBB71_1226:
	s_delay_alu instid0(SALU_CYCLE_1)
	s_and_b32 vcc_lo, exec_lo, s12
	s_cbranch_vccz .LBB71_1228
; %bb.1227:
	s_cmp_lg_u32 s17, 11
	s_mov_b32 s13, -1
	s_cselect_b32 s0, -1, 0
.LBB71_1228:
	s_delay_alu instid0(SALU_CYCLE_1)
	s_and_b32 vcc_lo, exec_lo, s0
	s_mov_b32 s12, s1
	s_cbranch_vccnz .LBB71_1281
; %bb.1229:
	s_and_not1_b32 vcc_lo, exec_lo, s13
	s_cbranch_vccnz .LBB71_1231
.LBB71_1230:
	s_wait_loadcnt 0x0
	global_load_u8 v1, v[12:13], off
	s_mov_b32 s14, -1
	s_wait_loadcnt 0x0
	v_cmp_ne_u16_e32 vcc_lo, 0, v1
	v_cndmask_b32_e64 v1, 0, 1, vcc_lo
.LBB71_1231:
	s_branch .LBB71_1041
.LBB71_1232:
	s_cmp_lt_i32 s17, 5
	s_cbranch_scc1 .LBB71_1237
; %bb.1233:
	s_cmp_lt_i32 s17, 8
	s_cbranch_scc1 .LBB71_1238
; %bb.1234:
	;; [unrolled: 3-line block ×3, first 2 shown]
	s_cmp_gt_i32 s17, 9
	s_cbranch_scc0 .LBB71_1240
; %bb.1236:
	global_load_b64 v[14:15], v[12:13], off
	s_mov_b32 s0, 0
	s_wait_loadcnt 0x0
	v_cvt_i32_f64_e32 v1, v[14:15]
	s_branch .LBB71_1241
.LBB71_1237:
	s_mov_b32 s0, -1
                                        ; implicit-def: $vgpr1
	s_branch .LBB71_1259
.LBB71_1238:
	s_mov_b32 s0, -1
                                        ; implicit-def: $vgpr1
	s_branch .LBB71_1247
.LBB71_1239:
	s_mov_b32 s0, -1
                                        ; implicit-def: $vgpr1
	s_branch .LBB71_1244
.LBB71_1240:
	s_mov_b32 s0, -1
                                        ; implicit-def: $vgpr1
.LBB71_1241:
	s_delay_alu instid0(SALU_CYCLE_1)
	s_and_not1_b32 vcc_lo, exec_lo, s0
	s_cbranch_vccnz .LBB71_1243
; %bb.1242:
	s_wait_loadcnt 0x0
	global_load_b32 v1, v[12:13], off
	s_wait_loadcnt 0x0
	v_cvt_i32_f32_e32 v1, v1
.LBB71_1243:
	s_mov_b32 s0, 0
.LBB71_1244:
	s_delay_alu instid0(SALU_CYCLE_1)
	s_and_not1_b32 vcc_lo, exec_lo, s0
	s_cbranch_vccnz .LBB71_1246
; %bb.1245:
	s_wait_loadcnt 0x0
	global_load_b32 v1, v[12:13], off
	s_wait_loadcnt 0x0
	v_cvt_f32_f16_e32 v1, v1
	s_delay_alu instid0(VALU_DEP_1)
	v_cvt_i32_f32_e32 v1, v1
.LBB71_1246:
	s_mov_b32 s0, 0
.LBB71_1247:
	s_delay_alu instid0(SALU_CYCLE_1)
	s_and_not1_b32 vcc_lo, exec_lo, s0
	s_cbranch_vccnz .LBB71_1258
; %bb.1248:
	s_cmp_lt_i32 s17, 6
	s_cbranch_scc1 .LBB71_1251
; %bb.1249:
	s_cmp_gt_i32 s17, 6
	s_cbranch_scc0 .LBB71_1252
; %bb.1250:
	global_load_b64 v[14:15], v[12:13], off
	s_mov_b32 s0, 0
	s_wait_loadcnt 0x0
	v_cvt_i32_f64_e32 v1, v[14:15]
	s_branch .LBB71_1253
.LBB71_1251:
	s_mov_b32 s0, -1
                                        ; implicit-def: $vgpr1
	s_branch .LBB71_1256
.LBB71_1252:
	s_mov_b32 s0, -1
                                        ; implicit-def: $vgpr1
.LBB71_1253:
	s_delay_alu instid0(SALU_CYCLE_1)
	s_and_not1_b32 vcc_lo, exec_lo, s0
	s_cbranch_vccnz .LBB71_1255
; %bb.1254:
	s_wait_loadcnt 0x0
	global_load_b32 v1, v[12:13], off
	s_wait_loadcnt 0x0
	v_cvt_i32_f32_e32 v1, v1
.LBB71_1255:
	s_mov_b32 s0, 0
.LBB71_1256:
	s_delay_alu instid0(SALU_CYCLE_1)
	s_and_not1_b32 vcc_lo, exec_lo, s0
	s_cbranch_vccnz .LBB71_1258
; %bb.1257:
	s_wait_loadcnt 0x0
	global_load_u16 v1, v[12:13], off
	s_wait_loadcnt 0x0
	v_cvt_f32_f16_e32 v1, v1
	s_delay_alu instid0(VALU_DEP_1)
	v_cvt_i32_f32_e32 v1, v1
.LBB71_1258:
	s_mov_b32 s0, 0
.LBB71_1259:
	s_delay_alu instid0(SALU_CYCLE_1)
	s_and_not1_b32 vcc_lo, exec_lo, s0
	s_cbranch_vccnz .LBB71_1279
; %bb.1260:
	s_cmp_lt_i32 s17, 2
	s_cbranch_scc1 .LBB71_1264
; %bb.1261:
	s_cmp_lt_i32 s17, 3
	s_cbranch_scc1 .LBB71_1265
; %bb.1262:
	s_cmp_gt_i32 s17, 3
	s_cbranch_scc0 .LBB71_1266
; %bb.1263:
	s_wait_loadcnt 0x0
	global_load_b32 v1, v[12:13], off
	s_mov_b32 s0, 0
	s_branch .LBB71_1267
.LBB71_1264:
	s_mov_b32 s0, -1
                                        ; implicit-def: $vgpr1
	s_branch .LBB71_1273
.LBB71_1265:
	s_mov_b32 s0, -1
                                        ; implicit-def: $vgpr1
	s_branch .LBB71_1270
.LBB71_1266:
	s_mov_b32 s0, -1
                                        ; implicit-def: $vgpr1
.LBB71_1267:
	s_delay_alu instid0(SALU_CYCLE_1)
	s_and_not1_b32 vcc_lo, exec_lo, s0
	s_cbranch_vccnz .LBB71_1269
; %bb.1268:
	s_wait_loadcnt 0x0
	global_load_b32 v1, v[12:13], off
.LBB71_1269:
	s_mov_b32 s0, 0
.LBB71_1270:
	s_delay_alu instid0(SALU_CYCLE_1)
	s_and_not1_b32 vcc_lo, exec_lo, s0
	s_cbranch_vccnz .LBB71_1272
; %bb.1271:
	s_wait_loadcnt 0x0
	global_load_i16 v1, v[12:13], off
.LBB71_1272:
	s_mov_b32 s0, 0
.LBB71_1273:
	s_delay_alu instid0(SALU_CYCLE_1)
	s_and_not1_b32 vcc_lo, exec_lo, s0
	s_cbranch_vccnz .LBB71_1279
; %bb.1274:
	s_cmp_gt_i32 s17, 0
	s_mov_b32 s0, 0
	s_cbranch_scc0 .LBB71_1276
; %bb.1275:
	s_wait_loadcnt 0x0
	global_load_i8 v1, v[12:13], off
	s_branch .LBB71_1277
.LBB71_1276:
	s_mov_b32 s0, -1
                                        ; implicit-def: $vgpr1
.LBB71_1277:
	s_delay_alu instid0(SALU_CYCLE_1)
	s_and_not1_b32 vcc_lo, exec_lo, s0
	s_cbranch_vccnz .LBB71_1279
; %bb.1278:
	s_wait_loadcnt 0x0
	global_load_u8 v1, v[12:13], off
.LBB71_1279:
	s_branch .LBB71_1042
.LBB71_1280:
	s_mov_b32 s14, 0
	s_mov_b32 s15, 0
                                        ; implicit-def: $vgpr14_vgpr15
                                        ; implicit-def: $sgpr0
	s_branch .LBB71_1851
.LBB71_1281:
	s_or_b32 s12, s1, exec_lo
	s_trap 2
	s_cbranch_execz .LBB71_1230
	s_branch .LBB71_1231
.LBB71_1282:
	s_mov_b32 s14, -1
	s_mov_b32 s18, 0
	s_mov_b32 s0, 0
	s_branch .LBB71_1284
.LBB71_1283:
	s_mov_b32 s0, -1
	s_mov_b32 s18, 0
.LBB71_1284:
                                        ; implicit-def: $vgpr1
.LBB71_1285:
	s_and_b32 vcc_lo, exec_lo, s14
	s_cbranch_vccz .LBB71_1289
; %bb.1286:
	s_cmp_eq_u32 s17, 44
	s_cbranch_scc0 .LBB71_1288
; %bb.1287:
	global_load_u8 v1, v[10:11], off
	s_mov_b32 s0, 0
	s_mov_b32 s18, -1
	s_wait_loadcnt 0x0
	v_lshlrev_b32_e32 v3, 23, v1
	v_cmp_ne_u32_e32 vcc_lo, 0, v1
	s_delay_alu instid0(VALU_DEP_2) | instskip(NEXT) | instid1(VALU_DEP_1)
	v_cvt_i32_f32_e32 v3, v3
	v_cndmask_b32_e32 v1, 0, v3, vcc_lo
	s_branch .LBB71_1289
.LBB71_1288:
	s_mov_b32 s0, -1
                                        ; implicit-def: $vgpr1
.LBB71_1289:
	s_mov_b32 s14, 0
.LBB71_1290:
	s_delay_alu instid0(SALU_CYCLE_1)
	s_and_b32 vcc_lo, exec_lo, s14
	s_cbranch_vccz .LBB71_1294
; %bb.1291:
	s_cmp_eq_u32 s17, 29
	s_cbranch_scc0 .LBB71_1293
; %bb.1292:
	global_load_b32 v1, v[10:11], off
	s_mov_b32 s0, 0
	s_mov_b32 s18, -1
	s_branch .LBB71_1294
.LBB71_1293:
	s_mov_b32 s0, -1
                                        ; implicit-def: $vgpr1
.LBB71_1294:
	s_mov_b32 s14, 0
.LBB71_1295:
	s_delay_alu instid0(SALU_CYCLE_1)
	s_and_b32 vcc_lo, exec_lo, s14
	s_cbranch_vccz .LBB71_1311
; %bb.1296:
	s_cmp_lt_i32 s17, 27
	s_cbranch_scc1 .LBB71_1299
; %bb.1297:
	s_cmp_gt_i32 s17, 27
	s_cbranch_scc0 .LBB71_1300
; %bb.1298:
	s_wait_loadcnt 0x0
	global_load_b32 v1, v[10:11], off
	s_mov_b32 s14, 0
	s_branch .LBB71_1301
.LBB71_1299:
	s_mov_b32 s14, -1
                                        ; implicit-def: $vgpr1
	s_branch .LBB71_1304
.LBB71_1300:
	s_mov_b32 s14, -1
                                        ; implicit-def: $vgpr1
.LBB71_1301:
	s_delay_alu instid0(SALU_CYCLE_1)
	s_and_not1_b32 vcc_lo, exec_lo, s14
	s_cbranch_vccnz .LBB71_1303
; %bb.1302:
	s_wait_loadcnt 0x0
	global_load_u16 v1, v[10:11], off
.LBB71_1303:
	s_mov_b32 s14, 0
.LBB71_1304:
	s_delay_alu instid0(SALU_CYCLE_1)
	s_and_not1_b32 vcc_lo, exec_lo, s14
	s_cbranch_vccnz .LBB71_1310
; %bb.1305:
	global_load_u8 v3, v[10:11], off
	s_mov_b32 s18, 0
	s_mov_b32 s14, exec_lo
	s_wait_loadcnt 0x0
	v_cmpx_lt_i16_e32 0x7f, v3
	s_xor_b32 s14, exec_lo, s14
	s_cbranch_execz .LBB71_1322
; %bb.1306:
	v_cmp_ne_u16_e32 vcc_lo, 0x80, v3
	s_and_b32 s18, vcc_lo, exec_lo
	s_and_not1_saveexec_b32 s14, s14
	s_cbranch_execnz .LBB71_1323
.LBB71_1307:
	s_or_b32 exec_lo, exec_lo, s14
	v_mov_b32_e32 v1, 0
	s_and_saveexec_b32 s14, s18
	s_cbranch_execz .LBB71_1309
.LBB71_1308:
	v_and_b32_e32 v1, 0xffff, v3
	s_delay_alu instid0(VALU_DEP_1) | instskip(SKIP_1) | instid1(VALU_DEP_2)
	v_and_b32_e32 v5, 7, v1
	v_bfe_u32 v12, v1, 3, 4
	v_clz_i32_u32_e32 v7, v5
	s_delay_alu instid0(VALU_DEP_2) | instskip(NEXT) | instid1(VALU_DEP_2)
	v_cmp_eq_u32_e32 vcc_lo, 0, v12
	v_min_u32_e32 v7, 32, v7
	s_delay_alu instid0(VALU_DEP_1) | instskip(NEXT) | instid1(VALU_DEP_1)
	v_subrev_nc_u32_e32 v9, 28, v7
	v_dual_lshlrev_b32 v1, v9, v1 :: v_dual_sub_nc_u32 v7, 29, v7
	s_delay_alu instid0(VALU_DEP_1) | instskip(NEXT) | instid1(VALU_DEP_1)
	v_dual_lshlrev_b32 v3, 24, v3 :: v_dual_bitop2_b32 v1, 7, v1 bitop3:0x40
	v_dual_cndmask_b32 v1, v5, v1, vcc_lo :: v_dual_cndmask_b32 v7, v12, v7, vcc_lo
	s_delay_alu instid0(VALU_DEP_2) | instskip(NEXT) | instid1(VALU_DEP_2)
	v_and_b32_e32 v3, 0x80000000, v3
	v_lshlrev_b32_e32 v1, 20, v1
	s_delay_alu instid0(VALU_DEP_3) | instskip(NEXT) | instid1(VALU_DEP_1)
	v_lshl_add_u32 v5, v7, 23, 0x3b800000
	v_or3_b32 v1, v3, v5, v1
	s_delay_alu instid0(VALU_DEP_1)
	v_cvt_i32_f32_e32 v1, v1
.LBB71_1309:
	s_or_b32 exec_lo, exec_lo, s14
.LBB71_1310:
	s_mov_b32 s18, -1
.LBB71_1311:
	s_mov_b32 s14, 0
.LBB71_1312:
	s_delay_alu instid0(SALU_CYCLE_1)
	s_and_b32 vcc_lo, exec_lo, s14
	s_cbranch_vccz .LBB71_1343
; %bb.1313:
	s_cmp_gt_i32 s17, 22
	s_cbranch_scc0 .LBB71_1321
; %bb.1314:
	s_cmp_lt_i32 s17, 24
	s_cbranch_scc1 .LBB71_1324
; %bb.1315:
	s_cmp_gt_i32 s17, 24
	s_cbranch_scc0 .LBB71_1325
; %bb.1316:
	global_load_u8 v3, v[10:11], off
	s_mov_b32 s14, exec_lo
	s_wait_loadcnt 0x0
	v_cmpx_lt_i16_e32 0x7f, v3
	s_xor_b32 s14, exec_lo, s14
	s_cbranch_execz .LBB71_1337
; %bb.1317:
	v_cmp_ne_u16_e32 vcc_lo, 0x80, v3
	s_and_b32 s15, vcc_lo, exec_lo
	s_and_not1_saveexec_b32 s14, s14
	s_cbranch_execnz .LBB71_1338
.LBB71_1318:
	s_or_b32 exec_lo, exec_lo, s14
	v_mov_b32_e32 v1, 0
	s_and_saveexec_b32 s14, s15
	s_cbranch_execz .LBB71_1320
.LBB71_1319:
	v_and_b32_e32 v1, 0xffff, v3
	s_delay_alu instid0(VALU_DEP_1) | instskip(SKIP_1) | instid1(VALU_DEP_2)
	v_and_b32_e32 v5, 3, v1
	v_bfe_u32 v12, v1, 2, 5
	v_clz_i32_u32_e32 v7, v5
	s_delay_alu instid0(VALU_DEP_2) | instskip(NEXT) | instid1(VALU_DEP_2)
	v_cmp_eq_u32_e32 vcc_lo, 0, v12
	v_min_u32_e32 v7, 32, v7
	s_delay_alu instid0(VALU_DEP_1) | instskip(NEXT) | instid1(VALU_DEP_1)
	v_subrev_nc_u32_e32 v9, 29, v7
	v_dual_lshlrev_b32 v1, v9, v1 :: v_dual_sub_nc_u32 v7, 30, v7
	s_delay_alu instid0(VALU_DEP_1) | instskip(NEXT) | instid1(VALU_DEP_1)
	v_dual_lshlrev_b32 v3, 24, v3 :: v_dual_bitop2_b32 v1, 3, v1 bitop3:0x40
	v_dual_cndmask_b32 v1, v5, v1, vcc_lo :: v_dual_cndmask_b32 v7, v12, v7, vcc_lo
	s_delay_alu instid0(VALU_DEP_2) | instskip(NEXT) | instid1(VALU_DEP_2)
	v_and_b32_e32 v3, 0x80000000, v3
	v_lshlrev_b32_e32 v1, 21, v1
	s_delay_alu instid0(VALU_DEP_3) | instskip(NEXT) | instid1(VALU_DEP_1)
	v_lshl_add_u32 v5, v7, 23, 0x37800000
	v_or3_b32 v1, v3, v5, v1
	s_delay_alu instid0(VALU_DEP_1)
	v_cvt_i32_f32_e32 v1, v1
.LBB71_1320:
	s_or_b32 exec_lo, exec_lo, s14
	s_mov_b32 s14, 0
	s_branch .LBB71_1326
.LBB71_1321:
	s_mov_b32 s14, -1
                                        ; implicit-def: $vgpr1
	s_branch .LBB71_1332
.LBB71_1322:
	s_and_not1_saveexec_b32 s14, s14
	s_cbranch_execz .LBB71_1307
.LBB71_1323:
	v_cmp_ne_u16_e32 vcc_lo, 0, v3
	s_and_not1_b32 s18, s18, exec_lo
	s_and_b32 s19, vcc_lo, exec_lo
	s_delay_alu instid0(SALU_CYCLE_1)
	s_or_b32 s18, s18, s19
	s_or_b32 exec_lo, exec_lo, s14
	v_mov_b32_e32 v1, 0
	s_and_saveexec_b32 s14, s18
	s_cbranch_execnz .LBB71_1308
	s_branch .LBB71_1309
.LBB71_1324:
	s_mov_b32 s14, -1
                                        ; implicit-def: $vgpr1
	s_branch .LBB71_1329
.LBB71_1325:
	s_mov_b32 s14, -1
                                        ; implicit-def: $vgpr1
.LBB71_1326:
	s_delay_alu instid0(SALU_CYCLE_1)
	s_and_b32 vcc_lo, exec_lo, s14
	s_cbranch_vccz .LBB71_1328
; %bb.1327:
	s_wait_loadcnt 0x0
	global_load_u8 v1, v[10:11], off
	s_wait_loadcnt 0x0
	v_lshlrev_b32_e32 v1, 24, v1
	s_delay_alu instid0(VALU_DEP_1) | instskip(NEXT) | instid1(VALU_DEP_1)
	v_and_b32_e32 v3, 0x7f000000, v1
	v_clz_i32_u32_e32 v5, v3
	v_add_nc_u32_e32 v9, 0x1000000, v3
	v_cmp_ne_u32_e32 vcc_lo, 0, v3
	s_delay_alu instid0(VALU_DEP_3) | instskip(NEXT) | instid1(VALU_DEP_1)
	v_min_u32_e32 v5, 32, v5
	v_sub_nc_u32_e64 v5, v5, 4 clamp
	s_delay_alu instid0(VALU_DEP_1) | instskip(NEXT) | instid1(VALU_DEP_1)
	v_dual_lshlrev_b32 v7, v5, v3 :: v_dual_lshlrev_b32 v5, 23, v5
	v_lshrrev_b32_e32 v7, 4, v7
	s_delay_alu instid0(VALU_DEP_1) | instskip(SKIP_1) | instid1(VALU_DEP_2)
	v_sub_nc_u32_e32 v5, v7, v5
	v_ashrrev_i32_e32 v7, 8, v9
	v_add_nc_u32_e32 v5, 0x3c000000, v5
	s_delay_alu instid0(VALU_DEP_1) | instskip(NEXT) | instid1(VALU_DEP_1)
	v_and_or_b32 v5, 0x7f800000, v7, v5
	v_cndmask_b32_e32 v3, 0, v5, vcc_lo
	s_delay_alu instid0(VALU_DEP_1) | instskip(NEXT) | instid1(VALU_DEP_1)
	v_and_or_b32 v1, 0x80000000, v1, v3
	v_cvt_i32_f32_e32 v1, v1
.LBB71_1328:
	s_mov_b32 s14, 0
.LBB71_1329:
	s_delay_alu instid0(SALU_CYCLE_1)
	s_and_not1_b32 vcc_lo, exec_lo, s14
	s_cbranch_vccnz .LBB71_1331
; %bb.1330:
	s_wait_loadcnt 0x0
	global_load_u8 v1, v[10:11], off
	s_wait_loadcnt 0x0
	v_lshlrev_b32_e32 v3, 25, v1
	v_lshlrev_b16 v1, 8, v1
	s_delay_alu instid0(VALU_DEP_1) | instskip(SKIP_1) | instid1(VALU_DEP_2)
	v_and_or_b32 v7, 0x7f00, v1, 0.5
	v_bfe_i32 v1, v1, 0, 16
	v_add_f32_e32 v7, -0.5, v7
	v_lshrrev_b32_e32 v5, 4, v3
	v_cmp_gt_u32_e32 vcc_lo, 0x8000000, v3
	s_delay_alu instid0(VALU_DEP_2) | instskip(NEXT) | instid1(VALU_DEP_1)
	v_or_b32_e32 v5, 0x70000000, v5
	v_mul_f32_e32 v5, 0x7800000, v5
	s_delay_alu instid0(VALU_DEP_1) | instskip(NEXT) | instid1(VALU_DEP_1)
	v_cndmask_b32_e32 v3, v5, v7, vcc_lo
	v_and_or_b32 v1, 0x80000000, v1, v3
	s_delay_alu instid0(VALU_DEP_1)
	v_cvt_i32_f32_e32 v1, v1
.LBB71_1331:
	s_mov_b32 s14, 0
	s_mov_b32 s18, -1
.LBB71_1332:
	s_and_not1_b32 vcc_lo, exec_lo, s14
	s_mov_b32 s15, 0
	s_cbranch_vccnz .LBB71_1343
; %bb.1333:
	s_cmp_gt_i32 s17, 14
	s_cbranch_scc0 .LBB71_1336
; %bb.1334:
	s_cmp_eq_u32 s17, 15
	s_cbranch_scc0 .LBB71_1339
; %bb.1335:
	s_wait_loadcnt 0x0
	global_load_u16 v1, v[10:11], off
	s_mov_b32 s0, 0
	s_mov_b32 s18, -1
	s_wait_loadcnt 0x0
	v_lshlrev_b32_e32 v1, 16, v1
	s_delay_alu instid0(VALU_DEP_1)
	v_cvt_i32_f32_e32 v1, v1
	s_branch .LBB71_1340
.LBB71_1336:
	s_mov_b32 s14, -1
                                        ; implicit-def: $vgpr1
	s_branch .LBB71_1341
.LBB71_1337:
	s_and_not1_saveexec_b32 s14, s14
	s_cbranch_execz .LBB71_1318
.LBB71_1338:
	v_cmp_ne_u16_e32 vcc_lo, 0, v3
	s_and_not1_b32 s15, s15, exec_lo
	s_and_b32 s18, vcc_lo, exec_lo
	s_delay_alu instid0(SALU_CYCLE_1)
	s_or_b32 s15, s15, s18
	s_or_b32 exec_lo, exec_lo, s14
	v_mov_b32_e32 v1, 0
	s_and_saveexec_b32 s14, s15
	s_cbranch_execnz .LBB71_1319
	s_branch .LBB71_1320
.LBB71_1339:
	s_mov_b32 s0, -1
                                        ; implicit-def: $vgpr1
.LBB71_1340:
	s_mov_b32 s14, 0
.LBB71_1341:
	s_delay_alu instid0(SALU_CYCLE_1)
	s_and_b32 vcc_lo, exec_lo, s14
	s_cbranch_vccz .LBB71_1343
; %bb.1342:
	s_cmp_lg_u32 s17, 11
	s_mov_b32 s15, -1
	s_cselect_b32 s0, -1, 0
.LBB71_1343:
	s_delay_alu instid0(SALU_CYCLE_1)
	s_and_b32 vcc_lo, exec_lo, s0
	s_mov_b32 s14, s12
	s_cbranch_vccnz .LBB71_1410
; %bb.1344:
	s_and_not1_b32 vcc_lo, exec_lo, s15
	s_cbranch_vccnz .LBB71_1346
.LBB71_1345:
	s_wait_loadcnt 0x0
	global_load_u8 v1, v[10:11], off
	s_mov_b32 s18, -1
	s_wait_loadcnt 0x0
	v_cmp_ne_u16_e32 vcc_lo, 0, v1
	v_cndmask_b32_e64 v1, 0, 1, vcc_lo
.LBB71_1346:
	s_mov_b32 s0, 0
.LBB71_1347:
	s_delay_alu instid0(SALU_CYCLE_1)
	s_and_b32 vcc_lo, exec_lo, s0
	s_cbranch_vccz .LBB71_1396
; %bb.1348:
	s_cmp_lt_i32 s17, 5
	s_cbranch_scc1 .LBB71_1353
; %bb.1349:
	s_cmp_lt_i32 s17, 8
	s_cbranch_scc1 .LBB71_1354
	;; [unrolled: 3-line block ×3, first 2 shown]
; %bb.1351:
	s_cmp_gt_i32 s17, 9
	s_cbranch_scc0 .LBB71_1356
; %bb.1352:
	global_load_b64 v[12:13], v[10:11], off
	s_mov_b32 s0, 0
	s_wait_loadcnt 0x0
	v_cvt_i32_f64_e32 v1, v[12:13]
	s_branch .LBB71_1357
.LBB71_1353:
	s_mov_b32 s0, -1
                                        ; implicit-def: $vgpr1
	s_branch .LBB71_1375
.LBB71_1354:
	s_mov_b32 s0, -1
                                        ; implicit-def: $vgpr1
	s_branch .LBB71_1363
.LBB71_1355:
	s_mov_b32 s0, -1
                                        ; implicit-def: $vgpr1
	s_branch .LBB71_1360
.LBB71_1356:
	s_mov_b32 s0, -1
                                        ; implicit-def: $vgpr1
.LBB71_1357:
	s_delay_alu instid0(SALU_CYCLE_1)
	s_and_not1_b32 vcc_lo, exec_lo, s0
	s_cbranch_vccnz .LBB71_1359
; %bb.1358:
	s_wait_loadcnt 0x0
	global_load_b32 v1, v[10:11], off
	s_wait_loadcnt 0x0
	v_cvt_i32_f32_e32 v1, v1
.LBB71_1359:
	s_mov_b32 s0, 0
.LBB71_1360:
	s_delay_alu instid0(SALU_CYCLE_1)
	s_and_not1_b32 vcc_lo, exec_lo, s0
	s_cbranch_vccnz .LBB71_1362
; %bb.1361:
	s_wait_loadcnt 0x0
	global_load_b32 v1, v[10:11], off
	s_wait_loadcnt 0x0
	v_cvt_f32_f16_e32 v1, v1
	s_delay_alu instid0(VALU_DEP_1)
	v_cvt_i32_f32_e32 v1, v1
.LBB71_1362:
	s_mov_b32 s0, 0
.LBB71_1363:
	s_delay_alu instid0(SALU_CYCLE_1)
	s_and_not1_b32 vcc_lo, exec_lo, s0
	s_cbranch_vccnz .LBB71_1374
; %bb.1364:
	s_cmp_lt_i32 s17, 6
	s_cbranch_scc1 .LBB71_1367
; %bb.1365:
	s_cmp_gt_i32 s17, 6
	s_cbranch_scc0 .LBB71_1368
; %bb.1366:
	global_load_b64 v[12:13], v[10:11], off
	s_mov_b32 s0, 0
	s_wait_loadcnt 0x0
	v_cvt_i32_f64_e32 v1, v[12:13]
	s_branch .LBB71_1369
.LBB71_1367:
	s_mov_b32 s0, -1
                                        ; implicit-def: $vgpr1
	s_branch .LBB71_1372
.LBB71_1368:
	s_mov_b32 s0, -1
                                        ; implicit-def: $vgpr1
.LBB71_1369:
	s_delay_alu instid0(SALU_CYCLE_1)
	s_and_not1_b32 vcc_lo, exec_lo, s0
	s_cbranch_vccnz .LBB71_1371
; %bb.1370:
	s_wait_loadcnt 0x0
	global_load_b32 v1, v[10:11], off
	s_wait_loadcnt 0x0
	v_cvt_i32_f32_e32 v1, v1
.LBB71_1371:
	s_mov_b32 s0, 0
.LBB71_1372:
	s_delay_alu instid0(SALU_CYCLE_1)
	s_and_not1_b32 vcc_lo, exec_lo, s0
	s_cbranch_vccnz .LBB71_1374
; %bb.1373:
	s_wait_loadcnt 0x0
	global_load_u16 v1, v[10:11], off
	s_wait_loadcnt 0x0
	v_cvt_f32_f16_e32 v1, v1
	s_delay_alu instid0(VALU_DEP_1)
	v_cvt_i32_f32_e32 v1, v1
.LBB71_1374:
	s_mov_b32 s0, 0
.LBB71_1375:
	s_delay_alu instid0(SALU_CYCLE_1)
	s_and_not1_b32 vcc_lo, exec_lo, s0
	s_cbranch_vccnz .LBB71_1395
; %bb.1376:
	s_cmp_lt_i32 s17, 2
	s_cbranch_scc1 .LBB71_1380
; %bb.1377:
	s_cmp_lt_i32 s17, 3
	s_cbranch_scc1 .LBB71_1381
; %bb.1378:
	s_cmp_gt_i32 s17, 3
	s_cbranch_scc0 .LBB71_1382
; %bb.1379:
	s_wait_loadcnt 0x0
	global_load_b32 v1, v[10:11], off
	s_mov_b32 s0, 0
	s_branch .LBB71_1383
.LBB71_1380:
	s_mov_b32 s0, -1
                                        ; implicit-def: $vgpr1
	s_branch .LBB71_1389
.LBB71_1381:
	s_mov_b32 s0, -1
                                        ; implicit-def: $vgpr1
	s_branch .LBB71_1386
.LBB71_1382:
	s_mov_b32 s0, -1
                                        ; implicit-def: $vgpr1
.LBB71_1383:
	s_delay_alu instid0(SALU_CYCLE_1)
	s_and_not1_b32 vcc_lo, exec_lo, s0
	s_cbranch_vccnz .LBB71_1385
; %bb.1384:
	s_wait_loadcnt 0x0
	global_load_b32 v1, v[10:11], off
.LBB71_1385:
	s_mov_b32 s0, 0
.LBB71_1386:
	s_delay_alu instid0(SALU_CYCLE_1)
	s_and_not1_b32 vcc_lo, exec_lo, s0
	s_cbranch_vccnz .LBB71_1388
; %bb.1387:
	s_wait_loadcnt 0x0
	global_load_i16 v1, v[10:11], off
.LBB71_1388:
	s_mov_b32 s0, 0
.LBB71_1389:
	s_delay_alu instid0(SALU_CYCLE_1)
	s_and_not1_b32 vcc_lo, exec_lo, s0
	s_cbranch_vccnz .LBB71_1395
; %bb.1390:
	s_cmp_gt_i32 s17, 0
	s_mov_b32 s0, 0
	s_cbranch_scc0 .LBB71_1392
; %bb.1391:
	s_wait_loadcnt 0x0
	global_load_i8 v1, v[10:11], off
	s_branch .LBB71_1393
.LBB71_1392:
	s_mov_b32 s0, -1
                                        ; implicit-def: $vgpr1
.LBB71_1393:
	s_delay_alu instid0(SALU_CYCLE_1)
	s_and_not1_b32 vcc_lo, exec_lo, s0
	s_cbranch_vccnz .LBB71_1395
; %bb.1394:
	s_wait_loadcnt 0x0
	global_load_u8 v1, v[10:11], off
.LBB71_1395:
	s_mov_b32 s18, -1
.LBB71_1396:
	s_delay_alu instid0(SALU_CYCLE_1)
	s_and_not1_b32 vcc_lo, exec_lo, s18
	s_cbranch_vccnz .LBB71_1406
; %bb.1397:
	s_wait_loadcnt 0x0
	s_delay_alu instid0(VALU_DEP_1) | instskip(SKIP_4) | instid1(SALU_CYCLE_1)
	v_cmp_gt_i32_e32 vcc_lo, s16, v1
	v_cmp_le_i32_e64 s0, s8, v1
	s_or_b32 s0, vcc_lo, s0
	s_wait_xcnt 0x0
	s_and_saveexec_b32 s15, s0
	s_xor_b32 s0, exec_lo, s15
	s_cbranch_execnz .LBB71_1903
.LBB71_1398:
	s_or_saveexec_b32 s15, s0
	s_mov_b32 s18, 0
	s_mov_b32 s19, 0
                                        ; implicit-def: $vgpr14_vgpr15
                                        ; implicit-def: $sgpr0
	s_xor_b32 exec_lo, exec_lo, s15
	s_cbranch_execz .LBB71_1848
; %bb.1399:
	v_mov_b32_e32 v9, 0
	s_cmp_lt_i32 s17, 11
	s_delay_alu instid0(VALU_DEP_1)
	v_add_nc_u64_e32 v[8:9], s[6:7], v[8:9]
	s_cbranch_scc1 .LBB71_1407
; %bb.1400:
	s_cmp_gt_i32 s17, 25
	s_mov_b32 s7, 0
	s_cbranch_scc0 .LBB71_1408
; %bb.1401:
	s_cmp_gt_i32 s17, 28
	s_cbranch_scc0 .LBB71_1409
; %bb.1402:
	s_cmp_gt_i32 s17, 43
	;; [unrolled: 3-line block ×3, first 2 shown]
	s_cbranch_scc0 .LBB71_1412
; %bb.1404:
	s_cmp_eq_u32 s17, 46
	s_mov_b32 s6, 0
	s_cbranch_scc0 .LBB71_1414
; %bb.1405:
	global_load_b32 v1, v[8:9], off
	s_mov_b32 s0, 0
	s_mov_b32 s18, -1
	s_wait_loadcnt 0x0
	v_lshlrev_b32_e32 v1, 16, v1
	s_delay_alu instid0(VALU_DEP_1)
	v_cvt_i32_f32_e32 v1, v1
	s_branch .LBB71_1416
.LBB71_1406:
	s_mov_b32 s18, 0
	s_mov_b32 s19, 0
                                        ; implicit-def: $vgpr14_vgpr15
                                        ; implicit-def: $sgpr0
	s_branch .LBB71_1849
.LBB71_1407:
	s_mov_b32 s0, -1
	s_mov_b32 s6, s14
                                        ; implicit-def: $vgpr1
	s_branch .LBB71_1478
.LBB71_1408:
	s_mov_b32 s6, -1
	s_mov_b32 s0, 0
                                        ; implicit-def: $vgpr1
	s_branch .LBB71_1443
.LBB71_1409:
	s_mov_b32 s6, -1
	s_mov_b32 s0, 0
                                        ; implicit-def: $vgpr1
	s_branch .LBB71_1426
.LBB71_1410:
	s_or_b32 s14, s12, exec_lo
	s_trap 2
	s_cbranch_execz .LBB71_1345
	s_branch .LBB71_1346
.LBB71_1411:
	s_mov_b32 s6, -1
	s_mov_b32 s0, 0
                                        ; implicit-def: $vgpr1
	s_branch .LBB71_1421
.LBB71_1412:
	s_mov_b32 s6, -1
	s_mov_b32 s0, 0
	s_branch .LBB71_1415
.LBB71_1413:
	s_or_b32 s1, s1, exec_lo
	s_trap 2
                                        ; implicit-def: $vgpr12
                                        ; implicit-def: $vgpr10
                                        ; implicit-def: $vgpr8
                                        ; implicit-def: $vgpr0
                                        ; implicit-def: $vgpr6
                                        ; implicit-def: $vgpr4
                                        ; implicit-def: $vgpr2
	s_branch .LBB71_1030
.LBB71_1414:
	s_mov_b32 s0, -1
.LBB71_1415:
                                        ; implicit-def: $vgpr1
.LBB71_1416:
	s_and_b32 vcc_lo, exec_lo, s6
	s_cbranch_vccz .LBB71_1420
; %bb.1417:
	s_cmp_eq_u32 s17, 44
	s_cbranch_scc0 .LBB71_1419
; %bb.1418:
	global_load_u8 v1, v[8:9], off
	s_mov_b32 s0, 0
	s_mov_b32 s18, -1
	s_wait_loadcnt 0x0
	v_lshlrev_b32_e32 v3, 23, v1
	v_cmp_ne_u32_e32 vcc_lo, 0, v1
	s_delay_alu instid0(VALU_DEP_2) | instskip(NEXT) | instid1(VALU_DEP_1)
	v_cvt_i32_f32_e32 v3, v3
	v_cndmask_b32_e32 v1, 0, v3, vcc_lo
	s_branch .LBB71_1420
.LBB71_1419:
	s_mov_b32 s0, -1
                                        ; implicit-def: $vgpr1
.LBB71_1420:
	s_mov_b32 s6, 0
.LBB71_1421:
	s_delay_alu instid0(SALU_CYCLE_1)
	s_and_b32 vcc_lo, exec_lo, s6
	s_cbranch_vccz .LBB71_1425
; %bb.1422:
	s_cmp_eq_u32 s17, 29
	s_cbranch_scc0 .LBB71_1424
; %bb.1423:
	global_load_b32 v1, v[8:9], off
	s_mov_b32 s0, 0
	s_mov_b32 s18, -1
	s_branch .LBB71_1425
.LBB71_1424:
	s_mov_b32 s0, -1
                                        ; implicit-def: $vgpr1
.LBB71_1425:
	s_mov_b32 s6, 0
.LBB71_1426:
	s_delay_alu instid0(SALU_CYCLE_1)
	s_and_b32 vcc_lo, exec_lo, s6
	s_cbranch_vccz .LBB71_1442
; %bb.1427:
	s_cmp_lt_i32 s17, 27
	s_cbranch_scc1 .LBB71_1430
; %bb.1428:
	s_cmp_gt_i32 s17, 27
	s_cbranch_scc0 .LBB71_1431
; %bb.1429:
	s_wait_loadcnt 0x0
	global_load_b32 v1, v[8:9], off
	s_mov_b32 s6, 0
	s_branch .LBB71_1432
.LBB71_1430:
	s_mov_b32 s6, -1
                                        ; implicit-def: $vgpr1
	s_branch .LBB71_1435
.LBB71_1431:
	s_mov_b32 s6, -1
                                        ; implicit-def: $vgpr1
.LBB71_1432:
	s_delay_alu instid0(SALU_CYCLE_1)
	s_and_not1_b32 vcc_lo, exec_lo, s6
	s_cbranch_vccnz .LBB71_1434
; %bb.1433:
	s_wait_loadcnt 0x0
	global_load_u16 v1, v[8:9], off
.LBB71_1434:
	s_mov_b32 s6, 0
.LBB71_1435:
	s_delay_alu instid0(SALU_CYCLE_1)
	s_and_not1_b32 vcc_lo, exec_lo, s6
	s_cbranch_vccnz .LBB71_1441
; %bb.1436:
	global_load_u8 v3, v[8:9], off
	s_mov_b32 s18, 0
	s_mov_b32 s6, exec_lo
	s_wait_loadcnt 0x0
	v_cmpx_lt_i16_e32 0x7f, v3
	s_xor_b32 s6, exec_lo, s6
	s_cbranch_execz .LBB71_1453
; %bb.1437:
	v_cmp_ne_u16_e32 vcc_lo, 0x80, v3
	s_and_b32 s18, vcc_lo, exec_lo
	s_and_not1_saveexec_b32 s6, s6
	s_cbranch_execnz .LBB71_1454
.LBB71_1438:
	s_or_b32 exec_lo, exec_lo, s6
	v_mov_b32_e32 v1, 0
	s_and_saveexec_b32 s6, s18
	s_cbranch_execz .LBB71_1440
.LBB71_1439:
	v_and_b32_e32 v1, 0xffff, v3
	s_delay_alu instid0(VALU_DEP_1) | instskip(SKIP_1) | instid1(VALU_DEP_2)
	v_and_b32_e32 v5, 7, v1
	v_bfe_u32 v11, v1, 3, 4
	v_clz_i32_u32_e32 v7, v5
	s_delay_alu instid0(VALU_DEP_2) | instskip(NEXT) | instid1(VALU_DEP_2)
	v_cmp_eq_u32_e32 vcc_lo, 0, v11
	v_min_u32_e32 v7, 32, v7
	s_delay_alu instid0(VALU_DEP_1) | instskip(NEXT) | instid1(VALU_DEP_1)
	v_subrev_nc_u32_e32 v10, 28, v7
	v_dual_lshlrev_b32 v1, v10, v1 :: v_dual_sub_nc_u32 v7, 29, v7
	s_delay_alu instid0(VALU_DEP_1) | instskip(NEXT) | instid1(VALU_DEP_1)
	v_dual_lshlrev_b32 v3, 24, v3 :: v_dual_bitop2_b32 v1, 7, v1 bitop3:0x40
	v_dual_cndmask_b32 v1, v5, v1, vcc_lo :: v_dual_cndmask_b32 v7, v11, v7, vcc_lo
	s_delay_alu instid0(VALU_DEP_2) | instskip(NEXT) | instid1(VALU_DEP_2)
	v_and_b32_e32 v3, 0x80000000, v3
	v_lshlrev_b32_e32 v1, 20, v1
	s_delay_alu instid0(VALU_DEP_3) | instskip(NEXT) | instid1(VALU_DEP_1)
	v_lshl_add_u32 v5, v7, 23, 0x3b800000
	v_or3_b32 v1, v3, v5, v1
	s_delay_alu instid0(VALU_DEP_1)
	v_cvt_i32_f32_e32 v1, v1
.LBB71_1440:
	s_or_b32 exec_lo, exec_lo, s6
.LBB71_1441:
	s_mov_b32 s18, -1
.LBB71_1442:
	s_mov_b32 s6, 0
.LBB71_1443:
	s_delay_alu instid0(SALU_CYCLE_1)
	s_and_b32 vcc_lo, exec_lo, s6
	s_cbranch_vccz .LBB71_1474
; %bb.1444:
	s_cmp_gt_i32 s17, 22
	s_cbranch_scc0 .LBB71_1452
; %bb.1445:
	s_cmp_lt_i32 s17, 24
	s_cbranch_scc1 .LBB71_1455
; %bb.1446:
	s_cmp_gt_i32 s17, 24
	s_cbranch_scc0 .LBB71_1456
; %bb.1447:
	global_load_u8 v3, v[8:9], off
	s_mov_b32 s6, exec_lo
	s_wait_loadcnt 0x0
	v_cmpx_lt_i16_e32 0x7f, v3
	s_xor_b32 s6, exec_lo, s6
	s_cbranch_execz .LBB71_1468
; %bb.1448:
	v_cmp_ne_u16_e32 vcc_lo, 0x80, v3
	s_and_b32 s7, vcc_lo, exec_lo
	s_and_not1_saveexec_b32 s6, s6
	s_cbranch_execnz .LBB71_1469
.LBB71_1449:
	s_or_b32 exec_lo, exec_lo, s6
	v_mov_b32_e32 v1, 0
	s_and_saveexec_b32 s6, s7
	s_cbranch_execz .LBB71_1451
.LBB71_1450:
	v_and_b32_e32 v1, 0xffff, v3
	s_delay_alu instid0(VALU_DEP_1) | instskip(SKIP_1) | instid1(VALU_DEP_2)
	v_and_b32_e32 v5, 3, v1
	v_bfe_u32 v11, v1, 2, 5
	v_clz_i32_u32_e32 v7, v5
	s_delay_alu instid0(VALU_DEP_2) | instskip(NEXT) | instid1(VALU_DEP_2)
	v_cmp_eq_u32_e32 vcc_lo, 0, v11
	v_min_u32_e32 v7, 32, v7
	s_delay_alu instid0(VALU_DEP_1) | instskip(NEXT) | instid1(VALU_DEP_1)
	v_subrev_nc_u32_e32 v10, 29, v7
	v_dual_lshlrev_b32 v1, v10, v1 :: v_dual_sub_nc_u32 v7, 30, v7
	s_delay_alu instid0(VALU_DEP_1) | instskip(NEXT) | instid1(VALU_DEP_1)
	v_dual_lshlrev_b32 v3, 24, v3 :: v_dual_bitop2_b32 v1, 3, v1 bitop3:0x40
	v_dual_cndmask_b32 v1, v5, v1, vcc_lo :: v_dual_cndmask_b32 v7, v11, v7, vcc_lo
	s_delay_alu instid0(VALU_DEP_2) | instskip(NEXT) | instid1(VALU_DEP_2)
	v_and_b32_e32 v3, 0x80000000, v3
	v_lshlrev_b32_e32 v1, 21, v1
	s_delay_alu instid0(VALU_DEP_3) | instskip(NEXT) | instid1(VALU_DEP_1)
	v_lshl_add_u32 v5, v7, 23, 0x37800000
	v_or3_b32 v1, v3, v5, v1
	s_delay_alu instid0(VALU_DEP_1)
	v_cvt_i32_f32_e32 v1, v1
.LBB71_1451:
	s_or_b32 exec_lo, exec_lo, s6
	s_mov_b32 s6, 0
	s_branch .LBB71_1457
.LBB71_1452:
	s_mov_b32 s6, -1
                                        ; implicit-def: $vgpr1
	s_branch .LBB71_1463
.LBB71_1453:
	s_and_not1_saveexec_b32 s6, s6
	s_cbranch_execz .LBB71_1438
.LBB71_1454:
	v_cmp_ne_u16_e32 vcc_lo, 0, v3
	s_and_not1_b32 s18, s18, exec_lo
	s_and_b32 s19, vcc_lo, exec_lo
	s_delay_alu instid0(SALU_CYCLE_1)
	s_or_b32 s18, s18, s19
	s_or_b32 exec_lo, exec_lo, s6
	v_mov_b32_e32 v1, 0
	s_and_saveexec_b32 s6, s18
	s_cbranch_execnz .LBB71_1439
	s_branch .LBB71_1440
.LBB71_1455:
	s_mov_b32 s6, -1
                                        ; implicit-def: $vgpr1
	s_branch .LBB71_1460
.LBB71_1456:
	s_mov_b32 s6, -1
                                        ; implicit-def: $vgpr1
.LBB71_1457:
	s_delay_alu instid0(SALU_CYCLE_1)
	s_and_b32 vcc_lo, exec_lo, s6
	s_cbranch_vccz .LBB71_1459
; %bb.1458:
	s_wait_loadcnt 0x0
	global_load_u8 v1, v[8:9], off
	s_wait_loadcnt 0x0
	v_lshlrev_b32_e32 v1, 24, v1
	s_delay_alu instid0(VALU_DEP_1) | instskip(NEXT) | instid1(VALU_DEP_1)
	v_and_b32_e32 v3, 0x7f000000, v1
	v_clz_i32_u32_e32 v5, v3
	v_cmp_ne_u32_e32 vcc_lo, 0, v3
	v_add_nc_u32_e32 v10, 0x1000000, v3
	s_delay_alu instid0(VALU_DEP_3) | instskip(NEXT) | instid1(VALU_DEP_1)
	v_min_u32_e32 v5, 32, v5
	v_sub_nc_u32_e64 v5, v5, 4 clamp
	s_delay_alu instid0(VALU_DEP_1) | instskip(NEXT) | instid1(VALU_DEP_1)
	v_dual_lshlrev_b32 v7, v5, v3 :: v_dual_lshlrev_b32 v5, 23, v5
	v_lshrrev_b32_e32 v7, 4, v7
	s_delay_alu instid0(VALU_DEP_1) | instskip(NEXT) | instid1(VALU_DEP_1)
	v_dual_sub_nc_u32 v5, v7, v5 :: v_dual_ashrrev_i32 v7, 8, v10
	v_add_nc_u32_e32 v5, 0x3c000000, v5
	s_delay_alu instid0(VALU_DEP_1) | instskip(NEXT) | instid1(VALU_DEP_1)
	v_and_or_b32 v5, 0x7f800000, v7, v5
	v_cndmask_b32_e32 v3, 0, v5, vcc_lo
	s_delay_alu instid0(VALU_DEP_1) | instskip(NEXT) | instid1(VALU_DEP_1)
	v_and_or_b32 v1, 0x80000000, v1, v3
	v_cvt_i32_f32_e32 v1, v1
.LBB71_1459:
	s_mov_b32 s6, 0
.LBB71_1460:
	s_delay_alu instid0(SALU_CYCLE_1)
	s_and_not1_b32 vcc_lo, exec_lo, s6
	s_cbranch_vccnz .LBB71_1462
; %bb.1461:
	s_wait_loadcnt 0x0
	global_load_u8 v1, v[8:9], off
	s_wait_loadcnt 0x0
	v_lshlrev_b32_e32 v3, 25, v1
	v_lshlrev_b16 v1, 8, v1
	s_delay_alu instid0(VALU_DEP_1) | instskip(SKIP_1) | instid1(VALU_DEP_2)
	v_and_or_b32 v7, 0x7f00, v1, 0.5
	v_bfe_i32 v1, v1, 0, 16
	v_add_f32_e32 v7, -0.5, v7
	v_lshrrev_b32_e32 v5, 4, v3
	v_cmp_gt_u32_e32 vcc_lo, 0x8000000, v3
	s_delay_alu instid0(VALU_DEP_2) | instskip(NEXT) | instid1(VALU_DEP_1)
	v_or_b32_e32 v5, 0x70000000, v5
	v_mul_f32_e32 v5, 0x7800000, v5
	s_delay_alu instid0(VALU_DEP_1) | instskip(NEXT) | instid1(VALU_DEP_1)
	v_cndmask_b32_e32 v3, v5, v7, vcc_lo
	v_and_or_b32 v1, 0x80000000, v1, v3
	s_delay_alu instid0(VALU_DEP_1)
	v_cvt_i32_f32_e32 v1, v1
.LBB71_1462:
	s_mov_b32 s6, 0
	s_mov_b32 s18, -1
.LBB71_1463:
	s_and_not1_b32 vcc_lo, exec_lo, s6
	s_mov_b32 s7, 0
	s_cbranch_vccnz .LBB71_1474
; %bb.1464:
	s_cmp_gt_i32 s17, 14
	s_cbranch_scc0 .LBB71_1467
; %bb.1465:
	s_cmp_eq_u32 s17, 15
	s_cbranch_scc0 .LBB71_1470
; %bb.1466:
	s_wait_loadcnt 0x0
	global_load_u16 v1, v[8:9], off
	s_mov_b32 s0, 0
	s_mov_b32 s18, -1
	s_wait_loadcnt 0x0
	v_lshlrev_b32_e32 v1, 16, v1
	s_delay_alu instid0(VALU_DEP_1)
	v_cvt_i32_f32_e32 v1, v1
	s_branch .LBB71_1471
.LBB71_1467:
	s_mov_b32 s6, -1
                                        ; implicit-def: $vgpr1
	s_branch .LBB71_1472
.LBB71_1468:
	s_and_not1_saveexec_b32 s6, s6
	s_cbranch_execz .LBB71_1449
.LBB71_1469:
	v_cmp_ne_u16_e32 vcc_lo, 0, v3
	s_and_not1_b32 s7, s7, exec_lo
	s_and_b32 s18, vcc_lo, exec_lo
	s_delay_alu instid0(SALU_CYCLE_1)
	s_or_b32 s7, s7, s18
	s_or_b32 exec_lo, exec_lo, s6
	v_mov_b32_e32 v1, 0
	s_and_saveexec_b32 s6, s7
	s_cbranch_execnz .LBB71_1450
	s_branch .LBB71_1451
.LBB71_1470:
	s_mov_b32 s0, -1
                                        ; implicit-def: $vgpr1
.LBB71_1471:
	s_mov_b32 s6, 0
.LBB71_1472:
	s_delay_alu instid0(SALU_CYCLE_1)
	s_and_b32 vcc_lo, exec_lo, s6
	s_cbranch_vccz .LBB71_1474
; %bb.1473:
	s_cmp_lg_u32 s17, 11
	s_mov_b32 s7, -1
	s_cselect_b32 s0, -1, 0
.LBB71_1474:
	s_delay_alu instid0(SALU_CYCLE_1)
	s_and_b32 vcc_lo, exec_lo, s0
	s_mov_b32 s6, s14
	s_cbranch_vccnz .LBB71_1897
; %bb.1475:
	s_and_not1_b32 vcc_lo, exec_lo, s7
	s_cbranch_vccnz .LBB71_1477
.LBB71_1476:
	s_wait_loadcnt 0x0
	global_load_u8 v1, v[8:9], off
	s_mov_b32 s18, -1
	s_wait_loadcnt 0x0
	v_cmp_ne_u16_e32 vcc_lo, 0, v1
	v_cndmask_b32_e64 v1, 0, 1, vcc_lo
.LBB71_1477:
	s_mov_b32 s0, 0
.LBB71_1478:
	s_delay_alu instid0(SALU_CYCLE_1)
	s_and_b32 vcc_lo, exec_lo, s0
	s_cbranch_vccz .LBB71_1527
; %bb.1479:
	s_cmp_lt_i32 s17, 5
	s_cbranch_scc1 .LBB71_1484
; %bb.1480:
	s_cmp_lt_i32 s17, 8
	s_cbranch_scc1 .LBB71_1485
	;; [unrolled: 3-line block ×3, first 2 shown]
; %bb.1482:
	s_cmp_gt_i32 s17, 9
	s_cbranch_scc0 .LBB71_1487
; %bb.1483:
	global_load_b64 v[10:11], v[8:9], off
	s_mov_b32 s0, 0
	s_wait_loadcnt 0x0
	v_cvt_i32_f64_e32 v1, v[10:11]
	s_branch .LBB71_1488
.LBB71_1484:
	s_mov_b32 s0, -1
                                        ; implicit-def: $vgpr1
	s_branch .LBB71_1506
.LBB71_1485:
	s_mov_b32 s0, -1
                                        ; implicit-def: $vgpr1
	s_branch .LBB71_1494
.LBB71_1486:
	s_mov_b32 s0, -1
                                        ; implicit-def: $vgpr1
	s_branch .LBB71_1491
.LBB71_1487:
	s_mov_b32 s0, -1
                                        ; implicit-def: $vgpr1
.LBB71_1488:
	s_delay_alu instid0(SALU_CYCLE_1)
	s_and_not1_b32 vcc_lo, exec_lo, s0
	s_cbranch_vccnz .LBB71_1490
; %bb.1489:
	s_wait_loadcnt 0x0
	global_load_b32 v1, v[8:9], off
	s_wait_loadcnt 0x0
	v_cvt_i32_f32_e32 v1, v1
.LBB71_1490:
	s_mov_b32 s0, 0
.LBB71_1491:
	s_delay_alu instid0(SALU_CYCLE_1)
	s_and_not1_b32 vcc_lo, exec_lo, s0
	s_cbranch_vccnz .LBB71_1493
; %bb.1492:
	s_wait_loadcnt 0x0
	global_load_b32 v1, v[8:9], off
	s_wait_loadcnt 0x0
	v_cvt_f32_f16_e32 v1, v1
	s_delay_alu instid0(VALU_DEP_1)
	v_cvt_i32_f32_e32 v1, v1
.LBB71_1493:
	s_mov_b32 s0, 0
.LBB71_1494:
	s_delay_alu instid0(SALU_CYCLE_1)
	s_and_not1_b32 vcc_lo, exec_lo, s0
	s_cbranch_vccnz .LBB71_1505
; %bb.1495:
	s_cmp_lt_i32 s17, 6
	s_cbranch_scc1 .LBB71_1498
; %bb.1496:
	s_cmp_gt_i32 s17, 6
	s_cbranch_scc0 .LBB71_1499
; %bb.1497:
	global_load_b64 v[10:11], v[8:9], off
	s_mov_b32 s0, 0
	s_wait_loadcnt 0x0
	v_cvt_i32_f64_e32 v1, v[10:11]
	s_branch .LBB71_1500
.LBB71_1498:
	s_mov_b32 s0, -1
                                        ; implicit-def: $vgpr1
	s_branch .LBB71_1503
.LBB71_1499:
	s_mov_b32 s0, -1
                                        ; implicit-def: $vgpr1
.LBB71_1500:
	s_delay_alu instid0(SALU_CYCLE_1)
	s_and_not1_b32 vcc_lo, exec_lo, s0
	s_cbranch_vccnz .LBB71_1502
; %bb.1501:
	s_wait_loadcnt 0x0
	global_load_b32 v1, v[8:9], off
	s_wait_loadcnt 0x0
	v_cvt_i32_f32_e32 v1, v1
.LBB71_1502:
	s_mov_b32 s0, 0
.LBB71_1503:
	s_delay_alu instid0(SALU_CYCLE_1)
	s_and_not1_b32 vcc_lo, exec_lo, s0
	s_cbranch_vccnz .LBB71_1505
; %bb.1504:
	s_wait_loadcnt 0x0
	global_load_u16 v1, v[8:9], off
	s_wait_loadcnt 0x0
	v_cvt_f32_f16_e32 v1, v1
	s_delay_alu instid0(VALU_DEP_1)
	v_cvt_i32_f32_e32 v1, v1
.LBB71_1505:
	s_mov_b32 s0, 0
.LBB71_1506:
	s_delay_alu instid0(SALU_CYCLE_1)
	s_and_not1_b32 vcc_lo, exec_lo, s0
	s_cbranch_vccnz .LBB71_1526
; %bb.1507:
	s_cmp_lt_i32 s17, 2
	s_cbranch_scc1 .LBB71_1511
; %bb.1508:
	s_cmp_lt_i32 s17, 3
	s_cbranch_scc1 .LBB71_1512
; %bb.1509:
	s_cmp_gt_i32 s17, 3
	s_cbranch_scc0 .LBB71_1513
; %bb.1510:
	s_wait_loadcnt 0x0
	global_load_b32 v1, v[8:9], off
	s_mov_b32 s0, 0
	s_branch .LBB71_1514
.LBB71_1511:
	s_mov_b32 s0, -1
                                        ; implicit-def: $vgpr1
	s_branch .LBB71_1520
.LBB71_1512:
	s_mov_b32 s0, -1
                                        ; implicit-def: $vgpr1
	s_branch .LBB71_1517
.LBB71_1513:
	s_mov_b32 s0, -1
                                        ; implicit-def: $vgpr1
.LBB71_1514:
	s_delay_alu instid0(SALU_CYCLE_1)
	s_and_not1_b32 vcc_lo, exec_lo, s0
	s_cbranch_vccnz .LBB71_1516
; %bb.1515:
	s_wait_loadcnt 0x0
	global_load_b32 v1, v[8:9], off
.LBB71_1516:
	s_mov_b32 s0, 0
.LBB71_1517:
	s_delay_alu instid0(SALU_CYCLE_1)
	s_and_not1_b32 vcc_lo, exec_lo, s0
	s_cbranch_vccnz .LBB71_1519
; %bb.1518:
	s_wait_loadcnt 0x0
	global_load_i16 v1, v[8:9], off
.LBB71_1519:
	s_mov_b32 s0, 0
.LBB71_1520:
	s_delay_alu instid0(SALU_CYCLE_1)
	s_and_not1_b32 vcc_lo, exec_lo, s0
	s_cbranch_vccnz .LBB71_1526
; %bb.1521:
	s_cmp_gt_i32 s17, 0
	s_mov_b32 s0, 0
	s_cbranch_scc0 .LBB71_1523
; %bb.1522:
	s_wait_loadcnt 0x0
	global_load_i8 v1, v[8:9], off
	s_branch .LBB71_1524
.LBB71_1523:
	s_mov_b32 s0, -1
                                        ; implicit-def: $vgpr1
.LBB71_1524:
	s_delay_alu instid0(SALU_CYCLE_1)
	s_and_not1_b32 vcc_lo, exec_lo, s0
	s_cbranch_vccnz .LBB71_1526
; %bb.1525:
	s_wait_loadcnt 0x0
	global_load_u8 v1, v[8:9], off
.LBB71_1526:
	s_mov_b32 s18, -1
.LBB71_1527:
	s_delay_alu instid0(SALU_CYCLE_1)
	s_and_not1_b32 vcc_lo, exec_lo, s18
	s_cbranch_vccnz .LBB71_1578
; %bb.1528:
	s_wait_loadcnt 0x0
	s_delay_alu instid0(VALU_DEP_1) | instskip(SKIP_4) | instid1(SALU_CYCLE_1)
	v_cmp_gt_i32_e32 vcc_lo, s16, v1
	v_cmp_le_i32_e64 s0, s8, v1
	s_or_b32 s0, vcc_lo, s0
	s_wait_xcnt 0x0
	s_and_saveexec_b32 s7, s0
	s_xor_b32 s0, exec_lo, s7
	s_cbranch_execnz .LBB71_1905
.LBB71_1529:
	s_or_saveexec_b32 s7, s0
	s_mov_b32 s8, 0
	s_mov_b32 s16, 0
                                        ; implicit-def: $vgpr14_vgpr15
                                        ; implicit-def: $sgpr0
	s_xor_b32 exec_lo, exec_lo, s7
	s_cbranch_execz .LBB71_1846
; %bb.1530:
	s_load_b32 s0, s[2:3], 0x168
	v_mov_b32_e32 v7, 0
	s_delay_alu instid0(VALU_DEP_1) | instskip(SKIP_2) | instid1(SALU_CYCLE_1)
	v_add_nc_u64_e32 v[6:7], s[4:5], v[6:7]
	s_wait_kmcnt 0x0
	s_and_b32 s0, s0, 0xff
	s_cmp_lt_i32 s0, 11
	s_cbranch_scc1 .LBB71_1579
; %bb.1531:
	s_and_b32 s2, 0xffff, s0
	s_mov_b32 s17, -1
	s_cmp_gt_i32 s2, 25
	s_mov_b32 s3, 0
	s_cbranch_scc0 .LBB71_1556
; %bb.1532:
	s_cmp_gt_i32 s2, 28
	s_cbranch_scc0 .LBB71_1545
; %bb.1533:
	s_cmp_gt_i32 s2, 43
	;; [unrolled: 3-line block ×3, first 2 shown]
	s_cbranch_scc0 .LBB71_1537
; %bb.1535:
	s_mov_b32 s3, -1
	s_mov_b32 s17, 0
	s_cmp_eq_u32 s2, 46
	s_cbranch_scc0 .LBB71_1537
; %bb.1536:
	v_mov_b32_e32 v1, 0
	s_mov_b32 s3, 0
	s_mov_b32 s8, -1
	global_store_b32 v[6:7], v1, off
.LBB71_1537:
	s_and_b32 vcc_lo, exec_lo, s17
	s_cbranch_vccz .LBB71_1540
; %bb.1538:
	s_cmp_eq_u32 s2, 44
	s_mov_b32 s3, -1
	s_cbranch_scc0 .LBB71_1540
; %bb.1539:
	s_wait_xcnt 0x0
	v_mov_b32_e32 v1, 0
	s_mov_b32 s3, 0
	s_mov_b32 s8, -1
	global_store_b8 v[6:7], v1, off
.LBB71_1540:
	s_mov_b32 s17, 0
.LBB71_1541:
	s_delay_alu instid0(SALU_CYCLE_1)
	s_and_b32 vcc_lo, exec_lo, s17
	s_cbranch_vccz .LBB71_1544
; %bb.1542:
	s_cmp_eq_u32 s2, 29
	s_mov_b32 s3, -1
	s_cbranch_scc0 .LBB71_1544
; %bb.1543:
	v_mov_b64_e32 v[8:9], 0
	s_mov_b32 s3, 0
	s_mov_b32 s8, -1
	global_store_b64 v[6:7], v[8:9], off
.LBB71_1544:
	s_mov_b32 s17, 0
.LBB71_1545:
	s_delay_alu instid0(SALU_CYCLE_1)
	s_and_b32 vcc_lo, exec_lo, s17
	s_cbranch_vccz .LBB71_1555
; %bb.1546:
	s_cmp_lt_i32 s2, 27
	s_mov_b32 s8, -1
	s_cbranch_scc1 .LBB71_1552
; %bb.1547:
	s_cmp_gt_i32 s2, 27
	s_cbranch_scc0 .LBB71_1549
; %bb.1548:
	s_wait_xcnt 0x0
	v_mov_b32_e32 v1, 0
	s_mov_b32 s8, 0
	global_store_b32 v[6:7], v1, off
.LBB71_1549:
	s_and_not1_b32 vcc_lo, exec_lo, s8
	s_cbranch_vccnz .LBB71_1551
; %bb.1550:
	s_wait_xcnt 0x0
	v_mov_b32_e32 v1, 0
	global_store_b16 v[6:7], v1, off
.LBB71_1551:
	s_mov_b32 s8, 0
.LBB71_1552:
	s_delay_alu instid0(SALU_CYCLE_1)
	s_and_not1_b32 vcc_lo, exec_lo, s8
	s_cbranch_vccnz .LBB71_1554
; %bb.1553:
	s_wait_xcnt 0x0
	v_mov_b32_e32 v1, 0
	global_store_b8 v[6:7], v1, off
.LBB71_1554:
	s_mov_b32 s8, -1
.LBB71_1555:
	s_mov_b32 s17, 0
.LBB71_1556:
	s_delay_alu instid0(SALU_CYCLE_1)
	s_and_b32 vcc_lo, exec_lo, s17
	s_cbranch_vccz .LBB71_1574
; %bb.1557:
	s_cmp_gt_i32 s2, 22
	s_mov_b32 s16, -1
	s_cbranch_scc0 .LBB71_1567
; %bb.1558:
	s_cmp_lt_i32 s2, 24
	s_mov_b32 s8, -1
	s_cbranch_scc1 .LBB71_1564
; %bb.1559:
	s_cmp_gt_i32 s2, 24
	s_cbranch_scc0 .LBB71_1561
; %bb.1560:
	s_wait_xcnt 0x0
	v_mov_b32_e32 v1, 0
	s_mov_b32 s8, 0
	global_store_b8 v[6:7], v1, off
.LBB71_1561:
	s_and_not1_b32 vcc_lo, exec_lo, s8
	s_cbranch_vccnz .LBB71_1563
; %bb.1562:
	s_wait_xcnt 0x0
	v_mov_b32_e32 v1, 0
	global_store_b8 v[6:7], v1, off
.LBB71_1563:
	s_mov_b32 s8, 0
.LBB71_1564:
	s_delay_alu instid0(SALU_CYCLE_1)
	s_and_not1_b32 vcc_lo, exec_lo, s8
	s_cbranch_vccnz .LBB71_1566
; %bb.1565:
	s_wait_xcnt 0x0
	v_mov_b32_e32 v1, 0
	global_store_b8 v[6:7], v1, off
.LBB71_1566:
	s_mov_b32 s16, 0
	s_mov_b32 s8, -1
.LBB71_1567:
	s_and_not1_b32 vcc_lo, exec_lo, s16
	s_mov_b32 s16, 0
	s_cbranch_vccnz .LBB71_1574
; %bb.1568:
	s_cmp_gt_i32 s2, 14
	s_mov_b32 s16, -1
	s_cbranch_scc0 .LBB71_1572
; %bb.1569:
	s_cmp_eq_u32 s2, 15
	s_mov_b32 s3, -1
	s_cbranch_scc0 .LBB71_1571
; %bb.1570:
	s_wait_xcnt 0x0
	v_mov_b32_e32 v1, 0
	s_mov_b32 s3, 0
	s_mov_b32 s8, -1
	global_store_b16 v[6:7], v1, off
.LBB71_1571:
	s_mov_b32 s16, 0
.LBB71_1572:
	s_delay_alu instid0(SALU_CYCLE_1)
	s_and_b32 vcc_lo, exec_lo, s16
	s_mov_b32 s16, 0
	s_cbranch_vccz .LBB71_1574
; %bb.1573:
	s_cmp_lg_u32 s2, 11
	s_mov_b32 s16, -1
	s_cselect_b32 s3, -1, 0
.LBB71_1574:
	s_delay_alu instid0(SALU_CYCLE_1)
	s_and_b32 vcc_lo, exec_lo, s3
	s_mov_b32 s2, s6
	s_cbranch_vccnz .LBB71_1899
; %bb.1575:
	s_and_not1_b32 vcc_lo, exec_lo, s16
	s_cbranch_vccnz .LBB71_1577
.LBB71_1576:
	s_wait_xcnt 0x0
	v_mov_b32_e32 v1, 0
	s_mov_b32 s8, -1
	global_store_b8 v[6:7], v1, off
.LBB71_1577:
	s_mov_b32 s3, 0
	s_branch .LBB71_1580
.LBB71_1578:
	s_mov_b32 s8, 0
	s_mov_b32 s16, 0
                                        ; implicit-def: $vgpr14_vgpr15
                                        ; implicit-def: $sgpr0
	s_branch .LBB71_1847
.LBB71_1579:
	s_mov_b32 s3, -1
	s_mov_b32 s2, s6
.LBB71_1580:
	s_and_b32 vcc_lo, exec_lo, s3
	s_cbranch_vccz .LBB71_1619
; %bb.1581:
	s_and_b32 s3, 0xffff, s0
	s_mov_b32 s8, -1
	s_cmp_lt_i32 s3, 5
	s_cbranch_scc1 .LBB71_1602
; %bb.1582:
	s_cmp_lt_i32 s3, 8
	s_cbranch_scc1 .LBB71_1592
; %bb.1583:
	;; [unrolled: 3-line block ×3, first 2 shown]
	s_cmp_gt_i32 s3, 9
	s_cbranch_scc0 .LBB71_1586
; %bb.1585:
	s_wait_xcnt 0x0
	v_mov_b32_e32 v8, 0
	s_mov_b32 s8, 0
	s_delay_alu instid0(VALU_DEP_1)
	v_dual_mov_b32 v9, v8 :: v_dual_mov_b32 v10, v8
	v_mov_b32_e32 v11, v8
	global_store_b128 v[6:7], v[8:11], off
.LBB71_1586:
	s_and_not1_b32 vcc_lo, exec_lo, s8
	s_cbranch_vccnz .LBB71_1588
; %bb.1587:
	s_wait_xcnt 0x0
	v_mov_b64_e32 v[8:9], 0
	global_store_b64 v[6:7], v[8:9], off
.LBB71_1588:
	s_mov_b32 s8, 0
.LBB71_1589:
	s_delay_alu instid0(SALU_CYCLE_1)
	s_and_not1_b32 vcc_lo, exec_lo, s8
	s_cbranch_vccnz .LBB71_1591
; %bb.1590:
	s_wait_xcnt 0x0
	v_mov_b32_e32 v1, 0
	global_store_b32 v[6:7], v1, off
.LBB71_1591:
	s_mov_b32 s8, 0
.LBB71_1592:
	s_delay_alu instid0(SALU_CYCLE_1)
	s_and_not1_b32 vcc_lo, exec_lo, s8
	s_cbranch_vccnz .LBB71_1601
; %bb.1593:
	s_cmp_lt_i32 s3, 6
	s_mov_b32 s8, -1
	s_cbranch_scc1 .LBB71_1599
; %bb.1594:
	s_cmp_gt_i32 s3, 6
	s_cbranch_scc0 .LBB71_1596
; %bb.1595:
	s_wait_xcnt 0x0
	v_mov_b64_e32 v[8:9], 0
	s_mov_b32 s8, 0
	global_store_b64 v[6:7], v[8:9], off
.LBB71_1596:
	s_and_not1_b32 vcc_lo, exec_lo, s8
	s_cbranch_vccnz .LBB71_1598
; %bb.1597:
	s_wait_xcnt 0x0
	v_mov_b32_e32 v1, 0
	global_store_b32 v[6:7], v1, off
.LBB71_1598:
	s_mov_b32 s8, 0
.LBB71_1599:
	s_delay_alu instid0(SALU_CYCLE_1)
	s_and_not1_b32 vcc_lo, exec_lo, s8
	s_cbranch_vccnz .LBB71_1601
; %bb.1600:
	s_wait_xcnt 0x0
	v_mov_b32_e32 v1, 0
	global_store_b16 v[6:7], v1, off
.LBB71_1601:
	s_mov_b32 s8, 0
.LBB71_1602:
	s_delay_alu instid0(SALU_CYCLE_1)
	s_and_not1_b32 vcc_lo, exec_lo, s8
	s_cbranch_vccnz .LBB71_1618
; %bb.1603:
	s_cmp_lt_i32 s3, 2
	s_mov_b32 s8, -1
	s_cbranch_scc1 .LBB71_1613
; %bb.1604:
	s_cmp_lt_i32 s3, 3
	s_cbranch_scc1 .LBB71_1610
; %bb.1605:
	s_cmp_gt_i32 s3, 3
	s_cbranch_scc0 .LBB71_1607
; %bb.1606:
	s_wait_xcnt 0x0
	v_mov_b64_e32 v[8:9], 0
	s_mov_b32 s8, 0
	global_store_b64 v[6:7], v[8:9], off
.LBB71_1607:
	s_and_not1_b32 vcc_lo, exec_lo, s8
	s_cbranch_vccnz .LBB71_1609
; %bb.1608:
	s_wait_xcnt 0x0
	v_mov_b32_e32 v1, 0
	global_store_b32 v[6:7], v1, off
.LBB71_1609:
	s_mov_b32 s8, 0
.LBB71_1610:
	s_delay_alu instid0(SALU_CYCLE_1)
	s_and_not1_b32 vcc_lo, exec_lo, s8
	s_cbranch_vccnz .LBB71_1612
; %bb.1611:
	s_wait_xcnt 0x0
	v_mov_b32_e32 v1, 0
	global_store_b16 v[6:7], v1, off
.LBB71_1612:
	s_mov_b32 s8, 0
.LBB71_1613:
	s_delay_alu instid0(SALU_CYCLE_1)
	s_and_not1_b32 vcc_lo, exec_lo, s8
	s_cbranch_vccnz .LBB71_1618
; %bb.1614:
	s_cmp_gt_i32 s3, 0
	s_mov_b32 s3, -1
	s_cbranch_scc0 .LBB71_1616
; %bb.1615:
	s_wait_xcnt 0x0
	v_mov_b32_e32 v1, 0
	s_mov_b32 s3, 0
	global_store_b8 v[6:7], v1, off
.LBB71_1616:
	s_and_not1_b32 vcc_lo, exec_lo, s3
	s_cbranch_vccnz .LBB71_1618
; %bb.1617:
	s_wait_xcnt 0x0
	v_mov_b32_e32 v1, 0
	global_store_b8 v[6:7], v1, off
.LBB71_1618:
	s_mov_b32 s8, -1
.LBB71_1619:
	s_delay_alu instid0(SALU_CYCLE_1)
	s_and_not1_b32 vcc_lo, exec_lo, s8
	s_cbranch_vccnz .LBB71_1844
; %bb.1620:
	v_mov_b32_e32 v5, 0
	s_and_b32 s3, 0xffff, s0
	s_delay_alu instid0(SALU_CYCLE_1) | instskip(NEXT) | instid1(VALU_DEP_1)
	s_cmp_lt_i32 s3, 11
	v_add_nc_u64_e32 v[4:5], s[4:5], v[4:5]
	s_cbranch_scc1 .LBB71_1668
; %bb.1621:
	s_mov_b32 s18, -1
	s_mov_b32 s17, 0
	s_cmp_gt_i32 s3, 25
	s_mov_b32 s16, 0
	s_mov_b32 s8, 0
	s_cbranch_scc0 .LBB71_1646
; %bb.1622:
	s_cmp_gt_i32 s3, 28
	s_cbranch_scc0 .LBB71_1635
; %bb.1623:
	s_cmp_gt_i32 s3, 43
	;; [unrolled: 3-line block ×3, first 2 shown]
	s_cbranch_scc0 .LBB71_1627
; %bb.1625:
	s_mov_b32 s8, -1
	s_mov_b32 s18, 0
	s_cmp_eq_u32 s3, 46
	s_cbranch_scc0 .LBB71_1627
; %bb.1626:
	s_wait_xcnt 0x0
	v_mov_b32_e32 v1, 0
	s_mov_b32 s8, 0
	s_mov_b32 s16, -1
	global_store_b32 v[4:5], v1, off
.LBB71_1627:
	s_and_b32 vcc_lo, exec_lo, s18
	s_cbranch_vccz .LBB71_1630
; %bb.1628:
	s_cmp_eq_u32 s3, 44
	s_mov_b32 s8, -1
	s_cbranch_scc0 .LBB71_1630
; %bb.1629:
	s_wait_xcnt 0x0
	v_mov_b32_e32 v1, 0
	s_mov_b32 s8, 0
	s_mov_b32 s16, -1
	global_store_b8 v[4:5], v1, off
.LBB71_1630:
	s_mov_b32 s18, 0
.LBB71_1631:
	s_delay_alu instid0(SALU_CYCLE_1)
	s_and_b32 vcc_lo, exec_lo, s18
	s_cbranch_vccz .LBB71_1634
; %bb.1632:
	s_cmp_eq_u32 s3, 29
	s_mov_b32 s8, -1
	s_cbranch_scc0 .LBB71_1634
; %bb.1633:
	s_wait_xcnt 0x0
	v_mov_b64_e32 v[6:7], 0
	s_mov_b32 s8, 0
	s_mov_b32 s16, -1
	global_store_b64 v[4:5], v[6:7], off
.LBB71_1634:
	s_mov_b32 s18, 0
.LBB71_1635:
	s_delay_alu instid0(SALU_CYCLE_1)
	s_and_b32 vcc_lo, exec_lo, s18
	s_cbranch_vccz .LBB71_1645
; %bb.1636:
	s_cmp_lt_i32 s3, 27
	s_mov_b32 s16, -1
	s_cbranch_scc1 .LBB71_1642
; %bb.1637:
	s_cmp_gt_i32 s3, 27
	s_cbranch_scc0 .LBB71_1639
; %bb.1638:
	s_wait_xcnt 0x0
	v_mov_b32_e32 v1, 0
	s_mov_b32 s16, 0
	global_store_b32 v[4:5], v1, off
.LBB71_1639:
	s_and_not1_b32 vcc_lo, exec_lo, s16
	s_cbranch_vccnz .LBB71_1641
; %bb.1640:
	s_wait_xcnt 0x0
	v_mov_b32_e32 v1, 0
	global_store_b16 v[4:5], v1, off
.LBB71_1641:
	s_mov_b32 s16, 0
.LBB71_1642:
	s_delay_alu instid0(SALU_CYCLE_1)
	s_and_not1_b32 vcc_lo, exec_lo, s16
	s_cbranch_vccnz .LBB71_1644
; %bb.1643:
	s_wait_xcnt 0x0
	v_mov_b32_e32 v1, 0
	global_store_b8 v[4:5], v1, off
.LBB71_1644:
	s_mov_b32 s16, -1
.LBB71_1645:
	s_mov_b32 s18, 0
.LBB71_1646:
	s_delay_alu instid0(SALU_CYCLE_1)
	s_and_b32 vcc_lo, exec_lo, s18
	s_cbranch_vccz .LBB71_1664
; %bb.1647:
	s_cmp_gt_i32 s3, 22
	s_mov_b32 s17, -1
	s_cbranch_scc0 .LBB71_1657
; %bb.1648:
	s_cmp_lt_i32 s3, 24
	s_mov_b32 s16, -1
	s_cbranch_scc1 .LBB71_1654
; %bb.1649:
	s_cmp_gt_i32 s3, 24
	s_cbranch_scc0 .LBB71_1651
; %bb.1650:
	s_wait_xcnt 0x0
	v_mov_b32_e32 v1, 0
	s_mov_b32 s16, 0
	global_store_b8 v[4:5], v1, off
.LBB71_1651:
	s_and_not1_b32 vcc_lo, exec_lo, s16
	s_cbranch_vccnz .LBB71_1653
; %bb.1652:
	s_wait_xcnt 0x0
	v_mov_b32_e32 v1, 0
	global_store_b8 v[4:5], v1, off
.LBB71_1653:
	s_mov_b32 s16, 0
.LBB71_1654:
	s_delay_alu instid0(SALU_CYCLE_1)
	s_and_not1_b32 vcc_lo, exec_lo, s16
	s_cbranch_vccnz .LBB71_1656
; %bb.1655:
	s_wait_xcnt 0x0
	v_mov_b32_e32 v1, 0
	global_store_b8 v[4:5], v1, off
.LBB71_1656:
	s_mov_b32 s17, 0
	s_mov_b32 s16, -1
.LBB71_1657:
	s_and_not1_b32 vcc_lo, exec_lo, s17
	s_mov_b32 s17, 0
	s_cbranch_vccnz .LBB71_1664
; %bb.1658:
	s_cmp_gt_i32 s3, 14
	s_mov_b32 s17, -1
	s_cbranch_scc0 .LBB71_1662
; %bb.1659:
	s_cmp_eq_u32 s3, 15
	s_mov_b32 s8, -1
	s_cbranch_scc0 .LBB71_1661
; %bb.1660:
	s_wait_xcnt 0x0
	v_mov_b32_e32 v1, 0
	s_mov_b32 s8, 0
	s_mov_b32 s16, -1
	global_store_b16 v[4:5], v1, off
.LBB71_1661:
	s_mov_b32 s17, 0
.LBB71_1662:
	s_delay_alu instid0(SALU_CYCLE_1)
	s_and_b32 vcc_lo, exec_lo, s17
	s_mov_b32 s17, 0
	s_cbranch_vccz .LBB71_1664
; %bb.1663:
	s_cmp_lg_u32 s3, 11
	s_mov_b32 s17, -1
	s_cselect_b32 s8, -1, 0
.LBB71_1664:
	s_delay_alu instid0(SALU_CYCLE_1)
	s_and_b32 vcc_lo, exec_lo, s8
	s_cbranch_vccnz .LBB71_1901
; %bb.1665:
	s_and_not1_b32 vcc_lo, exec_lo, s17
	s_cbranch_vccnz .LBB71_1667
.LBB71_1666:
	s_wait_xcnt 0x0
	v_mov_b32_e32 v1, 0
	s_mov_b32 s16, -1
	global_store_b8 v[4:5], v1, off
.LBB71_1667:
	s_mov_b32 s8, 0
	s_branch .LBB71_1669
.LBB71_1668:
	s_mov_b32 s8, -1
	s_mov_b32 s16, 0
.LBB71_1669:
	s_and_b32 vcc_lo, exec_lo, s8
	s_cbranch_vccz .LBB71_1708
; %bb.1670:
	s_cmp_lt_i32 s3, 5
	s_mov_b32 s8, -1
	s_cbranch_scc1 .LBB71_1691
; %bb.1671:
	s_cmp_lt_i32 s3, 8
	s_cbranch_scc1 .LBB71_1681
; %bb.1672:
	s_cmp_lt_i32 s3, 9
	s_cbranch_scc1 .LBB71_1678
; %bb.1673:
	s_cmp_gt_i32 s3, 9
	s_cbranch_scc0 .LBB71_1675
; %bb.1674:
	s_wait_xcnt 0x0
	v_mov_b32_e32 v6, 0
	s_mov_b32 s8, 0
	s_delay_alu instid0(VALU_DEP_1)
	v_dual_mov_b32 v7, v6 :: v_dual_mov_b32 v8, v6
	v_mov_b32_e32 v9, v6
	global_store_b128 v[4:5], v[6:9], off
.LBB71_1675:
	s_and_not1_b32 vcc_lo, exec_lo, s8
	s_cbranch_vccnz .LBB71_1677
; %bb.1676:
	s_wait_xcnt 0x0
	v_mov_b64_e32 v[6:7], 0
	global_store_b64 v[4:5], v[6:7], off
.LBB71_1677:
	s_mov_b32 s8, 0
.LBB71_1678:
	s_delay_alu instid0(SALU_CYCLE_1)
	s_and_not1_b32 vcc_lo, exec_lo, s8
	s_cbranch_vccnz .LBB71_1680
; %bb.1679:
	s_wait_xcnt 0x0
	v_mov_b32_e32 v1, 0
	global_store_b32 v[4:5], v1, off
.LBB71_1680:
	s_mov_b32 s8, 0
.LBB71_1681:
	s_delay_alu instid0(SALU_CYCLE_1)
	s_and_not1_b32 vcc_lo, exec_lo, s8
	s_cbranch_vccnz .LBB71_1690
; %bb.1682:
	s_cmp_lt_i32 s3, 6
	s_mov_b32 s8, -1
	s_cbranch_scc1 .LBB71_1688
; %bb.1683:
	s_cmp_gt_i32 s3, 6
	s_cbranch_scc0 .LBB71_1685
; %bb.1684:
	s_wait_xcnt 0x0
	v_mov_b64_e32 v[6:7], 0
	s_mov_b32 s8, 0
	global_store_b64 v[4:5], v[6:7], off
.LBB71_1685:
	s_and_not1_b32 vcc_lo, exec_lo, s8
	s_cbranch_vccnz .LBB71_1687
; %bb.1686:
	s_wait_xcnt 0x0
	v_mov_b32_e32 v1, 0
	global_store_b32 v[4:5], v1, off
.LBB71_1687:
	s_mov_b32 s8, 0
.LBB71_1688:
	s_delay_alu instid0(SALU_CYCLE_1)
	s_and_not1_b32 vcc_lo, exec_lo, s8
	s_cbranch_vccnz .LBB71_1690
; %bb.1689:
	s_wait_xcnt 0x0
	v_mov_b32_e32 v1, 0
	global_store_b16 v[4:5], v1, off
.LBB71_1690:
	s_mov_b32 s8, 0
.LBB71_1691:
	s_delay_alu instid0(SALU_CYCLE_1)
	s_and_not1_b32 vcc_lo, exec_lo, s8
	s_cbranch_vccnz .LBB71_1707
; %bb.1692:
	s_cmp_lt_i32 s3, 2
	s_mov_b32 s8, -1
	s_cbranch_scc1 .LBB71_1702
; %bb.1693:
	s_cmp_lt_i32 s3, 3
	s_cbranch_scc1 .LBB71_1699
; %bb.1694:
	s_cmp_gt_i32 s3, 3
	s_cbranch_scc0 .LBB71_1696
; %bb.1695:
	s_wait_xcnt 0x0
	v_mov_b64_e32 v[6:7], 0
	s_mov_b32 s8, 0
	global_store_b64 v[4:5], v[6:7], off
.LBB71_1696:
	s_and_not1_b32 vcc_lo, exec_lo, s8
	s_cbranch_vccnz .LBB71_1698
; %bb.1697:
	s_wait_xcnt 0x0
	v_mov_b32_e32 v1, 0
	global_store_b32 v[4:5], v1, off
.LBB71_1698:
	s_mov_b32 s8, 0
.LBB71_1699:
	s_delay_alu instid0(SALU_CYCLE_1)
	s_and_not1_b32 vcc_lo, exec_lo, s8
	s_cbranch_vccnz .LBB71_1701
; %bb.1700:
	s_wait_xcnt 0x0
	v_mov_b32_e32 v1, 0
	global_store_b16 v[4:5], v1, off
.LBB71_1701:
	s_mov_b32 s8, 0
.LBB71_1702:
	s_delay_alu instid0(SALU_CYCLE_1)
	s_and_not1_b32 vcc_lo, exec_lo, s8
	s_cbranch_vccnz .LBB71_1707
; %bb.1703:
	s_cmp_gt_i32 s3, 0
	s_mov_b32 s8, -1
	s_cbranch_scc0 .LBB71_1705
; %bb.1704:
	s_wait_xcnt 0x0
	v_mov_b32_e32 v1, 0
	s_mov_b32 s8, 0
	global_store_b8 v[4:5], v1, off
.LBB71_1705:
	s_and_not1_b32 vcc_lo, exec_lo, s8
	s_cbranch_vccnz .LBB71_1707
; %bb.1706:
	s_wait_xcnt 0x0
	v_mov_b32_e32 v1, 0
	global_store_b8 v[4:5], v1, off
.LBB71_1707:
	s_mov_b32 s16, -1
.LBB71_1708:
	s_delay_alu instid0(SALU_CYCLE_1)
	s_and_not1_b32 vcc_lo, exec_lo, s16
	s_cbranch_vccnz .LBB71_1844
; %bb.1709:
	v_mov_b32_e32 v3, 0
	s_cmp_lt_i32 s3, 11
	s_delay_alu instid0(VALU_DEP_1)
	v_add_nc_u64_e32 v[2:3], s[4:5], v[2:3]
	s_cbranch_scc1 .LBB71_1757
; %bb.1710:
	s_mov_b32 s18, -1
	s_mov_b32 s17, 0
	s_cmp_gt_i32 s3, 25
	s_mov_b32 s16, 0
	s_mov_b32 s8, 0
	s_cbranch_scc0 .LBB71_1735
; %bb.1711:
	s_cmp_gt_i32 s3, 28
	s_cbranch_scc0 .LBB71_1724
; %bb.1712:
	s_cmp_gt_i32 s3, 43
	;; [unrolled: 3-line block ×3, first 2 shown]
	s_cbranch_scc0 .LBB71_1716
; %bb.1714:
	s_mov_b32 s8, -1
	s_mov_b32 s18, 0
	s_cmp_eq_u32 s3, 46
	s_cbranch_scc0 .LBB71_1716
; %bb.1715:
	s_wait_xcnt 0x0
	v_mov_b32_e32 v1, 0
	s_mov_b32 s8, 0
	s_mov_b32 s16, -1
	global_store_b32 v[2:3], v1, off
.LBB71_1716:
	s_and_b32 vcc_lo, exec_lo, s18
	s_cbranch_vccz .LBB71_1719
; %bb.1717:
	s_cmp_eq_u32 s3, 44
	s_mov_b32 s8, -1
	s_cbranch_scc0 .LBB71_1719
; %bb.1718:
	s_wait_xcnt 0x0
	v_mov_b32_e32 v1, 0
	s_mov_b32 s8, 0
	s_mov_b32 s16, -1
	global_store_b8 v[2:3], v1, off
.LBB71_1719:
	s_mov_b32 s18, 0
.LBB71_1720:
	s_delay_alu instid0(SALU_CYCLE_1)
	s_and_b32 vcc_lo, exec_lo, s18
	s_cbranch_vccz .LBB71_1723
; %bb.1721:
	s_cmp_eq_u32 s3, 29
	s_mov_b32 s8, -1
	s_cbranch_scc0 .LBB71_1723
; %bb.1722:
	s_wait_xcnt 0x0
	v_mov_b64_e32 v[4:5], 0
	s_mov_b32 s8, 0
	s_mov_b32 s16, -1
	global_store_b64 v[2:3], v[4:5], off
.LBB71_1723:
	s_mov_b32 s18, 0
.LBB71_1724:
	s_delay_alu instid0(SALU_CYCLE_1)
	s_and_b32 vcc_lo, exec_lo, s18
	s_cbranch_vccz .LBB71_1734
; %bb.1725:
	s_cmp_lt_i32 s3, 27
	s_mov_b32 s16, -1
	s_cbranch_scc1 .LBB71_1731
; %bb.1726:
	s_cmp_gt_i32 s3, 27
	s_cbranch_scc0 .LBB71_1728
; %bb.1727:
	s_wait_xcnt 0x0
	v_mov_b32_e32 v1, 0
	s_mov_b32 s16, 0
	global_store_b32 v[2:3], v1, off
.LBB71_1728:
	s_and_not1_b32 vcc_lo, exec_lo, s16
	s_cbranch_vccnz .LBB71_1730
; %bb.1729:
	s_wait_xcnt 0x0
	v_mov_b32_e32 v1, 0
	global_store_b16 v[2:3], v1, off
.LBB71_1730:
	s_mov_b32 s16, 0
.LBB71_1731:
	s_delay_alu instid0(SALU_CYCLE_1)
	s_and_not1_b32 vcc_lo, exec_lo, s16
	s_cbranch_vccnz .LBB71_1733
; %bb.1732:
	s_wait_xcnt 0x0
	v_mov_b32_e32 v1, 0
	global_store_b8 v[2:3], v1, off
.LBB71_1733:
	s_mov_b32 s16, -1
.LBB71_1734:
	s_mov_b32 s18, 0
.LBB71_1735:
	s_delay_alu instid0(SALU_CYCLE_1)
	s_and_b32 vcc_lo, exec_lo, s18
	s_cbranch_vccz .LBB71_1753
; %bb.1736:
	s_cmp_gt_i32 s3, 22
	s_mov_b32 s17, -1
	s_cbranch_scc0 .LBB71_1746
; %bb.1737:
	s_cmp_lt_i32 s3, 24
	s_mov_b32 s16, -1
	s_cbranch_scc1 .LBB71_1743
; %bb.1738:
	s_cmp_gt_i32 s3, 24
	s_cbranch_scc0 .LBB71_1740
; %bb.1739:
	s_wait_xcnt 0x0
	v_mov_b32_e32 v1, 0
	s_mov_b32 s16, 0
	global_store_b8 v[2:3], v1, off
.LBB71_1740:
	s_and_not1_b32 vcc_lo, exec_lo, s16
	s_cbranch_vccnz .LBB71_1742
; %bb.1741:
	s_wait_xcnt 0x0
	v_mov_b32_e32 v1, 0
	global_store_b8 v[2:3], v1, off
.LBB71_1742:
	s_mov_b32 s16, 0
.LBB71_1743:
	s_delay_alu instid0(SALU_CYCLE_1)
	s_and_not1_b32 vcc_lo, exec_lo, s16
	s_cbranch_vccnz .LBB71_1745
; %bb.1744:
	s_wait_xcnt 0x0
	v_mov_b32_e32 v1, 0
	global_store_b8 v[2:3], v1, off
.LBB71_1745:
	s_mov_b32 s17, 0
	s_mov_b32 s16, -1
.LBB71_1746:
	s_and_not1_b32 vcc_lo, exec_lo, s17
	s_mov_b32 s17, 0
	s_cbranch_vccnz .LBB71_1753
; %bb.1747:
	s_cmp_gt_i32 s3, 14
	s_mov_b32 s17, -1
	s_cbranch_scc0 .LBB71_1751
; %bb.1748:
	s_cmp_eq_u32 s3, 15
	s_mov_b32 s8, -1
	s_cbranch_scc0 .LBB71_1750
; %bb.1749:
	s_wait_xcnt 0x0
	v_mov_b32_e32 v1, 0
	s_mov_b32 s8, 0
	s_mov_b32 s16, -1
	global_store_b16 v[2:3], v1, off
.LBB71_1750:
	s_mov_b32 s17, 0
.LBB71_1751:
	s_delay_alu instid0(SALU_CYCLE_1)
	s_and_b32 vcc_lo, exec_lo, s17
	s_mov_b32 s17, 0
	s_cbranch_vccz .LBB71_1753
; %bb.1752:
	s_cmp_lg_u32 s3, 11
	s_mov_b32 s17, -1
	s_cselect_b32 s8, -1, 0
.LBB71_1753:
	s_delay_alu instid0(SALU_CYCLE_1)
	s_and_b32 vcc_lo, exec_lo, s8
	s_cbranch_vccnz .LBB71_1902
; %bb.1754:
	s_and_not1_b32 vcc_lo, exec_lo, s17
	s_cbranch_vccnz .LBB71_1756
.LBB71_1755:
	s_wait_xcnt 0x0
	v_mov_b32_e32 v1, 0
	s_mov_b32 s16, -1
	global_store_b8 v[2:3], v1, off
.LBB71_1756:
	s_mov_b32 s8, 0
	s_branch .LBB71_1758
.LBB71_1757:
	s_mov_b32 s8, -1
	s_mov_b32 s16, 0
.LBB71_1758:
	s_and_b32 vcc_lo, exec_lo, s8
	s_cbranch_vccz .LBB71_1797
; %bb.1759:
	s_cmp_lt_i32 s3, 5
	s_mov_b32 s8, -1
	s_cbranch_scc1 .LBB71_1780
; %bb.1760:
	s_cmp_lt_i32 s3, 8
	s_cbranch_scc1 .LBB71_1770
; %bb.1761:
	s_cmp_lt_i32 s3, 9
	s_cbranch_scc1 .LBB71_1767
; %bb.1762:
	s_cmp_gt_i32 s3, 9
	s_cbranch_scc0 .LBB71_1764
; %bb.1763:
	s_wait_xcnt 0x0
	v_mov_b32_e32 v4, 0
	s_mov_b32 s8, 0
	s_delay_alu instid0(VALU_DEP_1)
	v_dual_mov_b32 v5, v4 :: v_dual_mov_b32 v6, v4
	v_mov_b32_e32 v7, v4
	global_store_b128 v[2:3], v[4:7], off
.LBB71_1764:
	s_and_not1_b32 vcc_lo, exec_lo, s8
	s_cbranch_vccnz .LBB71_1766
; %bb.1765:
	s_wait_xcnt 0x0
	v_mov_b64_e32 v[4:5], 0
	global_store_b64 v[2:3], v[4:5], off
.LBB71_1766:
	s_mov_b32 s8, 0
.LBB71_1767:
	s_delay_alu instid0(SALU_CYCLE_1)
	s_and_not1_b32 vcc_lo, exec_lo, s8
	s_cbranch_vccnz .LBB71_1769
; %bb.1768:
	s_wait_xcnt 0x0
	v_mov_b32_e32 v1, 0
	global_store_b32 v[2:3], v1, off
.LBB71_1769:
	s_mov_b32 s8, 0
.LBB71_1770:
	s_delay_alu instid0(SALU_CYCLE_1)
	s_and_not1_b32 vcc_lo, exec_lo, s8
	s_cbranch_vccnz .LBB71_1779
; %bb.1771:
	s_cmp_lt_i32 s3, 6
	s_mov_b32 s8, -1
	s_cbranch_scc1 .LBB71_1777
; %bb.1772:
	s_cmp_gt_i32 s3, 6
	s_cbranch_scc0 .LBB71_1774
; %bb.1773:
	s_wait_xcnt 0x0
	v_mov_b64_e32 v[4:5], 0
	s_mov_b32 s8, 0
	global_store_b64 v[2:3], v[4:5], off
.LBB71_1774:
	s_and_not1_b32 vcc_lo, exec_lo, s8
	s_cbranch_vccnz .LBB71_1776
; %bb.1775:
	s_wait_xcnt 0x0
	v_mov_b32_e32 v1, 0
	global_store_b32 v[2:3], v1, off
.LBB71_1776:
	s_mov_b32 s8, 0
.LBB71_1777:
	s_delay_alu instid0(SALU_CYCLE_1)
	s_and_not1_b32 vcc_lo, exec_lo, s8
	s_cbranch_vccnz .LBB71_1779
; %bb.1778:
	s_wait_xcnt 0x0
	v_mov_b32_e32 v1, 0
	global_store_b16 v[2:3], v1, off
.LBB71_1779:
	s_mov_b32 s8, 0
.LBB71_1780:
	s_delay_alu instid0(SALU_CYCLE_1)
	s_and_not1_b32 vcc_lo, exec_lo, s8
	s_cbranch_vccnz .LBB71_1796
; %bb.1781:
	s_cmp_lt_i32 s3, 2
	s_mov_b32 s8, -1
	s_cbranch_scc1 .LBB71_1791
; %bb.1782:
	s_cmp_lt_i32 s3, 3
	s_cbranch_scc1 .LBB71_1788
; %bb.1783:
	s_cmp_gt_i32 s3, 3
	s_cbranch_scc0 .LBB71_1785
; %bb.1784:
	s_wait_xcnt 0x0
	v_mov_b64_e32 v[4:5], 0
	s_mov_b32 s8, 0
	global_store_b64 v[2:3], v[4:5], off
.LBB71_1785:
	s_and_not1_b32 vcc_lo, exec_lo, s8
	s_cbranch_vccnz .LBB71_1787
; %bb.1786:
	s_wait_xcnt 0x0
	v_mov_b32_e32 v1, 0
	global_store_b32 v[2:3], v1, off
.LBB71_1787:
	s_mov_b32 s8, 0
.LBB71_1788:
	s_delay_alu instid0(SALU_CYCLE_1)
	s_and_not1_b32 vcc_lo, exec_lo, s8
	s_cbranch_vccnz .LBB71_1790
; %bb.1789:
	s_wait_xcnt 0x0
	v_mov_b32_e32 v1, 0
	global_store_b16 v[2:3], v1, off
.LBB71_1790:
	s_mov_b32 s8, 0
.LBB71_1791:
	s_delay_alu instid0(SALU_CYCLE_1)
	s_and_not1_b32 vcc_lo, exec_lo, s8
	s_cbranch_vccnz .LBB71_1796
; %bb.1792:
	s_cmp_gt_i32 s3, 0
	s_mov_b32 s8, -1
	s_cbranch_scc0 .LBB71_1794
; %bb.1793:
	s_wait_xcnt 0x0
	v_mov_b32_e32 v1, 0
	s_mov_b32 s8, 0
	global_store_b8 v[2:3], v1, off
.LBB71_1794:
	s_and_not1_b32 vcc_lo, exec_lo, s8
	s_cbranch_vccnz .LBB71_1796
; %bb.1795:
	s_wait_xcnt 0x0
	v_mov_b32_e32 v1, 0
	global_store_b8 v[2:3], v1, off
.LBB71_1796:
	s_mov_b32 s16, -1
.LBB71_1797:
	s_delay_alu instid0(SALU_CYCLE_1)
	s_and_not1_b32 vcc_lo, exec_lo, s16
	s_cbranch_vccnz .LBB71_1844
; %bb.1798:
	s_wait_xcnt 0x0
	v_mov_b32_e32 v1, 0
	s_cmp_lt_i32 s3, 11
	s_delay_alu instid0(VALU_DEP_1)
	v_add_nc_u64_e32 v[14:15], s[4:5], v[0:1]
	s_cbranch_scc1 .LBB71_1898
; %bb.1799:
	s_mov_b32 s8, -1
	s_mov_b32 s4, 0
	s_cmp_gt_i32 s3, 25
	s_mov_b32 s5, 0
	s_cbranch_scc0 .LBB71_1824
; %bb.1800:
	s_cmp_gt_i32 s3, 28
	s_cbranch_scc0 .LBB71_1814
; %bb.1801:
	s_cmp_gt_i32 s3, 43
	;; [unrolled: 3-line block ×3, first 2 shown]
	s_cbranch_scc0 .LBB71_1806
; %bb.1803:
	s_cmp_eq_u32 s3, 46
	s_mov_b32 s5, -1
	s_cbranch_scc0 .LBB71_1805
; %bb.1804:
	v_mov_b32_e32 v0, 0
	s_mov_b32 s5, 0
	global_store_b32 v[14:15], v0, off
.LBB71_1805:
	s_mov_b32 s8, 0
.LBB71_1806:
	s_delay_alu instid0(SALU_CYCLE_1)
	s_and_b32 vcc_lo, exec_lo, s8
	s_cbranch_vccz .LBB71_1809
; %bb.1807:
	s_cmp_eq_u32 s3, 44
	s_mov_b32 s5, -1
	s_cbranch_scc0 .LBB71_1809
; %bb.1808:
	s_wait_xcnt 0x0
	v_mov_b32_e32 v0, 0
	s_mov_b32 s5, 0
	global_store_b8 v[14:15], v0, off
.LBB71_1809:
	s_mov_b32 s8, 0
.LBB71_1810:
	s_delay_alu instid0(SALU_CYCLE_1)
	s_and_b32 vcc_lo, exec_lo, s8
	s_cbranch_vccz .LBB71_1813
; %bb.1811:
	s_cmp_eq_u32 s3, 29
	s_mov_b32 s5, -1
	s_cbranch_scc0 .LBB71_1813
; %bb.1812:
	s_wait_xcnt 0x0
	v_mov_b64_e32 v[0:1], 0
	s_mov_b32 s5, 0
	global_store_b64 v[14:15], v[0:1], off
.LBB71_1813:
	s_mov_b32 s8, 0
.LBB71_1814:
	s_delay_alu instid0(SALU_CYCLE_1)
	s_and_b32 vcc_lo, exec_lo, s8
	s_cbranch_vccz .LBB71_1823
; %bb.1815:
	s_cmp_lt_i32 s3, 27
	s_mov_b32 s8, -1
	s_cbranch_scc1 .LBB71_1821
; %bb.1816:
	s_cmp_gt_i32 s3, 27
	s_cbranch_scc0 .LBB71_1818
; %bb.1817:
	s_wait_xcnt 0x0
	v_mov_b32_e32 v0, 0
	s_mov_b32 s8, 0
	global_store_b32 v[14:15], v0, off
.LBB71_1818:
	s_and_not1_b32 vcc_lo, exec_lo, s8
	s_cbranch_vccnz .LBB71_1820
; %bb.1819:
	s_wait_xcnt 0x0
	v_mov_b32_e32 v0, 0
	global_store_b16 v[14:15], v0, off
.LBB71_1820:
	s_mov_b32 s8, 0
.LBB71_1821:
	s_delay_alu instid0(SALU_CYCLE_1)
	s_and_not1_b32 vcc_lo, exec_lo, s8
	s_cbranch_vccnz .LBB71_1823
; %bb.1822:
	s_wait_xcnt 0x0
	v_mov_b32_e32 v0, 0
	global_store_b8 v[14:15], v0, off
.LBB71_1823:
	s_mov_b32 s8, 0
.LBB71_1824:
	s_delay_alu instid0(SALU_CYCLE_1)
	s_and_b32 vcc_lo, exec_lo, s8
	s_cbranch_vccz .LBB71_1842
; %bb.1825:
	s_cmp_gt_i32 s3, 22
	s_mov_b32 s4, -1
	s_cbranch_scc0 .LBB71_1835
; %bb.1826:
	s_cmp_lt_i32 s3, 24
	s_cbranch_scc1 .LBB71_1832
; %bb.1827:
	s_cmp_gt_i32 s3, 24
	s_cbranch_scc0 .LBB71_1829
; %bb.1828:
	s_wait_xcnt 0x0
	v_mov_b32_e32 v0, 0
	s_mov_b32 s4, 0
	global_store_b8 v[14:15], v0, off
.LBB71_1829:
	s_and_not1_b32 vcc_lo, exec_lo, s4
	s_cbranch_vccnz .LBB71_1831
; %bb.1830:
	s_wait_xcnt 0x0
	v_mov_b32_e32 v0, 0
	global_store_b8 v[14:15], v0, off
.LBB71_1831:
	s_mov_b32 s4, 0
.LBB71_1832:
	s_delay_alu instid0(SALU_CYCLE_1)
	s_and_not1_b32 vcc_lo, exec_lo, s4
	s_cbranch_vccnz .LBB71_1834
; %bb.1833:
	s_wait_xcnt 0x0
	v_mov_b32_e32 v0, 0
	global_store_b8 v[14:15], v0, off
.LBB71_1834:
	s_mov_b32 s4, 0
.LBB71_1835:
	s_delay_alu instid0(SALU_CYCLE_1)
	s_and_not1_b32 vcc_lo, exec_lo, s4
	s_mov_b32 s4, 0
	s_cbranch_vccnz .LBB71_1842
; %bb.1836:
	s_cmp_gt_i32 s3, 14
	s_mov_b32 s4, -1
	s_cbranch_scc0 .LBB71_1840
; %bb.1837:
	s_cmp_eq_u32 s3, 15
	s_mov_b32 s5, -1
	s_cbranch_scc0 .LBB71_1839
; %bb.1838:
	s_wait_xcnt 0x0
	v_mov_b32_e32 v0, 0
	s_mov_b32 s5, 0
	global_store_b16 v[14:15], v0, off
.LBB71_1839:
	s_mov_b32 s4, 0
.LBB71_1840:
	s_delay_alu instid0(SALU_CYCLE_1)
	s_and_b32 vcc_lo, exec_lo, s4
	s_mov_b32 s4, 0
	s_cbranch_vccz .LBB71_1842
; %bb.1841:
	s_cmp_lg_u32 s3, 11
	s_mov_b32 s4, -1
	s_cselect_b32 s5, -1, 0
.LBB71_1842:
	s_delay_alu instid0(SALU_CYCLE_1)
	s_and_b32 vcc_lo, exec_lo, s5
	s_cbranch_vccnz .LBB71_1904
.LBB71_1843:
	s_mov_b32 s3, 0
	s_branch .LBB71_1845
.LBB71_1844:
	s_mov_b32 s3, 0
	s_mov_b32 s4, 0
                                        ; implicit-def: $vgpr14_vgpr15
                                        ; implicit-def: $sgpr0
.LBB71_1845:
	s_and_b32 s16, s3, exec_lo
	s_and_not1_b32 s3, s6, exec_lo
	s_and_b32 s2, s2, exec_lo
	s_and_b32 s8, s4, exec_lo
	s_or_b32 s6, s3, s2
.LBB71_1846:
	s_wait_xcnt 0x0
	s_or_b32 exec_lo, exec_lo, s7
.LBB71_1847:
	s_delay_alu instid0(SALU_CYCLE_1)
	s_and_not1_b32 s2, s14, exec_lo
	s_and_b32 s3, s6, exec_lo
	s_and_b32 s19, s16, exec_lo
	;; [unrolled: 1-line block ×3, first 2 shown]
	s_or_b32 s14, s2, s3
.LBB71_1848:
	s_wait_xcnt 0x0
	s_or_b32 exec_lo, exec_lo, s15
.LBB71_1849:
	s_delay_alu instid0(SALU_CYCLE_1)
	s_and_not1_b32 s2, s12, exec_lo
	s_and_b32 s3, s14, exec_lo
	s_and_b32 s15, s19, exec_lo
	;; [unrolled: 1-line block ×3, first 2 shown]
	s_or_b32 s12, s2, s3
.LBB71_1850:
	s_wait_xcnt 0x0
	s_or_b32 exec_lo, exec_lo, s13
.LBB71_1851:
	s_delay_alu instid0(SALU_CYCLE_1)
	s_and_not1_b32 s1, s1, exec_lo
	s_and_b32 s2, s12, exec_lo
	s_and_b32 s15, s15, exec_lo
	;; [unrolled: 1-line block ×3, first 2 shown]
	s_or_b32 s1, s1, s2
.LBB71_1852:
	s_wait_xcnt 0x0
	s_or_b32 exec_lo, exec_lo, s9
.LBB71_1853:
	s_delay_alu instid0(SALU_CYCLE_1)
	s_and_not1_b32 s2, s10, exec_lo
	s_and_b32 s1, s1, exec_lo
	s_and_b32 s4, s15, exec_lo
	;; [unrolled: 1-line block ×3, first 2 shown]
	s_or_b32 s10, s2, s1
.LBB71_1854:
	s_wait_xcnt 0x0
	s_or_b32 exec_lo, exec_lo, s11
	s_and_saveexec_b32 s1, s10
	s_cbranch_execz .LBB71_1857
; %bb.1855:
	; divergent unreachable
	s_or_b32 exec_lo, exec_lo, s1
	s_and_saveexec_b32 s1, s30
	s_delay_alu instid0(SALU_CYCLE_1)
	s_xor_b32 s1, exec_lo, s1
	s_cbranch_execnz .LBB71_1858
.LBB71_1856:
	s_or_b32 exec_lo, exec_lo, s1
	s_and_saveexec_b32 s1, s4
	s_cbranch_execnz .LBB71_1859
	s_branch .LBB71_1896
.LBB71_1857:
	s_or_b32 exec_lo, exec_lo, s1
	s_and_saveexec_b32 s1, s30
	s_delay_alu instid0(SALU_CYCLE_1)
	s_xor_b32 s1, exec_lo, s1
	s_cbranch_execz .LBB71_1856
.LBB71_1858:
	v_mov_b32_e32 v0, 0
	global_store_b8 v[14:15], v0, off
	s_wait_xcnt 0x0
	s_or_b32 exec_lo, exec_lo, s1
	s_and_saveexec_b32 s1, s4
	s_cbranch_execz .LBB71_1896
.LBB71_1859:
	s_sext_i32_i16 s2, s0
	s_mov_b32 s1, -1
	s_cmp_lt_i32 s2, 5
	s_cbranch_scc1 .LBB71_1880
; %bb.1860:
	s_cmp_lt_i32 s2, 8
	s_cbranch_scc1 .LBB71_1870
; %bb.1861:
	;; [unrolled: 3-line block ×3, first 2 shown]
	s_cmp_gt_i32 s2, 9
	s_cbranch_scc0 .LBB71_1864
; %bb.1863:
	v_mov_b32_e32 v0, 0
	s_mov_b32 s1, 0
	s_wait_loadcnt 0x0
	s_delay_alu instid0(VALU_DEP_1)
	v_dual_mov_b32 v1, v0 :: v_dual_mov_b32 v2, v0
	v_mov_b32_e32 v3, v0
	global_store_b128 v[14:15], v[0:3], off
.LBB71_1864:
	s_and_not1_b32 vcc_lo, exec_lo, s1
	s_cbranch_vccnz .LBB71_1866
; %bb.1865:
	s_wait_loadcnt 0x0
	v_mov_b64_e32 v[0:1], 0
	global_store_b64 v[14:15], v[0:1], off
.LBB71_1866:
	s_mov_b32 s1, 0
.LBB71_1867:
	s_delay_alu instid0(SALU_CYCLE_1)
	s_and_not1_b32 vcc_lo, exec_lo, s1
	s_cbranch_vccnz .LBB71_1869
; %bb.1868:
	s_wait_xcnt 0x0
	v_mov_b32_e32 v0, 0
	global_store_b32 v[14:15], v0, off
.LBB71_1869:
	s_mov_b32 s1, 0
.LBB71_1870:
	s_delay_alu instid0(SALU_CYCLE_1)
	s_and_not1_b32 vcc_lo, exec_lo, s1
	s_cbranch_vccnz .LBB71_1879
; %bb.1871:
	s_sext_i32_i16 s2, s0
	s_mov_b32 s1, -1
	s_cmp_lt_i32 s2, 6
	s_cbranch_scc1 .LBB71_1877
; %bb.1872:
	s_cmp_gt_i32 s2, 6
	s_cbranch_scc0 .LBB71_1874
; %bb.1873:
	s_wait_loadcnt 0x0
	v_mov_b64_e32 v[0:1], 0
	s_mov_b32 s1, 0
	global_store_b64 v[14:15], v[0:1], off
.LBB71_1874:
	s_and_not1_b32 vcc_lo, exec_lo, s1
	s_cbranch_vccnz .LBB71_1876
; %bb.1875:
	s_wait_xcnt 0x0
	v_mov_b32_e32 v0, 0
	global_store_b32 v[14:15], v0, off
.LBB71_1876:
	s_mov_b32 s1, 0
.LBB71_1877:
	s_delay_alu instid0(SALU_CYCLE_1)
	s_and_not1_b32 vcc_lo, exec_lo, s1
	s_cbranch_vccnz .LBB71_1879
; %bb.1878:
	s_wait_xcnt 0x0
	v_mov_b32_e32 v0, 0
	global_store_b16 v[14:15], v0, off
.LBB71_1879:
	s_mov_b32 s1, 0
.LBB71_1880:
	s_delay_alu instid0(SALU_CYCLE_1)
	s_and_not1_b32 vcc_lo, exec_lo, s1
	s_cbranch_vccnz .LBB71_1896
; %bb.1881:
	s_sext_i32_i16 s2, s0
	s_mov_b32 s1, -1
	s_cmp_lt_i32 s2, 2
	s_cbranch_scc1 .LBB71_1891
; %bb.1882:
	s_cmp_lt_i32 s2, 3
	s_cbranch_scc1 .LBB71_1888
; %bb.1883:
	s_cmp_gt_i32 s2, 3
	s_cbranch_scc0 .LBB71_1885
; %bb.1884:
	s_wait_loadcnt 0x0
	v_mov_b64_e32 v[0:1], 0
	s_mov_b32 s1, 0
	global_store_b64 v[14:15], v[0:1], off
.LBB71_1885:
	s_and_not1_b32 vcc_lo, exec_lo, s1
	s_cbranch_vccnz .LBB71_1887
; %bb.1886:
	s_wait_xcnt 0x0
	v_mov_b32_e32 v0, 0
	global_store_b32 v[14:15], v0, off
.LBB71_1887:
	s_mov_b32 s1, 0
.LBB71_1888:
	s_delay_alu instid0(SALU_CYCLE_1)
	s_and_not1_b32 vcc_lo, exec_lo, s1
	s_cbranch_vccnz .LBB71_1890
; %bb.1889:
	s_wait_xcnt 0x0
	v_mov_b32_e32 v0, 0
	global_store_b16 v[14:15], v0, off
.LBB71_1890:
	s_mov_b32 s1, 0
.LBB71_1891:
	s_delay_alu instid0(SALU_CYCLE_1)
	s_and_not1_b32 vcc_lo, exec_lo, s1
	s_cbranch_vccnz .LBB71_1896
; %bb.1892:
	s_sext_i32_i16 s0, s0
	s_delay_alu instid0(SALU_CYCLE_1)
	s_cmp_gt_i32 s0, 0
	s_mov_b32 s0, -1
	s_cbranch_scc0 .LBB71_1894
; %bb.1893:
	s_wait_xcnt 0x0
	v_mov_b32_e32 v0, 0
	s_mov_b32 s0, 0
	global_store_b8 v[14:15], v0, off
.LBB71_1894:
	s_and_not1_b32 vcc_lo, exec_lo, s0
	s_cbranch_vccnz .LBB71_1896
; %bb.1895:
	s_wait_xcnt 0x0
	v_mov_b32_e32 v0, 0
	global_store_b8 v[14:15], v0, off
	s_endpgm
.LBB71_1896:
	s_endpgm
.LBB71_1897:
	s_or_b32 s6, s14, exec_lo
	s_trap 2
	s_cbranch_execz .LBB71_1476
	s_branch .LBB71_1477
.LBB71_1898:
	s_mov_b32 s4, 0
	s_mov_b32 s3, -1
	s_branch .LBB71_1845
.LBB71_1899:
	s_or_b32 s2, s6, exec_lo
	s_trap 2
	s_cbranch_execz .LBB71_1576
	s_branch .LBB71_1577
.LBB71_1900:
	s_or_b32 s12, s12, exec_lo
	s_trap 2
                                        ; implicit-def: $vgpr10
                                        ; implicit-def: $vgpr8
                                        ; implicit-def: $vgpr0
                                        ; implicit-def: $vgpr6
                                        ; implicit-def: $vgpr4
                                        ; implicit-def: $vgpr2
	s_branch .LBB71_1043
.LBB71_1901:
	s_or_b32 s2, s2, exec_lo
	s_trap 2
	s_cbranch_execz .LBB71_1666
	s_branch .LBB71_1667
.LBB71_1902:
	s_or_b32 s2, s2, exec_lo
	s_trap 2
	s_cbranch_execz .LBB71_1755
	s_branch .LBB71_1756
.LBB71_1903:
	s_or_b32 s14, s14, exec_lo
	s_trap 2
                                        ; implicit-def: $vgpr8
                                        ; implicit-def: $vgpr0
                                        ; implicit-def: $vgpr6
                                        ; implicit-def: $vgpr4
                                        ; implicit-def: $vgpr2
	s_branch .LBB71_1398
.LBB71_1904:
	s_mov_b32 s4, 0
	s_or_b32 s2, s2, exec_lo
	s_trap 2
	s_branch .LBB71_1843
.LBB71_1905:
	s_or_b32 s6, s6, exec_lo
	s_trap 2
                                        ; implicit-def: $vgpr0
                                        ; implicit-def: $vgpr6
                                        ; implicit-def: $vgpr4
                                        ; implicit-def: $vgpr2
	s_branch .LBB71_1529
	.section	.rodata,"a",@progbits
	.p2align	6, 0x0
	.amdhsa_kernel _ZN2at6native32elementwise_kernel_manual_unrollILi128ELi4EZNS0_15gpu_kernel_implIZZZNS0_12_GLOBAL__N_142_validate_compressed_sparse_indices_kernelILNS3_8CDimNameE1ENS3_18CUDAKernelLauncherENS3_14EmptyVecKernelENS3_8DummyVecELm8EEEvRKNS_6TensorESB_lllENKUlvE0_clEvENKUlvE_clEvEUliE_EEvRNS_18TensorIteratorBaseERKT_EUlibE0_EEviT1_
		.amdhsa_group_segment_fixed_size 0
		.amdhsa_private_segment_fixed_size 0
		.amdhsa_kernarg_size 376
		.amdhsa_user_sgpr_count 2
		.amdhsa_user_sgpr_dispatch_ptr 0
		.amdhsa_user_sgpr_queue_ptr 0
		.amdhsa_user_sgpr_kernarg_segment_ptr 1
		.amdhsa_user_sgpr_dispatch_id 0
		.amdhsa_user_sgpr_kernarg_preload_length 0
		.amdhsa_user_sgpr_kernarg_preload_offset 0
		.amdhsa_user_sgpr_private_segment_size 0
		.amdhsa_wavefront_size32 1
		.amdhsa_uses_dynamic_stack 0
		.amdhsa_enable_private_segment 0
		.amdhsa_system_sgpr_workgroup_id_x 1
		.amdhsa_system_sgpr_workgroup_id_y 0
		.amdhsa_system_sgpr_workgroup_id_z 0
		.amdhsa_system_sgpr_workgroup_info 0
		.amdhsa_system_vgpr_workitem_id 0
		.amdhsa_next_free_vgpr 18
		.amdhsa_next_free_sgpr 72
		.amdhsa_named_barrier_count 0
		.amdhsa_reserve_vcc 1
		.amdhsa_float_round_mode_32 0
		.amdhsa_float_round_mode_16_64 0
		.amdhsa_float_denorm_mode_32 3
		.amdhsa_float_denorm_mode_16_64 3
		.amdhsa_fp16_overflow 0
		.amdhsa_memory_ordered 1
		.amdhsa_forward_progress 1
		.amdhsa_inst_pref_size 255
		.amdhsa_round_robin_scheduling 0
		.amdhsa_exception_fp_ieee_invalid_op 0
		.amdhsa_exception_fp_denorm_src 0
		.amdhsa_exception_fp_ieee_div_zero 0
		.amdhsa_exception_fp_ieee_overflow 0
		.amdhsa_exception_fp_ieee_underflow 0
		.amdhsa_exception_fp_ieee_inexact 0
		.amdhsa_exception_int_div_zero 0
	.end_amdhsa_kernel
	.section	.text._ZN2at6native32elementwise_kernel_manual_unrollILi128ELi4EZNS0_15gpu_kernel_implIZZZNS0_12_GLOBAL__N_142_validate_compressed_sparse_indices_kernelILNS3_8CDimNameE1ENS3_18CUDAKernelLauncherENS3_14EmptyVecKernelENS3_8DummyVecELm8EEEvRKNS_6TensorESB_lllENKUlvE0_clEvENKUlvE_clEvEUliE_EEvRNS_18TensorIteratorBaseERKT_EUlibE0_EEviT1_,"axG",@progbits,_ZN2at6native32elementwise_kernel_manual_unrollILi128ELi4EZNS0_15gpu_kernel_implIZZZNS0_12_GLOBAL__N_142_validate_compressed_sparse_indices_kernelILNS3_8CDimNameE1ENS3_18CUDAKernelLauncherENS3_14EmptyVecKernelENS3_8DummyVecELm8EEEvRKNS_6TensorESB_lllENKUlvE0_clEvENKUlvE_clEvEUliE_EEvRNS_18TensorIteratorBaseERKT_EUlibE0_EEviT1_,comdat
.Lfunc_end71:
	.size	_ZN2at6native32elementwise_kernel_manual_unrollILi128ELi4EZNS0_15gpu_kernel_implIZZZNS0_12_GLOBAL__N_142_validate_compressed_sparse_indices_kernelILNS3_8CDimNameE1ENS3_18CUDAKernelLauncherENS3_14EmptyVecKernelENS3_8DummyVecELm8EEEvRKNS_6TensorESB_lllENKUlvE0_clEvENKUlvE_clEvEUliE_EEvRNS_18TensorIteratorBaseERKT_EUlibE0_EEviT1_, .Lfunc_end71-_ZN2at6native32elementwise_kernel_manual_unrollILi128ELi4EZNS0_15gpu_kernel_implIZZZNS0_12_GLOBAL__N_142_validate_compressed_sparse_indices_kernelILNS3_8CDimNameE1ENS3_18CUDAKernelLauncherENS3_14EmptyVecKernelENS3_8DummyVecELm8EEEvRKNS_6TensorESB_lllENKUlvE0_clEvENKUlvE_clEvEUliE_EEvRNS_18TensorIteratorBaseERKT_EUlibE0_EEviT1_
                                        ; -- End function
	.set _ZN2at6native32elementwise_kernel_manual_unrollILi128ELi4EZNS0_15gpu_kernel_implIZZZNS0_12_GLOBAL__N_142_validate_compressed_sparse_indices_kernelILNS3_8CDimNameE1ENS3_18CUDAKernelLauncherENS3_14EmptyVecKernelENS3_8DummyVecELm8EEEvRKNS_6TensorESB_lllENKUlvE0_clEvENKUlvE_clEvEUliE_EEvRNS_18TensorIteratorBaseERKT_EUlibE0_EEviT1_.num_vgpr, 18
	.set _ZN2at6native32elementwise_kernel_manual_unrollILi128ELi4EZNS0_15gpu_kernel_implIZZZNS0_12_GLOBAL__N_142_validate_compressed_sparse_indices_kernelILNS3_8CDimNameE1ENS3_18CUDAKernelLauncherENS3_14EmptyVecKernelENS3_8DummyVecELm8EEEvRKNS_6TensorESB_lllENKUlvE0_clEvENKUlvE_clEvEUliE_EEvRNS_18TensorIteratorBaseERKT_EUlibE0_EEviT1_.num_agpr, 0
	.set _ZN2at6native32elementwise_kernel_manual_unrollILi128ELi4EZNS0_15gpu_kernel_implIZZZNS0_12_GLOBAL__N_142_validate_compressed_sparse_indices_kernelILNS3_8CDimNameE1ENS3_18CUDAKernelLauncherENS3_14EmptyVecKernelENS3_8DummyVecELm8EEEvRKNS_6TensorESB_lllENKUlvE0_clEvENKUlvE_clEvEUliE_EEvRNS_18TensorIteratorBaseERKT_EUlibE0_EEviT1_.numbered_sgpr, 72
	.set _ZN2at6native32elementwise_kernel_manual_unrollILi128ELi4EZNS0_15gpu_kernel_implIZZZNS0_12_GLOBAL__N_142_validate_compressed_sparse_indices_kernelILNS3_8CDimNameE1ENS3_18CUDAKernelLauncherENS3_14EmptyVecKernelENS3_8DummyVecELm8EEEvRKNS_6TensorESB_lllENKUlvE0_clEvENKUlvE_clEvEUliE_EEvRNS_18TensorIteratorBaseERKT_EUlibE0_EEviT1_.num_named_barrier, 0
	.set _ZN2at6native32elementwise_kernel_manual_unrollILi128ELi4EZNS0_15gpu_kernel_implIZZZNS0_12_GLOBAL__N_142_validate_compressed_sparse_indices_kernelILNS3_8CDimNameE1ENS3_18CUDAKernelLauncherENS3_14EmptyVecKernelENS3_8DummyVecELm8EEEvRKNS_6TensorESB_lllENKUlvE0_clEvENKUlvE_clEvEUliE_EEvRNS_18TensorIteratorBaseERKT_EUlibE0_EEviT1_.private_seg_size, 0
	.set _ZN2at6native32elementwise_kernel_manual_unrollILi128ELi4EZNS0_15gpu_kernel_implIZZZNS0_12_GLOBAL__N_142_validate_compressed_sparse_indices_kernelILNS3_8CDimNameE1ENS3_18CUDAKernelLauncherENS3_14EmptyVecKernelENS3_8DummyVecELm8EEEvRKNS_6TensorESB_lllENKUlvE0_clEvENKUlvE_clEvEUliE_EEvRNS_18TensorIteratorBaseERKT_EUlibE0_EEviT1_.uses_vcc, 1
	.set _ZN2at6native32elementwise_kernel_manual_unrollILi128ELi4EZNS0_15gpu_kernel_implIZZZNS0_12_GLOBAL__N_142_validate_compressed_sparse_indices_kernelILNS3_8CDimNameE1ENS3_18CUDAKernelLauncherENS3_14EmptyVecKernelENS3_8DummyVecELm8EEEvRKNS_6TensorESB_lllENKUlvE0_clEvENKUlvE_clEvEUliE_EEvRNS_18TensorIteratorBaseERKT_EUlibE0_EEviT1_.uses_flat_scratch, 0
	.set _ZN2at6native32elementwise_kernel_manual_unrollILi128ELi4EZNS0_15gpu_kernel_implIZZZNS0_12_GLOBAL__N_142_validate_compressed_sparse_indices_kernelILNS3_8CDimNameE1ENS3_18CUDAKernelLauncherENS3_14EmptyVecKernelENS3_8DummyVecELm8EEEvRKNS_6TensorESB_lllENKUlvE0_clEvENKUlvE_clEvEUliE_EEvRNS_18TensorIteratorBaseERKT_EUlibE0_EEviT1_.has_dyn_sized_stack, 0
	.set _ZN2at6native32elementwise_kernel_manual_unrollILi128ELi4EZNS0_15gpu_kernel_implIZZZNS0_12_GLOBAL__N_142_validate_compressed_sparse_indices_kernelILNS3_8CDimNameE1ENS3_18CUDAKernelLauncherENS3_14EmptyVecKernelENS3_8DummyVecELm8EEEvRKNS_6TensorESB_lllENKUlvE0_clEvENKUlvE_clEvEUliE_EEvRNS_18TensorIteratorBaseERKT_EUlibE0_EEviT1_.has_recursion, 0
	.set _ZN2at6native32elementwise_kernel_manual_unrollILi128ELi4EZNS0_15gpu_kernel_implIZZZNS0_12_GLOBAL__N_142_validate_compressed_sparse_indices_kernelILNS3_8CDimNameE1ENS3_18CUDAKernelLauncherENS3_14EmptyVecKernelENS3_8DummyVecELm8EEEvRKNS_6TensorESB_lllENKUlvE0_clEvENKUlvE_clEvEUliE_EEvRNS_18TensorIteratorBaseERKT_EUlibE0_EEviT1_.has_indirect_call, 0
	.section	.AMDGPU.csdata,"",@progbits
; Kernel info:
; codeLenInByte = 33916
; TotalNumSgprs: 74
; NumVgprs: 18
; ScratchSize: 0
; MemoryBound: 1
; FloatMode: 240
; IeeeMode: 1
; LDSByteSize: 0 bytes/workgroup (compile time only)
; SGPRBlocks: 0
; VGPRBlocks: 1
; NumSGPRsForWavesPerEU: 74
; NumVGPRsForWavesPerEU: 18
; NamedBarCnt: 0
; Occupancy: 16
; WaveLimiterHint : 1
; COMPUTE_PGM_RSRC2:SCRATCH_EN: 0
; COMPUTE_PGM_RSRC2:USER_SGPR: 2
; COMPUTE_PGM_RSRC2:TRAP_HANDLER: 0
; COMPUTE_PGM_RSRC2:TGID_X_EN: 1
; COMPUTE_PGM_RSRC2:TGID_Y_EN: 0
; COMPUTE_PGM_RSRC2:TGID_Z_EN: 0
; COMPUTE_PGM_RSRC2:TIDIG_COMP_CNT: 0
	.section	.text._ZN2at6native29vectorized_elementwise_kernelILi16EZZZNS0_12_GLOBAL__N_142_validate_compressed_sparse_indices_kernelILNS2_8CDimNameE1ENS2_18CUDAKernelLauncherENS2_14EmptyVecKernelENS2_8DummyVecELm8EEEvRKNS_6TensorESA_lllENKUlvE0_clEvENKUlvE0_clEvEUllE_St5arrayIPcLm2EEEEviT0_T1_,"axG",@progbits,_ZN2at6native29vectorized_elementwise_kernelILi16EZZZNS0_12_GLOBAL__N_142_validate_compressed_sparse_indices_kernelILNS2_8CDimNameE1ENS2_18CUDAKernelLauncherENS2_14EmptyVecKernelENS2_8DummyVecELm8EEEvRKNS_6TensorESA_lllENKUlvE0_clEvENKUlvE0_clEvEUllE_St5arrayIPcLm2EEEEviT0_T1_,comdat
	.globl	_ZN2at6native29vectorized_elementwise_kernelILi16EZZZNS0_12_GLOBAL__N_142_validate_compressed_sparse_indices_kernelILNS2_8CDimNameE1ENS2_18CUDAKernelLauncherENS2_14EmptyVecKernelENS2_8DummyVecELm8EEEvRKNS_6TensorESA_lllENKUlvE0_clEvENKUlvE0_clEvEUllE_St5arrayIPcLm2EEEEviT0_T1_ ; -- Begin function _ZN2at6native29vectorized_elementwise_kernelILi16EZZZNS0_12_GLOBAL__N_142_validate_compressed_sparse_indices_kernelILNS2_8CDimNameE1ENS2_18CUDAKernelLauncherENS2_14EmptyVecKernelENS2_8DummyVecELm8EEEvRKNS_6TensorESA_lllENKUlvE0_clEvENKUlvE0_clEvEUllE_St5arrayIPcLm2EEEEviT0_T1_
	.p2align	8
	.type	_ZN2at6native29vectorized_elementwise_kernelILi16EZZZNS0_12_GLOBAL__N_142_validate_compressed_sparse_indices_kernelILNS2_8CDimNameE1ENS2_18CUDAKernelLauncherENS2_14EmptyVecKernelENS2_8DummyVecELm8EEEvRKNS_6TensorESA_lllENKUlvE0_clEvENKUlvE0_clEvEUllE_St5arrayIPcLm2EEEEviT0_T1_,@function
_ZN2at6native29vectorized_elementwise_kernelILi16EZZZNS0_12_GLOBAL__N_142_validate_compressed_sparse_indices_kernelILNS2_8CDimNameE1ENS2_18CUDAKernelLauncherENS2_14EmptyVecKernelENS2_8DummyVecELm8EEEvRKNS_6TensorESA_lllENKUlvE0_clEvENKUlvE0_clEvEUllE_St5arrayIPcLm2EEEEviT0_T1_: ; @_ZN2at6native29vectorized_elementwise_kernelILi16EZZZNS0_12_GLOBAL__N_142_validate_compressed_sparse_indices_kernelILNS2_8CDimNameE1ENS2_18CUDAKernelLauncherENS2_14EmptyVecKernelENS2_8DummyVecELm8EEEvRKNS_6TensorESA_lllENKUlvE0_clEvENKUlvE0_clEvEUllE_St5arrayIPcLm2EEEEviT0_T1_
; %bb.0:
	s_clause 0x1
	s_load_b32 s3, s[0:1], 0x0
	s_load_b256 s[4:11], s[0:1], 0x8
	s_wait_xcnt 0x0
	s_bfe_u32 s0, ttmp6, 0x4000c
	s_and_b32 s1, ttmp6, 15
	s_add_co_i32 s0, s0, 1
	s_getreg_b32 s2, hwreg(HW_REG_IB_STS2, 6, 4)
	s_mul_i32 s0, ttmp9, s0
	s_mov_b32 s18, 0
	s_add_co_i32 s1, s1, s0
	s_cmp_eq_u32 s2, 0
	s_get_pc_i64 s[12:13]
	s_add_nc_u64 s[12:13], s[12:13], .str.5@rel64+4
	s_cselect_b32 s0, ttmp9, s1
	s_delay_alu instid0(SALU_CYCLE_1)
	s_lshl_b32 s2, s0, 10
	s_mov_b32 s0, -1
	s_wait_kmcnt 0x0
	s_sub_co_i32 s1, s3, s2
	s_mov_b32 s3, 0
	s_cmp_gt_i32 s1, 0x3ff
	s_cbranch_scc0 .LBB72_13
; %bb.1:
	s_cmp_eq_u64 s[12:13], 0
	s_cselect_b32 s19, -1, 0
	s_cmp_lg_u64 s[12:13], 0
	s_cbranch_scc0 .LBB72_11
; %bb.2:
	s_ashr_i32 s3, s2, 31
	v_lshlrev_b32_e32 v6, 5, v0
	s_lshl_b64 s[14:15], s[2:3], 3
	s_delay_alu instid0(SALU_CYCLE_1)
	s_add_nc_u64 s[16:17], s[10:11], s[14:15]
	global_load_b64 v[2:3], v6, s[16:17]
	s_wait_loadcnt 0x0
	v_cmp_le_i64_e32 vcc_lo, s[4:5], v[2:3]
	v_cmp_gt_i64_e64 s0, s[6:7], v[2:3]
	s_and_b32 s0, vcc_lo, s0
	s_delay_alu instid0(SALU_CYCLE_1)
	s_xor_b32 s19, s0, -1
	s_and_saveexec_b32 s3, s0
	s_cbranch_execz .LBB72_10
; %bb.3:
	v_mov_b32_e32 v7, 0
	s_delay_alu instid0(VALU_DEP_1)
	v_add_nc_u64_e32 v[10:11], s[16:17], v[6:7]
	s_clause 0x1
	global_load_b128 v[2:5], v[10:11], off offset:8
	global_load_b64 v[8:9], v[10:11], off offset:24
	s_wait_loadcnt 0x1
	v_cmp_le_i64_e32 vcc_lo, s[4:5], v[2:3]
	v_cmp_gt_i64_e64 s0, s[6:7], v[2:3]
	s_and_b32 s0, vcc_lo, s0
	s_delay_alu instid0(SALU_CYCLE_1)
	s_xor_b32 s16, s0, -1
	s_wait_xcnt 0x0
	s_and_saveexec_b32 s17, s0
	s_cbranch_execz .LBB72_9
; %bb.4:
	v_cmp_le_i64_e32 vcc_lo, s[4:5], v[4:5]
	v_cmp_gt_i64_e64 s0, s[6:7], v[4:5]
	s_mov_b32 s22, -1
	s_and_b32 s0, vcc_lo, s0
	s_delay_alu instid0(SALU_CYCLE_1)
	s_xor_b32 s20, s0, -1
	s_and_saveexec_b32 s21, s0
	s_cbranch_execz .LBB72_8
; %bb.5:
	s_wait_loadcnt 0x0
	v_cmp_le_i64_e32 vcc_lo, s[4:5], v[8:9]
	v_cmp_gt_i64_e64 s0, s[6:7], v[8:9]
	s_and_b32 s0, vcc_lo, s0
	s_delay_alu instid0(SALU_CYCLE_1) | instskip(NEXT) | instid1(SALU_CYCLE_1)
	s_and_saveexec_b32 s23, s0
	s_xor_b32 s0, exec_lo, s23
; %bb.6:
	s_mov_b32 s24, 0
	s_add_nc_u64 s[14:15], s[8:9], s[14:15]
	s_mov_b32 s25, s24
	s_mov_b32 s26, s24
	;; [unrolled: 1-line block ×3, first 2 shown]
	v_mov_b64_e32 v[2:3], s[24:25]
	v_mov_b64_e32 v[4:5], s[26:27]
	s_xor_b32 s22, exec_lo, -1
	s_clause 0x1
	global_store_b128 v6, v[2:5], s[14:15]
	global_store_b128 v6, v[2:5], s[14:15] offset:16
; %bb.7:
	s_wait_xcnt 0x0
	s_or_b32 exec_lo, exec_lo, s0
	s_delay_alu instid0(SALU_CYCLE_1) | instskip(SKIP_1) | instid1(SALU_CYCLE_1)
	s_and_not1_b32 s0, s20, exec_lo
	s_and_b32 s14, s22, exec_lo
	s_or_b32 s20, s0, s14
.LBB72_8:
	s_or_b32 exec_lo, exec_lo, s21
	s_delay_alu instid0(SALU_CYCLE_1) | instskip(SKIP_1) | instid1(SALU_CYCLE_1)
	s_and_not1_b32 s0, s16, exec_lo
	s_and_b32 s14, s20, exec_lo
	s_or_b32 s16, s0, s14
.LBB72_9:
	s_or_b32 exec_lo, exec_lo, s17
	s_delay_alu instid0(SALU_CYCLE_1) | instskip(SKIP_1) | instid1(SALU_CYCLE_1)
	s_and_not1_b32 s0, s19, exec_lo
	s_and_b32 s14, s16, exec_lo
	s_or_b32 s19, s0, s14
.LBB72_10:
	s_or_b32 exec_lo, exec_lo, s3
.LBB72_11:
	s_mov_b32 s0, 0
	s_mov_b32 s3, 0
	s_and_saveexec_b32 s14, s19
	s_delay_alu instid0(SALU_CYCLE_1)
	s_xor_b32 s14, exec_lo, s14
	s_cbranch_execnz .LBB72_51
.LBB72_12:
	s_or_b32 exec_lo, exec_lo, s14
.LBB72_13:
	s_delay_alu instid0(SALU_CYCLE_1)
	s_and_b32 vcc_lo, exec_lo, s0
	s_cbranch_vccz .LBB72_26
; %bb.14:
	v_mov_b64_e32 v[4:5], 0
	s_wait_loadcnt 0x0
	v_mov_b64_e32 v[8:9], 0
	v_cmp_le_i32_e64 s15, s1, v0
	v_cmp_gt_i32_e64 s14, s1, v0
	v_or_b32_e32 v1, 0x100, v0
	v_mov_b32_e32 v10, v0
	s_and_saveexec_b32 s0, s14
	s_cbranch_execz .LBB72_16
; %bb.15:
	v_or_b32_e32 v2, s2, v0
	v_or_b32_e32 v10, 0x100, v0
	global_load_b64 v[8:9], v2, s[10:11] scale_offset
.LBB72_16:
	s_wait_xcnt 0x0
	s_or_b32 exec_lo, exec_lo, s0
	s_delay_alu instid0(SALU_CYCLE_1)
	s_mov_b32 s0, exec_lo
	v_cmpx_gt_i32_e64 s1, v10
	s_cbranch_execz .LBB72_18
; %bb.17:
	v_add_nc_u32_e32 v2, s2, v10
	v_add_nc_u32_e32 v10, 0x100, v10
	global_load_b64 v[4:5], v2, s[10:11] scale_offset
.LBB72_18:
	s_wait_xcnt 0x0
	s_or_b32 exec_lo, exec_lo, s0
	v_mov_b64_e32 v[2:3], 0
	v_mov_b64_e32 v[6:7], 0
	s_mov_b32 s0, exec_lo
	v_cmpx_gt_i32_e64 s1, v10
	s_cbranch_execz .LBB72_20
; %bb.19:
	v_add_nc_u32_e32 v6, s2, v10
	v_add_nc_u32_e32 v10, 0x100, v10
	global_load_b64 v[6:7], v6, s[10:11] scale_offset
.LBB72_20:
	s_wait_xcnt 0x0
	s_or_b32 exec_lo, exec_lo, s0
	s_delay_alu instid0(SALU_CYCLE_1)
	s_mov_b32 s0, exec_lo
	v_cmpx_gt_i32_e64 s1, v10
	s_cbranch_execz .LBB72_22
; %bb.21:
	v_add_nc_u32_e32 v2, s2, v10
	global_load_b64 v[2:3], v2, s[10:11] scale_offset
.LBB72_22:
	s_wait_xcnt 0x0
	s_or_b32 exec_lo, exec_lo, s0
	s_cmp_lg_u64 s[12:13], 0
	s_mov_b32 s10, 0
	s_cselect_b32 s12, -1, 0
	s_and_saveexec_b32 s11, s14
	s_cbranch_execnz .LBB72_35
; %bb.23:
	s_or_b32 exec_lo, exec_lo, s11
	s_and_saveexec_b32 s11, s15
	s_cbranch_execnz .LBB72_36
.LBB72_24:
	s_or_b32 exec_lo, exec_lo, s11
	s_and_saveexec_b32 s0, s10
	s_cbranch_execnz .LBB72_47
.LBB72_25:
	s_or_b32 exec_lo, exec_lo, s0
	s_and_saveexec_b32 s0, s3
	s_cbranch_execnz .LBB72_27
	s_branch .LBB72_28
.LBB72_26:
                                        ; implicit-def: $sgpr14
                                        ; implicit-def: $vgpr1
                                        ; implicit-def: $vgpr0
	s_and_saveexec_b32 s0, s3
.LBB72_27:
	; divergent unreachable
.LBB72_28:
	s_delay_alu instid0(SALU_CYCLE_1) | instskip(SKIP_1) | instid1(SALU_CYCLE_1)
	s_or_b32 exec_lo, exec_lo, s0
	s_and_saveexec_b32 s0, s18
	s_xor_b32 s0, exec_lo, s0
	s_cbranch_execz .LBB72_34
; %bb.29:
	s_and_saveexec_b32 s0, s14
	s_delay_alu instid0(SALU_CYCLE_1)
	s_xor_b32 s0, exec_lo, s0
	s_cbranch_execnz .LBB72_48
; %bb.30:
	s_or_b32 exec_lo, exec_lo, s0
	s_delay_alu instid0(SALU_CYCLE_1)
	s_mov_b32 s0, exec_lo
	v_cmpx_gt_i32_e64 s1, v0
	s_cbranch_execnz .LBB72_49
.LBB72_31:
	s_or_b32 exec_lo, exec_lo, s0
	s_delay_alu instid0(SALU_CYCLE_1)
	s_mov_b32 s0, exec_lo
	v_cmpx_gt_i32_e64 s1, v0
	s_cbranch_execnz .LBB72_50
.LBB72_32:
	s_or_b32 exec_lo, exec_lo, s0
	s_delay_alu instid0(SALU_CYCLE_1)
	s_mov_b32 s0, exec_lo
	v_cmpx_gt_i32_e64 s1, v0
	s_cbranch_execz .LBB72_34
.LBB72_33:
	s_wait_loadcnt 0x0
	v_mov_b64_e32 v[2:3], 0
	v_add_nc_u32_e32 v0, s2, v0
	global_store_b64 v0, v[2:3], s[8:9] scale_offset
.LBB72_34:
	s_endpgm
.LBB72_35:
	s_wait_loadcnt 0x0
	v_cmp_le_i64_e32 vcc_lo, s[4:5], v[8:9]
	v_cmp_gt_i64_e64 s0, s[6:7], v[8:9]
	s_and_not1_b32 s13, s15, exec_lo
	s_mov_b32 s10, exec_lo
	s_and_b32 s0, vcc_lo, s0
	s_delay_alu instid0(SALU_CYCLE_1) | instskip(NEXT) | instid1(SALU_CYCLE_1)
	s_and_b32 s0, s12, s0
	s_and_b32 s0, s0, exec_lo
	s_delay_alu instid0(SALU_CYCLE_1)
	s_or_b32 s15, s13, s0
	s_or_b32 exec_lo, exec_lo, s11
	s_and_saveexec_b32 s11, s15
	s_cbranch_execz .LBB72_24
.LBB72_36:
	v_cmp_le_i32_e64 s17, s1, v1
	s_mov_b32 s16, 0
	s_mov_b32 s13, 0
	s_mov_b32 s15, exec_lo
	v_cmpx_gt_i32_e64 s1, v1
	s_cbranch_execz .LBB72_38
; %bb.37:
	s_wait_loadcnt 0x0
	v_cmp_le_i64_e32 vcc_lo, s[4:5], v[4:5]
	v_cmp_gt_i64_e64 s0, s[6:7], v[4:5]
	s_and_not1_b32 s17, s17, exec_lo
	s_mov_b32 s13, exec_lo
	s_and_b32 s0, vcc_lo, s0
	s_delay_alu instid0(SALU_CYCLE_1) | instskip(NEXT) | instid1(SALU_CYCLE_1)
	s_and_b32 s0, s12, s0
	s_and_b32 s0, s0, exec_lo
	s_delay_alu instid0(SALU_CYCLE_1)
	s_or_b32 s17, s17, s0
.LBB72_38:
	s_or_b32 exec_lo, exec_lo, s15
	s_and_saveexec_b32 s15, s17
	s_cbranch_execz .LBB72_46
; %bb.39:
	s_wait_loadcnt 0x0
	v_or_b32_e32 v4, 0x200, v0
	s_mov_b32 s17, exec_lo
	s_delay_alu instid0(VALU_DEP_1)
	v_cmp_le_i32_e64 s19, s1, v4
	v_cmpx_gt_i32_e64 s1, v4
; %bb.40:
	v_cmp_le_i64_e32 vcc_lo, s[4:5], v[6:7]
	v_cmp_gt_i64_e64 s0, s[6:7], v[6:7]
	s_and_not1_b32 s19, s19, exec_lo
	s_mov_b32 s16, exec_lo
	s_and_b32 s0, vcc_lo, s0
	s_delay_alu instid0(SALU_CYCLE_1) | instskip(NEXT) | instid1(SALU_CYCLE_1)
	s_and_b32 s0, s12, s0
	s_and_b32 s0, s0, exec_lo
	s_delay_alu instid0(SALU_CYCLE_1)
	s_or_b32 s19, s19, s0
; %bb.41:
	s_or_b32 exec_lo, exec_lo, s17
	s_and_saveexec_b32 s17, s19
	s_cbranch_execz .LBB72_45
; %bb.42:
	v_or_b32_e32 v4, 0x300, v0
	s_mov_b32 s0, 0
	s_mov_b32 s19, exec_lo
	s_delay_alu instid0(VALU_DEP_1)
	v_cmp_le_i32_e64 s18, s1, v4
	v_cmpx_gt_i32_e64 s1, v4
	s_xor_b32 s19, exec_lo, s19
; %bb.43:
	v_cmp_le_i64_e32 vcc_lo, s[4:5], v[2:3]
	v_cmp_gt_i64_e64 s0, s[6:7], v[2:3]
	s_or_b32 s18, s18, exec_lo
	s_and_b32 s0, vcc_lo, s0
	s_delay_alu instid0(SALU_CYCLE_1) | instskip(NEXT) | instid1(SALU_CYCLE_1)
	s_and_b32 s0, s12, s0
	s_xor_b32 s0, s0, -1
	s_delay_alu instid0(SALU_CYCLE_1)
	s_and_b32 s0, s0, exec_lo
; %bb.44:
	s_or_b32 exec_lo, exec_lo, s19
	s_delay_alu instid0(SALU_CYCLE_1)
	s_and_not1_b32 s4, s16, exec_lo
	s_and_b32 s0, s0, exec_lo
	s_and_b32 s18, s18, exec_lo
	s_or_b32 s16, s4, s0
.LBB72_45:
	s_or_b32 exec_lo, exec_lo, s17
	s_delay_alu instid0(SALU_CYCLE_1)
	s_and_not1_b32 s0, s13, exec_lo
	s_and_b32 s4, s16, exec_lo
	s_and_b32 s16, s18, exec_lo
	s_or_b32 s13, s0, s4
.LBB72_46:
	s_or_b32 exec_lo, exec_lo, s15
	s_delay_alu instid0(SALU_CYCLE_1)
	s_and_not1_b32 s0, s10, exec_lo
	s_and_b32 s4, s13, exec_lo
	s_and_b32 s18, s16, exec_lo
	s_or_b32 s10, s0, s4
	s_or_b32 exec_lo, exec_lo, s11
	s_and_saveexec_b32 s0, s10
	s_cbranch_execz .LBB72_25
.LBB72_47:
	s_and_not1_b32 s18, s18, exec_lo
	s_or_b32 s3, s3, exec_lo
	s_trap 2
	s_or_b32 exec_lo, exec_lo, s0
	s_and_saveexec_b32 s0, s3
	s_cbranch_execnz .LBB72_27
	s_branch .LBB72_28
.LBB72_48:
	s_wait_loadcnt 0x0
	v_mov_b64_e32 v[2:3], 0
	v_dual_mov_b32 v0, v1 :: v_dual_bitop2_b32 v4, s2, v0 bitop3:0x54
	global_store_b64 v4, v[2:3], s[8:9] scale_offset
	s_wait_xcnt 0x0
	s_or_b32 exec_lo, exec_lo, s0
	s_delay_alu instid0(SALU_CYCLE_1)
	s_mov_b32 s0, exec_lo
	v_cmpx_gt_i32_e64 s1, v0
	s_cbranch_execz .LBB72_31
.LBB72_49:
	s_wait_loadcnt 0x0
	v_mov_b64_e32 v[2:3], 0
	v_add_nc_u32_e32 v1, s2, v0
	v_add_nc_u32_e32 v0, 0x100, v0
	global_store_b64 v1, v[2:3], s[8:9] scale_offset
	s_wait_xcnt 0x0
	s_or_b32 exec_lo, exec_lo, s0
	s_delay_alu instid0(SALU_CYCLE_1)
	s_mov_b32 s0, exec_lo
	v_cmpx_gt_i32_e64 s1, v0
	s_cbranch_execz .LBB72_32
.LBB72_50:
	s_wait_loadcnt 0x0
	v_mov_b64_e32 v[2:3], 0
	v_add_nc_u32_e32 v1, s2, v0
	v_add_nc_u32_e32 v0, 0x100, v0
	global_store_b64 v1, v[2:3], s[8:9] scale_offset
	s_wait_xcnt 0x0
	s_or_b32 exec_lo, exec_lo, s0
	s_delay_alu instid0(SALU_CYCLE_1)
	s_mov_b32 s0, exec_lo
	v_cmpx_gt_i32_e64 s1, v0
	s_cbranch_execnz .LBB72_33
	s_branch .LBB72_34
.LBB72_51:
	s_mov_b32 s3, exec_lo
	s_trap 2
	s_branch .LBB72_12
	.section	.rodata,"a",@progbits
	.p2align	6, 0x0
	.amdhsa_kernel _ZN2at6native29vectorized_elementwise_kernelILi16EZZZNS0_12_GLOBAL__N_142_validate_compressed_sparse_indices_kernelILNS2_8CDimNameE1ENS2_18CUDAKernelLauncherENS2_14EmptyVecKernelENS2_8DummyVecELm8EEEvRKNS_6TensorESA_lllENKUlvE0_clEvENKUlvE0_clEvEUllE_St5arrayIPcLm2EEEEviT0_T1_
		.amdhsa_group_segment_fixed_size 0
		.amdhsa_private_segment_fixed_size 0
		.amdhsa_kernarg_size 40
		.amdhsa_user_sgpr_count 2
		.amdhsa_user_sgpr_dispatch_ptr 0
		.amdhsa_user_sgpr_queue_ptr 0
		.amdhsa_user_sgpr_kernarg_segment_ptr 1
		.amdhsa_user_sgpr_dispatch_id 0
		.amdhsa_user_sgpr_kernarg_preload_length 0
		.amdhsa_user_sgpr_kernarg_preload_offset 0
		.amdhsa_user_sgpr_private_segment_size 0
		.amdhsa_wavefront_size32 1
		.amdhsa_uses_dynamic_stack 0
		.amdhsa_enable_private_segment 0
		.amdhsa_system_sgpr_workgroup_id_x 1
		.amdhsa_system_sgpr_workgroup_id_y 0
		.amdhsa_system_sgpr_workgroup_id_z 0
		.amdhsa_system_sgpr_workgroup_info 0
		.amdhsa_system_vgpr_workitem_id 0
		.amdhsa_next_free_vgpr 12
		.amdhsa_next_free_sgpr 28
		.amdhsa_named_barrier_count 0
		.amdhsa_reserve_vcc 1
		.amdhsa_float_round_mode_32 0
		.amdhsa_float_round_mode_16_64 0
		.amdhsa_float_denorm_mode_32 3
		.amdhsa_float_denorm_mode_16_64 3
		.amdhsa_fp16_overflow 0
		.amdhsa_memory_ordered 1
		.amdhsa_forward_progress 1
		.amdhsa_inst_pref_size 13
		.amdhsa_round_robin_scheduling 0
		.amdhsa_exception_fp_ieee_invalid_op 0
		.amdhsa_exception_fp_denorm_src 0
		.amdhsa_exception_fp_ieee_div_zero 0
		.amdhsa_exception_fp_ieee_overflow 0
		.amdhsa_exception_fp_ieee_underflow 0
		.amdhsa_exception_fp_ieee_inexact 0
		.amdhsa_exception_int_div_zero 0
	.end_amdhsa_kernel
	.section	.text._ZN2at6native29vectorized_elementwise_kernelILi16EZZZNS0_12_GLOBAL__N_142_validate_compressed_sparse_indices_kernelILNS2_8CDimNameE1ENS2_18CUDAKernelLauncherENS2_14EmptyVecKernelENS2_8DummyVecELm8EEEvRKNS_6TensorESA_lllENKUlvE0_clEvENKUlvE0_clEvEUllE_St5arrayIPcLm2EEEEviT0_T1_,"axG",@progbits,_ZN2at6native29vectorized_elementwise_kernelILi16EZZZNS0_12_GLOBAL__N_142_validate_compressed_sparse_indices_kernelILNS2_8CDimNameE1ENS2_18CUDAKernelLauncherENS2_14EmptyVecKernelENS2_8DummyVecELm8EEEvRKNS_6TensorESA_lllENKUlvE0_clEvENKUlvE0_clEvEUllE_St5arrayIPcLm2EEEEviT0_T1_,comdat
.Lfunc_end72:
	.size	_ZN2at6native29vectorized_elementwise_kernelILi16EZZZNS0_12_GLOBAL__N_142_validate_compressed_sparse_indices_kernelILNS2_8CDimNameE1ENS2_18CUDAKernelLauncherENS2_14EmptyVecKernelENS2_8DummyVecELm8EEEvRKNS_6TensorESA_lllENKUlvE0_clEvENKUlvE0_clEvEUllE_St5arrayIPcLm2EEEEviT0_T1_, .Lfunc_end72-_ZN2at6native29vectorized_elementwise_kernelILi16EZZZNS0_12_GLOBAL__N_142_validate_compressed_sparse_indices_kernelILNS2_8CDimNameE1ENS2_18CUDAKernelLauncherENS2_14EmptyVecKernelENS2_8DummyVecELm8EEEvRKNS_6TensorESA_lllENKUlvE0_clEvENKUlvE0_clEvEUllE_St5arrayIPcLm2EEEEviT0_T1_
                                        ; -- End function
	.set _ZN2at6native29vectorized_elementwise_kernelILi16EZZZNS0_12_GLOBAL__N_142_validate_compressed_sparse_indices_kernelILNS2_8CDimNameE1ENS2_18CUDAKernelLauncherENS2_14EmptyVecKernelENS2_8DummyVecELm8EEEvRKNS_6TensorESA_lllENKUlvE0_clEvENKUlvE0_clEvEUllE_St5arrayIPcLm2EEEEviT0_T1_.num_vgpr, 12
	.set _ZN2at6native29vectorized_elementwise_kernelILi16EZZZNS0_12_GLOBAL__N_142_validate_compressed_sparse_indices_kernelILNS2_8CDimNameE1ENS2_18CUDAKernelLauncherENS2_14EmptyVecKernelENS2_8DummyVecELm8EEEvRKNS_6TensorESA_lllENKUlvE0_clEvENKUlvE0_clEvEUllE_St5arrayIPcLm2EEEEviT0_T1_.num_agpr, 0
	.set _ZN2at6native29vectorized_elementwise_kernelILi16EZZZNS0_12_GLOBAL__N_142_validate_compressed_sparse_indices_kernelILNS2_8CDimNameE1ENS2_18CUDAKernelLauncherENS2_14EmptyVecKernelENS2_8DummyVecELm8EEEvRKNS_6TensorESA_lllENKUlvE0_clEvENKUlvE0_clEvEUllE_St5arrayIPcLm2EEEEviT0_T1_.numbered_sgpr, 28
	.set _ZN2at6native29vectorized_elementwise_kernelILi16EZZZNS0_12_GLOBAL__N_142_validate_compressed_sparse_indices_kernelILNS2_8CDimNameE1ENS2_18CUDAKernelLauncherENS2_14EmptyVecKernelENS2_8DummyVecELm8EEEvRKNS_6TensorESA_lllENKUlvE0_clEvENKUlvE0_clEvEUllE_St5arrayIPcLm2EEEEviT0_T1_.num_named_barrier, 0
	.set _ZN2at6native29vectorized_elementwise_kernelILi16EZZZNS0_12_GLOBAL__N_142_validate_compressed_sparse_indices_kernelILNS2_8CDimNameE1ENS2_18CUDAKernelLauncherENS2_14EmptyVecKernelENS2_8DummyVecELm8EEEvRKNS_6TensorESA_lllENKUlvE0_clEvENKUlvE0_clEvEUllE_St5arrayIPcLm2EEEEviT0_T1_.private_seg_size, 0
	.set _ZN2at6native29vectorized_elementwise_kernelILi16EZZZNS0_12_GLOBAL__N_142_validate_compressed_sparse_indices_kernelILNS2_8CDimNameE1ENS2_18CUDAKernelLauncherENS2_14EmptyVecKernelENS2_8DummyVecELm8EEEvRKNS_6TensorESA_lllENKUlvE0_clEvENKUlvE0_clEvEUllE_St5arrayIPcLm2EEEEviT0_T1_.uses_vcc, 1
	.set _ZN2at6native29vectorized_elementwise_kernelILi16EZZZNS0_12_GLOBAL__N_142_validate_compressed_sparse_indices_kernelILNS2_8CDimNameE1ENS2_18CUDAKernelLauncherENS2_14EmptyVecKernelENS2_8DummyVecELm8EEEvRKNS_6TensorESA_lllENKUlvE0_clEvENKUlvE0_clEvEUllE_St5arrayIPcLm2EEEEviT0_T1_.uses_flat_scratch, 0
	.set _ZN2at6native29vectorized_elementwise_kernelILi16EZZZNS0_12_GLOBAL__N_142_validate_compressed_sparse_indices_kernelILNS2_8CDimNameE1ENS2_18CUDAKernelLauncherENS2_14EmptyVecKernelENS2_8DummyVecELm8EEEvRKNS_6TensorESA_lllENKUlvE0_clEvENKUlvE0_clEvEUllE_St5arrayIPcLm2EEEEviT0_T1_.has_dyn_sized_stack, 0
	.set _ZN2at6native29vectorized_elementwise_kernelILi16EZZZNS0_12_GLOBAL__N_142_validate_compressed_sparse_indices_kernelILNS2_8CDimNameE1ENS2_18CUDAKernelLauncherENS2_14EmptyVecKernelENS2_8DummyVecELm8EEEvRKNS_6TensorESA_lllENKUlvE0_clEvENKUlvE0_clEvEUllE_St5arrayIPcLm2EEEEviT0_T1_.has_recursion, 0
	.set _ZN2at6native29vectorized_elementwise_kernelILi16EZZZNS0_12_GLOBAL__N_142_validate_compressed_sparse_indices_kernelILNS2_8CDimNameE1ENS2_18CUDAKernelLauncherENS2_14EmptyVecKernelENS2_8DummyVecELm8EEEvRKNS_6TensorESA_lllENKUlvE0_clEvENKUlvE0_clEvEUllE_St5arrayIPcLm2EEEEviT0_T1_.has_indirect_call, 0
	.section	.AMDGPU.csdata,"",@progbits
; Kernel info:
; codeLenInByte = 1580
; TotalNumSgprs: 30
; NumVgprs: 12
; ScratchSize: 0
; MemoryBound: 1
; FloatMode: 240
; IeeeMode: 1
; LDSByteSize: 0 bytes/workgroup (compile time only)
; SGPRBlocks: 0
; VGPRBlocks: 0
; NumSGPRsForWavesPerEU: 30
; NumVGPRsForWavesPerEU: 12
; NamedBarCnt: 0
; Occupancy: 16
; WaveLimiterHint : 0
; COMPUTE_PGM_RSRC2:SCRATCH_EN: 0
; COMPUTE_PGM_RSRC2:USER_SGPR: 2
; COMPUTE_PGM_RSRC2:TRAP_HANDLER: 0
; COMPUTE_PGM_RSRC2:TGID_X_EN: 1
; COMPUTE_PGM_RSRC2:TGID_Y_EN: 0
; COMPUTE_PGM_RSRC2:TGID_Z_EN: 0
; COMPUTE_PGM_RSRC2:TIDIG_COMP_CNT: 0
	.section	.text._ZN2at6native29vectorized_elementwise_kernelILi8EZZZNS0_12_GLOBAL__N_142_validate_compressed_sparse_indices_kernelILNS2_8CDimNameE1ENS2_18CUDAKernelLauncherENS2_14EmptyVecKernelENS2_8DummyVecELm8EEEvRKNS_6TensorESA_lllENKUlvE0_clEvENKUlvE0_clEvEUllE_St5arrayIPcLm2EEEEviT0_T1_,"axG",@progbits,_ZN2at6native29vectorized_elementwise_kernelILi8EZZZNS0_12_GLOBAL__N_142_validate_compressed_sparse_indices_kernelILNS2_8CDimNameE1ENS2_18CUDAKernelLauncherENS2_14EmptyVecKernelENS2_8DummyVecELm8EEEvRKNS_6TensorESA_lllENKUlvE0_clEvENKUlvE0_clEvEUllE_St5arrayIPcLm2EEEEviT0_T1_,comdat
	.globl	_ZN2at6native29vectorized_elementwise_kernelILi8EZZZNS0_12_GLOBAL__N_142_validate_compressed_sparse_indices_kernelILNS2_8CDimNameE1ENS2_18CUDAKernelLauncherENS2_14EmptyVecKernelENS2_8DummyVecELm8EEEvRKNS_6TensorESA_lllENKUlvE0_clEvENKUlvE0_clEvEUllE_St5arrayIPcLm2EEEEviT0_T1_ ; -- Begin function _ZN2at6native29vectorized_elementwise_kernelILi8EZZZNS0_12_GLOBAL__N_142_validate_compressed_sparse_indices_kernelILNS2_8CDimNameE1ENS2_18CUDAKernelLauncherENS2_14EmptyVecKernelENS2_8DummyVecELm8EEEvRKNS_6TensorESA_lllENKUlvE0_clEvENKUlvE0_clEvEUllE_St5arrayIPcLm2EEEEviT0_T1_
	.p2align	8
	.type	_ZN2at6native29vectorized_elementwise_kernelILi8EZZZNS0_12_GLOBAL__N_142_validate_compressed_sparse_indices_kernelILNS2_8CDimNameE1ENS2_18CUDAKernelLauncherENS2_14EmptyVecKernelENS2_8DummyVecELm8EEEvRKNS_6TensorESA_lllENKUlvE0_clEvENKUlvE0_clEvEUllE_St5arrayIPcLm2EEEEviT0_T1_,@function
_ZN2at6native29vectorized_elementwise_kernelILi8EZZZNS0_12_GLOBAL__N_142_validate_compressed_sparse_indices_kernelILNS2_8CDimNameE1ENS2_18CUDAKernelLauncherENS2_14EmptyVecKernelENS2_8DummyVecELm8EEEvRKNS_6TensorESA_lllENKUlvE0_clEvENKUlvE0_clEvEUllE_St5arrayIPcLm2EEEEviT0_T1_: ; @_ZN2at6native29vectorized_elementwise_kernelILi8EZZZNS0_12_GLOBAL__N_142_validate_compressed_sparse_indices_kernelILNS2_8CDimNameE1ENS2_18CUDAKernelLauncherENS2_14EmptyVecKernelENS2_8DummyVecELm8EEEvRKNS_6TensorESA_lllENKUlvE0_clEvENKUlvE0_clEvEUllE_St5arrayIPcLm2EEEEviT0_T1_
; %bb.0:
	s_clause 0x1
	s_load_b32 s3, s[0:1], 0x0
	s_load_b256 s[4:11], s[0:1], 0x8
	s_wait_xcnt 0x0
	s_bfe_u32 s0, ttmp6, 0x4000c
	s_and_b32 s1, ttmp6, 15
	s_add_co_i32 s0, s0, 1
	s_getreg_b32 s2, hwreg(HW_REG_IB_STS2, 6, 4)
	s_mul_i32 s0, ttmp9, s0
	s_mov_b32 s18, 0
	s_add_co_i32 s1, s1, s0
	s_cmp_eq_u32 s2, 0
	s_get_pc_i64 s[12:13]
	s_add_nc_u64 s[12:13], s[12:13], .str.5@rel64+4
	s_cselect_b32 s0, ttmp9, s1
	s_delay_alu instid0(SALU_CYCLE_1)
	s_lshl_b32 s2, s0, 10
	s_mov_b32 s0, -1
	s_wait_kmcnt 0x0
	s_sub_co_i32 s1, s3, s2
	s_mov_b32 s3, 0
	s_cmp_gt_i32 s1, 0x3ff
	s_cbranch_scc0 .LBB73_13
; %bb.1:
	s_cmp_eq_u64 s[12:13], 0
	s_cselect_b32 s19, -1, 0
	s_cmp_lg_u64 s[12:13], 0
	s_cbranch_scc0 .LBB73_11
; %bb.2:
	s_ashr_i32 s3, s2, 31
	v_lshlrev_b32_e32 v6, 5, v0
	s_lshl_b64 s[14:15], s[2:3], 3
	s_delay_alu instid0(SALU_CYCLE_1)
	s_add_nc_u64 s[16:17], s[10:11], s[14:15]
	global_load_b64 v[2:3], v6, s[16:17]
	s_wait_loadcnt 0x0
	v_cmp_le_i64_e32 vcc_lo, s[4:5], v[2:3]
	v_cmp_gt_i64_e64 s0, s[6:7], v[2:3]
	s_and_b32 s0, vcc_lo, s0
	s_delay_alu instid0(SALU_CYCLE_1)
	s_xor_b32 s19, s0, -1
	s_and_saveexec_b32 s3, s0
	s_cbranch_execz .LBB73_10
; %bb.3:
	v_mov_b32_e32 v7, 0
	s_delay_alu instid0(VALU_DEP_1)
	v_add_nc_u64_e32 v[10:11], s[16:17], v[6:7]
	s_clause 0x1
	global_load_b128 v[2:5], v[10:11], off offset:8
	global_load_b64 v[8:9], v[10:11], off offset:24
	s_wait_loadcnt 0x1
	v_cmp_le_i64_e32 vcc_lo, s[4:5], v[2:3]
	v_cmp_gt_i64_e64 s0, s[6:7], v[2:3]
	s_and_b32 s0, vcc_lo, s0
	s_delay_alu instid0(SALU_CYCLE_1)
	s_xor_b32 s16, s0, -1
	s_wait_xcnt 0x0
	s_and_saveexec_b32 s17, s0
	s_cbranch_execz .LBB73_9
; %bb.4:
	v_cmp_le_i64_e32 vcc_lo, s[4:5], v[4:5]
	v_cmp_gt_i64_e64 s0, s[6:7], v[4:5]
	s_mov_b32 s22, -1
	s_and_b32 s0, vcc_lo, s0
	s_delay_alu instid0(SALU_CYCLE_1)
	s_xor_b32 s20, s0, -1
	s_and_saveexec_b32 s21, s0
	s_cbranch_execz .LBB73_8
; %bb.5:
	s_wait_loadcnt 0x0
	v_cmp_le_i64_e32 vcc_lo, s[4:5], v[8:9]
	v_cmp_gt_i64_e64 s0, s[6:7], v[8:9]
	s_and_b32 s0, vcc_lo, s0
	s_delay_alu instid0(SALU_CYCLE_1) | instskip(NEXT) | instid1(SALU_CYCLE_1)
	s_and_saveexec_b32 s23, s0
	s_xor_b32 s0, exec_lo, s23
; %bb.6:
	s_mov_b32 s24, 0
	s_add_nc_u64 s[14:15], s[8:9], s[14:15]
	s_mov_b32 s25, s24
	s_mov_b32 s26, s24
	;; [unrolled: 1-line block ×3, first 2 shown]
	v_mov_b64_e32 v[2:3], s[24:25]
	v_mov_b64_e32 v[4:5], s[26:27]
	s_xor_b32 s22, exec_lo, -1
	s_clause 0x1
	global_store_b128 v6, v[2:5], s[14:15]
	global_store_b128 v6, v[2:5], s[14:15] offset:16
; %bb.7:
	s_wait_xcnt 0x0
	s_or_b32 exec_lo, exec_lo, s0
	s_delay_alu instid0(SALU_CYCLE_1) | instskip(SKIP_1) | instid1(SALU_CYCLE_1)
	s_and_not1_b32 s0, s20, exec_lo
	s_and_b32 s14, s22, exec_lo
	s_or_b32 s20, s0, s14
.LBB73_8:
	s_or_b32 exec_lo, exec_lo, s21
	s_delay_alu instid0(SALU_CYCLE_1) | instskip(SKIP_1) | instid1(SALU_CYCLE_1)
	s_and_not1_b32 s0, s16, exec_lo
	s_and_b32 s14, s20, exec_lo
	s_or_b32 s16, s0, s14
.LBB73_9:
	s_or_b32 exec_lo, exec_lo, s17
	s_delay_alu instid0(SALU_CYCLE_1) | instskip(SKIP_1) | instid1(SALU_CYCLE_1)
	s_and_not1_b32 s0, s19, exec_lo
	s_and_b32 s14, s16, exec_lo
	s_or_b32 s19, s0, s14
.LBB73_10:
	s_or_b32 exec_lo, exec_lo, s3
.LBB73_11:
	s_mov_b32 s0, 0
	s_mov_b32 s3, 0
	s_and_saveexec_b32 s14, s19
	s_delay_alu instid0(SALU_CYCLE_1)
	s_xor_b32 s14, exec_lo, s14
	s_cbranch_execnz .LBB73_51
.LBB73_12:
	s_or_b32 exec_lo, exec_lo, s14
.LBB73_13:
	s_delay_alu instid0(SALU_CYCLE_1)
	s_and_b32 vcc_lo, exec_lo, s0
	s_cbranch_vccz .LBB73_26
; %bb.14:
	v_mov_b64_e32 v[4:5], 0
	s_wait_loadcnt 0x0
	v_mov_b64_e32 v[8:9], 0
	v_cmp_le_i32_e64 s15, s1, v0
	v_cmp_gt_i32_e64 s14, s1, v0
	v_or_b32_e32 v1, 0x100, v0
	v_mov_b32_e32 v10, v0
	s_and_saveexec_b32 s0, s14
	s_cbranch_execz .LBB73_16
; %bb.15:
	v_or_b32_e32 v2, s2, v0
	v_or_b32_e32 v10, 0x100, v0
	global_load_b64 v[8:9], v2, s[10:11] scale_offset
.LBB73_16:
	s_wait_xcnt 0x0
	s_or_b32 exec_lo, exec_lo, s0
	s_delay_alu instid0(SALU_CYCLE_1)
	s_mov_b32 s0, exec_lo
	v_cmpx_gt_i32_e64 s1, v10
	s_cbranch_execz .LBB73_18
; %bb.17:
	v_add_nc_u32_e32 v2, s2, v10
	v_add_nc_u32_e32 v10, 0x100, v10
	global_load_b64 v[4:5], v2, s[10:11] scale_offset
.LBB73_18:
	s_wait_xcnt 0x0
	s_or_b32 exec_lo, exec_lo, s0
	v_mov_b64_e32 v[2:3], 0
	v_mov_b64_e32 v[6:7], 0
	s_mov_b32 s0, exec_lo
	v_cmpx_gt_i32_e64 s1, v10
	s_cbranch_execz .LBB73_20
; %bb.19:
	v_add_nc_u32_e32 v6, s2, v10
	v_add_nc_u32_e32 v10, 0x100, v10
	global_load_b64 v[6:7], v6, s[10:11] scale_offset
.LBB73_20:
	s_wait_xcnt 0x0
	s_or_b32 exec_lo, exec_lo, s0
	s_delay_alu instid0(SALU_CYCLE_1)
	s_mov_b32 s0, exec_lo
	v_cmpx_gt_i32_e64 s1, v10
	s_cbranch_execz .LBB73_22
; %bb.21:
	v_add_nc_u32_e32 v2, s2, v10
	global_load_b64 v[2:3], v2, s[10:11] scale_offset
.LBB73_22:
	s_wait_xcnt 0x0
	s_or_b32 exec_lo, exec_lo, s0
	s_cmp_lg_u64 s[12:13], 0
	s_mov_b32 s10, 0
	s_cselect_b32 s12, -1, 0
	s_and_saveexec_b32 s11, s14
	s_cbranch_execnz .LBB73_35
; %bb.23:
	s_or_b32 exec_lo, exec_lo, s11
	s_and_saveexec_b32 s11, s15
	s_cbranch_execnz .LBB73_36
.LBB73_24:
	s_or_b32 exec_lo, exec_lo, s11
	s_and_saveexec_b32 s0, s10
	s_cbranch_execnz .LBB73_47
.LBB73_25:
	s_or_b32 exec_lo, exec_lo, s0
	s_and_saveexec_b32 s0, s3
	s_cbranch_execnz .LBB73_27
	s_branch .LBB73_28
.LBB73_26:
                                        ; implicit-def: $sgpr14
                                        ; implicit-def: $vgpr1
                                        ; implicit-def: $vgpr0
	s_and_saveexec_b32 s0, s3
.LBB73_27:
	; divergent unreachable
.LBB73_28:
	s_delay_alu instid0(SALU_CYCLE_1) | instskip(SKIP_1) | instid1(SALU_CYCLE_1)
	s_or_b32 exec_lo, exec_lo, s0
	s_and_saveexec_b32 s0, s18
	s_xor_b32 s0, exec_lo, s0
	s_cbranch_execz .LBB73_34
; %bb.29:
	s_and_saveexec_b32 s0, s14
	s_delay_alu instid0(SALU_CYCLE_1)
	s_xor_b32 s0, exec_lo, s0
	s_cbranch_execnz .LBB73_48
; %bb.30:
	s_or_b32 exec_lo, exec_lo, s0
	s_delay_alu instid0(SALU_CYCLE_1)
	s_mov_b32 s0, exec_lo
	v_cmpx_gt_i32_e64 s1, v0
	s_cbranch_execnz .LBB73_49
.LBB73_31:
	s_or_b32 exec_lo, exec_lo, s0
	s_delay_alu instid0(SALU_CYCLE_1)
	s_mov_b32 s0, exec_lo
	v_cmpx_gt_i32_e64 s1, v0
	s_cbranch_execnz .LBB73_50
.LBB73_32:
	s_or_b32 exec_lo, exec_lo, s0
	s_delay_alu instid0(SALU_CYCLE_1)
	s_mov_b32 s0, exec_lo
	v_cmpx_gt_i32_e64 s1, v0
	s_cbranch_execz .LBB73_34
.LBB73_33:
	s_wait_loadcnt 0x0
	v_mov_b64_e32 v[2:3], 0
	v_add_nc_u32_e32 v0, s2, v0
	global_store_b64 v0, v[2:3], s[8:9] scale_offset
.LBB73_34:
	s_endpgm
.LBB73_35:
	s_wait_loadcnt 0x0
	v_cmp_le_i64_e32 vcc_lo, s[4:5], v[8:9]
	v_cmp_gt_i64_e64 s0, s[6:7], v[8:9]
	s_and_not1_b32 s13, s15, exec_lo
	s_mov_b32 s10, exec_lo
	s_and_b32 s0, vcc_lo, s0
	s_delay_alu instid0(SALU_CYCLE_1) | instskip(NEXT) | instid1(SALU_CYCLE_1)
	s_and_b32 s0, s12, s0
	s_and_b32 s0, s0, exec_lo
	s_delay_alu instid0(SALU_CYCLE_1)
	s_or_b32 s15, s13, s0
	s_or_b32 exec_lo, exec_lo, s11
	s_and_saveexec_b32 s11, s15
	s_cbranch_execz .LBB73_24
.LBB73_36:
	v_cmp_le_i32_e64 s17, s1, v1
	s_mov_b32 s16, 0
	s_mov_b32 s13, 0
	s_mov_b32 s15, exec_lo
	v_cmpx_gt_i32_e64 s1, v1
	s_cbranch_execz .LBB73_38
; %bb.37:
	s_wait_loadcnt 0x0
	v_cmp_le_i64_e32 vcc_lo, s[4:5], v[4:5]
	v_cmp_gt_i64_e64 s0, s[6:7], v[4:5]
	s_and_not1_b32 s17, s17, exec_lo
	s_mov_b32 s13, exec_lo
	s_and_b32 s0, vcc_lo, s0
	s_delay_alu instid0(SALU_CYCLE_1) | instskip(NEXT) | instid1(SALU_CYCLE_1)
	s_and_b32 s0, s12, s0
	s_and_b32 s0, s0, exec_lo
	s_delay_alu instid0(SALU_CYCLE_1)
	s_or_b32 s17, s17, s0
.LBB73_38:
	s_or_b32 exec_lo, exec_lo, s15
	s_and_saveexec_b32 s15, s17
	s_cbranch_execz .LBB73_46
; %bb.39:
	s_wait_loadcnt 0x0
	v_or_b32_e32 v4, 0x200, v0
	s_mov_b32 s17, exec_lo
	s_delay_alu instid0(VALU_DEP_1)
	v_cmp_le_i32_e64 s19, s1, v4
	v_cmpx_gt_i32_e64 s1, v4
; %bb.40:
	v_cmp_le_i64_e32 vcc_lo, s[4:5], v[6:7]
	v_cmp_gt_i64_e64 s0, s[6:7], v[6:7]
	s_and_not1_b32 s19, s19, exec_lo
	s_mov_b32 s16, exec_lo
	s_and_b32 s0, vcc_lo, s0
	s_delay_alu instid0(SALU_CYCLE_1) | instskip(NEXT) | instid1(SALU_CYCLE_1)
	s_and_b32 s0, s12, s0
	s_and_b32 s0, s0, exec_lo
	s_delay_alu instid0(SALU_CYCLE_1)
	s_or_b32 s19, s19, s0
; %bb.41:
	s_or_b32 exec_lo, exec_lo, s17
	s_and_saveexec_b32 s17, s19
	s_cbranch_execz .LBB73_45
; %bb.42:
	v_or_b32_e32 v4, 0x300, v0
	s_mov_b32 s0, 0
	s_mov_b32 s19, exec_lo
	s_delay_alu instid0(VALU_DEP_1)
	v_cmp_le_i32_e64 s18, s1, v4
	v_cmpx_gt_i32_e64 s1, v4
	s_xor_b32 s19, exec_lo, s19
; %bb.43:
	v_cmp_le_i64_e32 vcc_lo, s[4:5], v[2:3]
	v_cmp_gt_i64_e64 s0, s[6:7], v[2:3]
	s_or_b32 s18, s18, exec_lo
	s_and_b32 s0, vcc_lo, s0
	s_delay_alu instid0(SALU_CYCLE_1) | instskip(NEXT) | instid1(SALU_CYCLE_1)
	s_and_b32 s0, s12, s0
	s_xor_b32 s0, s0, -1
	s_delay_alu instid0(SALU_CYCLE_1)
	s_and_b32 s0, s0, exec_lo
; %bb.44:
	s_or_b32 exec_lo, exec_lo, s19
	s_delay_alu instid0(SALU_CYCLE_1)
	s_and_not1_b32 s4, s16, exec_lo
	s_and_b32 s0, s0, exec_lo
	s_and_b32 s18, s18, exec_lo
	s_or_b32 s16, s4, s0
.LBB73_45:
	s_or_b32 exec_lo, exec_lo, s17
	s_delay_alu instid0(SALU_CYCLE_1)
	s_and_not1_b32 s0, s13, exec_lo
	s_and_b32 s4, s16, exec_lo
	s_and_b32 s16, s18, exec_lo
	s_or_b32 s13, s0, s4
.LBB73_46:
	s_or_b32 exec_lo, exec_lo, s15
	s_delay_alu instid0(SALU_CYCLE_1)
	s_and_not1_b32 s0, s10, exec_lo
	s_and_b32 s4, s13, exec_lo
	s_and_b32 s18, s16, exec_lo
	s_or_b32 s10, s0, s4
	s_or_b32 exec_lo, exec_lo, s11
	s_and_saveexec_b32 s0, s10
	s_cbranch_execz .LBB73_25
.LBB73_47:
	s_and_not1_b32 s18, s18, exec_lo
	s_or_b32 s3, s3, exec_lo
	s_trap 2
	s_or_b32 exec_lo, exec_lo, s0
	s_and_saveexec_b32 s0, s3
	s_cbranch_execnz .LBB73_27
	s_branch .LBB73_28
.LBB73_48:
	s_wait_loadcnt 0x0
	v_mov_b64_e32 v[2:3], 0
	v_dual_mov_b32 v0, v1 :: v_dual_bitop2_b32 v4, s2, v0 bitop3:0x54
	global_store_b64 v4, v[2:3], s[8:9] scale_offset
	s_wait_xcnt 0x0
	s_or_b32 exec_lo, exec_lo, s0
	s_delay_alu instid0(SALU_CYCLE_1)
	s_mov_b32 s0, exec_lo
	v_cmpx_gt_i32_e64 s1, v0
	s_cbranch_execz .LBB73_31
.LBB73_49:
	s_wait_loadcnt 0x0
	v_mov_b64_e32 v[2:3], 0
	v_add_nc_u32_e32 v1, s2, v0
	v_add_nc_u32_e32 v0, 0x100, v0
	global_store_b64 v1, v[2:3], s[8:9] scale_offset
	s_wait_xcnt 0x0
	s_or_b32 exec_lo, exec_lo, s0
	s_delay_alu instid0(SALU_CYCLE_1)
	s_mov_b32 s0, exec_lo
	v_cmpx_gt_i32_e64 s1, v0
	s_cbranch_execz .LBB73_32
.LBB73_50:
	s_wait_loadcnt 0x0
	v_mov_b64_e32 v[2:3], 0
	v_add_nc_u32_e32 v1, s2, v0
	v_add_nc_u32_e32 v0, 0x100, v0
	global_store_b64 v1, v[2:3], s[8:9] scale_offset
	s_wait_xcnt 0x0
	s_or_b32 exec_lo, exec_lo, s0
	s_delay_alu instid0(SALU_CYCLE_1)
	s_mov_b32 s0, exec_lo
	v_cmpx_gt_i32_e64 s1, v0
	s_cbranch_execnz .LBB73_33
	s_branch .LBB73_34
.LBB73_51:
	s_mov_b32 s3, exec_lo
	s_trap 2
	s_branch .LBB73_12
	.section	.rodata,"a",@progbits
	.p2align	6, 0x0
	.amdhsa_kernel _ZN2at6native29vectorized_elementwise_kernelILi8EZZZNS0_12_GLOBAL__N_142_validate_compressed_sparse_indices_kernelILNS2_8CDimNameE1ENS2_18CUDAKernelLauncherENS2_14EmptyVecKernelENS2_8DummyVecELm8EEEvRKNS_6TensorESA_lllENKUlvE0_clEvENKUlvE0_clEvEUllE_St5arrayIPcLm2EEEEviT0_T1_
		.amdhsa_group_segment_fixed_size 0
		.amdhsa_private_segment_fixed_size 0
		.amdhsa_kernarg_size 40
		.amdhsa_user_sgpr_count 2
		.amdhsa_user_sgpr_dispatch_ptr 0
		.amdhsa_user_sgpr_queue_ptr 0
		.amdhsa_user_sgpr_kernarg_segment_ptr 1
		.amdhsa_user_sgpr_dispatch_id 0
		.amdhsa_user_sgpr_kernarg_preload_length 0
		.amdhsa_user_sgpr_kernarg_preload_offset 0
		.amdhsa_user_sgpr_private_segment_size 0
		.amdhsa_wavefront_size32 1
		.amdhsa_uses_dynamic_stack 0
		.amdhsa_enable_private_segment 0
		.amdhsa_system_sgpr_workgroup_id_x 1
		.amdhsa_system_sgpr_workgroup_id_y 0
		.amdhsa_system_sgpr_workgroup_id_z 0
		.amdhsa_system_sgpr_workgroup_info 0
		.amdhsa_system_vgpr_workitem_id 0
		.amdhsa_next_free_vgpr 12
		.amdhsa_next_free_sgpr 28
		.amdhsa_named_barrier_count 0
		.amdhsa_reserve_vcc 1
		.amdhsa_float_round_mode_32 0
		.amdhsa_float_round_mode_16_64 0
		.amdhsa_float_denorm_mode_32 3
		.amdhsa_float_denorm_mode_16_64 3
		.amdhsa_fp16_overflow 0
		.amdhsa_memory_ordered 1
		.amdhsa_forward_progress 1
		.amdhsa_inst_pref_size 13
		.amdhsa_round_robin_scheduling 0
		.amdhsa_exception_fp_ieee_invalid_op 0
		.amdhsa_exception_fp_denorm_src 0
		.amdhsa_exception_fp_ieee_div_zero 0
		.amdhsa_exception_fp_ieee_overflow 0
		.amdhsa_exception_fp_ieee_underflow 0
		.amdhsa_exception_fp_ieee_inexact 0
		.amdhsa_exception_int_div_zero 0
	.end_amdhsa_kernel
	.section	.text._ZN2at6native29vectorized_elementwise_kernelILi8EZZZNS0_12_GLOBAL__N_142_validate_compressed_sparse_indices_kernelILNS2_8CDimNameE1ENS2_18CUDAKernelLauncherENS2_14EmptyVecKernelENS2_8DummyVecELm8EEEvRKNS_6TensorESA_lllENKUlvE0_clEvENKUlvE0_clEvEUllE_St5arrayIPcLm2EEEEviT0_T1_,"axG",@progbits,_ZN2at6native29vectorized_elementwise_kernelILi8EZZZNS0_12_GLOBAL__N_142_validate_compressed_sparse_indices_kernelILNS2_8CDimNameE1ENS2_18CUDAKernelLauncherENS2_14EmptyVecKernelENS2_8DummyVecELm8EEEvRKNS_6TensorESA_lllENKUlvE0_clEvENKUlvE0_clEvEUllE_St5arrayIPcLm2EEEEviT0_T1_,comdat
.Lfunc_end73:
	.size	_ZN2at6native29vectorized_elementwise_kernelILi8EZZZNS0_12_GLOBAL__N_142_validate_compressed_sparse_indices_kernelILNS2_8CDimNameE1ENS2_18CUDAKernelLauncherENS2_14EmptyVecKernelENS2_8DummyVecELm8EEEvRKNS_6TensorESA_lllENKUlvE0_clEvENKUlvE0_clEvEUllE_St5arrayIPcLm2EEEEviT0_T1_, .Lfunc_end73-_ZN2at6native29vectorized_elementwise_kernelILi8EZZZNS0_12_GLOBAL__N_142_validate_compressed_sparse_indices_kernelILNS2_8CDimNameE1ENS2_18CUDAKernelLauncherENS2_14EmptyVecKernelENS2_8DummyVecELm8EEEvRKNS_6TensorESA_lllENKUlvE0_clEvENKUlvE0_clEvEUllE_St5arrayIPcLm2EEEEviT0_T1_
                                        ; -- End function
	.set _ZN2at6native29vectorized_elementwise_kernelILi8EZZZNS0_12_GLOBAL__N_142_validate_compressed_sparse_indices_kernelILNS2_8CDimNameE1ENS2_18CUDAKernelLauncherENS2_14EmptyVecKernelENS2_8DummyVecELm8EEEvRKNS_6TensorESA_lllENKUlvE0_clEvENKUlvE0_clEvEUllE_St5arrayIPcLm2EEEEviT0_T1_.num_vgpr, 12
	.set _ZN2at6native29vectorized_elementwise_kernelILi8EZZZNS0_12_GLOBAL__N_142_validate_compressed_sparse_indices_kernelILNS2_8CDimNameE1ENS2_18CUDAKernelLauncherENS2_14EmptyVecKernelENS2_8DummyVecELm8EEEvRKNS_6TensorESA_lllENKUlvE0_clEvENKUlvE0_clEvEUllE_St5arrayIPcLm2EEEEviT0_T1_.num_agpr, 0
	.set _ZN2at6native29vectorized_elementwise_kernelILi8EZZZNS0_12_GLOBAL__N_142_validate_compressed_sparse_indices_kernelILNS2_8CDimNameE1ENS2_18CUDAKernelLauncherENS2_14EmptyVecKernelENS2_8DummyVecELm8EEEvRKNS_6TensorESA_lllENKUlvE0_clEvENKUlvE0_clEvEUllE_St5arrayIPcLm2EEEEviT0_T1_.numbered_sgpr, 28
	.set _ZN2at6native29vectorized_elementwise_kernelILi8EZZZNS0_12_GLOBAL__N_142_validate_compressed_sparse_indices_kernelILNS2_8CDimNameE1ENS2_18CUDAKernelLauncherENS2_14EmptyVecKernelENS2_8DummyVecELm8EEEvRKNS_6TensorESA_lllENKUlvE0_clEvENKUlvE0_clEvEUllE_St5arrayIPcLm2EEEEviT0_T1_.num_named_barrier, 0
	.set _ZN2at6native29vectorized_elementwise_kernelILi8EZZZNS0_12_GLOBAL__N_142_validate_compressed_sparse_indices_kernelILNS2_8CDimNameE1ENS2_18CUDAKernelLauncherENS2_14EmptyVecKernelENS2_8DummyVecELm8EEEvRKNS_6TensorESA_lllENKUlvE0_clEvENKUlvE0_clEvEUllE_St5arrayIPcLm2EEEEviT0_T1_.private_seg_size, 0
	.set _ZN2at6native29vectorized_elementwise_kernelILi8EZZZNS0_12_GLOBAL__N_142_validate_compressed_sparse_indices_kernelILNS2_8CDimNameE1ENS2_18CUDAKernelLauncherENS2_14EmptyVecKernelENS2_8DummyVecELm8EEEvRKNS_6TensorESA_lllENKUlvE0_clEvENKUlvE0_clEvEUllE_St5arrayIPcLm2EEEEviT0_T1_.uses_vcc, 1
	.set _ZN2at6native29vectorized_elementwise_kernelILi8EZZZNS0_12_GLOBAL__N_142_validate_compressed_sparse_indices_kernelILNS2_8CDimNameE1ENS2_18CUDAKernelLauncherENS2_14EmptyVecKernelENS2_8DummyVecELm8EEEvRKNS_6TensorESA_lllENKUlvE0_clEvENKUlvE0_clEvEUllE_St5arrayIPcLm2EEEEviT0_T1_.uses_flat_scratch, 0
	.set _ZN2at6native29vectorized_elementwise_kernelILi8EZZZNS0_12_GLOBAL__N_142_validate_compressed_sparse_indices_kernelILNS2_8CDimNameE1ENS2_18CUDAKernelLauncherENS2_14EmptyVecKernelENS2_8DummyVecELm8EEEvRKNS_6TensorESA_lllENKUlvE0_clEvENKUlvE0_clEvEUllE_St5arrayIPcLm2EEEEviT0_T1_.has_dyn_sized_stack, 0
	.set _ZN2at6native29vectorized_elementwise_kernelILi8EZZZNS0_12_GLOBAL__N_142_validate_compressed_sparse_indices_kernelILNS2_8CDimNameE1ENS2_18CUDAKernelLauncherENS2_14EmptyVecKernelENS2_8DummyVecELm8EEEvRKNS_6TensorESA_lllENKUlvE0_clEvENKUlvE0_clEvEUllE_St5arrayIPcLm2EEEEviT0_T1_.has_recursion, 0
	.set _ZN2at6native29vectorized_elementwise_kernelILi8EZZZNS0_12_GLOBAL__N_142_validate_compressed_sparse_indices_kernelILNS2_8CDimNameE1ENS2_18CUDAKernelLauncherENS2_14EmptyVecKernelENS2_8DummyVecELm8EEEvRKNS_6TensorESA_lllENKUlvE0_clEvENKUlvE0_clEvEUllE_St5arrayIPcLm2EEEEviT0_T1_.has_indirect_call, 0
	.section	.AMDGPU.csdata,"",@progbits
; Kernel info:
; codeLenInByte = 1580
; TotalNumSgprs: 30
; NumVgprs: 12
; ScratchSize: 0
; MemoryBound: 1
; FloatMode: 240
; IeeeMode: 1
; LDSByteSize: 0 bytes/workgroup (compile time only)
; SGPRBlocks: 0
; VGPRBlocks: 0
; NumSGPRsForWavesPerEU: 30
; NumVGPRsForWavesPerEU: 12
; NamedBarCnt: 0
; Occupancy: 16
; WaveLimiterHint : 0
; COMPUTE_PGM_RSRC2:SCRATCH_EN: 0
; COMPUTE_PGM_RSRC2:USER_SGPR: 2
; COMPUTE_PGM_RSRC2:TRAP_HANDLER: 0
; COMPUTE_PGM_RSRC2:TGID_X_EN: 1
; COMPUTE_PGM_RSRC2:TGID_Y_EN: 0
; COMPUTE_PGM_RSRC2:TGID_Z_EN: 0
; COMPUTE_PGM_RSRC2:TIDIG_COMP_CNT: 0
	.section	.text._ZN2at6native29vectorized_elementwise_kernelILi4EZZZNS0_12_GLOBAL__N_142_validate_compressed_sparse_indices_kernelILNS2_8CDimNameE1ENS2_18CUDAKernelLauncherENS2_14EmptyVecKernelENS2_8DummyVecELm8EEEvRKNS_6TensorESA_lllENKUlvE0_clEvENKUlvE0_clEvEUllE_St5arrayIPcLm2EEEEviT0_T1_,"axG",@progbits,_ZN2at6native29vectorized_elementwise_kernelILi4EZZZNS0_12_GLOBAL__N_142_validate_compressed_sparse_indices_kernelILNS2_8CDimNameE1ENS2_18CUDAKernelLauncherENS2_14EmptyVecKernelENS2_8DummyVecELm8EEEvRKNS_6TensorESA_lllENKUlvE0_clEvENKUlvE0_clEvEUllE_St5arrayIPcLm2EEEEviT0_T1_,comdat
	.globl	_ZN2at6native29vectorized_elementwise_kernelILi4EZZZNS0_12_GLOBAL__N_142_validate_compressed_sparse_indices_kernelILNS2_8CDimNameE1ENS2_18CUDAKernelLauncherENS2_14EmptyVecKernelENS2_8DummyVecELm8EEEvRKNS_6TensorESA_lllENKUlvE0_clEvENKUlvE0_clEvEUllE_St5arrayIPcLm2EEEEviT0_T1_ ; -- Begin function _ZN2at6native29vectorized_elementwise_kernelILi4EZZZNS0_12_GLOBAL__N_142_validate_compressed_sparse_indices_kernelILNS2_8CDimNameE1ENS2_18CUDAKernelLauncherENS2_14EmptyVecKernelENS2_8DummyVecELm8EEEvRKNS_6TensorESA_lllENKUlvE0_clEvENKUlvE0_clEvEUllE_St5arrayIPcLm2EEEEviT0_T1_
	.p2align	8
	.type	_ZN2at6native29vectorized_elementwise_kernelILi4EZZZNS0_12_GLOBAL__N_142_validate_compressed_sparse_indices_kernelILNS2_8CDimNameE1ENS2_18CUDAKernelLauncherENS2_14EmptyVecKernelENS2_8DummyVecELm8EEEvRKNS_6TensorESA_lllENKUlvE0_clEvENKUlvE0_clEvEUllE_St5arrayIPcLm2EEEEviT0_T1_,@function
_ZN2at6native29vectorized_elementwise_kernelILi4EZZZNS0_12_GLOBAL__N_142_validate_compressed_sparse_indices_kernelILNS2_8CDimNameE1ENS2_18CUDAKernelLauncherENS2_14EmptyVecKernelENS2_8DummyVecELm8EEEvRKNS_6TensorESA_lllENKUlvE0_clEvENKUlvE0_clEvEUllE_St5arrayIPcLm2EEEEviT0_T1_: ; @_ZN2at6native29vectorized_elementwise_kernelILi4EZZZNS0_12_GLOBAL__N_142_validate_compressed_sparse_indices_kernelILNS2_8CDimNameE1ENS2_18CUDAKernelLauncherENS2_14EmptyVecKernelENS2_8DummyVecELm8EEEvRKNS_6TensorESA_lllENKUlvE0_clEvENKUlvE0_clEvEUllE_St5arrayIPcLm2EEEEviT0_T1_
; %bb.0:
	s_clause 0x1
	s_load_b32 s3, s[0:1], 0x0
	s_load_b256 s[4:11], s[0:1], 0x8
	s_wait_xcnt 0x0
	s_bfe_u32 s0, ttmp6, 0x4000c
	s_and_b32 s1, ttmp6, 15
	s_add_co_i32 s0, s0, 1
	s_getreg_b32 s2, hwreg(HW_REG_IB_STS2, 6, 4)
	s_mul_i32 s0, ttmp9, s0
	s_mov_b32 s18, 0
	s_add_co_i32 s1, s1, s0
	s_cmp_eq_u32 s2, 0
	s_get_pc_i64 s[12:13]
	s_add_nc_u64 s[12:13], s[12:13], .str.5@rel64+4
	s_cselect_b32 s0, ttmp9, s1
	s_delay_alu instid0(SALU_CYCLE_1)
	s_lshl_b32 s2, s0, 10
	s_mov_b32 s0, -1
	s_wait_kmcnt 0x0
	s_sub_co_i32 s1, s3, s2
	s_mov_b32 s3, 0
	s_cmp_gt_i32 s1, 0x3ff
	s_cbranch_scc0 .LBB74_13
; %bb.1:
	s_cmp_eq_u64 s[12:13], 0
	s_cselect_b32 s19, -1, 0
	s_cmp_lg_u64 s[12:13], 0
	s_cbranch_scc0 .LBB74_11
; %bb.2:
	s_ashr_i32 s3, s2, 31
	v_lshlrev_b32_e32 v6, 5, v0
	s_lshl_b64 s[14:15], s[2:3], 3
	s_delay_alu instid0(SALU_CYCLE_1)
	s_add_nc_u64 s[16:17], s[10:11], s[14:15]
	global_load_b64 v[2:3], v6, s[16:17]
	s_wait_loadcnt 0x0
	v_cmp_le_i64_e32 vcc_lo, s[4:5], v[2:3]
	v_cmp_gt_i64_e64 s0, s[6:7], v[2:3]
	s_and_b32 s0, vcc_lo, s0
	s_delay_alu instid0(SALU_CYCLE_1)
	s_xor_b32 s19, s0, -1
	s_and_saveexec_b32 s3, s0
	s_cbranch_execz .LBB74_10
; %bb.3:
	v_mov_b32_e32 v7, 0
	s_delay_alu instid0(VALU_DEP_1)
	v_add_nc_u64_e32 v[10:11], s[16:17], v[6:7]
	s_clause 0x1
	global_load_b128 v[2:5], v[10:11], off offset:8
	global_load_b64 v[8:9], v[10:11], off offset:24
	s_wait_loadcnt 0x1
	v_cmp_le_i64_e32 vcc_lo, s[4:5], v[2:3]
	v_cmp_gt_i64_e64 s0, s[6:7], v[2:3]
	s_and_b32 s0, vcc_lo, s0
	s_delay_alu instid0(SALU_CYCLE_1)
	s_xor_b32 s16, s0, -1
	s_wait_xcnt 0x0
	s_and_saveexec_b32 s17, s0
	s_cbranch_execz .LBB74_9
; %bb.4:
	v_cmp_le_i64_e32 vcc_lo, s[4:5], v[4:5]
	v_cmp_gt_i64_e64 s0, s[6:7], v[4:5]
	s_mov_b32 s22, -1
	s_and_b32 s0, vcc_lo, s0
	s_delay_alu instid0(SALU_CYCLE_1)
	s_xor_b32 s20, s0, -1
	s_and_saveexec_b32 s21, s0
	s_cbranch_execz .LBB74_8
; %bb.5:
	s_wait_loadcnt 0x0
	v_cmp_le_i64_e32 vcc_lo, s[4:5], v[8:9]
	v_cmp_gt_i64_e64 s0, s[6:7], v[8:9]
	s_and_b32 s0, vcc_lo, s0
	s_delay_alu instid0(SALU_CYCLE_1) | instskip(NEXT) | instid1(SALU_CYCLE_1)
	s_and_saveexec_b32 s23, s0
	s_xor_b32 s0, exec_lo, s23
; %bb.6:
	s_mov_b32 s24, 0
	s_add_nc_u64 s[14:15], s[8:9], s[14:15]
	s_mov_b32 s25, s24
	s_mov_b32 s26, s24
	;; [unrolled: 1-line block ×3, first 2 shown]
	v_mov_b64_e32 v[2:3], s[24:25]
	v_mov_b64_e32 v[4:5], s[26:27]
	s_xor_b32 s22, exec_lo, -1
	s_clause 0x1
	global_store_b128 v6, v[2:5], s[14:15]
	global_store_b128 v6, v[2:5], s[14:15] offset:16
; %bb.7:
	s_wait_xcnt 0x0
	s_or_b32 exec_lo, exec_lo, s0
	s_delay_alu instid0(SALU_CYCLE_1) | instskip(SKIP_1) | instid1(SALU_CYCLE_1)
	s_and_not1_b32 s0, s20, exec_lo
	s_and_b32 s14, s22, exec_lo
	s_or_b32 s20, s0, s14
.LBB74_8:
	s_or_b32 exec_lo, exec_lo, s21
	s_delay_alu instid0(SALU_CYCLE_1) | instskip(SKIP_1) | instid1(SALU_CYCLE_1)
	s_and_not1_b32 s0, s16, exec_lo
	s_and_b32 s14, s20, exec_lo
	s_or_b32 s16, s0, s14
.LBB74_9:
	s_or_b32 exec_lo, exec_lo, s17
	s_delay_alu instid0(SALU_CYCLE_1) | instskip(SKIP_1) | instid1(SALU_CYCLE_1)
	s_and_not1_b32 s0, s19, exec_lo
	s_and_b32 s14, s16, exec_lo
	s_or_b32 s19, s0, s14
.LBB74_10:
	s_or_b32 exec_lo, exec_lo, s3
.LBB74_11:
	s_mov_b32 s0, 0
	s_mov_b32 s3, 0
	s_and_saveexec_b32 s14, s19
	s_delay_alu instid0(SALU_CYCLE_1)
	s_xor_b32 s14, exec_lo, s14
	s_cbranch_execnz .LBB74_51
.LBB74_12:
	s_or_b32 exec_lo, exec_lo, s14
.LBB74_13:
	s_delay_alu instid0(SALU_CYCLE_1)
	s_and_b32 vcc_lo, exec_lo, s0
	s_cbranch_vccz .LBB74_26
; %bb.14:
	v_mov_b64_e32 v[4:5], 0
	s_wait_loadcnt 0x0
	v_mov_b64_e32 v[8:9], 0
	v_cmp_le_i32_e64 s15, s1, v0
	v_cmp_gt_i32_e64 s14, s1, v0
	v_or_b32_e32 v1, 0x100, v0
	v_mov_b32_e32 v10, v0
	s_and_saveexec_b32 s0, s14
	s_cbranch_execz .LBB74_16
; %bb.15:
	v_or_b32_e32 v2, s2, v0
	v_or_b32_e32 v10, 0x100, v0
	global_load_b64 v[8:9], v2, s[10:11] scale_offset
.LBB74_16:
	s_wait_xcnt 0x0
	s_or_b32 exec_lo, exec_lo, s0
	s_delay_alu instid0(SALU_CYCLE_1)
	s_mov_b32 s0, exec_lo
	v_cmpx_gt_i32_e64 s1, v10
	s_cbranch_execz .LBB74_18
; %bb.17:
	v_add_nc_u32_e32 v2, s2, v10
	v_add_nc_u32_e32 v10, 0x100, v10
	global_load_b64 v[4:5], v2, s[10:11] scale_offset
.LBB74_18:
	s_wait_xcnt 0x0
	s_or_b32 exec_lo, exec_lo, s0
	v_mov_b64_e32 v[2:3], 0
	v_mov_b64_e32 v[6:7], 0
	s_mov_b32 s0, exec_lo
	v_cmpx_gt_i32_e64 s1, v10
	s_cbranch_execz .LBB74_20
; %bb.19:
	v_add_nc_u32_e32 v6, s2, v10
	v_add_nc_u32_e32 v10, 0x100, v10
	global_load_b64 v[6:7], v6, s[10:11] scale_offset
.LBB74_20:
	s_wait_xcnt 0x0
	s_or_b32 exec_lo, exec_lo, s0
	s_delay_alu instid0(SALU_CYCLE_1)
	s_mov_b32 s0, exec_lo
	v_cmpx_gt_i32_e64 s1, v10
	s_cbranch_execz .LBB74_22
; %bb.21:
	v_add_nc_u32_e32 v2, s2, v10
	global_load_b64 v[2:3], v2, s[10:11] scale_offset
.LBB74_22:
	s_wait_xcnt 0x0
	s_or_b32 exec_lo, exec_lo, s0
	s_cmp_lg_u64 s[12:13], 0
	s_mov_b32 s10, 0
	s_cselect_b32 s12, -1, 0
	s_and_saveexec_b32 s11, s14
	s_cbranch_execnz .LBB74_35
; %bb.23:
	s_or_b32 exec_lo, exec_lo, s11
	s_and_saveexec_b32 s11, s15
	s_cbranch_execnz .LBB74_36
.LBB74_24:
	s_or_b32 exec_lo, exec_lo, s11
	s_and_saveexec_b32 s0, s10
	s_cbranch_execnz .LBB74_47
.LBB74_25:
	s_or_b32 exec_lo, exec_lo, s0
	s_and_saveexec_b32 s0, s3
	s_cbranch_execnz .LBB74_27
	s_branch .LBB74_28
.LBB74_26:
                                        ; implicit-def: $sgpr14
                                        ; implicit-def: $vgpr1
                                        ; implicit-def: $vgpr0
	s_and_saveexec_b32 s0, s3
.LBB74_27:
	; divergent unreachable
.LBB74_28:
	s_delay_alu instid0(SALU_CYCLE_1) | instskip(SKIP_1) | instid1(SALU_CYCLE_1)
	s_or_b32 exec_lo, exec_lo, s0
	s_and_saveexec_b32 s0, s18
	s_xor_b32 s0, exec_lo, s0
	s_cbranch_execz .LBB74_34
; %bb.29:
	s_and_saveexec_b32 s0, s14
	s_delay_alu instid0(SALU_CYCLE_1)
	s_xor_b32 s0, exec_lo, s0
	s_cbranch_execnz .LBB74_48
; %bb.30:
	s_or_b32 exec_lo, exec_lo, s0
	s_delay_alu instid0(SALU_CYCLE_1)
	s_mov_b32 s0, exec_lo
	v_cmpx_gt_i32_e64 s1, v0
	s_cbranch_execnz .LBB74_49
.LBB74_31:
	s_or_b32 exec_lo, exec_lo, s0
	s_delay_alu instid0(SALU_CYCLE_1)
	s_mov_b32 s0, exec_lo
	v_cmpx_gt_i32_e64 s1, v0
	s_cbranch_execnz .LBB74_50
.LBB74_32:
	s_or_b32 exec_lo, exec_lo, s0
	s_delay_alu instid0(SALU_CYCLE_1)
	s_mov_b32 s0, exec_lo
	v_cmpx_gt_i32_e64 s1, v0
	s_cbranch_execz .LBB74_34
.LBB74_33:
	s_wait_loadcnt 0x0
	v_mov_b64_e32 v[2:3], 0
	v_add_nc_u32_e32 v0, s2, v0
	global_store_b64 v0, v[2:3], s[8:9] scale_offset
.LBB74_34:
	s_endpgm
.LBB74_35:
	s_wait_loadcnt 0x0
	v_cmp_le_i64_e32 vcc_lo, s[4:5], v[8:9]
	v_cmp_gt_i64_e64 s0, s[6:7], v[8:9]
	s_and_not1_b32 s13, s15, exec_lo
	s_mov_b32 s10, exec_lo
	s_and_b32 s0, vcc_lo, s0
	s_delay_alu instid0(SALU_CYCLE_1) | instskip(NEXT) | instid1(SALU_CYCLE_1)
	s_and_b32 s0, s12, s0
	s_and_b32 s0, s0, exec_lo
	s_delay_alu instid0(SALU_CYCLE_1)
	s_or_b32 s15, s13, s0
	s_or_b32 exec_lo, exec_lo, s11
	s_and_saveexec_b32 s11, s15
	s_cbranch_execz .LBB74_24
.LBB74_36:
	v_cmp_le_i32_e64 s17, s1, v1
	s_mov_b32 s16, 0
	s_mov_b32 s13, 0
	s_mov_b32 s15, exec_lo
	v_cmpx_gt_i32_e64 s1, v1
	s_cbranch_execz .LBB74_38
; %bb.37:
	s_wait_loadcnt 0x0
	v_cmp_le_i64_e32 vcc_lo, s[4:5], v[4:5]
	v_cmp_gt_i64_e64 s0, s[6:7], v[4:5]
	s_and_not1_b32 s17, s17, exec_lo
	s_mov_b32 s13, exec_lo
	s_and_b32 s0, vcc_lo, s0
	s_delay_alu instid0(SALU_CYCLE_1) | instskip(NEXT) | instid1(SALU_CYCLE_1)
	s_and_b32 s0, s12, s0
	s_and_b32 s0, s0, exec_lo
	s_delay_alu instid0(SALU_CYCLE_1)
	s_or_b32 s17, s17, s0
.LBB74_38:
	s_or_b32 exec_lo, exec_lo, s15
	s_and_saveexec_b32 s15, s17
	s_cbranch_execz .LBB74_46
; %bb.39:
	s_wait_loadcnt 0x0
	v_or_b32_e32 v4, 0x200, v0
	s_mov_b32 s17, exec_lo
	s_delay_alu instid0(VALU_DEP_1)
	v_cmp_le_i32_e64 s19, s1, v4
	v_cmpx_gt_i32_e64 s1, v4
; %bb.40:
	v_cmp_le_i64_e32 vcc_lo, s[4:5], v[6:7]
	v_cmp_gt_i64_e64 s0, s[6:7], v[6:7]
	s_and_not1_b32 s19, s19, exec_lo
	s_mov_b32 s16, exec_lo
	s_and_b32 s0, vcc_lo, s0
	s_delay_alu instid0(SALU_CYCLE_1) | instskip(NEXT) | instid1(SALU_CYCLE_1)
	s_and_b32 s0, s12, s0
	s_and_b32 s0, s0, exec_lo
	s_delay_alu instid0(SALU_CYCLE_1)
	s_or_b32 s19, s19, s0
; %bb.41:
	s_or_b32 exec_lo, exec_lo, s17
	s_and_saveexec_b32 s17, s19
	s_cbranch_execz .LBB74_45
; %bb.42:
	v_or_b32_e32 v4, 0x300, v0
	s_mov_b32 s0, 0
	s_mov_b32 s19, exec_lo
	s_delay_alu instid0(VALU_DEP_1)
	v_cmp_le_i32_e64 s18, s1, v4
	v_cmpx_gt_i32_e64 s1, v4
	s_xor_b32 s19, exec_lo, s19
; %bb.43:
	v_cmp_le_i64_e32 vcc_lo, s[4:5], v[2:3]
	v_cmp_gt_i64_e64 s0, s[6:7], v[2:3]
	s_or_b32 s18, s18, exec_lo
	s_and_b32 s0, vcc_lo, s0
	s_delay_alu instid0(SALU_CYCLE_1) | instskip(NEXT) | instid1(SALU_CYCLE_1)
	s_and_b32 s0, s12, s0
	s_xor_b32 s0, s0, -1
	s_delay_alu instid0(SALU_CYCLE_1)
	s_and_b32 s0, s0, exec_lo
; %bb.44:
	s_or_b32 exec_lo, exec_lo, s19
	s_delay_alu instid0(SALU_CYCLE_1)
	s_and_not1_b32 s4, s16, exec_lo
	s_and_b32 s0, s0, exec_lo
	s_and_b32 s18, s18, exec_lo
	s_or_b32 s16, s4, s0
.LBB74_45:
	s_or_b32 exec_lo, exec_lo, s17
	s_delay_alu instid0(SALU_CYCLE_1)
	s_and_not1_b32 s0, s13, exec_lo
	s_and_b32 s4, s16, exec_lo
	s_and_b32 s16, s18, exec_lo
	s_or_b32 s13, s0, s4
.LBB74_46:
	s_or_b32 exec_lo, exec_lo, s15
	s_delay_alu instid0(SALU_CYCLE_1)
	s_and_not1_b32 s0, s10, exec_lo
	s_and_b32 s4, s13, exec_lo
	s_and_b32 s18, s16, exec_lo
	s_or_b32 s10, s0, s4
	s_or_b32 exec_lo, exec_lo, s11
	s_and_saveexec_b32 s0, s10
	s_cbranch_execz .LBB74_25
.LBB74_47:
	s_and_not1_b32 s18, s18, exec_lo
	s_or_b32 s3, s3, exec_lo
	s_trap 2
	s_or_b32 exec_lo, exec_lo, s0
	s_and_saveexec_b32 s0, s3
	s_cbranch_execnz .LBB74_27
	s_branch .LBB74_28
.LBB74_48:
	s_wait_loadcnt 0x0
	v_mov_b64_e32 v[2:3], 0
	v_dual_mov_b32 v0, v1 :: v_dual_bitop2_b32 v4, s2, v0 bitop3:0x54
	global_store_b64 v4, v[2:3], s[8:9] scale_offset
	s_wait_xcnt 0x0
	s_or_b32 exec_lo, exec_lo, s0
	s_delay_alu instid0(SALU_CYCLE_1)
	s_mov_b32 s0, exec_lo
	v_cmpx_gt_i32_e64 s1, v0
	s_cbranch_execz .LBB74_31
.LBB74_49:
	s_wait_loadcnt 0x0
	v_mov_b64_e32 v[2:3], 0
	v_add_nc_u32_e32 v1, s2, v0
	v_add_nc_u32_e32 v0, 0x100, v0
	global_store_b64 v1, v[2:3], s[8:9] scale_offset
	s_wait_xcnt 0x0
	s_or_b32 exec_lo, exec_lo, s0
	s_delay_alu instid0(SALU_CYCLE_1)
	s_mov_b32 s0, exec_lo
	v_cmpx_gt_i32_e64 s1, v0
	s_cbranch_execz .LBB74_32
.LBB74_50:
	s_wait_loadcnt 0x0
	v_mov_b64_e32 v[2:3], 0
	v_add_nc_u32_e32 v1, s2, v0
	v_add_nc_u32_e32 v0, 0x100, v0
	global_store_b64 v1, v[2:3], s[8:9] scale_offset
	s_wait_xcnt 0x0
	s_or_b32 exec_lo, exec_lo, s0
	s_delay_alu instid0(SALU_CYCLE_1)
	s_mov_b32 s0, exec_lo
	v_cmpx_gt_i32_e64 s1, v0
	s_cbranch_execnz .LBB74_33
	s_branch .LBB74_34
.LBB74_51:
	s_mov_b32 s3, exec_lo
	s_trap 2
	s_branch .LBB74_12
	.section	.rodata,"a",@progbits
	.p2align	6, 0x0
	.amdhsa_kernel _ZN2at6native29vectorized_elementwise_kernelILi4EZZZNS0_12_GLOBAL__N_142_validate_compressed_sparse_indices_kernelILNS2_8CDimNameE1ENS2_18CUDAKernelLauncherENS2_14EmptyVecKernelENS2_8DummyVecELm8EEEvRKNS_6TensorESA_lllENKUlvE0_clEvENKUlvE0_clEvEUllE_St5arrayIPcLm2EEEEviT0_T1_
		.amdhsa_group_segment_fixed_size 0
		.amdhsa_private_segment_fixed_size 0
		.amdhsa_kernarg_size 40
		.amdhsa_user_sgpr_count 2
		.amdhsa_user_sgpr_dispatch_ptr 0
		.amdhsa_user_sgpr_queue_ptr 0
		.amdhsa_user_sgpr_kernarg_segment_ptr 1
		.amdhsa_user_sgpr_dispatch_id 0
		.amdhsa_user_sgpr_kernarg_preload_length 0
		.amdhsa_user_sgpr_kernarg_preload_offset 0
		.amdhsa_user_sgpr_private_segment_size 0
		.amdhsa_wavefront_size32 1
		.amdhsa_uses_dynamic_stack 0
		.amdhsa_enable_private_segment 0
		.amdhsa_system_sgpr_workgroup_id_x 1
		.amdhsa_system_sgpr_workgroup_id_y 0
		.amdhsa_system_sgpr_workgroup_id_z 0
		.amdhsa_system_sgpr_workgroup_info 0
		.amdhsa_system_vgpr_workitem_id 0
		.amdhsa_next_free_vgpr 12
		.amdhsa_next_free_sgpr 28
		.amdhsa_named_barrier_count 0
		.amdhsa_reserve_vcc 1
		.amdhsa_float_round_mode_32 0
		.amdhsa_float_round_mode_16_64 0
		.amdhsa_float_denorm_mode_32 3
		.amdhsa_float_denorm_mode_16_64 3
		.amdhsa_fp16_overflow 0
		.amdhsa_memory_ordered 1
		.amdhsa_forward_progress 1
		.amdhsa_inst_pref_size 13
		.amdhsa_round_robin_scheduling 0
		.amdhsa_exception_fp_ieee_invalid_op 0
		.amdhsa_exception_fp_denorm_src 0
		.amdhsa_exception_fp_ieee_div_zero 0
		.amdhsa_exception_fp_ieee_overflow 0
		.amdhsa_exception_fp_ieee_underflow 0
		.amdhsa_exception_fp_ieee_inexact 0
		.amdhsa_exception_int_div_zero 0
	.end_amdhsa_kernel
	.section	.text._ZN2at6native29vectorized_elementwise_kernelILi4EZZZNS0_12_GLOBAL__N_142_validate_compressed_sparse_indices_kernelILNS2_8CDimNameE1ENS2_18CUDAKernelLauncherENS2_14EmptyVecKernelENS2_8DummyVecELm8EEEvRKNS_6TensorESA_lllENKUlvE0_clEvENKUlvE0_clEvEUllE_St5arrayIPcLm2EEEEviT0_T1_,"axG",@progbits,_ZN2at6native29vectorized_elementwise_kernelILi4EZZZNS0_12_GLOBAL__N_142_validate_compressed_sparse_indices_kernelILNS2_8CDimNameE1ENS2_18CUDAKernelLauncherENS2_14EmptyVecKernelENS2_8DummyVecELm8EEEvRKNS_6TensorESA_lllENKUlvE0_clEvENKUlvE0_clEvEUllE_St5arrayIPcLm2EEEEviT0_T1_,comdat
.Lfunc_end74:
	.size	_ZN2at6native29vectorized_elementwise_kernelILi4EZZZNS0_12_GLOBAL__N_142_validate_compressed_sparse_indices_kernelILNS2_8CDimNameE1ENS2_18CUDAKernelLauncherENS2_14EmptyVecKernelENS2_8DummyVecELm8EEEvRKNS_6TensorESA_lllENKUlvE0_clEvENKUlvE0_clEvEUllE_St5arrayIPcLm2EEEEviT0_T1_, .Lfunc_end74-_ZN2at6native29vectorized_elementwise_kernelILi4EZZZNS0_12_GLOBAL__N_142_validate_compressed_sparse_indices_kernelILNS2_8CDimNameE1ENS2_18CUDAKernelLauncherENS2_14EmptyVecKernelENS2_8DummyVecELm8EEEvRKNS_6TensorESA_lllENKUlvE0_clEvENKUlvE0_clEvEUllE_St5arrayIPcLm2EEEEviT0_T1_
                                        ; -- End function
	.set _ZN2at6native29vectorized_elementwise_kernelILi4EZZZNS0_12_GLOBAL__N_142_validate_compressed_sparse_indices_kernelILNS2_8CDimNameE1ENS2_18CUDAKernelLauncherENS2_14EmptyVecKernelENS2_8DummyVecELm8EEEvRKNS_6TensorESA_lllENKUlvE0_clEvENKUlvE0_clEvEUllE_St5arrayIPcLm2EEEEviT0_T1_.num_vgpr, 12
	.set _ZN2at6native29vectorized_elementwise_kernelILi4EZZZNS0_12_GLOBAL__N_142_validate_compressed_sparse_indices_kernelILNS2_8CDimNameE1ENS2_18CUDAKernelLauncherENS2_14EmptyVecKernelENS2_8DummyVecELm8EEEvRKNS_6TensorESA_lllENKUlvE0_clEvENKUlvE0_clEvEUllE_St5arrayIPcLm2EEEEviT0_T1_.num_agpr, 0
	.set _ZN2at6native29vectorized_elementwise_kernelILi4EZZZNS0_12_GLOBAL__N_142_validate_compressed_sparse_indices_kernelILNS2_8CDimNameE1ENS2_18CUDAKernelLauncherENS2_14EmptyVecKernelENS2_8DummyVecELm8EEEvRKNS_6TensorESA_lllENKUlvE0_clEvENKUlvE0_clEvEUllE_St5arrayIPcLm2EEEEviT0_T1_.numbered_sgpr, 28
	.set _ZN2at6native29vectorized_elementwise_kernelILi4EZZZNS0_12_GLOBAL__N_142_validate_compressed_sparse_indices_kernelILNS2_8CDimNameE1ENS2_18CUDAKernelLauncherENS2_14EmptyVecKernelENS2_8DummyVecELm8EEEvRKNS_6TensorESA_lllENKUlvE0_clEvENKUlvE0_clEvEUllE_St5arrayIPcLm2EEEEviT0_T1_.num_named_barrier, 0
	.set _ZN2at6native29vectorized_elementwise_kernelILi4EZZZNS0_12_GLOBAL__N_142_validate_compressed_sparse_indices_kernelILNS2_8CDimNameE1ENS2_18CUDAKernelLauncherENS2_14EmptyVecKernelENS2_8DummyVecELm8EEEvRKNS_6TensorESA_lllENKUlvE0_clEvENKUlvE0_clEvEUllE_St5arrayIPcLm2EEEEviT0_T1_.private_seg_size, 0
	.set _ZN2at6native29vectorized_elementwise_kernelILi4EZZZNS0_12_GLOBAL__N_142_validate_compressed_sparse_indices_kernelILNS2_8CDimNameE1ENS2_18CUDAKernelLauncherENS2_14EmptyVecKernelENS2_8DummyVecELm8EEEvRKNS_6TensorESA_lllENKUlvE0_clEvENKUlvE0_clEvEUllE_St5arrayIPcLm2EEEEviT0_T1_.uses_vcc, 1
	.set _ZN2at6native29vectorized_elementwise_kernelILi4EZZZNS0_12_GLOBAL__N_142_validate_compressed_sparse_indices_kernelILNS2_8CDimNameE1ENS2_18CUDAKernelLauncherENS2_14EmptyVecKernelENS2_8DummyVecELm8EEEvRKNS_6TensorESA_lllENKUlvE0_clEvENKUlvE0_clEvEUllE_St5arrayIPcLm2EEEEviT0_T1_.uses_flat_scratch, 0
	.set _ZN2at6native29vectorized_elementwise_kernelILi4EZZZNS0_12_GLOBAL__N_142_validate_compressed_sparse_indices_kernelILNS2_8CDimNameE1ENS2_18CUDAKernelLauncherENS2_14EmptyVecKernelENS2_8DummyVecELm8EEEvRKNS_6TensorESA_lllENKUlvE0_clEvENKUlvE0_clEvEUllE_St5arrayIPcLm2EEEEviT0_T1_.has_dyn_sized_stack, 0
	.set _ZN2at6native29vectorized_elementwise_kernelILi4EZZZNS0_12_GLOBAL__N_142_validate_compressed_sparse_indices_kernelILNS2_8CDimNameE1ENS2_18CUDAKernelLauncherENS2_14EmptyVecKernelENS2_8DummyVecELm8EEEvRKNS_6TensorESA_lllENKUlvE0_clEvENKUlvE0_clEvEUllE_St5arrayIPcLm2EEEEviT0_T1_.has_recursion, 0
	.set _ZN2at6native29vectorized_elementwise_kernelILi4EZZZNS0_12_GLOBAL__N_142_validate_compressed_sparse_indices_kernelILNS2_8CDimNameE1ENS2_18CUDAKernelLauncherENS2_14EmptyVecKernelENS2_8DummyVecELm8EEEvRKNS_6TensorESA_lllENKUlvE0_clEvENKUlvE0_clEvEUllE_St5arrayIPcLm2EEEEviT0_T1_.has_indirect_call, 0
	.section	.AMDGPU.csdata,"",@progbits
; Kernel info:
; codeLenInByte = 1580
; TotalNumSgprs: 30
; NumVgprs: 12
; ScratchSize: 0
; MemoryBound: 1
; FloatMode: 240
; IeeeMode: 1
; LDSByteSize: 0 bytes/workgroup (compile time only)
; SGPRBlocks: 0
; VGPRBlocks: 0
; NumSGPRsForWavesPerEU: 30
; NumVGPRsForWavesPerEU: 12
; NamedBarCnt: 0
; Occupancy: 16
; WaveLimiterHint : 0
; COMPUTE_PGM_RSRC2:SCRATCH_EN: 0
; COMPUTE_PGM_RSRC2:USER_SGPR: 2
; COMPUTE_PGM_RSRC2:TRAP_HANDLER: 0
; COMPUTE_PGM_RSRC2:TGID_X_EN: 1
; COMPUTE_PGM_RSRC2:TGID_Y_EN: 0
; COMPUTE_PGM_RSRC2:TGID_Z_EN: 0
; COMPUTE_PGM_RSRC2:TIDIG_COMP_CNT: 0
	.section	.text._ZN2at6native29vectorized_elementwise_kernelILi2EZZZNS0_12_GLOBAL__N_142_validate_compressed_sparse_indices_kernelILNS2_8CDimNameE1ENS2_18CUDAKernelLauncherENS2_14EmptyVecKernelENS2_8DummyVecELm8EEEvRKNS_6TensorESA_lllENKUlvE0_clEvENKUlvE0_clEvEUllE_St5arrayIPcLm2EEEEviT0_T1_,"axG",@progbits,_ZN2at6native29vectorized_elementwise_kernelILi2EZZZNS0_12_GLOBAL__N_142_validate_compressed_sparse_indices_kernelILNS2_8CDimNameE1ENS2_18CUDAKernelLauncherENS2_14EmptyVecKernelENS2_8DummyVecELm8EEEvRKNS_6TensorESA_lllENKUlvE0_clEvENKUlvE0_clEvEUllE_St5arrayIPcLm2EEEEviT0_T1_,comdat
	.globl	_ZN2at6native29vectorized_elementwise_kernelILi2EZZZNS0_12_GLOBAL__N_142_validate_compressed_sparse_indices_kernelILNS2_8CDimNameE1ENS2_18CUDAKernelLauncherENS2_14EmptyVecKernelENS2_8DummyVecELm8EEEvRKNS_6TensorESA_lllENKUlvE0_clEvENKUlvE0_clEvEUllE_St5arrayIPcLm2EEEEviT0_T1_ ; -- Begin function _ZN2at6native29vectorized_elementwise_kernelILi2EZZZNS0_12_GLOBAL__N_142_validate_compressed_sparse_indices_kernelILNS2_8CDimNameE1ENS2_18CUDAKernelLauncherENS2_14EmptyVecKernelENS2_8DummyVecELm8EEEvRKNS_6TensorESA_lllENKUlvE0_clEvENKUlvE0_clEvEUllE_St5arrayIPcLm2EEEEviT0_T1_
	.p2align	8
	.type	_ZN2at6native29vectorized_elementwise_kernelILi2EZZZNS0_12_GLOBAL__N_142_validate_compressed_sparse_indices_kernelILNS2_8CDimNameE1ENS2_18CUDAKernelLauncherENS2_14EmptyVecKernelENS2_8DummyVecELm8EEEvRKNS_6TensorESA_lllENKUlvE0_clEvENKUlvE0_clEvEUllE_St5arrayIPcLm2EEEEviT0_T1_,@function
_ZN2at6native29vectorized_elementwise_kernelILi2EZZZNS0_12_GLOBAL__N_142_validate_compressed_sparse_indices_kernelILNS2_8CDimNameE1ENS2_18CUDAKernelLauncherENS2_14EmptyVecKernelENS2_8DummyVecELm8EEEvRKNS_6TensorESA_lllENKUlvE0_clEvENKUlvE0_clEvEUllE_St5arrayIPcLm2EEEEviT0_T1_: ; @_ZN2at6native29vectorized_elementwise_kernelILi2EZZZNS0_12_GLOBAL__N_142_validate_compressed_sparse_indices_kernelILNS2_8CDimNameE1ENS2_18CUDAKernelLauncherENS2_14EmptyVecKernelENS2_8DummyVecELm8EEEvRKNS_6TensorESA_lllENKUlvE0_clEvENKUlvE0_clEvEUllE_St5arrayIPcLm2EEEEviT0_T1_
; %bb.0:
	s_clause 0x1
	s_load_b32 s3, s[0:1], 0x0
	s_load_b256 s[4:11], s[0:1], 0x8
	s_wait_xcnt 0x0
	s_bfe_u32 s0, ttmp6, 0x4000c
	s_and_b32 s1, ttmp6, 15
	s_add_co_i32 s0, s0, 1
	s_getreg_b32 s2, hwreg(HW_REG_IB_STS2, 6, 4)
	s_mul_i32 s0, ttmp9, s0
	s_mov_b32 s18, 0
	s_add_co_i32 s1, s1, s0
	s_cmp_eq_u32 s2, 0
	s_get_pc_i64 s[12:13]
	s_add_nc_u64 s[12:13], s[12:13], .str.5@rel64+4
	s_cselect_b32 s0, ttmp9, s1
	s_delay_alu instid0(SALU_CYCLE_1)
	s_lshl_b32 s2, s0, 10
	s_mov_b32 s0, -1
	s_wait_kmcnt 0x0
	s_sub_co_i32 s1, s3, s2
	s_mov_b32 s3, 0
	s_cmp_gt_i32 s1, 0x3ff
	s_cbranch_scc0 .LBB75_13
; %bb.1:
	s_cmp_eq_u64 s[12:13], 0
	s_cselect_b32 s19, -1, 0
	s_cmp_lg_u64 s[12:13], 0
	s_cbranch_scc0 .LBB75_11
; %bb.2:
	s_ashr_i32 s3, s2, 31
	v_lshlrev_b32_e32 v2, 4, v0
	s_lshl_b64 s[14:15], s[2:3], 3
	s_delay_alu instid0(SALU_CYCLE_1)
	s_add_nc_u64 s[16:17], s[10:11], s[14:15]
	global_load_b64 v[4:5], v2, s[16:17]
	s_wait_loadcnt 0x0
	v_cmp_le_i64_e32 vcc_lo, s[4:5], v[4:5]
	v_cmp_gt_i64_e64 s0, s[6:7], v[4:5]
	s_and_b32 s0, vcc_lo, s0
	s_delay_alu instid0(SALU_CYCLE_1)
	s_xor_b32 s19, s0, -1
	s_and_saveexec_b32 s3, s0
	s_cbranch_execz .LBB75_10
; %bb.3:
	v_mov_b32_e32 v3, 0
	s_delay_alu instid0(VALU_DEP_1)
	v_add_nc_u64_e32 v[2:3], s[16:17], v[2:3]
	global_load_b64 v[4:5], v[2:3], off offset:8
	s_wait_loadcnt 0x0
	v_cmp_le_i64_e32 vcc_lo, s[4:5], v[4:5]
	v_cmp_gt_i64_e64 s0, s[6:7], v[4:5]
	s_and_b32 s0, vcc_lo, s0
	s_delay_alu instid0(SALU_CYCLE_1)
	s_xor_b32 s16, s0, -1
	s_and_saveexec_b32 s17, s0
	s_cbranch_execz .LBB75_9
; %bb.4:
	global_load_b128 v[2:5], v[2:3], off offset:4096
	s_mov_b32 s22, -1
	s_wait_loadcnt 0x0
	v_cmp_le_i64_e32 vcc_lo, s[4:5], v[2:3]
	v_cmp_gt_i64_e64 s0, s[6:7], v[2:3]
	s_and_b32 s0, vcc_lo, s0
	s_delay_alu instid0(SALU_CYCLE_1)
	s_xor_b32 s20, s0, -1
	s_and_saveexec_b32 s21, s0
	s_cbranch_execz .LBB75_8
; %bb.5:
	v_cmp_le_i64_e32 vcc_lo, s[4:5], v[4:5]
	v_cmp_gt_i64_e64 s0, s[6:7], v[4:5]
	s_and_b32 s0, vcc_lo, s0
	s_delay_alu instid0(SALU_CYCLE_1) | instskip(NEXT) | instid1(SALU_CYCLE_1)
	s_and_saveexec_b32 s23, s0
	s_xor_b32 s0, exec_lo, s23
; %bb.6:
	s_mov_b32 s24, 0
	s_add_nc_u64 s[14:15], s[8:9], s[14:15]
	s_mov_b32 s25, s24
	s_mov_b32 s26, s24
	;; [unrolled: 1-line block ×3, first 2 shown]
	v_mov_b64_e32 v[2:3], s[24:25]
	v_mov_b64_e32 v[4:5], s[26:27]
	s_xor_b32 s22, exec_lo, -1
	s_clause 0x1
	global_store_b128 v0, v[2:5], s[14:15] scale_offset
	global_store_b128 v0, v[2:5], s[14:15] offset:4096 scale_offset
; %bb.7:
	s_wait_xcnt 0x0
	s_or_b32 exec_lo, exec_lo, s0
	s_delay_alu instid0(SALU_CYCLE_1) | instskip(SKIP_1) | instid1(SALU_CYCLE_1)
	s_and_not1_b32 s0, s20, exec_lo
	s_and_b32 s14, s22, exec_lo
	s_or_b32 s20, s0, s14
.LBB75_8:
	s_or_b32 exec_lo, exec_lo, s21
	s_delay_alu instid0(SALU_CYCLE_1) | instskip(SKIP_1) | instid1(SALU_CYCLE_1)
	s_and_not1_b32 s0, s16, exec_lo
	s_and_b32 s14, s20, exec_lo
	s_or_b32 s16, s0, s14
.LBB75_9:
	s_or_b32 exec_lo, exec_lo, s17
	s_delay_alu instid0(SALU_CYCLE_1) | instskip(SKIP_1) | instid1(SALU_CYCLE_1)
	s_and_not1_b32 s0, s19, exec_lo
	s_and_b32 s14, s16, exec_lo
	s_or_b32 s19, s0, s14
.LBB75_10:
	s_or_b32 exec_lo, exec_lo, s3
.LBB75_11:
	s_mov_b32 s0, 0
	s_mov_b32 s3, 0
	s_and_saveexec_b32 s14, s19
	s_delay_alu instid0(SALU_CYCLE_1)
	s_xor_b32 s14, exec_lo, s14
	s_cbranch_execnz .LBB75_51
.LBB75_12:
	s_or_b32 exec_lo, exec_lo, s14
.LBB75_13:
	s_delay_alu instid0(SALU_CYCLE_1)
	s_and_b32 vcc_lo, exec_lo, s0
	s_cbranch_vccz .LBB75_26
; %bb.14:
	v_mov_b64_e32 v[4:5], 0
	v_mov_b64_e32 v[8:9], 0
	v_cmp_le_i32_e64 s15, s1, v0
	v_cmp_gt_i32_e64 s14, s1, v0
	v_or_b32_e32 v1, 0x100, v0
	v_mov_b32_e32 v10, v0
	s_and_saveexec_b32 s0, s14
	s_cbranch_execz .LBB75_16
; %bb.15:
	v_or_b32_e32 v2, s2, v0
	v_or_b32_e32 v10, 0x100, v0
	global_load_b64 v[8:9], v2, s[10:11] scale_offset
.LBB75_16:
	s_wait_xcnt 0x0
	s_or_b32 exec_lo, exec_lo, s0
	s_delay_alu instid0(SALU_CYCLE_1)
	s_mov_b32 s0, exec_lo
	v_cmpx_gt_i32_e64 s1, v10
	s_cbranch_execz .LBB75_18
; %bb.17:
	v_add_nc_u32_e32 v2, s2, v10
	v_add_nc_u32_e32 v10, 0x100, v10
	global_load_b64 v[4:5], v2, s[10:11] scale_offset
.LBB75_18:
	s_wait_xcnt 0x0
	s_or_b32 exec_lo, exec_lo, s0
	v_mov_b64_e32 v[2:3], 0
	v_mov_b64_e32 v[6:7], 0
	s_mov_b32 s0, exec_lo
	v_cmpx_gt_i32_e64 s1, v10
	s_cbranch_execz .LBB75_20
; %bb.19:
	v_add_nc_u32_e32 v6, s2, v10
	v_add_nc_u32_e32 v10, 0x100, v10
	global_load_b64 v[6:7], v6, s[10:11] scale_offset
.LBB75_20:
	s_wait_xcnt 0x0
	s_or_b32 exec_lo, exec_lo, s0
	s_delay_alu instid0(SALU_CYCLE_1)
	s_mov_b32 s0, exec_lo
	v_cmpx_gt_i32_e64 s1, v10
	s_cbranch_execz .LBB75_22
; %bb.21:
	v_add_nc_u32_e32 v2, s2, v10
	global_load_b64 v[2:3], v2, s[10:11] scale_offset
.LBB75_22:
	s_wait_xcnt 0x0
	s_or_b32 exec_lo, exec_lo, s0
	s_cmp_lg_u64 s[12:13], 0
	s_mov_b32 s10, 0
	s_cselect_b32 s12, -1, 0
	s_and_saveexec_b32 s11, s14
	s_cbranch_execnz .LBB75_35
; %bb.23:
	s_or_b32 exec_lo, exec_lo, s11
	s_and_saveexec_b32 s11, s15
	s_cbranch_execnz .LBB75_36
.LBB75_24:
	s_or_b32 exec_lo, exec_lo, s11
	s_and_saveexec_b32 s0, s10
	s_cbranch_execnz .LBB75_47
.LBB75_25:
	s_or_b32 exec_lo, exec_lo, s0
	s_and_saveexec_b32 s0, s3
	s_cbranch_execnz .LBB75_27
	s_branch .LBB75_28
.LBB75_26:
                                        ; implicit-def: $sgpr14
                                        ; implicit-def: $vgpr1
                                        ; implicit-def: $vgpr0
	s_and_saveexec_b32 s0, s3
.LBB75_27:
	; divergent unreachable
.LBB75_28:
	s_delay_alu instid0(SALU_CYCLE_1) | instskip(SKIP_1) | instid1(SALU_CYCLE_1)
	s_or_b32 exec_lo, exec_lo, s0
	s_and_saveexec_b32 s0, s18
	s_xor_b32 s0, exec_lo, s0
	s_cbranch_execz .LBB75_34
; %bb.29:
	s_and_saveexec_b32 s0, s14
	s_delay_alu instid0(SALU_CYCLE_1)
	s_xor_b32 s0, exec_lo, s0
	s_cbranch_execnz .LBB75_48
; %bb.30:
	s_or_b32 exec_lo, exec_lo, s0
	s_delay_alu instid0(SALU_CYCLE_1)
	s_mov_b32 s0, exec_lo
	v_cmpx_gt_i32_e64 s1, v0
	s_cbranch_execnz .LBB75_49
.LBB75_31:
	s_or_b32 exec_lo, exec_lo, s0
	s_delay_alu instid0(SALU_CYCLE_1)
	s_mov_b32 s0, exec_lo
	v_cmpx_gt_i32_e64 s1, v0
	s_cbranch_execnz .LBB75_50
.LBB75_32:
	s_or_b32 exec_lo, exec_lo, s0
	s_delay_alu instid0(SALU_CYCLE_1)
	s_mov_b32 s0, exec_lo
	v_cmpx_gt_i32_e64 s1, v0
	s_cbranch_execz .LBB75_34
.LBB75_33:
	s_wait_loadcnt 0x0
	v_mov_b64_e32 v[2:3], 0
	v_add_nc_u32_e32 v0, s2, v0
	global_store_b64 v0, v[2:3], s[8:9] scale_offset
.LBB75_34:
	s_endpgm
.LBB75_35:
	s_wait_loadcnt 0x0
	v_cmp_le_i64_e32 vcc_lo, s[4:5], v[8:9]
	v_cmp_gt_i64_e64 s0, s[6:7], v[8:9]
	s_and_not1_b32 s13, s15, exec_lo
	s_mov_b32 s10, exec_lo
	s_and_b32 s0, vcc_lo, s0
	s_delay_alu instid0(SALU_CYCLE_1) | instskip(NEXT) | instid1(SALU_CYCLE_1)
	s_and_b32 s0, s12, s0
	s_and_b32 s0, s0, exec_lo
	s_delay_alu instid0(SALU_CYCLE_1)
	s_or_b32 s15, s13, s0
	s_or_b32 exec_lo, exec_lo, s11
	s_and_saveexec_b32 s11, s15
	s_cbranch_execz .LBB75_24
.LBB75_36:
	v_cmp_le_i32_e64 s17, s1, v1
	s_mov_b32 s16, 0
	s_mov_b32 s13, 0
	s_mov_b32 s15, exec_lo
	v_cmpx_gt_i32_e64 s1, v1
	s_cbranch_execz .LBB75_38
; %bb.37:
	s_wait_loadcnt 0x0
	v_cmp_le_i64_e32 vcc_lo, s[4:5], v[4:5]
	v_cmp_gt_i64_e64 s0, s[6:7], v[4:5]
	s_and_not1_b32 s17, s17, exec_lo
	s_mov_b32 s13, exec_lo
	s_and_b32 s0, vcc_lo, s0
	s_delay_alu instid0(SALU_CYCLE_1) | instskip(NEXT) | instid1(SALU_CYCLE_1)
	s_and_b32 s0, s12, s0
	s_and_b32 s0, s0, exec_lo
	s_delay_alu instid0(SALU_CYCLE_1)
	s_or_b32 s17, s17, s0
.LBB75_38:
	s_or_b32 exec_lo, exec_lo, s15
	s_and_saveexec_b32 s15, s17
	s_cbranch_execz .LBB75_46
; %bb.39:
	s_wait_loadcnt 0x0
	v_or_b32_e32 v4, 0x200, v0
	s_mov_b32 s17, exec_lo
	s_delay_alu instid0(VALU_DEP_1)
	v_cmp_le_i32_e64 s19, s1, v4
	v_cmpx_gt_i32_e64 s1, v4
; %bb.40:
	v_cmp_le_i64_e32 vcc_lo, s[4:5], v[6:7]
	v_cmp_gt_i64_e64 s0, s[6:7], v[6:7]
	s_and_not1_b32 s19, s19, exec_lo
	s_mov_b32 s16, exec_lo
	s_and_b32 s0, vcc_lo, s0
	s_delay_alu instid0(SALU_CYCLE_1) | instskip(NEXT) | instid1(SALU_CYCLE_1)
	s_and_b32 s0, s12, s0
	s_and_b32 s0, s0, exec_lo
	s_delay_alu instid0(SALU_CYCLE_1)
	s_or_b32 s19, s19, s0
; %bb.41:
	s_or_b32 exec_lo, exec_lo, s17
	s_and_saveexec_b32 s17, s19
	s_cbranch_execz .LBB75_45
; %bb.42:
	v_or_b32_e32 v4, 0x300, v0
	s_mov_b32 s0, 0
	s_mov_b32 s19, exec_lo
	s_delay_alu instid0(VALU_DEP_1)
	v_cmp_le_i32_e64 s18, s1, v4
	v_cmpx_gt_i32_e64 s1, v4
	s_xor_b32 s19, exec_lo, s19
; %bb.43:
	v_cmp_le_i64_e32 vcc_lo, s[4:5], v[2:3]
	v_cmp_gt_i64_e64 s0, s[6:7], v[2:3]
	s_or_b32 s18, s18, exec_lo
	s_and_b32 s0, vcc_lo, s0
	s_delay_alu instid0(SALU_CYCLE_1) | instskip(NEXT) | instid1(SALU_CYCLE_1)
	s_and_b32 s0, s12, s0
	s_xor_b32 s0, s0, -1
	s_delay_alu instid0(SALU_CYCLE_1)
	s_and_b32 s0, s0, exec_lo
; %bb.44:
	s_or_b32 exec_lo, exec_lo, s19
	s_delay_alu instid0(SALU_CYCLE_1)
	s_and_not1_b32 s4, s16, exec_lo
	s_and_b32 s0, s0, exec_lo
	s_and_b32 s18, s18, exec_lo
	s_or_b32 s16, s4, s0
.LBB75_45:
	s_or_b32 exec_lo, exec_lo, s17
	s_delay_alu instid0(SALU_CYCLE_1)
	s_and_not1_b32 s0, s13, exec_lo
	s_and_b32 s4, s16, exec_lo
	s_and_b32 s16, s18, exec_lo
	s_or_b32 s13, s0, s4
.LBB75_46:
	s_or_b32 exec_lo, exec_lo, s15
	s_delay_alu instid0(SALU_CYCLE_1)
	s_and_not1_b32 s0, s10, exec_lo
	s_and_b32 s4, s13, exec_lo
	s_and_b32 s18, s16, exec_lo
	s_or_b32 s10, s0, s4
	s_or_b32 exec_lo, exec_lo, s11
	s_and_saveexec_b32 s0, s10
	s_cbranch_execz .LBB75_25
.LBB75_47:
	s_and_not1_b32 s18, s18, exec_lo
	s_or_b32 s3, s3, exec_lo
	s_trap 2
	s_or_b32 exec_lo, exec_lo, s0
	s_and_saveexec_b32 s0, s3
	s_cbranch_execnz .LBB75_27
	s_branch .LBB75_28
.LBB75_48:
	s_wait_loadcnt 0x0
	v_mov_b64_e32 v[2:3], 0
	v_dual_mov_b32 v0, v1 :: v_dual_bitop2_b32 v4, s2, v0 bitop3:0x54
	global_store_b64 v4, v[2:3], s[8:9] scale_offset
	s_wait_xcnt 0x0
	s_or_b32 exec_lo, exec_lo, s0
	s_delay_alu instid0(SALU_CYCLE_1)
	s_mov_b32 s0, exec_lo
	v_cmpx_gt_i32_e64 s1, v0
	s_cbranch_execz .LBB75_31
.LBB75_49:
	s_wait_loadcnt 0x0
	v_mov_b64_e32 v[2:3], 0
	v_add_nc_u32_e32 v1, s2, v0
	v_add_nc_u32_e32 v0, 0x100, v0
	global_store_b64 v1, v[2:3], s[8:9] scale_offset
	s_wait_xcnt 0x0
	s_or_b32 exec_lo, exec_lo, s0
	s_delay_alu instid0(SALU_CYCLE_1)
	s_mov_b32 s0, exec_lo
	v_cmpx_gt_i32_e64 s1, v0
	s_cbranch_execz .LBB75_32
.LBB75_50:
	s_wait_loadcnt 0x0
	v_mov_b64_e32 v[2:3], 0
	v_add_nc_u32_e32 v1, s2, v0
	v_add_nc_u32_e32 v0, 0x100, v0
	global_store_b64 v1, v[2:3], s[8:9] scale_offset
	s_wait_xcnt 0x0
	s_or_b32 exec_lo, exec_lo, s0
	s_delay_alu instid0(SALU_CYCLE_1)
	s_mov_b32 s0, exec_lo
	v_cmpx_gt_i32_e64 s1, v0
	s_cbranch_execnz .LBB75_33
	s_branch .LBB75_34
.LBB75_51:
	s_mov_b32 s3, exec_lo
	s_trap 2
	s_branch .LBB75_12
	.section	.rodata,"a",@progbits
	.p2align	6, 0x0
	.amdhsa_kernel _ZN2at6native29vectorized_elementwise_kernelILi2EZZZNS0_12_GLOBAL__N_142_validate_compressed_sparse_indices_kernelILNS2_8CDimNameE1ENS2_18CUDAKernelLauncherENS2_14EmptyVecKernelENS2_8DummyVecELm8EEEvRKNS_6TensorESA_lllENKUlvE0_clEvENKUlvE0_clEvEUllE_St5arrayIPcLm2EEEEviT0_T1_
		.amdhsa_group_segment_fixed_size 0
		.amdhsa_private_segment_fixed_size 0
		.amdhsa_kernarg_size 40
		.amdhsa_user_sgpr_count 2
		.amdhsa_user_sgpr_dispatch_ptr 0
		.amdhsa_user_sgpr_queue_ptr 0
		.amdhsa_user_sgpr_kernarg_segment_ptr 1
		.amdhsa_user_sgpr_dispatch_id 0
		.amdhsa_user_sgpr_kernarg_preload_length 0
		.amdhsa_user_sgpr_kernarg_preload_offset 0
		.amdhsa_user_sgpr_private_segment_size 0
		.amdhsa_wavefront_size32 1
		.amdhsa_uses_dynamic_stack 0
		.amdhsa_enable_private_segment 0
		.amdhsa_system_sgpr_workgroup_id_x 1
		.amdhsa_system_sgpr_workgroup_id_y 0
		.amdhsa_system_sgpr_workgroup_id_z 0
		.amdhsa_system_sgpr_workgroup_info 0
		.amdhsa_system_vgpr_workitem_id 0
		.amdhsa_next_free_vgpr 11
		.amdhsa_next_free_sgpr 28
		.amdhsa_named_barrier_count 0
		.amdhsa_reserve_vcc 1
		.amdhsa_float_round_mode_32 0
		.amdhsa_float_round_mode_16_64 0
		.amdhsa_float_denorm_mode_32 3
		.amdhsa_float_denorm_mode_16_64 3
		.amdhsa_fp16_overflow 0
		.amdhsa_memory_ordered 1
		.amdhsa_forward_progress 1
		.amdhsa_inst_pref_size 13
		.amdhsa_round_robin_scheduling 0
		.amdhsa_exception_fp_ieee_invalid_op 0
		.amdhsa_exception_fp_denorm_src 0
		.amdhsa_exception_fp_ieee_div_zero 0
		.amdhsa_exception_fp_ieee_overflow 0
		.amdhsa_exception_fp_ieee_underflow 0
		.amdhsa_exception_fp_ieee_inexact 0
		.amdhsa_exception_int_div_zero 0
	.end_amdhsa_kernel
	.section	.text._ZN2at6native29vectorized_elementwise_kernelILi2EZZZNS0_12_GLOBAL__N_142_validate_compressed_sparse_indices_kernelILNS2_8CDimNameE1ENS2_18CUDAKernelLauncherENS2_14EmptyVecKernelENS2_8DummyVecELm8EEEvRKNS_6TensorESA_lllENKUlvE0_clEvENKUlvE0_clEvEUllE_St5arrayIPcLm2EEEEviT0_T1_,"axG",@progbits,_ZN2at6native29vectorized_elementwise_kernelILi2EZZZNS0_12_GLOBAL__N_142_validate_compressed_sparse_indices_kernelILNS2_8CDimNameE1ENS2_18CUDAKernelLauncherENS2_14EmptyVecKernelENS2_8DummyVecELm8EEEvRKNS_6TensorESA_lllENKUlvE0_clEvENKUlvE0_clEvEUllE_St5arrayIPcLm2EEEEviT0_T1_,comdat
.Lfunc_end75:
	.size	_ZN2at6native29vectorized_elementwise_kernelILi2EZZZNS0_12_GLOBAL__N_142_validate_compressed_sparse_indices_kernelILNS2_8CDimNameE1ENS2_18CUDAKernelLauncherENS2_14EmptyVecKernelENS2_8DummyVecELm8EEEvRKNS_6TensorESA_lllENKUlvE0_clEvENKUlvE0_clEvEUllE_St5arrayIPcLm2EEEEviT0_T1_, .Lfunc_end75-_ZN2at6native29vectorized_elementwise_kernelILi2EZZZNS0_12_GLOBAL__N_142_validate_compressed_sparse_indices_kernelILNS2_8CDimNameE1ENS2_18CUDAKernelLauncherENS2_14EmptyVecKernelENS2_8DummyVecELm8EEEvRKNS_6TensorESA_lllENKUlvE0_clEvENKUlvE0_clEvEUllE_St5arrayIPcLm2EEEEviT0_T1_
                                        ; -- End function
	.set _ZN2at6native29vectorized_elementwise_kernelILi2EZZZNS0_12_GLOBAL__N_142_validate_compressed_sparse_indices_kernelILNS2_8CDimNameE1ENS2_18CUDAKernelLauncherENS2_14EmptyVecKernelENS2_8DummyVecELm8EEEvRKNS_6TensorESA_lllENKUlvE0_clEvENKUlvE0_clEvEUllE_St5arrayIPcLm2EEEEviT0_T1_.num_vgpr, 11
	.set _ZN2at6native29vectorized_elementwise_kernelILi2EZZZNS0_12_GLOBAL__N_142_validate_compressed_sparse_indices_kernelILNS2_8CDimNameE1ENS2_18CUDAKernelLauncherENS2_14EmptyVecKernelENS2_8DummyVecELm8EEEvRKNS_6TensorESA_lllENKUlvE0_clEvENKUlvE0_clEvEUllE_St5arrayIPcLm2EEEEviT0_T1_.num_agpr, 0
	.set _ZN2at6native29vectorized_elementwise_kernelILi2EZZZNS0_12_GLOBAL__N_142_validate_compressed_sparse_indices_kernelILNS2_8CDimNameE1ENS2_18CUDAKernelLauncherENS2_14EmptyVecKernelENS2_8DummyVecELm8EEEvRKNS_6TensorESA_lllENKUlvE0_clEvENKUlvE0_clEvEUllE_St5arrayIPcLm2EEEEviT0_T1_.numbered_sgpr, 28
	.set _ZN2at6native29vectorized_elementwise_kernelILi2EZZZNS0_12_GLOBAL__N_142_validate_compressed_sparse_indices_kernelILNS2_8CDimNameE1ENS2_18CUDAKernelLauncherENS2_14EmptyVecKernelENS2_8DummyVecELm8EEEvRKNS_6TensorESA_lllENKUlvE0_clEvENKUlvE0_clEvEUllE_St5arrayIPcLm2EEEEviT0_T1_.num_named_barrier, 0
	.set _ZN2at6native29vectorized_elementwise_kernelILi2EZZZNS0_12_GLOBAL__N_142_validate_compressed_sparse_indices_kernelILNS2_8CDimNameE1ENS2_18CUDAKernelLauncherENS2_14EmptyVecKernelENS2_8DummyVecELm8EEEvRKNS_6TensorESA_lllENKUlvE0_clEvENKUlvE0_clEvEUllE_St5arrayIPcLm2EEEEviT0_T1_.private_seg_size, 0
	.set _ZN2at6native29vectorized_elementwise_kernelILi2EZZZNS0_12_GLOBAL__N_142_validate_compressed_sparse_indices_kernelILNS2_8CDimNameE1ENS2_18CUDAKernelLauncherENS2_14EmptyVecKernelENS2_8DummyVecELm8EEEvRKNS_6TensorESA_lllENKUlvE0_clEvENKUlvE0_clEvEUllE_St5arrayIPcLm2EEEEviT0_T1_.uses_vcc, 1
	.set _ZN2at6native29vectorized_elementwise_kernelILi2EZZZNS0_12_GLOBAL__N_142_validate_compressed_sparse_indices_kernelILNS2_8CDimNameE1ENS2_18CUDAKernelLauncherENS2_14EmptyVecKernelENS2_8DummyVecELm8EEEvRKNS_6TensorESA_lllENKUlvE0_clEvENKUlvE0_clEvEUllE_St5arrayIPcLm2EEEEviT0_T1_.uses_flat_scratch, 0
	.set _ZN2at6native29vectorized_elementwise_kernelILi2EZZZNS0_12_GLOBAL__N_142_validate_compressed_sparse_indices_kernelILNS2_8CDimNameE1ENS2_18CUDAKernelLauncherENS2_14EmptyVecKernelENS2_8DummyVecELm8EEEvRKNS_6TensorESA_lllENKUlvE0_clEvENKUlvE0_clEvEUllE_St5arrayIPcLm2EEEEviT0_T1_.has_dyn_sized_stack, 0
	.set _ZN2at6native29vectorized_elementwise_kernelILi2EZZZNS0_12_GLOBAL__N_142_validate_compressed_sparse_indices_kernelILNS2_8CDimNameE1ENS2_18CUDAKernelLauncherENS2_14EmptyVecKernelENS2_8DummyVecELm8EEEvRKNS_6TensorESA_lllENKUlvE0_clEvENKUlvE0_clEvEUllE_St5arrayIPcLm2EEEEviT0_T1_.has_recursion, 0
	.set _ZN2at6native29vectorized_elementwise_kernelILi2EZZZNS0_12_GLOBAL__N_142_validate_compressed_sparse_indices_kernelILNS2_8CDimNameE1ENS2_18CUDAKernelLauncherENS2_14EmptyVecKernelENS2_8DummyVecELm8EEEvRKNS_6TensorESA_lllENKUlvE0_clEvENKUlvE0_clEvEUllE_St5arrayIPcLm2EEEEviT0_T1_.has_indirect_call, 0
	.section	.AMDGPU.csdata,"",@progbits
; Kernel info:
; codeLenInByte = 1568
; TotalNumSgprs: 30
; NumVgprs: 11
; ScratchSize: 0
; MemoryBound: 0
; FloatMode: 240
; IeeeMode: 1
; LDSByteSize: 0 bytes/workgroup (compile time only)
; SGPRBlocks: 0
; VGPRBlocks: 0
; NumSGPRsForWavesPerEU: 30
; NumVGPRsForWavesPerEU: 11
; NamedBarCnt: 0
; Occupancy: 16
; WaveLimiterHint : 1
; COMPUTE_PGM_RSRC2:SCRATCH_EN: 0
; COMPUTE_PGM_RSRC2:USER_SGPR: 2
; COMPUTE_PGM_RSRC2:TRAP_HANDLER: 0
; COMPUTE_PGM_RSRC2:TGID_X_EN: 1
; COMPUTE_PGM_RSRC2:TGID_Y_EN: 0
; COMPUTE_PGM_RSRC2:TGID_Z_EN: 0
; COMPUTE_PGM_RSRC2:TIDIG_COMP_CNT: 0
	.section	.text._ZN2at6native27unrolled_elementwise_kernelIZZZNS0_12_GLOBAL__N_142_validate_compressed_sparse_indices_kernelILNS2_8CDimNameE1ENS2_18CUDAKernelLauncherENS2_14EmptyVecKernelENS2_8DummyVecELm8EEEvRKNS_6TensorESA_lllENKUlvE0_clEvENKUlvE0_clEvEUllE_St5arrayIPcLm2EELi4E23TrivialOffsetCalculatorILi1EjESI_NS0_6memory15LoadWithoutCastENSJ_16StoreWithoutCastEEEviT_T0_T2_T3_T4_T5_,"axG",@progbits,_ZN2at6native27unrolled_elementwise_kernelIZZZNS0_12_GLOBAL__N_142_validate_compressed_sparse_indices_kernelILNS2_8CDimNameE1ENS2_18CUDAKernelLauncherENS2_14EmptyVecKernelENS2_8DummyVecELm8EEEvRKNS_6TensorESA_lllENKUlvE0_clEvENKUlvE0_clEvEUllE_St5arrayIPcLm2EELi4E23TrivialOffsetCalculatorILi1EjESI_NS0_6memory15LoadWithoutCastENSJ_16StoreWithoutCastEEEviT_T0_T2_T3_T4_T5_,comdat
	.globl	_ZN2at6native27unrolled_elementwise_kernelIZZZNS0_12_GLOBAL__N_142_validate_compressed_sparse_indices_kernelILNS2_8CDimNameE1ENS2_18CUDAKernelLauncherENS2_14EmptyVecKernelENS2_8DummyVecELm8EEEvRKNS_6TensorESA_lllENKUlvE0_clEvENKUlvE0_clEvEUllE_St5arrayIPcLm2EELi4E23TrivialOffsetCalculatorILi1EjESI_NS0_6memory15LoadWithoutCastENSJ_16StoreWithoutCastEEEviT_T0_T2_T3_T4_T5_ ; -- Begin function _ZN2at6native27unrolled_elementwise_kernelIZZZNS0_12_GLOBAL__N_142_validate_compressed_sparse_indices_kernelILNS2_8CDimNameE1ENS2_18CUDAKernelLauncherENS2_14EmptyVecKernelENS2_8DummyVecELm8EEEvRKNS_6TensorESA_lllENKUlvE0_clEvENKUlvE0_clEvEUllE_St5arrayIPcLm2EELi4E23TrivialOffsetCalculatorILi1EjESI_NS0_6memory15LoadWithoutCastENSJ_16StoreWithoutCastEEEviT_T0_T2_T3_T4_T5_
	.p2align	8
	.type	_ZN2at6native27unrolled_elementwise_kernelIZZZNS0_12_GLOBAL__N_142_validate_compressed_sparse_indices_kernelILNS2_8CDimNameE1ENS2_18CUDAKernelLauncherENS2_14EmptyVecKernelENS2_8DummyVecELm8EEEvRKNS_6TensorESA_lllENKUlvE0_clEvENKUlvE0_clEvEUllE_St5arrayIPcLm2EELi4E23TrivialOffsetCalculatorILi1EjESI_NS0_6memory15LoadWithoutCastENSJ_16StoreWithoutCastEEEviT_T0_T2_T3_T4_T5_,@function
_ZN2at6native27unrolled_elementwise_kernelIZZZNS0_12_GLOBAL__N_142_validate_compressed_sparse_indices_kernelILNS2_8CDimNameE1ENS2_18CUDAKernelLauncherENS2_14EmptyVecKernelENS2_8DummyVecELm8EEEvRKNS_6TensorESA_lllENKUlvE0_clEvENKUlvE0_clEvEUllE_St5arrayIPcLm2EELi4E23TrivialOffsetCalculatorILi1EjESI_NS0_6memory15LoadWithoutCastENSJ_16StoreWithoutCastEEEviT_T0_T2_T3_T4_T5_: ; @_ZN2at6native27unrolled_elementwise_kernelIZZZNS0_12_GLOBAL__N_142_validate_compressed_sparse_indices_kernelILNS2_8CDimNameE1ENS2_18CUDAKernelLauncherENS2_14EmptyVecKernelENS2_8DummyVecELm8EEEvRKNS_6TensorESA_lllENKUlvE0_clEvENKUlvE0_clEvEUllE_St5arrayIPcLm2EELi4E23TrivialOffsetCalculatorILi1EjESI_NS0_6memory15LoadWithoutCastENSJ_16StoreWithoutCastEEEviT_T0_T2_T3_T4_T5_
; %bb.0:
	s_load_b32 s3, s[0:1], 0x0
	s_bfe_u32 s2, ttmp6, 0x4000c
	s_load_b256 s[4:11], s[0:1], 0x8
	s_add_co_i32 s2, s2, 1
	s_wait_xcnt 0x0
	s_and_b32 s0, ttmp6, 15
	s_mul_i32 s1, ttmp9, s2
	s_getreg_b32 s2, hwreg(HW_REG_IB_STS2, 6, 4)
	s_add_co_i32 s0, s0, s1
	s_cmp_eq_u32 s2, 0
	v_mov_b64_e32 v[4:5], 0
	s_cselect_b32 s0, ttmp9, s0
	v_mov_b64_e32 v[8:9], 0
	s_lshl_b32 s2, s0, 10
	v_or_b32_e32 v1, 0x100, v0
	v_mov_b32_e32 v10, v0
	s_wait_kmcnt 0x0
	s_sub_co_i32 s3, s3, s2
	s_delay_alu instid0(SALU_CYCLE_1)
	v_cmp_le_i32_e64 s13, s3, v0
	v_cmp_gt_i32_e32 vcc_lo, s3, v0
	s_and_saveexec_b32 s0, vcc_lo
	s_cbranch_execz .LBB76_2
; %bb.1:
	v_or_b32_e32 v2, s2, v0
	v_or_b32_e32 v10, 0x100, v0
	global_load_b64 v[8:9], v2, s[10:11] scale_offset
.LBB76_2:
	s_wait_xcnt 0x0
	s_or_b32 exec_lo, exec_lo, s0
	s_delay_alu instid0(SALU_CYCLE_1)
	s_mov_b32 s1, exec_lo
	v_cmpx_gt_i32_e64 s3, v10
	s_cbranch_execz .LBB76_4
; %bb.3:
	v_add_nc_u32_e32 v2, s2, v10
	v_add_nc_u32_e32 v10, 0x100, v10
	global_load_b64 v[4:5], v2, s[10:11] scale_offset
.LBB76_4:
	s_wait_xcnt 0x0
	s_or_b32 exec_lo, exec_lo, s1
	v_mov_b64_e32 v[2:3], 0
	v_mov_b64_e32 v[6:7], 0
	s_mov_b32 s1, exec_lo
	v_cmpx_gt_i32_e64 s3, v10
	s_cbranch_execz .LBB76_6
; %bb.5:
	v_add_nc_u32_e32 v6, s2, v10
	v_add_nc_u32_e32 v10, 0x100, v10
	global_load_b64 v[6:7], v6, s[10:11] scale_offset
.LBB76_6:
	s_wait_xcnt 0x0
	s_or_b32 exec_lo, exec_lo, s1
	s_delay_alu instid0(SALU_CYCLE_1)
	s_mov_b32 s1, exec_lo
	v_cmpx_gt_i32_e64 s3, v10
	s_cbranch_execz .LBB76_8
; %bb.7:
	v_add_nc_u32_e32 v2, s2, v10
	global_load_b64 v[2:3], v2, s[10:11] scale_offset
.LBB76_8:
	s_wait_xcnt 0x0
	s_or_b32 exec_lo, exec_lo, s1
	s_get_pc_i64 s[0:1]
	s_add_nc_u64 s[0:1], s[0:1], .str.5@rel64+4
	s_mov_b32 s14, 0
	s_cmp_lg_u64 s[0:1], 0
	s_mov_b32 s10, 0
	s_cselect_b32 s12, -1, 0
	s_and_saveexec_b32 s11, vcc_lo
	s_cbranch_execnz .LBB76_17
; %bb.9:
	s_or_b32 exec_lo, exec_lo, s11
	s_and_saveexec_b32 s11, s13
	s_cbranch_execnz .LBB76_18
.LBB76_10:
	s_or_b32 exec_lo, exec_lo, s11
	s_and_saveexec_b32 s0, s10
	s_cbranch_execnz .LBB76_29
.LBB76_11:
	s_or_b32 exec_lo, exec_lo, s0
	s_and_saveexec_b32 s0, s14
	s_delay_alu instid0(SALU_CYCLE_1)
	s_xor_b32 s0, exec_lo, s0
	s_cbranch_execz .LBB76_16
.LBB76_12:
	s_and_saveexec_b32 s0, vcc_lo
	s_delay_alu instid0(SALU_CYCLE_1)
	s_xor_b32 s0, exec_lo, s0
	s_cbranch_execnz .LBB76_30
; %bb.13:
	s_or_b32 exec_lo, exec_lo, s0
	s_delay_alu instid0(SALU_CYCLE_1)
	s_mov_b32 s0, exec_lo
	v_cmpx_gt_i32_e64 s3, v0
	s_cbranch_execnz .LBB76_31
.LBB76_14:
	s_or_b32 exec_lo, exec_lo, s0
	s_delay_alu instid0(SALU_CYCLE_1)
	s_mov_b32 s0, exec_lo
	v_cmpx_gt_i32_e64 s3, v0
	s_cbranch_execnz .LBB76_32
.LBB76_15:
	s_or_b32 exec_lo, exec_lo, s0
	s_delay_alu instid0(SALU_CYCLE_1)
	s_mov_b32 s0, exec_lo
	v_cmpx_gt_i32_e64 s3, v0
	s_cbranch_execnz .LBB76_33
.LBB76_16:
	s_endpgm
.LBB76_17:
	s_wait_loadcnt 0x0
	v_cmp_le_i64_e64 s0, s[4:5], v[8:9]
	v_cmp_gt_i64_e64 s1, s[6:7], v[8:9]
	s_mov_b32 s10, exec_lo
	s_and_b32 s0, s0, s1
	s_and_not1_b32 s1, s13, exec_lo
	s_and_b32 s0, s12, s0
	s_delay_alu instid0(SALU_CYCLE_1) | instskip(NEXT) | instid1(SALU_CYCLE_1)
	s_and_b32 s0, s0, exec_lo
	s_or_b32 s13, s1, s0
	s_or_b32 exec_lo, exec_lo, s11
	s_and_saveexec_b32 s11, s13
	s_cbranch_execz .LBB76_10
.LBB76_18:
	v_cmp_le_i32_e64 s16, s3, v1
	s_mov_b32 s15, 0
	s_mov_b32 s13, 0
	s_mov_b32 s14, exec_lo
	v_cmpx_gt_i32_e64 s3, v1
	s_cbranch_execz .LBB76_20
; %bb.19:
	s_wait_loadcnt 0x0
	v_cmp_le_i64_e64 s0, s[4:5], v[4:5]
	v_cmp_gt_i64_e64 s1, s[6:7], v[4:5]
	s_mov_b32 s13, exec_lo
	s_and_b32 s0, s0, s1
	s_and_not1_b32 s1, s16, exec_lo
	s_and_b32 s0, s12, s0
	s_delay_alu instid0(SALU_CYCLE_1) | instskip(NEXT) | instid1(SALU_CYCLE_1)
	s_and_b32 s0, s0, exec_lo
	s_or_b32 s16, s1, s0
.LBB76_20:
	s_or_b32 exec_lo, exec_lo, s14
	s_and_saveexec_b32 s14, s16
	s_cbranch_execz .LBB76_28
; %bb.21:
	s_wait_loadcnt 0x0
	v_or_b32_e32 v4, 0x200, v0
	s_mov_b32 s17, 0
	s_mov_b32 s16, exec_lo
	s_delay_alu instid0(VALU_DEP_1)
	v_cmp_le_i32_e64 s18, s3, v4
	v_cmpx_gt_i32_e64 s3, v4
; %bb.22:
	v_cmp_le_i64_e64 s0, s[4:5], v[6:7]
	v_cmp_gt_i64_e64 s1, s[6:7], v[6:7]
	s_mov_b32 s15, exec_lo
	s_and_b32 s0, s0, s1
	s_and_not1_b32 s1, s18, exec_lo
	s_and_b32 s0, s12, s0
	s_delay_alu instid0(SALU_CYCLE_1) | instskip(NEXT) | instid1(SALU_CYCLE_1)
	s_and_b32 s0, s0, exec_lo
	s_or_b32 s18, s1, s0
; %bb.23:
	s_or_b32 exec_lo, exec_lo, s16
	s_and_saveexec_b32 s16, s18
	s_cbranch_execz .LBB76_27
; %bb.24:
	v_or_b32_e32 v4, 0x300, v0
	s_mov_b32 s1, 0
	s_mov_b32 s18, exec_lo
	s_delay_alu instid0(VALU_DEP_1)
	v_cmp_le_i32_e64 s17, s3, v4
	v_cmpx_gt_i32_e64 s3, v4
	s_xor_b32 s18, exec_lo, s18
; %bb.25:
	v_cmp_le_i64_e64 s0, s[4:5], v[2:3]
	v_cmp_gt_i64_e64 s1, s[6:7], v[2:3]
	s_or_b32 s17, s17, exec_lo
	s_and_b32 s0, s0, s1
	s_delay_alu instid0(SALU_CYCLE_1) | instskip(NEXT) | instid1(SALU_CYCLE_1)
	s_and_b32 s0, s12, s0
	s_xor_b32 s0, s0, -1
	s_delay_alu instid0(SALU_CYCLE_1)
	s_and_b32 s1, s0, exec_lo
; %bb.26:
	s_or_b32 exec_lo, exec_lo, s18
	s_delay_alu instid0(SALU_CYCLE_1)
	s_and_not1_b32 s0, s15, exec_lo
	s_and_b32 s1, s1, exec_lo
	s_and_b32 s17, s17, exec_lo
	s_or_b32 s15, s0, s1
.LBB76_27:
	s_or_b32 exec_lo, exec_lo, s16
	s_delay_alu instid0(SALU_CYCLE_1)
	s_and_not1_b32 s0, s13, exec_lo
	s_and_b32 s1, s15, exec_lo
	s_and_b32 s15, s17, exec_lo
	s_or_b32 s13, s0, s1
.LBB76_28:
	s_or_b32 exec_lo, exec_lo, s14
	s_delay_alu instid0(SALU_CYCLE_1)
	s_and_not1_b32 s0, s10, exec_lo
	s_and_b32 s1, s13, exec_lo
	s_and_b32 s14, s15, exec_lo
	s_or_b32 s10, s0, s1
	s_or_b32 exec_lo, exec_lo, s11
	s_and_saveexec_b32 s0, s10
	s_cbranch_execz .LBB76_11
.LBB76_29:
	s_trap 2
	; divergent unreachable
	s_and_not1_b32 s14, s14, exec_lo
	s_or_b32 exec_lo, exec_lo, s0
	s_and_saveexec_b32 s0, s14
	s_delay_alu instid0(SALU_CYCLE_1)
	s_xor_b32 s0, exec_lo, s0
	s_cbranch_execnz .LBB76_12
	s_branch .LBB76_16
.LBB76_30:
	s_wait_loadcnt 0x0
	v_mov_b64_e32 v[2:3], 0
	v_dual_mov_b32 v0, v1 :: v_dual_bitop2_b32 v4, s2, v0 bitop3:0x54
	global_store_b64 v4, v[2:3], s[8:9] scale_offset
	s_wait_xcnt 0x0
	s_or_b32 exec_lo, exec_lo, s0
	s_delay_alu instid0(SALU_CYCLE_1)
	s_mov_b32 s0, exec_lo
	v_cmpx_gt_i32_e64 s3, v0
	s_cbranch_execz .LBB76_14
.LBB76_31:
	v_add_nc_u32_e32 v1, 0x100, v0
	s_wait_loadcnt 0x0
	v_mov_b64_e32 v[2:3], 0
	s_delay_alu instid0(VALU_DEP_2) | instskip(SKIP_3) | instid1(SALU_CYCLE_1)
	v_dual_add_nc_u32 v4, s2, v0 :: v_dual_mov_b32 v0, v1
	global_store_b64 v4, v[2:3], s[8:9] scale_offset
	s_wait_xcnt 0x0
	s_or_b32 exec_lo, exec_lo, s0
	s_mov_b32 s0, exec_lo
	v_cmpx_gt_i32_e64 s3, v0
	s_cbranch_execz .LBB76_15
.LBB76_32:
	v_add_nc_u32_e32 v1, 0x100, v0
	s_wait_loadcnt 0x0
	v_mov_b64_e32 v[2:3], 0
	s_delay_alu instid0(VALU_DEP_2) | instskip(SKIP_3) | instid1(SALU_CYCLE_1)
	v_dual_add_nc_u32 v4, s2, v0 :: v_dual_mov_b32 v0, v1
	global_store_b64 v4, v[2:3], s[8:9] scale_offset
	s_wait_xcnt 0x0
	s_or_b32 exec_lo, exec_lo, s0
	s_mov_b32 s0, exec_lo
	v_cmpx_gt_i32_e64 s3, v0
	s_cbranch_execz .LBB76_16
.LBB76_33:
	s_wait_loadcnt 0x0
	v_mov_b64_e32 v[2:3], 0
	v_add_nc_u32_e32 v0, s2, v0
	global_store_b64 v0, v[2:3], s[8:9] scale_offset
	s_endpgm
	.section	.rodata,"a",@progbits
	.p2align	6, 0x0
	.amdhsa_kernel _ZN2at6native27unrolled_elementwise_kernelIZZZNS0_12_GLOBAL__N_142_validate_compressed_sparse_indices_kernelILNS2_8CDimNameE1ENS2_18CUDAKernelLauncherENS2_14EmptyVecKernelENS2_8DummyVecELm8EEEvRKNS_6TensorESA_lllENKUlvE0_clEvENKUlvE0_clEvEUllE_St5arrayIPcLm2EELi4E23TrivialOffsetCalculatorILi1EjESI_NS0_6memory15LoadWithoutCastENSJ_16StoreWithoutCastEEEviT_T0_T2_T3_T4_T5_
		.amdhsa_group_segment_fixed_size 0
		.amdhsa_private_segment_fixed_size 0
		.amdhsa_kernarg_size 44
		.amdhsa_user_sgpr_count 2
		.amdhsa_user_sgpr_dispatch_ptr 0
		.amdhsa_user_sgpr_queue_ptr 0
		.amdhsa_user_sgpr_kernarg_segment_ptr 1
		.amdhsa_user_sgpr_dispatch_id 0
		.amdhsa_user_sgpr_kernarg_preload_length 0
		.amdhsa_user_sgpr_kernarg_preload_offset 0
		.amdhsa_user_sgpr_private_segment_size 0
		.amdhsa_wavefront_size32 1
		.amdhsa_uses_dynamic_stack 0
		.amdhsa_enable_private_segment 0
		.amdhsa_system_sgpr_workgroup_id_x 1
		.amdhsa_system_sgpr_workgroup_id_y 0
		.amdhsa_system_sgpr_workgroup_id_z 0
		.amdhsa_system_sgpr_workgroup_info 0
		.amdhsa_system_vgpr_workitem_id 0
		.amdhsa_next_free_vgpr 11
		.amdhsa_next_free_sgpr 19
		.amdhsa_named_barrier_count 0
		.amdhsa_reserve_vcc 1
		.amdhsa_float_round_mode_32 0
		.amdhsa_float_round_mode_16_64 0
		.amdhsa_float_denorm_mode_32 3
		.amdhsa_float_denorm_mode_16_64 3
		.amdhsa_fp16_overflow 0
		.amdhsa_memory_ordered 1
		.amdhsa_forward_progress 1
		.amdhsa_inst_pref_size 9
		.amdhsa_round_robin_scheduling 0
		.amdhsa_exception_fp_ieee_invalid_op 0
		.amdhsa_exception_fp_denorm_src 0
		.amdhsa_exception_fp_ieee_div_zero 0
		.amdhsa_exception_fp_ieee_overflow 0
		.amdhsa_exception_fp_ieee_underflow 0
		.amdhsa_exception_fp_ieee_inexact 0
		.amdhsa_exception_int_div_zero 0
	.end_amdhsa_kernel
	.section	.text._ZN2at6native27unrolled_elementwise_kernelIZZZNS0_12_GLOBAL__N_142_validate_compressed_sparse_indices_kernelILNS2_8CDimNameE1ENS2_18CUDAKernelLauncherENS2_14EmptyVecKernelENS2_8DummyVecELm8EEEvRKNS_6TensorESA_lllENKUlvE0_clEvENKUlvE0_clEvEUllE_St5arrayIPcLm2EELi4E23TrivialOffsetCalculatorILi1EjESI_NS0_6memory15LoadWithoutCastENSJ_16StoreWithoutCastEEEviT_T0_T2_T3_T4_T5_,"axG",@progbits,_ZN2at6native27unrolled_elementwise_kernelIZZZNS0_12_GLOBAL__N_142_validate_compressed_sparse_indices_kernelILNS2_8CDimNameE1ENS2_18CUDAKernelLauncherENS2_14EmptyVecKernelENS2_8DummyVecELm8EEEvRKNS_6TensorESA_lllENKUlvE0_clEvENKUlvE0_clEvEUllE_St5arrayIPcLm2EELi4E23TrivialOffsetCalculatorILi1EjESI_NS0_6memory15LoadWithoutCastENSJ_16StoreWithoutCastEEEviT_T0_T2_T3_T4_T5_,comdat
.Lfunc_end76:
	.size	_ZN2at6native27unrolled_elementwise_kernelIZZZNS0_12_GLOBAL__N_142_validate_compressed_sparse_indices_kernelILNS2_8CDimNameE1ENS2_18CUDAKernelLauncherENS2_14EmptyVecKernelENS2_8DummyVecELm8EEEvRKNS_6TensorESA_lllENKUlvE0_clEvENKUlvE0_clEvEUllE_St5arrayIPcLm2EELi4E23TrivialOffsetCalculatorILi1EjESI_NS0_6memory15LoadWithoutCastENSJ_16StoreWithoutCastEEEviT_T0_T2_T3_T4_T5_, .Lfunc_end76-_ZN2at6native27unrolled_elementwise_kernelIZZZNS0_12_GLOBAL__N_142_validate_compressed_sparse_indices_kernelILNS2_8CDimNameE1ENS2_18CUDAKernelLauncherENS2_14EmptyVecKernelENS2_8DummyVecELm8EEEvRKNS_6TensorESA_lllENKUlvE0_clEvENKUlvE0_clEvEUllE_St5arrayIPcLm2EELi4E23TrivialOffsetCalculatorILi1EjESI_NS0_6memory15LoadWithoutCastENSJ_16StoreWithoutCastEEEviT_T0_T2_T3_T4_T5_
                                        ; -- End function
	.set _ZN2at6native27unrolled_elementwise_kernelIZZZNS0_12_GLOBAL__N_142_validate_compressed_sparse_indices_kernelILNS2_8CDimNameE1ENS2_18CUDAKernelLauncherENS2_14EmptyVecKernelENS2_8DummyVecELm8EEEvRKNS_6TensorESA_lllENKUlvE0_clEvENKUlvE0_clEvEUllE_St5arrayIPcLm2EELi4E23TrivialOffsetCalculatorILi1EjESI_NS0_6memory15LoadWithoutCastENSJ_16StoreWithoutCastEEEviT_T0_T2_T3_T4_T5_.num_vgpr, 11
	.set _ZN2at6native27unrolled_elementwise_kernelIZZZNS0_12_GLOBAL__N_142_validate_compressed_sparse_indices_kernelILNS2_8CDimNameE1ENS2_18CUDAKernelLauncherENS2_14EmptyVecKernelENS2_8DummyVecELm8EEEvRKNS_6TensorESA_lllENKUlvE0_clEvENKUlvE0_clEvEUllE_St5arrayIPcLm2EELi4E23TrivialOffsetCalculatorILi1EjESI_NS0_6memory15LoadWithoutCastENSJ_16StoreWithoutCastEEEviT_T0_T2_T3_T4_T5_.num_agpr, 0
	.set _ZN2at6native27unrolled_elementwise_kernelIZZZNS0_12_GLOBAL__N_142_validate_compressed_sparse_indices_kernelILNS2_8CDimNameE1ENS2_18CUDAKernelLauncherENS2_14EmptyVecKernelENS2_8DummyVecELm8EEEvRKNS_6TensorESA_lllENKUlvE0_clEvENKUlvE0_clEvEUllE_St5arrayIPcLm2EELi4E23TrivialOffsetCalculatorILi1EjESI_NS0_6memory15LoadWithoutCastENSJ_16StoreWithoutCastEEEviT_T0_T2_T3_T4_T5_.numbered_sgpr, 19
	.set _ZN2at6native27unrolled_elementwise_kernelIZZZNS0_12_GLOBAL__N_142_validate_compressed_sparse_indices_kernelILNS2_8CDimNameE1ENS2_18CUDAKernelLauncherENS2_14EmptyVecKernelENS2_8DummyVecELm8EEEvRKNS_6TensorESA_lllENKUlvE0_clEvENKUlvE0_clEvEUllE_St5arrayIPcLm2EELi4E23TrivialOffsetCalculatorILi1EjESI_NS0_6memory15LoadWithoutCastENSJ_16StoreWithoutCastEEEviT_T0_T2_T3_T4_T5_.num_named_barrier, 0
	.set _ZN2at6native27unrolled_elementwise_kernelIZZZNS0_12_GLOBAL__N_142_validate_compressed_sparse_indices_kernelILNS2_8CDimNameE1ENS2_18CUDAKernelLauncherENS2_14EmptyVecKernelENS2_8DummyVecELm8EEEvRKNS_6TensorESA_lllENKUlvE0_clEvENKUlvE0_clEvEUllE_St5arrayIPcLm2EELi4E23TrivialOffsetCalculatorILi1EjESI_NS0_6memory15LoadWithoutCastENSJ_16StoreWithoutCastEEEviT_T0_T2_T3_T4_T5_.private_seg_size, 0
	.set _ZN2at6native27unrolled_elementwise_kernelIZZZNS0_12_GLOBAL__N_142_validate_compressed_sparse_indices_kernelILNS2_8CDimNameE1ENS2_18CUDAKernelLauncherENS2_14EmptyVecKernelENS2_8DummyVecELm8EEEvRKNS_6TensorESA_lllENKUlvE0_clEvENKUlvE0_clEvEUllE_St5arrayIPcLm2EELi4E23TrivialOffsetCalculatorILi1EjESI_NS0_6memory15LoadWithoutCastENSJ_16StoreWithoutCastEEEviT_T0_T2_T3_T4_T5_.uses_vcc, 1
	.set _ZN2at6native27unrolled_elementwise_kernelIZZZNS0_12_GLOBAL__N_142_validate_compressed_sparse_indices_kernelILNS2_8CDimNameE1ENS2_18CUDAKernelLauncherENS2_14EmptyVecKernelENS2_8DummyVecELm8EEEvRKNS_6TensorESA_lllENKUlvE0_clEvENKUlvE0_clEvEUllE_St5arrayIPcLm2EELi4E23TrivialOffsetCalculatorILi1EjESI_NS0_6memory15LoadWithoutCastENSJ_16StoreWithoutCastEEEviT_T0_T2_T3_T4_T5_.uses_flat_scratch, 0
	.set _ZN2at6native27unrolled_elementwise_kernelIZZZNS0_12_GLOBAL__N_142_validate_compressed_sparse_indices_kernelILNS2_8CDimNameE1ENS2_18CUDAKernelLauncherENS2_14EmptyVecKernelENS2_8DummyVecELm8EEEvRKNS_6TensorESA_lllENKUlvE0_clEvENKUlvE0_clEvEUllE_St5arrayIPcLm2EELi4E23TrivialOffsetCalculatorILi1EjESI_NS0_6memory15LoadWithoutCastENSJ_16StoreWithoutCastEEEviT_T0_T2_T3_T4_T5_.has_dyn_sized_stack, 0
	.set _ZN2at6native27unrolled_elementwise_kernelIZZZNS0_12_GLOBAL__N_142_validate_compressed_sparse_indices_kernelILNS2_8CDimNameE1ENS2_18CUDAKernelLauncherENS2_14EmptyVecKernelENS2_8DummyVecELm8EEEvRKNS_6TensorESA_lllENKUlvE0_clEvENKUlvE0_clEvEUllE_St5arrayIPcLm2EELi4E23TrivialOffsetCalculatorILi1EjESI_NS0_6memory15LoadWithoutCastENSJ_16StoreWithoutCastEEEviT_T0_T2_T3_T4_T5_.has_recursion, 0
	.set _ZN2at6native27unrolled_elementwise_kernelIZZZNS0_12_GLOBAL__N_142_validate_compressed_sparse_indices_kernelILNS2_8CDimNameE1ENS2_18CUDAKernelLauncherENS2_14EmptyVecKernelENS2_8DummyVecELm8EEEvRKNS_6TensorESA_lllENKUlvE0_clEvENKUlvE0_clEvEUllE_St5arrayIPcLm2EELi4E23TrivialOffsetCalculatorILi1EjESI_NS0_6memory15LoadWithoutCastENSJ_16StoreWithoutCastEEEviT_T0_T2_T3_T4_T5_.has_indirect_call, 0
	.section	.AMDGPU.csdata,"",@progbits
; Kernel info:
; codeLenInByte = 1144
; TotalNumSgprs: 21
; NumVgprs: 11
; ScratchSize: 0
; MemoryBound: 0
; FloatMode: 240
; IeeeMode: 1
; LDSByteSize: 0 bytes/workgroup (compile time only)
; SGPRBlocks: 0
; VGPRBlocks: 0
; NumSGPRsForWavesPerEU: 21
; NumVGPRsForWavesPerEU: 11
; NamedBarCnt: 0
; Occupancy: 16
; WaveLimiterHint : 0
; COMPUTE_PGM_RSRC2:SCRATCH_EN: 0
; COMPUTE_PGM_RSRC2:USER_SGPR: 2
; COMPUTE_PGM_RSRC2:TRAP_HANDLER: 0
; COMPUTE_PGM_RSRC2:TGID_X_EN: 1
; COMPUTE_PGM_RSRC2:TGID_Y_EN: 0
; COMPUTE_PGM_RSRC2:TGID_Z_EN: 0
; COMPUTE_PGM_RSRC2:TIDIG_COMP_CNT: 0
	.section	.text._ZN2at6native32elementwise_kernel_manual_unrollILi128ELi4EZNS0_22gpu_kernel_impl_nocastIZZZNS0_12_GLOBAL__N_142_validate_compressed_sparse_indices_kernelILNS3_8CDimNameE1ENS3_18CUDAKernelLauncherENS3_14EmptyVecKernelENS3_8DummyVecELm8EEEvRKNS_6TensorESB_lllENKUlvE0_clEvENKUlvE0_clEvEUllE_EEvRNS_18TensorIteratorBaseERKT_EUlibE_EEviT1_,"axG",@progbits,_ZN2at6native32elementwise_kernel_manual_unrollILi128ELi4EZNS0_22gpu_kernel_impl_nocastIZZZNS0_12_GLOBAL__N_142_validate_compressed_sparse_indices_kernelILNS3_8CDimNameE1ENS3_18CUDAKernelLauncherENS3_14EmptyVecKernelENS3_8DummyVecELm8EEEvRKNS_6TensorESB_lllENKUlvE0_clEvENKUlvE0_clEvEUllE_EEvRNS_18TensorIteratorBaseERKT_EUlibE_EEviT1_,comdat
	.globl	_ZN2at6native32elementwise_kernel_manual_unrollILi128ELi4EZNS0_22gpu_kernel_impl_nocastIZZZNS0_12_GLOBAL__N_142_validate_compressed_sparse_indices_kernelILNS3_8CDimNameE1ENS3_18CUDAKernelLauncherENS3_14EmptyVecKernelENS3_8DummyVecELm8EEEvRKNS_6TensorESB_lllENKUlvE0_clEvENKUlvE0_clEvEUllE_EEvRNS_18TensorIteratorBaseERKT_EUlibE_EEviT1_ ; -- Begin function _ZN2at6native32elementwise_kernel_manual_unrollILi128ELi4EZNS0_22gpu_kernel_impl_nocastIZZZNS0_12_GLOBAL__N_142_validate_compressed_sparse_indices_kernelILNS3_8CDimNameE1ENS3_18CUDAKernelLauncherENS3_14EmptyVecKernelENS3_8DummyVecELm8EEEvRKNS_6TensorESB_lllENKUlvE0_clEvENKUlvE0_clEvEUllE_EEvRNS_18TensorIteratorBaseERKT_EUlibE_EEviT1_
	.p2align	8
	.type	_ZN2at6native32elementwise_kernel_manual_unrollILi128ELi4EZNS0_22gpu_kernel_impl_nocastIZZZNS0_12_GLOBAL__N_142_validate_compressed_sparse_indices_kernelILNS3_8CDimNameE1ENS3_18CUDAKernelLauncherENS3_14EmptyVecKernelENS3_8DummyVecELm8EEEvRKNS_6TensorESB_lllENKUlvE0_clEvENKUlvE0_clEvEUllE_EEvRNS_18TensorIteratorBaseERKT_EUlibE_EEviT1_,@function
_ZN2at6native32elementwise_kernel_manual_unrollILi128ELi4EZNS0_22gpu_kernel_impl_nocastIZZZNS0_12_GLOBAL__N_142_validate_compressed_sparse_indices_kernelILNS3_8CDimNameE1ENS3_18CUDAKernelLauncherENS3_14EmptyVecKernelENS3_8DummyVecELm8EEEvRKNS_6TensorESB_lllENKUlvE0_clEvENKUlvE0_clEvEUllE_EEvRNS_18TensorIteratorBaseERKT_EUlibE_EEviT1_: ; @_ZN2at6native32elementwise_kernel_manual_unrollILi128ELi4EZNS0_22gpu_kernel_impl_nocastIZZZNS0_12_GLOBAL__N_142_validate_compressed_sparse_indices_kernelILNS3_8CDimNameE1ENS3_18CUDAKernelLauncherENS3_14EmptyVecKernelENS3_8DummyVecELm8EEEvRKNS_6TensorESB_lllENKUlvE0_clEvENKUlvE0_clEvEUllE_EEvRNS_18TensorIteratorBaseERKT_EUlibE_EEviT1_
; %bb.0:
	s_clause 0x1
	s_load_b32 s33, s[0:1], 0x8
	s_load_b32 s42, s[0:1], 0x0
	s_bfe_u32 s2, ttmp6, 0x4000c
	s_and_b32 s3, ttmp6, 15
	s_add_co_i32 s2, s2, 1
	s_getreg_b32 s4, hwreg(HW_REG_IB_STS2, 6, 4)
	s_mul_i32 s2, ttmp9, s2
	s_mov_b32 s37, 0
	s_add_co_i32 s3, s3, s2
	s_cmp_eq_u32 s4, 0
	s_mov_b32 s28, -1
	s_cselect_b32 s2, ttmp9, s3
	s_add_nc_u64 s[20:21], s[0:1], 8
	v_lshl_or_b32 v0, s2, 9, v0
	s_mov_b32 s12, 0
	s_get_pc_i64 s[2:3]
	s_add_nc_u64 s[2:3], s[2:3], .str.5@rel64+4
	s_wait_xcnt 0x0
	s_mov_b32 s0, exec_lo
	v_or_b32_e32 v1, 0x180, v0
	s_wait_kmcnt 0x0
	s_add_co_i32 s36, s33, -1
	s_delay_alu instid0(SALU_CYCLE_1)
	s_cmp_gt_u32 s36, 1
	s_cselect_b32 s38, -1, 0
	v_cmpx_le_i32_e64 s42, v1
	s_xor_b32 s39, exec_lo, s0
	s_cbranch_execz .LBB77_31
; %bb.1:
	s_clause 0x3
	s_load_b128 s[12:15], s[20:21], 0x4
	s_load_b64 s[0:1], s[20:21], 0x14
	s_load_b128 s[16:19], s[20:21], 0xc4
	s_load_b256 s[4:11], s[20:21], 0x148
	s_cmp_lg_u32 s33, 0
	s_mov_b32 s23, 0
	s_cselect_b32 s44, -1, 0
	s_min_u32 s43, s36, 15
	s_cmp_gt_u32 s33, 1
	s_add_nc_u64 s[26:27], s[20:21], 0xc4
	s_cselect_b32 s41, -1, 0
	s_cmp_lg_u64 s[2:3], 0
	s_mov_b32 s25, s23
	s_cselect_b32 s40, -1, 0
	s_mov_b32 s45, exec_lo
	s_wait_kmcnt 0x0
	s_mov_b32 s22, s13
	s_mov_b32 s24, s0
	;; [unrolled: 1-line block ×3, first 2 shown]
	v_cmpx_gt_i32_e64 s42, v0
	s_cbranch_execz .LBB77_7
; %bb.2:
	s_and_not1_b32 vcc_lo, exec_lo, s38
	s_cbranch_vccnz .LBB77_14
; %bb.3:
	s_and_not1_b32 vcc_lo, exec_lo, s44
	s_cbranch_vccnz .LBB77_16
; %bb.4:
	s_add_co_i32 s0, s43, 1
	s_cmp_eq_u32 s36, 2
	s_cbranch_scc1 .LBB77_17
; %bb.5:
	v_dual_mov_b32 v2, 0 :: v_dual_mov_b32 v3, 0
	v_mov_b32_e32 v1, v0
	s_and_b32 s28, s0, 28
	s_mov_b32 s13, 0
	s_mov_b64 s[30:31], s[20:21]
	s_mov_b64 s[34:35], s[26:27]
.LBB77_6:                               ; =>This Inner Loop Header: Depth=1
	s_clause 0x1
	s_load_b256 s[48:55], s[30:31], 0x4
	s_load_b128 s[64:67], s[30:31], 0x24
	s_load_b256 s[56:63], s[34:35], 0x0
	s_add_co_i32 s13, s13, 4
	s_wait_xcnt 0x0
	s_add_nc_u64 s[30:31], s[30:31], 48
	s_cmp_lg_u32 s28, s13
	s_add_nc_u64 s[34:35], s[34:35], 32
	s_wait_kmcnt 0x0
	v_mul_hi_u32 v4, s49, v1
	s_delay_alu instid0(VALU_DEP_1) | instskip(NEXT) | instid1(VALU_DEP_1)
	v_add_nc_u32_e32 v4, v1, v4
	v_lshrrev_b32_e32 v4, s50, v4
	s_delay_alu instid0(VALU_DEP_1) | instskip(NEXT) | instid1(VALU_DEP_1)
	v_mul_hi_u32 v5, s52, v4
	v_add_nc_u32_e32 v5, v4, v5
	s_delay_alu instid0(VALU_DEP_1) | instskip(NEXT) | instid1(VALU_DEP_1)
	v_lshrrev_b32_e32 v5, s53, v5
	v_mul_hi_u32 v6, s55, v5
	s_delay_alu instid0(VALU_DEP_1) | instskip(SKIP_1) | instid1(VALU_DEP_1)
	v_add_nc_u32_e32 v6, v5, v6
	v_mul_lo_u32 v7, v4, s48
	v_sub_nc_u32_e32 v1, v1, v7
	v_mul_lo_u32 v7, v5, s51
	s_delay_alu instid0(VALU_DEP_4) | instskip(NEXT) | instid1(VALU_DEP_3)
	v_lshrrev_b32_e32 v6, s64, v6
	v_mad_u32 v3, v1, s57, v3
	v_mad_u32 v1, v1, s56, v2
	s_delay_alu instid0(VALU_DEP_4) | instskip(NEXT) | instid1(VALU_DEP_4)
	v_sub_nc_u32_e32 v2, v4, v7
	v_mul_hi_u32 v8, s66, v6
	v_mul_lo_u32 v4, v6, s54
	s_delay_alu instid0(VALU_DEP_3) | instskip(SKIP_1) | instid1(VALU_DEP_4)
	v_mad_u32 v3, v2, s59, v3
	v_mad_u32 v2, v2, s58, v1
	v_add_nc_u32_e32 v7, v6, v8
	s_delay_alu instid0(VALU_DEP_1) | instskip(NEXT) | instid1(VALU_DEP_1)
	v_dual_sub_nc_u32 v4, v5, v4 :: v_dual_lshrrev_b32 v1, s67, v7
	v_mad_u32 v3, v4, s61, v3
	s_delay_alu instid0(VALU_DEP_4) | instskip(NEXT) | instid1(VALU_DEP_3)
	v_mad_u32 v2, v4, s60, v2
	v_mul_lo_u32 v5, v1, s65
	s_delay_alu instid0(VALU_DEP_1) | instskip(NEXT) | instid1(VALU_DEP_1)
	v_sub_nc_u32_e32 v4, v6, v5
	v_mad_u32 v3, v4, s63, v3
	s_delay_alu instid0(VALU_DEP_4)
	v_mad_u32 v2, v4, s62, v2
	s_cbranch_scc1 .LBB77_6
	s_branch .LBB77_18
.LBB77_7:
	s_or_b32 exec_lo, exec_lo, s45
                                        ; implicit-def: $vgpr2
	s_and_saveexec_b32 s45, s28
	s_cbranch_execz .LBB77_27
.LBB77_8:
	s_mov_b32 s0, -1
	s_mov_b32 s46, s13
	s_mov_b32 s47, exec_lo
	v_cmpx_gt_i32_e64 s42, v0
	s_cbranch_execz .LBB77_115
; %bb.9:
	s_and_not1_b32 vcc_lo, exec_lo, s38
	s_cbranch_vccnz .LBB77_15
; %bb.10:
	s_and_not1_b32 vcc_lo, exec_lo, s44
	s_cbranch_vccnz .LBB77_104
; %bb.11:
	s_add_co_i32 s0, s43, 1
	s_cmp_eq_u32 s36, 2
	s_cbranch_scc1 .LBB77_105
; %bb.12:
	v_dual_mov_b32 v2, 0 :: v_dual_mov_b32 v3, 0
	v_mov_b32_e32 v1, v0
	s_and_b32 s28, s0, 28
	s_mov_b32 s29, 0
	s_mov_b64 s[30:31], s[20:21]
	s_mov_b64 s[34:35], s[26:27]
.LBB77_13:                              ; =>This Inner Loop Header: Depth=1
	s_clause 0x1
	s_load_b256 s[48:55], s[30:31], 0x4
	s_load_b128 s[64:67], s[30:31], 0x24
	s_load_b256 s[56:63], s[34:35], 0x0
	s_add_co_i32 s29, s29, 4
	s_wait_xcnt 0x0
	s_add_nc_u64 s[30:31], s[30:31], 48
	s_cmp_eq_u32 s28, s29
	s_add_nc_u64 s[34:35], s[34:35], 32
	s_wait_kmcnt 0x0
	v_mul_hi_u32 v4, s49, v1
	s_delay_alu instid0(VALU_DEP_1) | instskip(NEXT) | instid1(VALU_DEP_1)
	v_add_nc_u32_e32 v4, v1, v4
	v_lshrrev_b32_e32 v4, s50, v4
	s_delay_alu instid0(VALU_DEP_1) | instskip(NEXT) | instid1(VALU_DEP_1)
	v_mul_hi_u32 v5, s52, v4
	v_add_nc_u32_e32 v5, v4, v5
	s_delay_alu instid0(VALU_DEP_1) | instskip(NEXT) | instid1(VALU_DEP_1)
	v_lshrrev_b32_e32 v5, s53, v5
	v_mul_hi_u32 v6, s55, v5
	s_delay_alu instid0(VALU_DEP_1) | instskip(SKIP_1) | instid1(VALU_DEP_1)
	v_add_nc_u32_e32 v6, v5, v6
	v_mul_lo_u32 v7, v4, s48
	v_sub_nc_u32_e32 v1, v1, v7
	v_mul_lo_u32 v7, v5, s51
	s_delay_alu instid0(VALU_DEP_4) | instskip(NEXT) | instid1(VALU_DEP_3)
	v_lshrrev_b32_e32 v6, s64, v6
	v_mad_u32 v3, v1, s57, v3
	v_mad_u32 v1, v1, s56, v2
	s_delay_alu instid0(VALU_DEP_4) | instskip(NEXT) | instid1(VALU_DEP_4)
	v_sub_nc_u32_e32 v2, v4, v7
	v_mul_hi_u32 v8, s66, v6
	v_mul_lo_u32 v4, v6, s54
	s_delay_alu instid0(VALU_DEP_3) | instskip(SKIP_1) | instid1(VALU_DEP_4)
	v_mad_u32 v3, v2, s59, v3
	v_mad_u32 v2, v2, s58, v1
	v_add_nc_u32_e32 v7, v6, v8
	s_delay_alu instid0(VALU_DEP_1) | instskip(NEXT) | instid1(VALU_DEP_1)
	v_dual_sub_nc_u32 v4, v5, v4 :: v_dual_lshrrev_b32 v1, s67, v7
	v_mad_u32 v3, v4, s61, v3
	s_delay_alu instid0(VALU_DEP_4) | instskip(NEXT) | instid1(VALU_DEP_3)
	v_mad_u32 v2, v4, s60, v2
	v_mul_lo_u32 v5, v1, s65
	s_delay_alu instid0(VALU_DEP_1) | instskip(NEXT) | instid1(VALU_DEP_1)
	v_sub_nc_u32_e32 v4, v6, v5
	v_mad_u32 v3, v4, s63, v3
	s_delay_alu instid0(VALU_DEP_4)
	v_mad_u32 v2, v4, s62, v2
	s_cbranch_scc0 .LBB77_13
	s_branch .LBB77_106
.LBB77_14:
                                        ; implicit-def: $vgpr3
	s_branch .LBB77_22
.LBB77_15:
                                        ; implicit-def: $vgpr3
	s_and_not1_b32 vcc_lo, exec_lo, s0
	s_cbranch_vccz .LBB77_110
	s_branch .LBB77_112
.LBB77_16:
	v_dual_mov_b32 v3, 0 :: v_dual_mov_b32 v2, 0
	s_branch .LBB77_21
.LBB77_17:
	v_mov_b64_e32 v[2:3], 0
	v_mov_b32_e32 v1, v0
	s_mov_b32 s28, 0
.LBB77_18:
	s_and_b32 s0, s0, 3
	s_mov_b32 s29, 0
	s_cmp_eq_u32 s0, 0
	s_cbranch_scc1 .LBB77_21
; %bb.19:
	s_lshl_b32 s30, s28, 3
	s_mov_b32 s31, s29
	s_mul_u64 s[34:35], s[28:29], 12
	s_add_nc_u64 s[30:31], s[20:21], s[30:31]
	s_delay_alu instid0(SALU_CYCLE_1)
	s_add_nc_u64 s[28:29], s[30:31], 0xc4
	s_add_nc_u64 s[30:31], s[20:21], s[34:35]
.LBB77_20:                              ; =>This Inner Loop Header: Depth=1
	s_load_b96 s[48:50], s[30:31], 0x4
	s_load_b64 s[34:35], s[28:29], 0x0
	s_add_co_i32 s0, s0, -1
	s_wait_xcnt 0x0
	s_add_nc_u64 s[30:31], s[30:31], 12
	s_cmp_lg_u32 s0, 0
	s_add_nc_u64 s[28:29], s[28:29], 8
	s_wait_kmcnt 0x0
	v_mul_hi_u32 v4, s49, v1
	s_delay_alu instid0(VALU_DEP_1) | instskip(NEXT) | instid1(VALU_DEP_1)
	v_add_nc_u32_e32 v4, v1, v4
	v_lshrrev_b32_e32 v4, s50, v4
	s_delay_alu instid0(VALU_DEP_1) | instskip(NEXT) | instid1(VALU_DEP_1)
	v_mul_lo_u32 v5, v4, s48
	v_sub_nc_u32_e32 v1, v1, v5
	s_delay_alu instid0(VALU_DEP_1)
	v_mad_u32 v3, v1, s35, v3
	v_mad_u32 v2, v1, s34, v2
	v_mov_b32_e32 v1, v4
	s_cbranch_scc1 .LBB77_20
.LBB77_21:
	s_cbranch_execnz .LBB77_24
.LBB77_22:
	v_mov_b32_e32 v1, 0
	s_and_not1_b32 vcc_lo, exec_lo, s41
	s_delay_alu instid0(VALU_DEP_1) | instskip(NEXT) | instid1(VALU_DEP_1)
	v_mul_u64_e32 v[2:3], s[22:23], v[0:1]
	v_add_nc_u32_e32 v2, v0, v3
	s_delay_alu instid0(VALU_DEP_1) | instskip(NEXT) | instid1(VALU_DEP_1)
	v_lshrrev_b32_e32 v4, s14, v2
	v_mul_lo_u32 v2, v4, s12
	s_delay_alu instid0(VALU_DEP_1) | instskip(NEXT) | instid1(VALU_DEP_1)
	v_sub_nc_u32_e32 v2, v0, v2
	v_mul_lo_u32 v3, v2, s17
	v_mul_lo_u32 v2, v2, s16
	s_cbranch_vccnz .LBB77_24
; %bb.23:
	v_mov_b32_e32 v5, v1
	s_delay_alu instid0(VALU_DEP_1) | instskip(NEXT) | instid1(VALU_DEP_1)
	v_mul_u64_e32 v[6:7], s[24:25], v[4:5]
	v_add_nc_u32_e32 v1, v4, v7
	s_delay_alu instid0(VALU_DEP_1) | instskip(NEXT) | instid1(VALU_DEP_1)
	v_lshrrev_b32_e32 v1, s1, v1
	v_mul_lo_u32 v1, v1, s15
	s_delay_alu instid0(VALU_DEP_1) | instskip(NEXT) | instid1(VALU_DEP_1)
	v_sub_nc_u32_e32 v1, v4, v1
	v_mad_u32 v2, v1, s18, v2
	v_mad_u32 v3, v1, s19, v3
.LBB77_24:
	global_load_b64 v[4:5], v3, s[6:7]
	s_wait_loadcnt 0x0
	v_cmp_le_i64_e32 vcc_lo, s[8:9], v[4:5]
	v_cmp_gt_i64_e64 s0, s[10:11], v[4:5]
	s_and_b32 s13, vcc_lo, s0
	s_mov_b32 s0, 0
	s_and_b32 s29, s40, s13
	s_mov_b32 s13, -1
	s_and_saveexec_b32 s28, s29
; %bb.25:
	v_mov_b64_e32 v[4:5], 0
	v_add_nc_u32_e32 v0, 0x80, v0
	s_mov_b32 s0, exec_lo
	s_xor_b32 s13, exec_lo, -1
	global_store_b64 v2, v[4:5], s[4:5]
; %bb.26:
	s_wait_xcnt 0x0
	s_or_b32 exec_lo, exec_lo, s28
	s_delay_alu instid0(SALU_CYCLE_1)
	s_and_b32 s13, s13, exec_lo
	s_or_not1_b32 s28, s0, exec_lo
	s_or_b32 exec_lo, exec_lo, s45
                                        ; implicit-def: $vgpr2
	s_and_saveexec_b32 s45, s28
	s_cbranch_execnz .LBB77_8
.LBB77_27:
	s_or_b32 exec_lo, exec_lo, s45
	s_mov_b32 s0, 0
	s_and_saveexec_b32 s1, s13
	s_cbranch_execnz .LBB77_156
.LBB77_28:
	s_or_b32 exec_lo, exec_lo, s1
	s_and_saveexec_b32 s1, s23
	s_delay_alu instid0(SALU_CYCLE_1)
	s_xor_b32 s1, exec_lo, s1
	s_cbranch_execz .LBB77_30
.LBB77_29:
	v_mov_b64_e32 v[0:1], 0
	global_store_b64 v2, v[0:1], s[4:5]
.LBB77_30:
	s_wait_xcnt 0x0
	s_or_b32 exec_lo, exec_lo, s1
	s_delay_alu instid0(SALU_CYCLE_1)
	s_and_b32 s12, s0, exec_lo
                                        ; implicit-def: $vgpr1
                                        ; implicit-def: $vgpr0
.LBB77_31:
	s_or_saveexec_b32 s13, s39
                                        ; implicit-def: $sgpr4_sgpr5_sgpr6_sgpr7_sgpr8_sgpr9_sgpr10_sgpr11
                                        ; implicit-def: $vgpr8
                                        ; implicit-def: $vgpr6
                                        ; implicit-def: $vgpr4
                                        ; implicit-def: $vgpr2
	s_delay_alu instid0(SALU_CYCLE_1)
	s_xor_b32 exec_lo, exec_lo, s13
	s_cbranch_execz .LBB77_38
; %bb.32:
	v_cndmask_b32_e64 v8, 0, 1, s38
	s_and_not1_b32 vcc_lo, exec_lo, s38
	s_cbranch_vccnz .LBB77_41
; %bb.33:
	s_cmp_lg_u32 s33, 0
	s_mov_b32 s8, 0
	s_cbranch_scc0 .LBB77_42
; %bb.34:
	s_min_u32 s1, s36, 15
	s_delay_alu instid0(SALU_CYCLE_1)
	s_add_co_i32 s1, s1, 1
	s_cmp_eq_u32 s36, 2
	s_cbranch_scc1 .LBB77_43
; %bb.35:
	v_dual_mov_b32 v2, 0 :: v_dual_mov_b32 v3, 0
	v_mov_b32_e32 v4, v0
	s_and_b32 s0, s1, 28
	s_add_nc_u64 s[4:5], s[20:21], 0xc4
	s_mov_b32 s9, 0
	s_mov_b64 s[6:7], s[20:21]
.LBB77_36:                              ; =>This Inner Loop Header: Depth=1
	s_clause 0x1
	s_load_b256 s[24:31], s[6:7], 0x4
	s_load_b128 s[16:19], s[6:7], 0x24
	s_load_b256 s[40:47], s[4:5], 0x0
	s_add_co_i32 s9, s9, 4
	s_wait_xcnt 0x0
	s_add_nc_u64 s[6:7], s[6:7], 48
	s_cmp_lg_u32 s0, s9
	s_add_nc_u64 s[4:5], s[4:5], 32
	s_wait_kmcnt 0x0
	v_mul_hi_u32 v5, s25, v4
	s_delay_alu instid0(VALU_DEP_1) | instskip(NEXT) | instid1(VALU_DEP_1)
	v_add_nc_u32_e32 v5, v4, v5
	v_lshrrev_b32_e32 v5, s26, v5
	s_delay_alu instid0(VALU_DEP_1) | instskip(NEXT) | instid1(VALU_DEP_1)
	v_mul_hi_u32 v6, s28, v5
	v_add_nc_u32_e32 v6, v5, v6
	s_delay_alu instid0(VALU_DEP_1) | instskip(NEXT) | instid1(VALU_DEP_1)
	v_lshrrev_b32_e32 v6, s29, v6
	v_mul_hi_u32 v7, s31, v6
	s_delay_alu instid0(VALU_DEP_1) | instskip(SKIP_1) | instid1(VALU_DEP_1)
	v_add_nc_u32_e32 v7, v6, v7
	v_mul_lo_u32 v9, v5, s24
	v_sub_nc_u32_e32 v4, v4, v9
	v_mul_lo_u32 v9, v6, s27
	s_delay_alu instid0(VALU_DEP_4) | instskip(NEXT) | instid1(VALU_DEP_3)
	v_lshrrev_b32_e32 v7, s16, v7
	v_mad_u32 v3, v4, s41, v3
	v_mad_u32 v2, v4, s40, v2
	s_delay_alu instid0(VALU_DEP_4) | instskip(NEXT) | instid1(VALU_DEP_4)
	v_sub_nc_u32_e32 v4, v5, v9
	v_mul_hi_u32 v10, s18, v7
	v_mul_lo_u32 v5, v7, s30
	s_delay_alu instid0(VALU_DEP_3) | instskip(SKIP_1) | instid1(VALU_DEP_3)
	v_mad_u32 v3, v4, s43, v3
	v_mad_u32 v2, v4, s42, v2
	v_dual_add_nc_u32 v9, v7, v10 :: v_dual_sub_nc_u32 v5, v6, v5
	s_delay_alu instid0(VALU_DEP_1) | instskip(NEXT) | instid1(VALU_DEP_2)
	v_lshrrev_b32_e32 v4, s19, v9
	v_mad_u32 v3, v5, s45, v3
	s_delay_alu instid0(VALU_DEP_4) | instskip(NEXT) | instid1(VALU_DEP_3)
	v_mad_u32 v2, v5, s44, v2
	v_mul_lo_u32 v6, v4, s17
	s_delay_alu instid0(VALU_DEP_1) | instskip(NEXT) | instid1(VALU_DEP_1)
	v_sub_nc_u32_e32 v5, v7, v6
	v_mad_u32 v3, v5, s47, v3
	s_delay_alu instid0(VALU_DEP_4)
	v_mad_u32 v2, v5, s46, v2
	s_cbranch_scc1 .LBB77_36
; %bb.37:
	s_and_b32 s6, s1, 3
	s_mov_b32 s1, 0
	s_cmp_eq_u32 s6, 0
	s_cbranch_scc0 .LBB77_44
	s_branch .LBB77_46
.LBB77_38:
	s_or_b32 exec_lo, exec_lo, s13
	s_and_saveexec_b32 s0, s12
	s_cbranch_execz .LBB77_102
.LBB77_39:
	; divergent unreachable
	s_or_b32 exec_lo, exec_lo, s0
	s_and_saveexec_b32 s0, s37
	s_cbranch_execnz .LBB77_103
.LBB77_40:
	s_endpgm
.LBB77_41:
	s_mov_b32 s8, -1
                                        ; implicit-def: $vgpr3
	s_branch .LBB77_46
.LBB77_42:
	v_dual_mov_b32 v3, 0 :: v_dual_mov_b32 v2, 0
	s_branch .LBB77_46
.LBB77_43:
	v_mov_b64_e32 v[2:3], 0
	v_mov_b32_e32 v4, v0
	s_mov_b32 s0, 0
	s_and_b32 s6, s1, 3
	s_mov_b32 s1, 0
	s_cmp_eq_u32 s6, 0
	s_cbranch_scc1 .LBB77_46
.LBB77_44:
	s_lshl_b32 s4, s0, 3
	s_mov_b32 s5, s1
	s_mul_u64 s[10:11], s[0:1], 12
	s_add_nc_u64 s[4:5], s[20:21], s[4:5]
	s_delay_alu instid0(SALU_CYCLE_1)
	s_add_nc_u64 s[0:1], s[4:5], 0xc4
	s_add_nc_u64 s[4:5], s[20:21], s[10:11]
.LBB77_45:                              ; =>This Inner Loop Header: Depth=1
	s_load_b96 s[16:18], s[4:5], 0x4
	s_load_b64 s[10:11], s[0:1], 0x0
	s_add_co_i32 s6, s6, -1
	s_wait_xcnt 0x0
	s_add_nc_u64 s[4:5], s[4:5], 12
	s_cmp_lg_u32 s6, 0
	s_add_nc_u64 s[0:1], s[0:1], 8
	s_wait_kmcnt 0x0
	v_mul_hi_u32 v5, s17, v4
	s_delay_alu instid0(VALU_DEP_1) | instskip(NEXT) | instid1(VALU_DEP_1)
	v_add_nc_u32_e32 v5, v4, v5
	v_lshrrev_b32_e32 v5, s18, v5
	s_delay_alu instid0(VALU_DEP_1) | instskip(NEXT) | instid1(VALU_DEP_1)
	v_mul_lo_u32 v6, v5, s16
	v_sub_nc_u32_e32 v4, v4, v6
	s_delay_alu instid0(VALU_DEP_1)
	v_mad_u32 v3, v4, s11, v3
	v_mad_u32 v2, v4, s10, v2
	v_mov_b32_e32 v4, v5
	s_cbranch_scc1 .LBB77_45
.LBB77_46:
	s_and_not1_b32 vcc_lo, exec_lo, s8
	s_cbranch_vccnz .LBB77_49
; %bb.47:
	s_clause 0x1
	s_load_b96 s[4:6], s[20:21], 0x4
	s_load_b64 s[0:1], s[20:21], 0xc4
	s_cmp_lt_u32 s33, 2
	s_wait_kmcnt 0x0
	v_mul_hi_u32 v2, s5, v0
	s_delay_alu instid0(VALU_DEP_1) | instskip(NEXT) | instid1(VALU_DEP_1)
	v_add_nc_u32_e32 v2, v0, v2
	v_lshrrev_b32_e32 v4, s6, v2
	s_delay_alu instid0(VALU_DEP_1) | instskip(NEXT) | instid1(VALU_DEP_1)
	v_mul_lo_u32 v2, v4, s4
	v_sub_nc_u32_e32 v2, v0, v2
	s_delay_alu instid0(VALU_DEP_1)
	v_mul_lo_u32 v3, v2, s1
	v_mul_lo_u32 v2, v2, s0
	s_cbranch_scc1 .LBB77_49
; %bb.48:
	s_clause 0x1
	s_load_b96 s[4:6], s[20:21], 0x10
	s_load_b64 s[0:1], s[20:21], 0xcc
	s_wait_kmcnt 0x0
	v_mul_hi_u32 v5, s5, v4
	s_delay_alu instid0(VALU_DEP_1) | instskip(NEXT) | instid1(VALU_DEP_1)
	v_add_nc_u32_e32 v5, v4, v5
	v_lshrrev_b32_e32 v5, s6, v5
	s_delay_alu instid0(VALU_DEP_1) | instskip(NEXT) | instid1(VALU_DEP_1)
	v_mul_lo_u32 v5, v5, s4
	v_sub_nc_u32_e32 v4, v4, v5
	s_delay_alu instid0(VALU_DEP_1)
	v_mad_u32 v2, v4, s0, v2
	v_mad_u32 v3, v4, s1, v3
.LBB77_49:
	v_cmp_ne_u32_e32 vcc_lo, 1, v8
	v_add_nc_u32_e32 v6, 0x80, v0
	s_cbranch_vccnz .LBB77_55
; %bb.50:
	s_cmp_lg_u32 s33, 0
	s_mov_b32 s8, 0
	s_cbranch_scc0 .LBB77_56
; %bb.51:
	s_min_u32 s1, s36, 15
	s_delay_alu instid0(SALU_CYCLE_1)
	s_add_co_i32 s1, s1, 1
	s_cmp_eq_u32 s36, 2
	s_cbranch_scc1 .LBB77_57
; %bb.52:
	v_dual_mov_b32 v4, 0 :: v_dual_mov_b32 v5, 0
	v_mov_b32_e32 v7, v6
	s_and_b32 s0, s1, 28
	s_add_nc_u64 s[4:5], s[20:21], 0xc4
	s_mov_b32 s9, 0
	s_mov_b64 s[6:7], s[20:21]
.LBB77_53:                              ; =>This Inner Loop Header: Depth=1
	s_clause 0x1
	s_load_b256 s[24:31], s[6:7], 0x4
	s_load_b128 s[16:19], s[6:7], 0x24
	s_load_b256 s[40:47], s[4:5], 0x0
	s_add_co_i32 s9, s9, 4
	s_wait_xcnt 0x0
	s_add_nc_u64 s[6:7], s[6:7], 48
	s_cmp_lg_u32 s0, s9
	s_add_nc_u64 s[4:5], s[4:5], 32
	s_wait_kmcnt 0x0
	v_mul_hi_u32 v9, s25, v7
	s_delay_alu instid0(VALU_DEP_1) | instskip(NEXT) | instid1(VALU_DEP_1)
	v_add_nc_u32_e32 v9, v7, v9
	v_lshrrev_b32_e32 v9, s26, v9
	s_delay_alu instid0(VALU_DEP_1) | instskip(NEXT) | instid1(VALU_DEP_1)
	v_mul_hi_u32 v10, s28, v9
	v_add_nc_u32_e32 v10, v9, v10
	s_delay_alu instid0(VALU_DEP_1) | instskip(NEXT) | instid1(VALU_DEP_1)
	v_lshrrev_b32_e32 v10, s29, v10
	v_mul_hi_u32 v11, s31, v10
	s_delay_alu instid0(VALU_DEP_1) | instskip(SKIP_1) | instid1(VALU_DEP_1)
	v_add_nc_u32_e32 v11, v10, v11
	v_mul_lo_u32 v12, v9, s24
	v_sub_nc_u32_e32 v7, v7, v12
	v_mul_lo_u32 v12, v10, s27
	s_delay_alu instid0(VALU_DEP_4) | instskip(NEXT) | instid1(VALU_DEP_3)
	v_lshrrev_b32_e32 v11, s16, v11
	v_mad_u32 v5, v7, s41, v5
	v_mad_u32 v4, v7, s40, v4
	s_delay_alu instid0(VALU_DEP_4) | instskip(NEXT) | instid1(VALU_DEP_4)
	v_sub_nc_u32_e32 v7, v9, v12
	v_mul_hi_u32 v13, s18, v11
	v_mul_lo_u32 v9, v11, s30
	s_delay_alu instid0(VALU_DEP_3) | instskip(SKIP_1) | instid1(VALU_DEP_4)
	v_mad_u32 v5, v7, s43, v5
	v_mad_u32 v4, v7, s42, v4
	v_add_nc_u32_e32 v12, v11, v13
	s_delay_alu instid0(VALU_DEP_1) | instskip(NEXT) | instid1(VALU_DEP_1)
	v_dual_sub_nc_u32 v9, v10, v9 :: v_dual_lshrrev_b32 v7, s19, v12
	v_mad_u32 v5, v9, s45, v5
	s_delay_alu instid0(VALU_DEP_4) | instskip(NEXT) | instid1(VALU_DEP_3)
	v_mad_u32 v4, v9, s44, v4
	v_mul_lo_u32 v10, v7, s17
	s_delay_alu instid0(VALU_DEP_1) | instskip(NEXT) | instid1(VALU_DEP_1)
	v_sub_nc_u32_e32 v9, v11, v10
	v_mad_u32 v5, v9, s47, v5
	s_delay_alu instid0(VALU_DEP_4)
	v_mad_u32 v4, v9, s46, v4
	s_cbranch_scc1 .LBB77_53
; %bb.54:
	s_and_b32 s6, s1, 3
	s_mov_b32 s1, 0
	s_cmp_eq_u32 s6, 0
	s_cbranch_scc0 .LBB77_58
	s_branch .LBB77_60
.LBB77_55:
	s_mov_b32 s8, -1
                                        ; implicit-def: $vgpr5
	s_branch .LBB77_60
.LBB77_56:
	v_dual_mov_b32 v5, 0 :: v_dual_mov_b32 v4, 0
	s_branch .LBB77_60
.LBB77_57:
	v_mov_b64_e32 v[4:5], 0
	v_mov_b32_e32 v7, v6
	s_mov_b32 s0, 0
	s_and_b32 s6, s1, 3
	s_mov_b32 s1, 0
	s_cmp_eq_u32 s6, 0
	s_cbranch_scc1 .LBB77_60
.LBB77_58:
	s_lshl_b32 s4, s0, 3
	s_mov_b32 s5, s1
	s_mul_u64 s[10:11], s[0:1], 12
	s_add_nc_u64 s[4:5], s[20:21], s[4:5]
	s_delay_alu instid0(SALU_CYCLE_1)
	s_add_nc_u64 s[0:1], s[4:5], 0xc4
	s_add_nc_u64 s[4:5], s[20:21], s[10:11]
.LBB77_59:                              ; =>This Inner Loop Header: Depth=1
	s_load_b96 s[16:18], s[4:5], 0x4
	s_load_b64 s[10:11], s[0:1], 0x0
	s_add_co_i32 s6, s6, -1
	s_wait_xcnt 0x0
	s_add_nc_u64 s[4:5], s[4:5], 12
	s_cmp_lg_u32 s6, 0
	s_add_nc_u64 s[0:1], s[0:1], 8
	s_wait_kmcnt 0x0
	v_mul_hi_u32 v9, s17, v7
	s_delay_alu instid0(VALU_DEP_1) | instskip(NEXT) | instid1(VALU_DEP_1)
	v_add_nc_u32_e32 v9, v7, v9
	v_lshrrev_b32_e32 v9, s18, v9
	s_delay_alu instid0(VALU_DEP_1) | instskip(NEXT) | instid1(VALU_DEP_1)
	v_mul_lo_u32 v10, v9, s16
	v_sub_nc_u32_e32 v7, v7, v10
	s_delay_alu instid0(VALU_DEP_1)
	v_mad_u32 v5, v7, s11, v5
	v_mad_u32 v4, v7, s10, v4
	v_mov_b32_e32 v7, v9
	s_cbranch_scc1 .LBB77_59
.LBB77_60:
	s_and_not1_b32 vcc_lo, exec_lo, s8
	s_cbranch_vccnz .LBB77_63
; %bb.61:
	s_clause 0x1
	s_load_b96 s[4:6], s[20:21], 0x4
	s_load_b64 s[0:1], s[20:21], 0xc4
	s_cmp_lt_u32 s33, 2
	s_wait_kmcnt 0x0
	v_mul_hi_u32 v4, s5, v6
	s_delay_alu instid0(VALU_DEP_1) | instskip(NEXT) | instid1(VALU_DEP_1)
	v_add_nc_u32_e32 v4, v6, v4
	v_lshrrev_b32_e32 v7, s6, v4
	s_delay_alu instid0(VALU_DEP_1) | instskip(NEXT) | instid1(VALU_DEP_1)
	v_mul_lo_u32 v4, v7, s4
	v_sub_nc_u32_e32 v4, v6, v4
	s_delay_alu instid0(VALU_DEP_1)
	v_mul_lo_u32 v5, v4, s1
	v_mul_lo_u32 v4, v4, s0
	s_cbranch_scc1 .LBB77_63
; %bb.62:
	s_clause 0x1
	s_load_b96 s[4:6], s[20:21], 0x10
	s_load_b64 s[0:1], s[20:21], 0xcc
	s_wait_kmcnt 0x0
	v_mul_hi_u32 v6, s5, v7
	s_delay_alu instid0(VALU_DEP_1) | instskip(NEXT) | instid1(VALU_DEP_1)
	v_add_nc_u32_e32 v6, v7, v6
	v_lshrrev_b32_e32 v6, s6, v6
	s_delay_alu instid0(VALU_DEP_1) | instskip(NEXT) | instid1(VALU_DEP_1)
	v_mul_lo_u32 v6, v6, s4
	v_sub_nc_u32_e32 v6, v7, v6
	s_delay_alu instid0(VALU_DEP_1)
	v_mad_u32 v4, v6, s0, v4
	v_mad_u32 v5, v6, s1, v5
.LBB77_63:
	v_cmp_ne_u32_e32 vcc_lo, 1, v8
	v_add_nc_u32_e32 v0, 0x100, v0
	s_cbranch_vccnz .LBB77_69
; %bb.64:
	s_cmp_lg_u32 s33, 0
	s_mov_b32 s8, 0
	s_cbranch_scc0 .LBB77_70
; %bb.65:
	s_min_u32 s1, s36, 15
	s_delay_alu instid0(SALU_CYCLE_1)
	s_add_co_i32 s1, s1, 1
	s_cmp_eq_u32 s36, 2
	s_cbranch_scc1 .LBB77_71
; %bb.66:
	v_dual_mov_b32 v6, 0 :: v_dual_mov_b32 v7, 0
	v_mov_b32_e32 v9, v0
	s_and_b32 s0, s1, 28
	s_add_nc_u64 s[4:5], s[20:21], 0xc4
	s_mov_b32 s9, 0
	s_mov_b64 s[6:7], s[20:21]
.LBB77_67:                              ; =>This Inner Loop Header: Depth=1
	s_clause 0x1
	s_load_b256 s[24:31], s[6:7], 0x4
	s_load_b128 s[16:19], s[6:7], 0x24
	s_load_b256 s[40:47], s[4:5], 0x0
	s_add_co_i32 s9, s9, 4
	s_wait_xcnt 0x0
	s_add_nc_u64 s[6:7], s[6:7], 48
	s_cmp_lg_u32 s0, s9
	s_add_nc_u64 s[4:5], s[4:5], 32
	s_wait_kmcnt 0x0
	v_mul_hi_u32 v10, s25, v9
	s_delay_alu instid0(VALU_DEP_1) | instskip(NEXT) | instid1(VALU_DEP_1)
	v_add_nc_u32_e32 v10, v9, v10
	v_lshrrev_b32_e32 v10, s26, v10
	s_delay_alu instid0(VALU_DEP_1) | instskip(NEXT) | instid1(VALU_DEP_1)
	v_mul_hi_u32 v11, s28, v10
	v_add_nc_u32_e32 v11, v10, v11
	s_delay_alu instid0(VALU_DEP_1) | instskip(NEXT) | instid1(VALU_DEP_1)
	v_lshrrev_b32_e32 v11, s29, v11
	v_mul_hi_u32 v12, s31, v11
	s_delay_alu instid0(VALU_DEP_1) | instskip(SKIP_1) | instid1(VALU_DEP_1)
	v_add_nc_u32_e32 v12, v11, v12
	v_mul_lo_u32 v13, v10, s24
	v_sub_nc_u32_e32 v9, v9, v13
	v_mul_lo_u32 v13, v11, s27
	s_delay_alu instid0(VALU_DEP_4) | instskip(NEXT) | instid1(VALU_DEP_3)
	v_lshrrev_b32_e32 v12, s16, v12
	v_mad_u32 v7, v9, s41, v7
	v_mad_u32 v6, v9, s40, v6
	s_delay_alu instid0(VALU_DEP_4) | instskip(NEXT) | instid1(VALU_DEP_4)
	v_sub_nc_u32_e32 v9, v10, v13
	v_mul_hi_u32 v14, s18, v12
	v_mul_lo_u32 v10, v12, s30
	s_delay_alu instid0(VALU_DEP_3) | instskip(SKIP_1) | instid1(VALU_DEP_4)
	v_mad_u32 v7, v9, s43, v7
	v_mad_u32 v6, v9, s42, v6
	v_add_nc_u32_e32 v13, v12, v14
	s_delay_alu instid0(VALU_DEP_1) | instskip(NEXT) | instid1(VALU_DEP_1)
	v_dual_sub_nc_u32 v10, v11, v10 :: v_dual_lshrrev_b32 v9, s19, v13
	v_mad_u32 v7, v10, s45, v7
	s_delay_alu instid0(VALU_DEP_4) | instskip(NEXT) | instid1(VALU_DEP_3)
	v_mad_u32 v6, v10, s44, v6
	v_mul_lo_u32 v11, v9, s17
	s_delay_alu instid0(VALU_DEP_1) | instskip(NEXT) | instid1(VALU_DEP_1)
	v_sub_nc_u32_e32 v10, v12, v11
	v_mad_u32 v7, v10, s47, v7
	s_delay_alu instid0(VALU_DEP_4)
	v_mad_u32 v6, v10, s46, v6
	s_cbranch_scc1 .LBB77_67
; %bb.68:
	s_and_b32 s6, s1, 3
	s_mov_b32 s1, 0
	s_cmp_eq_u32 s6, 0
	s_cbranch_scc0 .LBB77_72
	s_branch .LBB77_74
.LBB77_69:
	s_mov_b32 s8, -1
                                        ; implicit-def: $vgpr7
	s_branch .LBB77_74
.LBB77_70:
	v_dual_mov_b32 v7, 0 :: v_dual_mov_b32 v6, 0
	s_branch .LBB77_74
.LBB77_71:
	v_mov_b64_e32 v[6:7], 0
	v_mov_b32_e32 v9, v0
	s_mov_b32 s0, 0
	s_and_b32 s6, s1, 3
	s_mov_b32 s1, 0
	s_cmp_eq_u32 s6, 0
	s_cbranch_scc1 .LBB77_74
.LBB77_72:
	s_lshl_b32 s4, s0, 3
	s_mov_b32 s5, s1
	s_mul_u64 s[10:11], s[0:1], 12
	s_add_nc_u64 s[4:5], s[20:21], s[4:5]
	s_delay_alu instid0(SALU_CYCLE_1)
	s_add_nc_u64 s[0:1], s[4:5], 0xc4
	s_add_nc_u64 s[4:5], s[20:21], s[10:11]
.LBB77_73:                              ; =>This Inner Loop Header: Depth=1
	s_load_b96 s[16:18], s[4:5], 0x4
	s_load_b64 s[10:11], s[0:1], 0x0
	s_add_co_i32 s6, s6, -1
	s_wait_xcnt 0x0
	s_add_nc_u64 s[4:5], s[4:5], 12
	s_cmp_lg_u32 s6, 0
	s_add_nc_u64 s[0:1], s[0:1], 8
	s_wait_kmcnt 0x0
	v_mul_hi_u32 v10, s17, v9
	s_delay_alu instid0(VALU_DEP_1) | instskip(NEXT) | instid1(VALU_DEP_1)
	v_add_nc_u32_e32 v10, v9, v10
	v_lshrrev_b32_e32 v10, s18, v10
	s_delay_alu instid0(VALU_DEP_1) | instskip(NEXT) | instid1(VALU_DEP_1)
	v_mul_lo_u32 v11, v10, s16
	v_sub_nc_u32_e32 v9, v9, v11
	s_delay_alu instid0(VALU_DEP_1)
	v_mad_u32 v7, v9, s11, v7
	v_mad_u32 v6, v9, s10, v6
	v_mov_b32_e32 v9, v10
	s_cbranch_scc1 .LBB77_73
.LBB77_74:
	s_and_not1_b32 vcc_lo, exec_lo, s8
	s_cbranch_vccnz .LBB77_77
; %bb.75:
	s_clause 0x1
	s_load_b96 s[4:6], s[20:21], 0x4
	s_load_b64 s[0:1], s[20:21], 0xc4
	s_cmp_lt_u32 s33, 2
	s_wait_kmcnt 0x0
	v_mul_hi_u32 v6, s5, v0
	s_delay_alu instid0(VALU_DEP_1) | instskip(NEXT) | instid1(VALU_DEP_1)
	v_add_nc_u32_e32 v6, v0, v6
	v_lshrrev_b32_e32 v9, s6, v6
	s_delay_alu instid0(VALU_DEP_1) | instskip(NEXT) | instid1(VALU_DEP_1)
	v_mul_lo_u32 v6, v9, s4
	v_sub_nc_u32_e32 v0, v0, v6
	s_delay_alu instid0(VALU_DEP_1)
	v_mul_lo_u32 v7, v0, s1
	v_mul_lo_u32 v6, v0, s0
	s_cbranch_scc1 .LBB77_77
; %bb.76:
	s_clause 0x1
	s_load_b96 s[4:6], s[20:21], 0x10
	s_load_b64 s[0:1], s[20:21], 0xcc
	s_wait_kmcnt 0x0
	v_mul_hi_u32 v0, s5, v9
	s_delay_alu instid0(VALU_DEP_1) | instskip(NEXT) | instid1(VALU_DEP_1)
	v_add_nc_u32_e32 v0, v9, v0
	v_lshrrev_b32_e32 v0, s6, v0
	s_delay_alu instid0(VALU_DEP_1) | instskip(NEXT) | instid1(VALU_DEP_1)
	v_mul_lo_u32 v0, v0, s4
	v_sub_nc_u32_e32 v0, v9, v0
	s_delay_alu instid0(VALU_DEP_1)
	v_mad_u32 v6, v0, s0, v6
	v_mad_u32 v7, v0, s1, v7
.LBB77_77:
	v_cmp_ne_u32_e32 vcc_lo, 1, v8
	s_cbranch_vccnz .LBB77_83
; %bb.78:
	s_cmp_lg_u32 s33, 0
	s_mov_b32 s8, 0
	s_cbranch_scc0 .LBB77_84
; %bb.79:
	s_min_u32 s1, s36, 15
	s_delay_alu instid0(SALU_CYCLE_1)
	s_add_co_i32 s1, s1, 1
	s_cmp_eq_u32 s36, 2
	s_cbranch_scc1 .LBB77_85
; %bb.80:
	v_dual_mov_b32 v8, 0 :: v_dual_mov_b32 v9, 0
	v_mov_b32_e32 v0, v1
	s_and_b32 s0, s1, 28
	s_add_nc_u64 s[4:5], s[20:21], 0xc4
	s_mov_b32 s9, 0
	s_mov_b64 s[6:7], s[20:21]
.LBB77_81:                              ; =>This Inner Loop Header: Depth=1
	s_clause 0x1
	s_load_b256 s[24:31], s[6:7], 0x4
	s_load_b128 s[16:19], s[6:7], 0x24
	s_load_b256 s[36:43], s[4:5], 0x0
	s_add_co_i32 s9, s9, 4
	s_wait_xcnt 0x0
	s_add_nc_u64 s[6:7], s[6:7], 48
	s_cmp_lg_u32 s0, s9
	s_add_nc_u64 s[4:5], s[4:5], 32
	s_wait_kmcnt 0x0
	v_mul_hi_u32 v10, s25, v0
	s_delay_alu instid0(VALU_DEP_1) | instskip(NEXT) | instid1(VALU_DEP_1)
	v_add_nc_u32_e32 v10, v0, v10
	v_lshrrev_b32_e32 v10, s26, v10
	s_delay_alu instid0(VALU_DEP_1) | instskip(NEXT) | instid1(VALU_DEP_1)
	v_mul_hi_u32 v11, s28, v10
	v_add_nc_u32_e32 v11, v10, v11
	s_delay_alu instid0(VALU_DEP_1) | instskip(NEXT) | instid1(VALU_DEP_1)
	v_lshrrev_b32_e32 v11, s29, v11
	v_mul_hi_u32 v12, s31, v11
	s_delay_alu instid0(VALU_DEP_1) | instskip(SKIP_1) | instid1(VALU_DEP_1)
	v_add_nc_u32_e32 v12, v11, v12
	v_mul_lo_u32 v13, v10, s24
	v_sub_nc_u32_e32 v0, v0, v13
	v_mul_lo_u32 v13, v11, s27
	s_delay_alu instid0(VALU_DEP_4) | instskip(NEXT) | instid1(VALU_DEP_3)
	v_lshrrev_b32_e32 v12, s16, v12
	v_mad_u32 v9, v0, s37, v9
	v_mad_u32 v0, v0, s36, v8
	s_delay_alu instid0(VALU_DEP_4) | instskip(NEXT) | instid1(VALU_DEP_4)
	v_sub_nc_u32_e32 v8, v10, v13
	v_mul_hi_u32 v14, s18, v12
	v_mul_lo_u32 v10, v12, s30
	s_delay_alu instid0(VALU_DEP_3) | instskip(SKIP_1) | instid1(VALU_DEP_4)
	v_mad_u32 v9, v8, s39, v9
	v_mad_u32 v8, v8, s38, v0
	v_add_nc_u32_e32 v13, v12, v14
	s_delay_alu instid0(VALU_DEP_1) | instskip(NEXT) | instid1(VALU_DEP_1)
	v_dual_sub_nc_u32 v10, v11, v10 :: v_dual_lshrrev_b32 v0, s19, v13
	v_mad_u32 v9, v10, s41, v9
	s_delay_alu instid0(VALU_DEP_4) | instskip(NEXT) | instid1(VALU_DEP_3)
	v_mad_u32 v8, v10, s40, v8
	v_mul_lo_u32 v11, v0, s17
	s_delay_alu instid0(VALU_DEP_1) | instskip(NEXT) | instid1(VALU_DEP_1)
	v_sub_nc_u32_e32 v10, v12, v11
	v_mad_u32 v9, v10, s43, v9
	s_delay_alu instid0(VALU_DEP_4)
	v_mad_u32 v8, v10, s42, v8
	s_cbranch_scc1 .LBB77_81
; %bb.82:
	s_and_b32 s6, s1, 3
	s_mov_b32 s1, 0
	s_cmp_eq_u32 s6, 0
	s_cbranch_scc0 .LBB77_86
	s_branch .LBB77_88
.LBB77_83:
	s_mov_b32 s8, -1
                                        ; implicit-def: $vgpr9
	s_branch .LBB77_88
.LBB77_84:
	v_dual_mov_b32 v9, 0 :: v_dual_mov_b32 v8, 0
	s_branch .LBB77_88
.LBB77_85:
	v_mov_b64_e32 v[8:9], 0
	v_mov_b32_e32 v0, v1
	s_mov_b32 s0, 0
	s_and_b32 s6, s1, 3
	s_mov_b32 s1, 0
	s_cmp_eq_u32 s6, 0
	s_cbranch_scc1 .LBB77_88
.LBB77_86:
	s_lshl_b32 s4, s0, 3
	s_mov_b32 s5, s1
	s_mul_u64 s[10:11], s[0:1], 12
	s_add_nc_u64 s[4:5], s[20:21], s[4:5]
	s_delay_alu instid0(SALU_CYCLE_1)
	s_add_nc_u64 s[0:1], s[4:5], 0xc4
	s_add_nc_u64 s[4:5], s[20:21], s[10:11]
.LBB77_87:                              ; =>This Inner Loop Header: Depth=1
	s_load_b96 s[16:18], s[4:5], 0x4
	s_load_b64 s[10:11], s[0:1], 0x0
	s_add_co_i32 s6, s6, -1
	s_wait_xcnt 0x0
	s_add_nc_u64 s[4:5], s[4:5], 12
	s_cmp_lg_u32 s6, 0
	s_add_nc_u64 s[0:1], s[0:1], 8
	s_wait_kmcnt 0x0
	v_mul_hi_u32 v10, s17, v0
	s_delay_alu instid0(VALU_DEP_1) | instskip(NEXT) | instid1(VALU_DEP_1)
	v_add_nc_u32_e32 v10, v0, v10
	v_lshrrev_b32_e32 v10, s18, v10
	s_delay_alu instid0(VALU_DEP_1) | instskip(NEXT) | instid1(VALU_DEP_1)
	v_mul_lo_u32 v11, v10, s16
	v_sub_nc_u32_e32 v0, v0, v11
	s_delay_alu instid0(VALU_DEP_1)
	v_mad_u32 v9, v0, s11, v9
	v_mad_u32 v8, v0, s10, v8
	v_mov_b32_e32 v0, v10
	s_cbranch_scc1 .LBB77_87
.LBB77_88:
	s_and_not1_b32 vcc_lo, exec_lo, s8
	s_cbranch_vccnz .LBB77_91
; %bb.89:
	s_clause 0x1
	s_load_b96 s[4:6], s[20:21], 0x4
	s_load_b64 s[0:1], s[20:21], 0xc4
	s_cmp_lt_u32 s33, 2
	s_wait_kmcnt 0x0
	v_mul_hi_u32 v0, s5, v1
	s_delay_alu instid0(VALU_DEP_1) | instskip(NEXT) | instid1(VALU_DEP_1)
	v_add_nc_u32_e32 v0, v1, v0
	v_lshrrev_b32_e32 v0, s6, v0
	s_delay_alu instid0(VALU_DEP_1) | instskip(NEXT) | instid1(VALU_DEP_1)
	v_mul_lo_u32 v8, v0, s4
	v_sub_nc_u32_e32 v1, v1, v8
	s_delay_alu instid0(VALU_DEP_1)
	v_mul_lo_u32 v9, v1, s1
	v_mul_lo_u32 v8, v1, s0
	s_cbranch_scc1 .LBB77_91
; %bb.90:
	s_clause 0x1
	s_load_b96 s[4:6], s[20:21], 0x10
	s_load_b64 s[0:1], s[20:21], 0xcc
	s_wait_kmcnt 0x0
	v_mul_hi_u32 v1, s5, v0
	s_delay_alu instid0(VALU_DEP_1) | instskip(NEXT) | instid1(VALU_DEP_1)
	v_add_nc_u32_e32 v1, v0, v1
	v_lshrrev_b32_e32 v1, s6, v1
	s_delay_alu instid0(VALU_DEP_1) | instskip(NEXT) | instid1(VALU_DEP_1)
	v_mul_lo_u32 v1, v1, s4
	v_sub_nc_u32_e32 v0, v0, v1
	s_delay_alu instid0(VALU_DEP_1)
	v_mad_u32 v8, v0, s0, v8
	v_mad_u32 v9, v0, s1, v9
.LBB77_91:
	s_load_b256 s[4:11], s[20:21], 0x148
	s_wait_kmcnt 0x0
	global_load_b64 v[0:1], v3, s[6:7]
	s_wait_loadcnt 0x0
	v_cmp_gt_i64_e32 vcc_lo, s[8:9], v[0:1]
	v_cmp_le_i64_e64 s0, s[10:11], v[0:1]
	s_or_b32 s0, vcc_lo, s0
	s_cmp_eq_u64 s[2:3], 0
	s_cselect_b32 s1, -1, 0
	s_delay_alu instid0(SALU_CYCLE_1) | instskip(SKIP_3) | instid1(SALU_CYCLE_1)
	s_or_b32 s0, s1, s0
	s_mov_b32 s1, s12
	s_wait_xcnt 0x0
	s_and_saveexec_b32 s2, s0
	s_xor_b32 s0, exec_lo, s2
	s_cbranch_execnz .LBB77_157
; %bb.92:
	s_or_saveexec_b32 s2, s0
	s_mov_b32 s0, 0
	s_xor_b32 exec_lo, exec_lo, s2
	s_cbranch_execz .LBB77_101
.LBB77_93:
	global_load_b64 v[0:1], v5, s[6:7]
	s_mov_b32 s3, s1
	s_wait_loadcnt 0x0
	v_cmp_gt_i64_e32 vcc_lo, s[8:9], v[0:1]
	v_cmp_le_i64_e64 s0, s[10:11], v[0:1]
	s_or_b32 s0, vcc_lo, s0
	s_wait_xcnt 0x0
	s_and_saveexec_b32 s14, s0
	s_delay_alu instid0(SALU_CYCLE_1)
	s_xor_b32 s0, exec_lo, s14
	s_cbranch_execnz .LBB77_158
; %bb.94:
	s_or_saveexec_b32 s14, s0
	s_mov_b32 s0, 0
	s_xor_b32 exec_lo, exec_lo, s14
	s_cbranch_execz .LBB77_100
.LBB77_95:
	global_load_b64 v[0:1], v7, s[6:7]
	s_mov_b32 s15, s3
	s_wait_loadcnt 0x0
	v_cmp_gt_i64_e32 vcc_lo, s[8:9], v[0:1]
	v_cmp_le_i64_e64 s0, s[10:11], v[0:1]
	s_or_b32 s0, vcc_lo, s0
	s_wait_xcnt 0x0
	s_and_saveexec_b32 s16, s0
	s_delay_alu instid0(SALU_CYCLE_1)
	s_xor_b32 s0, exec_lo, s16
	s_cbranch_execnz .LBB77_159
; %bb.96:
	s_or_saveexec_b32 s16, s0
	s_mov_b32 s0, 0
	s_xor_b32 exec_lo, exec_lo, s16
	s_cbranch_execz .LBB77_99
.LBB77_97:
	global_load_b64 v[0:1], v9, s[6:7]
	s_wait_xcnt 0x0
	s_mov_b32 s6, -1
	s_wait_loadcnt 0x0
	v_cmp_gt_i64_e32 vcc_lo, s[8:9], v[0:1]
	v_cmp_le_i64_e64 s0, s[10:11], v[0:1]
	s_or_b32 s8, vcc_lo, s0
	s_mov_b32 s0, s15
	s_and_saveexec_b32 s7, s8
	s_cbranch_execnz .LBB77_160
.LBB77_98:
	s_or_b32 exec_lo, exec_lo, s7
	s_delay_alu instid0(SALU_CYCLE_1)
	s_and_not1_b32 s7, s15, exec_lo
	s_and_b32 s8, s0, exec_lo
	s_and_b32 s0, s6, exec_lo
	s_or_b32 s15, s7, s8
.LBB77_99:
	s_or_b32 exec_lo, exec_lo, s16
	s_delay_alu instid0(SALU_CYCLE_1)
	s_and_not1_b32 s3, s3, exec_lo
	s_and_b32 s6, s15, exec_lo
	s_and_b32 s0, s0, exec_lo
	s_or_b32 s3, s3, s6
.LBB77_100:
	s_or_b32 exec_lo, exec_lo, s14
	s_delay_alu instid0(SALU_CYCLE_1)
	s_and_not1_b32 s1, s1, exec_lo
	s_and_b32 s3, s3, exec_lo
	s_and_b32 s0, s0, exec_lo
	s_or_b32 s1, s1, s3
.LBB77_101:
	s_or_b32 exec_lo, exec_lo, s2
	s_delay_alu instid0(SALU_CYCLE_1)
	s_and_not1_b32 s2, s12, exec_lo
	s_and_b32 s1, s1, exec_lo
	s_and_b32 s37, s0, exec_lo
	s_or_b32 s12, s2, s1
	s_or_b32 exec_lo, exec_lo, s13
	s_and_saveexec_b32 s0, s12
	s_cbranch_execnz .LBB77_39
.LBB77_102:
	s_or_b32 exec_lo, exec_lo, s0
	s_and_saveexec_b32 s0, s37
	s_cbranch_execz .LBB77_40
.LBB77_103:
	v_mov_b64_e32 v[0:1], 0
	s_clause 0x3
	global_store_b64 v2, v[0:1], s[4:5]
	global_store_b64 v4, v[0:1], s[4:5]
	;; [unrolled: 1-line block ×4, first 2 shown]
	s_endpgm
.LBB77_104:
	v_dual_mov_b32 v3, 0 :: v_dual_mov_b32 v2, 0
	s_branch .LBB77_109
.LBB77_105:
	v_mov_b64_e32 v[2:3], 0
	v_mov_b32_e32 v1, v0
	s_mov_b32 s28, 0
.LBB77_106:
	s_and_b32 s0, s0, 3
	s_mov_b32 s29, 0
	s_cmp_eq_u32 s0, 0
	s_cbranch_scc1 .LBB77_109
; %bb.107:
	s_lshl_b32 s30, s28, 3
	s_mov_b32 s31, s29
	s_mul_u64 s[34:35], s[28:29], 12
	s_add_nc_u64 s[30:31], s[20:21], s[30:31]
	s_delay_alu instid0(SALU_CYCLE_1)
	s_add_nc_u64 s[28:29], s[30:31], 0xc4
	s_add_nc_u64 s[30:31], s[20:21], s[34:35]
.LBB77_108:                             ; =>This Inner Loop Header: Depth=1
	s_load_b96 s[48:50], s[30:31], 0x4
	s_load_b64 s[34:35], s[28:29], 0x0
	s_add_co_i32 s0, s0, -1
	s_wait_xcnt 0x0
	s_add_nc_u64 s[30:31], s[30:31], 12
	s_cmp_lg_u32 s0, 0
	s_add_nc_u64 s[28:29], s[28:29], 8
	s_wait_kmcnt 0x0
	v_mul_hi_u32 v4, s49, v1
	s_delay_alu instid0(VALU_DEP_1) | instskip(NEXT) | instid1(VALU_DEP_1)
	v_add_nc_u32_e32 v4, v1, v4
	v_lshrrev_b32_e32 v4, s50, v4
	s_delay_alu instid0(VALU_DEP_1) | instskip(NEXT) | instid1(VALU_DEP_1)
	v_mul_lo_u32 v5, v4, s48
	v_sub_nc_u32_e32 v1, v1, v5
	s_delay_alu instid0(VALU_DEP_1)
	v_mad_u32 v3, v1, s35, v3
	v_mad_u32 v2, v1, s34, v2
	v_mov_b32_e32 v1, v4
	s_cbranch_scc1 .LBB77_108
.LBB77_109:
	s_cbranch_execnz .LBB77_112
.LBB77_110:
	v_mov_b32_e32 v1, 0
	s_and_not1_b32 vcc_lo, exec_lo, s41
	s_delay_alu instid0(VALU_DEP_1) | instskip(NEXT) | instid1(VALU_DEP_1)
	v_mul_u64_e32 v[2:3], s[22:23], v[0:1]
	v_add_nc_u32_e32 v2, v0, v3
	s_delay_alu instid0(VALU_DEP_1) | instskip(NEXT) | instid1(VALU_DEP_1)
	v_lshrrev_b32_e32 v4, s14, v2
	v_mul_lo_u32 v2, v4, s12
	s_delay_alu instid0(VALU_DEP_1) | instskip(NEXT) | instid1(VALU_DEP_1)
	v_sub_nc_u32_e32 v2, v0, v2
	v_mul_lo_u32 v3, v2, s17
	v_mul_lo_u32 v2, v2, s16
	s_cbranch_vccnz .LBB77_112
; %bb.111:
	v_mov_b32_e32 v5, v1
	s_delay_alu instid0(VALU_DEP_1) | instskip(NEXT) | instid1(VALU_DEP_1)
	v_mul_u64_e32 v[6:7], s[24:25], v[4:5]
	v_add_nc_u32_e32 v1, v4, v7
	s_delay_alu instid0(VALU_DEP_1) | instskip(NEXT) | instid1(VALU_DEP_1)
	v_lshrrev_b32_e32 v1, s1, v1
	v_mul_lo_u32 v1, v1, s15
	s_delay_alu instid0(VALU_DEP_1) | instskip(NEXT) | instid1(VALU_DEP_1)
	v_sub_nc_u32_e32 v1, v4, v1
	v_mad_u32 v2, v1, s18, v2
	v_mad_u32 v3, v1, s19, v3
.LBB77_112:
	global_load_b64 v[4:5], v3, s[6:7]
	s_wait_loadcnt 0x0
	v_cmp_le_i64_e32 vcc_lo, s[8:9], v[4:5]
	v_cmp_gt_i64_e64 s0, s[10:11], v[4:5]
	s_and_b32 s28, vcc_lo, s0
	s_mov_b32 s0, 0
	s_and_b32 s30, s40, s28
	s_mov_b32 s28, -1
	s_wait_xcnt 0x0
	s_and_saveexec_b32 s29, s30
; %bb.113:
	v_mov_b64_e32 v[4:5], 0
	v_add_nc_u32_e32 v0, 0x80, v0
	s_mov_b32 s0, exec_lo
	s_xor_b32 s28, exec_lo, -1
	global_store_b64 v2, v[4:5], s[4:5]
; %bb.114:
	s_wait_xcnt 0x0
	s_or_b32 exec_lo, exec_lo, s29
	s_delay_alu instid0(SALU_CYCLE_1)
	s_and_not1_b32 s29, s13, exec_lo
	s_and_b32 s28, s28, exec_lo
	s_or_not1_b32 s0, s0, exec_lo
	s_or_b32 s46, s29, s28
.LBB77_115:
	s_or_b32 exec_lo, exec_lo, s47
	s_mov_b32 s28, 0
                                        ; implicit-def: $vgpr2
	s_and_saveexec_b32 s47, s0
	s_cbranch_execz .LBB77_155
; %bb.116:
	s_mov_b32 s0, -1
	s_mov_b32 s34, s46
	s_mov_b32 s48, exec_lo
	v_cmpx_gt_i32_e64 s42, v0
	s_cbranch_execz .LBB77_135
; %bb.117:
	s_and_not1_b32 vcc_lo, exec_lo, s38
	s_cbranch_vccnz .LBB77_122
; %bb.118:
	s_and_not1_b32 vcc_lo, exec_lo, s44
	s_cbranch_vccnz .LBB77_123
; %bb.119:
	s_add_co_i32 s0, s43, 1
	s_cmp_eq_u32 s36, 2
	s_cbranch_scc1 .LBB77_124
; %bb.120:
	v_dual_mov_b32 v2, 0 :: v_dual_mov_b32 v3, 0
	v_mov_b32_e32 v1, v0
	s_and_b32 s28, s0, 28
	s_mov_b32 s29, 0
	s_mov_b64 s[30:31], s[20:21]
	s_mov_b64 s[34:35], s[26:27]
.LBB77_121:                             ; =>This Inner Loop Header: Depth=1
	s_clause 0x1
	s_load_b256 s[52:59], s[30:31], 0x4
	s_load_b128 s[68:71], s[30:31], 0x24
	s_load_b256 s[60:67], s[34:35], 0x0
	s_add_co_i32 s29, s29, 4
	s_wait_xcnt 0x0
	s_add_nc_u64 s[30:31], s[30:31], 48
	s_cmp_eq_u32 s28, s29
	s_add_nc_u64 s[34:35], s[34:35], 32
	s_wait_kmcnt 0x0
	v_mul_hi_u32 v4, s53, v1
	s_delay_alu instid0(VALU_DEP_1) | instskip(NEXT) | instid1(VALU_DEP_1)
	v_add_nc_u32_e32 v4, v1, v4
	v_lshrrev_b32_e32 v4, s54, v4
	s_delay_alu instid0(VALU_DEP_1) | instskip(NEXT) | instid1(VALU_DEP_1)
	v_mul_hi_u32 v5, s56, v4
	v_add_nc_u32_e32 v5, v4, v5
	s_delay_alu instid0(VALU_DEP_1) | instskip(NEXT) | instid1(VALU_DEP_1)
	v_lshrrev_b32_e32 v5, s57, v5
	v_mul_hi_u32 v6, s59, v5
	s_delay_alu instid0(VALU_DEP_1) | instskip(SKIP_1) | instid1(VALU_DEP_1)
	v_add_nc_u32_e32 v6, v5, v6
	v_mul_lo_u32 v7, v4, s52
	v_sub_nc_u32_e32 v1, v1, v7
	v_mul_lo_u32 v7, v5, s55
	s_delay_alu instid0(VALU_DEP_4) | instskip(NEXT) | instid1(VALU_DEP_3)
	v_lshrrev_b32_e32 v6, s68, v6
	v_mad_u32 v3, v1, s61, v3
	v_mad_u32 v1, v1, s60, v2
	s_delay_alu instid0(VALU_DEP_4) | instskip(NEXT) | instid1(VALU_DEP_4)
	v_sub_nc_u32_e32 v2, v4, v7
	v_mul_hi_u32 v8, s70, v6
	v_mul_lo_u32 v4, v6, s58
	s_delay_alu instid0(VALU_DEP_3) | instskip(SKIP_1) | instid1(VALU_DEP_4)
	v_mad_u32 v3, v2, s63, v3
	v_mad_u32 v2, v2, s62, v1
	v_add_nc_u32_e32 v7, v6, v8
	s_delay_alu instid0(VALU_DEP_1) | instskip(NEXT) | instid1(VALU_DEP_1)
	v_dual_sub_nc_u32 v4, v5, v4 :: v_dual_lshrrev_b32 v1, s71, v7
	v_mad_u32 v3, v4, s65, v3
	s_delay_alu instid0(VALU_DEP_4) | instskip(NEXT) | instid1(VALU_DEP_3)
	v_mad_u32 v2, v4, s64, v2
	v_mul_lo_u32 v5, v1, s69
	s_delay_alu instid0(VALU_DEP_1) | instskip(NEXT) | instid1(VALU_DEP_1)
	v_sub_nc_u32_e32 v4, v6, v5
	v_mad_u32 v3, v4, s67, v3
	s_delay_alu instid0(VALU_DEP_4)
	v_mad_u32 v2, v4, s66, v2
	s_cbranch_scc0 .LBB77_121
	s_branch .LBB77_125
.LBB77_122:
                                        ; implicit-def: $vgpr3
	s_branch .LBB77_129
.LBB77_123:
	v_dual_mov_b32 v3, 0 :: v_dual_mov_b32 v2, 0
	s_branch .LBB77_128
.LBB77_124:
	v_mov_b64_e32 v[2:3], 0
	v_mov_b32_e32 v1, v0
.LBB77_125:
	s_and_b32 s0, s0, 3
	s_mov_b32 s29, 0
	s_cmp_eq_u32 s0, 0
	s_cbranch_scc1 .LBB77_128
; %bb.126:
	s_lshl_b32 s30, s28, 3
	s_mov_b32 s31, s29
	s_mul_u64 s[34:35], s[28:29], 12
	s_add_nc_u64 s[30:31], s[20:21], s[30:31]
	s_delay_alu instid0(SALU_CYCLE_1)
	s_add_nc_u64 s[28:29], s[30:31], 0xc4
	s_add_nc_u64 s[30:31], s[20:21], s[34:35]
.LBB77_127:                             ; =>This Inner Loop Header: Depth=1
	s_load_b96 s[52:54], s[30:31], 0x4
	s_load_b64 s[34:35], s[28:29], 0x0
	s_add_co_i32 s0, s0, -1
	s_wait_xcnt 0x0
	s_add_nc_u64 s[30:31], s[30:31], 12
	s_cmp_lg_u32 s0, 0
	s_add_nc_u64 s[28:29], s[28:29], 8
	s_wait_kmcnt 0x0
	v_mul_hi_u32 v4, s53, v1
	s_delay_alu instid0(VALU_DEP_1) | instskip(NEXT) | instid1(VALU_DEP_1)
	v_add_nc_u32_e32 v4, v1, v4
	v_lshrrev_b32_e32 v4, s54, v4
	s_delay_alu instid0(VALU_DEP_1) | instskip(NEXT) | instid1(VALU_DEP_1)
	v_mul_lo_u32 v5, v4, s52
	v_sub_nc_u32_e32 v1, v1, v5
	s_delay_alu instid0(VALU_DEP_1)
	v_mad_u32 v3, v1, s35, v3
	v_mad_u32 v2, v1, s34, v2
	v_mov_b32_e32 v1, v4
	s_cbranch_scc1 .LBB77_127
.LBB77_128:
	s_mov_b32 s0, 0
.LBB77_129:
	s_delay_alu instid0(SALU_CYCLE_1)
	s_and_not1_b32 vcc_lo, exec_lo, s0
	s_cbranch_vccnz .LBB77_132
; %bb.130:
	v_mov_b32_e32 v1, 0
	s_and_not1_b32 vcc_lo, exec_lo, s41
	s_delay_alu instid0(VALU_DEP_1) | instskip(NEXT) | instid1(VALU_DEP_1)
	v_mul_u64_e32 v[2:3], s[22:23], v[0:1]
	v_add_nc_u32_e32 v2, v0, v3
	s_delay_alu instid0(VALU_DEP_1) | instskip(NEXT) | instid1(VALU_DEP_1)
	v_lshrrev_b32_e32 v4, s14, v2
	v_mul_lo_u32 v2, v4, s12
	s_delay_alu instid0(VALU_DEP_1) | instskip(NEXT) | instid1(VALU_DEP_1)
	v_sub_nc_u32_e32 v2, v0, v2
	v_mul_lo_u32 v3, v2, s17
	v_mul_lo_u32 v2, v2, s16
	s_cbranch_vccnz .LBB77_132
; %bb.131:
	v_mov_b32_e32 v5, v1
	s_delay_alu instid0(VALU_DEP_1) | instskip(NEXT) | instid1(VALU_DEP_1)
	v_mul_u64_e32 v[6:7], s[24:25], v[4:5]
	v_add_nc_u32_e32 v1, v4, v7
	s_delay_alu instid0(VALU_DEP_1) | instskip(NEXT) | instid1(VALU_DEP_1)
	v_lshrrev_b32_e32 v1, s1, v1
	v_mul_lo_u32 v1, v1, s15
	s_delay_alu instid0(VALU_DEP_1) | instskip(NEXT) | instid1(VALU_DEP_1)
	v_sub_nc_u32_e32 v1, v4, v1
	v_mad_u32 v2, v1, s18, v2
	v_mad_u32 v3, v1, s19, v3
.LBB77_132:
	global_load_b64 v[4:5], v3, s[6:7]
	s_wait_loadcnt 0x0
	v_cmp_le_i64_e32 vcc_lo, s[8:9], v[4:5]
	v_cmp_gt_i64_e64 s0, s[10:11], v[4:5]
	s_and_b32 s28, vcc_lo, s0
	s_mov_b32 s0, 0
	s_and_b32 s30, s40, s28
	s_mov_b32 s28, -1
	s_wait_xcnt 0x0
	s_and_saveexec_b32 s29, s30
; %bb.133:
	v_mov_b64_e32 v[4:5], 0
	v_add_nc_u32_e32 v0, 0x80, v0
	s_mov_b32 s0, exec_lo
	s_xor_b32 s28, exec_lo, -1
	global_store_b64 v2, v[4:5], s[4:5]
; %bb.134:
	s_wait_xcnt 0x0
	s_or_b32 exec_lo, exec_lo, s29
	s_delay_alu instid0(SALU_CYCLE_1)
	s_and_not1_b32 s29, s46, exec_lo
	s_and_b32 s28, s28, exec_lo
	s_or_not1_b32 s0, s0, exec_lo
	s_or_b32 s34, s29, s28
.LBB77_135:
	s_or_b32 exec_lo, exec_lo, s48
	s_mov_b32 s28, 0
                                        ; implicit-def: $vgpr2
	s_and_saveexec_b32 s35, s0
	s_cbranch_execz .LBB77_154
; %bb.136:
	v_cmp_gt_i32_e32 vcc_lo, s42, v0
	s_mov_b32 s0, s34
                                        ; implicit-def: $vgpr2
	s_and_saveexec_b32 s42, vcc_lo
	s_cbranch_execz .LBB77_153
; %bb.137:
	s_and_not1_b32 vcc_lo, exec_lo, s38
	s_cbranch_vccnz .LBB77_142
; %bb.138:
	s_and_not1_b32 vcc_lo, exec_lo, s44
	s_cbranch_vccnz .LBB77_143
; %bb.139:
	s_add_co_i32 s43, s43, 1
	s_cmp_eq_u32 s36, 2
	s_cbranch_scc1 .LBB77_144
; %bb.140:
	v_dual_mov_b32 v2, 0 :: v_dual_mov_b32 v3, 0
	v_mov_b32_e32 v1, v0
	s_and_b32 s28, s43, 28
	s_mov_b32 s0, 0
	s_mov_b64 s[30:31], s[20:21]
.LBB77_141:                             ; =>This Inner Loop Header: Depth=1
	s_clause 0x1
	s_load_b256 s[48:55], s[30:31], 0x4
	s_load_b128 s[64:67], s[30:31], 0x24
	s_load_b256 s[56:63], s[26:27], 0x0
	s_add_co_i32 s0, s0, 4
	s_wait_xcnt 0x0
	s_add_nc_u64 s[30:31], s[30:31], 48
	s_cmp_eq_u32 s28, s0
	s_add_nc_u64 s[26:27], s[26:27], 32
	s_wait_kmcnt 0x0
	v_mul_hi_u32 v4, s49, v1
	s_delay_alu instid0(VALU_DEP_1) | instskip(NEXT) | instid1(VALU_DEP_1)
	v_add_nc_u32_e32 v4, v1, v4
	v_lshrrev_b32_e32 v4, s50, v4
	s_delay_alu instid0(VALU_DEP_1) | instskip(NEXT) | instid1(VALU_DEP_1)
	v_mul_hi_u32 v5, s52, v4
	v_add_nc_u32_e32 v5, v4, v5
	s_delay_alu instid0(VALU_DEP_1) | instskip(NEXT) | instid1(VALU_DEP_1)
	v_lshrrev_b32_e32 v5, s53, v5
	v_mul_hi_u32 v6, s55, v5
	s_delay_alu instid0(VALU_DEP_1) | instskip(SKIP_1) | instid1(VALU_DEP_1)
	v_add_nc_u32_e32 v6, v5, v6
	v_mul_lo_u32 v7, v4, s48
	v_sub_nc_u32_e32 v1, v1, v7
	v_mul_lo_u32 v7, v5, s51
	s_delay_alu instid0(VALU_DEP_4) | instskip(NEXT) | instid1(VALU_DEP_3)
	v_lshrrev_b32_e32 v6, s64, v6
	v_mad_u32 v3, v1, s57, v3
	v_mad_u32 v1, v1, s56, v2
	s_delay_alu instid0(VALU_DEP_4) | instskip(NEXT) | instid1(VALU_DEP_4)
	v_sub_nc_u32_e32 v2, v4, v7
	v_mul_hi_u32 v8, s66, v6
	v_mul_lo_u32 v4, v6, s54
	s_delay_alu instid0(VALU_DEP_3) | instskip(SKIP_1) | instid1(VALU_DEP_4)
	v_mad_u32 v3, v2, s59, v3
	v_mad_u32 v2, v2, s58, v1
	v_add_nc_u32_e32 v7, v6, v8
	s_delay_alu instid0(VALU_DEP_1) | instskip(NEXT) | instid1(VALU_DEP_1)
	v_dual_sub_nc_u32 v4, v5, v4 :: v_dual_lshrrev_b32 v1, s67, v7
	v_mad_u32 v3, v4, s61, v3
	s_delay_alu instid0(VALU_DEP_4) | instskip(NEXT) | instid1(VALU_DEP_3)
	v_mad_u32 v2, v4, s60, v2
	v_mul_lo_u32 v5, v1, s65
	s_delay_alu instid0(VALU_DEP_1) | instskip(NEXT) | instid1(VALU_DEP_1)
	v_sub_nc_u32_e32 v4, v6, v5
	v_mad_u32 v3, v4, s63, v3
	s_delay_alu instid0(VALU_DEP_4)
	v_mad_u32 v2, v4, s62, v2
	s_cbranch_scc0 .LBB77_141
	s_branch .LBB77_145
.LBB77_142:
	s_mov_b32 s0, -1
                                        ; implicit-def: $vgpr3
	s_branch .LBB77_149
.LBB77_143:
	v_dual_mov_b32 v3, 0 :: v_dual_mov_b32 v2, 0
	s_branch .LBB77_148
.LBB77_144:
	v_mov_b64_e32 v[2:3], 0
	v_mov_b32_e32 v1, v0
.LBB77_145:
	s_and_b32 s0, s43, 3
	s_mov_b32 s29, 0
	s_cmp_eq_u32 s0, 0
	s_cbranch_scc1 .LBB77_148
; %bb.146:
	s_lshl_b32 s26, s28, 3
	s_mov_b32 s27, s29
	s_mul_u64 s[28:29], s[28:29], 12
	s_add_nc_u64 s[26:27], s[20:21], s[26:27]
	s_add_nc_u64 s[28:29], s[20:21], s[28:29]
	;; [unrolled: 1-line block ×3, first 2 shown]
.LBB77_147:                             ; =>This Inner Loop Header: Depth=1
	s_load_b96 s[48:50], s[28:29], 0x4
	s_load_b64 s[30:31], s[26:27], 0x0
	s_add_co_i32 s0, s0, -1
	s_wait_xcnt 0x0
	s_add_nc_u64 s[28:29], s[28:29], 12
	s_cmp_lg_u32 s0, 0
	s_add_nc_u64 s[26:27], s[26:27], 8
	s_wait_kmcnt 0x0
	v_mul_hi_u32 v4, s49, v1
	s_delay_alu instid0(VALU_DEP_1) | instskip(NEXT) | instid1(VALU_DEP_1)
	v_add_nc_u32_e32 v4, v1, v4
	v_lshrrev_b32_e32 v4, s50, v4
	s_delay_alu instid0(VALU_DEP_1) | instskip(NEXT) | instid1(VALU_DEP_1)
	v_mul_lo_u32 v5, v4, s48
	v_sub_nc_u32_e32 v1, v1, v5
	s_delay_alu instid0(VALU_DEP_1)
	v_mad_u32 v3, v1, s31, v3
	v_mad_u32 v2, v1, s30, v2
	v_mov_b32_e32 v1, v4
	s_cbranch_scc1 .LBB77_147
.LBB77_148:
	s_mov_b32 s0, 0
.LBB77_149:
	s_delay_alu instid0(SALU_CYCLE_1)
	s_and_not1_b32 vcc_lo, exec_lo, s0
	s_cbranch_vccnz .LBB77_152
; %bb.150:
	v_mov_b32_e32 v1, 0
	s_and_not1_b32 vcc_lo, exec_lo, s41
	s_delay_alu instid0(VALU_DEP_1) | instskip(NEXT) | instid1(VALU_DEP_1)
	v_mul_u64_e32 v[2:3], s[22:23], v[0:1]
	v_add_nc_u32_e32 v2, v0, v3
	s_delay_alu instid0(VALU_DEP_1) | instskip(NEXT) | instid1(VALU_DEP_1)
	v_lshrrev_b32_e32 v4, s14, v2
	v_mul_lo_u32 v2, v4, s12
	s_delay_alu instid0(VALU_DEP_1) | instskip(NEXT) | instid1(VALU_DEP_1)
	v_sub_nc_u32_e32 v0, v0, v2
	v_mul_lo_u32 v3, v0, s17
	v_mul_lo_u32 v2, v0, s16
	s_cbranch_vccnz .LBB77_152
; %bb.151:
	v_mov_b32_e32 v5, v1
	s_delay_alu instid0(VALU_DEP_1) | instskip(NEXT) | instid1(VALU_DEP_1)
	v_mul_u64_e32 v[0:1], s[24:25], v[4:5]
	v_add_nc_u32_e32 v0, v4, v1
	s_delay_alu instid0(VALU_DEP_1) | instskip(NEXT) | instid1(VALU_DEP_1)
	v_lshrrev_b32_e32 v0, s1, v0
	v_mul_lo_u32 v0, v0, s15
	s_delay_alu instid0(VALU_DEP_1) | instskip(NEXT) | instid1(VALU_DEP_1)
	v_sub_nc_u32_e32 v0, v4, v0
	v_mad_u32 v2, v0, s18, v2
	v_mad_u32 v3, v0, s19, v3
.LBB77_152:
	global_load_b64 v[0:1], v3, s[6:7]
	s_and_not1_b32 s1, s34, exec_lo
	s_mov_b32 s28, exec_lo
	s_wait_loadcnt 0x0
	v_cmp_le_i64_e32 vcc_lo, s[8:9], v[0:1]
	v_cmp_gt_i64_e64 s0, s[10:11], v[0:1]
	s_and_b32 s0, vcc_lo, s0
	s_delay_alu instid0(SALU_CYCLE_1) | instskip(NEXT) | instid1(SALU_CYCLE_1)
	s_and_b32 s0, s40, s0
	s_xor_b32 s0, s0, -1
	s_delay_alu instid0(SALU_CYCLE_1) | instskip(NEXT) | instid1(SALU_CYCLE_1)
	s_and_b32 s0, s0, exec_lo
	s_or_b32 s0, s1, s0
.LBB77_153:
	s_wait_xcnt 0x0
	s_or_b32 exec_lo, exec_lo, s42
	s_delay_alu instid0(SALU_CYCLE_1)
	s_and_not1_b32 s1, s34, exec_lo
	s_and_b32 s0, s0, exec_lo
	s_and_b32 s28, s28, exec_lo
	s_or_b32 s34, s1, s0
.LBB77_154:
	s_or_b32 exec_lo, exec_lo, s35
	s_delay_alu instid0(SALU_CYCLE_1)
	s_and_not1_b32 s0, s46, exec_lo
	s_and_b32 s1, s34, exec_lo
	s_and_b32 s28, s28, exec_lo
	s_or_b32 s46, s0, s1
.LBB77_155:
	s_or_b32 exec_lo, exec_lo, s47
	s_delay_alu instid0(SALU_CYCLE_1)
	s_and_not1_b32 s0, s13, exec_lo
	s_and_b32 s1, s46, exec_lo
	s_and_b32 s23, s28, exec_lo
	s_or_b32 s13, s0, s1
	s_or_b32 exec_lo, exec_lo, s45
	s_mov_b32 s0, 0
	s_and_saveexec_b32 s1, s13
	s_cbranch_execz .LBB77_28
.LBB77_156:
	s_mov_b32 s0, exec_lo
	s_and_not1_b32 s23, s23, exec_lo
	s_trap 2
	s_or_b32 exec_lo, exec_lo, s1
	s_and_saveexec_b32 s1, s23
	s_delay_alu instid0(SALU_CYCLE_1)
	s_xor_b32 s1, exec_lo, s1
	s_cbranch_execnz .LBB77_29
	s_branch .LBB77_30
.LBB77_157:
	s_or_b32 s1, s12, exec_lo
	s_trap 2
	s_or_saveexec_b32 s2, s0
	s_mov_b32 s0, 0
	s_xor_b32 exec_lo, exec_lo, s2
	s_cbranch_execnz .LBB77_93
	s_branch .LBB77_101
.LBB77_158:
	s_or_b32 s3, s1, exec_lo
	s_trap 2
	s_or_saveexec_b32 s14, s0
	s_mov_b32 s0, 0
	s_xor_b32 exec_lo, exec_lo, s14
	s_cbranch_execnz .LBB77_95
	s_branch .LBB77_100
.LBB77_159:
	s_or_b32 s15, s3, exec_lo
	s_trap 2
	s_or_saveexec_b32 s16, s0
	s_mov_b32 s0, 0
	s_xor_b32 exec_lo, exec_lo, s16
	s_cbranch_execnz .LBB77_97
	s_branch .LBB77_99
.LBB77_160:
	s_xor_b32 s6, exec_lo, -1
	s_or_b32 s0, s15, exec_lo
	s_trap 2
	s_branch .LBB77_98
	.section	.rodata,"a",@progbits
	.p2align	6, 0x0
	.amdhsa_kernel _ZN2at6native32elementwise_kernel_manual_unrollILi128ELi4EZNS0_22gpu_kernel_impl_nocastIZZZNS0_12_GLOBAL__N_142_validate_compressed_sparse_indices_kernelILNS3_8CDimNameE1ENS3_18CUDAKernelLauncherENS3_14EmptyVecKernelENS3_8DummyVecELm8EEEvRKNS_6TensorESB_lllENKUlvE0_clEvENKUlvE0_clEvEUllE_EEvRNS_18TensorIteratorBaseERKT_EUlibE_EEviT1_
		.amdhsa_group_segment_fixed_size 0
		.amdhsa_private_segment_fixed_size 0
		.amdhsa_kernarg_size 368
		.amdhsa_user_sgpr_count 2
		.amdhsa_user_sgpr_dispatch_ptr 0
		.amdhsa_user_sgpr_queue_ptr 0
		.amdhsa_user_sgpr_kernarg_segment_ptr 1
		.amdhsa_user_sgpr_dispatch_id 0
		.amdhsa_user_sgpr_kernarg_preload_length 0
		.amdhsa_user_sgpr_kernarg_preload_offset 0
		.amdhsa_user_sgpr_private_segment_size 0
		.amdhsa_wavefront_size32 1
		.amdhsa_uses_dynamic_stack 0
		.amdhsa_enable_private_segment 0
		.amdhsa_system_sgpr_workgroup_id_x 1
		.amdhsa_system_sgpr_workgroup_id_y 0
		.amdhsa_system_sgpr_workgroup_id_z 0
		.amdhsa_system_sgpr_workgroup_info 0
		.amdhsa_system_vgpr_workitem_id 0
		.amdhsa_next_free_vgpr 15
		.amdhsa_next_free_sgpr 72
		.amdhsa_named_barrier_count 0
		.amdhsa_reserve_vcc 1
		.amdhsa_float_round_mode_32 0
		.amdhsa_float_round_mode_16_64 0
		.amdhsa_float_denorm_mode_32 3
		.amdhsa_float_denorm_mode_16_64 3
		.amdhsa_fp16_overflow 0
		.amdhsa_memory_ordered 1
		.amdhsa_forward_progress 1
		.amdhsa_inst_pref_size 56
		.amdhsa_round_robin_scheduling 0
		.amdhsa_exception_fp_ieee_invalid_op 0
		.amdhsa_exception_fp_denorm_src 0
		.amdhsa_exception_fp_ieee_div_zero 0
		.amdhsa_exception_fp_ieee_overflow 0
		.amdhsa_exception_fp_ieee_underflow 0
		.amdhsa_exception_fp_ieee_inexact 0
		.amdhsa_exception_int_div_zero 0
	.end_amdhsa_kernel
	.section	.text._ZN2at6native32elementwise_kernel_manual_unrollILi128ELi4EZNS0_22gpu_kernel_impl_nocastIZZZNS0_12_GLOBAL__N_142_validate_compressed_sparse_indices_kernelILNS3_8CDimNameE1ENS3_18CUDAKernelLauncherENS3_14EmptyVecKernelENS3_8DummyVecELm8EEEvRKNS_6TensorESB_lllENKUlvE0_clEvENKUlvE0_clEvEUllE_EEvRNS_18TensorIteratorBaseERKT_EUlibE_EEviT1_,"axG",@progbits,_ZN2at6native32elementwise_kernel_manual_unrollILi128ELi4EZNS0_22gpu_kernel_impl_nocastIZZZNS0_12_GLOBAL__N_142_validate_compressed_sparse_indices_kernelILNS3_8CDimNameE1ENS3_18CUDAKernelLauncherENS3_14EmptyVecKernelENS3_8DummyVecELm8EEEvRKNS_6TensorESB_lllENKUlvE0_clEvENKUlvE0_clEvEUllE_EEvRNS_18TensorIteratorBaseERKT_EUlibE_EEviT1_,comdat
.Lfunc_end77:
	.size	_ZN2at6native32elementwise_kernel_manual_unrollILi128ELi4EZNS0_22gpu_kernel_impl_nocastIZZZNS0_12_GLOBAL__N_142_validate_compressed_sparse_indices_kernelILNS3_8CDimNameE1ENS3_18CUDAKernelLauncherENS3_14EmptyVecKernelENS3_8DummyVecELm8EEEvRKNS_6TensorESB_lllENKUlvE0_clEvENKUlvE0_clEvEUllE_EEvRNS_18TensorIteratorBaseERKT_EUlibE_EEviT1_, .Lfunc_end77-_ZN2at6native32elementwise_kernel_manual_unrollILi128ELi4EZNS0_22gpu_kernel_impl_nocastIZZZNS0_12_GLOBAL__N_142_validate_compressed_sparse_indices_kernelILNS3_8CDimNameE1ENS3_18CUDAKernelLauncherENS3_14EmptyVecKernelENS3_8DummyVecELm8EEEvRKNS_6TensorESB_lllENKUlvE0_clEvENKUlvE0_clEvEUllE_EEvRNS_18TensorIteratorBaseERKT_EUlibE_EEviT1_
                                        ; -- End function
	.set _ZN2at6native32elementwise_kernel_manual_unrollILi128ELi4EZNS0_22gpu_kernel_impl_nocastIZZZNS0_12_GLOBAL__N_142_validate_compressed_sparse_indices_kernelILNS3_8CDimNameE1ENS3_18CUDAKernelLauncherENS3_14EmptyVecKernelENS3_8DummyVecELm8EEEvRKNS_6TensorESB_lllENKUlvE0_clEvENKUlvE0_clEvEUllE_EEvRNS_18TensorIteratorBaseERKT_EUlibE_EEviT1_.num_vgpr, 15
	.set _ZN2at6native32elementwise_kernel_manual_unrollILi128ELi4EZNS0_22gpu_kernel_impl_nocastIZZZNS0_12_GLOBAL__N_142_validate_compressed_sparse_indices_kernelILNS3_8CDimNameE1ENS3_18CUDAKernelLauncherENS3_14EmptyVecKernelENS3_8DummyVecELm8EEEvRKNS_6TensorESB_lllENKUlvE0_clEvENKUlvE0_clEvEUllE_EEvRNS_18TensorIteratorBaseERKT_EUlibE_EEviT1_.num_agpr, 0
	.set _ZN2at6native32elementwise_kernel_manual_unrollILi128ELi4EZNS0_22gpu_kernel_impl_nocastIZZZNS0_12_GLOBAL__N_142_validate_compressed_sparse_indices_kernelILNS3_8CDimNameE1ENS3_18CUDAKernelLauncherENS3_14EmptyVecKernelENS3_8DummyVecELm8EEEvRKNS_6TensorESB_lllENKUlvE0_clEvENKUlvE0_clEvEUllE_EEvRNS_18TensorIteratorBaseERKT_EUlibE_EEviT1_.numbered_sgpr, 72
	.set _ZN2at6native32elementwise_kernel_manual_unrollILi128ELi4EZNS0_22gpu_kernel_impl_nocastIZZZNS0_12_GLOBAL__N_142_validate_compressed_sparse_indices_kernelILNS3_8CDimNameE1ENS3_18CUDAKernelLauncherENS3_14EmptyVecKernelENS3_8DummyVecELm8EEEvRKNS_6TensorESB_lllENKUlvE0_clEvENKUlvE0_clEvEUllE_EEvRNS_18TensorIteratorBaseERKT_EUlibE_EEviT1_.num_named_barrier, 0
	.set _ZN2at6native32elementwise_kernel_manual_unrollILi128ELi4EZNS0_22gpu_kernel_impl_nocastIZZZNS0_12_GLOBAL__N_142_validate_compressed_sparse_indices_kernelILNS3_8CDimNameE1ENS3_18CUDAKernelLauncherENS3_14EmptyVecKernelENS3_8DummyVecELm8EEEvRKNS_6TensorESB_lllENKUlvE0_clEvENKUlvE0_clEvEUllE_EEvRNS_18TensorIteratorBaseERKT_EUlibE_EEviT1_.private_seg_size, 0
	.set _ZN2at6native32elementwise_kernel_manual_unrollILi128ELi4EZNS0_22gpu_kernel_impl_nocastIZZZNS0_12_GLOBAL__N_142_validate_compressed_sparse_indices_kernelILNS3_8CDimNameE1ENS3_18CUDAKernelLauncherENS3_14EmptyVecKernelENS3_8DummyVecELm8EEEvRKNS_6TensorESB_lllENKUlvE0_clEvENKUlvE0_clEvEUllE_EEvRNS_18TensorIteratorBaseERKT_EUlibE_EEviT1_.uses_vcc, 1
	.set _ZN2at6native32elementwise_kernel_manual_unrollILi128ELi4EZNS0_22gpu_kernel_impl_nocastIZZZNS0_12_GLOBAL__N_142_validate_compressed_sparse_indices_kernelILNS3_8CDimNameE1ENS3_18CUDAKernelLauncherENS3_14EmptyVecKernelENS3_8DummyVecELm8EEEvRKNS_6TensorESB_lllENKUlvE0_clEvENKUlvE0_clEvEUllE_EEvRNS_18TensorIteratorBaseERKT_EUlibE_EEviT1_.uses_flat_scratch, 0
	.set _ZN2at6native32elementwise_kernel_manual_unrollILi128ELi4EZNS0_22gpu_kernel_impl_nocastIZZZNS0_12_GLOBAL__N_142_validate_compressed_sparse_indices_kernelILNS3_8CDimNameE1ENS3_18CUDAKernelLauncherENS3_14EmptyVecKernelENS3_8DummyVecELm8EEEvRKNS_6TensorESB_lllENKUlvE0_clEvENKUlvE0_clEvEUllE_EEvRNS_18TensorIteratorBaseERKT_EUlibE_EEviT1_.has_dyn_sized_stack, 0
	.set _ZN2at6native32elementwise_kernel_manual_unrollILi128ELi4EZNS0_22gpu_kernel_impl_nocastIZZZNS0_12_GLOBAL__N_142_validate_compressed_sparse_indices_kernelILNS3_8CDimNameE1ENS3_18CUDAKernelLauncherENS3_14EmptyVecKernelENS3_8DummyVecELm8EEEvRKNS_6TensorESB_lllENKUlvE0_clEvENKUlvE0_clEvEUllE_EEvRNS_18TensorIteratorBaseERKT_EUlibE_EEviT1_.has_recursion, 0
	.set _ZN2at6native32elementwise_kernel_manual_unrollILi128ELi4EZNS0_22gpu_kernel_impl_nocastIZZZNS0_12_GLOBAL__N_142_validate_compressed_sparse_indices_kernelILNS3_8CDimNameE1ENS3_18CUDAKernelLauncherENS3_14EmptyVecKernelENS3_8DummyVecELm8EEEvRKNS_6TensorESB_lllENKUlvE0_clEvENKUlvE0_clEvEUllE_EEvRNS_18TensorIteratorBaseERKT_EUlibE_EEviT1_.has_indirect_call, 0
	.section	.AMDGPU.csdata,"",@progbits
; Kernel info:
; codeLenInByte = 7128
; TotalNumSgprs: 74
; NumVgprs: 15
; ScratchSize: 0
; MemoryBound: 0
; FloatMode: 240
; IeeeMode: 1
; LDSByteSize: 0 bytes/workgroup (compile time only)
; SGPRBlocks: 0
; VGPRBlocks: 0
; NumSGPRsForWavesPerEU: 74
; NumVGPRsForWavesPerEU: 15
; NamedBarCnt: 0
; Occupancy: 16
; WaveLimiterHint : 1
; COMPUTE_PGM_RSRC2:SCRATCH_EN: 0
; COMPUTE_PGM_RSRC2:USER_SGPR: 2
; COMPUTE_PGM_RSRC2:TRAP_HANDLER: 0
; COMPUTE_PGM_RSRC2:TGID_X_EN: 1
; COMPUTE_PGM_RSRC2:TGID_Y_EN: 0
; COMPUTE_PGM_RSRC2:TGID_Z_EN: 0
; COMPUTE_PGM_RSRC2:TIDIG_COMP_CNT: 0
	.section	.text._ZN2at6native32elementwise_kernel_manual_unrollILi128ELi4EZNS0_15gpu_kernel_implIZZZNS0_12_GLOBAL__N_142_validate_compressed_sparse_indices_kernelILNS3_8CDimNameE1ENS3_18CUDAKernelLauncherENS3_14EmptyVecKernelENS3_8DummyVecELm8EEEvRKNS_6TensorESB_lllENKUlvE0_clEvENKUlvE0_clEvEUllE_EEvRNS_18TensorIteratorBaseERKT_EUlibE_EEviT1_,"axG",@progbits,_ZN2at6native32elementwise_kernel_manual_unrollILi128ELi4EZNS0_15gpu_kernel_implIZZZNS0_12_GLOBAL__N_142_validate_compressed_sparse_indices_kernelILNS3_8CDimNameE1ENS3_18CUDAKernelLauncherENS3_14EmptyVecKernelENS3_8DummyVecELm8EEEvRKNS_6TensorESB_lllENKUlvE0_clEvENKUlvE0_clEvEUllE_EEvRNS_18TensorIteratorBaseERKT_EUlibE_EEviT1_,comdat
	.globl	_ZN2at6native32elementwise_kernel_manual_unrollILi128ELi4EZNS0_15gpu_kernel_implIZZZNS0_12_GLOBAL__N_142_validate_compressed_sparse_indices_kernelILNS3_8CDimNameE1ENS3_18CUDAKernelLauncherENS3_14EmptyVecKernelENS3_8DummyVecELm8EEEvRKNS_6TensorESB_lllENKUlvE0_clEvENKUlvE0_clEvEUllE_EEvRNS_18TensorIteratorBaseERKT_EUlibE_EEviT1_ ; -- Begin function _ZN2at6native32elementwise_kernel_manual_unrollILi128ELi4EZNS0_15gpu_kernel_implIZZZNS0_12_GLOBAL__N_142_validate_compressed_sparse_indices_kernelILNS3_8CDimNameE1ENS3_18CUDAKernelLauncherENS3_14EmptyVecKernelENS3_8DummyVecELm8EEEvRKNS_6TensorESB_lllENKUlvE0_clEvENKUlvE0_clEvEUllE_EEvRNS_18TensorIteratorBaseERKT_EUlibE_EEviT1_
	.p2align	8
	.type	_ZN2at6native32elementwise_kernel_manual_unrollILi128ELi4EZNS0_15gpu_kernel_implIZZZNS0_12_GLOBAL__N_142_validate_compressed_sparse_indices_kernelILNS3_8CDimNameE1ENS3_18CUDAKernelLauncherENS3_14EmptyVecKernelENS3_8DummyVecELm8EEEvRKNS_6TensorESB_lllENKUlvE0_clEvENKUlvE0_clEvEUllE_EEvRNS_18TensorIteratorBaseERKT_EUlibE_EEviT1_,@function
_ZN2at6native32elementwise_kernel_manual_unrollILi128ELi4EZNS0_15gpu_kernel_implIZZZNS0_12_GLOBAL__N_142_validate_compressed_sparse_indices_kernelILNS3_8CDimNameE1ENS3_18CUDAKernelLauncherENS3_14EmptyVecKernelENS3_8DummyVecELm8EEEvRKNS_6TensorESB_lllENKUlvE0_clEvENKUlvE0_clEvEUllE_EEvRNS_18TensorIteratorBaseERKT_EUlibE_EEviT1_: ; @_ZN2at6native32elementwise_kernel_manual_unrollILi128ELi4EZNS0_15gpu_kernel_implIZZZNS0_12_GLOBAL__N_142_validate_compressed_sparse_indices_kernelILNS3_8CDimNameE1ENS3_18CUDAKernelLauncherENS3_14EmptyVecKernelENS3_8DummyVecELm8EEEvRKNS_6TensorESB_lllENKUlvE0_clEvENKUlvE0_clEvEUllE_EEvRNS_18TensorIteratorBaseERKT_EUlibE_EEviT1_
; %bb.0:
	s_load_b32 s12, s[0:1], 0x30
	s_bfe_u32 s2, ttmp6, 0x4000c
	s_clause 0x1
	s_load_b32 s16, s[0:1], 0x0
	s_load_b128 s[4:7], s[0:1], 0x8
	s_add_co_i32 s13, s2, 1
	s_clause 0x1
	s_load_b64 s[2:3], s[0:1], 0x18
	s_load_b128 s[8:11], s[0:1], 0x20
	s_and_b32 s14, ttmp6, 15
	s_wait_xcnt 0x0
	s_mul_i32 s0, ttmp9, s13
	s_getreg_b32 s15, hwreg(HW_REG_IB_STS2, 6, 4)
	s_add_co_i32 s14, s14, s0
	s_mov_b32 s1, 0
	s_wait_kmcnt 0x0
	s_bfe_u32 s13, s12, 0x80008
	s_cmp_eq_u32 s15, 0
	s_mov_b32 s15, 0
	s_cselect_b32 s0, ttmp9, s14
	s_delay_alu instid0(SALU_CYCLE_1) | instskip(SKIP_1) | instid1(VALU_DEP_1)
	v_lshl_or_b32 v6, s0, 9, v0
	s_mov_b32 s0, exec_lo
	v_or_b32_e32 v0, 0x180, v6
	s_delay_alu instid0(VALU_DEP_1)
	v_cmpx_le_i32_e64 s16, v0
	s_xor_b32 s14, exec_lo, s0
	s_cbranch_execz .LBB78_894
; %bb.1:
	s_get_pc_i64 s[24:25]
	s_add_nc_u64 s[24:25], s[24:25], .str.5@rel64+4
	s_mov_b32 s23, -1
	s_cmp_lg_u64 s[24:25], 0
	s_mov_b32 s21, 0
	s_mov_b32 s19, 0
	s_mov_b32 s18, 0
	s_cselect_b32 s15, -1, 0
	s_mov_b32 s17, 0
	s_mov_b32 s20, exec_lo
	v_cmpx_gt_i32_e64 s16, v6
	s_cbranch_execz .LBB78_221
; %bb.2:
	v_mul_lo_u32 v0, v6, s3
	s_and_b32 s0, 0xffff, s13
	s_delay_alu instid0(SALU_CYCLE_1) | instskip(NEXT) | instid1(VALU_DEP_1)
	s_cmp_lt_i32 s0, 11
	v_ashrrev_i32_e32 v1, 31, v0
	s_delay_alu instid0(VALU_DEP_1)
	v_add_nc_u64_e32 v[0:1], s[6:7], v[0:1]
	s_cbranch_scc1 .LBB78_9
; %bb.3:
	s_cmp_gt_i32 s0, 25
	s_cbranch_scc0 .LBB78_19
; %bb.4:
	s_cmp_gt_i32 s0, 28
	s_cbranch_scc0 .LBB78_23
	;; [unrolled: 3-line block ×4, first 2 shown]
; %bb.7:
	s_cmp_eq_u32 s0, 46
	s_cbranch_scc0 .LBB78_29
; %bb.8:
	global_load_b32 v2, v[0:1], off
	s_mov_b32 s17, -1
	s_wait_loadcnt 0x0
	v_lshlrev_b32_e32 v2, 16, v2
	s_delay_alu instid0(VALU_DEP_1) | instskip(NEXT) | instid1(VALU_DEP_1)
	v_trunc_f32_e32 v2, v2
	v_mul_f32_e64 v3, 0x2f800000, |v2|
	s_delay_alu instid0(VALU_DEP_1) | instskip(NEXT) | instid1(VALU_DEP_1)
	v_floor_f32_e32 v3, v3
	v_fma_f32 v4, 0xcf800000, v3, |v2|
	v_ashrrev_i32_e32 v2, 31, v2
	v_cvt_u32_f32_e32 v5, v3
	s_delay_alu instid0(VALU_DEP_3) | instskip(NEXT) | instid1(VALU_DEP_2)
	v_cvt_u32_f32_e32 v4, v4
	v_dual_mov_b32 v3, v2 :: v_dual_bitop2_b32 v5, v5, v2 bitop3:0x14
	s_delay_alu instid0(VALU_DEP_2) | instskip(NEXT) | instid1(VALU_DEP_1)
	v_xor_b32_e32 v4, v4, v2
	v_sub_nc_u64_e32 v[2:3], v[4:5], v[2:3]
	s_branch .LBB78_31
.LBB78_9:
                                        ; implicit-def: $vgpr2_vgpr3
	s_cbranch_execnz .LBB78_91
.LBB78_10:
	s_and_not1_b32 vcc_lo, exec_lo, s17
	s_cbranch_vccnz .LBB78_138
.LBB78_11:
	s_wait_loadcnt 0x0
	s_delay_alu instid0(VALU_DEP_1)
	v_cmp_le_i64_e32 vcc_lo, s[8:9], v[2:3]
	v_cmp_gt_i64_e64 s0, s[10:11], v[2:3]
	s_mov_b32 s18, -1
	s_mov_b32 s22, 0
	s_mov_b32 s17, 0
	s_and_b32 s0, vcc_lo, s0
	s_delay_alu instid0(SALU_CYCLE_1) | instskip(NEXT) | instid1(SALU_CYCLE_1)
	s_and_b32 s23, s15, s0
	s_and_saveexec_b32 s0, s23
	s_cbranch_execz .LBB78_219
; %bb.12:
	v_mul_lo_u32 v0, v6, s2
	s_and_b32 s18, s12, 0xff
	s_delay_alu instid0(SALU_CYCLE_1) | instskip(NEXT) | instid1(VALU_DEP_1)
	s_cmp_lt_i32 s18, 11
	v_ashrrev_i32_e32 v1, 31, v0
	s_delay_alu instid0(VALU_DEP_1)
	v_add_nc_u64_e32 v[0:1], s[4:5], v[0:1]
	s_cbranch_scc1 .LBB78_20
; %bb.13:
	s_and_b32 s22, 0xffff, s18
	s_delay_alu instid0(SALU_CYCLE_1)
	s_cmp_gt_i32 s22, 25
	s_cbranch_scc0 .LBB78_24
; %bb.14:
	s_cmp_gt_i32 s22, 28
	s_cbranch_scc0 .LBB78_26
; %bb.15:
	;; [unrolled: 3-line block ×4, first 2 shown]
	s_mov_b32 s24, 0
	s_mov_b32 s17, -1
	s_cmp_eq_u32 s22, 46
	s_mov_b32 s23, 0
	s_cbranch_scc0 .LBB78_140
; %bb.18:
	v_mov_b32_e32 v2, 0
	s_mov_b32 s23, -1
	s_mov_b32 s17, 0
	global_store_b32 v[0:1], v2, off
	s_branch .LBB78_140
.LBB78_19:
                                        ; implicit-def: $vgpr2_vgpr3
	s_cbranch_execnz .LBB78_58
	s_branch .LBB78_90
.LBB78_20:
	s_mov_b32 s23, 0
	s_cbranch_execnz .LBB78_179
.LBB78_21:
	s_and_not1_b32 vcc_lo, exec_lo, s23
	s_cbranch_vccnz .LBB78_217
.LBB78_22:
	v_add_nc_u32_e32 v6, 0x80, v6
	s_mov_b32 s22, -1
	s_branch .LBB78_218
.LBB78_23:
	s_mov_b32 s18, -1
                                        ; implicit-def: $vgpr2_vgpr3
	s_branch .LBB78_41
.LBB78_24:
	s_mov_b32 s24, -1
	s_mov_b32 s23, 0
	s_branch .LBB78_159
.LBB78_25:
	s_mov_b32 s18, -1
                                        ; implicit-def: $vgpr2_vgpr3
	s_branch .LBB78_36
.LBB78_26:
	s_mov_b32 s24, -1
	s_mov_b32 s23, 0
	s_branch .LBB78_148
.LBB78_27:
	s_mov_b32 s18, -1
	s_branch .LBB78_30
.LBB78_28:
	s_mov_b32 s24, -1
	s_mov_b32 s23, 0
	s_branch .LBB78_144
.LBB78_29:
	s_mov_b32 s19, -1
.LBB78_30:
                                        ; implicit-def: $vgpr2_vgpr3
.LBB78_31:
	s_and_b32 vcc_lo, exec_lo, s18
	s_cbranch_vccz .LBB78_35
; %bb.32:
	s_cmp_eq_u32 s0, 44
	s_cbranch_scc0 .LBB78_34
; %bb.33:
	global_load_u8 v7, v[0:1], off
	s_mov_b32 s19, 0
	s_mov_b32 s17, -1
	s_wait_loadcnt 0x0
	v_lshlrev_b32_e32 v2, 23, v7
	v_cmp_ne_u32_e32 vcc_lo, 0, v7
	s_delay_alu instid0(VALU_DEP_2) | instskip(NEXT) | instid1(VALU_DEP_1)
	v_trunc_f32_e32 v2, v2
	v_mul_f32_e64 v3, 0x2f800000, |v2|
	s_delay_alu instid0(VALU_DEP_1) | instskip(NEXT) | instid1(VALU_DEP_1)
	v_floor_f32_e32 v3, v3
	v_fma_f32 v4, 0xcf800000, v3, |v2|
	v_ashrrev_i32_e32 v2, 31, v2
	v_cvt_u32_f32_e32 v5, v3
	s_delay_alu instid0(VALU_DEP_3) | instskip(NEXT) | instid1(VALU_DEP_2)
	v_cvt_u32_f32_e32 v4, v4
	v_dual_mov_b32 v3, v2 :: v_dual_bitop2_b32 v5, v5, v2 bitop3:0x14
	s_delay_alu instid0(VALU_DEP_2) | instskip(NEXT) | instid1(VALU_DEP_1)
	v_xor_b32_e32 v4, v4, v2
	v_sub_nc_u64_e32 v[2:3], v[4:5], v[2:3]
	s_delay_alu instid0(VALU_DEP_1)
	v_dual_cndmask_b32 v3, 0, v3 :: v_dual_cndmask_b32 v2, 0, v2
	s_branch .LBB78_35
.LBB78_34:
	s_mov_b32 s19, -1
                                        ; implicit-def: $vgpr2_vgpr3
.LBB78_35:
	s_mov_b32 s18, 0
.LBB78_36:
	s_delay_alu instid0(SALU_CYCLE_1)
	s_and_b32 vcc_lo, exec_lo, s18
	s_cbranch_vccz .LBB78_40
; %bb.37:
	s_cmp_eq_u32 s0, 29
	s_cbranch_scc0 .LBB78_39
; %bb.38:
	global_load_b64 v[2:3], v[0:1], off
	s_mov_b32 s17, -1
	s_mov_b32 s19, 0
	s_branch .LBB78_40
.LBB78_39:
	s_mov_b32 s19, -1
                                        ; implicit-def: $vgpr2_vgpr3
.LBB78_40:
	s_mov_b32 s18, 0
.LBB78_41:
	s_delay_alu instid0(SALU_CYCLE_1)
	s_and_b32 vcc_lo, exec_lo, s18
	s_cbranch_vccz .LBB78_57
; %bb.42:
	s_cmp_lt_i32 s0, 27
	s_cbranch_scc1 .LBB78_45
; %bb.43:
	s_cmp_gt_i32 s0, 27
	s_cbranch_scc0 .LBB78_46
; %bb.44:
	s_wait_loadcnt 0x0
	global_load_b32 v2, v[0:1], off
	v_mov_b32_e32 v3, 0
	s_mov_b32 s17, 0
	s_branch .LBB78_47
.LBB78_45:
	s_mov_b32 s17, -1
                                        ; implicit-def: $vgpr2_vgpr3
	s_branch .LBB78_50
.LBB78_46:
	s_mov_b32 s17, -1
                                        ; implicit-def: $vgpr2_vgpr3
.LBB78_47:
	s_delay_alu instid0(SALU_CYCLE_1)
	s_and_not1_b32 vcc_lo, exec_lo, s17
	s_cbranch_vccnz .LBB78_49
; %bb.48:
	s_wait_loadcnt 0x0
	global_load_u16 v2, v[0:1], off
	s_mov_b32 s17, 0
	s_delay_alu instid0(SALU_CYCLE_1)
	v_mov_b32_e32 v3, s17
	s_wait_loadcnt 0x0
	v_and_b32_e32 v2, 0xffff, v2
.LBB78_49:
	s_mov_b32 s17, 0
.LBB78_50:
	s_delay_alu instid0(SALU_CYCLE_1)
	s_and_not1_b32 vcc_lo, exec_lo, s17
	s_cbranch_vccnz .LBB78_56
; %bb.51:
	global_load_u8 v4, v[0:1], off
	s_mov_b32 s18, 0
	s_mov_b32 s17, exec_lo
	s_wait_loadcnt 0x0
	v_cmpx_lt_i16_e32 0x7f, v4
	s_xor_b32 s17, exec_lo, s17
	s_cbranch_execz .LBB78_67
; %bb.52:
	v_cmp_ne_u16_e32 vcc_lo, 0x80, v4
	s_and_b32 s18, vcc_lo, exec_lo
	s_and_not1_saveexec_b32 s17, s17
	s_cbranch_execnz .LBB78_68
.LBB78_53:
	s_or_b32 exec_lo, exec_lo, s17
	v_mov_b64_e32 v[2:3], 0
	s_and_saveexec_b32 s17, s18
	s_cbranch_execz .LBB78_55
.LBB78_54:
	v_and_b32_e32 v2, 0xffff, v4
	s_delay_alu instid0(VALU_DEP_1) | instskip(SKIP_1) | instid1(VALU_DEP_2)
	v_and_b32_e32 v3, 7, v2
	v_bfe_u32 v8, v2, 3, 4
	v_clz_i32_u32_e32 v5, v3
	s_delay_alu instid0(VALU_DEP_2) | instskip(NEXT) | instid1(VALU_DEP_2)
	v_cmp_eq_u32_e32 vcc_lo, 0, v8
	v_min_u32_e32 v5, 32, v5
	s_delay_alu instid0(VALU_DEP_1) | instskip(NEXT) | instid1(VALU_DEP_1)
	v_subrev_nc_u32_e32 v7, 28, v5
	v_dual_lshlrev_b32 v2, v7, v2 :: v_dual_sub_nc_u32 v5, 29, v5
	s_delay_alu instid0(VALU_DEP_1) | instskip(NEXT) | instid1(VALU_DEP_1)
	v_dual_lshlrev_b32 v4, 24, v4 :: v_dual_bitop2_b32 v2, 7, v2 bitop3:0x40
	v_dual_cndmask_b32 v5, v8, v5 :: v_dual_cndmask_b32 v2, v3, v2
	s_delay_alu instid0(VALU_DEP_2) | instskip(NEXT) | instid1(VALU_DEP_2)
	v_and_b32_e32 v3, 0x80000000, v4
	v_lshl_add_u32 v4, v5, 23, 0x3b800000
	s_delay_alu instid0(VALU_DEP_3) | instskip(NEXT) | instid1(VALU_DEP_1)
	v_lshlrev_b32_e32 v2, 20, v2
	v_or3_b32 v2, v3, v4, v2
	s_delay_alu instid0(VALU_DEP_1) | instskip(NEXT) | instid1(VALU_DEP_1)
	v_trunc_f32_e32 v2, v2
	v_mul_f32_e64 v3, 0x2f800000, |v2|
	s_delay_alu instid0(VALU_DEP_1) | instskip(NEXT) | instid1(VALU_DEP_1)
	v_floor_f32_e32 v3, v3
	v_fma_f32 v4, 0xcf800000, v3, |v2|
	v_ashrrev_i32_e32 v2, 31, v2
	v_cvt_u32_f32_e32 v5, v3
	s_delay_alu instid0(VALU_DEP_3) | instskip(NEXT) | instid1(VALU_DEP_2)
	v_cvt_u32_f32_e32 v4, v4
	v_dual_mov_b32 v3, v2 :: v_dual_bitop2_b32 v5, v5, v2 bitop3:0x14
	s_delay_alu instid0(VALU_DEP_2) | instskip(NEXT) | instid1(VALU_DEP_1)
	v_xor_b32_e32 v4, v4, v2
	v_sub_nc_u64_e32 v[2:3], v[4:5], v[2:3]
.LBB78_55:
	s_or_b32 exec_lo, exec_lo, s17
.LBB78_56:
	s_mov_b32 s17, -1
.LBB78_57:
	s_branch .LBB78_90
.LBB78_58:
	s_cmp_gt_i32 s0, 22
	s_cbranch_scc0 .LBB78_66
; %bb.59:
	s_cmp_lt_i32 s0, 24
	s_cbranch_scc1 .LBB78_69
; %bb.60:
	s_cmp_gt_i32 s0, 24
	s_cbranch_scc0 .LBB78_70
; %bb.61:
	global_load_u8 v4, v[0:1], off
	s_mov_b32 s18, 0
	s_mov_b32 s17, exec_lo
	s_wait_loadcnt 0x0
	v_cmpx_lt_i16_e32 0x7f, v4
	s_xor_b32 s17, exec_lo, s17
	s_cbranch_execz .LBB78_82
; %bb.62:
	v_cmp_ne_u16_e32 vcc_lo, 0x80, v4
	s_and_b32 s18, vcc_lo, exec_lo
	s_and_not1_saveexec_b32 s17, s17
	s_cbranch_execnz .LBB78_83
.LBB78_63:
	s_or_b32 exec_lo, exec_lo, s17
	v_mov_b64_e32 v[2:3], 0
	s_and_saveexec_b32 s17, s18
	s_cbranch_execz .LBB78_65
.LBB78_64:
	v_and_b32_e32 v2, 0xffff, v4
	s_delay_alu instid0(VALU_DEP_1) | instskip(SKIP_1) | instid1(VALU_DEP_2)
	v_and_b32_e32 v3, 3, v2
	v_bfe_u32 v8, v2, 2, 5
	v_clz_i32_u32_e32 v5, v3
	s_delay_alu instid0(VALU_DEP_2) | instskip(NEXT) | instid1(VALU_DEP_2)
	v_cmp_eq_u32_e32 vcc_lo, 0, v8
	v_min_u32_e32 v5, 32, v5
	s_delay_alu instid0(VALU_DEP_1) | instskip(NEXT) | instid1(VALU_DEP_1)
	v_subrev_nc_u32_e32 v7, 29, v5
	v_dual_lshlrev_b32 v2, v7, v2 :: v_dual_sub_nc_u32 v5, 30, v5
	s_delay_alu instid0(VALU_DEP_1) | instskip(NEXT) | instid1(VALU_DEP_1)
	v_dual_lshlrev_b32 v4, 24, v4 :: v_dual_bitop2_b32 v2, 3, v2 bitop3:0x40
	v_dual_cndmask_b32 v5, v8, v5 :: v_dual_cndmask_b32 v2, v3, v2
	s_delay_alu instid0(VALU_DEP_2) | instskip(NEXT) | instid1(VALU_DEP_2)
	v_and_b32_e32 v3, 0x80000000, v4
	v_lshl_add_u32 v4, v5, 23, 0x37800000
	s_delay_alu instid0(VALU_DEP_3) | instskip(NEXT) | instid1(VALU_DEP_1)
	v_lshlrev_b32_e32 v2, 21, v2
	v_or3_b32 v2, v3, v4, v2
	s_delay_alu instid0(VALU_DEP_1) | instskip(NEXT) | instid1(VALU_DEP_1)
	v_trunc_f32_e32 v2, v2
	v_mul_f32_e64 v3, 0x2f800000, |v2|
	s_delay_alu instid0(VALU_DEP_1) | instskip(NEXT) | instid1(VALU_DEP_1)
	v_floor_f32_e32 v3, v3
	v_fma_f32 v4, 0xcf800000, v3, |v2|
	v_ashrrev_i32_e32 v2, 31, v2
	v_cvt_u32_f32_e32 v5, v3
	s_delay_alu instid0(VALU_DEP_3) | instskip(NEXT) | instid1(VALU_DEP_2)
	v_cvt_u32_f32_e32 v4, v4
	v_dual_mov_b32 v3, v2 :: v_dual_bitop2_b32 v5, v5, v2 bitop3:0x14
	s_delay_alu instid0(VALU_DEP_2) | instskip(NEXT) | instid1(VALU_DEP_1)
	v_xor_b32_e32 v4, v4, v2
	v_sub_nc_u64_e32 v[2:3], v[4:5], v[2:3]
.LBB78_65:
	s_or_b32 exec_lo, exec_lo, s17
	s_mov_b32 s17, 0
	s_branch .LBB78_71
.LBB78_66:
	s_mov_b32 s18, -1
                                        ; implicit-def: $vgpr2_vgpr3
	s_branch .LBB78_77
.LBB78_67:
	s_and_not1_saveexec_b32 s17, s17
	s_cbranch_execz .LBB78_53
.LBB78_68:
	v_cmp_ne_u16_e32 vcc_lo, 0, v4
	s_and_not1_b32 s18, s18, exec_lo
	s_and_b32 s22, vcc_lo, exec_lo
	s_delay_alu instid0(SALU_CYCLE_1)
	s_or_b32 s18, s18, s22
	s_or_b32 exec_lo, exec_lo, s17
	v_mov_b64_e32 v[2:3], 0
	s_and_saveexec_b32 s17, s18
	s_cbranch_execnz .LBB78_54
	s_branch .LBB78_55
.LBB78_69:
	s_mov_b32 s17, -1
                                        ; implicit-def: $vgpr2_vgpr3
	s_branch .LBB78_74
.LBB78_70:
	s_mov_b32 s17, -1
                                        ; implicit-def: $vgpr2_vgpr3
.LBB78_71:
	s_delay_alu instid0(SALU_CYCLE_1)
	s_and_b32 vcc_lo, exec_lo, s17
	s_cbranch_vccz .LBB78_73
; %bb.72:
	s_wait_loadcnt 0x0
	global_load_u8 v2, v[0:1], off
	s_wait_loadcnt 0x0
	v_lshlrev_b32_e32 v2, 24, v2
	s_delay_alu instid0(VALU_DEP_1) | instskip(NEXT) | instid1(VALU_DEP_1)
	v_and_b32_e32 v3, 0x7f000000, v2
	v_clz_i32_u32_e32 v4, v3
	v_add_nc_u32_e32 v7, 0x1000000, v3
	v_cmp_ne_u32_e32 vcc_lo, 0, v3
	s_delay_alu instid0(VALU_DEP_3) | instskip(NEXT) | instid1(VALU_DEP_1)
	v_min_u32_e32 v4, 32, v4
	v_sub_nc_u32_e64 v4, v4, 4 clamp
	s_delay_alu instid0(VALU_DEP_1) | instskip(NEXT) | instid1(VALU_DEP_1)
	v_dual_lshlrev_b32 v5, v4, v3 :: v_dual_lshlrev_b32 v4, 23, v4
	v_lshrrev_b32_e32 v5, 4, v5
	s_delay_alu instid0(VALU_DEP_1) | instskip(NEXT) | instid1(VALU_DEP_1)
	v_dual_sub_nc_u32 v4, v5, v4 :: v_dual_ashrrev_i32 v5, 8, v7
	v_add_nc_u32_e32 v4, 0x3c000000, v4
	s_delay_alu instid0(VALU_DEP_1) | instskip(NEXT) | instid1(VALU_DEP_1)
	v_and_or_b32 v4, 0x7f800000, v5, v4
	v_cndmask_b32_e32 v3, 0, v4, vcc_lo
	s_delay_alu instid0(VALU_DEP_1) | instskip(NEXT) | instid1(VALU_DEP_1)
	v_and_or_b32 v2, 0x80000000, v2, v3
	v_trunc_f32_e32 v2, v2
	s_delay_alu instid0(VALU_DEP_1) | instskip(NEXT) | instid1(VALU_DEP_1)
	v_mul_f32_e64 v3, 0x2f800000, |v2|
	v_floor_f32_e32 v3, v3
	s_delay_alu instid0(VALU_DEP_1) | instskip(SKIP_2) | instid1(VALU_DEP_3)
	v_fma_f32 v4, 0xcf800000, v3, |v2|
	v_ashrrev_i32_e32 v2, 31, v2
	v_cvt_u32_f32_e32 v5, v3
	v_cvt_u32_f32_e32 v4, v4
	s_delay_alu instid0(VALU_DEP_2) | instskip(NEXT) | instid1(VALU_DEP_2)
	v_dual_mov_b32 v3, v2 :: v_dual_bitop2_b32 v5, v5, v2 bitop3:0x14
	v_xor_b32_e32 v4, v4, v2
	s_delay_alu instid0(VALU_DEP_1)
	v_sub_nc_u64_e32 v[2:3], v[4:5], v[2:3]
.LBB78_73:
	s_mov_b32 s17, 0
.LBB78_74:
	s_delay_alu instid0(SALU_CYCLE_1)
	s_and_not1_b32 vcc_lo, exec_lo, s17
	s_cbranch_vccnz .LBB78_76
; %bb.75:
	s_wait_loadcnt 0x0
	global_load_u8 v2, v[0:1], off
	s_wait_loadcnt 0x0
	v_lshlrev_b32_e32 v3, 25, v2
	v_lshlrev_b16 v2, 8, v2
	s_delay_alu instid0(VALU_DEP_1) | instskip(SKIP_1) | instid1(VALU_DEP_2)
	v_and_or_b32 v5, 0x7f00, v2, 0.5
	v_bfe_i32 v2, v2, 0, 16
	v_dual_add_f32 v5, -0.5, v5 :: v_dual_lshrrev_b32 v4, 4, v3
	v_cmp_gt_u32_e32 vcc_lo, 0x8000000, v3
	s_delay_alu instid0(VALU_DEP_2) | instskip(NEXT) | instid1(VALU_DEP_1)
	v_or_b32_e32 v4, 0x70000000, v4
	v_mul_f32_e32 v4, 0x7800000, v4
	s_delay_alu instid0(VALU_DEP_1) | instskip(NEXT) | instid1(VALU_DEP_1)
	v_cndmask_b32_e32 v3, v4, v5, vcc_lo
	v_and_or_b32 v2, 0x80000000, v2, v3
	s_delay_alu instid0(VALU_DEP_1) | instskip(NEXT) | instid1(VALU_DEP_1)
	v_trunc_f32_e32 v2, v2
	v_mul_f32_e64 v3, 0x2f800000, |v2|
	s_delay_alu instid0(VALU_DEP_1) | instskip(NEXT) | instid1(VALU_DEP_1)
	v_floor_f32_e32 v3, v3
	v_fma_f32 v4, 0xcf800000, v3, |v2|
	v_ashrrev_i32_e32 v2, 31, v2
	v_cvt_u32_f32_e32 v5, v3
	s_delay_alu instid0(VALU_DEP_3) | instskip(NEXT) | instid1(VALU_DEP_2)
	v_cvt_u32_f32_e32 v4, v4
	v_dual_mov_b32 v3, v2 :: v_dual_bitop2_b32 v5, v5, v2 bitop3:0x14
	s_delay_alu instid0(VALU_DEP_2) | instskip(NEXT) | instid1(VALU_DEP_1)
	v_xor_b32_e32 v4, v4, v2
	v_sub_nc_u64_e32 v[2:3], v[4:5], v[2:3]
.LBB78_76:
	s_mov_b32 s18, 0
	s_mov_b32 s17, -1
.LBB78_77:
	s_and_not1_b32 vcc_lo, exec_lo, s18
	s_cbranch_vccnz .LBB78_90
; %bb.78:
	s_cmp_gt_i32 s0, 14
	s_cbranch_scc0 .LBB78_81
; %bb.79:
	s_cmp_eq_u32 s0, 15
	s_cbranch_scc0 .LBB78_84
; %bb.80:
	s_wait_loadcnt 0x0
	global_load_u16 v2, v[0:1], off
	s_mov_b32 s17, -1
	s_mov_b32 s19, 0
	s_wait_loadcnt 0x0
	v_lshlrev_b32_e32 v2, 16, v2
	s_delay_alu instid0(VALU_DEP_1) | instskip(NEXT) | instid1(VALU_DEP_1)
	v_trunc_f32_e32 v2, v2
	v_mul_f32_e64 v3, 0x2f800000, |v2|
	s_delay_alu instid0(VALU_DEP_1) | instskip(NEXT) | instid1(VALU_DEP_1)
	v_floor_f32_e32 v3, v3
	v_fma_f32 v4, 0xcf800000, v3, |v2|
	v_ashrrev_i32_e32 v2, 31, v2
	v_cvt_u32_f32_e32 v5, v3
	s_delay_alu instid0(VALU_DEP_3) | instskip(NEXT) | instid1(VALU_DEP_2)
	v_cvt_u32_f32_e32 v4, v4
	v_dual_mov_b32 v3, v2 :: v_dual_bitop2_b32 v5, v5, v2 bitop3:0x14
	s_delay_alu instid0(VALU_DEP_2) | instskip(NEXT) | instid1(VALU_DEP_1)
	v_xor_b32_e32 v4, v4, v2
	v_sub_nc_u64_e32 v[2:3], v[4:5], v[2:3]
	s_branch .LBB78_85
.LBB78_81:
	s_mov_b32 s18, -1
                                        ; implicit-def: $vgpr2_vgpr3
	s_branch .LBB78_86
.LBB78_82:
	s_and_not1_saveexec_b32 s17, s17
	s_cbranch_execz .LBB78_63
.LBB78_83:
	v_cmp_ne_u16_e32 vcc_lo, 0, v4
	s_and_not1_b32 s18, s18, exec_lo
	s_and_b32 s22, vcc_lo, exec_lo
	s_delay_alu instid0(SALU_CYCLE_1)
	s_or_b32 s18, s18, s22
	s_or_b32 exec_lo, exec_lo, s17
	v_mov_b64_e32 v[2:3], 0
	s_and_saveexec_b32 s17, s18
	s_cbranch_execnz .LBB78_64
	s_branch .LBB78_65
.LBB78_84:
	s_mov_b32 s19, -1
                                        ; implicit-def: $vgpr2_vgpr3
.LBB78_85:
	s_mov_b32 s18, 0
.LBB78_86:
	s_delay_alu instid0(SALU_CYCLE_1)
	s_and_b32 vcc_lo, exec_lo, s18
	s_cbranch_vccz .LBB78_90
; %bb.87:
	s_cmp_eq_u32 s0, 11
	s_cbranch_scc0 .LBB78_89
; %bb.88:
	s_wait_loadcnt 0x0
	global_load_u8 v2, v[0:1], off
	s_mov_b32 s19, 0
	s_mov_b32 s17, -1
	v_mov_b32_e32 v3, s19
	s_wait_loadcnt 0x0
	v_cmp_ne_u16_e32 vcc_lo, 0, v2
	v_cndmask_b32_e64 v2, 0, 1, vcc_lo
	s_branch .LBB78_90
.LBB78_89:
	s_mov_b32 s19, -1
                                        ; implicit-def: $vgpr2_vgpr3
.LBB78_90:
	s_branch .LBB78_10
.LBB78_91:
	s_cmp_lt_i32 s0, 5
	s_cbranch_scc1 .LBB78_96
; %bb.92:
	s_cmp_lt_i32 s0, 8
	s_cbranch_scc1 .LBB78_97
; %bb.93:
	;; [unrolled: 3-line block ×3, first 2 shown]
	s_cmp_gt_i32 s0, 9
	s_cbranch_scc0 .LBB78_99
; %bb.95:
	s_wait_loadcnt 0x0
	global_load_b64 v[2:3], v[0:1], off
	s_mov_b32 s17, 0
	s_wait_loadcnt 0x0
	v_trunc_f64_e32 v[2:3], v[2:3]
	s_delay_alu instid0(VALU_DEP_1) | instskip(NEXT) | instid1(VALU_DEP_1)
	v_ldexp_f64 v[4:5], v[2:3], 0xffffffe0
	v_floor_f64_e32 v[4:5], v[4:5]
	s_delay_alu instid0(VALU_DEP_1) | instskip(SKIP_1) | instid1(VALU_DEP_2)
	v_fmamk_f64 v[8:9], v[4:5], 0xc1f00000, v[2:3]
	v_cvt_i32_f64_e32 v3, v[4:5]
	v_cvt_u32_f64_e32 v2, v[8:9]
	s_branch .LBB78_100
.LBB78_96:
                                        ; implicit-def: $vgpr2_vgpr3
	s_branch .LBB78_118
.LBB78_97:
	s_mov_b32 s17, -1
                                        ; implicit-def: $vgpr2_vgpr3
	s_branch .LBB78_106
.LBB78_98:
	s_mov_b32 s17, -1
                                        ; implicit-def: $vgpr2_vgpr3
	s_branch .LBB78_103
.LBB78_99:
	s_mov_b32 s17, -1
                                        ; implicit-def: $vgpr2_vgpr3
.LBB78_100:
	s_delay_alu instid0(SALU_CYCLE_1)
	s_and_not1_b32 vcc_lo, exec_lo, s17
	s_cbranch_vccnz .LBB78_102
; %bb.101:
	s_wait_loadcnt 0x0
	global_load_b32 v2, v[0:1], off
	s_wait_loadcnt 0x0
	v_trunc_f32_e32 v2, v2
	s_delay_alu instid0(VALU_DEP_1) | instskip(NEXT) | instid1(VALU_DEP_1)
	v_mul_f32_e64 v3, 0x2f800000, |v2|
	v_floor_f32_e32 v3, v3
	s_delay_alu instid0(VALU_DEP_1) | instskip(SKIP_2) | instid1(VALU_DEP_3)
	v_fma_f32 v4, 0xcf800000, v3, |v2|
	v_ashrrev_i32_e32 v2, 31, v2
	v_cvt_u32_f32_e32 v5, v3
	v_cvt_u32_f32_e32 v4, v4
	s_delay_alu instid0(VALU_DEP_2) | instskip(NEXT) | instid1(VALU_DEP_2)
	v_dual_mov_b32 v3, v2 :: v_dual_bitop2_b32 v5, v5, v2 bitop3:0x14
	v_xor_b32_e32 v4, v4, v2
	s_delay_alu instid0(VALU_DEP_1)
	v_sub_nc_u64_e32 v[2:3], v[4:5], v[2:3]
.LBB78_102:
	s_mov_b32 s17, 0
.LBB78_103:
	s_delay_alu instid0(SALU_CYCLE_1)
	s_and_not1_b32 vcc_lo, exec_lo, s17
	s_cbranch_vccnz .LBB78_105
; %bb.104:
	s_wait_loadcnt 0x0
	global_load_b32 v2, v[0:1], off
	s_wait_loadcnt 0x0
	v_cvt_f32_f16_e32 v2, v2
	s_delay_alu instid0(VALU_DEP_1) | instskip(NEXT) | instid1(VALU_DEP_1)
	v_cvt_i32_f32_e32 v2, v2
	v_ashrrev_i32_e32 v3, 31, v2
.LBB78_105:
	s_mov_b32 s17, 0
.LBB78_106:
	s_delay_alu instid0(SALU_CYCLE_1)
	s_and_not1_b32 vcc_lo, exec_lo, s17
	s_cbranch_vccnz .LBB78_117
; %bb.107:
	s_cmp_lt_i32 s0, 6
	s_cbranch_scc1 .LBB78_110
; %bb.108:
	s_cmp_gt_i32 s0, 6
	s_cbranch_scc0 .LBB78_111
; %bb.109:
	s_wait_loadcnt 0x0
	global_load_b64 v[2:3], v[0:1], off
	s_mov_b32 s17, 0
	s_wait_loadcnt 0x0
	v_trunc_f64_e32 v[2:3], v[2:3]
	s_delay_alu instid0(VALU_DEP_1) | instskip(NEXT) | instid1(VALU_DEP_1)
	v_ldexp_f64 v[4:5], v[2:3], 0xffffffe0
	v_floor_f64_e32 v[4:5], v[4:5]
	s_delay_alu instid0(VALU_DEP_1) | instskip(SKIP_1) | instid1(VALU_DEP_2)
	v_fmamk_f64 v[8:9], v[4:5], 0xc1f00000, v[2:3]
	v_cvt_i32_f64_e32 v3, v[4:5]
	v_cvt_u32_f64_e32 v2, v[8:9]
	s_branch .LBB78_112
.LBB78_110:
	s_mov_b32 s17, -1
                                        ; implicit-def: $vgpr2_vgpr3
	s_branch .LBB78_115
.LBB78_111:
	s_mov_b32 s17, -1
                                        ; implicit-def: $vgpr2_vgpr3
.LBB78_112:
	s_delay_alu instid0(SALU_CYCLE_1)
	s_and_not1_b32 vcc_lo, exec_lo, s17
	s_cbranch_vccnz .LBB78_114
; %bb.113:
	s_wait_loadcnt 0x0
	global_load_b32 v2, v[0:1], off
	s_wait_loadcnt 0x0
	v_trunc_f32_e32 v2, v2
	s_delay_alu instid0(VALU_DEP_1) | instskip(NEXT) | instid1(VALU_DEP_1)
	v_mul_f32_e64 v3, 0x2f800000, |v2|
	v_floor_f32_e32 v3, v3
	s_delay_alu instid0(VALU_DEP_1) | instskip(SKIP_2) | instid1(VALU_DEP_3)
	v_fma_f32 v4, 0xcf800000, v3, |v2|
	v_ashrrev_i32_e32 v2, 31, v2
	v_cvt_u32_f32_e32 v5, v3
	v_cvt_u32_f32_e32 v4, v4
	s_delay_alu instid0(VALU_DEP_2) | instskip(NEXT) | instid1(VALU_DEP_2)
	v_dual_mov_b32 v3, v2 :: v_dual_bitop2_b32 v5, v5, v2 bitop3:0x14
	v_xor_b32_e32 v4, v4, v2
	s_delay_alu instid0(VALU_DEP_1)
	v_sub_nc_u64_e32 v[2:3], v[4:5], v[2:3]
.LBB78_114:
	s_mov_b32 s17, 0
.LBB78_115:
	s_delay_alu instid0(SALU_CYCLE_1)
	s_and_not1_b32 vcc_lo, exec_lo, s17
	s_cbranch_vccnz .LBB78_117
; %bb.116:
	s_wait_loadcnt 0x0
	global_load_u16 v2, v[0:1], off
	s_wait_loadcnt 0x0
	v_cvt_f32_f16_e32 v2, v2
	s_delay_alu instid0(VALU_DEP_1) | instskip(NEXT) | instid1(VALU_DEP_1)
	v_cvt_i32_f32_e32 v2, v2
	v_ashrrev_i32_e32 v3, 31, v2
.LBB78_117:
	s_cbranch_execnz .LBB78_137
.LBB78_118:
	s_cmp_lt_i32 s0, 2
	s_cbranch_scc1 .LBB78_122
; %bb.119:
	s_cmp_lt_i32 s0, 3
	s_cbranch_scc1 .LBB78_123
; %bb.120:
	s_cmp_gt_i32 s0, 3
	s_cbranch_scc0 .LBB78_124
; %bb.121:
	s_wait_loadcnt 0x0
	global_load_b64 v[2:3], v[0:1], off
	s_mov_b32 s17, 0
	s_branch .LBB78_125
.LBB78_122:
	s_mov_b32 s17, -1
                                        ; implicit-def: $vgpr2_vgpr3
	s_branch .LBB78_131
.LBB78_123:
	s_mov_b32 s17, -1
                                        ; implicit-def: $vgpr2_vgpr3
	s_branch .LBB78_128
.LBB78_124:
	s_mov_b32 s17, -1
                                        ; implicit-def: $vgpr2_vgpr3
.LBB78_125:
	s_delay_alu instid0(SALU_CYCLE_1)
	s_and_not1_b32 vcc_lo, exec_lo, s17
	s_cbranch_vccnz .LBB78_127
; %bb.126:
	s_wait_loadcnt 0x0
	global_load_b32 v2, v[0:1], off
	s_wait_loadcnt 0x0
	v_ashrrev_i32_e32 v3, 31, v2
.LBB78_127:
	s_mov_b32 s17, 0
.LBB78_128:
	s_delay_alu instid0(SALU_CYCLE_1)
	s_and_not1_b32 vcc_lo, exec_lo, s17
	s_cbranch_vccnz .LBB78_130
; %bb.129:
	s_wait_loadcnt 0x0
	global_load_u16 v2, v[0:1], off
	s_wait_loadcnt 0x0
	v_bfe_i32 v2, v2, 0, 16
	s_delay_alu instid0(VALU_DEP_1)
	v_ashrrev_i32_e32 v3, 31, v2
.LBB78_130:
	s_mov_b32 s17, 0
.LBB78_131:
	s_delay_alu instid0(SALU_CYCLE_1)
	s_and_not1_b32 vcc_lo, exec_lo, s17
	s_cbranch_vccnz .LBB78_137
; %bb.132:
	s_cmp_gt_i32 s0, 0
	s_mov_b32 s0, 0
	s_cbranch_scc0 .LBB78_134
; %bb.133:
	s_wait_loadcnt 0x0
	global_load_i8 v2, v[0:1], off
	s_wait_loadcnt 0x0
	v_bfe_i32 v2, v2, 0, 16
	s_delay_alu instid0(VALU_DEP_1)
	v_ashrrev_i32_e32 v3, 31, v2
	s_branch .LBB78_135
.LBB78_134:
	s_mov_b32 s0, -1
                                        ; implicit-def: $vgpr2_vgpr3
.LBB78_135:
	s_delay_alu instid0(SALU_CYCLE_1)
	s_and_not1_b32 vcc_lo, exec_lo, s0
	s_cbranch_vccnz .LBB78_137
; %bb.136:
	global_load_u8 v0, v[0:1], off
	s_mov_b32 s0, 0
	s_wait_loadcnt 0x1
	v_mov_b32_e32 v3, s0
	s_wait_loadcnt 0x0
	v_and_b32_e32 v2, 0xffff, v0
.LBB78_137:
	s_branch .LBB78_11
.LBB78_138:
	s_mov_b32 s22, 0
	s_mov_b32 s18, 0
	;; [unrolled: 1-line block ×3, first 2 shown]
                                        ; implicit-def: $vgpr6
	s_branch .LBB78_220
.LBB78_139:
	s_mov_b32 s24, -1
	s_mov_b32 s23, 0
.LBB78_140:
	s_and_b32 vcc_lo, exec_lo, s24
	s_cbranch_vccz .LBB78_143
; %bb.141:
	s_cmp_eq_u32 s22, 44
	s_mov_b32 s17, -1
	s_cbranch_scc0 .LBB78_143
; %bb.142:
	s_wait_xcnt 0x0
	v_mov_b32_e32 v2, 0
	s_mov_b32 s23, -1
	s_mov_b32 s17, 0
	s_mov_b32 s24, 0
	global_store_b8 v[0:1], v2, off
	s_branch .LBB78_144
.LBB78_143:
	s_mov_b32 s24, 0
.LBB78_144:
	s_delay_alu instid0(SALU_CYCLE_1)
	s_and_b32 vcc_lo, exec_lo, s24
	s_cbranch_vccz .LBB78_147
; %bb.145:
	s_cmp_eq_u32 s22, 29
	s_mov_b32 s17, -1
	s_cbranch_scc0 .LBB78_147
; %bb.146:
	s_wait_xcnt 0x0
	v_mov_b64_e32 v[2:3], 0
	s_mov_b32 s23, -1
	s_mov_b32 s17, 0
	s_mov_b32 s24, 0
	global_store_b64 v[0:1], v[2:3], off
	s_branch .LBB78_148
.LBB78_147:
	s_mov_b32 s24, 0
.LBB78_148:
	s_delay_alu instid0(SALU_CYCLE_1)
	s_and_b32 vcc_lo, exec_lo, s24
	s_cbranch_vccz .LBB78_158
; %bb.149:
	s_cmp_lt_i32 s22, 27
	s_mov_b32 s23, -1
	s_cbranch_scc1 .LBB78_155
; %bb.150:
	s_cmp_gt_i32 s22, 27
	s_cbranch_scc0 .LBB78_152
; %bb.151:
	s_wait_xcnt 0x0
	v_mov_b32_e32 v2, 0
	s_mov_b32 s23, 0
	global_store_b32 v[0:1], v2, off
.LBB78_152:
	s_and_not1_b32 vcc_lo, exec_lo, s23
	s_cbranch_vccnz .LBB78_154
; %bb.153:
	s_wait_xcnt 0x0
	v_mov_b32_e32 v2, 0
	global_store_b16 v[0:1], v2, off
.LBB78_154:
	s_mov_b32 s23, 0
.LBB78_155:
	s_delay_alu instid0(SALU_CYCLE_1)
	s_and_not1_b32 vcc_lo, exec_lo, s23
	s_cbranch_vccnz .LBB78_157
; %bb.156:
	s_wait_xcnt 0x0
	v_mov_b32_e32 v2, 0
	global_store_b8 v[0:1], v2, off
.LBB78_157:
	s_mov_b32 s23, -1
.LBB78_158:
	s_mov_b32 s24, 0
.LBB78_159:
	s_delay_alu instid0(SALU_CYCLE_1)
	s_and_b32 vcc_lo, exec_lo, s24
	s_cbranch_vccz .LBB78_178
; %bb.160:
	s_cmp_gt_i32 s22, 22
	s_mov_b32 s24, -1
	s_cbranch_scc0 .LBB78_170
; %bb.161:
	s_cmp_lt_i32 s22, 24
	s_mov_b32 s23, -1
	s_cbranch_scc1 .LBB78_167
; %bb.162:
	s_cmp_gt_i32 s22, 24
	s_cbranch_scc0 .LBB78_164
; %bb.163:
	s_wait_xcnt 0x0
	v_mov_b32_e32 v2, 0
	s_mov_b32 s23, 0
	global_store_b8 v[0:1], v2, off
.LBB78_164:
	s_and_not1_b32 vcc_lo, exec_lo, s23
	s_cbranch_vccnz .LBB78_166
; %bb.165:
	s_wait_xcnt 0x0
	v_mov_b32_e32 v2, 0
	global_store_b8 v[0:1], v2, off
.LBB78_166:
	s_mov_b32 s23, 0
.LBB78_167:
	s_delay_alu instid0(SALU_CYCLE_1)
	s_and_not1_b32 vcc_lo, exec_lo, s23
	s_cbranch_vccnz .LBB78_169
; %bb.168:
	s_wait_xcnt 0x0
	v_mov_b32_e32 v2, 0
	global_store_b8 v[0:1], v2, off
.LBB78_169:
	s_mov_b32 s24, 0
	s_mov_b32 s23, -1
.LBB78_170:
	s_and_not1_b32 vcc_lo, exec_lo, s24
	s_cbranch_vccnz .LBB78_178
; %bb.171:
	s_cmp_gt_i32 s22, 14
	s_mov_b32 s24, -1
	s_cbranch_scc0 .LBB78_175
; %bb.172:
	s_cmp_eq_u32 s22, 15
	s_mov_b32 s17, -1
	s_cbranch_scc0 .LBB78_174
; %bb.173:
	s_wait_xcnt 0x0
	v_mov_b32_e32 v2, 0
	s_mov_b32 s23, -1
	s_mov_b32 s17, 0
	global_store_b16 v[0:1], v2, off
.LBB78_174:
	s_mov_b32 s24, 0
.LBB78_175:
	s_delay_alu instid0(SALU_CYCLE_1)
	s_and_b32 vcc_lo, exec_lo, s24
	s_cbranch_vccz .LBB78_178
; %bb.176:
	s_cmp_eq_u32 s22, 11
	s_mov_b32 s17, -1
	s_cbranch_scc0 .LBB78_178
; %bb.177:
	s_wait_xcnt 0x0
	v_mov_b32_e32 v2, 0
	s_mov_b32 s23, -1
	s_mov_b32 s17, 0
	global_store_b8 v[0:1], v2, off
.LBB78_178:
	s_branch .LBB78_21
.LBB78_179:
	s_and_b32 s18, 0xffff, s18
	s_mov_b32 s22, -1
	s_cmp_lt_i32 s18, 5
	s_cbranch_scc1 .LBB78_200
; %bb.180:
	s_cmp_lt_i32 s18, 8
	s_cbranch_scc1 .LBB78_190
; %bb.181:
	;; [unrolled: 3-line block ×3, first 2 shown]
	s_cmp_gt_i32 s18, 9
	s_cbranch_scc0 .LBB78_184
; %bb.183:
	s_wait_xcnt 0x0
	v_mov_b32_e32 v2, 0
	s_mov_b32 s22, 0
	s_delay_alu instid0(VALU_DEP_1)
	v_dual_mov_b32 v3, v2 :: v_dual_mov_b32 v4, v2
	v_mov_b32_e32 v5, v2
	global_store_b128 v[0:1], v[2:5], off
.LBB78_184:
	s_and_not1_b32 vcc_lo, exec_lo, s22
	s_cbranch_vccnz .LBB78_186
; %bb.185:
	s_wait_xcnt 0x0
	v_mov_b64_e32 v[2:3], 0
	global_store_b64 v[0:1], v[2:3], off
.LBB78_186:
	s_mov_b32 s22, 0
.LBB78_187:
	s_delay_alu instid0(SALU_CYCLE_1)
	s_and_not1_b32 vcc_lo, exec_lo, s22
	s_cbranch_vccnz .LBB78_189
; %bb.188:
	s_wait_xcnt 0x0
	v_mov_b32_e32 v2, 0
	global_store_b32 v[0:1], v2, off
.LBB78_189:
	s_mov_b32 s22, 0
.LBB78_190:
	s_delay_alu instid0(SALU_CYCLE_1)
	s_and_not1_b32 vcc_lo, exec_lo, s22
	s_cbranch_vccnz .LBB78_199
; %bb.191:
	s_cmp_lt_i32 s18, 6
	s_mov_b32 s22, -1
	s_cbranch_scc1 .LBB78_197
; %bb.192:
	s_cmp_gt_i32 s18, 6
	s_cbranch_scc0 .LBB78_194
; %bb.193:
	s_wait_xcnt 0x0
	v_mov_b64_e32 v[2:3], 0
	s_mov_b32 s22, 0
	global_store_b64 v[0:1], v[2:3], off
.LBB78_194:
	s_and_not1_b32 vcc_lo, exec_lo, s22
	s_cbranch_vccnz .LBB78_196
; %bb.195:
	s_wait_xcnt 0x0
	v_mov_b32_e32 v2, 0
	global_store_b32 v[0:1], v2, off
.LBB78_196:
	s_mov_b32 s22, 0
.LBB78_197:
	s_delay_alu instid0(SALU_CYCLE_1)
	s_and_not1_b32 vcc_lo, exec_lo, s22
	s_cbranch_vccnz .LBB78_199
; %bb.198:
	s_wait_xcnt 0x0
	v_mov_b32_e32 v2, 0
	global_store_b16 v[0:1], v2, off
.LBB78_199:
	s_mov_b32 s22, 0
.LBB78_200:
	s_delay_alu instid0(SALU_CYCLE_1)
	s_and_not1_b32 vcc_lo, exec_lo, s22
	s_cbranch_vccnz .LBB78_216
; %bb.201:
	s_cmp_lt_i32 s18, 2
	s_mov_b32 s22, -1
	s_cbranch_scc1 .LBB78_211
; %bb.202:
	s_cmp_lt_i32 s18, 3
	s_cbranch_scc1 .LBB78_208
; %bb.203:
	s_cmp_gt_i32 s18, 3
	s_cbranch_scc0 .LBB78_205
; %bb.204:
	s_wait_xcnt 0x0
	v_mov_b64_e32 v[2:3], 0
	s_mov_b32 s22, 0
	global_store_b64 v[0:1], v[2:3], off
.LBB78_205:
	s_and_not1_b32 vcc_lo, exec_lo, s22
	s_cbranch_vccnz .LBB78_207
; %bb.206:
	s_wait_xcnt 0x0
	v_mov_b32_e32 v2, 0
	global_store_b32 v[0:1], v2, off
.LBB78_207:
	s_mov_b32 s22, 0
.LBB78_208:
	s_delay_alu instid0(SALU_CYCLE_1)
	s_and_not1_b32 vcc_lo, exec_lo, s22
	s_cbranch_vccnz .LBB78_210
; %bb.209:
	s_wait_xcnt 0x0
	v_mov_b32_e32 v2, 0
	global_store_b16 v[0:1], v2, off
.LBB78_210:
	s_mov_b32 s22, 0
.LBB78_211:
	s_delay_alu instid0(SALU_CYCLE_1)
	s_and_not1_b32 vcc_lo, exec_lo, s22
	s_cbranch_vccnz .LBB78_216
; %bb.212:
	s_cmp_gt_i32 s18, 0
	s_mov_b32 s18, -1
	s_cbranch_scc0 .LBB78_214
; %bb.213:
	s_wait_xcnt 0x0
	v_mov_b32_e32 v2, 0
	s_mov_b32 s18, 0
	global_store_b8 v[0:1], v2, off
.LBB78_214:
	s_and_not1_b32 vcc_lo, exec_lo, s18
	s_cbranch_vccnz .LBB78_216
; %bb.215:
	s_wait_xcnt 0x0
	v_mov_b32_e32 v2, 0
	global_store_b8 v[0:1], v2, off
.LBB78_216:
	s_branch .LBB78_22
.LBB78_217:
	s_mov_b32 s22, 0
                                        ; implicit-def: $vgpr6
.LBB78_218:
	s_and_b32 s17, s17, exec_lo
	s_xor_b32 s18, exec_lo, -1
	s_and_b32 s22, s22, exec_lo
.LBB78_219:
	s_wait_xcnt 0x0
	s_or_b32 exec_lo, exec_lo, s0
.LBB78_220:
	s_delay_alu instid0(SALU_CYCLE_1)
	s_and_b32 s17, s17, exec_lo
	s_and_b32 s18, s18, exec_lo
	;; [unrolled: 1-line block ×3, first 2 shown]
	s_or_not1_b32 s23, s22, exec_lo
.LBB78_221:
	s_wait_xcnt 0x0
	s_or_b32 exec_lo, exec_lo, s20
	s_mov_b32 s22, 0
	s_mov_b32 s0, 0
                                        ; implicit-def: $vgpr0_vgpr1
                                        ; implicit-def: $vgpr2_vgpr3
	s_and_saveexec_b32 s20, s23
	s_cbranch_execz .LBB78_230
; %bb.222:
	s_mov_b32 s0, -1
	s_mov_b32 s21, s19
	s_mov_b32 s23, s18
	;; [unrolled: 1-line block ×3, first 2 shown]
	s_mov_b32 s24, exec_lo
	v_cmpx_gt_i32_e64 s16, v6
	s_cbranch_execz .LBB78_448
; %bb.223:
	v_mul_lo_u32 v0, v6, s3
	s_and_b32 s0, 0xffff, s13
	s_delay_alu instid0(SALU_CYCLE_1) | instskip(NEXT) | instid1(VALU_DEP_1)
	s_cmp_lt_i32 s0, 11
	v_ashrrev_i32_e32 v1, 31, v0
	s_delay_alu instid0(VALU_DEP_1)
	v_add_nc_u64_e32 v[0:1], s[6:7], v[0:1]
	s_cbranch_scc1 .LBB78_233
; %bb.224:
	s_cmp_gt_i32 s0, 25
	s_cbranch_scc0 .LBB78_243
; %bb.225:
	s_cmp_gt_i32 s0, 28
	s_cbranch_scc0 .LBB78_245
	;; [unrolled: 3-line block ×4, first 2 shown]
; %bb.228:
	s_cmp_eq_u32 s0, 46
	s_mov_b32 s23, 0
	s_cbranch_scc0 .LBB78_251
; %bb.229:
	s_wait_loadcnt 0x0
	global_load_b32 v2, v[0:1], off
	s_mov_b32 s22, -1
	s_mov_b32 s21, 0
	s_wait_loadcnt 0x0
	v_lshlrev_b32_e32 v2, 16, v2
	s_delay_alu instid0(VALU_DEP_1) | instskip(NEXT) | instid1(VALU_DEP_1)
	v_trunc_f32_e32 v2, v2
	v_mul_f32_e64 v3, 0x2f800000, |v2|
	s_delay_alu instid0(VALU_DEP_1) | instskip(NEXT) | instid1(VALU_DEP_1)
	v_floor_f32_e32 v3, v3
	v_fma_f32 v4, 0xcf800000, v3, |v2|
	v_ashrrev_i32_e32 v2, 31, v2
	v_cvt_u32_f32_e32 v5, v3
	s_delay_alu instid0(VALU_DEP_3) | instskip(NEXT) | instid1(VALU_DEP_2)
	v_cvt_u32_f32_e32 v4, v4
	v_dual_mov_b32 v3, v2 :: v_dual_bitop2_b32 v5, v5, v2 bitop3:0x14
	s_delay_alu instid0(VALU_DEP_2) | instskip(NEXT) | instid1(VALU_DEP_1)
	v_xor_b32_e32 v4, v4, v2
	v_sub_nc_u64_e32 v[2:3], v[4:5], v[2:3]
	s_branch .LBB78_253
.LBB78_230:
	s_or_b32 exec_lo, exec_lo, s20
	s_mov_b32 s16, 0
	s_and_saveexec_b32 s20, s19
	s_cbranch_execnz .LBB78_752
.LBB78_231:
	s_or_b32 exec_lo, exec_lo, s20
	s_and_saveexec_b32 s19, s21
	s_delay_alu instid0(SALU_CYCLE_1)
	s_xor_b32 s19, exec_lo, s19
	s_cbranch_execz .LBB78_753
.LBB78_232:
	s_wait_loadcnt 0x0
	global_load_u8 v2, v[0:1], off
	s_mov_b32 s20, 0
	s_or_b32 s0, s0, exec_lo
	v_mov_b32_e32 v3, s20
	s_wait_loadcnt 0x0
	v_cmp_ne_u16_e32 vcc_lo, 0, v2
	v_cndmask_b32_e64 v2, 0, 1, vcc_lo
	s_wait_xcnt 0x0
	s_or_b32 exec_lo, exec_lo, s19
	s_and_saveexec_b32 s19, s22
	s_cbranch_execz .LBB78_799
	s_branch .LBB78_754
.LBB78_233:
	s_mov_b32 s22, 0
	s_mov_b32 s21, s19
                                        ; implicit-def: $vgpr2_vgpr3
	s_cbranch_execnz .LBB78_314
.LBB78_234:
	s_and_not1_b32 vcc_lo, exec_lo, s22
	s_cbranch_vccnz .LBB78_362
.LBB78_235:
	s_wait_loadcnt 0x0
	s_delay_alu instid0(VALU_DEP_1)
	v_cmp_le_i64_e32 vcc_lo, s[8:9], v[2:3]
	v_cmp_gt_i64_e64 s0, s[10:11], v[2:3]
	s_mov_b32 s25, 0
	s_mov_b32 s23, -1
	s_mov_b32 s22, s17
	s_and_b32 s0, vcc_lo, s0
	s_delay_alu instid0(SALU_CYCLE_1)
	s_and_b32 s26, s15, s0
	s_wait_xcnt 0x0
	s_and_saveexec_b32 s0, s26
	s_cbranch_execz .LBB78_446
; %bb.236:
	v_mul_lo_u32 v0, v6, s2
	s_and_b32 s23, s12, 0xff
	s_delay_alu instid0(SALU_CYCLE_1) | instskip(NEXT) | instid1(VALU_DEP_1)
	s_cmp_lt_i32 s23, 11
	v_ashrrev_i32_e32 v1, 31, v0
	s_delay_alu instid0(VALU_DEP_1)
	v_add_nc_u64_e32 v[0:1], s[4:5], v[0:1]
	s_cbranch_scc1 .LBB78_244
; %bb.237:
	s_and_b32 s25, 0xffff, s23
	s_delay_alu instid0(SALU_CYCLE_1)
	s_cmp_gt_i32 s25, 25
	s_cbranch_scc0 .LBB78_246
; %bb.238:
	s_cmp_gt_i32 s25, 28
	s_cbranch_scc0 .LBB78_248
; %bb.239:
	;; [unrolled: 3-line block ×4, first 2 shown]
	s_mov_b32 s27, 0
	s_mov_b32 s22, -1
	s_cmp_eq_u32 s25, 46
	s_mov_b32 s26, 0
	s_cbranch_scc0 .LBB78_364
; %bb.242:
	v_mov_b32_e32 v2, 0
	s_mov_b32 s26, -1
	s_mov_b32 s22, 0
	global_store_b32 v[0:1], v2, off
	s_branch .LBB78_364
.LBB78_243:
	s_mov_b32 s23, -1
	s_mov_b32 s22, 0
	s_mov_b32 s21, s19
                                        ; implicit-def: $vgpr2_vgpr3
	s_branch .LBB78_280
.LBB78_244:
	s_mov_b32 s25, -1
	s_mov_b32 s26, 0
	s_mov_b32 s22, s17
	s_branch .LBB78_403
.LBB78_245:
	s_mov_b32 s23, -1
	s_mov_b32 s22, 0
	s_mov_b32 s21, s19
                                        ; implicit-def: $vgpr2_vgpr3
	s_branch .LBB78_263
.LBB78_246:
	s_mov_b32 s27, -1
	s_mov_b32 s26, 0
	s_mov_b32 s22, s17
	s_branch .LBB78_383
.LBB78_247:
	s_mov_b32 s23, -1
	s_mov_b32 s22, 0
	s_mov_b32 s21, s19
                                        ; implicit-def: $vgpr2_vgpr3
	s_branch .LBB78_258
.LBB78_248:
	s_mov_b32 s27, -1
	s_mov_b32 s26, 0
	s_mov_b32 s22, s17
	s_branch .LBB78_372
.LBB78_249:
	s_mov_b32 s23, -1
	s_mov_b32 s22, 0
	s_mov_b32 s21, s19
	s_branch .LBB78_252
.LBB78_250:
	s_mov_b32 s27, -1
	s_mov_b32 s26, 0
	s_mov_b32 s22, s17
	s_branch .LBB78_368
.LBB78_251:
	s_mov_b32 s21, -1
	s_mov_b32 s22, 0
.LBB78_252:
                                        ; implicit-def: $vgpr2_vgpr3
.LBB78_253:
	s_and_b32 vcc_lo, exec_lo, s23
	s_cbranch_vccz .LBB78_257
; %bb.254:
	s_cmp_eq_u32 s0, 44
	s_cbranch_scc0 .LBB78_256
; %bb.255:
	global_load_u8 v7, v[0:1], off
	s_mov_b32 s21, 0
	s_mov_b32 s22, -1
	s_wait_loadcnt 0x0
	v_lshlrev_b32_e32 v2, 23, v7
	v_cmp_ne_u32_e32 vcc_lo, 0, v7
	s_delay_alu instid0(VALU_DEP_2) | instskip(NEXT) | instid1(VALU_DEP_1)
	v_trunc_f32_e32 v2, v2
	v_mul_f32_e64 v3, 0x2f800000, |v2|
	s_delay_alu instid0(VALU_DEP_1) | instskip(NEXT) | instid1(VALU_DEP_1)
	v_floor_f32_e32 v3, v3
	v_fma_f32 v4, 0xcf800000, v3, |v2|
	v_ashrrev_i32_e32 v2, 31, v2
	v_cvt_u32_f32_e32 v5, v3
	s_delay_alu instid0(VALU_DEP_3) | instskip(NEXT) | instid1(VALU_DEP_2)
	v_cvt_u32_f32_e32 v4, v4
	v_dual_mov_b32 v3, v2 :: v_dual_bitop2_b32 v5, v5, v2 bitop3:0x14
	s_delay_alu instid0(VALU_DEP_2) | instskip(NEXT) | instid1(VALU_DEP_1)
	v_xor_b32_e32 v4, v4, v2
	v_sub_nc_u64_e32 v[2:3], v[4:5], v[2:3]
	s_delay_alu instid0(VALU_DEP_1)
	v_dual_cndmask_b32 v3, 0, v3 :: v_dual_cndmask_b32 v2, 0, v2
	s_branch .LBB78_257
.LBB78_256:
	s_mov_b32 s21, -1
                                        ; implicit-def: $vgpr2_vgpr3
.LBB78_257:
	s_mov_b32 s23, 0
.LBB78_258:
	s_delay_alu instid0(SALU_CYCLE_1)
	s_and_b32 vcc_lo, exec_lo, s23
	s_cbranch_vccz .LBB78_262
; %bb.259:
	s_cmp_eq_u32 s0, 29
	s_cbranch_scc0 .LBB78_261
; %bb.260:
	s_wait_loadcnt 0x0
	global_load_b64 v[2:3], v[0:1], off
	s_mov_b32 s22, -1
	s_mov_b32 s21, 0
	s_branch .LBB78_262
.LBB78_261:
	s_mov_b32 s21, -1
                                        ; implicit-def: $vgpr2_vgpr3
.LBB78_262:
	s_mov_b32 s23, 0
.LBB78_263:
	s_delay_alu instid0(SALU_CYCLE_1)
	s_and_b32 vcc_lo, exec_lo, s23
	s_cbranch_vccz .LBB78_279
; %bb.264:
	s_cmp_lt_i32 s0, 27
	s_cbranch_scc1 .LBB78_267
; %bb.265:
	s_cmp_gt_i32 s0, 27
	s_cbranch_scc0 .LBB78_268
; %bb.266:
	s_wait_loadcnt 0x0
	global_load_b32 v2, v[0:1], off
	v_mov_b32_e32 v3, 0
	s_mov_b32 s22, 0
	s_branch .LBB78_269
.LBB78_267:
	s_mov_b32 s22, -1
                                        ; implicit-def: $vgpr2_vgpr3
	s_branch .LBB78_272
.LBB78_268:
	s_mov_b32 s22, -1
                                        ; implicit-def: $vgpr2_vgpr3
.LBB78_269:
	s_delay_alu instid0(SALU_CYCLE_1)
	s_and_not1_b32 vcc_lo, exec_lo, s22
	s_cbranch_vccnz .LBB78_271
; %bb.270:
	s_wait_loadcnt 0x0
	global_load_u16 v2, v[0:1], off
	s_mov_b32 s22, 0
	s_delay_alu instid0(SALU_CYCLE_1)
	v_mov_b32_e32 v3, s22
	s_wait_loadcnt 0x0
	v_and_b32_e32 v2, 0xffff, v2
.LBB78_271:
	s_mov_b32 s22, 0
.LBB78_272:
	s_delay_alu instid0(SALU_CYCLE_1)
	s_and_not1_b32 vcc_lo, exec_lo, s22
	s_cbranch_vccnz .LBB78_278
; %bb.273:
	global_load_u8 v4, v[0:1], off
	s_mov_b32 s23, 0
	s_mov_b32 s22, exec_lo
	s_wait_loadcnt 0x0
	v_cmpx_lt_i16_e32 0x7f, v4
	s_xor_b32 s22, exec_lo, s22
	s_cbranch_execz .LBB78_290
; %bb.274:
	v_cmp_ne_u16_e32 vcc_lo, 0x80, v4
	s_and_b32 s23, vcc_lo, exec_lo
	s_and_not1_saveexec_b32 s22, s22
	s_cbranch_execnz .LBB78_291
.LBB78_275:
	s_or_b32 exec_lo, exec_lo, s22
	v_mov_b64_e32 v[2:3], 0
	s_and_saveexec_b32 s22, s23
	s_cbranch_execz .LBB78_277
.LBB78_276:
	v_and_b32_e32 v2, 0xffff, v4
	s_delay_alu instid0(VALU_DEP_1) | instskip(SKIP_1) | instid1(VALU_DEP_2)
	v_and_b32_e32 v3, 7, v2
	v_bfe_u32 v8, v2, 3, 4
	v_clz_i32_u32_e32 v5, v3
	s_delay_alu instid0(VALU_DEP_2) | instskip(NEXT) | instid1(VALU_DEP_2)
	v_cmp_eq_u32_e32 vcc_lo, 0, v8
	v_min_u32_e32 v5, 32, v5
	s_delay_alu instid0(VALU_DEP_1) | instskip(NEXT) | instid1(VALU_DEP_1)
	v_subrev_nc_u32_e32 v7, 28, v5
	v_dual_lshlrev_b32 v2, v7, v2 :: v_dual_sub_nc_u32 v5, 29, v5
	s_delay_alu instid0(VALU_DEP_1) | instskip(NEXT) | instid1(VALU_DEP_1)
	v_dual_lshlrev_b32 v4, 24, v4 :: v_dual_bitop2_b32 v2, 7, v2 bitop3:0x40
	v_dual_cndmask_b32 v5, v8, v5 :: v_dual_cndmask_b32 v2, v3, v2
	s_delay_alu instid0(VALU_DEP_2) | instskip(NEXT) | instid1(VALU_DEP_2)
	v_and_b32_e32 v3, 0x80000000, v4
	v_lshl_add_u32 v4, v5, 23, 0x3b800000
	s_delay_alu instid0(VALU_DEP_3) | instskip(NEXT) | instid1(VALU_DEP_1)
	v_lshlrev_b32_e32 v2, 20, v2
	v_or3_b32 v2, v3, v4, v2
	s_delay_alu instid0(VALU_DEP_1) | instskip(NEXT) | instid1(VALU_DEP_1)
	v_trunc_f32_e32 v2, v2
	v_mul_f32_e64 v3, 0x2f800000, |v2|
	s_delay_alu instid0(VALU_DEP_1) | instskip(NEXT) | instid1(VALU_DEP_1)
	v_floor_f32_e32 v3, v3
	v_fma_f32 v4, 0xcf800000, v3, |v2|
	v_ashrrev_i32_e32 v2, 31, v2
	v_cvt_u32_f32_e32 v5, v3
	s_delay_alu instid0(VALU_DEP_3) | instskip(NEXT) | instid1(VALU_DEP_2)
	v_cvt_u32_f32_e32 v4, v4
	v_dual_mov_b32 v3, v2 :: v_dual_bitop2_b32 v5, v5, v2 bitop3:0x14
	s_delay_alu instid0(VALU_DEP_2) | instskip(NEXT) | instid1(VALU_DEP_1)
	v_xor_b32_e32 v4, v4, v2
	v_sub_nc_u64_e32 v[2:3], v[4:5], v[2:3]
.LBB78_277:
	s_or_b32 exec_lo, exec_lo, s22
.LBB78_278:
	s_mov_b32 s22, -1
.LBB78_279:
	s_mov_b32 s23, 0
.LBB78_280:
	s_delay_alu instid0(SALU_CYCLE_1)
	s_and_b32 vcc_lo, exec_lo, s23
	s_cbranch_vccz .LBB78_313
; %bb.281:
	s_cmp_gt_i32 s0, 22
	s_cbranch_scc0 .LBB78_289
; %bb.282:
	s_cmp_lt_i32 s0, 24
	s_cbranch_scc1 .LBB78_292
; %bb.283:
	s_cmp_gt_i32 s0, 24
	s_cbranch_scc0 .LBB78_293
; %bb.284:
	global_load_u8 v4, v[0:1], off
	s_mov_b32 s23, 0
	s_mov_b32 s22, exec_lo
	s_wait_loadcnt 0x0
	v_cmpx_lt_i16_e32 0x7f, v4
	s_xor_b32 s22, exec_lo, s22
	s_cbranch_execz .LBB78_305
; %bb.285:
	v_cmp_ne_u16_e32 vcc_lo, 0x80, v4
	s_and_b32 s23, vcc_lo, exec_lo
	s_and_not1_saveexec_b32 s22, s22
	s_cbranch_execnz .LBB78_306
.LBB78_286:
	s_or_b32 exec_lo, exec_lo, s22
	v_mov_b64_e32 v[2:3], 0
	s_and_saveexec_b32 s22, s23
	s_cbranch_execz .LBB78_288
.LBB78_287:
	v_and_b32_e32 v2, 0xffff, v4
	s_delay_alu instid0(VALU_DEP_1) | instskip(SKIP_1) | instid1(VALU_DEP_2)
	v_and_b32_e32 v3, 3, v2
	v_bfe_u32 v8, v2, 2, 5
	v_clz_i32_u32_e32 v5, v3
	s_delay_alu instid0(VALU_DEP_2) | instskip(NEXT) | instid1(VALU_DEP_2)
	v_cmp_eq_u32_e32 vcc_lo, 0, v8
	v_min_u32_e32 v5, 32, v5
	s_delay_alu instid0(VALU_DEP_1) | instskip(NEXT) | instid1(VALU_DEP_1)
	v_subrev_nc_u32_e32 v7, 29, v5
	v_dual_lshlrev_b32 v2, v7, v2 :: v_dual_sub_nc_u32 v5, 30, v5
	s_delay_alu instid0(VALU_DEP_1) | instskip(NEXT) | instid1(VALU_DEP_1)
	v_dual_lshlrev_b32 v4, 24, v4 :: v_dual_bitop2_b32 v2, 3, v2 bitop3:0x40
	v_dual_cndmask_b32 v5, v8, v5 :: v_dual_cndmask_b32 v2, v3, v2
	s_delay_alu instid0(VALU_DEP_2) | instskip(NEXT) | instid1(VALU_DEP_2)
	v_and_b32_e32 v3, 0x80000000, v4
	v_lshl_add_u32 v4, v5, 23, 0x37800000
	s_delay_alu instid0(VALU_DEP_3) | instskip(NEXT) | instid1(VALU_DEP_1)
	v_lshlrev_b32_e32 v2, 21, v2
	v_or3_b32 v2, v3, v4, v2
	s_delay_alu instid0(VALU_DEP_1) | instskip(NEXT) | instid1(VALU_DEP_1)
	v_trunc_f32_e32 v2, v2
	v_mul_f32_e64 v3, 0x2f800000, |v2|
	s_delay_alu instid0(VALU_DEP_1) | instskip(NEXT) | instid1(VALU_DEP_1)
	v_floor_f32_e32 v3, v3
	v_fma_f32 v4, 0xcf800000, v3, |v2|
	v_ashrrev_i32_e32 v2, 31, v2
	v_cvt_u32_f32_e32 v5, v3
	s_delay_alu instid0(VALU_DEP_3) | instskip(NEXT) | instid1(VALU_DEP_2)
	v_cvt_u32_f32_e32 v4, v4
	v_dual_mov_b32 v3, v2 :: v_dual_bitop2_b32 v5, v5, v2 bitop3:0x14
	s_delay_alu instid0(VALU_DEP_2) | instskip(NEXT) | instid1(VALU_DEP_1)
	v_xor_b32_e32 v4, v4, v2
	v_sub_nc_u64_e32 v[2:3], v[4:5], v[2:3]
.LBB78_288:
	s_or_b32 exec_lo, exec_lo, s22
	s_mov_b32 s22, 0
	s_branch .LBB78_294
.LBB78_289:
	s_mov_b32 s23, -1
                                        ; implicit-def: $vgpr2_vgpr3
	s_branch .LBB78_300
.LBB78_290:
	s_and_not1_saveexec_b32 s22, s22
	s_cbranch_execz .LBB78_275
.LBB78_291:
	v_cmp_ne_u16_e32 vcc_lo, 0, v4
	s_and_not1_b32 s23, s23, exec_lo
	s_and_b32 s25, vcc_lo, exec_lo
	s_delay_alu instid0(SALU_CYCLE_1)
	s_or_b32 s23, s23, s25
	s_or_b32 exec_lo, exec_lo, s22
	v_mov_b64_e32 v[2:3], 0
	s_and_saveexec_b32 s22, s23
	s_cbranch_execnz .LBB78_276
	s_branch .LBB78_277
.LBB78_292:
	s_mov_b32 s22, -1
                                        ; implicit-def: $vgpr2_vgpr3
	s_branch .LBB78_297
.LBB78_293:
	s_mov_b32 s22, -1
                                        ; implicit-def: $vgpr2_vgpr3
.LBB78_294:
	s_delay_alu instid0(SALU_CYCLE_1)
	s_and_b32 vcc_lo, exec_lo, s22
	s_cbranch_vccz .LBB78_296
; %bb.295:
	s_wait_loadcnt 0x0
	global_load_u8 v2, v[0:1], off
	s_wait_loadcnt 0x0
	v_lshlrev_b32_e32 v2, 24, v2
	s_delay_alu instid0(VALU_DEP_1) | instskip(NEXT) | instid1(VALU_DEP_1)
	v_and_b32_e32 v3, 0x7f000000, v2
	v_clz_i32_u32_e32 v4, v3
	v_add_nc_u32_e32 v7, 0x1000000, v3
	v_cmp_ne_u32_e32 vcc_lo, 0, v3
	s_delay_alu instid0(VALU_DEP_3) | instskip(NEXT) | instid1(VALU_DEP_1)
	v_min_u32_e32 v4, 32, v4
	v_sub_nc_u32_e64 v4, v4, 4 clamp
	s_delay_alu instid0(VALU_DEP_1) | instskip(NEXT) | instid1(VALU_DEP_1)
	v_dual_lshlrev_b32 v5, v4, v3 :: v_dual_lshlrev_b32 v4, 23, v4
	v_lshrrev_b32_e32 v5, 4, v5
	s_delay_alu instid0(VALU_DEP_1) | instskip(NEXT) | instid1(VALU_DEP_1)
	v_dual_sub_nc_u32 v4, v5, v4 :: v_dual_ashrrev_i32 v5, 8, v7
	v_add_nc_u32_e32 v4, 0x3c000000, v4
	s_delay_alu instid0(VALU_DEP_1) | instskip(NEXT) | instid1(VALU_DEP_1)
	v_and_or_b32 v4, 0x7f800000, v5, v4
	v_cndmask_b32_e32 v3, 0, v4, vcc_lo
	s_delay_alu instid0(VALU_DEP_1) | instskip(NEXT) | instid1(VALU_DEP_1)
	v_and_or_b32 v2, 0x80000000, v2, v3
	v_trunc_f32_e32 v2, v2
	s_delay_alu instid0(VALU_DEP_1) | instskip(NEXT) | instid1(VALU_DEP_1)
	v_mul_f32_e64 v3, 0x2f800000, |v2|
	v_floor_f32_e32 v3, v3
	s_delay_alu instid0(VALU_DEP_1) | instskip(SKIP_2) | instid1(VALU_DEP_3)
	v_fma_f32 v4, 0xcf800000, v3, |v2|
	v_ashrrev_i32_e32 v2, 31, v2
	v_cvt_u32_f32_e32 v5, v3
	v_cvt_u32_f32_e32 v4, v4
	s_delay_alu instid0(VALU_DEP_2) | instskip(NEXT) | instid1(VALU_DEP_2)
	v_dual_mov_b32 v3, v2 :: v_dual_bitop2_b32 v5, v5, v2 bitop3:0x14
	v_xor_b32_e32 v4, v4, v2
	s_delay_alu instid0(VALU_DEP_1)
	v_sub_nc_u64_e32 v[2:3], v[4:5], v[2:3]
.LBB78_296:
	s_mov_b32 s22, 0
.LBB78_297:
	s_delay_alu instid0(SALU_CYCLE_1)
	s_and_not1_b32 vcc_lo, exec_lo, s22
	s_cbranch_vccnz .LBB78_299
; %bb.298:
	s_wait_loadcnt 0x0
	global_load_u8 v2, v[0:1], off
	s_wait_loadcnt 0x0
	v_lshlrev_b32_e32 v3, 25, v2
	v_lshlrev_b16 v2, 8, v2
	s_delay_alu instid0(VALU_DEP_1) | instskip(SKIP_1) | instid1(VALU_DEP_2)
	v_and_or_b32 v5, 0x7f00, v2, 0.5
	v_bfe_i32 v2, v2, 0, 16
	v_dual_add_f32 v5, -0.5, v5 :: v_dual_lshrrev_b32 v4, 4, v3
	v_cmp_gt_u32_e32 vcc_lo, 0x8000000, v3
	s_delay_alu instid0(VALU_DEP_2) | instskip(NEXT) | instid1(VALU_DEP_1)
	v_or_b32_e32 v4, 0x70000000, v4
	v_mul_f32_e32 v4, 0x7800000, v4
	s_delay_alu instid0(VALU_DEP_1) | instskip(NEXT) | instid1(VALU_DEP_1)
	v_cndmask_b32_e32 v3, v4, v5, vcc_lo
	v_and_or_b32 v2, 0x80000000, v2, v3
	s_delay_alu instid0(VALU_DEP_1) | instskip(NEXT) | instid1(VALU_DEP_1)
	v_trunc_f32_e32 v2, v2
	v_mul_f32_e64 v3, 0x2f800000, |v2|
	s_delay_alu instid0(VALU_DEP_1) | instskip(NEXT) | instid1(VALU_DEP_1)
	v_floor_f32_e32 v3, v3
	v_fma_f32 v4, 0xcf800000, v3, |v2|
	v_ashrrev_i32_e32 v2, 31, v2
	v_cvt_u32_f32_e32 v5, v3
	s_delay_alu instid0(VALU_DEP_3) | instskip(NEXT) | instid1(VALU_DEP_2)
	v_cvt_u32_f32_e32 v4, v4
	v_dual_mov_b32 v3, v2 :: v_dual_bitop2_b32 v5, v5, v2 bitop3:0x14
	s_delay_alu instid0(VALU_DEP_2) | instskip(NEXT) | instid1(VALU_DEP_1)
	v_xor_b32_e32 v4, v4, v2
	v_sub_nc_u64_e32 v[2:3], v[4:5], v[2:3]
.LBB78_299:
	s_mov_b32 s23, 0
	s_mov_b32 s22, -1
.LBB78_300:
	s_and_not1_b32 vcc_lo, exec_lo, s23
	s_cbranch_vccnz .LBB78_313
; %bb.301:
	s_cmp_gt_i32 s0, 14
	s_cbranch_scc0 .LBB78_304
; %bb.302:
	s_cmp_eq_u32 s0, 15
	s_cbranch_scc0 .LBB78_307
; %bb.303:
	s_wait_loadcnt 0x0
	global_load_u16 v2, v[0:1], off
	s_mov_b32 s22, -1
	s_mov_b32 s21, 0
	s_wait_loadcnt 0x0
	v_lshlrev_b32_e32 v2, 16, v2
	s_delay_alu instid0(VALU_DEP_1) | instskip(NEXT) | instid1(VALU_DEP_1)
	v_trunc_f32_e32 v2, v2
	v_mul_f32_e64 v3, 0x2f800000, |v2|
	s_delay_alu instid0(VALU_DEP_1) | instskip(NEXT) | instid1(VALU_DEP_1)
	v_floor_f32_e32 v3, v3
	v_fma_f32 v4, 0xcf800000, v3, |v2|
	v_ashrrev_i32_e32 v2, 31, v2
	v_cvt_u32_f32_e32 v5, v3
	s_delay_alu instid0(VALU_DEP_3) | instskip(NEXT) | instid1(VALU_DEP_2)
	v_cvt_u32_f32_e32 v4, v4
	v_dual_mov_b32 v3, v2 :: v_dual_bitop2_b32 v5, v5, v2 bitop3:0x14
	s_delay_alu instid0(VALU_DEP_2) | instskip(NEXT) | instid1(VALU_DEP_1)
	v_xor_b32_e32 v4, v4, v2
	v_sub_nc_u64_e32 v[2:3], v[4:5], v[2:3]
	s_branch .LBB78_308
.LBB78_304:
	s_mov_b32 s23, -1
                                        ; implicit-def: $vgpr2_vgpr3
	s_branch .LBB78_309
.LBB78_305:
	s_and_not1_saveexec_b32 s22, s22
	s_cbranch_execz .LBB78_286
.LBB78_306:
	v_cmp_ne_u16_e32 vcc_lo, 0, v4
	s_and_not1_b32 s23, s23, exec_lo
	s_and_b32 s25, vcc_lo, exec_lo
	s_delay_alu instid0(SALU_CYCLE_1)
	s_or_b32 s23, s23, s25
	s_or_b32 exec_lo, exec_lo, s22
	v_mov_b64_e32 v[2:3], 0
	s_and_saveexec_b32 s22, s23
	s_cbranch_execnz .LBB78_287
	s_branch .LBB78_288
.LBB78_307:
	s_mov_b32 s21, -1
                                        ; implicit-def: $vgpr2_vgpr3
.LBB78_308:
	s_mov_b32 s23, 0
.LBB78_309:
	s_delay_alu instid0(SALU_CYCLE_1)
	s_and_b32 vcc_lo, exec_lo, s23
	s_cbranch_vccz .LBB78_313
; %bb.310:
	s_cmp_eq_u32 s0, 11
	s_cbranch_scc0 .LBB78_312
; %bb.311:
	s_wait_loadcnt 0x0
	global_load_u8 v2, v[0:1], off
	s_mov_b32 s21, 0
	s_mov_b32 s22, -1
	v_mov_b32_e32 v3, s21
	s_wait_loadcnt 0x0
	v_cmp_ne_u16_e32 vcc_lo, 0, v2
	v_cndmask_b32_e64 v2, 0, 1, vcc_lo
	s_branch .LBB78_313
.LBB78_312:
	s_mov_b32 s21, -1
                                        ; implicit-def: $vgpr2_vgpr3
.LBB78_313:
	s_branch .LBB78_234
.LBB78_314:
	s_cmp_lt_i32 s0, 5
	s_cbranch_scc1 .LBB78_319
; %bb.315:
	s_cmp_lt_i32 s0, 8
	s_cbranch_scc1 .LBB78_320
; %bb.316:
	;; [unrolled: 3-line block ×3, first 2 shown]
	s_cmp_gt_i32 s0, 9
	s_cbranch_scc0 .LBB78_322
; %bb.318:
	s_wait_loadcnt 0x0
	global_load_b64 v[2:3], v[0:1], off
	s_mov_b32 s22, 0
	s_wait_loadcnt 0x0
	v_trunc_f64_e32 v[2:3], v[2:3]
	s_delay_alu instid0(VALU_DEP_1) | instskip(NEXT) | instid1(VALU_DEP_1)
	v_ldexp_f64 v[4:5], v[2:3], 0xffffffe0
	v_floor_f64_e32 v[4:5], v[4:5]
	s_delay_alu instid0(VALU_DEP_1) | instskip(SKIP_1) | instid1(VALU_DEP_2)
	v_fmamk_f64 v[8:9], v[4:5], 0xc1f00000, v[2:3]
	v_cvt_i32_f64_e32 v3, v[4:5]
	v_cvt_u32_f64_e32 v2, v[8:9]
	s_branch .LBB78_323
.LBB78_319:
	s_mov_b32 s22, -1
                                        ; implicit-def: $vgpr2_vgpr3
	s_branch .LBB78_341
.LBB78_320:
	s_mov_b32 s22, -1
                                        ; implicit-def: $vgpr2_vgpr3
	s_branch .LBB78_329
.LBB78_321:
	s_mov_b32 s22, -1
                                        ; implicit-def: $vgpr2_vgpr3
	s_branch .LBB78_326
.LBB78_322:
	s_mov_b32 s22, -1
                                        ; implicit-def: $vgpr2_vgpr3
.LBB78_323:
	s_delay_alu instid0(SALU_CYCLE_1)
	s_and_not1_b32 vcc_lo, exec_lo, s22
	s_cbranch_vccnz .LBB78_325
; %bb.324:
	s_wait_loadcnt 0x0
	global_load_b32 v2, v[0:1], off
	s_wait_loadcnt 0x0
	v_trunc_f32_e32 v2, v2
	s_delay_alu instid0(VALU_DEP_1) | instskip(NEXT) | instid1(VALU_DEP_1)
	v_mul_f32_e64 v3, 0x2f800000, |v2|
	v_floor_f32_e32 v3, v3
	s_delay_alu instid0(VALU_DEP_1) | instskip(SKIP_2) | instid1(VALU_DEP_3)
	v_fma_f32 v4, 0xcf800000, v3, |v2|
	v_ashrrev_i32_e32 v2, 31, v2
	v_cvt_u32_f32_e32 v5, v3
	v_cvt_u32_f32_e32 v4, v4
	s_delay_alu instid0(VALU_DEP_2) | instskip(NEXT) | instid1(VALU_DEP_2)
	v_dual_mov_b32 v3, v2 :: v_dual_bitop2_b32 v5, v5, v2 bitop3:0x14
	v_xor_b32_e32 v4, v4, v2
	s_delay_alu instid0(VALU_DEP_1)
	v_sub_nc_u64_e32 v[2:3], v[4:5], v[2:3]
.LBB78_325:
	s_mov_b32 s22, 0
.LBB78_326:
	s_delay_alu instid0(SALU_CYCLE_1)
	s_and_not1_b32 vcc_lo, exec_lo, s22
	s_cbranch_vccnz .LBB78_328
; %bb.327:
	s_wait_loadcnt 0x0
	global_load_b32 v2, v[0:1], off
	s_wait_loadcnt 0x0
	v_cvt_f32_f16_e32 v2, v2
	s_delay_alu instid0(VALU_DEP_1) | instskip(NEXT) | instid1(VALU_DEP_1)
	v_cvt_i32_f32_e32 v2, v2
	v_ashrrev_i32_e32 v3, 31, v2
.LBB78_328:
	s_mov_b32 s22, 0
.LBB78_329:
	s_delay_alu instid0(SALU_CYCLE_1)
	s_and_not1_b32 vcc_lo, exec_lo, s22
	s_cbranch_vccnz .LBB78_340
; %bb.330:
	s_cmp_lt_i32 s0, 6
	s_cbranch_scc1 .LBB78_333
; %bb.331:
	s_cmp_gt_i32 s0, 6
	s_cbranch_scc0 .LBB78_334
; %bb.332:
	s_wait_loadcnt 0x0
	global_load_b64 v[2:3], v[0:1], off
	s_mov_b32 s22, 0
	s_wait_loadcnt 0x0
	v_trunc_f64_e32 v[2:3], v[2:3]
	s_delay_alu instid0(VALU_DEP_1) | instskip(NEXT) | instid1(VALU_DEP_1)
	v_ldexp_f64 v[4:5], v[2:3], 0xffffffe0
	v_floor_f64_e32 v[4:5], v[4:5]
	s_delay_alu instid0(VALU_DEP_1) | instskip(SKIP_1) | instid1(VALU_DEP_2)
	v_fmamk_f64 v[8:9], v[4:5], 0xc1f00000, v[2:3]
	v_cvt_i32_f64_e32 v3, v[4:5]
	v_cvt_u32_f64_e32 v2, v[8:9]
	s_branch .LBB78_335
.LBB78_333:
	s_mov_b32 s22, -1
                                        ; implicit-def: $vgpr2_vgpr3
	s_branch .LBB78_338
.LBB78_334:
	s_mov_b32 s22, -1
                                        ; implicit-def: $vgpr2_vgpr3
.LBB78_335:
	s_delay_alu instid0(SALU_CYCLE_1)
	s_and_not1_b32 vcc_lo, exec_lo, s22
	s_cbranch_vccnz .LBB78_337
; %bb.336:
	s_wait_loadcnt 0x0
	global_load_b32 v2, v[0:1], off
	s_wait_loadcnt 0x0
	v_trunc_f32_e32 v2, v2
	s_delay_alu instid0(VALU_DEP_1) | instskip(NEXT) | instid1(VALU_DEP_1)
	v_mul_f32_e64 v3, 0x2f800000, |v2|
	v_floor_f32_e32 v3, v3
	s_delay_alu instid0(VALU_DEP_1) | instskip(SKIP_2) | instid1(VALU_DEP_3)
	v_fma_f32 v4, 0xcf800000, v3, |v2|
	v_ashrrev_i32_e32 v2, 31, v2
	v_cvt_u32_f32_e32 v5, v3
	v_cvt_u32_f32_e32 v4, v4
	s_delay_alu instid0(VALU_DEP_2) | instskip(NEXT) | instid1(VALU_DEP_2)
	v_dual_mov_b32 v3, v2 :: v_dual_bitop2_b32 v5, v5, v2 bitop3:0x14
	v_xor_b32_e32 v4, v4, v2
	s_delay_alu instid0(VALU_DEP_1)
	v_sub_nc_u64_e32 v[2:3], v[4:5], v[2:3]
.LBB78_337:
	s_mov_b32 s22, 0
.LBB78_338:
	s_delay_alu instid0(SALU_CYCLE_1)
	s_and_not1_b32 vcc_lo, exec_lo, s22
	s_cbranch_vccnz .LBB78_340
; %bb.339:
	s_wait_loadcnt 0x0
	global_load_u16 v2, v[0:1], off
	s_wait_loadcnt 0x0
	v_cvt_f32_f16_e32 v2, v2
	s_delay_alu instid0(VALU_DEP_1) | instskip(NEXT) | instid1(VALU_DEP_1)
	v_cvt_i32_f32_e32 v2, v2
	v_ashrrev_i32_e32 v3, 31, v2
.LBB78_340:
	s_mov_b32 s22, 0
.LBB78_341:
	s_delay_alu instid0(SALU_CYCLE_1)
	s_and_not1_b32 vcc_lo, exec_lo, s22
	s_cbranch_vccnz .LBB78_361
; %bb.342:
	s_cmp_lt_i32 s0, 2
	s_cbranch_scc1 .LBB78_346
; %bb.343:
	s_cmp_lt_i32 s0, 3
	s_cbranch_scc1 .LBB78_347
; %bb.344:
	s_cmp_gt_i32 s0, 3
	s_cbranch_scc0 .LBB78_348
; %bb.345:
	s_wait_loadcnt 0x0
	global_load_b64 v[2:3], v[0:1], off
	s_mov_b32 s22, 0
	s_branch .LBB78_349
.LBB78_346:
	s_mov_b32 s22, -1
                                        ; implicit-def: $vgpr2_vgpr3
	s_branch .LBB78_355
.LBB78_347:
	s_mov_b32 s22, -1
                                        ; implicit-def: $vgpr2_vgpr3
	s_branch .LBB78_352
.LBB78_348:
	s_mov_b32 s22, -1
                                        ; implicit-def: $vgpr2_vgpr3
.LBB78_349:
	s_delay_alu instid0(SALU_CYCLE_1)
	s_and_not1_b32 vcc_lo, exec_lo, s22
	s_cbranch_vccnz .LBB78_351
; %bb.350:
	s_wait_loadcnt 0x0
	global_load_b32 v2, v[0:1], off
	s_wait_loadcnt 0x0
	v_ashrrev_i32_e32 v3, 31, v2
.LBB78_351:
	s_mov_b32 s22, 0
.LBB78_352:
	s_delay_alu instid0(SALU_CYCLE_1)
	s_and_not1_b32 vcc_lo, exec_lo, s22
	s_cbranch_vccnz .LBB78_354
; %bb.353:
	s_wait_loadcnt 0x0
	global_load_u16 v2, v[0:1], off
	s_wait_loadcnt 0x0
	v_bfe_i32 v2, v2, 0, 16
	s_delay_alu instid0(VALU_DEP_1)
	v_ashrrev_i32_e32 v3, 31, v2
.LBB78_354:
	s_mov_b32 s22, 0
.LBB78_355:
	s_delay_alu instid0(SALU_CYCLE_1)
	s_and_not1_b32 vcc_lo, exec_lo, s22
	s_cbranch_vccnz .LBB78_361
; %bb.356:
	s_cmp_gt_i32 s0, 0
	s_mov_b32 s0, 0
	s_cbranch_scc0 .LBB78_358
; %bb.357:
	s_wait_loadcnt 0x0
	global_load_i8 v2, v[0:1], off
	s_wait_loadcnt 0x0
	v_bfe_i32 v2, v2, 0, 16
	s_delay_alu instid0(VALU_DEP_1)
	v_ashrrev_i32_e32 v3, 31, v2
	s_branch .LBB78_359
.LBB78_358:
	s_mov_b32 s0, -1
                                        ; implicit-def: $vgpr2_vgpr3
.LBB78_359:
	s_delay_alu instid0(SALU_CYCLE_1)
	s_and_not1_b32 vcc_lo, exec_lo, s0
	s_cbranch_vccnz .LBB78_361
; %bb.360:
	global_load_u8 v0, v[0:1], off
	s_mov_b32 s0, 0
	s_wait_loadcnt 0x1
	v_mov_b32_e32 v3, s0
	s_wait_loadcnt 0x0
	v_and_b32_e32 v2, 0xffff, v0
.LBB78_361:
	s_branch .LBB78_235
.LBB78_362:
	s_mov_b32 s25, 0
	s_mov_b32 s22, s17
	;; [unrolled: 1-line block ×3, first 2 shown]
                                        ; implicit-def: $vgpr6
	s_branch .LBB78_447
.LBB78_363:
	s_mov_b32 s27, -1
	s_mov_b32 s26, 0
	s_mov_b32 s22, s17
.LBB78_364:
	s_and_b32 vcc_lo, exec_lo, s27
	s_cbranch_vccz .LBB78_367
; %bb.365:
	s_cmp_eq_u32 s25, 44
	s_mov_b32 s22, -1
	s_cbranch_scc0 .LBB78_367
; %bb.366:
	s_wait_xcnt 0x0
	v_mov_b32_e32 v2, 0
	s_mov_b32 s26, -1
	s_mov_b32 s22, 0
	global_store_b8 v[0:1], v2, off
.LBB78_367:
	s_mov_b32 s27, 0
.LBB78_368:
	s_delay_alu instid0(SALU_CYCLE_1)
	s_and_b32 vcc_lo, exec_lo, s27
	s_cbranch_vccz .LBB78_371
; %bb.369:
	s_cmp_eq_u32 s25, 29
	s_mov_b32 s22, -1
	s_cbranch_scc0 .LBB78_371
; %bb.370:
	s_wait_xcnt 0x0
	v_mov_b64_e32 v[2:3], 0
	s_mov_b32 s26, -1
	s_mov_b32 s22, 0
	s_mov_b32 s27, 0
	global_store_b64 v[0:1], v[2:3], off
	s_branch .LBB78_372
.LBB78_371:
	s_mov_b32 s27, 0
.LBB78_372:
	s_delay_alu instid0(SALU_CYCLE_1)
	s_and_b32 vcc_lo, exec_lo, s27
	s_cbranch_vccz .LBB78_382
; %bb.373:
	s_cmp_lt_i32 s25, 27
	s_mov_b32 s26, -1
	s_cbranch_scc1 .LBB78_379
; %bb.374:
	s_cmp_gt_i32 s25, 27
	s_cbranch_scc0 .LBB78_376
; %bb.375:
	s_wait_xcnt 0x0
	v_mov_b32_e32 v2, 0
	s_mov_b32 s26, 0
	global_store_b32 v[0:1], v2, off
.LBB78_376:
	s_and_not1_b32 vcc_lo, exec_lo, s26
	s_cbranch_vccnz .LBB78_378
; %bb.377:
	s_wait_xcnt 0x0
	v_mov_b32_e32 v2, 0
	global_store_b16 v[0:1], v2, off
.LBB78_378:
	s_mov_b32 s26, 0
.LBB78_379:
	s_delay_alu instid0(SALU_CYCLE_1)
	s_and_not1_b32 vcc_lo, exec_lo, s26
	s_cbranch_vccnz .LBB78_381
; %bb.380:
	s_wait_xcnt 0x0
	v_mov_b32_e32 v2, 0
	global_store_b8 v[0:1], v2, off
.LBB78_381:
	s_mov_b32 s26, -1
.LBB78_382:
	s_mov_b32 s27, 0
.LBB78_383:
	s_delay_alu instid0(SALU_CYCLE_1)
	s_and_b32 vcc_lo, exec_lo, s27
	s_cbranch_vccz .LBB78_402
; %bb.384:
	s_cmp_gt_i32 s25, 22
	s_mov_b32 s27, -1
	s_cbranch_scc0 .LBB78_394
; %bb.385:
	s_cmp_lt_i32 s25, 24
	s_mov_b32 s26, -1
	s_cbranch_scc1 .LBB78_391
; %bb.386:
	s_cmp_gt_i32 s25, 24
	s_cbranch_scc0 .LBB78_388
; %bb.387:
	s_wait_xcnt 0x0
	v_mov_b32_e32 v2, 0
	s_mov_b32 s26, 0
	global_store_b8 v[0:1], v2, off
.LBB78_388:
	s_and_not1_b32 vcc_lo, exec_lo, s26
	s_cbranch_vccnz .LBB78_390
; %bb.389:
	s_wait_xcnt 0x0
	v_mov_b32_e32 v2, 0
	global_store_b8 v[0:1], v2, off
.LBB78_390:
	s_mov_b32 s26, 0
.LBB78_391:
	s_delay_alu instid0(SALU_CYCLE_1)
	s_and_not1_b32 vcc_lo, exec_lo, s26
	s_cbranch_vccnz .LBB78_393
; %bb.392:
	s_wait_xcnt 0x0
	v_mov_b32_e32 v2, 0
	global_store_b8 v[0:1], v2, off
.LBB78_393:
	s_mov_b32 s27, 0
	s_mov_b32 s26, -1
.LBB78_394:
	s_and_not1_b32 vcc_lo, exec_lo, s27
	s_cbranch_vccnz .LBB78_402
; %bb.395:
	s_cmp_gt_i32 s25, 14
	s_mov_b32 s27, -1
	s_cbranch_scc0 .LBB78_399
; %bb.396:
	s_cmp_eq_u32 s25, 15
	s_mov_b32 s22, -1
	s_cbranch_scc0 .LBB78_398
; %bb.397:
	s_wait_xcnt 0x0
	v_mov_b32_e32 v2, 0
	s_mov_b32 s26, -1
	s_mov_b32 s22, 0
	global_store_b16 v[0:1], v2, off
.LBB78_398:
	s_mov_b32 s27, 0
.LBB78_399:
	s_delay_alu instid0(SALU_CYCLE_1)
	s_and_b32 vcc_lo, exec_lo, s27
	s_cbranch_vccz .LBB78_402
; %bb.400:
	s_cmp_eq_u32 s25, 11
	s_mov_b32 s22, -1
	s_cbranch_scc0 .LBB78_402
; %bb.401:
	s_wait_xcnt 0x0
	v_mov_b32_e32 v2, 0
	s_mov_b32 s26, -1
	s_mov_b32 s22, 0
	global_store_b8 v[0:1], v2, off
.LBB78_402:
	s_mov_b32 s25, 0
.LBB78_403:
	s_delay_alu instid0(SALU_CYCLE_1)
	s_and_b32 vcc_lo, exec_lo, s25
	s_cbranch_vccz .LBB78_442
; %bb.404:
	s_and_b32 s23, 0xffff, s23
	s_mov_b32 s25, -1
	s_cmp_lt_i32 s23, 5
	s_cbranch_scc1 .LBB78_425
; %bb.405:
	s_cmp_lt_i32 s23, 8
	s_cbranch_scc1 .LBB78_415
; %bb.406:
	;; [unrolled: 3-line block ×3, first 2 shown]
	s_cmp_gt_i32 s23, 9
	s_cbranch_scc0 .LBB78_409
; %bb.408:
	s_wait_xcnt 0x0
	v_mov_b32_e32 v2, 0
	s_mov_b32 s25, 0
	s_delay_alu instid0(VALU_DEP_1)
	v_dual_mov_b32 v3, v2 :: v_dual_mov_b32 v4, v2
	v_mov_b32_e32 v5, v2
	global_store_b128 v[0:1], v[2:5], off
.LBB78_409:
	s_and_not1_b32 vcc_lo, exec_lo, s25
	s_cbranch_vccnz .LBB78_411
; %bb.410:
	s_wait_xcnt 0x0
	v_mov_b64_e32 v[2:3], 0
	global_store_b64 v[0:1], v[2:3], off
.LBB78_411:
	s_mov_b32 s25, 0
.LBB78_412:
	s_delay_alu instid0(SALU_CYCLE_1)
	s_and_not1_b32 vcc_lo, exec_lo, s25
	s_cbranch_vccnz .LBB78_414
; %bb.413:
	s_wait_xcnt 0x0
	v_mov_b32_e32 v2, 0
	global_store_b32 v[0:1], v2, off
.LBB78_414:
	s_mov_b32 s25, 0
.LBB78_415:
	s_delay_alu instid0(SALU_CYCLE_1)
	s_and_not1_b32 vcc_lo, exec_lo, s25
	s_cbranch_vccnz .LBB78_424
; %bb.416:
	s_cmp_lt_i32 s23, 6
	s_mov_b32 s25, -1
	s_cbranch_scc1 .LBB78_422
; %bb.417:
	s_cmp_gt_i32 s23, 6
	s_cbranch_scc0 .LBB78_419
; %bb.418:
	s_wait_xcnt 0x0
	v_mov_b64_e32 v[2:3], 0
	s_mov_b32 s25, 0
	global_store_b64 v[0:1], v[2:3], off
.LBB78_419:
	s_and_not1_b32 vcc_lo, exec_lo, s25
	s_cbranch_vccnz .LBB78_421
; %bb.420:
	s_wait_xcnt 0x0
	v_mov_b32_e32 v2, 0
	global_store_b32 v[0:1], v2, off
.LBB78_421:
	s_mov_b32 s25, 0
.LBB78_422:
	s_delay_alu instid0(SALU_CYCLE_1)
	s_and_not1_b32 vcc_lo, exec_lo, s25
	s_cbranch_vccnz .LBB78_424
; %bb.423:
	s_wait_xcnt 0x0
	v_mov_b32_e32 v2, 0
	global_store_b16 v[0:1], v2, off
.LBB78_424:
	s_mov_b32 s25, 0
.LBB78_425:
	s_delay_alu instid0(SALU_CYCLE_1)
	s_and_not1_b32 vcc_lo, exec_lo, s25
	s_cbranch_vccnz .LBB78_441
; %bb.426:
	s_cmp_lt_i32 s23, 2
	s_mov_b32 s25, -1
	s_cbranch_scc1 .LBB78_436
; %bb.427:
	s_cmp_lt_i32 s23, 3
	s_cbranch_scc1 .LBB78_433
; %bb.428:
	s_cmp_gt_i32 s23, 3
	s_cbranch_scc0 .LBB78_430
; %bb.429:
	s_wait_xcnt 0x0
	v_mov_b64_e32 v[2:3], 0
	s_mov_b32 s25, 0
	global_store_b64 v[0:1], v[2:3], off
.LBB78_430:
	s_and_not1_b32 vcc_lo, exec_lo, s25
	s_cbranch_vccnz .LBB78_432
; %bb.431:
	s_wait_xcnt 0x0
	v_mov_b32_e32 v2, 0
	global_store_b32 v[0:1], v2, off
.LBB78_432:
	s_mov_b32 s25, 0
.LBB78_433:
	s_delay_alu instid0(SALU_CYCLE_1)
	s_and_not1_b32 vcc_lo, exec_lo, s25
	s_cbranch_vccnz .LBB78_435
; %bb.434:
	s_wait_xcnt 0x0
	v_mov_b32_e32 v2, 0
	global_store_b16 v[0:1], v2, off
.LBB78_435:
	s_mov_b32 s25, 0
.LBB78_436:
	s_delay_alu instid0(SALU_CYCLE_1)
	s_and_not1_b32 vcc_lo, exec_lo, s25
	s_cbranch_vccnz .LBB78_441
; %bb.437:
	s_cmp_gt_i32 s23, 0
	s_mov_b32 s23, -1
	s_cbranch_scc0 .LBB78_439
; %bb.438:
	s_wait_xcnt 0x0
	v_mov_b32_e32 v2, 0
	s_mov_b32 s23, 0
	global_store_b8 v[0:1], v2, off
.LBB78_439:
	s_and_not1_b32 vcc_lo, exec_lo, s23
	s_cbranch_vccnz .LBB78_441
; %bb.440:
	s_wait_xcnt 0x0
	v_mov_b32_e32 v2, 0
	global_store_b8 v[0:1], v2, off
.LBB78_441:
	s_mov_b32 s26, -1
.LBB78_442:
	s_delay_alu instid0(SALU_CYCLE_1)
	s_and_not1_b32 vcc_lo, exec_lo, s26
	s_cbranch_vccnz .LBB78_444
; %bb.443:
	v_add_nc_u32_e32 v6, 0x80, v6
	s_mov_b32 s25, -1
	s_branch .LBB78_445
.LBB78_444:
	s_mov_b32 s25, 0
                                        ; implicit-def: $vgpr6
.LBB78_445:
	s_and_not1_b32 s23, s17, exec_lo
	s_and_b32 s22, s22, exec_lo
	s_and_b32 s25, s25, exec_lo
	s_or_b32 s22, s23, s22
	s_xor_b32 s23, exec_lo, -1
.LBB78_446:
	s_wait_xcnt 0x0
	s_or_b32 exec_lo, exec_lo, s0
.LBB78_447:
	s_delay_alu instid0(SALU_CYCLE_1)
	s_and_not1_b32 s0, s17, exec_lo
	s_and_b32 s22, s22, exec_lo
	s_and_b32 s23, s23, exec_lo
	s_or_b32 s22, s0, s22
	s_and_not1_b32 s0, s18, exec_lo
	s_and_not1_b32 s26, s19, exec_lo
	s_and_b32 s21, s21, exec_lo
	s_or_b32 s23, s0, s23
	s_or_b32 s21, s26, s21
	s_or_not1_b32 s0, s25, exec_lo
.LBB78_448:
	s_wait_xcnt 0x0
	s_or_b32 exec_lo, exec_lo, s24
	s_mov_b32 s25, 0
	s_mov_b32 s26, 0
	;; [unrolled: 1-line block ×3, first 2 shown]
                                        ; implicit-def: $vgpr0_vgpr1
                                        ; implicit-def: $vgpr2_vgpr3
	s_and_saveexec_b32 s24, s0
	s_cbranch_execz .LBB78_751
; %bb.449:
	s_mov_b32 s31, -1
	s_mov_b32 s0, s21
	s_mov_b32 s26, s23
	s_mov_b32 s27, s22
	s_mov_b32 s25, exec_lo
	v_cmpx_gt_i32_e64 s16, v6
	s_cbranch_execz .LBB78_673
; %bb.450:
	v_mul_lo_u32 v0, v6, s3
	s_and_b32 s0, 0xffff, s13
	s_delay_alu instid0(SALU_CYCLE_1) | instskip(NEXT) | instid1(VALU_DEP_1)
	s_cmp_lt_i32 s0, 11
	v_ashrrev_i32_e32 v1, 31, v0
	s_delay_alu instid0(VALU_DEP_1)
	v_add_nc_u64_e32 v[0:1], s[6:7], v[0:1]
	s_cbranch_scc1 .LBB78_457
; %bb.451:
	s_cmp_gt_i32 s0, 25
	s_cbranch_scc0 .LBB78_458
; %bb.452:
	s_cmp_gt_i32 s0, 28
	s_cbranch_scc0 .LBB78_459
	;; [unrolled: 3-line block ×4, first 2 shown]
; %bb.455:
	s_cmp_eq_u32 s0, 46
	s_mov_b32 s28, 0
	s_cbranch_scc0 .LBB78_462
; %bb.456:
	s_wait_loadcnt 0x0
	global_load_b32 v2, v[0:1], off
	s_mov_b32 s27, -1
	s_mov_b32 s26, 0
	s_wait_loadcnt 0x0
	v_lshlrev_b32_e32 v2, 16, v2
	s_delay_alu instid0(VALU_DEP_1) | instskip(NEXT) | instid1(VALU_DEP_1)
	v_trunc_f32_e32 v2, v2
	v_mul_f32_e64 v3, 0x2f800000, |v2|
	s_delay_alu instid0(VALU_DEP_1) | instskip(NEXT) | instid1(VALU_DEP_1)
	v_floor_f32_e32 v3, v3
	v_fma_f32 v4, 0xcf800000, v3, |v2|
	v_ashrrev_i32_e32 v2, 31, v2
	v_cvt_u32_f32_e32 v5, v3
	s_delay_alu instid0(VALU_DEP_3) | instskip(NEXT) | instid1(VALU_DEP_2)
	v_cvt_u32_f32_e32 v4, v4
	v_dual_mov_b32 v3, v2 :: v_dual_bitop2_b32 v5, v5, v2 bitop3:0x14
	s_delay_alu instid0(VALU_DEP_2) | instskip(NEXT) | instid1(VALU_DEP_1)
	v_xor_b32_e32 v4, v4, v2
	v_sub_nc_u64_e32 v[2:3], v[4:5], v[2:3]
	s_branch .LBB78_464
.LBB78_457:
	s_mov_b32 s28, -1
	s_mov_b32 s27, 0
	s_mov_b32 s26, s21
                                        ; implicit-def: $vgpr2_vgpr3
	s_branch .LBB78_525
.LBB78_458:
	s_mov_b32 s28, -1
	s_mov_b32 s27, 0
	s_mov_b32 s26, s21
                                        ; implicit-def: $vgpr2_vgpr3
	s_branch .LBB78_491
.LBB78_459:
	s_mov_b32 s28, -1
	s_mov_b32 s27, 0
	s_mov_b32 s26, s21
                                        ; implicit-def: $vgpr2_vgpr3
	s_branch .LBB78_474
.LBB78_460:
	s_mov_b32 s28, -1
	s_mov_b32 s27, 0
	s_mov_b32 s26, s21
                                        ; implicit-def: $vgpr2_vgpr3
	s_branch .LBB78_469
.LBB78_461:
	s_mov_b32 s28, -1
	s_mov_b32 s27, 0
	s_mov_b32 s26, s21
	s_branch .LBB78_463
.LBB78_462:
	s_mov_b32 s26, -1
	s_mov_b32 s27, 0
.LBB78_463:
                                        ; implicit-def: $vgpr2_vgpr3
.LBB78_464:
	s_and_b32 vcc_lo, exec_lo, s28
	s_cbranch_vccz .LBB78_468
; %bb.465:
	s_cmp_eq_u32 s0, 44
	s_cbranch_scc0 .LBB78_467
; %bb.466:
	global_load_u8 v7, v[0:1], off
	s_mov_b32 s26, 0
	s_mov_b32 s27, -1
	s_wait_loadcnt 0x0
	v_lshlrev_b32_e32 v2, 23, v7
	v_cmp_ne_u32_e32 vcc_lo, 0, v7
	s_delay_alu instid0(VALU_DEP_2) | instskip(NEXT) | instid1(VALU_DEP_1)
	v_trunc_f32_e32 v2, v2
	v_mul_f32_e64 v3, 0x2f800000, |v2|
	s_delay_alu instid0(VALU_DEP_1) | instskip(NEXT) | instid1(VALU_DEP_1)
	v_floor_f32_e32 v3, v3
	v_fma_f32 v4, 0xcf800000, v3, |v2|
	v_ashrrev_i32_e32 v2, 31, v2
	v_cvt_u32_f32_e32 v5, v3
	s_delay_alu instid0(VALU_DEP_3) | instskip(NEXT) | instid1(VALU_DEP_2)
	v_cvt_u32_f32_e32 v4, v4
	v_dual_mov_b32 v3, v2 :: v_dual_bitop2_b32 v5, v5, v2 bitop3:0x14
	s_delay_alu instid0(VALU_DEP_2) | instskip(NEXT) | instid1(VALU_DEP_1)
	v_xor_b32_e32 v4, v4, v2
	v_sub_nc_u64_e32 v[2:3], v[4:5], v[2:3]
	s_delay_alu instid0(VALU_DEP_1)
	v_dual_cndmask_b32 v3, 0, v3 :: v_dual_cndmask_b32 v2, 0, v2
	s_branch .LBB78_468
.LBB78_467:
	s_mov_b32 s26, -1
                                        ; implicit-def: $vgpr2_vgpr3
.LBB78_468:
	s_mov_b32 s28, 0
.LBB78_469:
	s_delay_alu instid0(SALU_CYCLE_1)
	s_and_b32 vcc_lo, exec_lo, s28
	s_cbranch_vccz .LBB78_473
; %bb.470:
	s_cmp_eq_u32 s0, 29
	s_cbranch_scc0 .LBB78_472
; %bb.471:
	s_wait_loadcnt 0x0
	global_load_b64 v[2:3], v[0:1], off
	s_mov_b32 s27, -1
	s_mov_b32 s26, 0
	s_branch .LBB78_473
.LBB78_472:
	s_mov_b32 s26, -1
                                        ; implicit-def: $vgpr2_vgpr3
.LBB78_473:
	s_mov_b32 s28, 0
.LBB78_474:
	s_delay_alu instid0(SALU_CYCLE_1)
	s_and_b32 vcc_lo, exec_lo, s28
	s_cbranch_vccz .LBB78_490
; %bb.475:
	s_cmp_lt_i32 s0, 27
	s_cbranch_scc1 .LBB78_478
; %bb.476:
	s_cmp_gt_i32 s0, 27
	s_cbranch_scc0 .LBB78_479
; %bb.477:
	s_wait_loadcnt 0x0
	global_load_b32 v2, v[0:1], off
	v_mov_b32_e32 v3, 0
	s_mov_b32 s27, 0
	s_branch .LBB78_480
.LBB78_478:
	s_mov_b32 s27, -1
                                        ; implicit-def: $vgpr2_vgpr3
	s_branch .LBB78_483
.LBB78_479:
	s_mov_b32 s27, -1
                                        ; implicit-def: $vgpr2_vgpr3
.LBB78_480:
	s_delay_alu instid0(SALU_CYCLE_1)
	s_and_not1_b32 vcc_lo, exec_lo, s27
	s_cbranch_vccnz .LBB78_482
; %bb.481:
	s_wait_loadcnt 0x0
	global_load_u16 v2, v[0:1], off
	s_mov_b32 s27, 0
	s_delay_alu instid0(SALU_CYCLE_1)
	v_mov_b32_e32 v3, s27
	s_wait_loadcnt 0x0
	v_and_b32_e32 v2, 0xffff, v2
.LBB78_482:
	s_mov_b32 s27, 0
.LBB78_483:
	s_delay_alu instid0(SALU_CYCLE_1)
	s_and_not1_b32 vcc_lo, exec_lo, s27
	s_cbranch_vccnz .LBB78_489
; %bb.484:
	global_load_u8 v4, v[0:1], off
	s_mov_b32 s28, 0
	s_mov_b32 s27, exec_lo
	s_wait_loadcnt 0x0
	v_cmpx_lt_i16_e32 0x7f, v4
	s_xor_b32 s27, exec_lo, s27
	s_cbranch_execz .LBB78_501
; %bb.485:
	v_cmp_ne_u16_e32 vcc_lo, 0x80, v4
	s_and_b32 s28, vcc_lo, exec_lo
	s_and_not1_saveexec_b32 s27, s27
	s_cbranch_execnz .LBB78_502
.LBB78_486:
	s_or_b32 exec_lo, exec_lo, s27
	v_mov_b64_e32 v[2:3], 0
	s_and_saveexec_b32 s27, s28
	s_cbranch_execz .LBB78_488
.LBB78_487:
	v_and_b32_e32 v2, 0xffff, v4
	s_delay_alu instid0(VALU_DEP_1) | instskip(SKIP_1) | instid1(VALU_DEP_2)
	v_and_b32_e32 v3, 7, v2
	v_bfe_u32 v8, v2, 3, 4
	v_clz_i32_u32_e32 v5, v3
	s_delay_alu instid0(VALU_DEP_2) | instskip(NEXT) | instid1(VALU_DEP_2)
	v_cmp_eq_u32_e32 vcc_lo, 0, v8
	v_min_u32_e32 v5, 32, v5
	s_delay_alu instid0(VALU_DEP_1) | instskip(NEXT) | instid1(VALU_DEP_1)
	v_subrev_nc_u32_e32 v7, 28, v5
	v_dual_lshlrev_b32 v2, v7, v2 :: v_dual_sub_nc_u32 v5, 29, v5
	s_delay_alu instid0(VALU_DEP_1) | instskip(NEXT) | instid1(VALU_DEP_1)
	v_dual_lshlrev_b32 v4, 24, v4 :: v_dual_bitop2_b32 v2, 7, v2 bitop3:0x40
	v_dual_cndmask_b32 v5, v8, v5 :: v_dual_cndmask_b32 v2, v3, v2
	s_delay_alu instid0(VALU_DEP_2) | instskip(NEXT) | instid1(VALU_DEP_2)
	v_and_b32_e32 v3, 0x80000000, v4
	v_lshl_add_u32 v4, v5, 23, 0x3b800000
	s_delay_alu instid0(VALU_DEP_3) | instskip(NEXT) | instid1(VALU_DEP_1)
	v_lshlrev_b32_e32 v2, 20, v2
	v_or3_b32 v2, v3, v4, v2
	s_delay_alu instid0(VALU_DEP_1) | instskip(NEXT) | instid1(VALU_DEP_1)
	v_trunc_f32_e32 v2, v2
	v_mul_f32_e64 v3, 0x2f800000, |v2|
	s_delay_alu instid0(VALU_DEP_1) | instskip(NEXT) | instid1(VALU_DEP_1)
	v_floor_f32_e32 v3, v3
	v_fma_f32 v4, 0xcf800000, v3, |v2|
	v_ashrrev_i32_e32 v2, 31, v2
	v_cvt_u32_f32_e32 v5, v3
	s_delay_alu instid0(VALU_DEP_3) | instskip(NEXT) | instid1(VALU_DEP_2)
	v_cvt_u32_f32_e32 v4, v4
	v_dual_mov_b32 v3, v2 :: v_dual_bitop2_b32 v5, v5, v2 bitop3:0x14
	s_delay_alu instid0(VALU_DEP_2) | instskip(NEXT) | instid1(VALU_DEP_1)
	v_xor_b32_e32 v4, v4, v2
	v_sub_nc_u64_e32 v[2:3], v[4:5], v[2:3]
.LBB78_488:
	s_or_b32 exec_lo, exec_lo, s27
.LBB78_489:
	s_mov_b32 s27, -1
.LBB78_490:
	s_mov_b32 s28, 0
.LBB78_491:
	s_delay_alu instid0(SALU_CYCLE_1)
	s_and_b32 vcc_lo, exec_lo, s28
	s_cbranch_vccz .LBB78_524
; %bb.492:
	s_cmp_gt_i32 s0, 22
	s_cbranch_scc0 .LBB78_500
; %bb.493:
	s_cmp_lt_i32 s0, 24
	s_cbranch_scc1 .LBB78_503
; %bb.494:
	s_cmp_gt_i32 s0, 24
	s_cbranch_scc0 .LBB78_504
; %bb.495:
	global_load_u8 v4, v[0:1], off
	s_mov_b32 s28, 0
	s_mov_b32 s27, exec_lo
	s_wait_loadcnt 0x0
	v_cmpx_lt_i16_e32 0x7f, v4
	s_xor_b32 s27, exec_lo, s27
	s_cbranch_execz .LBB78_516
; %bb.496:
	v_cmp_ne_u16_e32 vcc_lo, 0x80, v4
	s_and_b32 s28, vcc_lo, exec_lo
	s_and_not1_saveexec_b32 s27, s27
	s_cbranch_execnz .LBB78_517
.LBB78_497:
	s_or_b32 exec_lo, exec_lo, s27
	v_mov_b64_e32 v[2:3], 0
	s_and_saveexec_b32 s27, s28
	s_cbranch_execz .LBB78_499
.LBB78_498:
	v_and_b32_e32 v2, 0xffff, v4
	s_delay_alu instid0(VALU_DEP_1) | instskip(SKIP_1) | instid1(VALU_DEP_2)
	v_and_b32_e32 v3, 3, v2
	v_bfe_u32 v8, v2, 2, 5
	v_clz_i32_u32_e32 v5, v3
	s_delay_alu instid0(VALU_DEP_2) | instskip(NEXT) | instid1(VALU_DEP_2)
	v_cmp_eq_u32_e32 vcc_lo, 0, v8
	v_min_u32_e32 v5, 32, v5
	s_delay_alu instid0(VALU_DEP_1) | instskip(NEXT) | instid1(VALU_DEP_1)
	v_subrev_nc_u32_e32 v7, 29, v5
	v_dual_lshlrev_b32 v2, v7, v2 :: v_dual_sub_nc_u32 v5, 30, v5
	s_delay_alu instid0(VALU_DEP_1) | instskip(NEXT) | instid1(VALU_DEP_1)
	v_dual_lshlrev_b32 v4, 24, v4 :: v_dual_bitop2_b32 v2, 3, v2 bitop3:0x40
	v_dual_cndmask_b32 v5, v8, v5 :: v_dual_cndmask_b32 v2, v3, v2
	s_delay_alu instid0(VALU_DEP_2) | instskip(NEXT) | instid1(VALU_DEP_2)
	v_and_b32_e32 v3, 0x80000000, v4
	v_lshl_add_u32 v4, v5, 23, 0x37800000
	s_delay_alu instid0(VALU_DEP_3) | instskip(NEXT) | instid1(VALU_DEP_1)
	v_lshlrev_b32_e32 v2, 21, v2
	v_or3_b32 v2, v3, v4, v2
	s_delay_alu instid0(VALU_DEP_1) | instskip(NEXT) | instid1(VALU_DEP_1)
	v_trunc_f32_e32 v2, v2
	v_mul_f32_e64 v3, 0x2f800000, |v2|
	s_delay_alu instid0(VALU_DEP_1) | instskip(NEXT) | instid1(VALU_DEP_1)
	v_floor_f32_e32 v3, v3
	v_fma_f32 v4, 0xcf800000, v3, |v2|
	v_ashrrev_i32_e32 v2, 31, v2
	v_cvt_u32_f32_e32 v5, v3
	s_delay_alu instid0(VALU_DEP_3) | instskip(NEXT) | instid1(VALU_DEP_2)
	v_cvt_u32_f32_e32 v4, v4
	v_dual_mov_b32 v3, v2 :: v_dual_bitop2_b32 v5, v5, v2 bitop3:0x14
	s_delay_alu instid0(VALU_DEP_2) | instskip(NEXT) | instid1(VALU_DEP_1)
	v_xor_b32_e32 v4, v4, v2
	v_sub_nc_u64_e32 v[2:3], v[4:5], v[2:3]
.LBB78_499:
	s_or_b32 exec_lo, exec_lo, s27
	s_mov_b32 s27, 0
	s_branch .LBB78_505
.LBB78_500:
	s_mov_b32 s28, -1
                                        ; implicit-def: $vgpr2_vgpr3
	s_branch .LBB78_511
.LBB78_501:
	s_and_not1_saveexec_b32 s27, s27
	s_cbranch_execz .LBB78_486
.LBB78_502:
	v_cmp_ne_u16_e32 vcc_lo, 0, v4
	s_and_not1_b32 s28, s28, exec_lo
	s_and_b32 s29, vcc_lo, exec_lo
	s_delay_alu instid0(SALU_CYCLE_1)
	s_or_b32 s28, s28, s29
	s_or_b32 exec_lo, exec_lo, s27
	v_mov_b64_e32 v[2:3], 0
	s_and_saveexec_b32 s27, s28
	s_cbranch_execnz .LBB78_487
	s_branch .LBB78_488
.LBB78_503:
	s_mov_b32 s27, -1
                                        ; implicit-def: $vgpr2_vgpr3
	s_branch .LBB78_508
.LBB78_504:
	s_mov_b32 s27, -1
                                        ; implicit-def: $vgpr2_vgpr3
.LBB78_505:
	s_delay_alu instid0(SALU_CYCLE_1)
	s_and_b32 vcc_lo, exec_lo, s27
	s_cbranch_vccz .LBB78_507
; %bb.506:
	s_wait_loadcnt 0x0
	global_load_u8 v2, v[0:1], off
	s_wait_loadcnt 0x0
	v_lshlrev_b32_e32 v2, 24, v2
	s_delay_alu instid0(VALU_DEP_1) | instskip(NEXT) | instid1(VALU_DEP_1)
	v_and_b32_e32 v3, 0x7f000000, v2
	v_clz_i32_u32_e32 v4, v3
	v_add_nc_u32_e32 v7, 0x1000000, v3
	v_cmp_ne_u32_e32 vcc_lo, 0, v3
	s_delay_alu instid0(VALU_DEP_3) | instskip(NEXT) | instid1(VALU_DEP_1)
	v_min_u32_e32 v4, 32, v4
	v_sub_nc_u32_e64 v4, v4, 4 clamp
	s_delay_alu instid0(VALU_DEP_1) | instskip(NEXT) | instid1(VALU_DEP_1)
	v_dual_lshlrev_b32 v5, v4, v3 :: v_dual_lshlrev_b32 v4, 23, v4
	v_lshrrev_b32_e32 v5, 4, v5
	s_delay_alu instid0(VALU_DEP_1) | instskip(NEXT) | instid1(VALU_DEP_1)
	v_dual_sub_nc_u32 v4, v5, v4 :: v_dual_ashrrev_i32 v5, 8, v7
	v_add_nc_u32_e32 v4, 0x3c000000, v4
	s_delay_alu instid0(VALU_DEP_1) | instskip(NEXT) | instid1(VALU_DEP_1)
	v_and_or_b32 v4, 0x7f800000, v5, v4
	v_cndmask_b32_e32 v3, 0, v4, vcc_lo
	s_delay_alu instid0(VALU_DEP_1) | instskip(NEXT) | instid1(VALU_DEP_1)
	v_and_or_b32 v2, 0x80000000, v2, v3
	v_trunc_f32_e32 v2, v2
	s_delay_alu instid0(VALU_DEP_1) | instskip(NEXT) | instid1(VALU_DEP_1)
	v_mul_f32_e64 v3, 0x2f800000, |v2|
	v_floor_f32_e32 v3, v3
	s_delay_alu instid0(VALU_DEP_1) | instskip(SKIP_2) | instid1(VALU_DEP_3)
	v_fma_f32 v4, 0xcf800000, v3, |v2|
	v_ashrrev_i32_e32 v2, 31, v2
	v_cvt_u32_f32_e32 v5, v3
	v_cvt_u32_f32_e32 v4, v4
	s_delay_alu instid0(VALU_DEP_2) | instskip(NEXT) | instid1(VALU_DEP_2)
	v_dual_mov_b32 v3, v2 :: v_dual_bitop2_b32 v5, v5, v2 bitop3:0x14
	v_xor_b32_e32 v4, v4, v2
	s_delay_alu instid0(VALU_DEP_1)
	v_sub_nc_u64_e32 v[2:3], v[4:5], v[2:3]
.LBB78_507:
	s_mov_b32 s27, 0
.LBB78_508:
	s_delay_alu instid0(SALU_CYCLE_1)
	s_and_not1_b32 vcc_lo, exec_lo, s27
	s_cbranch_vccnz .LBB78_510
; %bb.509:
	s_wait_loadcnt 0x0
	global_load_u8 v2, v[0:1], off
	s_wait_loadcnt 0x0
	v_lshlrev_b32_e32 v3, 25, v2
	v_lshlrev_b16 v2, 8, v2
	s_delay_alu instid0(VALU_DEP_1) | instskip(SKIP_1) | instid1(VALU_DEP_2)
	v_and_or_b32 v5, 0x7f00, v2, 0.5
	v_bfe_i32 v2, v2, 0, 16
	v_dual_add_f32 v5, -0.5, v5 :: v_dual_lshrrev_b32 v4, 4, v3
	v_cmp_gt_u32_e32 vcc_lo, 0x8000000, v3
	s_delay_alu instid0(VALU_DEP_2) | instskip(NEXT) | instid1(VALU_DEP_1)
	v_or_b32_e32 v4, 0x70000000, v4
	v_mul_f32_e32 v4, 0x7800000, v4
	s_delay_alu instid0(VALU_DEP_1) | instskip(NEXT) | instid1(VALU_DEP_1)
	v_cndmask_b32_e32 v3, v4, v5, vcc_lo
	v_and_or_b32 v2, 0x80000000, v2, v3
	s_delay_alu instid0(VALU_DEP_1) | instskip(NEXT) | instid1(VALU_DEP_1)
	v_trunc_f32_e32 v2, v2
	v_mul_f32_e64 v3, 0x2f800000, |v2|
	s_delay_alu instid0(VALU_DEP_1) | instskip(NEXT) | instid1(VALU_DEP_1)
	v_floor_f32_e32 v3, v3
	v_fma_f32 v4, 0xcf800000, v3, |v2|
	v_ashrrev_i32_e32 v2, 31, v2
	v_cvt_u32_f32_e32 v5, v3
	s_delay_alu instid0(VALU_DEP_3) | instskip(NEXT) | instid1(VALU_DEP_2)
	v_cvt_u32_f32_e32 v4, v4
	v_dual_mov_b32 v3, v2 :: v_dual_bitop2_b32 v5, v5, v2 bitop3:0x14
	s_delay_alu instid0(VALU_DEP_2) | instskip(NEXT) | instid1(VALU_DEP_1)
	v_xor_b32_e32 v4, v4, v2
	v_sub_nc_u64_e32 v[2:3], v[4:5], v[2:3]
.LBB78_510:
	s_mov_b32 s28, 0
	s_mov_b32 s27, -1
.LBB78_511:
	s_and_not1_b32 vcc_lo, exec_lo, s28
	s_cbranch_vccnz .LBB78_524
; %bb.512:
	s_cmp_gt_i32 s0, 14
	s_cbranch_scc0 .LBB78_515
; %bb.513:
	s_cmp_eq_u32 s0, 15
	s_cbranch_scc0 .LBB78_518
; %bb.514:
	s_wait_loadcnt 0x0
	global_load_u16 v2, v[0:1], off
	s_mov_b32 s27, -1
	s_mov_b32 s26, 0
	s_wait_loadcnt 0x0
	v_lshlrev_b32_e32 v2, 16, v2
	s_delay_alu instid0(VALU_DEP_1) | instskip(NEXT) | instid1(VALU_DEP_1)
	v_trunc_f32_e32 v2, v2
	v_mul_f32_e64 v3, 0x2f800000, |v2|
	s_delay_alu instid0(VALU_DEP_1) | instskip(NEXT) | instid1(VALU_DEP_1)
	v_floor_f32_e32 v3, v3
	v_fma_f32 v4, 0xcf800000, v3, |v2|
	v_ashrrev_i32_e32 v2, 31, v2
	v_cvt_u32_f32_e32 v5, v3
	s_delay_alu instid0(VALU_DEP_3) | instskip(NEXT) | instid1(VALU_DEP_2)
	v_cvt_u32_f32_e32 v4, v4
	v_dual_mov_b32 v3, v2 :: v_dual_bitop2_b32 v5, v5, v2 bitop3:0x14
	s_delay_alu instid0(VALU_DEP_2) | instskip(NEXT) | instid1(VALU_DEP_1)
	v_xor_b32_e32 v4, v4, v2
	v_sub_nc_u64_e32 v[2:3], v[4:5], v[2:3]
	s_branch .LBB78_519
.LBB78_515:
	s_mov_b32 s28, -1
                                        ; implicit-def: $vgpr2_vgpr3
	s_branch .LBB78_520
.LBB78_516:
	s_and_not1_saveexec_b32 s27, s27
	s_cbranch_execz .LBB78_497
.LBB78_517:
	v_cmp_ne_u16_e32 vcc_lo, 0, v4
	s_and_not1_b32 s28, s28, exec_lo
	s_and_b32 s29, vcc_lo, exec_lo
	s_delay_alu instid0(SALU_CYCLE_1)
	s_or_b32 s28, s28, s29
	s_or_b32 exec_lo, exec_lo, s27
	v_mov_b64_e32 v[2:3], 0
	s_and_saveexec_b32 s27, s28
	s_cbranch_execnz .LBB78_498
	s_branch .LBB78_499
.LBB78_518:
	s_mov_b32 s26, -1
                                        ; implicit-def: $vgpr2_vgpr3
.LBB78_519:
	s_mov_b32 s28, 0
.LBB78_520:
	s_delay_alu instid0(SALU_CYCLE_1)
	s_and_b32 vcc_lo, exec_lo, s28
	s_cbranch_vccz .LBB78_524
; %bb.521:
	s_cmp_eq_u32 s0, 11
	s_cbranch_scc0 .LBB78_523
; %bb.522:
	s_wait_loadcnt 0x0
	global_load_u8 v2, v[0:1], off
	s_mov_b32 s26, 0
	s_mov_b32 s27, -1
	v_mov_b32_e32 v3, s26
	s_wait_loadcnt 0x0
	v_cmp_ne_u16_e32 vcc_lo, 0, v2
	v_cndmask_b32_e64 v2, 0, 1, vcc_lo
	s_branch .LBB78_524
.LBB78_523:
	s_mov_b32 s26, -1
                                        ; implicit-def: $vgpr2_vgpr3
.LBB78_524:
	s_mov_b32 s28, 0
.LBB78_525:
	s_delay_alu instid0(SALU_CYCLE_1)
	s_and_b32 vcc_lo, exec_lo, s28
	s_cbranch_vccz .LBB78_574
; %bb.526:
	s_cmp_lt_i32 s0, 5
	s_cbranch_scc1 .LBB78_531
; %bb.527:
	s_cmp_lt_i32 s0, 8
	s_cbranch_scc1 .LBB78_532
	;; [unrolled: 3-line block ×3, first 2 shown]
; %bb.529:
	s_cmp_gt_i32 s0, 9
	s_cbranch_scc0 .LBB78_534
; %bb.530:
	s_wait_loadcnt 0x0
	global_load_b64 v[2:3], v[0:1], off
	s_mov_b32 s27, 0
	s_wait_loadcnt 0x0
	v_trunc_f64_e32 v[2:3], v[2:3]
	s_delay_alu instid0(VALU_DEP_1) | instskip(NEXT) | instid1(VALU_DEP_1)
	v_ldexp_f64 v[4:5], v[2:3], 0xffffffe0
	v_floor_f64_e32 v[4:5], v[4:5]
	s_delay_alu instid0(VALU_DEP_1) | instskip(SKIP_1) | instid1(VALU_DEP_2)
	v_fmamk_f64 v[8:9], v[4:5], 0xc1f00000, v[2:3]
	v_cvt_i32_f64_e32 v3, v[4:5]
	v_cvt_u32_f64_e32 v2, v[8:9]
	s_branch .LBB78_535
.LBB78_531:
	s_mov_b32 s27, -1
                                        ; implicit-def: $vgpr2_vgpr3
	s_branch .LBB78_553
.LBB78_532:
	s_mov_b32 s27, -1
                                        ; implicit-def: $vgpr2_vgpr3
	s_branch .LBB78_541
.LBB78_533:
	s_mov_b32 s27, -1
                                        ; implicit-def: $vgpr2_vgpr3
	s_branch .LBB78_538
.LBB78_534:
	s_mov_b32 s27, -1
                                        ; implicit-def: $vgpr2_vgpr3
.LBB78_535:
	s_delay_alu instid0(SALU_CYCLE_1)
	s_and_not1_b32 vcc_lo, exec_lo, s27
	s_cbranch_vccnz .LBB78_537
; %bb.536:
	s_wait_loadcnt 0x0
	global_load_b32 v2, v[0:1], off
	s_wait_loadcnt 0x0
	v_trunc_f32_e32 v2, v2
	s_delay_alu instid0(VALU_DEP_1) | instskip(NEXT) | instid1(VALU_DEP_1)
	v_mul_f32_e64 v3, 0x2f800000, |v2|
	v_floor_f32_e32 v3, v3
	s_delay_alu instid0(VALU_DEP_1) | instskip(SKIP_2) | instid1(VALU_DEP_3)
	v_fma_f32 v4, 0xcf800000, v3, |v2|
	v_ashrrev_i32_e32 v2, 31, v2
	v_cvt_u32_f32_e32 v5, v3
	v_cvt_u32_f32_e32 v4, v4
	s_delay_alu instid0(VALU_DEP_2) | instskip(NEXT) | instid1(VALU_DEP_2)
	v_dual_mov_b32 v3, v2 :: v_dual_bitop2_b32 v5, v5, v2 bitop3:0x14
	v_xor_b32_e32 v4, v4, v2
	s_delay_alu instid0(VALU_DEP_1)
	v_sub_nc_u64_e32 v[2:3], v[4:5], v[2:3]
.LBB78_537:
	s_mov_b32 s27, 0
.LBB78_538:
	s_delay_alu instid0(SALU_CYCLE_1)
	s_and_not1_b32 vcc_lo, exec_lo, s27
	s_cbranch_vccnz .LBB78_540
; %bb.539:
	s_wait_loadcnt 0x0
	global_load_b32 v2, v[0:1], off
	s_wait_loadcnt 0x0
	v_cvt_f32_f16_e32 v2, v2
	s_delay_alu instid0(VALU_DEP_1) | instskip(NEXT) | instid1(VALU_DEP_1)
	v_cvt_i32_f32_e32 v2, v2
	v_ashrrev_i32_e32 v3, 31, v2
.LBB78_540:
	s_mov_b32 s27, 0
.LBB78_541:
	s_delay_alu instid0(SALU_CYCLE_1)
	s_and_not1_b32 vcc_lo, exec_lo, s27
	s_cbranch_vccnz .LBB78_552
; %bb.542:
	s_cmp_lt_i32 s0, 6
	s_cbranch_scc1 .LBB78_545
; %bb.543:
	s_cmp_gt_i32 s0, 6
	s_cbranch_scc0 .LBB78_546
; %bb.544:
	s_wait_loadcnt 0x0
	global_load_b64 v[2:3], v[0:1], off
	s_mov_b32 s27, 0
	s_wait_loadcnt 0x0
	v_trunc_f64_e32 v[2:3], v[2:3]
	s_delay_alu instid0(VALU_DEP_1) | instskip(NEXT) | instid1(VALU_DEP_1)
	v_ldexp_f64 v[4:5], v[2:3], 0xffffffe0
	v_floor_f64_e32 v[4:5], v[4:5]
	s_delay_alu instid0(VALU_DEP_1) | instskip(SKIP_1) | instid1(VALU_DEP_2)
	v_fmamk_f64 v[8:9], v[4:5], 0xc1f00000, v[2:3]
	v_cvt_i32_f64_e32 v3, v[4:5]
	v_cvt_u32_f64_e32 v2, v[8:9]
	s_branch .LBB78_547
.LBB78_545:
	s_mov_b32 s27, -1
                                        ; implicit-def: $vgpr2_vgpr3
	s_branch .LBB78_550
.LBB78_546:
	s_mov_b32 s27, -1
                                        ; implicit-def: $vgpr2_vgpr3
.LBB78_547:
	s_delay_alu instid0(SALU_CYCLE_1)
	s_and_not1_b32 vcc_lo, exec_lo, s27
	s_cbranch_vccnz .LBB78_549
; %bb.548:
	s_wait_loadcnt 0x0
	global_load_b32 v2, v[0:1], off
	s_wait_loadcnt 0x0
	v_trunc_f32_e32 v2, v2
	s_delay_alu instid0(VALU_DEP_1) | instskip(NEXT) | instid1(VALU_DEP_1)
	v_mul_f32_e64 v3, 0x2f800000, |v2|
	v_floor_f32_e32 v3, v3
	s_delay_alu instid0(VALU_DEP_1) | instskip(SKIP_2) | instid1(VALU_DEP_3)
	v_fma_f32 v4, 0xcf800000, v3, |v2|
	v_ashrrev_i32_e32 v2, 31, v2
	v_cvt_u32_f32_e32 v5, v3
	v_cvt_u32_f32_e32 v4, v4
	s_delay_alu instid0(VALU_DEP_2) | instskip(NEXT) | instid1(VALU_DEP_2)
	v_dual_mov_b32 v3, v2 :: v_dual_bitop2_b32 v5, v5, v2 bitop3:0x14
	v_xor_b32_e32 v4, v4, v2
	s_delay_alu instid0(VALU_DEP_1)
	v_sub_nc_u64_e32 v[2:3], v[4:5], v[2:3]
.LBB78_549:
	s_mov_b32 s27, 0
.LBB78_550:
	s_delay_alu instid0(SALU_CYCLE_1)
	s_and_not1_b32 vcc_lo, exec_lo, s27
	s_cbranch_vccnz .LBB78_552
; %bb.551:
	s_wait_loadcnt 0x0
	global_load_u16 v2, v[0:1], off
	s_wait_loadcnt 0x0
	v_cvt_f32_f16_e32 v2, v2
	s_delay_alu instid0(VALU_DEP_1) | instskip(NEXT) | instid1(VALU_DEP_1)
	v_cvt_i32_f32_e32 v2, v2
	v_ashrrev_i32_e32 v3, 31, v2
.LBB78_552:
	s_mov_b32 s27, 0
.LBB78_553:
	s_delay_alu instid0(SALU_CYCLE_1)
	s_and_not1_b32 vcc_lo, exec_lo, s27
	s_cbranch_vccnz .LBB78_573
; %bb.554:
	s_cmp_lt_i32 s0, 2
	s_cbranch_scc1 .LBB78_558
; %bb.555:
	s_cmp_lt_i32 s0, 3
	s_cbranch_scc1 .LBB78_559
; %bb.556:
	s_cmp_gt_i32 s0, 3
	s_cbranch_scc0 .LBB78_560
; %bb.557:
	s_wait_loadcnt 0x0
	global_load_b64 v[2:3], v[0:1], off
	s_mov_b32 s27, 0
	s_branch .LBB78_561
.LBB78_558:
	s_mov_b32 s27, -1
                                        ; implicit-def: $vgpr2_vgpr3
	s_branch .LBB78_567
.LBB78_559:
	s_mov_b32 s27, -1
                                        ; implicit-def: $vgpr2_vgpr3
	s_branch .LBB78_564
.LBB78_560:
	s_mov_b32 s27, -1
                                        ; implicit-def: $vgpr2_vgpr3
.LBB78_561:
	s_delay_alu instid0(SALU_CYCLE_1)
	s_and_not1_b32 vcc_lo, exec_lo, s27
	s_cbranch_vccnz .LBB78_563
; %bb.562:
	s_wait_loadcnt 0x0
	global_load_b32 v2, v[0:1], off
	s_wait_loadcnt 0x0
	v_ashrrev_i32_e32 v3, 31, v2
.LBB78_563:
	s_mov_b32 s27, 0
.LBB78_564:
	s_delay_alu instid0(SALU_CYCLE_1)
	s_and_not1_b32 vcc_lo, exec_lo, s27
	s_cbranch_vccnz .LBB78_566
; %bb.565:
	s_wait_loadcnt 0x0
	global_load_u16 v2, v[0:1], off
	s_wait_loadcnt 0x0
	v_bfe_i32 v2, v2, 0, 16
	s_delay_alu instid0(VALU_DEP_1)
	v_ashrrev_i32_e32 v3, 31, v2
.LBB78_566:
	s_mov_b32 s27, 0
.LBB78_567:
	s_delay_alu instid0(SALU_CYCLE_1)
	s_and_not1_b32 vcc_lo, exec_lo, s27
	s_cbranch_vccnz .LBB78_573
; %bb.568:
	s_cmp_gt_i32 s0, 0
	s_mov_b32 s0, 0
	s_cbranch_scc0 .LBB78_570
; %bb.569:
	s_wait_loadcnt 0x0
	global_load_i8 v2, v[0:1], off
	s_wait_loadcnt 0x0
	v_bfe_i32 v2, v2, 0, 16
	s_delay_alu instid0(VALU_DEP_1)
	v_ashrrev_i32_e32 v3, 31, v2
	s_branch .LBB78_571
.LBB78_570:
	s_mov_b32 s0, -1
                                        ; implicit-def: $vgpr2_vgpr3
.LBB78_571:
	s_delay_alu instid0(SALU_CYCLE_1)
	s_and_not1_b32 vcc_lo, exec_lo, s0
	s_cbranch_vccnz .LBB78_573
; %bb.572:
	global_load_u8 v0, v[0:1], off
	s_mov_b32 s0, 0
	s_wait_loadcnt 0x1
	v_mov_b32_e32 v3, s0
	s_wait_loadcnt 0x0
	v_and_b32_e32 v2, 0xffff, v0
.LBB78_573:
	s_mov_b32 s27, -1
.LBB78_574:
	s_delay_alu instid0(SALU_CYCLE_1)
	s_and_not1_b32 vcc_lo, exec_lo, s27
	s_cbranch_vccnz .LBB78_583
; %bb.575:
	s_wait_loadcnt 0x0
	s_delay_alu instid0(VALU_DEP_1)
	v_cmp_le_i64_e32 vcc_lo, s[8:9], v[2:3]
	v_cmp_gt_i64_e64 s0, s[10:11], v[2:3]
	s_mov_b32 s28, 0
	s_mov_b32 s29, -1
	s_mov_b32 s27, s22
	s_and_b32 s0, vcc_lo, s0
	s_delay_alu instid0(SALU_CYCLE_1)
	s_and_b32 s30, s15, s0
	s_wait_xcnt 0x0
	s_and_saveexec_b32 s0, s30
	s_cbranch_execz .LBB78_671
; %bb.576:
	v_mul_lo_u32 v0, v6, s2
	s_and_b32 s28, s12, 0xff
	s_delay_alu instid0(SALU_CYCLE_1) | instskip(NEXT) | instid1(VALU_DEP_1)
	s_cmp_lt_i32 s28, 11
	v_ashrrev_i32_e32 v1, 31, v0
	s_delay_alu instid0(VALU_DEP_1)
	v_add_nc_u64_e32 v[0:1], s[4:5], v[0:1]
	s_cbranch_scc1 .LBB78_584
; %bb.577:
	s_and_b32 s29, 0xffff, s28
	s_delay_alu instid0(SALU_CYCLE_1)
	s_cmp_gt_i32 s29, 25
	s_cbranch_scc0 .LBB78_585
; %bb.578:
	s_cmp_gt_i32 s29, 28
	s_cbranch_scc0 .LBB78_586
; %bb.579:
	;; [unrolled: 3-line block ×4, first 2 shown]
	s_mov_b32 s31, 0
	s_mov_b32 s27, -1
	s_cmp_eq_u32 s29, 46
	s_mov_b32 s30, 0
	s_cbranch_scc0 .LBB78_589
; %bb.582:
	v_mov_b32_e32 v2, 0
	s_mov_b32 s30, -1
	s_mov_b32 s27, 0
	global_store_b32 v[0:1], v2, off
	s_branch .LBB78_589
.LBB78_583:
	s_mov_b32 s28, 0
	s_mov_b32 s27, s22
	;; [unrolled: 1-line block ×3, first 2 shown]
                                        ; implicit-def: $vgpr6
	s_branch .LBB78_672
.LBB78_584:
	s_mov_b32 s30, 0
	s_mov_b32 s27, s22
	s_branch .LBB78_628
.LBB78_585:
	s_mov_b32 s30, 0
	s_mov_b32 s27, s22
	s_branch .LBB78_608
.LBB78_586:
	s_mov_b32 s30, 0
	s_mov_b32 s27, s22
	s_branch .LBB78_597
.LBB78_587:
	s_mov_b32 s30, 0
	s_mov_b32 s27, s22
	s_branch .LBB78_593
.LBB78_588:
	s_mov_b32 s30, 0
	s_mov_b32 s27, s22
.LBB78_589:
	s_and_b32 vcc_lo, exec_lo, s31
	s_cbranch_vccz .LBB78_592
; %bb.590:
	s_cmp_eq_u32 s29, 44
	s_mov_b32 s27, -1
	s_cbranch_scc0 .LBB78_592
; %bb.591:
	s_wait_xcnt 0x0
	v_mov_b32_e32 v2, 0
	s_mov_b32 s30, -1
	s_mov_b32 s27, 0
	global_store_b8 v[0:1], v2, off
.LBB78_592:
	s_mov_b32 s31, 0
.LBB78_593:
	s_delay_alu instid0(SALU_CYCLE_1)
	s_and_b32 vcc_lo, exec_lo, s31
	s_cbranch_vccz .LBB78_596
; %bb.594:
	s_cmp_eq_u32 s29, 29
	s_mov_b32 s27, -1
	s_cbranch_scc0 .LBB78_596
; %bb.595:
	s_wait_xcnt 0x0
	v_mov_b64_e32 v[2:3], 0
	s_mov_b32 s30, -1
	s_mov_b32 s27, 0
	s_mov_b32 s31, 0
	global_store_b64 v[0:1], v[2:3], off
	s_branch .LBB78_597
.LBB78_596:
	s_mov_b32 s31, 0
.LBB78_597:
	s_delay_alu instid0(SALU_CYCLE_1)
	s_and_b32 vcc_lo, exec_lo, s31
	s_cbranch_vccz .LBB78_607
; %bb.598:
	s_cmp_lt_i32 s29, 27
	s_mov_b32 s30, -1
	s_cbranch_scc1 .LBB78_604
; %bb.599:
	s_cmp_gt_i32 s29, 27
	s_cbranch_scc0 .LBB78_601
; %bb.600:
	s_wait_xcnt 0x0
	v_mov_b32_e32 v2, 0
	s_mov_b32 s30, 0
	global_store_b32 v[0:1], v2, off
.LBB78_601:
	s_and_not1_b32 vcc_lo, exec_lo, s30
	s_cbranch_vccnz .LBB78_603
; %bb.602:
	s_wait_xcnt 0x0
	v_mov_b32_e32 v2, 0
	global_store_b16 v[0:1], v2, off
.LBB78_603:
	s_mov_b32 s30, 0
.LBB78_604:
	s_delay_alu instid0(SALU_CYCLE_1)
	s_and_not1_b32 vcc_lo, exec_lo, s30
	s_cbranch_vccnz .LBB78_606
; %bb.605:
	s_wait_xcnt 0x0
	v_mov_b32_e32 v2, 0
	global_store_b8 v[0:1], v2, off
.LBB78_606:
	s_mov_b32 s30, -1
.LBB78_607:
	s_mov_b32 s31, 0
.LBB78_608:
	s_delay_alu instid0(SALU_CYCLE_1)
	s_and_b32 vcc_lo, exec_lo, s31
	s_cbranch_vccz .LBB78_627
; %bb.609:
	s_cmp_gt_i32 s29, 22
	s_mov_b32 s31, -1
	s_cbranch_scc0 .LBB78_619
; %bb.610:
	s_cmp_lt_i32 s29, 24
	s_mov_b32 s30, -1
	s_cbranch_scc1 .LBB78_616
; %bb.611:
	s_cmp_gt_i32 s29, 24
	s_cbranch_scc0 .LBB78_613
; %bb.612:
	s_wait_xcnt 0x0
	v_mov_b32_e32 v2, 0
	s_mov_b32 s30, 0
	global_store_b8 v[0:1], v2, off
.LBB78_613:
	s_and_not1_b32 vcc_lo, exec_lo, s30
	s_cbranch_vccnz .LBB78_615
; %bb.614:
	s_wait_xcnt 0x0
	v_mov_b32_e32 v2, 0
	global_store_b8 v[0:1], v2, off
.LBB78_615:
	s_mov_b32 s30, 0
.LBB78_616:
	s_delay_alu instid0(SALU_CYCLE_1)
	s_and_not1_b32 vcc_lo, exec_lo, s30
	s_cbranch_vccnz .LBB78_618
; %bb.617:
	s_wait_xcnt 0x0
	v_mov_b32_e32 v2, 0
	global_store_b8 v[0:1], v2, off
.LBB78_618:
	s_mov_b32 s31, 0
	s_mov_b32 s30, -1
.LBB78_619:
	s_and_not1_b32 vcc_lo, exec_lo, s31
	s_cbranch_vccnz .LBB78_627
; %bb.620:
	s_cmp_gt_i32 s29, 14
	s_mov_b32 s31, -1
	s_cbranch_scc0 .LBB78_624
; %bb.621:
	s_cmp_eq_u32 s29, 15
	s_mov_b32 s27, -1
	s_cbranch_scc0 .LBB78_623
; %bb.622:
	s_wait_xcnt 0x0
	v_mov_b32_e32 v2, 0
	s_mov_b32 s30, -1
	s_mov_b32 s27, 0
	global_store_b16 v[0:1], v2, off
.LBB78_623:
	s_mov_b32 s31, 0
.LBB78_624:
	s_delay_alu instid0(SALU_CYCLE_1)
	s_and_b32 vcc_lo, exec_lo, s31
	s_cbranch_vccz .LBB78_627
; %bb.625:
	s_cmp_eq_u32 s29, 11
	s_mov_b32 s27, -1
	s_cbranch_scc0 .LBB78_627
; %bb.626:
	s_wait_xcnt 0x0
	v_mov_b32_e32 v2, 0
	s_mov_b32 s30, -1
	s_mov_b32 s27, 0
	global_store_b8 v[0:1], v2, off
.LBB78_627:
	s_mov_b32 s29, 0
.LBB78_628:
	s_delay_alu instid0(SALU_CYCLE_1)
	s_and_b32 vcc_lo, exec_lo, s29
	s_cbranch_vccz .LBB78_667
; %bb.629:
	s_and_b32 s28, 0xffff, s28
	s_mov_b32 s29, -1
	s_cmp_lt_i32 s28, 5
	s_cbranch_scc1 .LBB78_650
; %bb.630:
	s_cmp_lt_i32 s28, 8
	s_cbranch_scc1 .LBB78_640
; %bb.631:
	s_cmp_lt_i32 s28, 9
	s_cbranch_scc1 .LBB78_637
; %bb.632:
	s_cmp_gt_i32 s28, 9
	s_cbranch_scc0 .LBB78_634
; %bb.633:
	s_wait_xcnt 0x0
	v_mov_b32_e32 v2, 0
	s_mov_b32 s29, 0
	s_delay_alu instid0(VALU_DEP_1)
	v_dual_mov_b32 v3, v2 :: v_dual_mov_b32 v4, v2
	v_mov_b32_e32 v5, v2
	global_store_b128 v[0:1], v[2:5], off
.LBB78_634:
	s_and_not1_b32 vcc_lo, exec_lo, s29
	s_cbranch_vccnz .LBB78_636
; %bb.635:
	s_wait_xcnt 0x0
	v_mov_b64_e32 v[2:3], 0
	global_store_b64 v[0:1], v[2:3], off
.LBB78_636:
	s_mov_b32 s29, 0
.LBB78_637:
	s_delay_alu instid0(SALU_CYCLE_1)
	s_and_not1_b32 vcc_lo, exec_lo, s29
	s_cbranch_vccnz .LBB78_639
; %bb.638:
	s_wait_xcnt 0x0
	v_mov_b32_e32 v2, 0
	global_store_b32 v[0:1], v2, off
.LBB78_639:
	s_mov_b32 s29, 0
.LBB78_640:
	s_delay_alu instid0(SALU_CYCLE_1)
	s_and_not1_b32 vcc_lo, exec_lo, s29
	s_cbranch_vccnz .LBB78_649
; %bb.641:
	s_cmp_lt_i32 s28, 6
	s_mov_b32 s29, -1
	s_cbranch_scc1 .LBB78_647
; %bb.642:
	s_cmp_gt_i32 s28, 6
	s_cbranch_scc0 .LBB78_644
; %bb.643:
	s_wait_xcnt 0x0
	v_mov_b64_e32 v[2:3], 0
	s_mov_b32 s29, 0
	global_store_b64 v[0:1], v[2:3], off
.LBB78_644:
	s_and_not1_b32 vcc_lo, exec_lo, s29
	s_cbranch_vccnz .LBB78_646
; %bb.645:
	s_wait_xcnt 0x0
	v_mov_b32_e32 v2, 0
	global_store_b32 v[0:1], v2, off
.LBB78_646:
	s_mov_b32 s29, 0
.LBB78_647:
	s_delay_alu instid0(SALU_CYCLE_1)
	s_and_not1_b32 vcc_lo, exec_lo, s29
	s_cbranch_vccnz .LBB78_649
; %bb.648:
	s_wait_xcnt 0x0
	v_mov_b32_e32 v2, 0
	global_store_b16 v[0:1], v2, off
.LBB78_649:
	s_mov_b32 s29, 0
.LBB78_650:
	s_delay_alu instid0(SALU_CYCLE_1)
	s_and_not1_b32 vcc_lo, exec_lo, s29
	s_cbranch_vccnz .LBB78_666
; %bb.651:
	s_cmp_lt_i32 s28, 2
	s_mov_b32 s29, -1
	s_cbranch_scc1 .LBB78_661
; %bb.652:
	s_cmp_lt_i32 s28, 3
	s_cbranch_scc1 .LBB78_658
; %bb.653:
	s_cmp_gt_i32 s28, 3
	s_cbranch_scc0 .LBB78_655
; %bb.654:
	s_wait_xcnt 0x0
	v_mov_b64_e32 v[2:3], 0
	s_mov_b32 s29, 0
	global_store_b64 v[0:1], v[2:3], off
.LBB78_655:
	s_and_not1_b32 vcc_lo, exec_lo, s29
	s_cbranch_vccnz .LBB78_657
; %bb.656:
	s_wait_xcnt 0x0
	v_mov_b32_e32 v2, 0
	global_store_b32 v[0:1], v2, off
.LBB78_657:
	s_mov_b32 s29, 0
.LBB78_658:
	s_delay_alu instid0(SALU_CYCLE_1)
	s_and_not1_b32 vcc_lo, exec_lo, s29
	s_cbranch_vccnz .LBB78_660
; %bb.659:
	s_wait_xcnt 0x0
	v_mov_b32_e32 v2, 0
	global_store_b16 v[0:1], v2, off
.LBB78_660:
	s_mov_b32 s29, 0
.LBB78_661:
	s_delay_alu instid0(SALU_CYCLE_1)
	s_and_not1_b32 vcc_lo, exec_lo, s29
	s_cbranch_vccnz .LBB78_666
; %bb.662:
	s_cmp_gt_i32 s28, 0
	s_mov_b32 s28, -1
	s_cbranch_scc0 .LBB78_664
; %bb.663:
	s_wait_xcnt 0x0
	v_mov_b32_e32 v2, 0
	s_mov_b32 s28, 0
	global_store_b8 v[0:1], v2, off
.LBB78_664:
	s_and_not1_b32 vcc_lo, exec_lo, s28
	s_cbranch_vccnz .LBB78_666
; %bb.665:
	s_wait_xcnt 0x0
	v_mov_b32_e32 v2, 0
	global_store_b8 v[0:1], v2, off
.LBB78_666:
	s_mov_b32 s30, -1
.LBB78_667:
	s_delay_alu instid0(SALU_CYCLE_1)
	s_and_not1_b32 vcc_lo, exec_lo, s30
	s_cbranch_vccnz .LBB78_669
; %bb.668:
	v_add_nc_u32_e32 v6, 0x80, v6
	s_mov_b32 s28, -1
	s_branch .LBB78_670
.LBB78_669:
	s_mov_b32 s28, 0
                                        ; implicit-def: $vgpr6
.LBB78_670:
	s_and_not1_b32 s29, s22, exec_lo
	s_and_b32 s27, s27, exec_lo
	s_and_b32 s28, s28, exec_lo
	s_or_b32 s27, s29, s27
	s_xor_b32 s29, exec_lo, -1
.LBB78_671:
	s_wait_xcnt 0x0
	s_or_b32 exec_lo, exec_lo, s0
.LBB78_672:
	s_delay_alu instid0(SALU_CYCLE_1)
	s_and_not1_b32 s0, s22, exec_lo
	s_and_b32 s27, s27, exec_lo
	s_and_b32 s29, s29, exec_lo
	s_or_b32 s27, s0, s27
	s_and_not1_b32 s0, s23, exec_lo
	s_and_not1_b32 s30, s21, exec_lo
	s_and_b32 s31, s26, exec_lo
	s_or_b32 s26, s0, s29
	s_or_b32 s0, s30, s31
	s_or_not1_b32 s31, s28, exec_lo
.LBB78_673:
	s_wait_xcnt 0x0
	s_or_b32 exec_lo, exec_lo, s25
	s_mov_b32 s28, 0
	s_mov_b32 s29, 0
	s_mov_b32 s30, 0
                                        ; implicit-def: $vgpr0_vgpr1
                                        ; implicit-def: $vgpr2_vgpr3
	s_and_saveexec_b32 s25, s31
	s_cbranch_execz .LBB78_750
; %bb.674:
	v_cmp_gt_i32_e32 vcc_lo, s16, v6
	s_mov_b32 s33, s0
	s_mov_b32 s31, 0
	;; [unrolled: 1-line block ×3, first 2 shown]
                                        ; implicit-def: $vgpr0_vgpr1
                                        ; implicit-def: $vgpr2_vgpr3
	s_and_saveexec_b32 s16, vcc_lo
	s_cbranch_execz .LBB78_749
; %bb.675:
	v_mul_lo_u32 v0, v6, s3
	s_and_b32 s28, 0xffff, s13
	s_delay_alu instid0(SALU_CYCLE_1) | instskip(NEXT) | instid1(VALU_DEP_1)
	s_cmp_lt_i32 s28, 11
	v_ashrrev_i32_e32 v1, 31, v0
	s_delay_alu instid0(VALU_DEP_1)
	v_add_nc_u64_e32 v[0:1], s[6:7], v[0:1]
	s_cbranch_scc1 .LBB78_682
; %bb.676:
	s_cmp_gt_i32 s28, 25
	s_cbranch_scc0 .LBB78_683
; %bb.677:
	s_cmp_gt_i32 s28, 28
	s_cbranch_scc0 .LBB78_684
	;; [unrolled: 3-line block ×4, first 2 shown]
; %bb.680:
	s_cmp_eq_u32 s28, 46
	s_mov_b32 s33, 0
	s_cbranch_scc0 .LBB78_687
; %bb.681:
	s_wait_loadcnt 0x0
	global_load_b32 v2, v[0:1], off
	s_mov_b32 s31, -1
	s_wait_loadcnt 0x0
	v_lshlrev_b32_e32 v2, 16, v2
	s_delay_alu instid0(VALU_DEP_1) | instskip(NEXT) | instid1(VALU_DEP_1)
	v_trunc_f32_e32 v2, v2
	v_mul_f32_e64 v3, 0x2f800000, |v2|
	s_delay_alu instid0(VALU_DEP_1) | instskip(NEXT) | instid1(VALU_DEP_1)
	v_floor_f32_e32 v3, v3
	v_fma_f32 v4, 0xcf800000, v3, |v2|
	v_ashrrev_i32_e32 v2, 31, v2
	v_cvt_u32_f32_e32 v5, v3
	s_delay_alu instid0(VALU_DEP_3) | instskip(NEXT) | instid1(VALU_DEP_2)
	v_cvt_u32_f32_e32 v4, v4
	v_dual_mov_b32 v3, v2 :: v_dual_bitop2_b32 v5, v5, v2 bitop3:0x14
	s_delay_alu instid0(VALU_DEP_2) | instskip(NEXT) | instid1(VALU_DEP_1)
	v_xor_b32_e32 v4, v4, v2
	v_sub_nc_u64_e32 v[2:3], v[4:5], v[2:3]
	s_branch .LBB78_689
.LBB78_682:
	s_mov_b32 s28, -1
	s_mov_b32 s29, s0
                                        ; implicit-def: $vgpr2_vgpr3
	s_branch .LBB78_748
.LBB78_683:
	s_mov_b32 s33, -1
	s_mov_b32 s29, s0
                                        ; implicit-def: $vgpr2_vgpr3
	s_branch .LBB78_716
.LBB78_684:
	s_mov_b32 s33, -1
	s_mov_b32 s29, s0
                                        ; implicit-def: $vgpr2_vgpr3
	s_branch .LBB78_699
.LBB78_685:
	s_mov_b32 s33, -1
	s_mov_b32 s29, s0
                                        ; implicit-def: $vgpr2_vgpr3
	s_branch .LBB78_694
.LBB78_686:
	s_mov_b32 s33, -1
	s_mov_b32 s29, s0
	s_branch .LBB78_688
.LBB78_687:
	s_mov_b32 s29, -1
.LBB78_688:
                                        ; implicit-def: $vgpr2_vgpr3
.LBB78_689:
	s_and_b32 vcc_lo, exec_lo, s33
	s_cbranch_vccz .LBB78_693
; %bb.690:
	s_cmp_eq_u32 s28, 44
	s_cbranch_scc0 .LBB78_692
; %bb.691:
	global_load_u8 v7, v[0:1], off
	s_mov_b32 s29, 0
	s_mov_b32 s31, -1
	s_wait_loadcnt 0x0
	v_lshlrev_b32_e32 v2, 23, v7
	v_cmp_ne_u32_e32 vcc_lo, 0, v7
	s_delay_alu instid0(VALU_DEP_2) | instskip(NEXT) | instid1(VALU_DEP_1)
	v_trunc_f32_e32 v2, v2
	v_mul_f32_e64 v3, 0x2f800000, |v2|
	s_delay_alu instid0(VALU_DEP_1) | instskip(NEXT) | instid1(VALU_DEP_1)
	v_floor_f32_e32 v3, v3
	v_fma_f32 v4, 0xcf800000, v3, |v2|
	v_ashrrev_i32_e32 v2, 31, v2
	v_cvt_u32_f32_e32 v5, v3
	s_delay_alu instid0(VALU_DEP_3) | instskip(NEXT) | instid1(VALU_DEP_2)
	v_cvt_u32_f32_e32 v4, v4
	v_dual_mov_b32 v3, v2 :: v_dual_bitop2_b32 v5, v5, v2 bitop3:0x14
	s_delay_alu instid0(VALU_DEP_2) | instskip(NEXT) | instid1(VALU_DEP_1)
	v_xor_b32_e32 v4, v4, v2
	v_sub_nc_u64_e32 v[2:3], v[4:5], v[2:3]
	s_delay_alu instid0(VALU_DEP_1)
	v_dual_cndmask_b32 v3, 0, v3 :: v_dual_cndmask_b32 v2, 0, v2
	s_branch .LBB78_693
.LBB78_692:
	s_mov_b32 s29, -1
                                        ; implicit-def: $vgpr2_vgpr3
.LBB78_693:
	s_mov_b32 s33, 0
.LBB78_694:
	s_delay_alu instid0(SALU_CYCLE_1)
	s_and_b32 vcc_lo, exec_lo, s33
	s_cbranch_vccz .LBB78_698
; %bb.695:
	s_cmp_eq_u32 s28, 29
	s_cbranch_scc0 .LBB78_697
; %bb.696:
	s_wait_loadcnt 0x0
	global_load_b64 v[2:3], v[0:1], off
	s_mov_b32 s29, 0
	s_mov_b32 s31, -1
	s_branch .LBB78_698
.LBB78_697:
	s_mov_b32 s29, -1
                                        ; implicit-def: $vgpr2_vgpr3
.LBB78_698:
	s_mov_b32 s33, 0
.LBB78_699:
	s_delay_alu instid0(SALU_CYCLE_1)
	s_and_b32 vcc_lo, exec_lo, s33
	s_cbranch_vccz .LBB78_715
; %bb.700:
	s_cmp_lt_i32 s28, 27
	s_cbranch_scc1 .LBB78_703
; %bb.701:
	s_cmp_gt_i32 s28, 27
	s_cbranch_scc0 .LBB78_704
; %bb.702:
	s_wait_loadcnt 0x0
	global_load_b32 v2, v[0:1], off
	v_mov_b32_e32 v3, 0
	s_mov_b32 s31, 0
	s_branch .LBB78_705
.LBB78_703:
	s_mov_b32 s31, -1
                                        ; implicit-def: $vgpr2_vgpr3
	s_branch .LBB78_708
.LBB78_704:
	s_mov_b32 s31, -1
                                        ; implicit-def: $vgpr2_vgpr3
.LBB78_705:
	s_delay_alu instid0(SALU_CYCLE_1)
	s_and_not1_b32 vcc_lo, exec_lo, s31
	s_cbranch_vccnz .LBB78_707
; %bb.706:
	s_wait_loadcnt 0x0
	global_load_u16 v2, v[0:1], off
	s_mov_b32 s31, 0
	s_delay_alu instid0(SALU_CYCLE_1)
	v_mov_b32_e32 v3, s31
	s_wait_loadcnt 0x0
	v_and_b32_e32 v2, 0xffff, v2
.LBB78_707:
	s_mov_b32 s31, 0
.LBB78_708:
	s_delay_alu instid0(SALU_CYCLE_1)
	s_and_not1_b32 vcc_lo, exec_lo, s31
	s_cbranch_vccnz .LBB78_714
; %bb.709:
	global_load_u8 v4, v[0:1], off
	s_mov_b32 s33, 0
	s_mov_b32 s31, exec_lo
	s_wait_loadcnt 0x0
	v_cmpx_lt_i16_e32 0x7f, v4
	s_xor_b32 s31, exec_lo, s31
	s_cbranch_execz .LBB78_726
; %bb.710:
	v_cmp_ne_u16_e32 vcc_lo, 0x80, v4
	s_and_b32 s33, vcc_lo, exec_lo
	s_and_not1_saveexec_b32 s31, s31
	s_cbranch_execnz .LBB78_727
.LBB78_711:
	s_or_b32 exec_lo, exec_lo, s31
	v_mov_b64_e32 v[2:3], 0
	s_and_saveexec_b32 s31, s33
	s_cbranch_execz .LBB78_713
.LBB78_712:
	v_and_b32_e32 v2, 0xffff, v4
	s_delay_alu instid0(VALU_DEP_1) | instskip(SKIP_1) | instid1(VALU_DEP_2)
	v_and_b32_e32 v3, 7, v2
	v_bfe_u32 v8, v2, 3, 4
	v_clz_i32_u32_e32 v5, v3
	s_delay_alu instid0(VALU_DEP_2) | instskip(NEXT) | instid1(VALU_DEP_2)
	v_cmp_eq_u32_e32 vcc_lo, 0, v8
	v_min_u32_e32 v5, 32, v5
	s_delay_alu instid0(VALU_DEP_1) | instskip(NEXT) | instid1(VALU_DEP_1)
	v_subrev_nc_u32_e32 v7, 28, v5
	v_dual_lshlrev_b32 v2, v7, v2 :: v_dual_sub_nc_u32 v5, 29, v5
	s_delay_alu instid0(VALU_DEP_1) | instskip(NEXT) | instid1(VALU_DEP_1)
	v_dual_lshlrev_b32 v4, 24, v4 :: v_dual_bitop2_b32 v2, 7, v2 bitop3:0x40
	v_dual_cndmask_b32 v5, v8, v5 :: v_dual_cndmask_b32 v2, v3, v2
	s_delay_alu instid0(VALU_DEP_2) | instskip(NEXT) | instid1(VALU_DEP_2)
	v_and_b32_e32 v3, 0x80000000, v4
	v_lshl_add_u32 v4, v5, 23, 0x3b800000
	s_delay_alu instid0(VALU_DEP_3) | instskip(NEXT) | instid1(VALU_DEP_1)
	v_lshlrev_b32_e32 v2, 20, v2
	v_or3_b32 v2, v3, v4, v2
	s_delay_alu instid0(VALU_DEP_1) | instskip(NEXT) | instid1(VALU_DEP_1)
	v_trunc_f32_e32 v2, v2
	v_mul_f32_e64 v3, 0x2f800000, |v2|
	s_delay_alu instid0(VALU_DEP_1) | instskip(NEXT) | instid1(VALU_DEP_1)
	v_floor_f32_e32 v3, v3
	v_fma_f32 v4, 0xcf800000, v3, |v2|
	v_ashrrev_i32_e32 v2, 31, v2
	v_cvt_u32_f32_e32 v5, v3
	s_delay_alu instid0(VALU_DEP_3) | instskip(NEXT) | instid1(VALU_DEP_2)
	v_cvt_u32_f32_e32 v4, v4
	v_dual_mov_b32 v3, v2 :: v_dual_bitop2_b32 v5, v5, v2 bitop3:0x14
	s_delay_alu instid0(VALU_DEP_2) | instskip(NEXT) | instid1(VALU_DEP_1)
	v_xor_b32_e32 v4, v4, v2
	v_sub_nc_u64_e32 v[2:3], v[4:5], v[2:3]
.LBB78_713:
	s_or_b32 exec_lo, exec_lo, s31
.LBB78_714:
	s_mov_b32 s31, -1
.LBB78_715:
	s_mov_b32 s33, 0
.LBB78_716:
	s_delay_alu instid0(SALU_CYCLE_1)
	s_and_b32 vcc_lo, exec_lo, s33
	s_cbranch_vccz .LBB78_747
; %bb.717:
	s_cmp_gt_i32 s28, 22
	s_cbranch_scc0 .LBB78_725
; %bb.718:
	s_cmp_lt_i32 s28, 24
	s_cbranch_scc1 .LBB78_728
; %bb.719:
	s_cmp_gt_i32 s28, 24
	s_cbranch_scc0 .LBB78_729
; %bb.720:
	global_load_u8 v4, v[0:1], off
	s_mov_b32 s31, 0
	s_mov_b32 s30, exec_lo
	s_wait_loadcnt 0x0
	v_cmpx_lt_i16_e32 0x7f, v4
	s_xor_b32 s30, exec_lo, s30
	s_cbranch_execz .LBB78_741
; %bb.721:
	v_cmp_ne_u16_e32 vcc_lo, 0x80, v4
	s_and_b32 s31, vcc_lo, exec_lo
	s_and_not1_saveexec_b32 s30, s30
	s_cbranch_execnz .LBB78_742
.LBB78_722:
	s_or_b32 exec_lo, exec_lo, s30
	v_mov_b64_e32 v[2:3], 0
	s_and_saveexec_b32 s30, s31
	s_cbranch_execz .LBB78_724
.LBB78_723:
	v_and_b32_e32 v2, 0xffff, v4
	s_delay_alu instid0(VALU_DEP_1) | instskip(SKIP_1) | instid1(VALU_DEP_2)
	v_and_b32_e32 v3, 3, v2
	v_bfe_u32 v8, v2, 2, 5
	v_clz_i32_u32_e32 v5, v3
	s_delay_alu instid0(VALU_DEP_2) | instskip(NEXT) | instid1(VALU_DEP_2)
	v_cmp_eq_u32_e32 vcc_lo, 0, v8
	v_min_u32_e32 v5, 32, v5
	s_delay_alu instid0(VALU_DEP_1) | instskip(NEXT) | instid1(VALU_DEP_1)
	v_subrev_nc_u32_e32 v7, 29, v5
	v_dual_lshlrev_b32 v2, v7, v2 :: v_dual_sub_nc_u32 v5, 30, v5
	s_delay_alu instid0(VALU_DEP_1) | instskip(NEXT) | instid1(VALU_DEP_1)
	v_dual_lshlrev_b32 v4, 24, v4 :: v_dual_bitop2_b32 v2, 3, v2 bitop3:0x40
	v_dual_cndmask_b32 v5, v8, v5 :: v_dual_cndmask_b32 v2, v3, v2
	s_delay_alu instid0(VALU_DEP_2) | instskip(NEXT) | instid1(VALU_DEP_2)
	v_and_b32_e32 v3, 0x80000000, v4
	v_lshl_add_u32 v4, v5, 23, 0x37800000
	s_delay_alu instid0(VALU_DEP_3) | instskip(NEXT) | instid1(VALU_DEP_1)
	v_lshlrev_b32_e32 v2, 21, v2
	v_or3_b32 v2, v3, v4, v2
	s_delay_alu instid0(VALU_DEP_1) | instskip(NEXT) | instid1(VALU_DEP_1)
	v_trunc_f32_e32 v2, v2
	v_mul_f32_e64 v3, 0x2f800000, |v2|
	s_delay_alu instid0(VALU_DEP_1) | instskip(NEXT) | instid1(VALU_DEP_1)
	v_floor_f32_e32 v3, v3
	v_fma_f32 v4, 0xcf800000, v3, |v2|
	v_ashrrev_i32_e32 v2, 31, v2
	v_cvt_u32_f32_e32 v5, v3
	s_delay_alu instid0(VALU_DEP_3) | instskip(NEXT) | instid1(VALU_DEP_2)
	v_cvt_u32_f32_e32 v4, v4
	v_dual_mov_b32 v3, v2 :: v_dual_bitop2_b32 v5, v5, v2 bitop3:0x14
	s_delay_alu instid0(VALU_DEP_2) | instskip(NEXT) | instid1(VALU_DEP_1)
	v_xor_b32_e32 v4, v4, v2
	v_sub_nc_u64_e32 v[2:3], v[4:5], v[2:3]
.LBB78_724:
	s_or_b32 exec_lo, exec_lo, s30
	s_mov_b32 s30, 0
	s_branch .LBB78_730
.LBB78_725:
	s_mov_b32 s30, -1
                                        ; implicit-def: $vgpr2_vgpr3
	s_branch .LBB78_736
.LBB78_726:
	s_and_not1_saveexec_b32 s31, s31
	s_cbranch_execz .LBB78_711
.LBB78_727:
	v_cmp_ne_u16_e32 vcc_lo, 0, v4
	s_and_not1_b32 s33, s33, exec_lo
	s_and_b32 s34, vcc_lo, exec_lo
	s_delay_alu instid0(SALU_CYCLE_1)
	s_or_b32 s33, s33, s34
	s_or_b32 exec_lo, exec_lo, s31
	v_mov_b64_e32 v[2:3], 0
	s_and_saveexec_b32 s31, s33
	s_cbranch_execnz .LBB78_712
	s_branch .LBB78_713
.LBB78_728:
	s_mov_b32 s30, -1
                                        ; implicit-def: $vgpr2_vgpr3
	s_branch .LBB78_733
.LBB78_729:
	s_mov_b32 s30, -1
                                        ; implicit-def: $vgpr2_vgpr3
.LBB78_730:
	s_delay_alu instid0(SALU_CYCLE_1)
	s_and_b32 vcc_lo, exec_lo, s30
	s_cbranch_vccz .LBB78_732
; %bb.731:
	s_wait_loadcnt 0x0
	global_load_u8 v2, v[0:1], off
	s_wait_loadcnt 0x0
	v_lshlrev_b32_e32 v2, 24, v2
	s_delay_alu instid0(VALU_DEP_1) | instskip(NEXT) | instid1(VALU_DEP_1)
	v_and_b32_e32 v3, 0x7f000000, v2
	v_clz_i32_u32_e32 v4, v3
	v_add_nc_u32_e32 v7, 0x1000000, v3
	v_cmp_ne_u32_e32 vcc_lo, 0, v3
	s_delay_alu instid0(VALU_DEP_3) | instskip(NEXT) | instid1(VALU_DEP_1)
	v_min_u32_e32 v4, 32, v4
	v_sub_nc_u32_e64 v4, v4, 4 clamp
	s_delay_alu instid0(VALU_DEP_1) | instskip(NEXT) | instid1(VALU_DEP_1)
	v_dual_lshlrev_b32 v5, v4, v3 :: v_dual_lshlrev_b32 v4, 23, v4
	v_lshrrev_b32_e32 v5, 4, v5
	s_delay_alu instid0(VALU_DEP_1) | instskip(NEXT) | instid1(VALU_DEP_1)
	v_dual_sub_nc_u32 v4, v5, v4 :: v_dual_ashrrev_i32 v5, 8, v7
	v_add_nc_u32_e32 v4, 0x3c000000, v4
	s_delay_alu instid0(VALU_DEP_1) | instskip(NEXT) | instid1(VALU_DEP_1)
	v_and_or_b32 v4, 0x7f800000, v5, v4
	v_cndmask_b32_e32 v3, 0, v4, vcc_lo
	s_delay_alu instid0(VALU_DEP_1) | instskip(NEXT) | instid1(VALU_DEP_1)
	v_and_or_b32 v2, 0x80000000, v2, v3
	v_trunc_f32_e32 v2, v2
	s_delay_alu instid0(VALU_DEP_1) | instskip(NEXT) | instid1(VALU_DEP_1)
	v_mul_f32_e64 v3, 0x2f800000, |v2|
	v_floor_f32_e32 v3, v3
	s_delay_alu instid0(VALU_DEP_1) | instskip(SKIP_2) | instid1(VALU_DEP_3)
	v_fma_f32 v4, 0xcf800000, v3, |v2|
	v_ashrrev_i32_e32 v2, 31, v2
	v_cvt_u32_f32_e32 v5, v3
	v_cvt_u32_f32_e32 v4, v4
	s_delay_alu instid0(VALU_DEP_2) | instskip(NEXT) | instid1(VALU_DEP_2)
	v_dual_mov_b32 v3, v2 :: v_dual_bitop2_b32 v5, v5, v2 bitop3:0x14
	v_xor_b32_e32 v4, v4, v2
	s_delay_alu instid0(VALU_DEP_1)
	v_sub_nc_u64_e32 v[2:3], v[4:5], v[2:3]
.LBB78_732:
	s_mov_b32 s30, 0
.LBB78_733:
	s_delay_alu instid0(SALU_CYCLE_1)
	s_and_not1_b32 vcc_lo, exec_lo, s30
	s_cbranch_vccnz .LBB78_735
; %bb.734:
	s_wait_loadcnt 0x0
	global_load_u8 v2, v[0:1], off
	s_wait_loadcnt 0x0
	v_lshlrev_b32_e32 v3, 25, v2
	v_lshlrev_b16 v2, 8, v2
	s_delay_alu instid0(VALU_DEP_1) | instskip(SKIP_1) | instid1(VALU_DEP_2)
	v_and_or_b32 v5, 0x7f00, v2, 0.5
	v_bfe_i32 v2, v2, 0, 16
	v_dual_add_f32 v5, -0.5, v5 :: v_dual_lshrrev_b32 v4, 4, v3
	v_cmp_gt_u32_e32 vcc_lo, 0x8000000, v3
	s_delay_alu instid0(VALU_DEP_2) | instskip(NEXT) | instid1(VALU_DEP_1)
	v_or_b32_e32 v4, 0x70000000, v4
	v_mul_f32_e32 v4, 0x7800000, v4
	s_delay_alu instid0(VALU_DEP_1) | instskip(NEXT) | instid1(VALU_DEP_1)
	v_cndmask_b32_e32 v3, v4, v5, vcc_lo
	v_and_or_b32 v2, 0x80000000, v2, v3
	s_delay_alu instid0(VALU_DEP_1) | instskip(NEXT) | instid1(VALU_DEP_1)
	v_trunc_f32_e32 v2, v2
	v_mul_f32_e64 v3, 0x2f800000, |v2|
	s_delay_alu instid0(VALU_DEP_1) | instskip(NEXT) | instid1(VALU_DEP_1)
	v_floor_f32_e32 v3, v3
	v_fma_f32 v4, 0xcf800000, v3, |v2|
	v_ashrrev_i32_e32 v2, 31, v2
	v_cvt_u32_f32_e32 v5, v3
	s_delay_alu instid0(VALU_DEP_3) | instskip(NEXT) | instid1(VALU_DEP_2)
	v_cvt_u32_f32_e32 v4, v4
	v_dual_mov_b32 v3, v2 :: v_dual_bitop2_b32 v5, v5, v2 bitop3:0x14
	s_delay_alu instid0(VALU_DEP_2) | instskip(NEXT) | instid1(VALU_DEP_1)
	v_xor_b32_e32 v4, v4, v2
	v_sub_nc_u64_e32 v[2:3], v[4:5], v[2:3]
.LBB78_735:
	s_mov_b32 s30, 0
	s_mov_b32 s31, -1
.LBB78_736:
	s_and_not1_b32 vcc_lo, exec_lo, s30
	s_mov_b32 s30, 0
	s_cbranch_vccnz .LBB78_747
; %bb.737:
	s_cmp_gt_i32 s28, 14
	s_cbranch_scc0 .LBB78_740
; %bb.738:
	s_cmp_eq_u32 s28, 15
	s_cbranch_scc0 .LBB78_743
; %bb.739:
	s_wait_loadcnt 0x0
	global_load_u16 v2, v[0:1], off
	s_mov_b32 s29, 0
	s_mov_b32 s31, -1
	s_wait_loadcnt 0x0
	v_lshlrev_b32_e32 v2, 16, v2
	s_delay_alu instid0(VALU_DEP_1) | instskip(NEXT) | instid1(VALU_DEP_1)
	v_trunc_f32_e32 v2, v2
	v_mul_f32_e64 v3, 0x2f800000, |v2|
	s_delay_alu instid0(VALU_DEP_1) | instskip(NEXT) | instid1(VALU_DEP_1)
	v_floor_f32_e32 v3, v3
	v_fma_f32 v4, 0xcf800000, v3, |v2|
	v_ashrrev_i32_e32 v2, 31, v2
	v_cvt_u32_f32_e32 v5, v3
	s_delay_alu instid0(VALU_DEP_3) | instskip(NEXT) | instid1(VALU_DEP_2)
	v_cvt_u32_f32_e32 v4, v4
	v_dual_mov_b32 v3, v2 :: v_dual_bitop2_b32 v5, v5, v2 bitop3:0x14
	s_delay_alu instid0(VALU_DEP_2) | instskip(NEXT) | instid1(VALU_DEP_1)
	v_xor_b32_e32 v4, v4, v2
	v_sub_nc_u64_e32 v[2:3], v[4:5], v[2:3]
	s_branch .LBB78_745
.LBB78_740:
	s_mov_b32 s30, -1
	s_branch .LBB78_744
.LBB78_741:
	s_and_not1_saveexec_b32 s30, s30
	s_cbranch_execz .LBB78_722
.LBB78_742:
	v_cmp_ne_u16_e32 vcc_lo, 0, v4
	s_and_not1_b32 s31, s31, exec_lo
	s_and_b32 s33, vcc_lo, exec_lo
	s_delay_alu instid0(SALU_CYCLE_1)
	s_or_b32 s31, s31, s33
	s_or_b32 exec_lo, exec_lo, s30
	v_mov_b64_e32 v[2:3], 0
	s_and_saveexec_b32 s30, s31
	s_cbranch_execnz .LBB78_723
	s_branch .LBB78_724
.LBB78_743:
	s_mov_b32 s29, -1
.LBB78_744:
                                        ; implicit-def: $vgpr2_vgpr3
.LBB78_745:
	s_and_b32 vcc_lo, exec_lo, s30
	s_mov_b32 s30, 0
	s_cbranch_vccz .LBB78_747
; %bb.746:
	s_cmp_lg_u32 s28, 11
	s_mov_b32 s30, -1
	s_cselect_b32 s28, -1, 0
	s_and_not1_b32 s29, s29, exec_lo
	s_and_b32 s28, s28, exec_lo
	s_delay_alu instid0(SALU_CYCLE_1)
	s_or_b32 s29, s29, s28
.LBB78_747:
	s_mov_b32 s28, 0
.LBB78_748:
	s_and_not1_b32 s33, s0, exec_lo
	s_and_b32 s29, s29, exec_lo
	s_and_b32 s34, s31, exec_lo
	s_and_b32 s31, s28, exec_lo
	s_and_b32 s28, s30, exec_lo
	s_or_b32 s33, s33, s29
.LBB78_749:
	s_wait_xcnt 0x0
	s_or_b32 exec_lo, exec_lo, s16
	s_delay_alu instid0(SALU_CYCLE_1)
	s_and_not1_b32 s0, s0, exec_lo
	s_and_b32 s16, s33, exec_lo
	s_and_b32 s30, s34, exec_lo
	;; [unrolled: 1-line block ×4, first 2 shown]
	s_or_b32 s0, s0, s16
.LBB78_750:
	s_or_b32 exec_lo, exec_lo, s25
	s_delay_alu instid0(SALU_CYCLE_1)
	s_and_not1_b32 s16, s22, exec_lo
	s_and_b32 s22, s27, exec_lo
	s_and_not1_b32 s23, s23, exec_lo
	s_and_b32 s25, s26, exec_lo
	s_or_b32 s22, s16, s22
	s_and_not1_b32 s16, s21, exec_lo
	s_and_b32 s0, s0, exec_lo
	s_or_b32 s23, s23, s25
	s_and_b32 s27, s30, exec_lo
	s_and_b32 s26, s29, exec_lo
	;; [unrolled: 1-line block ×3, first 2 shown]
	s_or_b32 s21, s16, s0
.LBB78_751:
	s_or_b32 exec_lo, exec_lo, s24
	s_delay_alu instid0(SALU_CYCLE_1)
	s_and_not1_b32 s0, s17, exec_lo
	s_and_b32 s16, s22, exec_lo
	s_and_not1_b32 s18, s18, exec_lo
	s_and_b32 s22, s23, exec_lo
	s_or_b32 s17, s0, s16
	s_and_not1_b32 s16, s19, exec_lo
	s_and_b32 s19, s21, exec_lo
	s_or_b32 s18, s18, s22
	s_and_b32 s0, s27, exec_lo
	s_and_b32 s22, s26, exec_lo
	;; [unrolled: 1-line block ×3, first 2 shown]
	s_or_b32 s19, s16, s19
	s_or_b32 exec_lo, exec_lo, s20
	s_mov_b32 s16, 0
	s_and_saveexec_b32 s20, s19
	s_cbranch_execz .LBB78_231
.LBB78_752:
	s_mov_b32 s16, exec_lo
	s_and_not1_b32 s21, s21, exec_lo
	s_trap 2
	s_or_b32 exec_lo, exec_lo, s20
	s_and_saveexec_b32 s19, s21
	s_delay_alu instid0(SALU_CYCLE_1)
	s_xor_b32 s19, exec_lo, s19
	s_cbranch_execnz .LBB78_232
.LBB78_753:
	s_or_b32 exec_lo, exec_lo, s19
	s_and_saveexec_b32 s19, s22
	s_cbranch_execz .LBB78_799
.LBB78_754:
	s_sext_i32_i16 s20, s13
	s_delay_alu instid0(SALU_CYCLE_1)
	s_cmp_lt_i32 s20, 5
	s_cbranch_scc1 .LBB78_759
; %bb.755:
	s_cmp_lt_i32 s20, 8
	s_cbranch_scc1 .LBB78_760
; %bb.756:
	;; [unrolled: 3-line block ×3, first 2 shown]
	s_cmp_gt_i32 s20, 9
	s_cbranch_scc0 .LBB78_762
; %bb.758:
	s_wait_loadcnt 0x0
	global_load_b64 v[2:3], v[0:1], off
	s_mov_b32 s20, 0
	s_wait_loadcnt 0x0
	v_trunc_f64_e32 v[2:3], v[2:3]
	s_delay_alu instid0(VALU_DEP_1) | instskip(NEXT) | instid1(VALU_DEP_1)
	v_ldexp_f64 v[4:5], v[2:3], 0xffffffe0
	v_floor_f64_e32 v[4:5], v[4:5]
	s_delay_alu instid0(VALU_DEP_1) | instskip(SKIP_1) | instid1(VALU_DEP_2)
	v_fmamk_f64 v[8:9], v[4:5], 0xc1f00000, v[2:3]
	v_cvt_i32_f64_e32 v3, v[4:5]
	v_cvt_u32_f64_e32 v2, v[8:9]
	s_branch .LBB78_763
.LBB78_759:
                                        ; implicit-def: $vgpr2_vgpr3
	s_branch .LBB78_780
.LBB78_760:
                                        ; implicit-def: $vgpr2_vgpr3
	s_branch .LBB78_769
.LBB78_761:
	s_mov_b32 s20, -1
                                        ; implicit-def: $vgpr2_vgpr3
	s_branch .LBB78_766
.LBB78_762:
	s_mov_b32 s20, -1
                                        ; implicit-def: $vgpr2_vgpr3
.LBB78_763:
	s_delay_alu instid0(SALU_CYCLE_1)
	s_and_not1_b32 vcc_lo, exec_lo, s20
	s_cbranch_vccnz .LBB78_765
; %bb.764:
	s_wait_loadcnt 0x0
	global_load_b32 v2, v[0:1], off
	s_wait_loadcnt 0x0
	v_trunc_f32_e32 v2, v2
	s_delay_alu instid0(VALU_DEP_1) | instskip(NEXT) | instid1(VALU_DEP_1)
	v_mul_f32_e64 v3, 0x2f800000, |v2|
	v_floor_f32_e32 v3, v3
	s_delay_alu instid0(VALU_DEP_1) | instskip(SKIP_2) | instid1(VALU_DEP_3)
	v_fma_f32 v4, 0xcf800000, v3, |v2|
	v_ashrrev_i32_e32 v2, 31, v2
	v_cvt_u32_f32_e32 v5, v3
	v_cvt_u32_f32_e32 v4, v4
	s_delay_alu instid0(VALU_DEP_2) | instskip(NEXT) | instid1(VALU_DEP_2)
	v_dual_mov_b32 v3, v2 :: v_dual_bitop2_b32 v5, v5, v2 bitop3:0x14
	v_xor_b32_e32 v4, v4, v2
	s_delay_alu instid0(VALU_DEP_1)
	v_sub_nc_u64_e32 v[2:3], v[4:5], v[2:3]
.LBB78_765:
	s_mov_b32 s20, 0
.LBB78_766:
	s_delay_alu instid0(SALU_CYCLE_1)
	s_and_not1_b32 vcc_lo, exec_lo, s20
	s_cbranch_vccnz .LBB78_768
; %bb.767:
	s_wait_loadcnt 0x0
	global_load_b32 v2, v[0:1], off
	s_wait_loadcnt 0x0
	v_cvt_f32_f16_e32 v2, v2
	s_delay_alu instid0(VALU_DEP_1) | instskip(NEXT) | instid1(VALU_DEP_1)
	v_cvt_i32_f32_e32 v2, v2
	v_ashrrev_i32_e32 v3, 31, v2
.LBB78_768:
	s_cbranch_execnz .LBB78_779
.LBB78_769:
	s_sext_i32_i16 s20, s13
	s_delay_alu instid0(SALU_CYCLE_1)
	s_cmp_lt_i32 s20, 6
	s_cbranch_scc1 .LBB78_772
; %bb.770:
	s_cmp_gt_i32 s20, 6
	s_cbranch_scc0 .LBB78_773
; %bb.771:
	s_wait_loadcnt 0x0
	global_load_b64 v[2:3], v[0:1], off
	s_mov_b32 s20, 0
	s_wait_loadcnt 0x0
	v_trunc_f64_e32 v[2:3], v[2:3]
	s_delay_alu instid0(VALU_DEP_1) | instskip(NEXT) | instid1(VALU_DEP_1)
	v_ldexp_f64 v[4:5], v[2:3], 0xffffffe0
	v_floor_f64_e32 v[4:5], v[4:5]
	s_delay_alu instid0(VALU_DEP_1) | instskip(SKIP_1) | instid1(VALU_DEP_2)
	v_fmamk_f64 v[8:9], v[4:5], 0xc1f00000, v[2:3]
	v_cvt_i32_f64_e32 v3, v[4:5]
	v_cvt_u32_f64_e32 v2, v[8:9]
	s_branch .LBB78_774
.LBB78_772:
	s_mov_b32 s20, -1
                                        ; implicit-def: $vgpr2_vgpr3
	s_branch .LBB78_777
.LBB78_773:
	s_mov_b32 s20, -1
                                        ; implicit-def: $vgpr2_vgpr3
.LBB78_774:
	s_delay_alu instid0(SALU_CYCLE_1)
	s_and_not1_b32 vcc_lo, exec_lo, s20
	s_cbranch_vccnz .LBB78_776
; %bb.775:
	s_wait_loadcnt 0x0
	global_load_b32 v2, v[0:1], off
	s_wait_loadcnt 0x0
	v_trunc_f32_e32 v2, v2
	s_delay_alu instid0(VALU_DEP_1) | instskip(NEXT) | instid1(VALU_DEP_1)
	v_mul_f32_e64 v3, 0x2f800000, |v2|
	v_floor_f32_e32 v3, v3
	s_delay_alu instid0(VALU_DEP_1) | instskip(SKIP_2) | instid1(VALU_DEP_3)
	v_fma_f32 v4, 0xcf800000, v3, |v2|
	v_ashrrev_i32_e32 v2, 31, v2
	v_cvt_u32_f32_e32 v5, v3
	v_cvt_u32_f32_e32 v4, v4
	s_delay_alu instid0(VALU_DEP_2) | instskip(NEXT) | instid1(VALU_DEP_2)
	v_dual_mov_b32 v3, v2 :: v_dual_bitop2_b32 v5, v5, v2 bitop3:0x14
	v_xor_b32_e32 v4, v4, v2
	s_delay_alu instid0(VALU_DEP_1)
	v_sub_nc_u64_e32 v[2:3], v[4:5], v[2:3]
.LBB78_776:
	s_mov_b32 s20, 0
.LBB78_777:
	s_delay_alu instid0(SALU_CYCLE_1)
	s_and_not1_b32 vcc_lo, exec_lo, s20
	s_cbranch_vccnz .LBB78_779
; %bb.778:
	s_wait_loadcnt 0x0
	global_load_u16 v2, v[0:1], off
	s_wait_loadcnt 0x0
	v_cvt_f32_f16_e32 v2, v2
	s_delay_alu instid0(VALU_DEP_1) | instskip(NEXT) | instid1(VALU_DEP_1)
	v_cvt_i32_f32_e32 v2, v2
	v_ashrrev_i32_e32 v3, 31, v2
.LBB78_779:
	s_cbranch_execnz .LBB78_798
.LBB78_780:
	s_sext_i32_i16 s20, s13
	s_delay_alu instid0(SALU_CYCLE_1)
	s_cmp_lt_i32 s20, 2
	s_cbranch_scc1 .LBB78_784
; %bb.781:
	s_cmp_lt_i32 s20, 3
	s_cbranch_scc1 .LBB78_785
; %bb.782:
	s_cmp_gt_i32 s20, 3
	s_cbranch_scc0 .LBB78_786
; %bb.783:
	s_wait_loadcnt 0x0
	global_load_b64 v[2:3], v[0:1], off
	s_mov_b32 s20, 0
	s_branch .LBB78_787
.LBB78_784:
                                        ; implicit-def: $vgpr2_vgpr3
	s_branch .LBB78_793
.LBB78_785:
	s_mov_b32 s20, -1
                                        ; implicit-def: $vgpr2_vgpr3
	s_branch .LBB78_790
.LBB78_786:
	s_mov_b32 s20, -1
                                        ; implicit-def: $vgpr2_vgpr3
.LBB78_787:
	s_delay_alu instid0(SALU_CYCLE_1)
	s_and_not1_b32 vcc_lo, exec_lo, s20
	s_cbranch_vccnz .LBB78_789
; %bb.788:
	s_wait_loadcnt 0x0
	global_load_b32 v2, v[0:1], off
	s_wait_loadcnt 0x0
	v_ashrrev_i32_e32 v3, 31, v2
.LBB78_789:
	s_mov_b32 s20, 0
.LBB78_790:
	s_delay_alu instid0(SALU_CYCLE_1)
	s_and_not1_b32 vcc_lo, exec_lo, s20
	s_cbranch_vccnz .LBB78_792
; %bb.791:
	s_wait_loadcnt 0x0
	global_load_u16 v2, v[0:1], off
	s_wait_loadcnt 0x0
	v_bfe_i32 v2, v2, 0, 16
	s_delay_alu instid0(VALU_DEP_1)
	v_ashrrev_i32_e32 v3, 31, v2
.LBB78_792:
	s_cbranch_execnz .LBB78_798
.LBB78_793:
	s_sext_i32_i16 s20, s13
	s_delay_alu instid0(SALU_CYCLE_1)
	s_cmp_gt_i32 s20, 0
	s_mov_b32 s20, 0
	s_cbranch_scc0 .LBB78_795
; %bb.794:
	s_wait_loadcnt 0x0
	global_load_i8 v2, v[0:1], off
	s_wait_loadcnt 0x0
	v_bfe_i32 v2, v2, 0, 16
	s_delay_alu instid0(VALU_DEP_1)
	v_ashrrev_i32_e32 v3, 31, v2
	s_branch .LBB78_796
.LBB78_795:
	s_mov_b32 s20, -1
                                        ; implicit-def: $vgpr2_vgpr3
.LBB78_796:
	s_delay_alu instid0(SALU_CYCLE_1)
	s_and_not1_b32 vcc_lo, exec_lo, s20
	s_cbranch_vccnz .LBB78_798
; %bb.797:
	global_load_u8 v0, v[0:1], off
	s_mov_b32 s20, 0
	s_wait_loadcnt 0x1
	v_mov_b32_e32 v3, s20
	s_wait_loadcnt 0x0
	v_and_b32_e32 v2, 0xffff, v0
.LBB78_798:
	s_or_b32 s0, s0, exec_lo
.LBB78_799:
	s_wait_xcnt 0x0
	s_or_b32 exec_lo, exec_lo, s19
	s_mov_b32 s20, 0
	s_and_saveexec_b32 s19, s0
	s_delay_alu instid0(SALU_CYCLE_1)
	s_xor_b32 s19, exec_lo, s19
	s_cbranch_execz .LBB78_801
; %bb.800:
	s_wait_loadcnt 0x0
	s_delay_alu instid0(VALU_DEP_1) | instskip(SKIP_3) | instid1(SALU_CYCLE_1)
	v_cmp_le_i64_e32 vcc_lo, s[8:9], v[2:3]
	v_cmp_gt_i64_e64 s0, s[10:11], v[2:3]
	s_mov_b32 s20, exec_lo
	s_and_b32 s0, vcc_lo, s0
	s_and_b32 s0, s15, s0
	s_and_not1_b32 s15, s18, exec_lo
	s_xor_b32 s0, s0, -1
	s_delay_alu instid0(SALU_CYCLE_1) | instskip(NEXT) | instid1(SALU_CYCLE_1)
	s_and_b32 s0, s0, exec_lo
	s_or_b32 s18, s15, s0
.LBB78_801:
	s_or_b32 exec_lo, exec_lo, s19
	s_and_saveexec_b32 s0, s18
	s_cbranch_execnz .LBB78_814
.LBB78_802:
	s_or_b32 exec_lo, exec_lo, s0
	s_mov_b32 s18, 0
	s_mov_b32 s19, 0
                                        ; implicit-def: $sgpr0
                                        ; implicit-def: $vgpr0_vgpr1
	s_and_saveexec_b32 s15, s20
	s_cbranch_execz .LBB78_810
; %bb.803:
	v_mul_lo_u32 v0, v6, s2
	s_and_b32 s0, s12, 0xff
	s_delay_alu instid0(SALU_CYCLE_1) | instskip(NEXT) | instid1(VALU_DEP_1)
	s_cmp_lt_i32 s0, 11
	v_ashrrev_i32_e32 v1, 31, v0
	s_delay_alu instid0(VALU_DEP_1)
	v_add_nc_u64_e32 v[0:1], s[4:5], v[0:1]
	s_cbranch_scc1 .LBB78_813
; %bb.804:
	s_and_b32 s19, 0xffff, s0
	s_mov_b32 s20, -1
	s_cmp_gt_i32 s19, 25
	s_mov_b32 s18, s17
	s_cbranch_scc0 .LBB78_834
; %bb.805:
	s_cmp_gt_i32 s19, 28
	s_mov_b32 s18, s17
	s_cbranch_scc0 .LBB78_824
; %bb.806:
	;; [unrolled: 4-line block ×4, first 2 shown]
	s_cmp_eq_u32 s19, 46
	s_mov_b32 s18, -1
	s_cbranch_scc0 .LBB78_815
; %bb.809:
	s_wait_loadcnt 0x0
	v_mov_b32_e32 v2, 0
	s_mov_b32 s18, 0
	s_mov_b32 s20, 0
	global_store_b32 v[0:1], v2, off
	s_branch .LBB78_816
.LBB78_810:
	s_or_b32 exec_lo, exec_lo, s15
	s_and_saveexec_b32 s15, s17
	s_cbranch_execnz .LBB78_854
.LBB78_811:
	s_or_b32 exec_lo, exec_lo, s15
	s_and_saveexec_b32 s15, s18
	s_delay_alu instid0(SALU_CYCLE_1)
	s_xor_b32 s15, exec_lo, s15
	s_cbranch_execz .LBB78_855
.LBB78_812:
	s_wait_loadcnt 0x0
	v_mov_b32_e32 v2, 0
	global_store_b8 v[0:1], v2, off
	s_wait_xcnt 0x0
	s_or_b32 exec_lo, exec_lo, s15
	s_and_saveexec_b32 s15, s19
	s_delay_alu instid0(SALU_CYCLE_1)
	s_xor_b32 s15, exec_lo, s15
	s_cbranch_execz .LBB78_893
	s_branch .LBB78_856
.LBB78_813:
	s_mov_b32 s21, 0
	s_mov_b32 s20, -1
	s_mov_b32 s18, s17
	s_branch .LBB78_853
.LBB78_814:
	s_or_b32 s16, s16, exec_lo
	s_and_not1_b32 s20, s20, exec_lo
	s_trap 2
	s_branch .LBB78_802
.LBB78_815:
	s_mov_b32 s20, 0
.LBB78_816:
	s_delay_alu instid0(SALU_CYCLE_1)
	s_and_b32 vcc_lo, exec_lo, s20
	s_cbranch_vccz .LBB78_819
; %bb.817:
	s_cmp_eq_u32 s19, 44
	s_mov_b32 s18, -1
	s_cbranch_scc0 .LBB78_819
; %bb.818:
	s_wait_loadcnt 0x0
	v_mov_b32_e32 v2, 0
	s_mov_b32 s18, 0
	s_mov_b32 s20, 0
	global_store_b8 v[0:1], v2, off
	s_branch .LBB78_820
.LBB78_819:
	s_mov_b32 s20, 0
.LBB78_820:
	s_delay_alu instid0(SALU_CYCLE_1)
	s_and_b32 vcc_lo, exec_lo, s20
	s_cbranch_vccz .LBB78_823
; %bb.821:
	s_cmp_eq_u32 s19, 29
	s_mov_b32 s18, -1
	s_cbranch_scc0 .LBB78_823
; %bb.822:
	s_wait_loadcnt 0x0
	v_mov_b64_e32 v[2:3], 0
	s_mov_b32 s18, 0
	s_mov_b32 s20, 0
	global_store_b64 v[0:1], v[2:3], off
	s_branch .LBB78_824
.LBB78_823:
	s_mov_b32 s20, 0
.LBB78_824:
	s_delay_alu instid0(SALU_CYCLE_1)
	s_and_b32 vcc_lo, exec_lo, s20
	s_cbranch_vccz .LBB78_833
; %bb.825:
	s_cmp_lt_i32 s19, 27
	s_mov_b32 s20, -1
	s_cbranch_scc1 .LBB78_831
; %bb.826:
	s_cmp_gt_i32 s19, 27
	s_cbranch_scc0 .LBB78_828
; %bb.827:
	s_wait_loadcnt 0x0
	v_mov_b32_e32 v2, 0
	s_mov_b32 s20, 0
	global_store_b32 v[0:1], v2, off
.LBB78_828:
	s_and_not1_b32 vcc_lo, exec_lo, s20
	s_cbranch_vccnz .LBB78_830
; %bb.829:
	s_wait_loadcnt 0x0
	v_mov_b32_e32 v2, 0
	global_store_b16 v[0:1], v2, off
.LBB78_830:
	s_mov_b32 s20, 0
.LBB78_831:
	s_delay_alu instid0(SALU_CYCLE_1)
	s_and_not1_b32 vcc_lo, exec_lo, s20
	s_cbranch_vccnz .LBB78_833
; %bb.832:
	s_wait_loadcnt 0x0
	v_mov_b32_e32 v2, 0
	global_store_b8 v[0:1], v2, off
.LBB78_833:
	s_mov_b32 s20, 0
.LBB78_834:
	s_delay_alu instid0(SALU_CYCLE_1)
	s_and_b32 vcc_lo, exec_lo, s20
	s_mov_b32 s20, 0
	s_cbranch_vccz .LBB78_852
; %bb.835:
	s_cmp_gt_i32 s19, 22
	s_mov_b32 s21, -1
	s_cbranch_scc0 .LBB78_845
; %bb.836:
	s_cmp_lt_i32 s19, 24
	s_cbranch_scc1 .LBB78_842
; %bb.837:
	s_cmp_gt_i32 s19, 24
	s_cbranch_scc0 .LBB78_839
; %bb.838:
	s_wait_loadcnt 0x0
	v_mov_b32_e32 v2, 0
	s_mov_b32 s21, 0
	global_store_b8 v[0:1], v2, off
.LBB78_839:
	s_and_not1_b32 vcc_lo, exec_lo, s21
	s_cbranch_vccnz .LBB78_841
; %bb.840:
	s_wait_loadcnt 0x0
	v_mov_b32_e32 v2, 0
	global_store_b8 v[0:1], v2, off
.LBB78_841:
	s_mov_b32 s21, 0
.LBB78_842:
	s_delay_alu instid0(SALU_CYCLE_1)
	s_and_not1_b32 vcc_lo, exec_lo, s21
	s_cbranch_vccnz .LBB78_844
; %bb.843:
	s_wait_loadcnt 0x0
	v_mov_b32_e32 v2, 0
	global_store_b8 v[0:1], v2, off
.LBB78_844:
	s_mov_b32 s21, 0
.LBB78_845:
	s_delay_alu instid0(SALU_CYCLE_1)
	s_and_not1_b32 vcc_lo, exec_lo, s21
	s_mov_b32 s21, 0
	s_cbranch_vccnz .LBB78_853
; %bb.846:
	s_cmp_gt_i32 s19, 14
	s_mov_b32 s21, -1
	s_cbranch_scc0 .LBB78_850
; %bb.847:
	s_cmp_eq_u32 s19, 15
	s_mov_b32 s18, -1
	s_cbranch_scc0 .LBB78_849
; %bb.848:
	s_wait_loadcnt 0x0
	v_mov_b32_e32 v2, 0
	s_mov_b32 s18, 0
	global_store_b16 v[0:1], v2, off
.LBB78_849:
	s_mov_b32 s21, 0
.LBB78_850:
	s_delay_alu instid0(SALU_CYCLE_1)
	s_and_b32 vcc_lo, exec_lo, s21
	s_mov_b32 s21, 0
	s_cbranch_vccz .LBB78_853
; %bb.851:
	s_cmp_lg_u32 s19, 11
	s_mov_b32 s21, -1
	s_cselect_b32 s19, -1, 0
	s_and_not1_b32 s18, s18, exec_lo
	s_and_b32 s19, s19, exec_lo
	s_delay_alu instid0(SALU_CYCLE_1)
	s_or_b32 s18, s18, s19
	s_branch .LBB78_853
.LBB78_852:
	s_mov_b32 s21, 0
.LBB78_853:
	s_and_b32 s19, s20, exec_lo
	s_and_not1_b32 s17, s17, exec_lo
	s_and_b32 s20, s18, exec_lo
	s_and_b32 s18, s21, exec_lo
	s_or_b32 s17, s17, s20
	s_wait_xcnt 0x0
	s_or_b32 exec_lo, exec_lo, s15
	s_and_saveexec_b32 s15, s17
	s_cbranch_execz .LBB78_811
.LBB78_854:
	s_or_b32 s16, s16, exec_lo
	s_and_not1_b32 s18, s18, exec_lo
	s_trap 2
	s_or_b32 exec_lo, exec_lo, s15
	s_and_saveexec_b32 s15, s18
	s_delay_alu instid0(SALU_CYCLE_1)
	s_xor_b32 s15, exec_lo, s15
	s_cbranch_execnz .LBB78_812
.LBB78_855:
	s_or_b32 exec_lo, exec_lo, s15
	s_and_saveexec_b32 s15, s19
	s_delay_alu instid0(SALU_CYCLE_1)
	s_xor_b32 s15, exec_lo, s15
	s_cbranch_execz .LBB78_893
.LBB78_856:
	s_sext_i32_i16 s18, s0
	s_mov_b32 s17, -1
	s_cmp_lt_i32 s18, 5
	s_cbranch_scc1 .LBB78_877
; %bb.857:
	s_cmp_lt_i32 s18, 8
	s_cbranch_scc1 .LBB78_867
; %bb.858:
	;; [unrolled: 3-line block ×3, first 2 shown]
	s_cmp_gt_i32 s18, 9
	s_cbranch_scc0 .LBB78_861
; %bb.860:
	s_wait_loadcnt 0x0
	v_mov_b32_e32 v2, 0
	s_mov_b32 s17, 0
	s_delay_alu instid0(VALU_DEP_1)
	v_dual_mov_b32 v3, v2 :: v_dual_mov_b32 v4, v2
	v_mov_b32_e32 v5, v2
	global_store_b128 v[0:1], v[2:5], off
.LBB78_861:
	s_and_not1_b32 vcc_lo, exec_lo, s17
	s_cbranch_vccnz .LBB78_863
; %bb.862:
	s_wait_loadcnt 0x0
	v_mov_b64_e32 v[2:3], 0
	global_store_b64 v[0:1], v[2:3], off
.LBB78_863:
	s_mov_b32 s17, 0
.LBB78_864:
	s_delay_alu instid0(SALU_CYCLE_1)
	s_and_not1_b32 vcc_lo, exec_lo, s17
	s_cbranch_vccnz .LBB78_866
; %bb.865:
	s_wait_loadcnt 0x0
	v_mov_b32_e32 v2, 0
	global_store_b32 v[0:1], v2, off
.LBB78_866:
	s_mov_b32 s17, 0
.LBB78_867:
	s_delay_alu instid0(SALU_CYCLE_1)
	s_and_not1_b32 vcc_lo, exec_lo, s17
	s_cbranch_vccnz .LBB78_876
; %bb.868:
	s_sext_i32_i16 s18, s0
	s_mov_b32 s17, -1
	s_cmp_lt_i32 s18, 6
	s_cbranch_scc1 .LBB78_874
; %bb.869:
	s_cmp_gt_i32 s18, 6
	s_cbranch_scc0 .LBB78_871
; %bb.870:
	s_wait_loadcnt 0x0
	v_mov_b64_e32 v[2:3], 0
	s_mov_b32 s17, 0
	global_store_b64 v[0:1], v[2:3], off
.LBB78_871:
	s_and_not1_b32 vcc_lo, exec_lo, s17
	s_cbranch_vccnz .LBB78_873
; %bb.872:
	s_wait_loadcnt 0x0
	v_mov_b32_e32 v2, 0
	global_store_b32 v[0:1], v2, off
.LBB78_873:
	s_mov_b32 s17, 0
.LBB78_874:
	s_delay_alu instid0(SALU_CYCLE_1)
	s_and_not1_b32 vcc_lo, exec_lo, s17
	s_cbranch_vccnz .LBB78_876
; %bb.875:
	s_wait_loadcnt 0x0
	v_mov_b32_e32 v2, 0
	global_store_b16 v[0:1], v2, off
.LBB78_876:
	s_mov_b32 s17, 0
.LBB78_877:
	s_delay_alu instid0(SALU_CYCLE_1)
	s_and_not1_b32 vcc_lo, exec_lo, s17
	s_cbranch_vccnz .LBB78_893
; %bb.878:
	s_sext_i32_i16 s18, s0
	s_mov_b32 s17, -1
	s_cmp_lt_i32 s18, 2
	s_cbranch_scc1 .LBB78_888
; %bb.879:
	s_cmp_lt_i32 s18, 3
	s_cbranch_scc1 .LBB78_885
; %bb.880:
	s_cmp_gt_i32 s18, 3
	s_cbranch_scc0 .LBB78_882
; %bb.881:
	s_wait_loadcnt 0x0
	v_mov_b64_e32 v[2:3], 0
	s_mov_b32 s17, 0
	global_store_b64 v[0:1], v[2:3], off
.LBB78_882:
	s_and_not1_b32 vcc_lo, exec_lo, s17
	s_cbranch_vccnz .LBB78_884
; %bb.883:
	s_wait_loadcnt 0x0
	v_mov_b32_e32 v2, 0
	global_store_b32 v[0:1], v2, off
.LBB78_884:
	s_mov_b32 s17, 0
.LBB78_885:
	s_delay_alu instid0(SALU_CYCLE_1)
	s_and_not1_b32 vcc_lo, exec_lo, s17
	s_cbranch_vccnz .LBB78_887
; %bb.886:
	s_wait_loadcnt 0x0
	v_mov_b32_e32 v2, 0
	global_store_b16 v[0:1], v2, off
.LBB78_887:
	s_mov_b32 s17, 0
.LBB78_888:
	s_delay_alu instid0(SALU_CYCLE_1)
	s_and_not1_b32 vcc_lo, exec_lo, s17
	s_cbranch_vccnz .LBB78_893
; %bb.889:
	s_sext_i32_i16 s0, s0
	s_delay_alu instid0(SALU_CYCLE_1)
	s_cmp_gt_i32 s0, 0
	s_mov_b32 s0, -1
	s_cbranch_scc0 .LBB78_891
; %bb.890:
	s_wait_loadcnt 0x0
	v_mov_b32_e32 v2, 0
	s_mov_b32 s0, 0
	global_store_b8 v[0:1], v2, off
.LBB78_891:
	s_and_not1_b32 vcc_lo, exec_lo, s0
	s_cbranch_vccnz .LBB78_893
; %bb.892:
	s_wait_loadcnt 0x0
	v_mov_b32_e32 v2, 0
	global_store_b8 v[0:1], v2, off
.LBB78_893:
	s_wait_xcnt 0x0
	s_or_b32 exec_lo, exec_lo, s15
	s_delay_alu instid0(SALU_CYCLE_1)
	s_and_b32 s15, s16, exec_lo
                                        ; implicit-def: $vgpr6
.LBB78_894:
	s_or_saveexec_b32 s14, s14
	s_mov_b32 s17, 0
                                        ; implicit-def: $sgpr0
                                        ; implicit-def: $vgpr2_vgpr3
	s_xor_b32 exec_lo, exec_lo, s14
	s_cbranch_execz .LBB78_1729
; %bb.895:
	v_mul_lo_u32 v0, s3, v6
	s_and_b32 s17, 0xffff, s13
	s_delay_alu instid0(SALU_CYCLE_1) | instskip(NEXT) | instid1(VALU_DEP_1)
	s_cmp_lt_i32 s17, 11
	v_ashrrev_i32_e32 v1, 31, v0
	s_wait_loadcnt 0x0
	s_delay_alu instid0(VALU_DEP_1)
	v_add_nc_u64_e32 v[2:3], s[6:7], v[0:1]
	s_cbranch_scc1 .LBB78_902
; %bb.896:
	s_cmp_gt_i32 s17, 25
	s_mov_b32 s13, 0
	s_cbranch_scc0 .LBB78_913
; %bb.897:
	s_cmp_gt_i32 s17, 28
	s_cbranch_scc0 .LBB78_914
; %bb.898:
	s_cmp_gt_i32 s17, 43
	;; [unrolled: 3-line block ×3, first 2 shown]
	s_cbranch_scc0 .LBB78_928
; %bb.900:
	s_cmp_eq_u32 s17, 46
	s_cbranch_scc0 .LBB78_931
; %bb.901:
	global_load_b32 v1, v[2:3], off
	s_mov_b32 s0, 0
	s_mov_b32 s16, -1
	s_wait_loadcnt 0x0
	v_lshlrev_b32_e32 v1, 16, v1
	s_delay_alu instid0(VALU_DEP_1) | instskip(NEXT) | instid1(VALU_DEP_1)
	v_trunc_f32_e32 v1, v1
	v_mul_f32_e64 v4, 0x2f800000, |v1|
	s_delay_alu instid0(VALU_DEP_1) | instskip(SKIP_1) | instid1(VALU_DEP_2)
	v_floor_f32_e32 v5, v4
	v_ashrrev_i32_e32 v4, 31, v1
	v_fma_f32 v7, 0xcf800000, v5, |v1|
	v_cvt_u32_f32_e32 v1, v5
	s_delay_alu instid0(VALU_DEP_3) | instskip(NEXT) | instid1(VALU_DEP_3)
	v_mov_b32_e32 v5, v4
	v_cvt_u32_f32_e32 v7, v7
	s_delay_alu instid0(VALU_DEP_3) | instskip(NEXT) | instid1(VALU_DEP_2)
	v_xor_b32_e32 v9, v1, v4
	v_xor_b32_e32 v8, v7, v4
	s_delay_alu instid0(VALU_DEP_1)
	v_sub_nc_u64_e32 v[4:5], v[8:9], v[4:5]
	s_branch .LBB78_933
.LBB78_902:
	s_mov_b32 s16, 0
	s_mov_b32 s1, s15
                                        ; implicit-def: $vgpr4_vgpr5
	s_cbranch_execnz .LBB78_993
.LBB78_903:
	s_and_not1_b32 vcc_lo, exec_lo, s16
	s_cbranch_vccnz .LBB78_1038
.LBB78_904:
	s_wait_loadcnt 0x0
	s_delay_alu instid0(VALU_DEP_1)
	v_cmp_gt_i64_e32 vcc_lo, s[8:9], v[4:5]
	v_cmp_le_i64_e64 s0, s[10:11], v[4:5]
	s_get_pc_i64 s[18:19]
	s_add_nc_u64 s[18:19], s[18:19], .str.5@rel64+4
	s_or_b32 s0, vcc_lo, s0
	s_cmp_eq_u64 s[18:19], 0
	s_cselect_b32 s13, -1, 0
	s_delay_alu instid0(SALU_CYCLE_1) | instskip(SKIP_2) | instid1(SALU_CYCLE_1)
	s_or_b32 s0, s13, s0
	s_wait_xcnt 0x0
	s_and_saveexec_b32 s13, s0
	s_xor_b32 s0, exec_lo, s13
	s_cbranch_execnz .LBB78_1288
.LBB78_905:
	s_or_saveexec_b32 s13, s0
	s_mov_b32 s16, 0
	s_mov_b32 s19, 0
                                        ; implicit-def: $sgpr0
                                        ; implicit-def: $vgpr2_vgpr3
	s_xor_b32 exec_lo, exec_lo, s13
	s_cbranch_execz .LBB78_1727
; %bb.906:
	s_lshl_b32 s20, s3, 7
	s_cmp_lt_i32 s17, 11
	v_add_nc_u32_e32 v0, s20, v0
	s_delay_alu instid0(VALU_DEP_1) | instskip(NEXT) | instid1(VALU_DEP_1)
	v_ashrrev_i32_e32 v1, 31, v0
	v_add_nc_u64_e32 v[2:3], s[6:7], v[0:1]
	s_cbranch_scc1 .LBB78_915
; %bb.907:
	s_cmp_gt_i32 s17, 25
	s_cbranch_scc0 .LBB78_927
; %bb.908:
	s_cmp_gt_i32 s17, 28
	s_cbranch_scc0 .LBB78_929
	;; [unrolled: 3-line block ×4, first 2 shown]
; %bb.911:
	s_cmp_eq_u32 s17, 46
	s_mov_b32 s3, 0
	s_cbranch_scc0 .LBB78_1042
; %bb.912:
	global_load_b32 v1, v[2:3], off
	s_mov_b32 s0, 0
	s_mov_b32 s18, -1
	s_wait_loadcnt 0x0
	v_lshlrev_b32_e32 v1, 16, v1
	s_delay_alu instid0(VALU_DEP_1) | instskip(NEXT) | instid1(VALU_DEP_1)
	v_trunc_f32_e32 v1, v1
	v_mul_f32_e64 v4, 0x2f800000, |v1|
	s_delay_alu instid0(VALU_DEP_1) | instskip(SKIP_1) | instid1(VALU_DEP_2)
	v_floor_f32_e32 v5, v4
	v_ashrrev_i32_e32 v4, 31, v1
	v_fma_f32 v7, 0xcf800000, v5, |v1|
	v_cvt_u32_f32_e32 v1, v5
	s_delay_alu instid0(VALU_DEP_3) | instskip(NEXT) | instid1(VALU_DEP_3)
	v_mov_b32_e32 v5, v4
	v_cvt_u32_f32_e32 v7, v7
	s_delay_alu instid0(VALU_DEP_3) | instskip(NEXT) | instid1(VALU_DEP_2)
	v_xor_b32_e32 v9, v1, v4
	v_xor_b32_e32 v8, v7, v4
	s_delay_alu instid0(VALU_DEP_1)
	v_sub_nc_u64_e32 v[4:5], v[8:9], v[4:5]
	s_branch .LBB78_1044
.LBB78_913:
	s_mov_b32 s16, 0
	s_mov_b32 s0, 0
                                        ; implicit-def: $vgpr4_vgpr5
	s_cbranch_execnz .LBB78_960
	s_branch .LBB78_989
.LBB78_914:
	s_mov_b32 s16, 0
	s_mov_b32 s0, 0
                                        ; implicit-def: $vgpr4_vgpr5
	s_cbranch_execz .LBB78_959
	s_branch .LBB78_944
.LBB78_915:
	s_mov_b32 s18, 0
	s_mov_b32 s3, s1
                                        ; implicit-def: $vgpr4_vgpr5
	s_cbranch_execnz .LBB78_1107
.LBB78_916:
	s_and_not1_b32 vcc_lo, exec_lo, s18
	s_cbranch_vccnz .LBB78_1155
.LBB78_917:
	s_wait_loadcnt 0x0
	s_delay_alu instid0(VALU_DEP_1) | instskip(SKIP_4) | instid1(SALU_CYCLE_1)
	v_cmp_gt_i64_e32 vcc_lo, s[8:9], v[4:5]
	v_cmp_le_i64_e64 s0, s[10:11], v[4:5]
	s_or_b32 s0, vcc_lo, s0
	s_wait_xcnt 0x0
	s_and_saveexec_b32 s16, s0
	s_xor_b32 s0, exec_lo, s16
	s_cbranch_execnz .LBB78_1775
.LBB78_918:
	s_or_saveexec_b32 s16, s0
	s_mov_b32 s18, 0
	s_mov_b32 s19, 0
                                        ; implicit-def: $sgpr0
                                        ; implicit-def: $vgpr2_vgpr3
	s_xor_b32 exec_lo, exec_lo, s16
	s_cbranch_execz .LBB78_1725
; %bb.919:
	v_add_nc_u32_e32 v0, s20, v0
	s_cmp_lt_i32 s17, 11
	s_delay_alu instid0(VALU_DEP_1) | instskip(NEXT) | instid1(VALU_DEP_1)
	v_ashrrev_i32_e32 v1, 31, v0
	v_add_nc_u64_e32 v[2:3], s[6:7], v[0:1]
	s_cbranch_scc1 .LBB78_930
; %bb.920:
	s_cmp_gt_i32 s17, 25
	s_cbranch_scc0 .LBB78_938
; %bb.921:
	s_cmp_gt_i32 s17, 28
	s_cbranch_scc0 .LBB78_1041
	;; [unrolled: 3-line block ×4, first 2 shown]
; %bb.924:
	s_cmp_eq_u32 s17, 46
	s_cbranch_scc0 .LBB78_1158
; %bb.925:
	global_load_b32 v1, v[2:3], off
	s_mov_b32 s0, 0
	s_mov_b32 s21, -1
	s_wait_loadcnt 0x0
	v_lshlrev_b32_e32 v1, 16, v1
	s_delay_alu instid0(VALU_DEP_1) | instskip(NEXT) | instid1(VALU_DEP_1)
	v_trunc_f32_e32 v1, v1
	v_mul_f32_e64 v4, 0x2f800000, |v1|
	s_delay_alu instid0(VALU_DEP_1) | instskip(SKIP_1) | instid1(VALU_DEP_2)
	v_floor_f32_e32 v5, v4
	v_ashrrev_i32_e32 v4, 31, v1
	v_fma_f32 v7, 0xcf800000, v5, |v1|
	v_cvt_u32_f32_e32 v1, v5
	s_delay_alu instid0(VALU_DEP_3) | instskip(NEXT) | instid1(VALU_DEP_3)
	v_mov_b32_e32 v5, v4
	v_cvt_u32_f32_e32 v7, v7
	s_delay_alu instid0(VALU_DEP_3) | instskip(NEXT) | instid1(VALU_DEP_2)
	v_xor_b32_e32 v9, v1, v4
	v_xor_b32_e32 v8, v7, v4
	s_delay_alu instid0(VALU_DEP_1)
	v_sub_nc_u64_e32 v[4:5], v[8:9], v[4:5]
	s_branch .LBB78_1160
.LBB78_926:
	s_mov_b32 s16, 0
	s_mov_b32 s0, 0
                                        ; implicit-def: $vgpr4_vgpr5
	s_cbranch_execnz .LBB78_940
	s_branch .LBB78_943
.LBB78_927:
	s_mov_b32 s3, -1
	s_mov_b32 s18, 0
	s_mov_b32 s0, 0
                                        ; implicit-def: $vgpr4_vgpr5
	s_branch .LBB78_1072
.LBB78_928:
	s_mov_b32 s1, -1
	s_mov_b32 s16, 0
	s_mov_b32 s0, 0
	s_branch .LBB78_932
.LBB78_929:
	s_mov_b32 s3, -1
	s_mov_b32 s18, 0
	s_mov_b32 s0, 0
                                        ; implicit-def: $vgpr4_vgpr5
	s_branch .LBB78_1055
.LBB78_930:
	s_mov_b32 s0, -1
	s_mov_b32 s21, 0
	s_mov_b32 s18, s3
                                        ; implicit-def: $vgpr4_vgpr5
	s_branch .LBB78_1222
.LBB78_931:
	s_mov_b32 s0, -1
	s_mov_b32 s16, 0
.LBB78_932:
                                        ; implicit-def: $vgpr4_vgpr5
.LBB78_933:
	s_and_b32 vcc_lo, exec_lo, s1
	s_cbranch_vccz .LBB78_936
; %bb.934:
	s_cmp_eq_u32 s17, 44
	s_cbranch_scc0 .LBB78_939
; %bb.935:
	global_load_u8 v1, v[2:3], off
	s_mov_b32 s0, 0
	s_mov_b32 s16, -1
	s_wait_loadcnt 0x0
	v_lshlrev_b32_e32 v4, 23, v1
	v_cmp_ne_u32_e32 vcc_lo, 0, v1
	s_delay_alu instid0(VALU_DEP_2) | instskip(NEXT) | instid1(VALU_DEP_1)
	v_trunc_f32_e32 v4, v4
	v_mul_f32_e64 v5, 0x2f800000, |v4|
	s_delay_alu instid0(VALU_DEP_1) | instskip(NEXT) | instid1(VALU_DEP_1)
	v_floor_f32_e32 v5, v5
	v_fma_f32 v7, 0xcf800000, v5, |v4|
	v_ashrrev_i32_e32 v4, 31, v4
	v_cvt_u32_f32_e32 v8, v5
	s_delay_alu instid0(VALU_DEP_3) | instskip(NEXT) | instid1(VALU_DEP_3)
	v_cvt_u32_f32_e32 v7, v7
	v_mov_b32_e32 v5, v4
	s_delay_alu instid0(VALU_DEP_3) | instskip(NEXT) | instid1(VALU_DEP_3)
	v_xor_b32_e32 v9, v8, v4
	v_xor_b32_e32 v8, v7, v4
	s_delay_alu instid0(VALU_DEP_1) | instskip(NEXT) | instid1(VALU_DEP_1)
	v_sub_nc_u64_e32 v[4:5], v[8:9], v[4:5]
	v_dual_cndmask_b32 v5, 0, v5 :: v_dual_cndmask_b32 v4, 0, v4
.LBB78_936:
	s_branch .LBB78_943
.LBB78_937:
	s_mov_b32 s3, -1
	s_mov_b32 s18, 0
	s_mov_b32 s0, 0
                                        ; implicit-def: $vgpr4_vgpr5
	s_branch .LBB78_1050
.LBB78_938:
	s_mov_b32 s18, -1
	s_mov_b32 s21, 0
	s_mov_b32 s0, 0
                                        ; implicit-def: $vgpr4_vgpr5
	s_branch .LBB78_1187
.LBB78_939:
	s_mov_b32 s0, -1
                                        ; implicit-def: $vgpr4_vgpr5
	s_branch .LBB78_943
.LBB78_940:
	s_cmp_eq_u32 s17, 29
	s_cbranch_scc0 .LBB78_942
; %bb.941:
	global_load_b64 v[4:5], v[2:3], off
	s_mov_b32 s0, 0
	s_mov_b32 s16, -1
	s_branch .LBB78_943
.LBB78_942:
	s_mov_b32 s0, -1
                                        ; implicit-def: $vgpr4_vgpr5
.LBB78_943:
	s_branch .LBB78_959
.LBB78_944:
	s_cmp_lt_i32 s17, 27
	s_cbranch_scc1 .LBB78_947
; %bb.945:
	s_cmp_gt_i32 s17, 27
	s_cbranch_scc0 .LBB78_948
; %bb.946:
	s_wait_loadcnt 0x0
	global_load_b32 v4, v[2:3], off
	v_mov_b32_e32 v5, 0
	s_mov_b32 s1, 0
	s_branch .LBB78_949
.LBB78_947:
	s_mov_b32 s1, -1
                                        ; implicit-def: $vgpr4_vgpr5
	s_branch .LBB78_952
.LBB78_948:
	s_mov_b32 s1, -1
                                        ; implicit-def: $vgpr4_vgpr5
.LBB78_949:
	s_delay_alu instid0(SALU_CYCLE_1)
	s_and_not1_b32 vcc_lo, exec_lo, s1
	s_cbranch_vccnz .LBB78_951
; %bb.950:
	global_load_u16 v1, v[2:3], off
	s_mov_b32 s1, 0
	s_wait_loadcnt 0x1
	v_mov_b32_e32 v5, s1
	s_wait_loadcnt 0x0
	v_and_b32_e32 v4, 0xffff, v1
.LBB78_951:
	s_mov_b32 s1, 0
.LBB78_952:
	s_delay_alu instid0(SALU_CYCLE_1)
	s_and_not1_b32 vcc_lo, exec_lo, s1
	s_cbranch_vccnz .LBB78_958
; %bb.953:
	global_load_u8 v1, v[2:3], off
	s_mov_b32 s16, 0
	s_mov_b32 s1, exec_lo
	s_wait_loadcnt 0x0
	v_cmpx_lt_i16_e32 0x7f, v1
	s_xor_b32 s1, exec_lo, s1
	s_cbranch_execz .LBB78_969
; %bb.954:
	v_cmp_ne_u16_e32 vcc_lo, 0x80, v1
	s_and_b32 s16, vcc_lo, exec_lo
	s_and_not1_saveexec_b32 s1, s1
	s_cbranch_execnz .LBB78_970
.LBB78_955:
	s_or_b32 exec_lo, exec_lo, s1
	v_mov_b64_e32 v[4:5], 0
	s_and_saveexec_b32 s1, s16
	s_cbranch_execz .LBB78_957
.LBB78_956:
	v_and_b32_e32 v4, 0xffff, v1
	s_delay_alu instid0(VALU_DEP_1) | instskip(SKIP_1) | instid1(VALU_DEP_2)
	v_and_b32_e32 v5, 7, v4
	v_bfe_u32 v9, v4, 3, 4
	v_clz_i32_u32_e32 v7, v5
	s_delay_alu instid0(VALU_DEP_2) | instskip(NEXT) | instid1(VALU_DEP_2)
	v_cmp_eq_u32_e32 vcc_lo, 0, v9
	v_min_u32_e32 v7, 32, v7
	s_delay_alu instid0(VALU_DEP_1) | instskip(NEXT) | instid1(VALU_DEP_1)
	v_subrev_nc_u32_e32 v8, 28, v7
	v_dual_lshlrev_b32 v4, v8, v4 :: v_dual_sub_nc_u32 v7, 29, v7
	s_delay_alu instid0(VALU_DEP_1) | instskip(NEXT) | instid1(VALU_DEP_2)
	v_dual_lshlrev_b32 v1, 24, v1 :: v_dual_bitop2_b32 v4, 7, v4 bitop3:0x40
	v_cndmask_b32_e32 v7, v9, v7, vcc_lo
	s_delay_alu instid0(VALU_DEP_2) | instskip(NEXT) | instid1(VALU_DEP_3)
	v_cndmask_b32_e32 v4, v5, v4, vcc_lo
	v_and_b32_e32 v1, 0x80000000, v1
	s_delay_alu instid0(VALU_DEP_3) | instskip(NEXT) | instid1(VALU_DEP_3)
	v_lshl_add_u32 v5, v7, 23, 0x3b800000
	v_lshlrev_b32_e32 v4, 20, v4
	s_delay_alu instid0(VALU_DEP_1) | instskip(NEXT) | instid1(VALU_DEP_1)
	v_or3_b32 v1, v1, v5, v4
	v_trunc_f32_e32 v1, v1
	s_delay_alu instid0(VALU_DEP_1) | instskip(NEXT) | instid1(VALU_DEP_1)
	v_mul_f32_e64 v4, 0x2f800000, |v1|
	v_floor_f32_e32 v5, v4
	v_ashrrev_i32_e32 v4, 31, v1
	s_delay_alu instid0(VALU_DEP_2) | instskip(SKIP_1) | instid1(VALU_DEP_3)
	v_fma_f32 v7, 0xcf800000, v5, |v1|
	v_cvt_u32_f32_e32 v1, v5
	v_mov_b32_e32 v5, v4
	s_delay_alu instid0(VALU_DEP_3) | instskip(NEXT) | instid1(VALU_DEP_3)
	v_cvt_u32_f32_e32 v7, v7
	v_xor_b32_e32 v9, v1, v4
	s_delay_alu instid0(VALU_DEP_2) | instskip(NEXT) | instid1(VALU_DEP_1)
	v_xor_b32_e32 v8, v7, v4
	v_sub_nc_u64_e32 v[4:5], v[8:9], v[4:5]
.LBB78_957:
	s_or_b32 exec_lo, exec_lo, s1
.LBB78_958:
	s_mov_b32 s16, -1
.LBB78_959:
	s_branch .LBB78_989
.LBB78_960:
	s_cmp_gt_i32 s17, 22
	s_cbranch_scc0 .LBB78_968
; %bb.961:
	s_cmp_lt_i32 s17, 24
	s_cbranch_scc1 .LBB78_971
; %bb.962:
	s_cmp_gt_i32 s17, 24
	s_cbranch_scc0 .LBB78_972
; %bb.963:
	global_load_u8 v1, v[2:3], off
	s_mov_b32 s1, exec_lo
	s_wait_loadcnt 0x0
	v_cmpx_lt_i16_e32 0x7f, v1
	s_xor_b32 s1, exec_lo, s1
	s_cbranch_execz .LBB78_983
; %bb.964:
	v_cmp_ne_u16_e32 vcc_lo, 0x80, v1
	s_and_b32 s13, vcc_lo, exec_lo
	s_and_not1_saveexec_b32 s1, s1
	s_cbranch_execnz .LBB78_984
.LBB78_965:
	s_or_b32 exec_lo, exec_lo, s1
	v_mov_b64_e32 v[4:5], 0
	s_and_saveexec_b32 s1, s13
	s_cbranch_execz .LBB78_967
.LBB78_966:
	v_and_b32_e32 v4, 0xffff, v1
	s_delay_alu instid0(VALU_DEP_1) | instskip(SKIP_1) | instid1(VALU_DEP_2)
	v_and_b32_e32 v5, 3, v4
	v_bfe_u32 v9, v4, 2, 5
	v_clz_i32_u32_e32 v7, v5
	s_delay_alu instid0(VALU_DEP_2) | instskip(NEXT) | instid1(VALU_DEP_2)
	v_cmp_eq_u32_e32 vcc_lo, 0, v9
	v_min_u32_e32 v7, 32, v7
	s_delay_alu instid0(VALU_DEP_1) | instskip(NEXT) | instid1(VALU_DEP_1)
	v_subrev_nc_u32_e32 v8, 29, v7
	v_dual_lshlrev_b32 v4, v8, v4 :: v_dual_sub_nc_u32 v7, 30, v7
	s_delay_alu instid0(VALU_DEP_1) | instskip(NEXT) | instid1(VALU_DEP_2)
	v_dual_lshlrev_b32 v1, 24, v1 :: v_dual_bitop2_b32 v4, 3, v4 bitop3:0x40
	v_cndmask_b32_e32 v7, v9, v7, vcc_lo
	s_delay_alu instid0(VALU_DEP_2) | instskip(NEXT) | instid1(VALU_DEP_3)
	v_cndmask_b32_e32 v4, v5, v4, vcc_lo
	v_and_b32_e32 v1, 0x80000000, v1
	s_delay_alu instid0(VALU_DEP_3) | instskip(NEXT) | instid1(VALU_DEP_3)
	v_lshl_add_u32 v5, v7, 23, 0x37800000
	v_lshlrev_b32_e32 v4, 21, v4
	s_delay_alu instid0(VALU_DEP_1) | instskip(NEXT) | instid1(VALU_DEP_1)
	v_or3_b32 v1, v1, v5, v4
	v_trunc_f32_e32 v1, v1
	s_delay_alu instid0(VALU_DEP_1) | instskip(NEXT) | instid1(VALU_DEP_1)
	v_mul_f32_e64 v4, 0x2f800000, |v1|
	v_floor_f32_e32 v5, v4
	v_ashrrev_i32_e32 v4, 31, v1
	s_delay_alu instid0(VALU_DEP_2) | instskip(SKIP_1) | instid1(VALU_DEP_3)
	v_fma_f32 v7, 0xcf800000, v5, |v1|
	v_cvt_u32_f32_e32 v1, v5
	v_mov_b32_e32 v5, v4
	s_delay_alu instid0(VALU_DEP_3) | instskip(NEXT) | instid1(VALU_DEP_3)
	v_cvt_u32_f32_e32 v7, v7
	v_xor_b32_e32 v9, v1, v4
	s_delay_alu instid0(VALU_DEP_2) | instskip(NEXT) | instid1(VALU_DEP_1)
	v_xor_b32_e32 v8, v7, v4
	v_sub_nc_u64_e32 v[4:5], v[8:9], v[4:5]
.LBB78_967:
	s_or_b32 exec_lo, exec_lo, s1
	s_mov_b32 s1, 0
	s_branch .LBB78_973
.LBB78_968:
                                        ; implicit-def: $vgpr4_vgpr5
	s_mov_b32 s13, 0
	s_branch .LBB78_979
.LBB78_969:
	s_and_not1_saveexec_b32 s1, s1
	s_cbranch_execz .LBB78_955
.LBB78_970:
	v_cmp_ne_u16_e32 vcc_lo, 0, v1
	s_and_not1_b32 s16, s16, exec_lo
	s_and_b32 s18, vcc_lo, exec_lo
	s_delay_alu instid0(SALU_CYCLE_1)
	s_or_b32 s16, s16, s18
	s_or_b32 exec_lo, exec_lo, s1
	v_mov_b64_e32 v[4:5], 0
	s_and_saveexec_b32 s1, s16
	s_cbranch_execnz .LBB78_956
	s_branch .LBB78_957
.LBB78_971:
	s_mov_b32 s1, -1
                                        ; implicit-def: $vgpr4_vgpr5
	s_branch .LBB78_976
.LBB78_972:
	s_mov_b32 s1, -1
                                        ; implicit-def: $vgpr4_vgpr5
.LBB78_973:
	s_delay_alu instid0(SALU_CYCLE_1)
	s_and_b32 vcc_lo, exec_lo, s1
	s_cbranch_vccz .LBB78_975
; %bb.974:
	global_load_u8 v1, v[2:3], off
	s_wait_loadcnt 0x0
	v_lshlrev_b32_e32 v1, 24, v1
	s_delay_alu instid0(VALU_DEP_1) | instskip(NEXT) | instid1(VALU_DEP_1)
	v_and_b32_e32 v4, 0x7f000000, v1
	v_clz_i32_u32_e32 v5, v4
	v_add_nc_u32_e32 v8, 0x1000000, v4
	v_cmp_ne_u32_e32 vcc_lo, 0, v4
	s_delay_alu instid0(VALU_DEP_3) | instskip(NEXT) | instid1(VALU_DEP_1)
	v_min_u32_e32 v5, 32, v5
	v_sub_nc_u32_e64 v5, v5, 4 clamp
	s_delay_alu instid0(VALU_DEP_1) | instskip(NEXT) | instid1(VALU_DEP_1)
	v_dual_lshlrev_b32 v7, v5, v4 :: v_dual_lshlrev_b32 v5, 23, v5
	v_lshrrev_b32_e32 v7, 4, v7
	s_delay_alu instid0(VALU_DEP_1) | instskip(NEXT) | instid1(VALU_DEP_1)
	v_dual_sub_nc_u32 v5, v7, v5 :: v_dual_ashrrev_i32 v7, 8, v8
	v_add_nc_u32_e32 v5, 0x3c000000, v5
	s_delay_alu instid0(VALU_DEP_1) | instskip(NEXT) | instid1(VALU_DEP_1)
	v_and_or_b32 v5, 0x7f800000, v7, v5
	v_cndmask_b32_e32 v4, 0, v5, vcc_lo
	s_delay_alu instid0(VALU_DEP_1) | instskip(NEXT) | instid1(VALU_DEP_1)
	v_and_or_b32 v1, 0x80000000, v1, v4
	v_trunc_f32_e32 v1, v1
	s_delay_alu instid0(VALU_DEP_1) | instskip(NEXT) | instid1(VALU_DEP_1)
	v_mul_f32_e64 v4, 0x2f800000, |v1|
	v_floor_f32_e32 v5, v4
	v_ashrrev_i32_e32 v4, 31, v1
	s_delay_alu instid0(VALU_DEP_2) | instskip(SKIP_1) | instid1(VALU_DEP_3)
	v_fma_f32 v7, 0xcf800000, v5, |v1|
	v_cvt_u32_f32_e32 v1, v5
	v_mov_b32_e32 v5, v4
	s_delay_alu instid0(VALU_DEP_3) | instskip(NEXT) | instid1(VALU_DEP_3)
	v_cvt_u32_f32_e32 v7, v7
	v_xor_b32_e32 v9, v1, v4
	s_delay_alu instid0(VALU_DEP_2) | instskip(NEXT) | instid1(VALU_DEP_1)
	v_xor_b32_e32 v8, v7, v4
	v_sub_nc_u64_e32 v[4:5], v[8:9], v[4:5]
.LBB78_975:
	s_mov_b32 s1, 0
.LBB78_976:
	s_delay_alu instid0(SALU_CYCLE_1)
	s_and_not1_b32 vcc_lo, exec_lo, s1
	s_cbranch_vccnz .LBB78_978
; %bb.977:
	global_load_u8 v1, v[2:3], off
	s_wait_loadcnt 0x0
	v_lshlrev_b32_e32 v4, 25, v1
	v_lshlrev_b16 v1, 8, v1
	s_delay_alu instid0(VALU_DEP_1) | instskip(SKIP_1) | instid1(VALU_DEP_2)
	v_and_or_b32 v7, 0x7f00, v1, 0.5
	v_bfe_i32 v1, v1, 0, 16
	v_dual_add_f32 v7, -0.5, v7 :: v_dual_lshrrev_b32 v5, 4, v4
	v_cmp_gt_u32_e32 vcc_lo, 0x8000000, v4
	s_delay_alu instid0(VALU_DEP_2) | instskip(NEXT) | instid1(VALU_DEP_1)
	v_or_b32_e32 v5, 0x70000000, v5
	v_mul_f32_e32 v5, 0x7800000, v5
	s_delay_alu instid0(VALU_DEP_1) | instskip(NEXT) | instid1(VALU_DEP_1)
	v_cndmask_b32_e32 v4, v5, v7, vcc_lo
	v_and_or_b32 v1, 0x80000000, v1, v4
	s_delay_alu instid0(VALU_DEP_1) | instskip(NEXT) | instid1(VALU_DEP_1)
	v_trunc_f32_e32 v1, v1
	v_mul_f32_e64 v4, 0x2f800000, |v1|
	s_delay_alu instid0(VALU_DEP_1) | instskip(SKIP_1) | instid1(VALU_DEP_2)
	v_floor_f32_e32 v5, v4
	v_ashrrev_i32_e32 v4, 31, v1
	v_fma_f32 v7, 0xcf800000, v5, |v1|
	v_cvt_u32_f32_e32 v1, v5
	s_delay_alu instid0(VALU_DEP_3) | instskip(NEXT) | instid1(VALU_DEP_3)
	v_mov_b32_e32 v5, v4
	v_cvt_u32_f32_e32 v7, v7
	s_delay_alu instid0(VALU_DEP_3) | instskip(NEXT) | instid1(VALU_DEP_2)
	v_xor_b32_e32 v9, v1, v4
	v_xor_b32_e32 v8, v7, v4
	s_delay_alu instid0(VALU_DEP_1)
	v_sub_nc_u64_e32 v[4:5], v[8:9], v[4:5]
.LBB78_978:
	s_mov_b32 s16, -1
	s_mov_b32 s13, 0
	s_cbranch_execnz .LBB78_989
.LBB78_979:
	s_cmp_gt_i32 s17, 14
	s_cbranch_scc0 .LBB78_982
; %bb.980:
	s_cmp_eq_u32 s17, 15
	s_cbranch_scc0 .LBB78_985
; %bb.981:
	global_load_u16 v1, v[2:3], off
	s_mov_b32 s0, 0
	s_mov_b32 s16, -1
	s_wait_loadcnt 0x0
	v_lshlrev_b32_e32 v1, 16, v1
	s_delay_alu instid0(VALU_DEP_1) | instskip(NEXT) | instid1(VALU_DEP_1)
	v_trunc_f32_e32 v1, v1
	v_mul_f32_e64 v4, 0x2f800000, |v1|
	s_delay_alu instid0(VALU_DEP_1) | instskip(SKIP_1) | instid1(VALU_DEP_2)
	v_floor_f32_e32 v5, v4
	v_ashrrev_i32_e32 v4, 31, v1
	v_fma_f32 v7, 0xcf800000, v5, |v1|
	v_cvt_u32_f32_e32 v1, v5
	s_delay_alu instid0(VALU_DEP_3) | instskip(NEXT) | instid1(VALU_DEP_3)
	v_mov_b32_e32 v5, v4
	v_cvt_u32_f32_e32 v7, v7
	s_delay_alu instid0(VALU_DEP_3) | instskip(NEXT) | instid1(VALU_DEP_2)
	v_xor_b32_e32 v9, v1, v4
	v_xor_b32_e32 v8, v7, v4
	s_delay_alu instid0(VALU_DEP_1)
	v_sub_nc_u64_e32 v[4:5], v[8:9], v[4:5]
	s_branch .LBB78_986
.LBB78_982:
	s_mov_b32 s1, -1
                                        ; implicit-def: $vgpr4_vgpr5
	s_branch .LBB78_987
.LBB78_983:
	s_and_not1_saveexec_b32 s1, s1
	s_cbranch_execz .LBB78_965
.LBB78_984:
	v_cmp_ne_u16_e32 vcc_lo, 0, v1
	s_and_not1_b32 s13, s13, exec_lo
	s_and_b32 s16, vcc_lo, exec_lo
	s_delay_alu instid0(SALU_CYCLE_1)
	s_or_b32 s13, s13, s16
	s_or_b32 exec_lo, exec_lo, s1
	v_mov_b64_e32 v[4:5], 0
	s_and_saveexec_b32 s1, s13
	s_cbranch_execnz .LBB78_966
	s_branch .LBB78_967
.LBB78_985:
	s_mov_b32 s0, -1
                                        ; implicit-def: $vgpr4_vgpr5
.LBB78_986:
	s_mov_b32 s1, 0
.LBB78_987:
	s_delay_alu instid0(SALU_CYCLE_1)
	s_and_b32 vcc_lo, exec_lo, s1
	s_cbranch_vccz .LBB78_989
; %bb.988:
	s_cmp_lg_u32 s17, 11
	s_mov_b32 s13, -1
	s_cselect_b32 s0, -1, 0
.LBB78_989:
	s_delay_alu instid0(SALU_CYCLE_1)
	s_and_b32 vcc_lo, exec_lo, s0
	s_mov_b32 s1, s15
	s_cbranch_vccnz .LBB78_1039
; %bb.990:
	s_and_not1_b32 vcc_lo, exec_lo, s13
	s_cbranch_vccnz .LBB78_992
.LBB78_991:
	global_load_u8 v1, v[2:3], off
	s_mov_b32 s0, 0
	s_mov_b32 s16, -1
	s_wait_loadcnt 0x1
	v_mov_b32_e32 v5, s0
	s_wait_loadcnt 0x0
	v_cmp_ne_u16_e32 vcc_lo, 0, v1
	v_cndmask_b32_e64 v4, 0, 1, vcc_lo
.LBB78_992:
	s_branch .LBB78_903
.LBB78_993:
	s_cmp_lt_i32 s17, 5
	s_cbranch_scc1 .LBB78_998
; %bb.994:
	s_cmp_lt_i32 s17, 8
	s_cbranch_scc1 .LBB78_999
; %bb.995:
	;; [unrolled: 3-line block ×3, first 2 shown]
	s_cmp_gt_i32 s17, 9
	s_cbranch_scc0 .LBB78_1001
; %bb.997:
	s_wait_loadcnt 0x0
	global_load_b64 v[4:5], v[2:3], off
	s_mov_b32 s0, 0
	s_wait_loadcnt 0x0
	v_trunc_f64_e32 v[4:5], v[4:5]
	s_delay_alu instid0(VALU_DEP_1) | instskip(NEXT) | instid1(VALU_DEP_1)
	v_ldexp_f64 v[8:9], v[4:5], 0xffffffe0
	v_floor_f64_e32 v[8:9], v[8:9]
	s_delay_alu instid0(VALU_DEP_1) | instskip(SKIP_1) | instid1(VALU_DEP_2)
	v_fmamk_f64 v[10:11], v[8:9], 0xc1f00000, v[4:5]
	v_cvt_i32_f64_e32 v5, v[8:9]
	v_cvt_u32_f64_e32 v4, v[10:11]
	s_branch .LBB78_1002
.LBB78_998:
                                        ; implicit-def: $vgpr4_vgpr5
	s_branch .LBB78_1019
.LBB78_999:
                                        ; implicit-def: $vgpr4_vgpr5
	s_branch .LBB78_1008
.LBB78_1000:
	s_mov_b32 s0, -1
                                        ; implicit-def: $vgpr4_vgpr5
	s_branch .LBB78_1005
.LBB78_1001:
	s_mov_b32 s0, -1
                                        ; implicit-def: $vgpr4_vgpr5
.LBB78_1002:
	s_delay_alu instid0(SALU_CYCLE_1)
	s_and_not1_b32 vcc_lo, exec_lo, s0
	s_cbranch_vccnz .LBB78_1004
; %bb.1003:
	global_load_b32 v1, v[2:3], off
	s_wait_loadcnt 0x0
	v_trunc_f32_e32 v1, v1
	s_delay_alu instid0(VALU_DEP_1) | instskip(NEXT) | instid1(VALU_DEP_1)
	v_mul_f32_e64 v4, 0x2f800000, |v1|
	v_floor_f32_e32 v5, v4
	v_ashrrev_i32_e32 v4, 31, v1
	s_delay_alu instid0(VALU_DEP_2) | instskip(SKIP_1) | instid1(VALU_DEP_3)
	v_fma_f32 v7, 0xcf800000, v5, |v1|
	v_cvt_u32_f32_e32 v1, v5
	v_mov_b32_e32 v5, v4
	s_delay_alu instid0(VALU_DEP_3) | instskip(NEXT) | instid1(VALU_DEP_3)
	v_cvt_u32_f32_e32 v7, v7
	v_xor_b32_e32 v9, v1, v4
	s_delay_alu instid0(VALU_DEP_2) | instskip(NEXT) | instid1(VALU_DEP_1)
	v_xor_b32_e32 v8, v7, v4
	v_sub_nc_u64_e32 v[4:5], v[8:9], v[4:5]
.LBB78_1004:
	s_mov_b32 s0, 0
.LBB78_1005:
	s_delay_alu instid0(SALU_CYCLE_1)
	s_and_not1_b32 vcc_lo, exec_lo, s0
	s_cbranch_vccnz .LBB78_1007
; %bb.1006:
	global_load_b32 v1, v[2:3], off
	s_wait_loadcnt 0x0
	v_cvt_f32_f16_e32 v1, v1
	s_delay_alu instid0(VALU_DEP_1) | instskip(NEXT) | instid1(VALU_DEP_1)
	v_cvt_i32_f32_e32 v4, v1
	v_ashrrev_i32_e32 v5, 31, v4
.LBB78_1007:
	s_cbranch_execnz .LBB78_1018
.LBB78_1008:
	s_cmp_lt_i32 s17, 6
	s_cbranch_scc1 .LBB78_1011
; %bb.1009:
	s_cmp_gt_i32 s17, 6
	s_cbranch_scc0 .LBB78_1012
; %bb.1010:
	s_wait_loadcnt 0x0
	global_load_b64 v[4:5], v[2:3], off
	s_mov_b32 s0, 0
	s_wait_loadcnt 0x0
	v_trunc_f64_e32 v[4:5], v[4:5]
	s_delay_alu instid0(VALU_DEP_1) | instskip(NEXT) | instid1(VALU_DEP_1)
	v_ldexp_f64 v[8:9], v[4:5], 0xffffffe0
	v_floor_f64_e32 v[8:9], v[8:9]
	s_delay_alu instid0(VALU_DEP_1) | instskip(SKIP_1) | instid1(VALU_DEP_2)
	v_fmamk_f64 v[10:11], v[8:9], 0xc1f00000, v[4:5]
	v_cvt_i32_f64_e32 v5, v[8:9]
	v_cvt_u32_f64_e32 v4, v[10:11]
	s_branch .LBB78_1013
.LBB78_1011:
	s_mov_b32 s0, -1
                                        ; implicit-def: $vgpr4_vgpr5
	s_branch .LBB78_1016
.LBB78_1012:
	s_mov_b32 s0, -1
                                        ; implicit-def: $vgpr4_vgpr5
.LBB78_1013:
	s_delay_alu instid0(SALU_CYCLE_1)
	s_and_not1_b32 vcc_lo, exec_lo, s0
	s_cbranch_vccnz .LBB78_1015
; %bb.1014:
	global_load_b32 v1, v[2:3], off
	s_wait_loadcnt 0x0
	v_trunc_f32_e32 v1, v1
	s_delay_alu instid0(VALU_DEP_1) | instskip(NEXT) | instid1(VALU_DEP_1)
	v_mul_f32_e64 v4, 0x2f800000, |v1|
	v_floor_f32_e32 v5, v4
	v_ashrrev_i32_e32 v4, 31, v1
	s_delay_alu instid0(VALU_DEP_2) | instskip(SKIP_1) | instid1(VALU_DEP_3)
	v_fma_f32 v7, 0xcf800000, v5, |v1|
	v_cvt_u32_f32_e32 v1, v5
	v_mov_b32_e32 v5, v4
	s_delay_alu instid0(VALU_DEP_3) | instskip(NEXT) | instid1(VALU_DEP_3)
	v_cvt_u32_f32_e32 v7, v7
	v_xor_b32_e32 v9, v1, v4
	s_delay_alu instid0(VALU_DEP_2) | instskip(NEXT) | instid1(VALU_DEP_1)
	v_xor_b32_e32 v8, v7, v4
	v_sub_nc_u64_e32 v[4:5], v[8:9], v[4:5]
.LBB78_1015:
	s_mov_b32 s0, 0
.LBB78_1016:
	s_delay_alu instid0(SALU_CYCLE_1)
	s_and_not1_b32 vcc_lo, exec_lo, s0
	s_cbranch_vccnz .LBB78_1018
; %bb.1017:
	global_load_u16 v1, v[2:3], off
	s_wait_loadcnt 0x0
	v_cvt_f32_f16_e32 v1, v1
	s_delay_alu instid0(VALU_DEP_1) | instskip(NEXT) | instid1(VALU_DEP_1)
	v_cvt_i32_f32_e32 v4, v1
	v_ashrrev_i32_e32 v5, 31, v4
.LBB78_1018:
	s_cbranch_execnz .LBB78_1037
.LBB78_1019:
	s_cmp_lt_i32 s17, 2
	s_cbranch_scc1 .LBB78_1023
; %bb.1020:
	s_cmp_lt_i32 s17, 3
	s_cbranch_scc1 .LBB78_1024
; %bb.1021:
	s_cmp_gt_i32 s17, 3
	s_cbranch_scc0 .LBB78_1025
; %bb.1022:
	s_wait_loadcnt 0x0
	global_load_b64 v[4:5], v[2:3], off
	s_mov_b32 s0, 0
	s_branch .LBB78_1026
.LBB78_1023:
                                        ; implicit-def: $vgpr4_vgpr5
	s_branch .LBB78_1032
.LBB78_1024:
	s_mov_b32 s0, -1
                                        ; implicit-def: $vgpr4_vgpr5
	s_branch .LBB78_1029
.LBB78_1025:
	s_mov_b32 s0, -1
                                        ; implicit-def: $vgpr4_vgpr5
.LBB78_1026:
	s_delay_alu instid0(SALU_CYCLE_1)
	s_and_not1_b32 vcc_lo, exec_lo, s0
	s_cbranch_vccnz .LBB78_1028
; %bb.1027:
	s_wait_loadcnt 0x0
	global_load_b32 v4, v[2:3], off
	s_wait_loadcnt 0x0
	v_ashrrev_i32_e32 v5, 31, v4
.LBB78_1028:
	s_mov_b32 s0, 0
.LBB78_1029:
	s_delay_alu instid0(SALU_CYCLE_1)
	s_and_not1_b32 vcc_lo, exec_lo, s0
	s_cbranch_vccnz .LBB78_1031
; %bb.1030:
	global_load_u16 v1, v[2:3], off
	s_wait_loadcnt 0x0
	v_bfe_i32 v4, v1, 0, 16
	s_delay_alu instid0(VALU_DEP_1)
	v_ashrrev_i32_e32 v5, 31, v4
.LBB78_1031:
	s_cbranch_execnz .LBB78_1037
.LBB78_1032:
	s_cmp_gt_i32 s17, 0
	s_mov_b32 s0, 0
	s_cbranch_scc0 .LBB78_1034
; %bb.1033:
	global_load_i8 v1, v[2:3], off
	s_wait_loadcnt 0x0
	v_bfe_i32 v4, v1, 0, 16
	s_delay_alu instid0(VALU_DEP_1)
	v_ashrrev_i32_e32 v5, 31, v4
	s_branch .LBB78_1035
.LBB78_1034:
	s_mov_b32 s0, -1
                                        ; implicit-def: $vgpr4_vgpr5
.LBB78_1035:
	s_delay_alu instid0(SALU_CYCLE_1)
	s_and_not1_b32 vcc_lo, exec_lo, s0
	s_cbranch_vccnz .LBB78_1037
; %bb.1036:
	global_load_u8 v1, v[2:3], off
	s_mov_b32 s0, 0
	s_wait_loadcnt 0x1
	v_mov_b32_e32 v5, s0
	s_wait_loadcnt 0x0
	v_and_b32_e32 v4, 0xffff, v1
.LBB78_1037:
	s_branch .LBB78_904
.LBB78_1038:
	s_mov_b32 s16, 0
	s_mov_b32 s19, 0
                                        ; implicit-def: $sgpr0
                                        ; implicit-def: $vgpr2_vgpr3
	s_branch .LBB78_1728
.LBB78_1039:
	s_or_b32 s1, s15, exec_lo
	s_trap 2
	s_cbranch_execz .LBB78_991
	s_branch .LBB78_992
.LBB78_1040:
	s_mov_b32 s3, -1
	s_mov_b32 s18, 0
	s_mov_b32 s0, 0
	s_branch .LBB78_1043
.LBB78_1041:
	s_mov_b32 s18, -1
	s_mov_b32 s21, 0
	s_mov_b32 s0, 0
                                        ; implicit-def: $vgpr4_vgpr5
	s_branch .LBB78_1170
.LBB78_1042:
	s_mov_b32 s0, -1
	s_mov_b32 s18, 0
.LBB78_1043:
                                        ; implicit-def: $vgpr4_vgpr5
.LBB78_1044:
	s_and_b32 vcc_lo, exec_lo, s3
	s_cbranch_vccz .LBB78_1049
; %bb.1045:
	s_cmp_eq_u32 s17, 44
	s_cbranch_scc0 .LBB78_1048
; %bb.1046:
	global_load_u8 v1, v[2:3], off
	s_mov_b32 s0, 0
	s_mov_b32 s18, -1
	s_wait_loadcnt 0x0
	v_lshlrev_b32_e32 v4, 23, v1
	v_cmp_ne_u32_e32 vcc_lo, 0, v1
	s_delay_alu instid0(VALU_DEP_2) | instskip(NEXT) | instid1(VALU_DEP_1)
	v_trunc_f32_e32 v4, v4
	v_mul_f32_e64 v5, 0x2f800000, |v4|
	s_delay_alu instid0(VALU_DEP_1) | instskip(NEXT) | instid1(VALU_DEP_1)
	v_floor_f32_e32 v5, v5
	v_fma_f32 v7, 0xcf800000, v5, |v4|
	v_ashrrev_i32_e32 v4, 31, v4
	v_cvt_u32_f32_e32 v8, v5
	s_delay_alu instid0(VALU_DEP_3) | instskip(NEXT) | instid1(VALU_DEP_3)
	v_cvt_u32_f32_e32 v7, v7
	v_mov_b32_e32 v5, v4
	s_delay_alu instid0(VALU_DEP_3) | instskip(NEXT) | instid1(VALU_DEP_3)
	v_xor_b32_e32 v9, v8, v4
	v_xor_b32_e32 v8, v7, v4
	s_delay_alu instid0(VALU_DEP_1) | instskip(NEXT) | instid1(VALU_DEP_1)
	v_sub_nc_u64_e32 v[4:5], v[8:9], v[4:5]
	v_dual_cndmask_b32 v5, 0, v5 :: v_dual_cndmask_b32 v4, 0, v4
	s_branch .LBB78_1049
.LBB78_1047:
	s_mov_b32 s18, -1
	s_mov_b32 s21, 0
	s_mov_b32 s0, 0
                                        ; implicit-def: $vgpr4_vgpr5
	s_branch .LBB78_1165
.LBB78_1048:
	s_mov_b32 s0, -1
                                        ; implicit-def: $vgpr4_vgpr5
.LBB78_1049:
	s_mov_b32 s3, 0
.LBB78_1050:
	s_delay_alu instid0(SALU_CYCLE_1)
	s_and_b32 vcc_lo, exec_lo, s3
	s_cbranch_vccz .LBB78_1054
; %bb.1051:
	s_cmp_eq_u32 s17, 29
	s_cbranch_scc0 .LBB78_1053
; %bb.1052:
	global_load_b64 v[4:5], v[2:3], off
	s_mov_b32 s0, 0
	s_mov_b32 s18, -1
	s_branch .LBB78_1054
.LBB78_1053:
	s_mov_b32 s0, -1
                                        ; implicit-def: $vgpr4_vgpr5
.LBB78_1054:
	s_mov_b32 s3, 0
.LBB78_1055:
	s_delay_alu instid0(SALU_CYCLE_1)
	s_and_b32 vcc_lo, exec_lo, s3
	s_cbranch_vccz .LBB78_1071
; %bb.1056:
	s_cmp_lt_i32 s17, 27
	s_cbranch_scc1 .LBB78_1059
; %bb.1057:
	s_cmp_gt_i32 s17, 27
	s_cbranch_scc0 .LBB78_1060
; %bb.1058:
	s_wait_loadcnt 0x0
	global_load_b32 v4, v[2:3], off
	v_mov_b32_e32 v5, 0
	s_mov_b32 s3, 0
	s_branch .LBB78_1061
.LBB78_1059:
	s_mov_b32 s3, -1
                                        ; implicit-def: $vgpr4_vgpr5
	s_branch .LBB78_1064
.LBB78_1060:
	s_mov_b32 s3, -1
                                        ; implicit-def: $vgpr4_vgpr5
.LBB78_1061:
	s_delay_alu instid0(SALU_CYCLE_1)
	s_and_not1_b32 vcc_lo, exec_lo, s3
	s_cbranch_vccnz .LBB78_1063
; %bb.1062:
	global_load_u16 v1, v[2:3], off
	s_mov_b32 s3, 0
	s_wait_loadcnt 0x1
	v_mov_b32_e32 v5, s3
	s_wait_loadcnt 0x0
	v_and_b32_e32 v4, 0xffff, v1
.LBB78_1063:
	s_mov_b32 s3, 0
.LBB78_1064:
	s_delay_alu instid0(SALU_CYCLE_1)
	s_and_not1_b32 vcc_lo, exec_lo, s3
	s_cbranch_vccnz .LBB78_1070
; %bb.1065:
	global_load_u8 v1, v[2:3], off
	s_mov_b32 s18, 0
	s_mov_b32 s3, exec_lo
	s_wait_loadcnt 0x0
	v_cmpx_lt_i16_e32 0x7f, v1
	s_xor_b32 s3, exec_lo, s3
	s_cbranch_execz .LBB78_1082
; %bb.1066:
	v_cmp_ne_u16_e32 vcc_lo, 0x80, v1
	s_and_b32 s18, vcc_lo, exec_lo
	s_and_not1_saveexec_b32 s3, s3
	s_cbranch_execnz .LBB78_1083
.LBB78_1067:
	s_or_b32 exec_lo, exec_lo, s3
	v_mov_b64_e32 v[4:5], 0
	s_and_saveexec_b32 s3, s18
	s_cbranch_execz .LBB78_1069
.LBB78_1068:
	v_and_b32_e32 v4, 0xffff, v1
	s_delay_alu instid0(VALU_DEP_1) | instskip(SKIP_1) | instid1(VALU_DEP_2)
	v_and_b32_e32 v5, 7, v4
	v_bfe_u32 v9, v4, 3, 4
	v_clz_i32_u32_e32 v7, v5
	s_delay_alu instid0(VALU_DEP_2) | instskip(NEXT) | instid1(VALU_DEP_2)
	v_cmp_eq_u32_e32 vcc_lo, 0, v9
	v_min_u32_e32 v7, 32, v7
	s_delay_alu instid0(VALU_DEP_1) | instskip(NEXT) | instid1(VALU_DEP_1)
	v_subrev_nc_u32_e32 v8, 28, v7
	v_dual_lshlrev_b32 v4, v8, v4 :: v_dual_sub_nc_u32 v7, 29, v7
	s_delay_alu instid0(VALU_DEP_1) | instskip(NEXT) | instid1(VALU_DEP_2)
	v_dual_lshlrev_b32 v1, 24, v1 :: v_dual_bitop2_b32 v4, 7, v4 bitop3:0x40
	v_cndmask_b32_e32 v7, v9, v7, vcc_lo
	s_delay_alu instid0(VALU_DEP_2) | instskip(NEXT) | instid1(VALU_DEP_3)
	v_cndmask_b32_e32 v4, v5, v4, vcc_lo
	v_and_b32_e32 v1, 0x80000000, v1
	s_delay_alu instid0(VALU_DEP_3) | instskip(NEXT) | instid1(VALU_DEP_3)
	v_lshl_add_u32 v5, v7, 23, 0x3b800000
	v_lshlrev_b32_e32 v4, 20, v4
	s_delay_alu instid0(VALU_DEP_1) | instskip(NEXT) | instid1(VALU_DEP_1)
	v_or3_b32 v1, v1, v5, v4
	v_trunc_f32_e32 v1, v1
	s_delay_alu instid0(VALU_DEP_1) | instskip(NEXT) | instid1(VALU_DEP_1)
	v_mul_f32_e64 v4, 0x2f800000, |v1|
	v_floor_f32_e32 v5, v4
	v_ashrrev_i32_e32 v4, 31, v1
	s_delay_alu instid0(VALU_DEP_2) | instskip(SKIP_1) | instid1(VALU_DEP_3)
	v_fma_f32 v7, 0xcf800000, v5, |v1|
	v_cvt_u32_f32_e32 v1, v5
	v_mov_b32_e32 v5, v4
	s_delay_alu instid0(VALU_DEP_3) | instskip(NEXT) | instid1(VALU_DEP_3)
	v_cvt_u32_f32_e32 v7, v7
	v_xor_b32_e32 v9, v1, v4
	s_delay_alu instid0(VALU_DEP_2) | instskip(NEXT) | instid1(VALU_DEP_1)
	v_xor_b32_e32 v8, v7, v4
	v_sub_nc_u64_e32 v[4:5], v[8:9], v[4:5]
.LBB78_1069:
	s_or_b32 exec_lo, exec_lo, s3
.LBB78_1070:
	s_mov_b32 s18, -1
.LBB78_1071:
	s_mov_b32 s3, 0
.LBB78_1072:
	s_delay_alu instid0(SALU_CYCLE_1)
	s_and_b32 vcc_lo, exec_lo, s3
	s_cbranch_vccz .LBB78_1103
; %bb.1073:
	s_cmp_gt_i32 s17, 22
	s_cbranch_scc0 .LBB78_1081
; %bb.1074:
	s_cmp_lt_i32 s17, 24
	s_cbranch_scc1 .LBB78_1084
; %bb.1075:
	s_cmp_gt_i32 s17, 24
	s_cbranch_scc0 .LBB78_1085
; %bb.1076:
	global_load_u8 v1, v[2:3], off
	s_mov_b32 s3, exec_lo
	s_wait_loadcnt 0x0
	v_cmpx_lt_i16_e32 0x7f, v1
	s_xor_b32 s3, exec_lo, s3
	s_cbranch_execz .LBB78_1097
; %bb.1077:
	v_cmp_ne_u16_e32 vcc_lo, 0x80, v1
	s_and_b32 s16, vcc_lo, exec_lo
	s_and_not1_saveexec_b32 s3, s3
	s_cbranch_execnz .LBB78_1098
.LBB78_1078:
	s_or_b32 exec_lo, exec_lo, s3
	v_mov_b64_e32 v[4:5], 0
	s_and_saveexec_b32 s3, s16
	s_cbranch_execz .LBB78_1080
.LBB78_1079:
	v_and_b32_e32 v4, 0xffff, v1
	s_delay_alu instid0(VALU_DEP_1) | instskip(SKIP_1) | instid1(VALU_DEP_2)
	v_and_b32_e32 v5, 3, v4
	v_bfe_u32 v9, v4, 2, 5
	v_clz_i32_u32_e32 v7, v5
	s_delay_alu instid0(VALU_DEP_2) | instskip(NEXT) | instid1(VALU_DEP_2)
	v_cmp_eq_u32_e32 vcc_lo, 0, v9
	v_min_u32_e32 v7, 32, v7
	s_delay_alu instid0(VALU_DEP_1) | instskip(NEXT) | instid1(VALU_DEP_1)
	v_subrev_nc_u32_e32 v8, 29, v7
	v_dual_lshlrev_b32 v4, v8, v4 :: v_dual_sub_nc_u32 v7, 30, v7
	s_delay_alu instid0(VALU_DEP_1) | instskip(NEXT) | instid1(VALU_DEP_2)
	v_dual_lshlrev_b32 v1, 24, v1 :: v_dual_bitop2_b32 v4, 3, v4 bitop3:0x40
	v_cndmask_b32_e32 v7, v9, v7, vcc_lo
	s_delay_alu instid0(VALU_DEP_2) | instskip(NEXT) | instid1(VALU_DEP_3)
	v_cndmask_b32_e32 v4, v5, v4, vcc_lo
	v_and_b32_e32 v1, 0x80000000, v1
	s_delay_alu instid0(VALU_DEP_3) | instskip(NEXT) | instid1(VALU_DEP_3)
	v_lshl_add_u32 v5, v7, 23, 0x37800000
	v_lshlrev_b32_e32 v4, 21, v4
	s_delay_alu instid0(VALU_DEP_1) | instskip(NEXT) | instid1(VALU_DEP_1)
	v_or3_b32 v1, v1, v5, v4
	v_trunc_f32_e32 v1, v1
	s_delay_alu instid0(VALU_DEP_1) | instskip(NEXT) | instid1(VALU_DEP_1)
	v_mul_f32_e64 v4, 0x2f800000, |v1|
	v_floor_f32_e32 v5, v4
	v_ashrrev_i32_e32 v4, 31, v1
	s_delay_alu instid0(VALU_DEP_2) | instskip(SKIP_1) | instid1(VALU_DEP_3)
	v_fma_f32 v7, 0xcf800000, v5, |v1|
	v_cvt_u32_f32_e32 v1, v5
	v_mov_b32_e32 v5, v4
	s_delay_alu instid0(VALU_DEP_3) | instskip(NEXT) | instid1(VALU_DEP_3)
	v_cvt_u32_f32_e32 v7, v7
	v_xor_b32_e32 v9, v1, v4
	s_delay_alu instid0(VALU_DEP_2) | instskip(NEXT) | instid1(VALU_DEP_1)
	v_xor_b32_e32 v8, v7, v4
	v_sub_nc_u64_e32 v[4:5], v[8:9], v[4:5]
.LBB78_1080:
	s_or_b32 exec_lo, exec_lo, s3
	s_mov_b32 s3, 0
	s_branch .LBB78_1086
.LBB78_1081:
	s_mov_b32 s3, -1
                                        ; implicit-def: $vgpr4_vgpr5
	s_branch .LBB78_1092
.LBB78_1082:
	s_and_not1_saveexec_b32 s3, s3
	s_cbranch_execz .LBB78_1067
.LBB78_1083:
	v_cmp_ne_u16_e32 vcc_lo, 0, v1
	s_and_not1_b32 s18, s18, exec_lo
	s_and_b32 s19, vcc_lo, exec_lo
	s_delay_alu instid0(SALU_CYCLE_1)
	s_or_b32 s18, s18, s19
	s_or_b32 exec_lo, exec_lo, s3
	v_mov_b64_e32 v[4:5], 0
	s_and_saveexec_b32 s3, s18
	s_cbranch_execnz .LBB78_1068
	s_branch .LBB78_1069
.LBB78_1084:
	s_mov_b32 s3, -1
                                        ; implicit-def: $vgpr4_vgpr5
	s_branch .LBB78_1089
.LBB78_1085:
	s_mov_b32 s3, -1
                                        ; implicit-def: $vgpr4_vgpr5
.LBB78_1086:
	s_delay_alu instid0(SALU_CYCLE_1)
	s_and_b32 vcc_lo, exec_lo, s3
	s_cbranch_vccz .LBB78_1088
; %bb.1087:
	global_load_u8 v1, v[2:3], off
	s_wait_loadcnt 0x0
	v_lshlrev_b32_e32 v1, 24, v1
	s_delay_alu instid0(VALU_DEP_1) | instskip(NEXT) | instid1(VALU_DEP_1)
	v_and_b32_e32 v4, 0x7f000000, v1
	v_clz_i32_u32_e32 v5, v4
	v_add_nc_u32_e32 v8, 0x1000000, v4
	v_cmp_ne_u32_e32 vcc_lo, 0, v4
	s_delay_alu instid0(VALU_DEP_3) | instskip(NEXT) | instid1(VALU_DEP_1)
	v_min_u32_e32 v5, 32, v5
	v_sub_nc_u32_e64 v5, v5, 4 clamp
	s_delay_alu instid0(VALU_DEP_1) | instskip(NEXT) | instid1(VALU_DEP_1)
	v_dual_lshlrev_b32 v7, v5, v4 :: v_dual_lshlrev_b32 v5, 23, v5
	v_lshrrev_b32_e32 v7, 4, v7
	s_delay_alu instid0(VALU_DEP_1) | instskip(NEXT) | instid1(VALU_DEP_1)
	v_dual_sub_nc_u32 v5, v7, v5 :: v_dual_ashrrev_i32 v7, 8, v8
	v_add_nc_u32_e32 v5, 0x3c000000, v5
	s_delay_alu instid0(VALU_DEP_1) | instskip(NEXT) | instid1(VALU_DEP_1)
	v_and_or_b32 v5, 0x7f800000, v7, v5
	v_cndmask_b32_e32 v4, 0, v5, vcc_lo
	s_delay_alu instid0(VALU_DEP_1) | instskip(NEXT) | instid1(VALU_DEP_1)
	v_and_or_b32 v1, 0x80000000, v1, v4
	v_trunc_f32_e32 v1, v1
	s_delay_alu instid0(VALU_DEP_1) | instskip(NEXT) | instid1(VALU_DEP_1)
	v_mul_f32_e64 v4, 0x2f800000, |v1|
	v_floor_f32_e32 v5, v4
	v_ashrrev_i32_e32 v4, 31, v1
	s_delay_alu instid0(VALU_DEP_2) | instskip(SKIP_1) | instid1(VALU_DEP_3)
	v_fma_f32 v7, 0xcf800000, v5, |v1|
	v_cvt_u32_f32_e32 v1, v5
	v_mov_b32_e32 v5, v4
	s_delay_alu instid0(VALU_DEP_3) | instskip(NEXT) | instid1(VALU_DEP_3)
	v_cvt_u32_f32_e32 v7, v7
	v_xor_b32_e32 v9, v1, v4
	s_delay_alu instid0(VALU_DEP_2) | instskip(NEXT) | instid1(VALU_DEP_1)
	v_xor_b32_e32 v8, v7, v4
	v_sub_nc_u64_e32 v[4:5], v[8:9], v[4:5]
.LBB78_1088:
	s_mov_b32 s3, 0
.LBB78_1089:
	s_delay_alu instid0(SALU_CYCLE_1)
	s_and_not1_b32 vcc_lo, exec_lo, s3
	s_cbranch_vccnz .LBB78_1091
; %bb.1090:
	global_load_u8 v1, v[2:3], off
	s_wait_loadcnt 0x0
	v_lshlrev_b32_e32 v4, 25, v1
	v_lshlrev_b16 v1, 8, v1
	s_delay_alu instid0(VALU_DEP_1) | instskip(SKIP_1) | instid1(VALU_DEP_2)
	v_and_or_b32 v7, 0x7f00, v1, 0.5
	v_bfe_i32 v1, v1, 0, 16
	v_dual_add_f32 v7, -0.5, v7 :: v_dual_lshrrev_b32 v5, 4, v4
	v_cmp_gt_u32_e32 vcc_lo, 0x8000000, v4
	s_delay_alu instid0(VALU_DEP_2) | instskip(NEXT) | instid1(VALU_DEP_1)
	v_or_b32_e32 v5, 0x70000000, v5
	v_mul_f32_e32 v5, 0x7800000, v5
	s_delay_alu instid0(VALU_DEP_1) | instskip(NEXT) | instid1(VALU_DEP_1)
	v_cndmask_b32_e32 v4, v5, v7, vcc_lo
	v_and_or_b32 v1, 0x80000000, v1, v4
	s_delay_alu instid0(VALU_DEP_1) | instskip(NEXT) | instid1(VALU_DEP_1)
	v_trunc_f32_e32 v1, v1
	v_mul_f32_e64 v4, 0x2f800000, |v1|
	s_delay_alu instid0(VALU_DEP_1) | instskip(SKIP_1) | instid1(VALU_DEP_2)
	v_floor_f32_e32 v5, v4
	v_ashrrev_i32_e32 v4, 31, v1
	v_fma_f32 v7, 0xcf800000, v5, |v1|
	v_cvt_u32_f32_e32 v1, v5
	s_delay_alu instid0(VALU_DEP_3) | instskip(NEXT) | instid1(VALU_DEP_3)
	v_mov_b32_e32 v5, v4
	v_cvt_u32_f32_e32 v7, v7
	s_delay_alu instid0(VALU_DEP_3) | instskip(NEXT) | instid1(VALU_DEP_2)
	v_xor_b32_e32 v9, v1, v4
	v_xor_b32_e32 v8, v7, v4
	s_delay_alu instid0(VALU_DEP_1)
	v_sub_nc_u64_e32 v[4:5], v[8:9], v[4:5]
.LBB78_1091:
	s_mov_b32 s3, 0
	s_mov_b32 s18, -1
.LBB78_1092:
	s_and_not1_b32 vcc_lo, exec_lo, s3
	s_mov_b32 s16, 0
	s_cbranch_vccnz .LBB78_1103
; %bb.1093:
	s_cmp_gt_i32 s17, 14
	s_cbranch_scc0 .LBB78_1096
; %bb.1094:
	s_cmp_eq_u32 s17, 15
	s_cbranch_scc0 .LBB78_1099
; %bb.1095:
	global_load_u16 v1, v[2:3], off
	s_mov_b32 s0, 0
	s_mov_b32 s18, -1
	s_wait_loadcnt 0x0
	v_lshlrev_b32_e32 v1, 16, v1
	s_delay_alu instid0(VALU_DEP_1) | instskip(NEXT) | instid1(VALU_DEP_1)
	v_trunc_f32_e32 v1, v1
	v_mul_f32_e64 v4, 0x2f800000, |v1|
	s_delay_alu instid0(VALU_DEP_1) | instskip(SKIP_1) | instid1(VALU_DEP_2)
	v_floor_f32_e32 v5, v4
	v_ashrrev_i32_e32 v4, 31, v1
	v_fma_f32 v7, 0xcf800000, v5, |v1|
	v_cvt_u32_f32_e32 v1, v5
	s_delay_alu instid0(VALU_DEP_3) | instskip(NEXT) | instid1(VALU_DEP_3)
	v_mov_b32_e32 v5, v4
	v_cvt_u32_f32_e32 v7, v7
	s_delay_alu instid0(VALU_DEP_3) | instskip(NEXT) | instid1(VALU_DEP_2)
	v_xor_b32_e32 v9, v1, v4
	v_xor_b32_e32 v8, v7, v4
	s_delay_alu instid0(VALU_DEP_1)
	v_sub_nc_u64_e32 v[4:5], v[8:9], v[4:5]
	s_branch .LBB78_1100
.LBB78_1096:
	s_mov_b32 s3, -1
                                        ; implicit-def: $vgpr4_vgpr5
	s_branch .LBB78_1101
.LBB78_1097:
	s_and_not1_saveexec_b32 s3, s3
	s_cbranch_execz .LBB78_1078
.LBB78_1098:
	v_cmp_ne_u16_e32 vcc_lo, 0, v1
	s_and_not1_b32 s16, s16, exec_lo
	s_and_b32 s18, vcc_lo, exec_lo
	s_delay_alu instid0(SALU_CYCLE_1)
	s_or_b32 s16, s16, s18
	s_or_b32 exec_lo, exec_lo, s3
	v_mov_b64_e32 v[4:5], 0
	s_and_saveexec_b32 s3, s16
	s_cbranch_execnz .LBB78_1079
	s_branch .LBB78_1080
.LBB78_1099:
	s_mov_b32 s0, -1
                                        ; implicit-def: $vgpr4_vgpr5
.LBB78_1100:
	s_mov_b32 s3, 0
.LBB78_1101:
	s_delay_alu instid0(SALU_CYCLE_1)
	s_and_b32 vcc_lo, exec_lo, s3
	s_cbranch_vccz .LBB78_1103
; %bb.1102:
	s_cmp_lg_u32 s17, 11
	s_mov_b32 s16, -1
	s_cselect_b32 s0, -1, 0
.LBB78_1103:
	s_delay_alu instid0(SALU_CYCLE_1)
	s_and_b32 vcc_lo, exec_lo, s0
	s_mov_b32 s3, s1
	s_cbranch_vccnz .LBB78_1156
; %bb.1104:
	s_and_not1_b32 vcc_lo, exec_lo, s16
	s_cbranch_vccnz .LBB78_1106
.LBB78_1105:
	global_load_u8 v1, v[2:3], off
	s_mov_b32 s0, 0
	s_mov_b32 s18, -1
	s_wait_loadcnt 0x1
	v_mov_b32_e32 v5, s0
	s_wait_loadcnt 0x0
	v_cmp_ne_u16_e32 vcc_lo, 0, v1
	v_cndmask_b32_e64 v4, 0, 1, vcc_lo
.LBB78_1106:
	s_branch .LBB78_916
.LBB78_1107:
	s_cmp_lt_i32 s17, 5
	s_cbranch_scc1 .LBB78_1112
; %bb.1108:
	s_cmp_lt_i32 s17, 8
	s_cbranch_scc1 .LBB78_1113
; %bb.1109:
	;; [unrolled: 3-line block ×3, first 2 shown]
	s_cmp_gt_i32 s17, 9
	s_cbranch_scc0 .LBB78_1115
; %bb.1111:
	s_wait_loadcnt 0x0
	global_load_b64 v[4:5], v[2:3], off
	s_mov_b32 s0, 0
	s_wait_loadcnt 0x0
	v_trunc_f64_e32 v[4:5], v[4:5]
	s_delay_alu instid0(VALU_DEP_1) | instskip(NEXT) | instid1(VALU_DEP_1)
	v_ldexp_f64 v[8:9], v[4:5], 0xffffffe0
	v_floor_f64_e32 v[8:9], v[8:9]
	s_delay_alu instid0(VALU_DEP_1) | instskip(SKIP_1) | instid1(VALU_DEP_2)
	v_fmamk_f64 v[10:11], v[8:9], 0xc1f00000, v[4:5]
	v_cvt_i32_f64_e32 v5, v[8:9]
	v_cvt_u32_f64_e32 v4, v[10:11]
	s_branch .LBB78_1116
.LBB78_1112:
	s_mov_b32 s0, -1
                                        ; implicit-def: $vgpr4_vgpr5
	s_branch .LBB78_1134
.LBB78_1113:
	s_mov_b32 s0, -1
                                        ; implicit-def: $vgpr4_vgpr5
	s_branch .LBB78_1122
.LBB78_1114:
	s_mov_b32 s0, -1
                                        ; implicit-def: $vgpr4_vgpr5
	s_branch .LBB78_1119
.LBB78_1115:
	s_mov_b32 s0, -1
                                        ; implicit-def: $vgpr4_vgpr5
.LBB78_1116:
	s_delay_alu instid0(SALU_CYCLE_1)
	s_and_not1_b32 vcc_lo, exec_lo, s0
	s_cbranch_vccnz .LBB78_1118
; %bb.1117:
	global_load_b32 v1, v[2:3], off
	s_wait_loadcnt 0x0
	v_trunc_f32_e32 v1, v1
	s_delay_alu instid0(VALU_DEP_1) | instskip(NEXT) | instid1(VALU_DEP_1)
	v_mul_f32_e64 v4, 0x2f800000, |v1|
	v_floor_f32_e32 v5, v4
	v_ashrrev_i32_e32 v4, 31, v1
	s_delay_alu instid0(VALU_DEP_2) | instskip(SKIP_1) | instid1(VALU_DEP_3)
	v_fma_f32 v7, 0xcf800000, v5, |v1|
	v_cvt_u32_f32_e32 v1, v5
	v_mov_b32_e32 v5, v4
	s_delay_alu instid0(VALU_DEP_3) | instskip(NEXT) | instid1(VALU_DEP_3)
	v_cvt_u32_f32_e32 v7, v7
	v_xor_b32_e32 v9, v1, v4
	s_delay_alu instid0(VALU_DEP_2) | instskip(NEXT) | instid1(VALU_DEP_1)
	v_xor_b32_e32 v8, v7, v4
	v_sub_nc_u64_e32 v[4:5], v[8:9], v[4:5]
.LBB78_1118:
	s_mov_b32 s0, 0
.LBB78_1119:
	s_delay_alu instid0(SALU_CYCLE_1)
	s_and_not1_b32 vcc_lo, exec_lo, s0
	s_cbranch_vccnz .LBB78_1121
; %bb.1120:
	global_load_b32 v1, v[2:3], off
	s_wait_loadcnt 0x0
	v_cvt_f32_f16_e32 v1, v1
	s_delay_alu instid0(VALU_DEP_1) | instskip(NEXT) | instid1(VALU_DEP_1)
	v_cvt_i32_f32_e32 v4, v1
	v_ashrrev_i32_e32 v5, 31, v4
.LBB78_1121:
	s_mov_b32 s0, 0
.LBB78_1122:
	s_delay_alu instid0(SALU_CYCLE_1)
	s_and_not1_b32 vcc_lo, exec_lo, s0
	s_cbranch_vccnz .LBB78_1133
; %bb.1123:
	s_cmp_lt_i32 s17, 6
	s_cbranch_scc1 .LBB78_1126
; %bb.1124:
	s_cmp_gt_i32 s17, 6
	s_cbranch_scc0 .LBB78_1127
; %bb.1125:
	s_wait_loadcnt 0x0
	global_load_b64 v[4:5], v[2:3], off
	s_mov_b32 s0, 0
	s_wait_loadcnt 0x0
	v_trunc_f64_e32 v[4:5], v[4:5]
	s_delay_alu instid0(VALU_DEP_1) | instskip(NEXT) | instid1(VALU_DEP_1)
	v_ldexp_f64 v[8:9], v[4:5], 0xffffffe0
	v_floor_f64_e32 v[8:9], v[8:9]
	s_delay_alu instid0(VALU_DEP_1) | instskip(SKIP_1) | instid1(VALU_DEP_2)
	v_fmamk_f64 v[10:11], v[8:9], 0xc1f00000, v[4:5]
	v_cvt_i32_f64_e32 v5, v[8:9]
	v_cvt_u32_f64_e32 v4, v[10:11]
	s_branch .LBB78_1128
.LBB78_1126:
	s_mov_b32 s0, -1
                                        ; implicit-def: $vgpr4_vgpr5
	s_branch .LBB78_1131
.LBB78_1127:
	s_mov_b32 s0, -1
                                        ; implicit-def: $vgpr4_vgpr5
.LBB78_1128:
	s_delay_alu instid0(SALU_CYCLE_1)
	s_and_not1_b32 vcc_lo, exec_lo, s0
	s_cbranch_vccnz .LBB78_1130
; %bb.1129:
	global_load_b32 v1, v[2:3], off
	s_wait_loadcnt 0x0
	v_trunc_f32_e32 v1, v1
	s_delay_alu instid0(VALU_DEP_1) | instskip(NEXT) | instid1(VALU_DEP_1)
	v_mul_f32_e64 v4, 0x2f800000, |v1|
	v_floor_f32_e32 v5, v4
	v_ashrrev_i32_e32 v4, 31, v1
	s_delay_alu instid0(VALU_DEP_2) | instskip(SKIP_1) | instid1(VALU_DEP_3)
	v_fma_f32 v7, 0xcf800000, v5, |v1|
	v_cvt_u32_f32_e32 v1, v5
	v_mov_b32_e32 v5, v4
	s_delay_alu instid0(VALU_DEP_3) | instskip(NEXT) | instid1(VALU_DEP_3)
	v_cvt_u32_f32_e32 v7, v7
	v_xor_b32_e32 v9, v1, v4
	s_delay_alu instid0(VALU_DEP_2) | instskip(NEXT) | instid1(VALU_DEP_1)
	v_xor_b32_e32 v8, v7, v4
	v_sub_nc_u64_e32 v[4:5], v[8:9], v[4:5]
.LBB78_1130:
	s_mov_b32 s0, 0
.LBB78_1131:
	s_delay_alu instid0(SALU_CYCLE_1)
	s_and_not1_b32 vcc_lo, exec_lo, s0
	s_cbranch_vccnz .LBB78_1133
; %bb.1132:
	global_load_u16 v1, v[2:3], off
	s_wait_loadcnt 0x0
	v_cvt_f32_f16_e32 v1, v1
	s_delay_alu instid0(VALU_DEP_1) | instskip(NEXT) | instid1(VALU_DEP_1)
	v_cvt_i32_f32_e32 v4, v1
	v_ashrrev_i32_e32 v5, 31, v4
.LBB78_1133:
	s_mov_b32 s0, 0
.LBB78_1134:
	s_delay_alu instid0(SALU_CYCLE_1)
	s_and_not1_b32 vcc_lo, exec_lo, s0
	s_cbranch_vccnz .LBB78_1154
; %bb.1135:
	s_cmp_lt_i32 s17, 2
	s_cbranch_scc1 .LBB78_1139
; %bb.1136:
	s_cmp_lt_i32 s17, 3
	s_cbranch_scc1 .LBB78_1140
; %bb.1137:
	s_cmp_gt_i32 s17, 3
	s_cbranch_scc0 .LBB78_1141
; %bb.1138:
	s_wait_loadcnt 0x0
	global_load_b64 v[4:5], v[2:3], off
	s_mov_b32 s0, 0
	s_branch .LBB78_1142
.LBB78_1139:
	s_mov_b32 s0, -1
                                        ; implicit-def: $vgpr4_vgpr5
	s_branch .LBB78_1148
.LBB78_1140:
	s_mov_b32 s0, -1
                                        ; implicit-def: $vgpr4_vgpr5
	s_branch .LBB78_1145
.LBB78_1141:
	s_mov_b32 s0, -1
                                        ; implicit-def: $vgpr4_vgpr5
.LBB78_1142:
	s_delay_alu instid0(SALU_CYCLE_1)
	s_and_not1_b32 vcc_lo, exec_lo, s0
	s_cbranch_vccnz .LBB78_1144
; %bb.1143:
	s_wait_loadcnt 0x0
	global_load_b32 v4, v[2:3], off
	s_wait_loadcnt 0x0
	v_ashrrev_i32_e32 v5, 31, v4
.LBB78_1144:
	s_mov_b32 s0, 0
.LBB78_1145:
	s_delay_alu instid0(SALU_CYCLE_1)
	s_and_not1_b32 vcc_lo, exec_lo, s0
	s_cbranch_vccnz .LBB78_1147
; %bb.1146:
	global_load_u16 v1, v[2:3], off
	s_wait_loadcnt 0x0
	v_bfe_i32 v4, v1, 0, 16
	s_delay_alu instid0(VALU_DEP_1)
	v_ashrrev_i32_e32 v5, 31, v4
.LBB78_1147:
	s_mov_b32 s0, 0
.LBB78_1148:
	s_delay_alu instid0(SALU_CYCLE_1)
	s_and_not1_b32 vcc_lo, exec_lo, s0
	s_cbranch_vccnz .LBB78_1154
; %bb.1149:
	s_cmp_gt_i32 s17, 0
	s_mov_b32 s0, 0
	s_cbranch_scc0 .LBB78_1151
; %bb.1150:
	global_load_i8 v1, v[2:3], off
	s_wait_loadcnt 0x0
	v_bfe_i32 v4, v1, 0, 16
	s_delay_alu instid0(VALU_DEP_1)
	v_ashrrev_i32_e32 v5, 31, v4
	s_branch .LBB78_1152
.LBB78_1151:
	s_mov_b32 s0, -1
                                        ; implicit-def: $vgpr4_vgpr5
.LBB78_1152:
	s_delay_alu instid0(SALU_CYCLE_1)
	s_and_not1_b32 vcc_lo, exec_lo, s0
	s_cbranch_vccnz .LBB78_1154
; %bb.1153:
	global_load_u8 v1, v[2:3], off
	s_mov_b32 s0, 0
	s_wait_loadcnt 0x1
	v_mov_b32_e32 v5, s0
	s_wait_loadcnt 0x0
	v_and_b32_e32 v4, 0xffff, v1
.LBB78_1154:
	s_branch .LBB78_917
.LBB78_1155:
	s_mov_b32 s18, 0
	s_mov_b32 s19, 0
                                        ; implicit-def: $sgpr0
                                        ; implicit-def: $vgpr2_vgpr3
	s_branch .LBB78_1726
.LBB78_1156:
	s_or_b32 s3, s1, exec_lo
	s_trap 2
	s_cbranch_execz .LBB78_1105
	s_branch .LBB78_1106
.LBB78_1157:
	s_mov_b32 s18, -1
	s_mov_b32 s21, 0
	s_mov_b32 s0, 0
	s_branch .LBB78_1159
.LBB78_1158:
	s_mov_b32 s0, -1
	s_mov_b32 s21, 0
.LBB78_1159:
                                        ; implicit-def: $vgpr4_vgpr5
.LBB78_1160:
	s_and_b32 vcc_lo, exec_lo, s18
	s_cbranch_vccz .LBB78_1164
; %bb.1161:
	s_cmp_eq_u32 s17, 44
	s_cbranch_scc0 .LBB78_1163
; %bb.1162:
	global_load_u8 v1, v[2:3], off
	s_mov_b32 s0, 0
	s_mov_b32 s21, -1
	s_wait_loadcnt 0x0
	v_lshlrev_b32_e32 v4, 23, v1
	v_cmp_ne_u32_e32 vcc_lo, 0, v1
	s_delay_alu instid0(VALU_DEP_2) | instskip(NEXT) | instid1(VALU_DEP_1)
	v_trunc_f32_e32 v4, v4
	v_mul_f32_e64 v5, 0x2f800000, |v4|
	s_delay_alu instid0(VALU_DEP_1) | instskip(NEXT) | instid1(VALU_DEP_1)
	v_floor_f32_e32 v5, v5
	v_fma_f32 v7, 0xcf800000, v5, |v4|
	v_ashrrev_i32_e32 v4, 31, v4
	v_cvt_u32_f32_e32 v8, v5
	s_delay_alu instid0(VALU_DEP_3) | instskip(NEXT) | instid1(VALU_DEP_3)
	v_cvt_u32_f32_e32 v7, v7
	v_mov_b32_e32 v5, v4
	s_delay_alu instid0(VALU_DEP_3) | instskip(NEXT) | instid1(VALU_DEP_3)
	v_xor_b32_e32 v9, v8, v4
	v_xor_b32_e32 v8, v7, v4
	s_delay_alu instid0(VALU_DEP_1) | instskip(NEXT) | instid1(VALU_DEP_1)
	v_sub_nc_u64_e32 v[4:5], v[8:9], v[4:5]
	v_dual_cndmask_b32 v5, 0, v5 :: v_dual_cndmask_b32 v4, 0, v4
	s_branch .LBB78_1164
.LBB78_1163:
	s_mov_b32 s0, -1
                                        ; implicit-def: $vgpr4_vgpr5
.LBB78_1164:
	s_mov_b32 s18, 0
.LBB78_1165:
	s_delay_alu instid0(SALU_CYCLE_1)
	s_and_b32 vcc_lo, exec_lo, s18
	s_cbranch_vccz .LBB78_1169
; %bb.1166:
	s_cmp_eq_u32 s17, 29
	s_cbranch_scc0 .LBB78_1168
; %bb.1167:
	global_load_b64 v[4:5], v[2:3], off
	s_mov_b32 s0, 0
	s_mov_b32 s21, -1
	s_branch .LBB78_1169
.LBB78_1168:
	s_mov_b32 s0, -1
                                        ; implicit-def: $vgpr4_vgpr5
.LBB78_1169:
	s_mov_b32 s18, 0
.LBB78_1170:
	s_delay_alu instid0(SALU_CYCLE_1)
	s_and_b32 vcc_lo, exec_lo, s18
	s_cbranch_vccz .LBB78_1186
; %bb.1171:
	s_cmp_lt_i32 s17, 27
	s_cbranch_scc1 .LBB78_1174
; %bb.1172:
	s_cmp_gt_i32 s17, 27
	s_cbranch_scc0 .LBB78_1175
; %bb.1173:
	s_wait_loadcnt 0x0
	global_load_b32 v4, v[2:3], off
	v_mov_b32_e32 v5, 0
	s_mov_b32 s18, 0
	s_branch .LBB78_1176
.LBB78_1174:
	s_mov_b32 s18, -1
                                        ; implicit-def: $vgpr4_vgpr5
	s_branch .LBB78_1179
.LBB78_1175:
	s_mov_b32 s18, -1
                                        ; implicit-def: $vgpr4_vgpr5
.LBB78_1176:
	s_delay_alu instid0(SALU_CYCLE_1)
	s_and_not1_b32 vcc_lo, exec_lo, s18
	s_cbranch_vccnz .LBB78_1178
; %bb.1177:
	global_load_u16 v1, v[2:3], off
	s_mov_b32 s18, 0
	s_wait_loadcnt 0x1
	v_mov_b32_e32 v5, s18
	s_wait_loadcnt 0x0
	v_and_b32_e32 v4, 0xffff, v1
.LBB78_1178:
	s_mov_b32 s18, 0
.LBB78_1179:
	s_delay_alu instid0(SALU_CYCLE_1)
	s_and_not1_b32 vcc_lo, exec_lo, s18
	s_cbranch_vccnz .LBB78_1185
; %bb.1180:
	global_load_u8 v1, v[2:3], off
	s_mov_b32 s21, 0
	s_mov_b32 s18, exec_lo
	s_wait_loadcnt 0x0
	v_cmpx_lt_i16_e32 0x7f, v1
	s_xor_b32 s18, exec_lo, s18
	s_cbranch_execz .LBB78_1197
; %bb.1181:
	v_cmp_ne_u16_e32 vcc_lo, 0x80, v1
	s_and_b32 s21, vcc_lo, exec_lo
	s_and_not1_saveexec_b32 s18, s18
	s_cbranch_execnz .LBB78_1198
.LBB78_1182:
	s_or_b32 exec_lo, exec_lo, s18
	v_mov_b64_e32 v[4:5], 0
	s_and_saveexec_b32 s18, s21
	s_cbranch_execz .LBB78_1184
.LBB78_1183:
	v_and_b32_e32 v4, 0xffff, v1
	s_delay_alu instid0(VALU_DEP_1) | instskip(SKIP_1) | instid1(VALU_DEP_2)
	v_and_b32_e32 v5, 7, v4
	v_bfe_u32 v9, v4, 3, 4
	v_clz_i32_u32_e32 v7, v5
	s_delay_alu instid0(VALU_DEP_2) | instskip(NEXT) | instid1(VALU_DEP_2)
	v_cmp_eq_u32_e32 vcc_lo, 0, v9
	v_min_u32_e32 v7, 32, v7
	s_delay_alu instid0(VALU_DEP_1) | instskip(NEXT) | instid1(VALU_DEP_1)
	v_subrev_nc_u32_e32 v8, 28, v7
	v_dual_lshlrev_b32 v4, v8, v4 :: v_dual_sub_nc_u32 v7, 29, v7
	s_delay_alu instid0(VALU_DEP_1) | instskip(NEXT) | instid1(VALU_DEP_2)
	v_dual_lshlrev_b32 v1, 24, v1 :: v_dual_bitop2_b32 v4, 7, v4 bitop3:0x40
	v_cndmask_b32_e32 v7, v9, v7, vcc_lo
	s_delay_alu instid0(VALU_DEP_2) | instskip(NEXT) | instid1(VALU_DEP_3)
	v_cndmask_b32_e32 v4, v5, v4, vcc_lo
	v_and_b32_e32 v1, 0x80000000, v1
	s_delay_alu instid0(VALU_DEP_3) | instskip(NEXT) | instid1(VALU_DEP_3)
	v_lshl_add_u32 v5, v7, 23, 0x3b800000
	v_lshlrev_b32_e32 v4, 20, v4
	s_delay_alu instid0(VALU_DEP_1) | instskip(NEXT) | instid1(VALU_DEP_1)
	v_or3_b32 v1, v1, v5, v4
	v_trunc_f32_e32 v1, v1
	s_delay_alu instid0(VALU_DEP_1) | instskip(NEXT) | instid1(VALU_DEP_1)
	v_mul_f32_e64 v4, 0x2f800000, |v1|
	v_floor_f32_e32 v5, v4
	v_ashrrev_i32_e32 v4, 31, v1
	s_delay_alu instid0(VALU_DEP_2) | instskip(SKIP_1) | instid1(VALU_DEP_3)
	v_fma_f32 v7, 0xcf800000, v5, |v1|
	v_cvt_u32_f32_e32 v1, v5
	v_mov_b32_e32 v5, v4
	s_delay_alu instid0(VALU_DEP_3) | instskip(NEXT) | instid1(VALU_DEP_3)
	v_cvt_u32_f32_e32 v7, v7
	v_xor_b32_e32 v9, v1, v4
	s_delay_alu instid0(VALU_DEP_2) | instskip(NEXT) | instid1(VALU_DEP_1)
	v_xor_b32_e32 v8, v7, v4
	v_sub_nc_u64_e32 v[4:5], v[8:9], v[4:5]
.LBB78_1184:
	s_or_b32 exec_lo, exec_lo, s18
.LBB78_1185:
	s_mov_b32 s21, -1
.LBB78_1186:
	s_mov_b32 s18, 0
.LBB78_1187:
	s_delay_alu instid0(SALU_CYCLE_1)
	s_and_b32 vcc_lo, exec_lo, s18
	s_cbranch_vccz .LBB78_1218
; %bb.1188:
	s_cmp_gt_i32 s17, 22
	s_cbranch_scc0 .LBB78_1196
; %bb.1189:
	s_cmp_lt_i32 s17, 24
	s_cbranch_scc1 .LBB78_1199
; %bb.1190:
	s_cmp_gt_i32 s17, 24
	s_cbranch_scc0 .LBB78_1200
; %bb.1191:
	global_load_u8 v1, v[2:3], off
	s_mov_b32 s18, exec_lo
	s_wait_loadcnt 0x0
	v_cmpx_lt_i16_e32 0x7f, v1
	s_xor_b32 s18, exec_lo, s18
	s_cbranch_execz .LBB78_1212
; %bb.1192:
	v_cmp_ne_u16_e32 vcc_lo, 0x80, v1
	s_and_b32 s19, vcc_lo, exec_lo
	s_and_not1_saveexec_b32 s18, s18
	s_cbranch_execnz .LBB78_1213
.LBB78_1193:
	s_or_b32 exec_lo, exec_lo, s18
	v_mov_b64_e32 v[4:5], 0
	s_and_saveexec_b32 s18, s19
	s_cbranch_execz .LBB78_1195
.LBB78_1194:
	v_and_b32_e32 v4, 0xffff, v1
	s_delay_alu instid0(VALU_DEP_1) | instskip(SKIP_1) | instid1(VALU_DEP_2)
	v_and_b32_e32 v5, 3, v4
	v_bfe_u32 v9, v4, 2, 5
	v_clz_i32_u32_e32 v7, v5
	s_delay_alu instid0(VALU_DEP_2) | instskip(NEXT) | instid1(VALU_DEP_2)
	v_cmp_eq_u32_e32 vcc_lo, 0, v9
	v_min_u32_e32 v7, 32, v7
	s_delay_alu instid0(VALU_DEP_1) | instskip(NEXT) | instid1(VALU_DEP_1)
	v_subrev_nc_u32_e32 v8, 29, v7
	v_dual_lshlrev_b32 v4, v8, v4 :: v_dual_sub_nc_u32 v7, 30, v7
	s_delay_alu instid0(VALU_DEP_1) | instskip(NEXT) | instid1(VALU_DEP_2)
	v_dual_lshlrev_b32 v1, 24, v1 :: v_dual_bitop2_b32 v4, 3, v4 bitop3:0x40
	v_cndmask_b32_e32 v7, v9, v7, vcc_lo
	s_delay_alu instid0(VALU_DEP_2) | instskip(NEXT) | instid1(VALU_DEP_3)
	v_cndmask_b32_e32 v4, v5, v4, vcc_lo
	v_and_b32_e32 v1, 0x80000000, v1
	s_delay_alu instid0(VALU_DEP_3) | instskip(NEXT) | instid1(VALU_DEP_3)
	v_lshl_add_u32 v5, v7, 23, 0x37800000
	v_lshlrev_b32_e32 v4, 21, v4
	s_delay_alu instid0(VALU_DEP_1) | instskip(NEXT) | instid1(VALU_DEP_1)
	v_or3_b32 v1, v1, v5, v4
	v_trunc_f32_e32 v1, v1
	s_delay_alu instid0(VALU_DEP_1) | instskip(NEXT) | instid1(VALU_DEP_1)
	v_mul_f32_e64 v4, 0x2f800000, |v1|
	v_floor_f32_e32 v5, v4
	v_ashrrev_i32_e32 v4, 31, v1
	s_delay_alu instid0(VALU_DEP_2) | instskip(SKIP_1) | instid1(VALU_DEP_3)
	v_fma_f32 v7, 0xcf800000, v5, |v1|
	v_cvt_u32_f32_e32 v1, v5
	v_mov_b32_e32 v5, v4
	s_delay_alu instid0(VALU_DEP_3) | instskip(NEXT) | instid1(VALU_DEP_3)
	v_cvt_u32_f32_e32 v7, v7
	v_xor_b32_e32 v9, v1, v4
	s_delay_alu instid0(VALU_DEP_2) | instskip(NEXT) | instid1(VALU_DEP_1)
	v_xor_b32_e32 v8, v7, v4
	v_sub_nc_u64_e32 v[4:5], v[8:9], v[4:5]
.LBB78_1195:
	s_or_b32 exec_lo, exec_lo, s18
	s_mov_b32 s18, 0
	s_branch .LBB78_1201
.LBB78_1196:
	s_mov_b32 s18, -1
                                        ; implicit-def: $vgpr4_vgpr5
	s_branch .LBB78_1207
.LBB78_1197:
	s_and_not1_saveexec_b32 s18, s18
	s_cbranch_execz .LBB78_1182
.LBB78_1198:
	v_cmp_ne_u16_e32 vcc_lo, 0, v1
	s_and_not1_b32 s21, s21, exec_lo
	s_and_b32 s22, vcc_lo, exec_lo
	s_delay_alu instid0(SALU_CYCLE_1)
	s_or_b32 s21, s21, s22
	s_or_b32 exec_lo, exec_lo, s18
	v_mov_b64_e32 v[4:5], 0
	s_and_saveexec_b32 s18, s21
	s_cbranch_execnz .LBB78_1183
	s_branch .LBB78_1184
.LBB78_1199:
	s_mov_b32 s18, -1
                                        ; implicit-def: $vgpr4_vgpr5
	s_branch .LBB78_1204
.LBB78_1200:
	s_mov_b32 s18, -1
                                        ; implicit-def: $vgpr4_vgpr5
.LBB78_1201:
	s_delay_alu instid0(SALU_CYCLE_1)
	s_and_b32 vcc_lo, exec_lo, s18
	s_cbranch_vccz .LBB78_1203
; %bb.1202:
	global_load_u8 v1, v[2:3], off
	s_wait_loadcnt 0x0
	v_lshlrev_b32_e32 v1, 24, v1
	s_delay_alu instid0(VALU_DEP_1) | instskip(NEXT) | instid1(VALU_DEP_1)
	v_and_b32_e32 v4, 0x7f000000, v1
	v_clz_i32_u32_e32 v5, v4
	v_add_nc_u32_e32 v8, 0x1000000, v4
	v_cmp_ne_u32_e32 vcc_lo, 0, v4
	s_delay_alu instid0(VALU_DEP_3) | instskip(NEXT) | instid1(VALU_DEP_1)
	v_min_u32_e32 v5, 32, v5
	v_sub_nc_u32_e64 v5, v5, 4 clamp
	s_delay_alu instid0(VALU_DEP_1) | instskip(NEXT) | instid1(VALU_DEP_1)
	v_dual_lshlrev_b32 v7, v5, v4 :: v_dual_lshlrev_b32 v5, 23, v5
	v_lshrrev_b32_e32 v7, 4, v7
	s_delay_alu instid0(VALU_DEP_1) | instskip(NEXT) | instid1(VALU_DEP_1)
	v_dual_sub_nc_u32 v5, v7, v5 :: v_dual_ashrrev_i32 v7, 8, v8
	v_add_nc_u32_e32 v5, 0x3c000000, v5
	s_delay_alu instid0(VALU_DEP_1) | instskip(NEXT) | instid1(VALU_DEP_1)
	v_and_or_b32 v5, 0x7f800000, v7, v5
	v_cndmask_b32_e32 v4, 0, v5, vcc_lo
	s_delay_alu instid0(VALU_DEP_1) | instskip(NEXT) | instid1(VALU_DEP_1)
	v_and_or_b32 v1, 0x80000000, v1, v4
	v_trunc_f32_e32 v1, v1
	s_delay_alu instid0(VALU_DEP_1) | instskip(NEXT) | instid1(VALU_DEP_1)
	v_mul_f32_e64 v4, 0x2f800000, |v1|
	v_floor_f32_e32 v5, v4
	v_ashrrev_i32_e32 v4, 31, v1
	s_delay_alu instid0(VALU_DEP_2) | instskip(SKIP_1) | instid1(VALU_DEP_3)
	v_fma_f32 v7, 0xcf800000, v5, |v1|
	v_cvt_u32_f32_e32 v1, v5
	v_mov_b32_e32 v5, v4
	s_delay_alu instid0(VALU_DEP_3) | instskip(NEXT) | instid1(VALU_DEP_3)
	v_cvt_u32_f32_e32 v7, v7
	v_xor_b32_e32 v9, v1, v4
	s_delay_alu instid0(VALU_DEP_2) | instskip(NEXT) | instid1(VALU_DEP_1)
	v_xor_b32_e32 v8, v7, v4
	v_sub_nc_u64_e32 v[4:5], v[8:9], v[4:5]
.LBB78_1203:
	s_mov_b32 s18, 0
.LBB78_1204:
	s_delay_alu instid0(SALU_CYCLE_1)
	s_and_not1_b32 vcc_lo, exec_lo, s18
	s_cbranch_vccnz .LBB78_1206
; %bb.1205:
	global_load_u8 v1, v[2:3], off
	s_wait_loadcnt 0x0
	v_lshlrev_b32_e32 v4, 25, v1
	v_lshlrev_b16 v1, 8, v1
	s_delay_alu instid0(VALU_DEP_1) | instskip(SKIP_1) | instid1(VALU_DEP_2)
	v_and_or_b32 v7, 0x7f00, v1, 0.5
	v_bfe_i32 v1, v1, 0, 16
	v_dual_add_f32 v7, -0.5, v7 :: v_dual_lshrrev_b32 v5, 4, v4
	v_cmp_gt_u32_e32 vcc_lo, 0x8000000, v4
	s_delay_alu instid0(VALU_DEP_2) | instskip(NEXT) | instid1(VALU_DEP_1)
	v_or_b32_e32 v5, 0x70000000, v5
	v_mul_f32_e32 v5, 0x7800000, v5
	s_delay_alu instid0(VALU_DEP_1) | instskip(NEXT) | instid1(VALU_DEP_1)
	v_cndmask_b32_e32 v4, v5, v7, vcc_lo
	v_and_or_b32 v1, 0x80000000, v1, v4
	s_delay_alu instid0(VALU_DEP_1) | instskip(NEXT) | instid1(VALU_DEP_1)
	v_trunc_f32_e32 v1, v1
	v_mul_f32_e64 v4, 0x2f800000, |v1|
	s_delay_alu instid0(VALU_DEP_1) | instskip(SKIP_1) | instid1(VALU_DEP_2)
	v_floor_f32_e32 v5, v4
	v_ashrrev_i32_e32 v4, 31, v1
	v_fma_f32 v7, 0xcf800000, v5, |v1|
	v_cvt_u32_f32_e32 v1, v5
	s_delay_alu instid0(VALU_DEP_3) | instskip(NEXT) | instid1(VALU_DEP_3)
	v_mov_b32_e32 v5, v4
	v_cvt_u32_f32_e32 v7, v7
	s_delay_alu instid0(VALU_DEP_3) | instskip(NEXT) | instid1(VALU_DEP_2)
	v_xor_b32_e32 v9, v1, v4
	v_xor_b32_e32 v8, v7, v4
	s_delay_alu instid0(VALU_DEP_1)
	v_sub_nc_u64_e32 v[4:5], v[8:9], v[4:5]
.LBB78_1206:
	s_mov_b32 s18, 0
	s_mov_b32 s21, -1
.LBB78_1207:
	s_and_not1_b32 vcc_lo, exec_lo, s18
	s_mov_b32 s19, 0
	s_cbranch_vccnz .LBB78_1218
; %bb.1208:
	s_cmp_gt_i32 s17, 14
	s_cbranch_scc0 .LBB78_1211
; %bb.1209:
	s_cmp_eq_u32 s17, 15
	s_cbranch_scc0 .LBB78_1214
; %bb.1210:
	global_load_u16 v1, v[2:3], off
	s_mov_b32 s0, 0
	s_mov_b32 s21, -1
	s_wait_loadcnt 0x0
	v_lshlrev_b32_e32 v1, 16, v1
	s_delay_alu instid0(VALU_DEP_1) | instskip(NEXT) | instid1(VALU_DEP_1)
	v_trunc_f32_e32 v1, v1
	v_mul_f32_e64 v4, 0x2f800000, |v1|
	s_delay_alu instid0(VALU_DEP_1) | instskip(SKIP_1) | instid1(VALU_DEP_2)
	v_floor_f32_e32 v5, v4
	v_ashrrev_i32_e32 v4, 31, v1
	v_fma_f32 v7, 0xcf800000, v5, |v1|
	v_cvt_u32_f32_e32 v1, v5
	s_delay_alu instid0(VALU_DEP_3) | instskip(NEXT) | instid1(VALU_DEP_3)
	v_mov_b32_e32 v5, v4
	v_cvt_u32_f32_e32 v7, v7
	s_delay_alu instid0(VALU_DEP_3) | instskip(NEXT) | instid1(VALU_DEP_2)
	v_xor_b32_e32 v9, v1, v4
	v_xor_b32_e32 v8, v7, v4
	s_delay_alu instid0(VALU_DEP_1)
	v_sub_nc_u64_e32 v[4:5], v[8:9], v[4:5]
	s_branch .LBB78_1215
.LBB78_1211:
	s_mov_b32 s18, -1
                                        ; implicit-def: $vgpr4_vgpr5
	s_branch .LBB78_1216
.LBB78_1212:
	s_and_not1_saveexec_b32 s18, s18
	s_cbranch_execz .LBB78_1193
.LBB78_1213:
	v_cmp_ne_u16_e32 vcc_lo, 0, v1
	s_and_not1_b32 s19, s19, exec_lo
	s_and_b32 s21, vcc_lo, exec_lo
	s_delay_alu instid0(SALU_CYCLE_1)
	s_or_b32 s19, s19, s21
	s_or_b32 exec_lo, exec_lo, s18
	v_mov_b64_e32 v[4:5], 0
	s_and_saveexec_b32 s18, s19
	s_cbranch_execnz .LBB78_1194
	s_branch .LBB78_1195
.LBB78_1214:
	s_mov_b32 s0, -1
                                        ; implicit-def: $vgpr4_vgpr5
.LBB78_1215:
	s_mov_b32 s18, 0
.LBB78_1216:
	s_delay_alu instid0(SALU_CYCLE_1)
	s_and_b32 vcc_lo, exec_lo, s18
	s_cbranch_vccz .LBB78_1218
; %bb.1217:
	s_cmp_lg_u32 s17, 11
	s_mov_b32 s19, -1
	s_cselect_b32 s0, -1, 0
.LBB78_1218:
	s_delay_alu instid0(SALU_CYCLE_1)
	s_and_b32 vcc_lo, exec_lo, s0
	s_mov_b32 s18, s3
	s_cbranch_vccnz .LBB78_1285
; %bb.1219:
	s_and_not1_b32 vcc_lo, exec_lo, s19
	s_cbranch_vccnz .LBB78_1221
.LBB78_1220:
	global_load_u8 v1, v[2:3], off
	s_mov_b32 s0, 0
	s_mov_b32 s21, -1
	s_wait_loadcnt 0x1
	v_mov_b32_e32 v5, s0
	s_wait_loadcnt 0x0
	v_cmp_ne_u16_e32 vcc_lo, 0, v1
	v_cndmask_b32_e64 v4, 0, 1, vcc_lo
.LBB78_1221:
	s_mov_b32 s0, 0
.LBB78_1222:
	s_delay_alu instid0(SALU_CYCLE_1)
	s_and_b32 vcc_lo, exec_lo, s0
	s_cbranch_vccz .LBB78_1271
; %bb.1223:
	s_cmp_lt_i32 s17, 5
	s_cbranch_scc1 .LBB78_1228
; %bb.1224:
	s_cmp_lt_i32 s17, 8
	s_cbranch_scc1 .LBB78_1229
	;; [unrolled: 3-line block ×3, first 2 shown]
; %bb.1226:
	s_cmp_gt_i32 s17, 9
	s_cbranch_scc0 .LBB78_1231
; %bb.1227:
	s_wait_loadcnt 0x0
	global_load_b64 v[4:5], v[2:3], off
	s_mov_b32 s0, 0
	s_wait_loadcnt 0x0
	v_trunc_f64_e32 v[4:5], v[4:5]
	s_delay_alu instid0(VALU_DEP_1) | instskip(NEXT) | instid1(VALU_DEP_1)
	v_ldexp_f64 v[8:9], v[4:5], 0xffffffe0
	v_floor_f64_e32 v[8:9], v[8:9]
	s_delay_alu instid0(VALU_DEP_1) | instskip(SKIP_1) | instid1(VALU_DEP_2)
	v_fmamk_f64 v[10:11], v[8:9], 0xc1f00000, v[4:5]
	v_cvt_i32_f64_e32 v5, v[8:9]
	v_cvt_u32_f64_e32 v4, v[10:11]
	s_branch .LBB78_1232
.LBB78_1228:
	s_mov_b32 s0, -1
                                        ; implicit-def: $vgpr4_vgpr5
	s_branch .LBB78_1250
.LBB78_1229:
	s_mov_b32 s0, -1
                                        ; implicit-def: $vgpr4_vgpr5
	s_branch .LBB78_1238
.LBB78_1230:
	s_mov_b32 s0, -1
                                        ; implicit-def: $vgpr4_vgpr5
	s_branch .LBB78_1235
.LBB78_1231:
	s_mov_b32 s0, -1
                                        ; implicit-def: $vgpr4_vgpr5
.LBB78_1232:
	s_delay_alu instid0(SALU_CYCLE_1)
	s_and_not1_b32 vcc_lo, exec_lo, s0
	s_cbranch_vccnz .LBB78_1234
; %bb.1233:
	global_load_b32 v1, v[2:3], off
	s_wait_loadcnt 0x0
	v_trunc_f32_e32 v1, v1
	s_delay_alu instid0(VALU_DEP_1) | instskip(NEXT) | instid1(VALU_DEP_1)
	v_mul_f32_e64 v4, 0x2f800000, |v1|
	v_floor_f32_e32 v5, v4
	v_ashrrev_i32_e32 v4, 31, v1
	s_delay_alu instid0(VALU_DEP_2) | instskip(SKIP_1) | instid1(VALU_DEP_3)
	v_fma_f32 v7, 0xcf800000, v5, |v1|
	v_cvt_u32_f32_e32 v1, v5
	v_mov_b32_e32 v5, v4
	s_delay_alu instid0(VALU_DEP_3) | instskip(NEXT) | instid1(VALU_DEP_3)
	v_cvt_u32_f32_e32 v7, v7
	v_xor_b32_e32 v9, v1, v4
	s_delay_alu instid0(VALU_DEP_2) | instskip(NEXT) | instid1(VALU_DEP_1)
	v_xor_b32_e32 v8, v7, v4
	v_sub_nc_u64_e32 v[4:5], v[8:9], v[4:5]
.LBB78_1234:
	s_mov_b32 s0, 0
.LBB78_1235:
	s_delay_alu instid0(SALU_CYCLE_1)
	s_and_not1_b32 vcc_lo, exec_lo, s0
	s_cbranch_vccnz .LBB78_1237
; %bb.1236:
	global_load_b32 v1, v[2:3], off
	s_wait_loadcnt 0x0
	v_cvt_f32_f16_e32 v1, v1
	s_delay_alu instid0(VALU_DEP_1) | instskip(NEXT) | instid1(VALU_DEP_1)
	v_cvt_i32_f32_e32 v4, v1
	v_ashrrev_i32_e32 v5, 31, v4
.LBB78_1237:
	s_mov_b32 s0, 0
.LBB78_1238:
	s_delay_alu instid0(SALU_CYCLE_1)
	s_and_not1_b32 vcc_lo, exec_lo, s0
	s_cbranch_vccnz .LBB78_1249
; %bb.1239:
	s_cmp_lt_i32 s17, 6
	s_cbranch_scc1 .LBB78_1242
; %bb.1240:
	s_cmp_gt_i32 s17, 6
	s_cbranch_scc0 .LBB78_1243
; %bb.1241:
	s_wait_loadcnt 0x0
	global_load_b64 v[4:5], v[2:3], off
	s_mov_b32 s0, 0
	s_wait_loadcnt 0x0
	v_trunc_f64_e32 v[4:5], v[4:5]
	s_delay_alu instid0(VALU_DEP_1) | instskip(NEXT) | instid1(VALU_DEP_1)
	v_ldexp_f64 v[8:9], v[4:5], 0xffffffe0
	v_floor_f64_e32 v[8:9], v[8:9]
	s_delay_alu instid0(VALU_DEP_1) | instskip(SKIP_1) | instid1(VALU_DEP_2)
	v_fmamk_f64 v[10:11], v[8:9], 0xc1f00000, v[4:5]
	v_cvt_i32_f64_e32 v5, v[8:9]
	v_cvt_u32_f64_e32 v4, v[10:11]
	s_branch .LBB78_1244
.LBB78_1242:
	s_mov_b32 s0, -1
                                        ; implicit-def: $vgpr4_vgpr5
	s_branch .LBB78_1247
.LBB78_1243:
	s_mov_b32 s0, -1
                                        ; implicit-def: $vgpr4_vgpr5
.LBB78_1244:
	s_delay_alu instid0(SALU_CYCLE_1)
	s_and_not1_b32 vcc_lo, exec_lo, s0
	s_cbranch_vccnz .LBB78_1246
; %bb.1245:
	global_load_b32 v1, v[2:3], off
	s_wait_loadcnt 0x0
	v_trunc_f32_e32 v1, v1
	s_delay_alu instid0(VALU_DEP_1) | instskip(NEXT) | instid1(VALU_DEP_1)
	v_mul_f32_e64 v4, 0x2f800000, |v1|
	v_floor_f32_e32 v5, v4
	v_ashrrev_i32_e32 v4, 31, v1
	s_delay_alu instid0(VALU_DEP_2) | instskip(SKIP_1) | instid1(VALU_DEP_3)
	v_fma_f32 v7, 0xcf800000, v5, |v1|
	v_cvt_u32_f32_e32 v1, v5
	v_mov_b32_e32 v5, v4
	s_delay_alu instid0(VALU_DEP_3) | instskip(NEXT) | instid1(VALU_DEP_3)
	v_cvt_u32_f32_e32 v7, v7
	v_xor_b32_e32 v9, v1, v4
	s_delay_alu instid0(VALU_DEP_2) | instskip(NEXT) | instid1(VALU_DEP_1)
	v_xor_b32_e32 v8, v7, v4
	v_sub_nc_u64_e32 v[4:5], v[8:9], v[4:5]
.LBB78_1246:
	s_mov_b32 s0, 0
.LBB78_1247:
	s_delay_alu instid0(SALU_CYCLE_1)
	s_and_not1_b32 vcc_lo, exec_lo, s0
	s_cbranch_vccnz .LBB78_1249
; %bb.1248:
	global_load_u16 v1, v[2:3], off
	s_wait_loadcnt 0x0
	v_cvt_f32_f16_e32 v1, v1
	s_delay_alu instid0(VALU_DEP_1) | instskip(NEXT) | instid1(VALU_DEP_1)
	v_cvt_i32_f32_e32 v4, v1
	v_ashrrev_i32_e32 v5, 31, v4
.LBB78_1249:
	s_mov_b32 s0, 0
.LBB78_1250:
	s_delay_alu instid0(SALU_CYCLE_1)
	s_and_not1_b32 vcc_lo, exec_lo, s0
	s_cbranch_vccnz .LBB78_1270
; %bb.1251:
	s_cmp_lt_i32 s17, 2
	s_cbranch_scc1 .LBB78_1255
; %bb.1252:
	s_cmp_lt_i32 s17, 3
	s_cbranch_scc1 .LBB78_1256
; %bb.1253:
	s_cmp_gt_i32 s17, 3
	s_cbranch_scc0 .LBB78_1257
; %bb.1254:
	s_wait_loadcnt 0x0
	global_load_b64 v[4:5], v[2:3], off
	s_mov_b32 s0, 0
	s_branch .LBB78_1258
.LBB78_1255:
	s_mov_b32 s0, -1
                                        ; implicit-def: $vgpr4_vgpr5
	s_branch .LBB78_1264
.LBB78_1256:
	s_mov_b32 s0, -1
                                        ; implicit-def: $vgpr4_vgpr5
	s_branch .LBB78_1261
.LBB78_1257:
	s_mov_b32 s0, -1
                                        ; implicit-def: $vgpr4_vgpr5
.LBB78_1258:
	s_delay_alu instid0(SALU_CYCLE_1)
	s_and_not1_b32 vcc_lo, exec_lo, s0
	s_cbranch_vccnz .LBB78_1260
; %bb.1259:
	s_wait_loadcnt 0x0
	global_load_b32 v4, v[2:3], off
	s_wait_loadcnt 0x0
	v_ashrrev_i32_e32 v5, 31, v4
.LBB78_1260:
	s_mov_b32 s0, 0
.LBB78_1261:
	s_delay_alu instid0(SALU_CYCLE_1)
	s_and_not1_b32 vcc_lo, exec_lo, s0
	s_cbranch_vccnz .LBB78_1263
; %bb.1262:
	global_load_u16 v1, v[2:3], off
	s_wait_loadcnt 0x0
	v_bfe_i32 v4, v1, 0, 16
	s_delay_alu instid0(VALU_DEP_1)
	v_ashrrev_i32_e32 v5, 31, v4
.LBB78_1263:
	s_mov_b32 s0, 0
.LBB78_1264:
	s_delay_alu instid0(SALU_CYCLE_1)
	s_and_not1_b32 vcc_lo, exec_lo, s0
	s_cbranch_vccnz .LBB78_1270
; %bb.1265:
	s_cmp_gt_i32 s17, 0
	s_mov_b32 s0, 0
	s_cbranch_scc0 .LBB78_1267
; %bb.1266:
	global_load_i8 v1, v[2:3], off
	s_wait_loadcnt 0x0
	v_bfe_i32 v4, v1, 0, 16
	s_delay_alu instid0(VALU_DEP_1)
	v_ashrrev_i32_e32 v5, 31, v4
	s_branch .LBB78_1268
.LBB78_1267:
	s_mov_b32 s0, -1
                                        ; implicit-def: $vgpr4_vgpr5
.LBB78_1268:
	s_delay_alu instid0(SALU_CYCLE_1)
	s_and_not1_b32 vcc_lo, exec_lo, s0
	s_cbranch_vccnz .LBB78_1270
; %bb.1269:
	global_load_u8 v1, v[2:3], off
	s_mov_b32 s0, 0
	s_wait_loadcnt 0x1
	v_mov_b32_e32 v5, s0
	s_wait_loadcnt 0x0
	v_and_b32_e32 v4, 0xffff, v1
.LBB78_1270:
	s_mov_b32 s21, -1
.LBB78_1271:
	s_delay_alu instid0(SALU_CYCLE_1)
	s_and_not1_b32 vcc_lo, exec_lo, s21
	s_cbranch_vccnz .LBB78_1281
; %bb.1272:
	s_wait_loadcnt 0x0
	s_delay_alu instid0(VALU_DEP_1) | instskip(SKIP_4) | instid1(SALU_CYCLE_1)
	v_cmp_gt_i64_e32 vcc_lo, s[8:9], v[4:5]
	v_cmp_le_i64_e64 s0, s[10:11], v[4:5]
	s_or_b32 s0, vcc_lo, s0
	s_wait_xcnt 0x0
	s_and_saveexec_b32 s19, s0
	s_xor_b32 s0, exec_lo, s19
	s_cbranch_execnz .LBB78_1778
.LBB78_1273:
	s_or_saveexec_b32 s19, s0
	s_mov_b32 s21, 0
	s_mov_b32 s22, 0
                                        ; implicit-def: $sgpr0
                                        ; implicit-def: $vgpr2_vgpr3
	s_xor_b32 exec_lo, exec_lo, s19
	s_cbranch_execz .LBB78_1723
; %bb.1274:
	v_add_nc_u32_e32 v0, s20, v0
	s_cmp_lt_i32 s17, 11
	s_delay_alu instid0(VALU_DEP_1) | instskip(NEXT) | instid1(VALU_DEP_1)
	v_ashrrev_i32_e32 v1, 31, v0
	v_add_nc_u64_e32 v[0:1], s[6:7], v[0:1]
	s_cbranch_scc1 .LBB78_1282
; %bb.1275:
	s_cmp_gt_i32 s17, 25
	s_mov_b32 s7, 0
	s_cbranch_scc0 .LBB78_1283
; %bb.1276:
	s_cmp_gt_i32 s17, 28
	s_cbranch_scc0 .LBB78_1284
; %bb.1277:
	s_cmp_gt_i32 s17, 43
	;; [unrolled: 3-line block ×3, first 2 shown]
	s_cbranch_scc0 .LBB78_1287
; %bb.1279:
	s_cmp_eq_u32 s17, 46
	s_mov_b32 s6, 0
	s_cbranch_scc0 .LBB78_1289
; %bb.1280:
	global_load_b32 v2, v[0:1], off
	s_mov_b32 s0, 0
	s_mov_b32 s20, -1
	s_wait_loadcnt 0x0
	v_lshlrev_b32_e32 v2, 16, v2
	s_delay_alu instid0(VALU_DEP_1) | instskip(NEXT) | instid1(VALU_DEP_1)
	v_trunc_f32_e32 v2, v2
	v_mul_f32_e64 v3, 0x2f800000, |v2|
	s_delay_alu instid0(VALU_DEP_1) | instskip(NEXT) | instid1(VALU_DEP_1)
	v_floor_f32_e32 v3, v3
	v_fma_f32 v4, 0xcf800000, v3, |v2|
	v_ashrrev_i32_e32 v2, 31, v2
	v_cvt_u32_f32_e32 v5, v3
	s_delay_alu instid0(VALU_DEP_3) | instskip(NEXT) | instid1(VALU_DEP_2)
	v_cvt_u32_f32_e32 v4, v4
	v_dual_mov_b32 v3, v2 :: v_dual_bitop2_b32 v5, v5, v2 bitop3:0x14
	s_delay_alu instid0(VALU_DEP_2) | instskip(NEXT) | instid1(VALU_DEP_1)
	v_xor_b32_e32 v4, v4, v2
	v_sub_nc_u64_e32 v[2:3], v[4:5], v[2:3]
	s_branch .LBB78_1291
.LBB78_1281:
	s_mov_b32 s21, 0
	s_mov_b32 s22, 0
                                        ; implicit-def: $sgpr0
                                        ; implicit-def: $vgpr2_vgpr3
	s_branch .LBB78_1724
.LBB78_1282:
	s_mov_b32 s0, -1
	s_mov_b32 s20, 0
	s_mov_b32 s6, s18
                                        ; implicit-def: $vgpr2_vgpr3
	s_branch .LBB78_1353
.LBB78_1283:
	s_mov_b32 s6, -1
	s_mov_b32 s20, 0
	s_mov_b32 s0, 0
                                        ; implicit-def: $vgpr2_vgpr3
	s_branch .LBB78_1318
.LBB78_1284:
	s_mov_b32 s6, -1
	s_mov_b32 s20, 0
	s_mov_b32 s0, 0
                                        ; implicit-def: $vgpr2_vgpr3
	s_branch .LBB78_1301
.LBB78_1285:
	s_or_b32 s18, s3, exec_lo
	s_trap 2
	s_cbranch_execz .LBB78_1220
	s_branch .LBB78_1221
.LBB78_1286:
	s_mov_b32 s6, -1
	s_mov_b32 s20, 0
	s_mov_b32 s0, 0
                                        ; implicit-def: $vgpr2_vgpr3
	s_branch .LBB78_1296
.LBB78_1287:
	s_mov_b32 s6, -1
	s_mov_b32 s20, 0
	s_mov_b32 s0, 0
	s_branch .LBB78_1290
.LBB78_1288:
	s_or_b32 s1, s1, exec_lo
	s_trap 2
                                        ; implicit-def: $vgpr0
                                        ; implicit-def: $vgpr6
	s_branch .LBB78_905
.LBB78_1289:
	s_mov_b32 s0, -1
	s_mov_b32 s20, 0
.LBB78_1290:
                                        ; implicit-def: $vgpr2_vgpr3
.LBB78_1291:
	s_and_b32 vcc_lo, exec_lo, s6
	s_cbranch_vccz .LBB78_1295
; %bb.1292:
	s_cmp_eq_u32 s17, 44
	s_cbranch_scc0 .LBB78_1294
; %bb.1293:
	global_load_u8 v7, v[0:1], off
	s_mov_b32 s0, 0
	s_mov_b32 s20, -1
	s_wait_loadcnt 0x0
	v_lshlrev_b32_e32 v2, 23, v7
	v_cmp_ne_u32_e32 vcc_lo, 0, v7
	s_delay_alu instid0(VALU_DEP_2) | instskip(NEXT) | instid1(VALU_DEP_1)
	v_trunc_f32_e32 v2, v2
	v_mul_f32_e64 v3, 0x2f800000, |v2|
	s_delay_alu instid0(VALU_DEP_1) | instskip(NEXT) | instid1(VALU_DEP_1)
	v_floor_f32_e32 v3, v3
	v_fma_f32 v4, 0xcf800000, v3, |v2|
	v_ashrrev_i32_e32 v2, 31, v2
	v_cvt_u32_f32_e32 v5, v3
	s_delay_alu instid0(VALU_DEP_3) | instskip(NEXT) | instid1(VALU_DEP_2)
	v_cvt_u32_f32_e32 v4, v4
	v_dual_mov_b32 v3, v2 :: v_dual_bitop2_b32 v5, v5, v2 bitop3:0x14
	s_delay_alu instid0(VALU_DEP_2) | instskip(NEXT) | instid1(VALU_DEP_1)
	v_xor_b32_e32 v4, v4, v2
	v_sub_nc_u64_e32 v[2:3], v[4:5], v[2:3]
	s_delay_alu instid0(VALU_DEP_1)
	v_dual_cndmask_b32 v3, 0, v3 :: v_dual_cndmask_b32 v2, 0, v2
	s_branch .LBB78_1295
.LBB78_1294:
	s_mov_b32 s0, -1
                                        ; implicit-def: $vgpr2_vgpr3
.LBB78_1295:
	s_mov_b32 s6, 0
.LBB78_1296:
	s_delay_alu instid0(SALU_CYCLE_1)
	s_and_b32 vcc_lo, exec_lo, s6
	s_cbranch_vccz .LBB78_1300
; %bb.1297:
	s_cmp_eq_u32 s17, 29
	s_cbranch_scc0 .LBB78_1299
; %bb.1298:
	global_load_b64 v[2:3], v[0:1], off
	s_mov_b32 s0, 0
	s_mov_b32 s20, -1
	s_branch .LBB78_1300
.LBB78_1299:
	s_mov_b32 s0, -1
                                        ; implicit-def: $vgpr2_vgpr3
.LBB78_1300:
	s_mov_b32 s6, 0
.LBB78_1301:
	s_delay_alu instid0(SALU_CYCLE_1)
	s_and_b32 vcc_lo, exec_lo, s6
	s_cbranch_vccz .LBB78_1317
; %bb.1302:
	s_cmp_lt_i32 s17, 27
	s_cbranch_scc1 .LBB78_1305
; %bb.1303:
	s_cmp_gt_i32 s17, 27
	s_cbranch_scc0 .LBB78_1306
; %bb.1304:
	s_wait_loadcnt 0x0
	global_load_b32 v2, v[0:1], off
	v_mov_b32_e32 v3, 0
	s_mov_b32 s6, 0
	s_branch .LBB78_1307
.LBB78_1305:
	s_mov_b32 s6, -1
                                        ; implicit-def: $vgpr2_vgpr3
	s_branch .LBB78_1310
.LBB78_1306:
	s_mov_b32 s6, -1
                                        ; implicit-def: $vgpr2_vgpr3
.LBB78_1307:
	s_delay_alu instid0(SALU_CYCLE_1)
	s_and_not1_b32 vcc_lo, exec_lo, s6
	s_cbranch_vccnz .LBB78_1309
; %bb.1308:
	s_wait_loadcnt 0x0
	global_load_u16 v2, v[0:1], off
	s_mov_b32 s6, 0
	s_delay_alu instid0(SALU_CYCLE_1)
	v_mov_b32_e32 v3, s6
	s_wait_loadcnt 0x0
	v_and_b32_e32 v2, 0xffff, v2
.LBB78_1309:
	s_mov_b32 s6, 0
.LBB78_1310:
	s_delay_alu instid0(SALU_CYCLE_1)
	s_and_not1_b32 vcc_lo, exec_lo, s6
	s_cbranch_vccnz .LBB78_1316
; %bb.1311:
	global_load_u8 v4, v[0:1], off
	s_mov_b32 s20, 0
	s_mov_b32 s6, exec_lo
	s_wait_loadcnt 0x0
	v_cmpx_lt_i16_e32 0x7f, v4
	s_xor_b32 s6, exec_lo, s6
	s_cbranch_execz .LBB78_1328
; %bb.1312:
	v_cmp_ne_u16_e32 vcc_lo, 0x80, v4
	s_and_b32 s20, vcc_lo, exec_lo
	s_and_not1_saveexec_b32 s6, s6
	s_cbranch_execnz .LBB78_1329
.LBB78_1313:
	s_or_b32 exec_lo, exec_lo, s6
	v_mov_b64_e32 v[2:3], 0
	s_and_saveexec_b32 s6, s20
	s_cbranch_execz .LBB78_1315
.LBB78_1314:
	v_and_b32_e32 v2, 0xffff, v4
	s_delay_alu instid0(VALU_DEP_1) | instskip(SKIP_1) | instid1(VALU_DEP_2)
	v_and_b32_e32 v3, 7, v2
	v_bfe_u32 v8, v2, 3, 4
	v_clz_i32_u32_e32 v5, v3
	s_delay_alu instid0(VALU_DEP_2) | instskip(NEXT) | instid1(VALU_DEP_2)
	v_cmp_eq_u32_e32 vcc_lo, 0, v8
	v_min_u32_e32 v5, 32, v5
	s_delay_alu instid0(VALU_DEP_1) | instskip(NEXT) | instid1(VALU_DEP_1)
	v_subrev_nc_u32_e32 v7, 28, v5
	v_dual_lshlrev_b32 v2, v7, v2 :: v_dual_sub_nc_u32 v5, 29, v5
	s_delay_alu instid0(VALU_DEP_1) | instskip(NEXT) | instid1(VALU_DEP_1)
	v_dual_lshlrev_b32 v4, 24, v4 :: v_dual_bitop2_b32 v2, 7, v2 bitop3:0x40
	v_dual_cndmask_b32 v5, v8, v5 :: v_dual_cndmask_b32 v2, v3, v2
	s_delay_alu instid0(VALU_DEP_2) | instskip(NEXT) | instid1(VALU_DEP_2)
	v_and_b32_e32 v3, 0x80000000, v4
	v_lshl_add_u32 v4, v5, 23, 0x3b800000
	s_delay_alu instid0(VALU_DEP_3) | instskip(NEXT) | instid1(VALU_DEP_1)
	v_lshlrev_b32_e32 v2, 20, v2
	v_or3_b32 v2, v3, v4, v2
	s_delay_alu instid0(VALU_DEP_1) | instskip(NEXT) | instid1(VALU_DEP_1)
	v_trunc_f32_e32 v2, v2
	v_mul_f32_e64 v3, 0x2f800000, |v2|
	s_delay_alu instid0(VALU_DEP_1) | instskip(NEXT) | instid1(VALU_DEP_1)
	v_floor_f32_e32 v3, v3
	v_fma_f32 v4, 0xcf800000, v3, |v2|
	v_ashrrev_i32_e32 v2, 31, v2
	v_cvt_u32_f32_e32 v5, v3
	s_delay_alu instid0(VALU_DEP_3) | instskip(NEXT) | instid1(VALU_DEP_2)
	v_cvt_u32_f32_e32 v4, v4
	v_dual_mov_b32 v3, v2 :: v_dual_bitop2_b32 v5, v5, v2 bitop3:0x14
	s_delay_alu instid0(VALU_DEP_2) | instskip(NEXT) | instid1(VALU_DEP_1)
	v_xor_b32_e32 v4, v4, v2
	v_sub_nc_u64_e32 v[2:3], v[4:5], v[2:3]
.LBB78_1315:
	s_or_b32 exec_lo, exec_lo, s6
.LBB78_1316:
	s_mov_b32 s20, -1
.LBB78_1317:
	s_mov_b32 s6, 0
.LBB78_1318:
	s_delay_alu instid0(SALU_CYCLE_1)
	s_and_b32 vcc_lo, exec_lo, s6
	s_cbranch_vccz .LBB78_1349
; %bb.1319:
	s_cmp_gt_i32 s17, 22
	s_cbranch_scc0 .LBB78_1327
; %bb.1320:
	s_cmp_lt_i32 s17, 24
	s_cbranch_scc1 .LBB78_1330
; %bb.1321:
	s_cmp_gt_i32 s17, 24
	s_cbranch_scc0 .LBB78_1331
; %bb.1322:
	global_load_u8 v4, v[0:1], off
	s_mov_b32 s6, exec_lo
	s_wait_loadcnt 0x0
	v_cmpx_lt_i16_e32 0x7f, v4
	s_xor_b32 s6, exec_lo, s6
	s_cbranch_execz .LBB78_1343
; %bb.1323:
	v_cmp_ne_u16_e32 vcc_lo, 0x80, v4
	s_and_b32 s7, vcc_lo, exec_lo
	s_and_not1_saveexec_b32 s6, s6
	s_cbranch_execnz .LBB78_1344
.LBB78_1324:
	s_or_b32 exec_lo, exec_lo, s6
	v_mov_b64_e32 v[2:3], 0
	s_and_saveexec_b32 s6, s7
	s_cbranch_execz .LBB78_1326
.LBB78_1325:
	v_and_b32_e32 v2, 0xffff, v4
	s_delay_alu instid0(VALU_DEP_1) | instskip(SKIP_1) | instid1(VALU_DEP_2)
	v_and_b32_e32 v3, 3, v2
	v_bfe_u32 v8, v2, 2, 5
	v_clz_i32_u32_e32 v5, v3
	s_delay_alu instid0(VALU_DEP_2) | instskip(NEXT) | instid1(VALU_DEP_2)
	v_cmp_eq_u32_e32 vcc_lo, 0, v8
	v_min_u32_e32 v5, 32, v5
	s_delay_alu instid0(VALU_DEP_1) | instskip(NEXT) | instid1(VALU_DEP_1)
	v_subrev_nc_u32_e32 v7, 29, v5
	v_dual_lshlrev_b32 v2, v7, v2 :: v_dual_sub_nc_u32 v5, 30, v5
	s_delay_alu instid0(VALU_DEP_1) | instskip(NEXT) | instid1(VALU_DEP_1)
	v_dual_lshlrev_b32 v4, 24, v4 :: v_dual_bitop2_b32 v2, 3, v2 bitop3:0x40
	v_dual_cndmask_b32 v5, v8, v5 :: v_dual_cndmask_b32 v2, v3, v2
	s_delay_alu instid0(VALU_DEP_2) | instskip(NEXT) | instid1(VALU_DEP_2)
	v_and_b32_e32 v3, 0x80000000, v4
	v_lshl_add_u32 v4, v5, 23, 0x37800000
	s_delay_alu instid0(VALU_DEP_3) | instskip(NEXT) | instid1(VALU_DEP_1)
	v_lshlrev_b32_e32 v2, 21, v2
	v_or3_b32 v2, v3, v4, v2
	s_delay_alu instid0(VALU_DEP_1) | instskip(NEXT) | instid1(VALU_DEP_1)
	v_trunc_f32_e32 v2, v2
	v_mul_f32_e64 v3, 0x2f800000, |v2|
	s_delay_alu instid0(VALU_DEP_1) | instskip(NEXT) | instid1(VALU_DEP_1)
	v_floor_f32_e32 v3, v3
	v_fma_f32 v4, 0xcf800000, v3, |v2|
	v_ashrrev_i32_e32 v2, 31, v2
	v_cvt_u32_f32_e32 v5, v3
	s_delay_alu instid0(VALU_DEP_3) | instskip(NEXT) | instid1(VALU_DEP_2)
	v_cvt_u32_f32_e32 v4, v4
	v_dual_mov_b32 v3, v2 :: v_dual_bitop2_b32 v5, v5, v2 bitop3:0x14
	s_delay_alu instid0(VALU_DEP_2) | instskip(NEXT) | instid1(VALU_DEP_1)
	v_xor_b32_e32 v4, v4, v2
	v_sub_nc_u64_e32 v[2:3], v[4:5], v[2:3]
.LBB78_1326:
	s_or_b32 exec_lo, exec_lo, s6
	s_mov_b32 s6, 0
	s_branch .LBB78_1332
.LBB78_1327:
	s_mov_b32 s6, -1
                                        ; implicit-def: $vgpr2_vgpr3
	s_branch .LBB78_1338
.LBB78_1328:
	s_and_not1_saveexec_b32 s6, s6
	s_cbranch_execz .LBB78_1313
.LBB78_1329:
	v_cmp_ne_u16_e32 vcc_lo, 0, v4
	s_and_not1_b32 s20, s20, exec_lo
	s_and_b32 s21, vcc_lo, exec_lo
	s_delay_alu instid0(SALU_CYCLE_1)
	s_or_b32 s20, s20, s21
	s_or_b32 exec_lo, exec_lo, s6
	v_mov_b64_e32 v[2:3], 0
	s_and_saveexec_b32 s6, s20
	s_cbranch_execnz .LBB78_1314
	s_branch .LBB78_1315
.LBB78_1330:
	s_mov_b32 s6, -1
                                        ; implicit-def: $vgpr2_vgpr3
	s_branch .LBB78_1335
.LBB78_1331:
	s_mov_b32 s6, -1
                                        ; implicit-def: $vgpr2_vgpr3
.LBB78_1332:
	s_delay_alu instid0(SALU_CYCLE_1)
	s_and_b32 vcc_lo, exec_lo, s6
	s_cbranch_vccz .LBB78_1334
; %bb.1333:
	s_wait_loadcnt 0x0
	global_load_u8 v2, v[0:1], off
	s_wait_loadcnt 0x0
	v_lshlrev_b32_e32 v2, 24, v2
	s_delay_alu instid0(VALU_DEP_1) | instskip(NEXT) | instid1(VALU_DEP_1)
	v_and_b32_e32 v3, 0x7f000000, v2
	v_clz_i32_u32_e32 v4, v3
	v_add_nc_u32_e32 v7, 0x1000000, v3
	v_cmp_ne_u32_e32 vcc_lo, 0, v3
	s_delay_alu instid0(VALU_DEP_3) | instskip(NEXT) | instid1(VALU_DEP_1)
	v_min_u32_e32 v4, 32, v4
	v_sub_nc_u32_e64 v4, v4, 4 clamp
	s_delay_alu instid0(VALU_DEP_1) | instskip(NEXT) | instid1(VALU_DEP_1)
	v_dual_lshlrev_b32 v5, v4, v3 :: v_dual_lshlrev_b32 v4, 23, v4
	v_lshrrev_b32_e32 v5, 4, v5
	s_delay_alu instid0(VALU_DEP_1) | instskip(NEXT) | instid1(VALU_DEP_1)
	v_dual_sub_nc_u32 v4, v5, v4 :: v_dual_ashrrev_i32 v5, 8, v7
	v_add_nc_u32_e32 v4, 0x3c000000, v4
	s_delay_alu instid0(VALU_DEP_1) | instskip(NEXT) | instid1(VALU_DEP_1)
	v_and_or_b32 v4, 0x7f800000, v5, v4
	v_cndmask_b32_e32 v3, 0, v4, vcc_lo
	s_delay_alu instid0(VALU_DEP_1) | instskip(NEXT) | instid1(VALU_DEP_1)
	v_and_or_b32 v2, 0x80000000, v2, v3
	v_trunc_f32_e32 v2, v2
	s_delay_alu instid0(VALU_DEP_1) | instskip(NEXT) | instid1(VALU_DEP_1)
	v_mul_f32_e64 v3, 0x2f800000, |v2|
	v_floor_f32_e32 v3, v3
	s_delay_alu instid0(VALU_DEP_1) | instskip(SKIP_2) | instid1(VALU_DEP_3)
	v_fma_f32 v4, 0xcf800000, v3, |v2|
	v_ashrrev_i32_e32 v2, 31, v2
	v_cvt_u32_f32_e32 v5, v3
	v_cvt_u32_f32_e32 v4, v4
	s_delay_alu instid0(VALU_DEP_2) | instskip(NEXT) | instid1(VALU_DEP_2)
	v_dual_mov_b32 v3, v2 :: v_dual_bitop2_b32 v5, v5, v2 bitop3:0x14
	v_xor_b32_e32 v4, v4, v2
	s_delay_alu instid0(VALU_DEP_1)
	v_sub_nc_u64_e32 v[2:3], v[4:5], v[2:3]
.LBB78_1334:
	s_mov_b32 s6, 0
.LBB78_1335:
	s_delay_alu instid0(SALU_CYCLE_1)
	s_and_not1_b32 vcc_lo, exec_lo, s6
	s_cbranch_vccnz .LBB78_1337
; %bb.1336:
	s_wait_loadcnt 0x0
	global_load_u8 v2, v[0:1], off
	s_wait_loadcnt 0x0
	v_lshlrev_b32_e32 v3, 25, v2
	v_lshlrev_b16 v2, 8, v2
	s_delay_alu instid0(VALU_DEP_1) | instskip(SKIP_1) | instid1(VALU_DEP_2)
	v_and_or_b32 v5, 0x7f00, v2, 0.5
	v_bfe_i32 v2, v2, 0, 16
	v_dual_add_f32 v5, -0.5, v5 :: v_dual_lshrrev_b32 v4, 4, v3
	v_cmp_gt_u32_e32 vcc_lo, 0x8000000, v3
	s_delay_alu instid0(VALU_DEP_2) | instskip(NEXT) | instid1(VALU_DEP_1)
	v_or_b32_e32 v4, 0x70000000, v4
	v_mul_f32_e32 v4, 0x7800000, v4
	s_delay_alu instid0(VALU_DEP_1) | instskip(NEXT) | instid1(VALU_DEP_1)
	v_cndmask_b32_e32 v3, v4, v5, vcc_lo
	v_and_or_b32 v2, 0x80000000, v2, v3
	s_delay_alu instid0(VALU_DEP_1) | instskip(NEXT) | instid1(VALU_DEP_1)
	v_trunc_f32_e32 v2, v2
	v_mul_f32_e64 v3, 0x2f800000, |v2|
	s_delay_alu instid0(VALU_DEP_1) | instskip(NEXT) | instid1(VALU_DEP_1)
	v_floor_f32_e32 v3, v3
	v_fma_f32 v4, 0xcf800000, v3, |v2|
	v_ashrrev_i32_e32 v2, 31, v2
	v_cvt_u32_f32_e32 v5, v3
	s_delay_alu instid0(VALU_DEP_3) | instskip(NEXT) | instid1(VALU_DEP_2)
	v_cvt_u32_f32_e32 v4, v4
	v_dual_mov_b32 v3, v2 :: v_dual_bitop2_b32 v5, v5, v2 bitop3:0x14
	s_delay_alu instid0(VALU_DEP_2) | instskip(NEXT) | instid1(VALU_DEP_1)
	v_xor_b32_e32 v4, v4, v2
	v_sub_nc_u64_e32 v[2:3], v[4:5], v[2:3]
.LBB78_1337:
	s_mov_b32 s6, 0
	s_mov_b32 s20, -1
.LBB78_1338:
	s_and_not1_b32 vcc_lo, exec_lo, s6
	s_mov_b32 s7, 0
	s_cbranch_vccnz .LBB78_1349
; %bb.1339:
	s_cmp_gt_i32 s17, 14
	s_cbranch_scc0 .LBB78_1342
; %bb.1340:
	s_cmp_eq_u32 s17, 15
	s_cbranch_scc0 .LBB78_1345
; %bb.1341:
	s_wait_loadcnt 0x0
	global_load_u16 v2, v[0:1], off
	s_mov_b32 s0, 0
	s_mov_b32 s20, -1
	s_wait_loadcnt 0x0
	v_lshlrev_b32_e32 v2, 16, v2
	s_delay_alu instid0(VALU_DEP_1) | instskip(NEXT) | instid1(VALU_DEP_1)
	v_trunc_f32_e32 v2, v2
	v_mul_f32_e64 v3, 0x2f800000, |v2|
	s_delay_alu instid0(VALU_DEP_1) | instskip(NEXT) | instid1(VALU_DEP_1)
	v_floor_f32_e32 v3, v3
	v_fma_f32 v4, 0xcf800000, v3, |v2|
	v_ashrrev_i32_e32 v2, 31, v2
	v_cvt_u32_f32_e32 v5, v3
	s_delay_alu instid0(VALU_DEP_3) | instskip(NEXT) | instid1(VALU_DEP_2)
	v_cvt_u32_f32_e32 v4, v4
	v_dual_mov_b32 v3, v2 :: v_dual_bitop2_b32 v5, v5, v2 bitop3:0x14
	s_delay_alu instid0(VALU_DEP_2) | instskip(NEXT) | instid1(VALU_DEP_1)
	v_xor_b32_e32 v4, v4, v2
	v_sub_nc_u64_e32 v[2:3], v[4:5], v[2:3]
	s_branch .LBB78_1346
.LBB78_1342:
	s_mov_b32 s6, -1
                                        ; implicit-def: $vgpr2_vgpr3
	s_branch .LBB78_1347
.LBB78_1343:
	s_and_not1_saveexec_b32 s6, s6
	s_cbranch_execz .LBB78_1324
.LBB78_1344:
	v_cmp_ne_u16_e32 vcc_lo, 0, v4
	s_and_not1_b32 s7, s7, exec_lo
	s_and_b32 s20, vcc_lo, exec_lo
	s_delay_alu instid0(SALU_CYCLE_1)
	s_or_b32 s7, s7, s20
	s_or_b32 exec_lo, exec_lo, s6
	v_mov_b64_e32 v[2:3], 0
	s_and_saveexec_b32 s6, s7
	s_cbranch_execnz .LBB78_1325
	s_branch .LBB78_1326
.LBB78_1345:
	s_mov_b32 s0, -1
                                        ; implicit-def: $vgpr2_vgpr3
.LBB78_1346:
	s_mov_b32 s6, 0
.LBB78_1347:
	s_delay_alu instid0(SALU_CYCLE_1)
	s_and_b32 vcc_lo, exec_lo, s6
	s_cbranch_vccz .LBB78_1349
; %bb.1348:
	s_cmp_lg_u32 s17, 11
	s_mov_b32 s7, -1
	s_cselect_b32 s0, -1, 0
.LBB78_1349:
	s_delay_alu instid0(SALU_CYCLE_1)
	s_and_b32 vcc_lo, exec_lo, s0
	s_mov_b32 s6, s18
	s_cbranch_vccnz .LBB78_1772
; %bb.1350:
	s_and_not1_b32 vcc_lo, exec_lo, s7
	s_cbranch_vccnz .LBB78_1352
.LBB78_1351:
	s_wait_loadcnt 0x0
	global_load_u8 v2, v[0:1], off
	s_mov_b32 s0, 0
	s_mov_b32 s20, -1
	v_mov_b32_e32 v3, s0
	s_wait_loadcnt 0x0
	v_cmp_ne_u16_e32 vcc_lo, 0, v2
	v_cndmask_b32_e64 v2, 0, 1, vcc_lo
.LBB78_1352:
	s_mov_b32 s0, 0
.LBB78_1353:
	s_delay_alu instid0(SALU_CYCLE_1)
	s_and_b32 vcc_lo, exec_lo, s0
	s_cbranch_vccz .LBB78_1402
; %bb.1354:
	s_cmp_lt_i32 s17, 5
	s_cbranch_scc1 .LBB78_1359
; %bb.1355:
	s_cmp_lt_i32 s17, 8
	s_cbranch_scc1 .LBB78_1360
	;; [unrolled: 3-line block ×3, first 2 shown]
; %bb.1357:
	s_cmp_gt_i32 s17, 9
	s_cbranch_scc0 .LBB78_1362
; %bb.1358:
	s_wait_loadcnt 0x0
	global_load_b64 v[2:3], v[0:1], off
	s_mov_b32 s0, 0
	s_wait_loadcnt 0x0
	v_trunc_f64_e32 v[2:3], v[2:3]
	s_delay_alu instid0(VALU_DEP_1) | instskip(NEXT) | instid1(VALU_DEP_1)
	v_ldexp_f64 v[4:5], v[2:3], 0xffffffe0
	v_floor_f64_e32 v[4:5], v[4:5]
	s_delay_alu instid0(VALU_DEP_1) | instskip(SKIP_1) | instid1(VALU_DEP_2)
	v_fmamk_f64 v[8:9], v[4:5], 0xc1f00000, v[2:3]
	v_cvt_i32_f64_e32 v3, v[4:5]
	v_cvt_u32_f64_e32 v2, v[8:9]
	s_branch .LBB78_1363
.LBB78_1359:
	s_mov_b32 s0, -1
                                        ; implicit-def: $vgpr2_vgpr3
	s_branch .LBB78_1381
.LBB78_1360:
	s_mov_b32 s0, -1
                                        ; implicit-def: $vgpr2_vgpr3
	s_branch .LBB78_1369
.LBB78_1361:
	s_mov_b32 s0, -1
                                        ; implicit-def: $vgpr2_vgpr3
	s_branch .LBB78_1366
.LBB78_1362:
	s_mov_b32 s0, -1
                                        ; implicit-def: $vgpr2_vgpr3
.LBB78_1363:
	s_delay_alu instid0(SALU_CYCLE_1)
	s_and_not1_b32 vcc_lo, exec_lo, s0
	s_cbranch_vccnz .LBB78_1365
; %bb.1364:
	s_wait_loadcnt 0x0
	global_load_b32 v2, v[0:1], off
	s_wait_loadcnt 0x0
	v_trunc_f32_e32 v2, v2
	s_delay_alu instid0(VALU_DEP_1) | instskip(NEXT) | instid1(VALU_DEP_1)
	v_mul_f32_e64 v3, 0x2f800000, |v2|
	v_floor_f32_e32 v3, v3
	s_delay_alu instid0(VALU_DEP_1) | instskip(SKIP_2) | instid1(VALU_DEP_3)
	v_fma_f32 v4, 0xcf800000, v3, |v2|
	v_ashrrev_i32_e32 v2, 31, v2
	v_cvt_u32_f32_e32 v5, v3
	v_cvt_u32_f32_e32 v4, v4
	s_delay_alu instid0(VALU_DEP_2) | instskip(NEXT) | instid1(VALU_DEP_2)
	v_dual_mov_b32 v3, v2 :: v_dual_bitop2_b32 v5, v5, v2 bitop3:0x14
	v_xor_b32_e32 v4, v4, v2
	s_delay_alu instid0(VALU_DEP_1)
	v_sub_nc_u64_e32 v[2:3], v[4:5], v[2:3]
.LBB78_1365:
	s_mov_b32 s0, 0
.LBB78_1366:
	s_delay_alu instid0(SALU_CYCLE_1)
	s_and_not1_b32 vcc_lo, exec_lo, s0
	s_cbranch_vccnz .LBB78_1368
; %bb.1367:
	s_wait_loadcnt 0x0
	global_load_b32 v2, v[0:1], off
	s_wait_loadcnt 0x0
	v_cvt_f32_f16_e32 v2, v2
	s_delay_alu instid0(VALU_DEP_1) | instskip(NEXT) | instid1(VALU_DEP_1)
	v_cvt_i32_f32_e32 v2, v2
	v_ashrrev_i32_e32 v3, 31, v2
.LBB78_1368:
	s_mov_b32 s0, 0
.LBB78_1369:
	s_delay_alu instid0(SALU_CYCLE_1)
	s_and_not1_b32 vcc_lo, exec_lo, s0
	s_cbranch_vccnz .LBB78_1380
; %bb.1370:
	s_cmp_lt_i32 s17, 6
	s_cbranch_scc1 .LBB78_1373
; %bb.1371:
	s_cmp_gt_i32 s17, 6
	s_cbranch_scc0 .LBB78_1374
; %bb.1372:
	s_wait_loadcnt 0x0
	global_load_b64 v[2:3], v[0:1], off
	s_mov_b32 s0, 0
	s_wait_loadcnt 0x0
	v_trunc_f64_e32 v[2:3], v[2:3]
	s_delay_alu instid0(VALU_DEP_1) | instskip(NEXT) | instid1(VALU_DEP_1)
	v_ldexp_f64 v[4:5], v[2:3], 0xffffffe0
	v_floor_f64_e32 v[4:5], v[4:5]
	s_delay_alu instid0(VALU_DEP_1) | instskip(SKIP_1) | instid1(VALU_DEP_2)
	v_fmamk_f64 v[8:9], v[4:5], 0xc1f00000, v[2:3]
	v_cvt_i32_f64_e32 v3, v[4:5]
	v_cvt_u32_f64_e32 v2, v[8:9]
	s_branch .LBB78_1375
.LBB78_1373:
	s_mov_b32 s0, -1
                                        ; implicit-def: $vgpr2_vgpr3
	s_branch .LBB78_1378
.LBB78_1374:
	s_mov_b32 s0, -1
                                        ; implicit-def: $vgpr2_vgpr3
.LBB78_1375:
	s_delay_alu instid0(SALU_CYCLE_1)
	s_and_not1_b32 vcc_lo, exec_lo, s0
	s_cbranch_vccnz .LBB78_1377
; %bb.1376:
	s_wait_loadcnt 0x0
	global_load_b32 v2, v[0:1], off
	s_wait_loadcnt 0x0
	v_trunc_f32_e32 v2, v2
	s_delay_alu instid0(VALU_DEP_1) | instskip(NEXT) | instid1(VALU_DEP_1)
	v_mul_f32_e64 v3, 0x2f800000, |v2|
	v_floor_f32_e32 v3, v3
	s_delay_alu instid0(VALU_DEP_1) | instskip(SKIP_2) | instid1(VALU_DEP_3)
	v_fma_f32 v4, 0xcf800000, v3, |v2|
	v_ashrrev_i32_e32 v2, 31, v2
	v_cvt_u32_f32_e32 v5, v3
	v_cvt_u32_f32_e32 v4, v4
	s_delay_alu instid0(VALU_DEP_2) | instskip(NEXT) | instid1(VALU_DEP_2)
	v_dual_mov_b32 v3, v2 :: v_dual_bitop2_b32 v5, v5, v2 bitop3:0x14
	v_xor_b32_e32 v4, v4, v2
	s_delay_alu instid0(VALU_DEP_1)
	v_sub_nc_u64_e32 v[2:3], v[4:5], v[2:3]
.LBB78_1377:
	s_mov_b32 s0, 0
.LBB78_1378:
	s_delay_alu instid0(SALU_CYCLE_1)
	s_and_not1_b32 vcc_lo, exec_lo, s0
	s_cbranch_vccnz .LBB78_1380
; %bb.1379:
	s_wait_loadcnt 0x0
	global_load_u16 v2, v[0:1], off
	s_wait_loadcnt 0x0
	v_cvt_f32_f16_e32 v2, v2
	s_delay_alu instid0(VALU_DEP_1) | instskip(NEXT) | instid1(VALU_DEP_1)
	v_cvt_i32_f32_e32 v2, v2
	v_ashrrev_i32_e32 v3, 31, v2
.LBB78_1380:
	s_mov_b32 s0, 0
.LBB78_1381:
	s_delay_alu instid0(SALU_CYCLE_1)
	s_and_not1_b32 vcc_lo, exec_lo, s0
	s_cbranch_vccnz .LBB78_1401
; %bb.1382:
	s_cmp_lt_i32 s17, 2
	s_cbranch_scc1 .LBB78_1386
; %bb.1383:
	s_cmp_lt_i32 s17, 3
	s_cbranch_scc1 .LBB78_1387
; %bb.1384:
	s_cmp_gt_i32 s17, 3
	s_cbranch_scc0 .LBB78_1388
; %bb.1385:
	s_wait_loadcnt 0x0
	global_load_b64 v[2:3], v[0:1], off
	s_mov_b32 s0, 0
	s_branch .LBB78_1389
.LBB78_1386:
	s_mov_b32 s0, -1
                                        ; implicit-def: $vgpr2_vgpr3
	s_branch .LBB78_1395
.LBB78_1387:
	s_mov_b32 s0, -1
                                        ; implicit-def: $vgpr2_vgpr3
	s_branch .LBB78_1392
.LBB78_1388:
	s_mov_b32 s0, -1
                                        ; implicit-def: $vgpr2_vgpr3
.LBB78_1389:
	s_delay_alu instid0(SALU_CYCLE_1)
	s_and_not1_b32 vcc_lo, exec_lo, s0
	s_cbranch_vccnz .LBB78_1391
; %bb.1390:
	s_wait_loadcnt 0x0
	global_load_b32 v2, v[0:1], off
	s_wait_loadcnt 0x0
	v_ashrrev_i32_e32 v3, 31, v2
.LBB78_1391:
	s_mov_b32 s0, 0
.LBB78_1392:
	s_delay_alu instid0(SALU_CYCLE_1)
	s_and_not1_b32 vcc_lo, exec_lo, s0
	s_cbranch_vccnz .LBB78_1394
; %bb.1393:
	s_wait_loadcnt 0x0
	global_load_u16 v2, v[0:1], off
	s_wait_loadcnt 0x0
	v_bfe_i32 v2, v2, 0, 16
	s_delay_alu instid0(VALU_DEP_1)
	v_ashrrev_i32_e32 v3, 31, v2
.LBB78_1394:
	s_mov_b32 s0, 0
.LBB78_1395:
	s_delay_alu instid0(SALU_CYCLE_1)
	s_and_not1_b32 vcc_lo, exec_lo, s0
	s_cbranch_vccnz .LBB78_1401
; %bb.1396:
	s_cmp_gt_i32 s17, 0
	s_mov_b32 s0, 0
	s_cbranch_scc0 .LBB78_1398
; %bb.1397:
	s_wait_loadcnt 0x0
	global_load_i8 v2, v[0:1], off
	s_wait_loadcnt 0x0
	v_bfe_i32 v2, v2, 0, 16
	s_delay_alu instid0(VALU_DEP_1)
	v_ashrrev_i32_e32 v3, 31, v2
	s_branch .LBB78_1399
.LBB78_1398:
	s_mov_b32 s0, -1
                                        ; implicit-def: $vgpr2_vgpr3
.LBB78_1399:
	s_delay_alu instid0(SALU_CYCLE_1)
	s_and_not1_b32 vcc_lo, exec_lo, s0
	s_cbranch_vccnz .LBB78_1401
; %bb.1400:
	global_load_u8 v0, v[0:1], off
	s_mov_b32 s0, 0
	s_wait_loadcnt 0x1
	v_mov_b32_e32 v3, s0
	s_wait_loadcnt 0x0
	v_and_b32_e32 v2, 0xffff, v0
.LBB78_1401:
	s_mov_b32 s20, -1
.LBB78_1402:
	s_delay_alu instid0(SALU_CYCLE_1)
	s_and_not1_b32 vcc_lo, exec_lo, s20
	s_cbranch_vccnz .LBB78_1453
; %bb.1403:
	s_wait_loadcnt 0x0
	s_delay_alu instid0(VALU_DEP_1) | instskip(SKIP_4) | instid1(SALU_CYCLE_1)
	v_cmp_gt_i64_e32 vcc_lo, s[8:9], v[2:3]
	v_cmp_le_i64_e64 s0, s[10:11], v[2:3]
	s_or_b32 s0, vcc_lo, s0
	s_wait_xcnt 0x0
	s_and_saveexec_b32 s7, s0
	s_xor_b32 s0, exec_lo, s7
	s_cbranch_execnz .LBB78_1780
.LBB78_1404:
	s_or_saveexec_b32 s7, s0
	s_mov_b32 s8, 0
	s_mov_b32 s9, 0
                                        ; implicit-def: $sgpr0
                                        ; implicit-def: $vgpr2_vgpr3
	s_xor_b32 exec_lo, exec_lo, s7
	s_cbranch_execz .LBB78_1721
; %bb.1405:
	v_mul_lo_u32 v0, s2, v6
	s_and_b32 s0, s12, 0xff
	s_delay_alu instid0(SALU_CYCLE_1) | instskip(NEXT) | instid1(VALU_DEP_1)
	s_cmp_lt_i32 s0, 11
	v_ashrrev_i32_e32 v1, 31, v0
	s_delay_alu instid0(VALU_DEP_1)
	v_add_nc_u64_e32 v[2:3], s[4:5], v[0:1]
	s_cbranch_scc1 .LBB78_1454
; %bb.1406:
	s_and_b32 s8, 0xffff, s0
	s_mov_b32 s12, -1
	s_mov_b32 s11, 0
	s_cmp_gt_i32 s8, 25
	s_mov_b32 s10, 0
	s_cbranch_scc0 .LBB78_1431
; %bb.1407:
	s_cmp_gt_i32 s8, 28
	s_cbranch_scc0 .LBB78_1420
; %bb.1408:
	s_cmp_gt_i32 s8, 43
	;; [unrolled: 3-line block ×3, first 2 shown]
	s_cbranch_scc0 .LBB78_1412
; %bb.1410:
	s_mov_b32 s9, -1
	s_mov_b32 s12, 0
	s_cmp_eq_u32 s8, 46
	s_cbranch_scc0 .LBB78_1412
; %bb.1411:
	v_mov_b32_e32 v1, 0
	s_mov_b32 s9, 0
	s_mov_b32 s10, -1
	global_store_b32 v[2:3], v1, off
.LBB78_1412:
	s_and_b32 vcc_lo, exec_lo, s12
	s_cbranch_vccz .LBB78_1415
; %bb.1413:
	s_cmp_eq_u32 s8, 44
	s_mov_b32 s9, -1
	s_cbranch_scc0 .LBB78_1415
; %bb.1414:
	s_wait_xcnt 0x0
	v_mov_b32_e32 v1, 0
	s_mov_b32 s9, 0
	s_mov_b32 s10, -1
	global_store_b8 v[2:3], v1, off
.LBB78_1415:
	s_mov_b32 s12, 0
.LBB78_1416:
	s_delay_alu instid0(SALU_CYCLE_1)
	s_and_b32 vcc_lo, exec_lo, s12
	s_cbranch_vccz .LBB78_1419
; %bb.1417:
	s_cmp_eq_u32 s8, 29
	s_mov_b32 s9, -1
	s_cbranch_scc0 .LBB78_1419
; %bb.1418:
	v_mov_b64_e32 v[4:5], 0
	s_mov_b32 s9, 0
	s_mov_b32 s10, -1
	global_store_b64 v[2:3], v[4:5], off
.LBB78_1419:
	s_mov_b32 s12, 0
.LBB78_1420:
	s_delay_alu instid0(SALU_CYCLE_1)
	s_and_b32 vcc_lo, exec_lo, s12
	s_cbranch_vccz .LBB78_1430
; %bb.1421:
	s_cmp_lt_i32 s8, 27
	s_mov_b32 s10, -1
	s_cbranch_scc1 .LBB78_1427
; %bb.1422:
	s_cmp_gt_i32 s8, 27
	s_cbranch_scc0 .LBB78_1424
; %bb.1423:
	s_wait_xcnt 0x0
	v_mov_b32_e32 v1, 0
	s_mov_b32 s10, 0
	global_store_b32 v[2:3], v1, off
.LBB78_1424:
	s_and_not1_b32 vcc_lo, exec_lo, s10
	s_cbranch_vccnz .LBB78_1426
; %bb.1425:
	s_wait_xcnt 0x0
	v_mov_b32_e32 v1, 0
	global_store_b16 v[2:3], v1, off
.LBB78_1426:
	s_mov_b32 s10, 0
.LBB78_1427:
	s_delay_alu instid0(SALU_CYCLE_1)
	s_and_not1_b32 vcc_lo, exec_lo, s10
	s_cbranch_vccnz .LBB78_1429
; %bb.1428:
	s_wait_xcnt 0x0
	v_mov_b32_e32 v1, 0
	global_store_b8 v[2:3], v1, off
.LBB78_1429:
	s_mov_b32 s10, -1
.LBB78_1430:
	s_mov_b32 s12, 0
.LBB78_1431:
	s_delay_alu instid0(SALU_CYCLE_1)
	s_and_b32 vcc_lo, exec_lo, s12
	s_cbranch_vccz .LBB78_1449
; %bb.1432:
	s_cmp_gt_i32 s8, 22
	s_mov_b32 s11, -1
	s_cbranch_scc0 .LBB78_1442
; %bb.1433:
	s_cmp_lt_i32 s8, 24
	s_mov_b32 s10, -1
	s_cbranch_scc1 .LBB78_1439
; %bb.1434:
	s_cmp_gt_i32 s8, 24
	s_cbranch_scc0 .LBB78_1436
; %bb.1435:
	s_wait_xcnt 0x0
	v_mov_b32_e32 v1, 0
	s_mov_b32 s10, 0
	global_store_b8 v[2:3], v1, off
.LBB78_1436:
	s_and_not1_b32 vcc_lo, exec_lo, s10
	s_cbranch_vccnz .LBB78_1438
; %bb.1437:
	s_wait_xcnt 0x0
	v_mov_b32_e32 v1, 0
	global_store_b8 v[2:3], v1, off
.LBB78_1438:
	s_mov_b32 s10, 0
.LBB78_1439:
	s_delay_alu instid0(SALU_CYCLE_1)
	s_and_not1_b32 vcc_lo, exec_lo, s10
	s_cbranch_vccnz .LBB78_1441
; %bb.1440:
	s_wait_xcnt 0x0
	v_mov_b32_e32 v1, 0
	global_store_b8 v[2:3], v1, off
.LBB78_1441:
	s_mov_b32 s11, 0
	s_mov_b32 s10, -1
.LBB78_1442:
	s_and_not1_b32 vcc_lo, exec_lo, s11
	s_mov_b32 s11, 0
	s_cbranch_vccnz .LBB78_1449
; %bb.1443:
	s_cmp_gt_i32 s8, 14
	s_mov_b32 s11, -1
	s_cbranch_scc0 .LBB78_1447
; %bb.1444:
	s_cmp_eq_u32 s8, 15
	s_mov_b32 s9, -1
	s_cbranch_scc0 .LBB78_1446
; %bb.1445:
	s_wait_xcnt 0x0
	v_mov_b32_e32 v1, 0
	s_mov_b32 s9, 0
	s_mov_b32 s10, -1
	global_store_b16 v[2:3], v1, off
.LBB78_1446:
	s_mov_b32 s11, 0
.LBB78_1447:
	s_delay_alu instid0(SALU_CYCLE_1)
	s_and_b32 vcc_lo, exec_lo, s11
	s_mov_b32 s11, 0
	s_cbranch_vccz .LBB78_1449
; %bb.1448:
	s_cmp_lg_u32 s8, 11
	s_mov_b32 s11, -1
	s_cselect_b32 s9, -1, 0
.LBB78_1449:
	s_delay_alu instid0(SALU_CYCLE_1)
	s_and_b32 vcc_lo, exec_lo, s9
	s_mov_b32 s8, s6
	s_cbranch_vccnz .LBB78_1774
; %bb.1450:
	s_and_not1_b32 vcc_lo, exec_lo, s11
	s_cbranch_vccnz .LBB78_1452
.LBB78_1451:
	s_wait_xcnt 0x0
	v_mov_b32_e32 v1, 0
	s_mov_b32 s10, -1
	global_store_b8 v[2:3], v1, off
.LBB78_1452:
	s_mov_b32 s9, 0
	s_branch .LBB78_1455
.LBB78_1453:
	s_mov_b32 s8, 0
	s_mov_b32 s9, 0
                                        ; implicit-def: $sgpr0
                                        ; implicit-def: $vgpr2_vgpr3
	s_branch .LBB78_1722
.LBB78_1454:
	s_mov_b32 s9, -1
	s_mov_b32 s10, 0
	s_mov_b32 s8, s6
.LBB78_1455:
	s_and_b32 vcc_lo, exec_lo, s9
	s_cbranch_vccz .LBB78_1494
; %bb.1456:
	s_and_b32 s9, 0xffff, s0
	s_mov_b32 s10, -1
	s_cmp_lt_i32 s9, 5
	s_cbranch_scc1 .LBB78_1477
; %bb.1457:
	s_cmp_lt_i32 s9, 8
	s_cbranch_scc1 .LBB78_1467
; %bb.1458:
	;; [unrolled: 3-line block ×3, first 2 shown]
	s_cmp_gt_i32 s9, 9
	s_cbranch_scc0 .LBB78_1461
; %bb.1460:
	s_wait_xcnt 0x0
	v_mov_b32_e32 v4, 0
	s_mov_b32 s10, 0
	s_delay_alu instid0(VALU_DEP_1)
	v_dual_mov_b32 v5, v4 :: v_dual_mov_b32 v6, v4
	v_mov_b32_e32 v7, v4
	global_store_b128 v[2:3], v[4:7], off
.LBB78_1461:
	s_and_not1_b32 vcc_lo, exec_lo, s10
	s_cbranch_vccnz .LBB78_1463
; %bb.1462:
	s_wait_xcnt 0x0
	v_mov_b64_e32 v[4:5], 0
	global_store_b64 v[2:3], v[4:5], off
.LBB78_1463:
	s_mov_b32 s10, 0
.LBB78_1464:
	s_delay_alu instid0(SALU_CYCLE_1)
	s_and_not1_b32 vcc_lo, exec_lo, s10
	s_cbranch_vccnz .LBB78_1466
; %bb.1465:
	s_wait_xcnt 0x0
	v_mov_b32_e32 v1, 0
	global_store_b32 v[2:3], v1, off
.LBB78_1466:
	s_mov_b32 s10, 0
.LBB78_1467:
	s_delay_alu instid0(SALU_CYCLE_1)
	s_and_not1_b32 vcc_lo, exec_lo, s10
	s_cbranch_vccnz .LBB78_1476
; %bb.1468:
	s_cmp_lt_i32 s9, 6
	s_mov_b32 s10, -1
	s_cbranch_scc1 .LBB78_1474
; %bb.1469:
	s_cmp_gt_i32 s9, 6
	s_cbranch_scc0 .LBB78_1471
; %bb.1470:
	s_wait_xcnt 0x0
	v_mov_b64_e32 v[4:5], 0
	s_mov_b32 s10, 0
	global_store_b64 v[2:3], v[4:5], off
.LBB78_1471:
	s_and_not1_b32 vcc_lo, exec_lo, s10
	s_cbranch_vccnz .LBB78_1473
; %bb.1472:
	s_wait_xcnt 0x0
	v_mov_b32_e32 v1, 0
	global_store_b32 v[2:3], v1, off
.LBB78_1473:
	s_mov_b32 s10, 0
.LBB78_1474:
	s_delay_alu instid0(SALU_CYCLE_1)
	s_and_not1_b32 vcc_lo, exec_lo, s10
	s_cbranch_vccnz .LBB78_1476
; %bb.1475:
	s_wait_xcnt 0x0
	v_mov_b32_e32 v1, 0
	global_store_b16 v[2:3], v1, off
.LBB78_1476:
	s_mov_b32 s10, 0
.LBB78_1477:
	s_delay_alu instid0(SALU_CYCLE_1)
	s_and_not1_b32 vcc_lo, exec_lo, s10
	s_cbranch_vccnz .LBB78_1493
; %bb.1478:
	s_cmp_lt_i32 s9, 2
	s_mov_b32 s10, -1
	s_cbranch_scc1 .LBB78_1488
; %bb.1479:
	s_cmp_lt_i32 s9, 3
	s_cbranch_scc1 .LBB78_1485
; %bb.1480:
	s_cmp_gt_i32 s9, 3
	s_cbranch_scc0 .LBB78_1482
; %bb.1481:
	s_wait_xcnt 0x0
	v_mov_b64_e32 v[4:5], 0
	s_mov_b32 s10, 0
	global_store_b64 v[2:3], v[4:5], off
.LBB78_1482:
	s_and_not1_b32 vcc_lo, exec_lo, s10
	s_cbranch_vccnz .LBB78_1484
; %bb.1483:
	s_wait_xcnt 0x0
	v_mov_b32_e32 v1, 0
	global_store_b32 v[2:3], v1, off
.LBB78_1484:
	s_mov_b32 s10, 0
.LBB78_1485:
	s_delay_alu instid0(SALU_CYCLE_1)
	s_and_not1_b32 vcc_lo, exec_lo, s10
	s_cbranch_vccnz .LBB78_1487
; %bb.1486:
	s_wait_xcnt 0x0
	v_mov_b32_e32 v1, 0
	global_store_b16 v[2:3], v1, off
.LBB78_1487:
	s_mov_b32 s10, 0
.LBB78_1488:
	s_delay_alu instid0(SALU_CYCLE_1)
	s_and_not1_b32 vcc_lo, exec_lo, s10
	s_cbranch_vccnz .LBB78_1493
; %bb.1489:
	s_cmp_gt_i32 s9, 0
	s_mov_b32 s9, -1
	s_cbranch_scc0 .LBB78_1491
; %bb.1490:
	s_wait_xcnt 0x0
	v_mov_b32_e32 v1, 0
	s_mov_b32 s9, 0
	global_store_b8 v[2:3], v1, off
.LBB78_1491:
	s_and_not1_b32 vcc_lo, exec_lo, s9
	s_cbranch_vccnz .LBB78_1493
; %bb.1492:
	s_wait_xcnt 0x0
	v_mov_b32_e32 v1, 0
	global_store_b8 v[2:3], v1, off
.LBB78_1493:
	s_mov_b32 s10, -1
.LBB78_1494:
	s_delay_alu instid0(SALU_CYCLE_1)
	s_and_not1_b32 vcc_lo, exec_lo, s10
	s_cbranch_vccnz .LBB78_1719
; %bb.1495:
	s_lshl_b32 s2, s2, 7
	s_cmp_lt_i32 s0, 11
	v_add_nc_u32_e32 v0, s2, v0
	s_wait_xcnt 0x0
	s_delay_alu instid0(VALU_DEP_1) | instskip(NEXT) | instid1(VALU_DEP_1)
	v_ashrrev_i32_e32 v1, 31, v0
	v_add_nc_u64_e32 v[2:3], s[4:5], v[0:1]
	s_cbranch_scc1 .LBB78_1543
; %bb.1496:
	s_and_b32 s9, 0xffff, s0
	s_mov_b32 s17, -1
	s_mov_b32 s12, 0
	s_cmp_gt_i32 s9, 25
	s_mov_b32 s11, 0
	s_mov_b32 s10, 0
	s_cbranch_scc0 .LBB78_1521
; %bb.1497:
	s_cmp_gt_i32 s9, 28
	s_cbranch_scc0 .LBB78_1510
; %bb.1498:
	s_cmp_gt_i32 s9, 43
	;; [unrolled: 3-line block ×3, first 2 shown]
	s_cbranch_scc0 .LBB78_1502
; %bb.1500:
	s_mov_b32 s10, -1
	s_mov_b32 s17, 0
	s_cmp_eq_u32 s9, 46
	s_cbranch_scc0 .LBB78_1502
; %bb.1501:
	v_mov_b32_e32 v1, 0
	s_mov_b32 s10, 0
	s_mov_b32 s11, -1
	global_store_b32 v[2:3], v1, off
.LBB78_1502:
	s_and_b32 vcc_lo, exec_lo, s17
	s_cbranch_vccz .LBB78_1505
; %bb.1503:
	s_cmp_eq_u32 s9, 44
	s_mov_b32 s10, -1
	s_cbranch_scc0 .LBB78_1505
; %bb.1504:
	s_wait_xcnt 0x0
	v_mov_b32_e32 v1, 0
	s_mov_b32 s10, 0
	s_mov_b32 s11, -1
	global_store_b8 v[2:3], v1, off
.LBB78_1505:
	s_mov_b32 s17, 0
.LBB78_1506:
	s_delay_alu instid0(SALU_CYCLE_1)
	s_and_b32 vcc_lo, exec_lo, s17
	s_cbranch_vccz .LBB78_1509
; %bb.1507:
	s_cmp_eq_u32 s9, 29
	s_mov_b32 s10, -1
	s_cbranch_scc0 .LBB78_1509
; %bb.1508:
	v_mov_b64_e32 v[4:5], 0
	s_mov_b32 s10, 0
	s_mov_b32 s11, -1
	global_store_b64 v[2:3], v[4:5], off
.LBB78_1509:
	s_mov_b32 s17, 0
.LBB78_1510:
	s_delay_alu instid0(SALU_CYCLE_1)
	s_and_b32 vcc_lo, exec_lo, s17
	s_cbranch_vccz .LBB78_1520
; %bb.1511:
	s_cmp_lt_i32 s9, 27
	s_mov_b32 s11, -1
	s_cbranch_scc1 .LBB78_1517
; %bb.1512:
	s_cmp_gt_i32 s9, 27
	s_cbranch_scc0 .LBB78_1514
; %bb.1513:
	s_wait_xcnt 0x0
	v_mov_b32_e32 v1, 0
	s_mov_b32 s11, 0
	global_store_b32 v[2:3], v1, off
.LBB78_1514:
	s_and_not1_b32 vcc_lo, exec_lo, s11
	s_cbranch_vccnz .LBB78_1516
; %bb.1515:
	s_wait_xcnt 0x0
	v_mov_b32_e32 v1, 0
	global_store_b16 v[2:3], v1, off
.LBB78_1516:
	s_mov_b32 s11, 0
.LBB78_1517:
	s_delay_alu instid0(SALU_CYCLE_1)
	s_and_not1_b32 vcc_lo, exec_lo, s11
	s_cbranch_vccnz .LBB78_1519
; %bb.1518:
	s_wait_xcnt 0x0
	v_mov_b32_e32 v1, 0
	global_store_b8 v[2:3], v1, off
.LBB78_1519:
	s_mov_b32 s11, -1
.LBB78_1520:
	s_mov_b32 s17, 0
.LBB78_1521:
	s_delay_alu instid0(SALU_CYCLE_1)
	s_and_b32 vcc_lo, exec_lo, s17
	s_cbranch_vccz .LBB78_1539
; %bb.1522:
	s_cmp_gt_i32 s9, 22
	s_mov_b32 s12, -1
	s_cbranch_scc0 .LBB78_1532
; %bb.1523:
	s_cmp_lt_i32 s9, 24
	s_mov_b32 s11, -1
	s_cbranch_scc1 .LBB78_1529
; %bb.1524:
	s_cmp_gt_i32 s9, 24
	s_cbranch_scc0 .LBB78_1526
; %bb.1525:
	s_wait_xcnt 0x0
	v_mov_b32_e32 v1, 0
	s_mov_b32 s11, 0
	global_store_b8 v[2:3], v1, off
.LBB78_1526:
	s_and_not1_b32 vcc_lo, exec_lo, s11
	s_cbranch_vccnz .LBB78_1528
; %bb.1527:
	s_wait_xcnt 0x0
	v_mov_b32_e32 v1, 0
	global_store_b8 v[2:3], v1, off
.LBB78_1528:
	s_mov_b32 s11, 0
.LBB78_1529:
	s_delay_alu instid0(SALU_CYCLE_1)
	s_and_not1_b32 vcc_lo, exec_lo, s11
	s_cbranch_vccnz .LBB78_1531
; %bb.1530:
	s_wait_xcnt 0x0
	v_mov_b32_e32 v1, 0
	global_store_b8 v[2:3], v1, off
.LBB78_1531:
	s_mov_b32 s12, 0
	s_mov_b32 s11, -1
.LBB78_1532:
	s_and_not1_b32 vcc_lo, exec_lo, s12
	s_mov_b32 s12, 0
	s_cbranch_vccnz .LBB78_1539
; %bb.1533:
	s_cmp_gt_i32 s9, 14
	s_mov_b32 s12, -1
	s_cbranch_scc0 .LBB78_1537
; %bb.1534:
	s_cmp_eq_u32 s9, 15
	s_mov_b32 s10, -1
	s_cbranch_scc0 .LBB78_1536
; %bb.1535:
	s_wait_xcnt 0x0
	v_mov_b32_e32 v1, 0
	s_mov_b32 s10, 0
	s_mov_b32 s11, -1
	global_store_b16 v[2:3], v1, off
.LBB78_1536:
	s_mov_b32 s12, 0
.LBB78_1537:
	s_delay_alu instid0(SALU_CYCLE_1)
	s_and_b32 vcc_lo, exec_lo, s12
	s_mov_b32 s12, 0
	s_cbranch_vccz .LBB78_1539
; %bb.1538:
	s_cmp_lg_u32 s9, 11
	s_mov_b32 s12, -1
	s_cselect_b32 s10, -1, 0
.LBB78_1539:
	s_delay_alu instid0(SALU_CYCLE_1)
	s_and_b32 vcc_lo, exec_lo, s10
	s_cbranch_vccnz .LBB78_1776
; %bb.1540:
	s_and_not1_b32 vcc_lo, exec_lo, s12
	s_cbranch_vccnz .LBB78_1542
.LBB78_1541:
	s_wait_xcnt 0x0
	v_mov_b32_e32 v1, 0
	s_mov_b32 s11, -1
	global_store_b8 v[2:3], v1, off
.LBB78_1542:
	s_mov_b32 s9, 0
	s_branch .LBB78_1544
.LBB78_1543:
	s_mov_b32 s9, -1
	s_mov_b32 s11, 0
.LBB78_1544:
	s_and_b32 vcc_lo, exec_lo, s9
	s_cbranch_vccz .LBB78_1583
; %bb.1545:
	s_and_b32 s9, 0xffff, s0
	s_mov_b32 s10, -1
	s_cmp_lt_i32 s9, 5
	s_cbranch_scc1 .LBB78_1566
; %bb.1546:
	s_cmp_lt_i32 s9, 8
	s_cbranch_scc1 .LBB78_1556
; %bb.1547:
	;; [unrolled: 3-line block ×3, first 2 shown]
	s_cmp_gt_i32 s9, 9
	s_cbranch_scc0 .LBB78_1550
; %bb.1549:
	s_wait_xcnt 0x0
	v_mov_b32_e32 v4, 0
	s_mov_b32 s10, 0
	s_delay_alu instid0(VALU_DEP_1)
	v_dual_mov_b32 v5, v4 :: v_dual_mov_b32 v6, v4
	v_mov_b32_e32 v7, v4
	global_store_b128 v[2:3], v[4:7], off
.LBB78_1550:
	s_and_not1_b32 vcc_lo, exec_lo, s10
	s_cbranch_vccnz .LBB78_1552
; %bb.1551:
	s_wait_xcnt 0x0
	v_mov_b64_e32 v[4:5], 0
	global_store_b64 v[2:3], v[4:5], off
.LBB78_1552:
	s_mov_b32 s10, 0
.LBB78_1553:
	s_delay_alu instid0(SALU_CYCLE_1)
	s_and_not1_b32 vcc_lo, exec_lo, s10
	s_cbranch_vccnz .LBB78_1555
; %bb.1554:
	s_wait_xcnt 0x0
	v_mov_b32_e32 v1, 0
	global_store_b32 v[2:3], v1, off
.LBB78_1555:
	s_mov_b32 s10, 0
.LBB78_1556:
	s_delay_alu instid0(SALU_CYCLE_1)
	s_and_not1_b32 vcc_lo, exec_lo, s10
	s_cbranch_vccnz .LBB78_1565
; %bb.1557:
	s_cmp_lt_i32 s9, 6
	s_mov_b32 s10, -1
	s_cbranch_scc1 .LBB78_1563
; %bb.1558:
	s_cmp_gt_i32 s9, 6
	s_cbranch_scc0 .LBB78_1560
; %bb.1559:
	s_wait_xcnt 0x0
	v_mov_b64_e32 v[4:5], 0
	s_mov_b32 s10, 0
	global_store_b64 v[2:3], v[4:5], off
.LBB78_1560:
	s_and_not1_b32 vcc_lo, exec_lo, s10
	s_cbranch_vccnz .LBB78_1562
; %bb.1561:
	s_wait_xcnt 0x0
	v_mov_b32_e32 v1, 0
	global_store_b32 v[2:3], v1, off
.LBB78_1562:
	s_mov_b32 s10, 0
.LBB78_1563:
	s_delay_alu instid0(SALU_CYCLE_1)
	s_and_not1_b32 vcc_lo, exec_lo, s10
	s_cbranch_vccnz .LBB78_1565
; %bb.1564:
	s_wait_xcnt 0x0
	v_mov_b32_e32 v1, 0
	global_store_b16 v[2:3], v1, off
.LBB78_1565:
	s_mov_b32 s10, 0
.LBB78_1566:
	s_delay_alu instid0(SALU_CYCLE_1)
	s_and_not1_b32 vcc_lo, exec_lo, s10
	s_cbranch_vccnz .LBB78_1582
; %bb.1567:
	s_cmp_lt_i32 s9, 2
	s_mov_b32 s10, -1
	s_cbranch_scc1 .LBB78_1577
; %bb.1568:
	s_cmp_lt_i32 s9, 3
	s_cbranch_scc1 .LBB78_1574
; %bb.1569:
	s_cmp_gt_i32 s9, 3
	s_cbranch_scc0 .LBB78_1571
; %bb.1570:
	s_wait_xcnt 0x0
	v_mov_b64_e32 v[4:5], 0
	s_mov_b32 s10, 0
	global_store_b64 v[2:3], v[4:5], off
.LBB78_1571:
	s_and_not1_b32 vcc_lo, exec_lo, s10
	s_cbranch_vccnz .LBB78_1573
; %bb.1572:
	s_wait_xcnt 0x0
	v_mov_b32_e32 v1, 0
	global_store_b32 v[2:3], v1, off
.LBB78_1573:
	s_mov_b32 s10, 0
.LBB78_1574:
	s_delay_alu instid0(SALU_CYCLE_1)
	s_and_not1_b32 vcc_lo, exec_lo, s10
	s_cbranch_vccnz .LBB78_1576
; %bb.1575:
	s_wait_xcnt 0x0
	v_mov_b32_e32 v1, 0
	global_store_b16 v[2:3], v1, off
.LBB78_1576:
	s_mov_b32 s10, 0
.LBB78_1577:
	s_delay_alu instid0(SALU_CYCLE_1)
	s_and_not1_b32 vcc_lo, exec_lo, s10
	s_cbranch_vccnz .LBB78_1582
; %bb.1578:
	s_cmp_gt_i32 s9, 0
	s_mov_b32 s9, -1
	s_cbranch_scc0 .LBB78_1580
; %bb.1579:
	s_wait_xcnt 0x0
	v_mov_b32_e32 v1, 0
	s_mov_b32 s9, 0
	global_store_b8 v[2:3], v1, off
.LBB78_1580:
	s_and_not1_b32 vcc_lo, exec_lo, s9
	s_cbranch_vccnz .LBB78_1582
; %bb.1581:
	s_wait_xcnt 0x0
	v_mov_b32_e32 v1, 0
	global_store_b8 v[2:3], v1, off
.LBB78_1582:
	s_mov_b32 s11, -1
.LBB78_1583:
	s_delay_alu instid0(SALU_CYCLE_1)
	s_and_not1_b32 vcc_lo, exec_lo, s11
	s_cbranch_vccnz .LBB78_1719
; %bb.1584:
	v_add_nc_u32_e32 v0, s2, v0
	s_cmp_lt_i32 s0, 11
	s_wait_xcnt 0x0
	s_delay_alu instid0(VALU_DEP_1) | instskip(NEXT) | instid1(VALU_DEP_1)
	v_ashrrev_i32_e32 v1, 31, v0
	v_add_nc_u64_e32 v[2:3], s[4:5], v[0:1]
	s_cbranch_scc1 .LBB78_1632
; %bb.1585:
	s_and_b32 s9, 0xffff, s0
	s_mov_b32 s17, -1
	s_mov_b32 s12, 0
	s_cmp_gt_i32 s9, 25
	s_mov_b32 s11, 0
	s_mov_b32 s10, 0
	s_cbranch_scc0 .LBB78_1610
; %bb.1586:
	s_cmp_gt_i32 s9, 28
	s_cbranch_scc0 .LBB78_1599
; %bb.1587:
	s_cmp_gt_i32 s9, 43
	;; [unrolled: 3-line block ×3, first 2 shown]
	s_cbranch_scc0 .LBB78_1591
; %bb.1589:
	s_mov_b32 s10, -1
	s_mov_b32 s17, 0
	s_cmp_eq_u32 s9, 46
	s_cbranch_scc0 .LBB78_1591
; %bb.1590:
	v_mov_b32_e32 v1, 0
	s_mov_b32 s10, 0
	s_mov_b32 s11, -1
	global_store_b32 v[2:3], v1, off
.LBB78_1591:
	s_and_b32 vcc_lo, exec_lo, s17
	s_cbranch_vccz .LBB78_1594
; %bb.1592:
	s_cmp_eq_u32 s9, 44
	s_mov_b32 s10, -1
	s_cbranch_scc0 .LBB78_1594
; %bb.1593:
	s_wait_xcnt 0x0
	v_mov_b32_e32 v1, 0
	s_mov_b32 s10, 0
	s_mov_b32 s11, -1
	global_store_b8 v[2:3], v1, off
.LBB78_1594:
	s_mov_b32 s17, 0
.LBB78_1595:
	s_delay_alu instid0(SALU_CYCLE_1)
	s_and_b32 vcc_lo, exec_lo, s17
	s_cbranch_vccz .LBB78_1598
; %bb.1596:
	s_cmp_eq_u32 s9, 29
	s_mov_b32 s10, -1
	s_cbranch_scc0 .LBB78_1598
; %bb.1597:
	v_mov_b64_e32 v[4:5], 0
	s_mov_b32 s10, 0
	s_mov_b32 s11, -1
	global_store_b64 v[2:3], v[4:5], off
.LBB78_1598:
	s_mov_b32 s17, 0
.LBB78_1599:
	s_delay_alu instid0(SALU_CYCLE_1)
	s_and_b32 vcc_lo, exec_lo, s17
	s_cbranch_vccz .LBB78_1609
; %bb.1600:
	s_cmp_lt_i32 s9, 27
	s_mov_b32 s11, -1
	s_cbranch_scc1 .LBB78_1606
; %bb.1601:
	s_cmp_gt_i32 s9, 27
	s_cbranch_scc0 .LBB78_1603
; %bb.1602:
	s_wait_xcnt 0x0
	v_mov_b32_e32 v1, 0
	s_mov_b32 s11, 0
	global_store_b32 v[2:3], v1, off
.LBB78_1603:
	s_and_not1_b32 vcc_lo, exec_lo, s11
	s_cbranch_vccnz .LBB78_1605
; %bb.1604:
	s_wait_xcnt 0x0
	v_mov_b32_e32 v1, 0
	global_store_b16 v[2:3], v1, off
.LBB78_1605:
	s_mov_b32 s11, 0
.LBB78_1606:
	s_delay_alu instid0(SALU_CYCLE_1)
	s_and_not1_b32 vcc_lo, exec_lo, s11
	s_cbranch_vccnz .LBB78_1608
; %bb.1607:
	s_wait_xcnt 0x0
	v_mov_b32_e32 v1, 0
	global_store_b8 v[2:3], v1, off
.LBB78_1608:
	s_mov_b32 s11, -1
.LBB78_1609:
	s_mov_b32 s17, 0
.LBB78_1610:
	s_delay_alu instid0(SALU_CYCLE_1)
	s_and_b32 vcc_lo, exec_lo, s17
	s_cbranch_vccz .LBB78_1628
; %bb.1611:
	s_cmp_gt_i32 s9, 22
	s_mov_b32 s12, -1
	s_cbranch_scc0 .LBB78_1621
; %bb.1612:
	s_cmp_lt_i32 s9, 24
	s_mov_b32 s11, -1
	s_cbranch_scc1 .LBB78_1618
; %bb.1613:
	s_cmp_gt_i32 s9, 24
	s_cbranch_scc0 .LBB78_1615
; %bb.1614:
	s_wait_xcnt 0x0
	v_mov_b32_e32 v1, 0
	s_mov_b32 s11, 0
	global_store_b8 v[2:3], v1, off
.LBB78_1615:
	s_and_not1_b32 vcc_lo, exec_lo, s11
	s_cbranch_vccnz .LBB78_1617
; %bb.1616:
	s_wait_xcnt 0x0
	v_mov_b32_e32 v1, 0
	global_store_b8 v[2:3], v1, off
.LBB78_1617:
	s_mov_b32 s11, 0
.LBB78_1618:
	s_delay_alu instid0(SALU_CYCLE_1)
	s_and_not1_b32 vcc_lo, exec_lo, s11
	s_cbranch_vccnz .LBB78_1620
; %bb.1619:
	s_wait_xcnt 0x0
	v_mov_b32_e32 v1, 0
	global_store_b8 v[2:3], v1, off
.LBB78_1620:
	s_mov_b32 s12, 0
	s_mov_b32 s11, -1
.LBB78_1621:
	s_and_not1_b32 vcc_lo, exec_lo, s12
	s_mov_b32 s12, 0
	s_cbranch_vccnz .LBB78_1628
; %bb.1622:
	s_cmp_gt_i32 s9, 14
	s_mov_b32 s12, -1
	s_cbranch_scc0 .LBB78_1626
; %bb.1623:
	s_cmp_eq_u32 s9, 15
	s_mov_b32 s10, -1
	s_cbranch_scc0 .LBB78_1625
; %bb.1624:
	s_wait_xcnt 0x0
	v_mov_b32_e32 v1, 0
	s_mov_b32 s10, 0
	s_mov_b32 s11, -1
	global_store_b16 v[2:3], v1, off
.LBB78_1625:
	s_mov_b32 s12, 0
.LBB78_1626:
	s_delay_alu instid0(SALU_CYCLE_1)
	s_and_b32 vcc_lo, exec_lo, s12
	s_mov_b32 s12, 0
	s_cbranch_vccz .LBB78_1628
; %bb.1627:
	s_cmp_lg_u32 s9, 11
	s_mov_b32 s12, -1
	s_cselect_b32 s10, -1, 0
.LBB78_1628:
	s_delay_alu instid0(SALU_CYCLE_1)
	s_and_b32 vcc_lo, exec_lo, s10
	s_cbranch_vccnz .LBB78_1777
; %bb.1629:
	s_and_not1_b32 vcc_lo, exec_lo, s12
	s_cbranch_vccnz .LBB78_1631
.LBB78_1630:
	s_wait_xcnt 0x0
	v_mov_b32_e32 v1, 0
	s_mov_b32 s11, -1
	global_store_b8 v[2:3], v1, off
.LBB78_1631:
	s_mov_b32 s9, 0
	s_branch .LBB78_1633
.LBB78_1632:
	s_mov_b32 s9, -1
	s_mov_b32 s11, 0
.LBB78_1633:
	s_and_b32 vcc_lo, exec_lo, s9
	s_cbranch_vccz .LBB78_1672
; %bb.1634:
	s_and_b32 s9, 0xffff, s0
	s_mov_b32 s10, -1
	s_cmp_lt_i32 s9, 5
	s_cbranch_scc1 .LBB78_1655
; %bb.1635:
	s_cmp_lt_i32 s9, 8
	s_cbranch_scc1 .LBB78_1645
; %bb.1636:
	;; [unrolled: 3-line block ×3, first 2 shown]
	s_cmp_gt_i32 s9, 9
	s_cbranch_scc0 .LBB78_1639
; %bb.1638:
	s_wait_xcnt 0x0
	v_mov_b32_e32 v4, 0
	s_mov_b32 s10, 0
	s_delay_alu instid0(VALU_DEP_1)
	v_dual_mov_b32 v5, v4 :: v_dual_mov_b32 v6, v4
	v_mov_b32_e32 v7, v4
	global_store_b128 v[2:3], v[4:7], off
.LBB78_1639:
	s_and_not1_b32 vcc_lo, exec_lo, s10
	s_cbranch_vccnz .LBB78_1641
; %bb.1640:
	s_wait_xcnt 0x0
	v_mov_b64_e32 v[4:5], 0
	global_store_b64 v[2:3], v[4:5], off
.LBB78_1641:
	s_mov_b32 s10, 0
.LBB78_1642:
	s_delay_alu instid0(SALU_CYCLE_1)
	s_and_not1_b32 vcc_lo, exec_lo, s10
	s_cbranch_vccnz .LBB78_1644
; %bb.1643:
	s_wait_xcnt 0x0
	v_mov_b32_e32 v1, 0
	global_store_b32 v[2:3], v1, off
.LBB78_1644:
	s_mov_b32 s10, 0
.LBB78_1645:
	s_delay_alu instid0(SALU_CYCLE_1)
	s_and_not1_b32 vcc_lo, exec_lo, s10
	s_cbranch_vccnz .LBB78_1654
; %bb.1646:
	s_cmp_lt_i32 s9, 6
	s_mov_b32 s10, -1
	s_cbranch_scc1 .LBB78_1652
; %bb.1647:
	s_cmp_gt_i32 s9, 6
	s_cbranch_scc0 .LBB78_1649
; %bb.1648:
	s_wait_xcnt 0x0
	v_mov_b64_e32 v[4:5], 0
	s_mov_b32 s10, 0
	global_store_b64 v[2:3], v[4:5], off
.LBB78_1649:
	s_and_not1_b32 vcc_lo, exec_lo, s10
	s_cbranch_vccnz .LBB78_1651
; %bb.1650:
	s_wait_xcnt 0x0
	v_mov_b32_e32 v1, 0
	global_store_b32 v[2:3], v1, off
.LBB78_1651:
	s_mov_b32 s10, 0
.LBB78_1652:
	s_delay_alu instid0(SALU_CYCLE_1)
	s_and_not1_b32 vcc_lo, exec_lo, s10
	s_cbranch_vccnz .LBB78_1654
; %bb.1653:
	s_wait_xcnt 0x0
	v_mov_b32_e32 v1, 0
	global_store_b16 v[2:3], v1, off
.LBB78_1654:
	s_mov_b32 s10, 0
.LBB78_1655:
	s_delay_alu instid0(SALU_CYCLE_1)
	s_and_not1_b32 vcc_lo, exec_lo, s10
	s_cbranch_vccnz .LBB78_1671
; %bb.1656:
	s_cmp_lt_i32 s9, 2
	s_mov_b32 s10, -1
	s_cbranch_scc1 .LBB78_1666
; %bb.1657:
	s_cmp_lt_i32 s9, 3
	s_cbranch_scc1 .LBB78_1663
; %bb.1658:
	s_cmp_gt_i32 s9, 3
	s_cbranch_scc0 .LBB78_1660
; %bb.1659:
	s_wait_xcnt 0x0
	v_mov_b64_e32 v[4:5], 0
	s_mov_b32 s10, 0
	global_store_b64 v[2:3], v[4:5], off
.LBB78_1660:
	s_and_not1_b32 vcc_lo, exec_lo, s10
	s_cbranch_vccnz .LBB78_1662
; %bb.1661:
	s_wait_xcnt 0x0
	v_mov_b32_e32 v1, 0
	global_store_b32 v[2:3], v1, off
.LBB78_1662:
	s_mov_b32 s10, 0
.LBB78_1663:
	s_delay_alu instid0(SALU_CYCLE_1)
	s_and_not1_b32 vcc_lo, exec_lo, s10
	s_cbranch_vccnz .LBB78_1665
; %bb.1664:
	s_wait_xcnt 0x0
	v_mov_b32_e32 v1, 0
	global_store_b16 v[2:3], v1, off
.LBB78_1665:
	s_mov_b32 s10, 0
.LBB78_1666:
	s_delay_alu instid0(SALU_CYCLE_1)
	s_and_not1_b32 vcc_lo, exec_lo, s10
	s_cbranch_vccnz .LBB78_1671
; %bb.1667:
	s_cmp_gt_i32 s9, 0
	s_mov_b32 s9, -1
	s_cbranch_scc0 .LBB78_1669
; %bb.1668:
	s_wait_xcnt 0x0
	v_mov_b32_e32 v1, 0
	s_mov_b32 s9, 0
	global_store_b8 v[2:3], v1, off
.LBB78_1669:
	s_and_not1_b32 vcc_lo, exec_lo, s9
	s_cbranch_vccnz .LBB78_1671
; %bb.1670:
	s_wait_xcnt 0x0
	v_mov_b32_e32 v1, 0
	global_store_b8 v[2:3], v1, off
.LBB78_1671:
	s_mov_b32 s11, -1
.LBB78_1672:
	s_delay_alu instid0(SALU_CYCLE_1)
	s_and_not1_b32 vcc_lo, exec_lo, s11
	s_cbranch_vccnz .LBB78_1719
; %bb.1673:
	v_add_nc_u32_e32 v0, s2, v0
	s_cmp_lt_i32 s0, 11
	s_wait_xcnt 0x0
	s_delay_alu instid0(VALU_DEP_1) | instskip(NEXT) | instid1(VALU_DEP_1)
	v_ashrrev_i32_e32 v1, 31, v0
	v_add_nc_u64_e32 v[2:3], s[4:5], v[0:1]
	s_cbranch_scc1 .LBB78_1773
; %bb.1674:
	s_and_b32 s4, 0xffff, s0
	s_mov_b32 s9, -1
	s_mov_b32 s2, 0
	s_cmp_gt_i32 s4, 25
	s_mov_b32 s5, 0
	s_cbranch_scc0 .LBB78_1699
; %bb.1675:
	s_cmp_gt_i32 s4, 28
	s_cbranch_scc0 .LBB78_1689
; %bb.1676:
	s_cmp_gt_i32 s4, 43
	;; [unrolled: 3-line block ×3, first 2 shown]
	s_cbranch_scc0 .LBB78_1681
; %bb.1678:
	s_cmp_eq_u32 s4, 46
	s_mov_b32 s5, -1
	s_cbranch_scc0 .LBB78_1680
; %bb.1679:
	v_mov_b32_e32 v0, 0
	s_mov_b32 s5, 0
	global_store_b32 v[2:3], v0, off
.LBB78_1680:
	s_mov_b32 s9, 0
.LBB78_1681:
	s_delay_alu instid0(SALU_CYCLE_1)
	s_and_b32 vcc_lo, exec_lo, s9
	s_cbranch_vccz .LBB78_1684
; %bb.1682:
	s_cmp_eq_u32 s4, 44
	s_mov_b32 s5, -1
	s_cbranch_scc0 .LBB78_1684
; %bb.1683:
	s_wait_xcnt 0x0
	v_mov_b32_e32 v0, 0
	s_mov_b32 s5, 0
	global_store_b8 v[2:3], v0, off
.LBB78_1684:
	s_mov_b32 s9, 0
.LBB78_1685:
	s_delay_alu instid0(SALU_CYCLE_1)
	s_and_b32 vcc_lo, exec_lo, s9
	s_cbranch_vccz .LBB78_1688
; %bb.1686:
	s_cmp_eq_u32 s4, 29
	s_mov_b32 s5, -1
	s_cbranch_scc0 .LBB78_1688
; %bb.1687:
	s_wait_xcnt 0x0
	v_mov_b64_e32 v[0:1], 0
	s_mov_b32 s5, 0
	global_store_b64 v[2:3], v[0:1], off
.LBB78_1688:
	s_mov_b32 s9, 0
.LBB78_1689:
	s_delay_alu instid0(SALU_CYCLE_1)
	s_and_b32 vcc_lo, exec_lo, s9
	s_cbranch_vccz .LBB78_1698
; %bb.1690:
	s_cmp_lt_i32 s4, 27
	s_mov_b32 s9, -1
	s_cbranch_scc1 .LBB78_1696
; %bb.1691:
	s_cmp_gt_i32 s4, 27
	s_cbranch_scc0 .LBB78_1693
; %bb.1692:
	s_wait_xcnt 0x0
	v_mov_b32_e32 v0, 0
	s_mov_b32 s9, 0
	global_store_b32 v[2:3], v0, off
.LBB78_1693:
	s_and_not1_b32 vcc_lo, exec_lo, s9
	s_cbranch_vccnz .LBB78_1695
; %bb.1694:
	s_wait_xcnt 0x0
	v_mov_b32_e32 v0, 0
	global_store_b16 v[2:3], v0, off
.LBB78_1695:
	s_mov_b32 s9, 0
.LBB78_1696:
	s_delay_alu instid0(SALU_CYCLE_1)
	s_and_not1_b32 vcc_lo, exec_lo, s9
	s_cbranch_vccnz .LBB78_1698
; %bb.1697:
	s_wait_xcnt 0x0
	v_mov_b32_e32 v0, 0
	global_store_b8 v[2:3], v0, off
.LBB78_1698:
	s_mov_b32 s9, 0
.LBB78_1699:
	s_delay_alu instid0(SALU_CYCLE_1)
	s_and_b32 vcc_lo, exec_lo, s9
	s_cbranch_vccz .LBB78_1717
; %bb.1700:
	s_cmp_gt_i32 s4, 22
	s_mov_b32 s2, -1
	s_cbranch_scc0 .LBB78_1710
; %bb.1701:
	s_cmp_lt_i32 s4, 24
	s_cbranch_scc1 .LBB78_1707
; %bb.1702:
	s_cmp_gt_i32 s4, 24
	s_cbranch_scc0 .LBB78_1704
; %bb.1703:
	s_wait_xcnt 0x0
	v_mov_b32_e32 v0, 0
	s_mov_b32 s2, 0
	global_store_b8 v[2:3], v0, off
.LBB78_1704:
	s_and_not1_b32 vcc_lo, exec_lo, s2
	s_cbranch_vccnz .LBB78_1706
; %bb.1705:
	s_wait_xcnt 0x0
	v_mov_b32_e32 v0, 0
	global_store_b8 v[2:3], v0, off
.LBB78_1706:
	s_mov_b32 s2, 0
.LBB78_1707:
	s_delay_alu instid0(SALU_CYCLE_1)
	s_and_not1_b32 vcc_lo, exec_lo, s2
	s_cbranch_vccnz .LBB78_1709
; %bb.1708:
	s_wait_xcnt 0x0
	v_mov_b32_e32 v0, 0
	global_store_b8 v[2:3], v0, off
.LBB78_1709:
	s_mov_b32 s2, 0
.LBB78_1710:
	s_delay_alu instid0(SALU_CYCLE_1)
	s_and_not1_b32 vcc_lo, exec_lo, s2
	s_mov_b32 s2, 0
	s_cbranch_vccnz .LBB78_1717
; %bb.1711:
	s_cmp_gt_i32 s4, 14
	s_mov_b32 s2, -1
	s_cbranch_scc0 .LBB78_1715
; %bb.1712:
	s_cmp_eq_u32 s4, 15
	s_mov_b32 s5, -1
	s_cbranch_scc0 .LBB78_1714
; %bb.1713:
	s_wait_xcnt 0x0
	v_mov_b32_e32 v0, 0
	s_mov_b32 s5, 0
	global_store_b16 v[2:3], v0, off
.LBB78_1714:
	s_mov_b32 s2, 0
.LBB78_1715:
	s_delay_alu instid0(SALU_CYCLE_1)
	s_and_b32 vcc_lo, exec_lo, s2
	s_mov_b32 s2, 0
	s_cbranch_vccz .LBB78_1717
; %bb.1716:
	s_cmp_lg_u32 s4, 11
	s_mov_b32 s2, -1
	s_cselect_b32 s5, -1, 0
.LBB78_1717:
	s_delay_alu instid0(SALU_CYCLE_1)
	s_and_b32 vcc_lo, exec_lo, s5
	s_cbranch_vccnz .LBB78_1779
.LBB78_1718:
	s_mov_b32 s4, 0
	s_branch .LBB78_1720
.LBB78_1719:
	s_mov_b32 s4, 0
	s_mov_b32 s2, 0
                                        ; implicit-def: $sgpr0
                                        ; implicit-def: $vgpr2_vgpr3
.LBB78_1720:
	s_and_b32 s9, s4, exec_lo
	s_and_not1_b32 s4, s6, exec_lo
	s_and_b32 s5, s8, exec_lo
	s_and_b32 s8, s2, exec_lo
	s_or_b32 s6, s4, s5
.LBB78_1721:
	s_wait_xcnt 0x0
	s_or_b32 exec_lo, exec_lo, s7
.LBB78_1722:
	s_delay_alu instid0(SALU_CYCLE_1)
	s_and_not1_b32 s2, s18, exec_lo
	s_and_b32 s4, s6, exec_lo
	s_and_b32 s22, s9, exec_lo
	;; [unrolled: 1-line block ×3, first 2 shown]
	s_or_b32 s18, s2, s4
.LBB78_1723:
	s_wait_xcnt 0x0
	s_or_b32 exec_lo, exec_lo, s19
.LBB78_1724:
	s_delay_alu instid0(SALU_CYCLE_1)
	s_and_not1_b32 s2, s3, exec_lo
	s_and_b32 s3, s18, exec_lo
	s_and_b32 s19, s22, exec_lo
	;; [unrolled: 1-line block ×3, first 2 shown]
	s_or_b32 s3, s2, s3
.LBB78_1725:
	s_wait_xcnt 0x0
	s_or_b32 exec_lo, exec_lo, s16
.LBB78_1726:
	s_delay_alu instid0(SALU_CYCLE_1)
	s_and_not1_b32 s1, s1, exec_lo
	s_and_b32 s2, s3, exec_lo
	s_and_b32 s19, s19, exec_lo
	;; [unrolled: 1-line block ×3, first 2 shown]
	s_or_b32 s1, s1, s2
.LBB78_1727:
	s_wait_xcnt 0x0
	s_or_b32 exec_lo, exec_lo, s13
.LBB78_1728:
	s_delay_alu instid0(SALU_CYCLE_1)
	s_and_not1_b32 s2, s15, exec_lo
	s_and_b32 s3, s1, exec_lo
	s_and_b32 s17, s19, exec_lo
	;; [unrolled: 1-line block ×3, first 2 shown]
	s_or_b32 s15, s2, s3
.LBB78_1729:
	s_wait_xcnt 0x0
	s_or_b32 exec_lo, exec_lo, s14
	s_and_saveexec_b32 s2, s15
	s_cbranch_execz .LBB78_1732
; %bb.1730:
	; divergent unreachable
	s_or_b32 exec_lo, exec_lo, s2
	s_and_saveexec_b32 s2, s1
	s_delay_alu instid0(SALU_CYCLE_1)
	s_xor_b32 s1, exec_lo, s2
	s_cbranch_execnz .LBB78_1733
.LBB78_1731:
	s_or_b32 exec_lo, exec_lo, s1
	s_and_saveexec_b32 s1, s17
	s_cbranch_execnz .LBB78_1734
	s_branch .LBB78_1771
.LBB78_1732:
	s_or_b32 exec_lo, exec_lo, s2
	s_and_saveexec_b32 s2, s1
	s_delay_alu instid0(SALU_CYCLE_1)
	s_xor_b32 s1, exec_lo, s2
	s_cbranch_execz .LBB78_1731
.LBB78_1733:
	v_mov_b32_e32 v0, 0
	s_wait_loadcnt 0x0
	global_store_b8 v[2:3], v0, off
	s_wait_xcnt 0x0
	s_or_b32 exec_lo, exec_lo, s1
	s_and_saveexec_b32 s1, s17
	s_cbranch_execz .LBB78_1771
.LBB78_1734:
	s_sext_i32_i16 s2, s0
	s_mov_b32 s1, -1
	s_cmp_lt_i32 s2, 5
	s_cbranch_scc1 .LBB78_1755
; %bb.1735:
	s_cmp_lt_i32 s2, 8
	s_cbranch_scc1 .LBB78_1745
; %bb.1736:
	;; [unrolled: 3-line block ×3, first 2 shown]
	s_cmp_gt_i32 s2, 9
	s_cbranch_scc0 .LBB78_1739
; %bb.1738:
	s_wait_loadcnt 0x0
	v_mov_b32_e32 v4, 0
	s_mov_b32 s1, 0
	s_delay_alu instid0(VALU_DEP_1)
	v_dual_mov_b32 v5, v4 :: v_dual_mov_b32 v6, v4
	v_mov_b32_e32 v7, v4
	global_store_b128 v[2:3], v[4:7], off
.LBB78_1739:
	s_and_not1_b32 vcc_lo, exec_lo, s1
	s_cbranch_vccnz .LBB78_1741
; %bb.1740:
	v_mov_b64_e32 v[0:1], 0
	s_wait_loadcnt 0x0
	global_store_b64 v[2:3], v[0:1], off
.LBB78_1741:
	s_mov_b32 s1, 0
.LBB78_1742:
	s_delay_alu instid0(SALU_CYCLE_1)
	s_and_not1_b32 vcc_lo, exec_lo, s1
	s_cbranch_vccnz .LBB78_1744
; %bb.1743:
	s_wait_xcnt 0x0
	v_mov_b32_e32 v0, 0
	s_wait_loadcnt 0x0
	global_store_b32 v[2:3], v0, off
.LBB78_1744:
	s_mov_b32 s1, 0
.LBB78_1745:
	s_delay_alu instid0(SALU_CYCLE_1)
	s_and_not1_b32 vcc_lo, exec_lo, s1
	s_cbranch_vccnz .LBB78_1754
; %bb.1746:
	s_sext_i32_i16 s2, s0
	s_mov_b32 s1, -1
	s_cmp_lt_i32 s2, 6
	s_cbranch_scc1 .LBB78_1752
; %bb.1747:
	s_cmp_gt_i32 s2, 6
	s_cbranch_scc0 .LBB78_1749
; %bb.1748:
	s_wait_xcnt 0x0
	v_mov_b64_e32 v[0:1], 0
	s_mov_b32 s1, 0
	s_wait_loadcnt 0x0
	global_store_b64 v[2:3], v[0:1], off
.LBB78_1749:
	s_and_not1_b32 vcc_lo, exec_lo, s1
	s_cbranch_vccnz .LBB78_1751
; %bb.1750:
	s_wait_xcnt 0x0
	v_mov_b32_e32 v0, 0
	s_wait_loadcnt 0x0
	global_store_b32 v[2:3], v0, off
.LBB78_1751:
	s_mov_b32 s1, 0
.LBB78_1752:
	s_delay_alu instid0(SALU_CYCLE_1)
	s_and_not1_b32 vcc_lo, exec_lo, s1
	s_cbranch_vccnz .LBB78_1754
; %bb.1753:
	s_wait_xcnt 0x0
	v_mov_b32_e32 v0, 0
	s_wait_loadcnt 0x0
	global_store_b16 v[2:3], v0, off
.LBB78_1754:
	s_mov_b32 s1, 0
.LBB78_1755:
	s_delay_alu instid0(SALU_CYCLE_1)
	s_and_not1_b32 vcc_lo, exec_lo, s1
	s_cbranch_vccnz .LBB78_1771
; %bb.1756:
	s_sext_i32_i16 s2, s0
	s_mov_b32 s1, -1
	s_cmp_lt_i32 s2, 2
	s_cbranch_scc1 .LBB78_1766
; %bb.1757:
	s_cmp_lt_i32 s2, 3
	s_cbranch_scc1 .LBB78_1763
; %bb.1758:
	s_cmp_gt_i32 s2, 3
	s_cbranch_scc0 .LBB78_1760
; %bb.1759:
	s_wait_xcnt 0x0
	v_mov_b64_e32 v[0:1], 0
	s_mov_b32 s1, 0
	s_wait_loadcnt 0x0
	global_store_b64 v[2:3], v[0:1], off
.LBB78_1760:
	s_and_not1_b32 vcc_lo, exec_lo, s1
	s_cbranch_vccnz .LBB78_1762
; %bb.1761:
	s_wait_xcnt 0x0
	v_mov_b32_e32 v0, 0
	s_wait_loadcnt 0x0
	global_store_b32 v[2:3], v0, off
.LBB78_1762:
	s_mov_b32 s1, 0
.LBB78_1763:
	s_delay_alu instid0(SALU_CYCLE_1)
	s_and_not1_b32 vcc_lo, exec_lo, s1
	s_cbranch_vccnz .LBB78_1765
; %bb.1764:
	s_wait_xcnt 0x0
	v_mov_b32_e32 v0, 0
	s_wait_loadcnt 0x0
	global_store_b16 v[2:3], v0, off
.LBB78_1765:
	s_mov_b32 s1, 0
.LBB78_1766:
	s_delay_alu instid0(SALU_CYCLE_1)
	s_and_not1_b32 vcc_lo, exec_lo, s1
	s_cbranch_vccnz .LBB78_1771
; %bb.1767:
	s_sext_i32_i16 s0, s0
	s_delay_alu instid0(SALU_CYCLE_1)
	s_cmp_gt_i32 s0, 0
	s_mov_b32 s0, -1
	s_cbranch_scc0 .LBB78_1769
; %bb.1768:
	s_wait_xcnt 0x0
	v_mov_b32_e32 v0, 0
	s_mov_b32 s0, 0
	s_wait_loadcnt 0x0
	global_store_b8 v[2:3], v0, off
.LBB78_1769:
	s_and_not1_b32 vcc_lo, exec_lo, s0
	s_cbranch_vccnz .LBB78_1771
; %bb.1770:
	s_wait_xcnt 0x0
	v_mov_b32_e32 v0, 0
	s_wait_loadcnt 0x0
	global_store_b8 v[2:3], v0, off
	s_endpgm
.LBB78_1771:
	s_endpgm
.LBB78_1772:
	s_or_b32 s6, s18, exec_lo
	s_trap 2
	s_cbranch_execz .LBB78_1351
	s_branch .LBB78_1352
.LBB78_1773:
	s_mov_b32 s2, 0
	s_mov_b32 s4, -1
	s_branch .LBB78_1720
.LBB78_1774:
	s_or_b32 s8, s6, exec_lo
	s_trap 2
	s_cbranch_execz .LBB78_1451
	s_branch .LBB78_1452
.LBB78_1775:
	s_or_b32 s3, s3, exec_lo
	s_trap 2
                                        ; implicit-def: $vgpr0
                                        ; implicit-def: $vgpr6
	s_branch .LBB78_918
.LBB78_1776:
	s_or_b32 s8, s8, exec_lo
	s_trap 2
	s_cbranch_execz .LBB78_1541
	s_branch .LBB78_1542
.LBB78_1777:
	s_or_b32 s8, s8, exec_lo
	s_trap 2
	s_cbranch_execz .LBB78_1630
	s_branch .LBB78_1631
.LBB78_1778:
	s_or_b32 s18, s18, exec_lo
	s_trap 2
                                        ; implicit-def: $vgpr0
                                        ; implicit-def: $vgpr6
	s_branch .LBB78_1273
.LBB78_1779:
	s_mov_b32 s2, 0
	s_or_b32 s8, s8, exec_lo
	s_trap 2
	s_branch .LBB78_1718
.LBB78_1780:
	s_or_b32 s6, s6, exec_lo
	s_trap 2
                                        ; implicit-def: $vgpr6
	s_branch .LBB78_1404
	.section	.rodata,"a",@progbits
	.p2align	6, 0x0
	.amdhsa_kernel _ZN2at6native32elementwise_kernel_manual_unrollILi128ELi4EZNS0_15gpu_kernel_implIZZZNS0_12_GLOBAL__N_142_validate_compressed_sparse_indices_kernelILNS3_8CDimNameE1ENS3_18CUDAKernelLauncherENS3_14EmptyVecKernelENS3_8DummyVecELm8EEEvRKNS_6TensorESB_lllENKUlvE0_clEvENKUlvE0_clEvEUllE_EEvRNS_18TensorIteratorBaseERKT_EUlibE_EEviT1_
		.amdhsa_group_segment_fixed_size 0
		.amdhsa_private_segment_fixed_size 0
		.amdhsa_kernarg_size 56
		.amdhsa_user_sgpr_count 2
		.amdhsa_user_sgpr_dispatch_ptr 0
		.amdhsa_user_sgpr_queue_ptr 0
		.amdhsa_user_sgpr_kernarg_segment_ptr 1
		.amdhsa_user_sgpr_dispatch_id 0
		.amdhsa_user_sgpr_kernarg_preload_length 0
		.amdhsa_user_sgpr_kernarg_preload_offset 0
		.amdhsa_user_sgpr_private_segment_size 0
		.amdhsa_wavefront_size32 1
		.amdhsa_uses_dynamic_stack 0
		.amdhsa_enable_private_segment 0
		.amdhsa_system_sgpr_workgroup_id_x 1
		.amdhsa_system_sgpr_workgroup_id_y 0
		.amdhsa_system_sgpr_workgroup_id_z 0
		.amdhsa_system_sgpr_workgroup_info 0
		.amdhsa_system_vgpr_workitem_id 0
		.amdhsa_next_free_vgpr 12
		.amdhsa_next_free_sgpr 35
		.amdhsa_named_barrier_count 0
		.amdhsa_reserve_vcc 1
		.amdhsa_float_round_mode_32 0
		.amdhsa_float_round_mode_16_64 0
		.amdhsa_float_denorm_mode_32 3
		.amdhsa_float_denorm_mode_16_64 3
		.amdhsa_fp16_overflow 0
		.amdhsa_memory_ordered 1
		.amdhsa_forward_progress 1
		.amdhsa_inst_pref_size 255
		.amdhsa_round_robin_scheduling 0
		.amdhsa_exception_fp_ieee_invalid_op 0
		.amdhsa_exception_fp_denorm_src 0
		.amdhsa_exception_fp_ieee_div_zero 0
		.amdhsa_exception_fp_ieee_overflow 0
		.amdhsa_exception_fp_ieee_underflow 0
		.amdhsa_exception_fp_ieee_inexact 0
		.amdhsa_exception_int_div_zero 0
	.end_amdhsa_kernel
	.section	.text._ZN2at6native32elementwise_kernel_manual_unrollILi128ELi4EZNS0_15gpu_kernel_implIZZZNS0_12_GLOBAL__N_142_validate_compressed_sparse_indices_kernelILNS3_8CDimNameE1ENS3_18CUDAKernelLauncherENS3_14EmptyVecKernelENS3_8DummyVecELm8EEEvRKNS_6TensorESB_lllENKUlvE0_clEvENKUlvE0_clEvEUllE_EEvRNS_18TensorIteratorBaseERKT_EUlibE_EEviT1_,"axG",@progbits,_ZN2at6native32elementwise_kernel_manual_unrollILi128ELi4EZNS0_15gpu_kernel_implIZZZNS0_12_GLOBAL__N_142_validate_compressed_sparse_indices_kernelILNS3_8CDimNameE1ENS3_18CUDAKernelLauncherENS3_14EmptyVecKernelENS3_8DummyVecELm8EEEvRKNS_6TensorESB_lllENKUlvE0_clEvENKUlvE0_clEvEUllE_EEvRNS_18TensorIteratorBaseERKT_EUlibE_EEviT1_,comdat
.Lfunc_end78:
	.size	_ZN2at6native32elementwise_kernel_manual_unrollILi128ELi4EZNS0_15gpu_kernel_implIZZZNS0_12_GLOBAL__N_142_validate_compressed_sparse_indices_kernelILNS3_8CDimNameE1ENS3_18CUDAKernelLauncherENS3_14EmptyVecKernelENS3_8DummyVecELm8EEEvRKNS_6TensorESB_lllENKUlvE0_clEvENKUlvE0_clEvEUllE_EEvRNS_18TensorIteratorBaseERKT_EUlibE_EEviT1_, .Lfunc_end78-_ZN2at6native32elementwise_kernel_manual_unrollILi128ELi4EZNS0_15gpu_kernel_implIZZZNS0_12_GLOBAL__N_142_validate_compressed_sparse_indices_kernelILNS3_8CDimNameE1ENS3_18CUDAKernelLauncherENS3_14EmptyVecKernelENS3_8DummyVecELm8EEEvRKNS_6TensorESB_lllENKUlvE0_clEvENKUlvE0_clEvEUllE_EEvRNS_18TensorIteratorBaseERKT_EUlibE_EEviT1_
                                        ; -- End function
	.set _ZN2at6native32elementwise_kernel_manual_unrollILi128ELi4EZNS0_15gpu_kernel_implIZZZNS0_12_GLOBAL__N_142_validate_compressed_sparse_indices_kernelILNS3_8CDimNameE1ENS3_18CUDAKernelLauncherENS3_14EmptyVecKernelENS3_8DummyVecELm8EEEvRKNS_6TensorESB_lllENKUlvE0_clEvENKUlvE0_clEvEUllE_EEvRNS_18TensorIteratorBaseERKT_EUlibE_EEviT1_.num_vgpr, 12
	.set _ZN2at6native32elementwise_kernel_manual_unrollILi128ELi4EZNS0_15gpu_kernel_implIZZZNS0_12_GLOBAL__N_142_validate_compressed_sparse_indices_kernelILNS3_8CDimNameE1ENS3_18CUDAKernelLauncherENS3_14EmptyVecKernelENS3_8DummyVecELm8EEEvRKNS_6TensorESB_lllENKUlvE0_clEvENKUlvE0_clEvEUllE_EEvRNS_18TensorIteratorBaseERKT_EUlibE_EEviT1_.num_agpr, 0
	.set _ZN2at6native32elementwise_kernel_manual_unrollILi128ELi4EZNS0_15gpu_kernel_implIZZZNS0_12_GLOBAL__N_142_validate_compressed_sparse_indices_kernelILNS3_8CDimNameE1ENS3_18CUDAKernelLauncherENS3_14EmptyVecKernelENS3_8DummyVecELm8EEEvRKNS_6TensorESB_lllENKUlvE0_clEvENKUlvE0_clEvEUllE_EEvRNS_18TensorIteratorBaseERKT_EUlibE_EEviT1_.numbered_sgpr, 35
	.set _ZN2at6native32elementwise_kernel_manual_unrollILi128ELi4EZNS0_15gpu_kernel_implIZZZNS0_12_GLOBAL__N_142_validate_compressed_sparse_indices_kernelILNS3_8CDimNameE1ENS3_18CUDAKernelLauncherENS3_14EmptyVecKernelENS3_8DummyVecELm8EEEvRKNS_6TensorESB_lllENKUlvE0_clEvENKUlvE0_clEvEUllE_EEvRNS_18TensorIteratorBaseERKT_EUlibE_EEviT1_.num_named_barrier, 0
	.set _ZN2at6native32elementwise_kernel_manual_unrollILi128ELi4EZNS0_15gpu_kernel_implIZZZNS0_12_GLOBAL__N_142_validate_compressed_sparse_indices_kernelILNS3_8CDimNameE1ENS3_18CUDAKernelLauncherENS3_14EmptyVecKernelENS3_8DummyVecELm8EEEvRKNS_6TensorESB_lllENKUlvE0_clEvENKUlvE0_clEvEUllE_EEvRNS_18TensorIteratorBaseERKT_EUlibE_EEviT1_.private_seg_size, 0
	.set _ZN2at6native32elementwise_kernel_manual_unrollILi128ELi4EZNS0_15gpu_kernel_implIZZZNS0_12_GLOBAL__N_142_validate_compressed_sparse_indices_kernelILNS3_8CDimNameE1ENS3_18CUDAKernelLauncherENS3_14EmptyVecKernelENS3_8DummyVecELm8EEEvRKNS_6TensorESB_lllENKUlvE0_clEvENKUlvE0_clEvEUllE_EEvRNS_18TensorIteratorBaseERKT_EUlibE_EEviT1_.uses_vcc, 1
	.set _ZN2at6native32elementwise_kernel_manual_unrollILi128ELi4EZNS0_15gpu_kernel_implIZZZNS0_12_GLOBAL__N_142_validate_compressed_sparse_indices_kernelILNS3_8CDimNameE1ENS3_18CUDAKernelLauncherENS3_14EmptyVecKernelENS3_8DummyVecELm8EEEvRKNS_6TensorESB_lllENKUlvE0_clEvENKUlvE0_clEvEUllE_EEvRNS_18TensorIteratorBaseERKT_EUlibE_EEviT1_.uses_flat_scratch, 0
	.set _ZN2at6native32elementwise_kernel_manual_unrollILi128ELi4EZNS0_15gpu_kernel_implIZZZNS0_12_GLOBAL__N_142_validate_compressed_sparse_indices_kernelILNS3_8CDimNameE1ENS3_18CUDAKernelLauncherENS3_14EmptyVecKernelENS3_8DummyVecELm8EEEvRKNS_6TensorESB_lllENKUlvE0_clEvENKUlvE0_clEvEUllE_EEvRNS_18TensorIteratorBaseERKT_EUlibE_EEviT1_.has_dyn_sized_stack, 0
	.set _ZN2at6native32elementwise_kernel_manual_unrollILi128ELi4EZNS0_15gpu_kernel_implIZZZNS0_12_GLOBAL__N_142_validate_compressed_sparse_indices_kernelILNS3_8CDimNameE1ENS3_18CUDAKernelLauncherENS3_14EmptyVecKernelENS3_8DummyVecELm8EEEvRKNS_6TensorESB_lllENKUlvE0_clEvENKUlvE0_clEvEUllE_EEvRNS_18TensorIteratorBaseERKT_EUlibE_EEviT1_.has_recursion, 0
	.set _ZN2at6native32elementwise_kernel_manual_unrollILi128ELi4EZNS0_15gpu_kernel_implIZZZNS0_12_GLOBAL__N_142_validate_compressed_sparse_indices_kernelILNS3_8CDimNameE1ENS3_18CUDAKernelLauncherENS3_14EmptyVecKernelENS3_8DummyVecELm8EEEvRKNS_6TensorESB_lllENKUlvE0_clEvENKUlvE0_clEvEUllE_EEvRNS_18TensorIteratorBaseERKT_EUlibE_EEviT1_.has_indirect_call, 0
	.section	.AMDGPU.csdata,"",@progbits
; Kernel info:
; codeLenInByte = 34852
; TotalNumSgprs: 37
; NumVgprs: 12
; ScratchSize: 0
; MemoryBound: 1
; FloatMode: 240
; IeeeMode: 1
; LDSByteSize: 0 bytes/workgroup (compile time only)
; SGPRBlocks: 0
; VGPRBlocks: 0
; NumSGPRsForWavesPerEU: 37
; NumVGPRsForWavesPerEU: 12
; NamedBarCnt: 0
; Occupancy: 16
; WaveLimiterHint : 0
; COMPUTE_PGM_RSRC2:SCRATCH_EN: 0
; COMPUTE_PGM_RSRC2:USER_SGPR: 2
; COMPUTE_PGM_RSRC2:TRAP_HANDLER: 0
; COMPUTE_PGM_RSRC2:TGID_X_EN: 1
; COMPUTE_PGM_RSRC2:TGID_Y_EN: 0
; COMPUTE_PGM_RSRC2:TGID_Z_EN: 0
; COMPUTE_PGM_RSRC2:TIDIG_COMP_CNT: 0
	.section	.text._ZN2at6native32elementwise_kernel_manual_unrollILi128ELi4EZNS0_15gpu_kernel_implIZZZNS0_12_GLOBAL__N_142_validate_compressed_sparse_indices_kernelILNS3_8CDimNameE1ENS3_18CUDAKernelLauncherENS3_14EmptyVecKernelENS3_8DummyVecELm8EEEvRKNS_6TensorESB_lllENKUlvE0_clEvENKUlvE0_clEvEUllE_EEvRNS_18TensorIteratorBaseERKT_EUlibE0_EEviT1_,"axG",@progbits,_ZN2at6native32elementwise_kernel_manual_unrollILi128ELi4EZNS0_15gpu_kernel_implIZZZNS0_12_GLOBAL__N_142_validate_compressed_sparse_indices_kernelILNS3_8CDimNameE1ENS3_18CUDAKernelLauncherENS3_14EmptyVecKernelENS3_8DummyVecELm8EEEvRKNS_6TensorESB_lllENKUlvE0_clEvENKUlvE0_clEvEUllE_EEvRNS_18TensorIteratorBaseERKT_EUlibE0_EEviT1_,comdat
	.globl	_ZN2at6native32elementwise_kernel_manual_unrollILi128ELi4EZNS0_15gpu_kernel_implIZZZNS0_12_GLOBAL__N_142_validate_compressed_sparse_indices_kernelILNS3_8CDimNameE1ENS3_18CUDAKernelLauncherENS3_14EmptyVecKernelENS3_8DummyVecELm8EEEvRKNS_6TensorESB_lllENKUlvE0_clEvENKUlvE0_clEvEUllE_EEvRNS_18TensorIteratorBaseERKT_EUlibE0_EEviT1_ ; -- Begin function _ZN2at6native32elementwise_kernel_manual_unrollILi128ELi4EZNS0_15gpu_kernel_implIZZZNS0_12_GLOBAL__N_142_validate_compressed_sparse_indices_kernelILNS3_8CDimNameE1ENS3_18CUDAKernelLauncherENS3_14EmptyVecKernelENS3_8DummyVecELm8EEEvRKNS_6TensorESB_lllENKUlvE0_clEvENKUlvE0_clEvEUllE_EEvRNS_18TensorIteratorBaseERKT_EUlibE0_EEviT1_
	.p2align	8
	.type	_ZN2at6native32elementwise_kernel_manual_unrollILi128ELi4EZNS0_15gpu_kernel_implIZZZNS0_12_GLOBAL__N_142_validate_compressed_sparse_indices_kernelILNS3_8CDimNameE1ENS3_18CUDAKernelLauncherENS3_14EmptyVecKernelENS3_8DummyVecELm8EEEvRKNS_6TensorESB_lllENKUlvE0_clEvENKUlvE0_clEvEUllE_EEvRNS_18TensorIteratorBaseERKT_EUlibE0_EEviT1_,@function
_ZN2at6native32elementwise_kernel_manual_unrollILi128ELi4EZNS0_15gpu_kernel_implIZZZNS0_12_GLOBAL__N_142_validate_compressed_sparse_indices_kernelILNS3_8CDimNameE1ENS3_18CUDAKernelLauncherENS3_14EmptyVecKernelENS3_8DummyVecELm8EEEvRKNS_6TensorESB_lllENKUlvE0_clEvENKUlvE0_clEvEUllE_EEvRNS_18TensorIteratorBaseERKT_EUlibE0_EEviT1_: ; @_ZN2at6native32elementwise_kernel_manual_unrollILi128ELi4EZNS0_15gpu_kernel_implIZZZNS0_12_GLOBAL__N_142_validate_compressed_sparse_indices_kernelILNS3_8CDimNameE1ENS3_18CUDAKernelLauncherENS3_14EmptyVecKernelENS3_8DummyVecELm8EEEvRKNS_6TensorESB_lllENKUlvE0_clEvENKUlvE0_clEvEUllE_EEvRNS_18TensorIteratorBaseERKT_EUlibE0_EEviT1_
; %bb.0:
	s_clause 0x1
	s_load_b32 s33, s[0:1], 0x8
	s_load_b32 s41, s[0:1], 0x0
	s_bfe_u32 s2, ttmp6, 0x4000c
	s_and_b32 s3, ttmp6, 15
	s_add_co_i32 s2, s2, 1
	s_getreg_b32 s4, hwreg(HW_REG_IB_STS2, 6, 4)
	s_mul_i32 s2, ttmp9, s2
	s_mov_b32 s35, 0
	s_add_co_i32 s3, s3, s2
	s_cmp_eq_u32 s4, 0
	s_mov_b32 s26, -1
	s_cselect_b32 s2, ttmp9, s3
	s_mov_b32 s12, 0
	v_lshl_or_b32 v0, s2, 9, v0
	s_add_nc_u64 s[2:3], s[0:1], 8
	s_wait_xcnt 0x0
	s_mov_b32 s0, exec_lo
	s_delay_alu instid0(VALU_DEP_1) | instskip(SKIP_2) | instid1(SALU_CYCLE_1)
	v_or_b32_e32 v9, 0x180, v0
	s_wait_kmcnt 0x0
	s_add_co_i32 s34, s33, -1
	s_cmp_gt_u32 s34, 1
	s_cselect_b32 s36, -1, 0
	v_cmpx_le_i32_e64 s41, v9
	s_xor_b32 s37, exec_lo, s0
	s_cbranch_execz .LBB79_958
; %bb.1:
	s_clause 0x4
	s_load_b128 s[12:15], s[2:3], 0x4
	s_load_b32 s38, s[2:3], 0x168
	s_load_b64 s[0:1], s[2:3], 0x14
	s_load_b128 s[16:19], s[2:3], 0xc4
	s_load_b256 s[4:11], s[2:3], 0x148
	s_cmp_lg_u32 s33, 0
	s_get_pc_i64 s[28:29]
	s_add_nc_u64 s[28:29], s[28:29], .str.5@rel64+4
	s_cselect_b32 s43, -1, 0
	s_min_u32 s42, s34, 15
	s_cmp_gt_u32 s33, 1
	s_mov_b32 s21, 0
	s_cselect_b32 s40, -1, 0
	s_add_nc_u64 s[24:25], s[2:3], 0xc4
	s_mov_b32 s23, s21
	s_mov_b32 s46, s21
	;; [unrolled: 1-line block ×4, first 2 shown]
	s_mov_b32 s47, exec_lo
	s_wait_kmcnt 0x0
	s_mov_b32 s20, s13
	s_bfe_u32 s39, s38, 0x80008
	s_cmp_lg_u64 s[28:29], 0
	s_mov_b32 s22, s0
	s_cselect_b32 s13, -1, 0
	v_cmpx_gt_i32_e64 s41, v0
	s_cbranch_execz .LBB79_236
; %bb.2:
	s_and_not1_b32 vcc_lo, exec_lo, s36
	s_cbranch_vccnz .LBB79_8
; %bb.3:
	s_and_not1_b32 vcc_lo, exec_lo, s43
	s_cbranch_vccnz .LBB79_9
; %bb.4:
	s_add_co_i32 s0, s42, 1
	s_cmp_eq_u32 s34, 2
	s_cbranch_scc1 .LBB79_10
; %bb.5:
	v_dual_mov_b32 v2, 0 :: v_dual_mov_b32 v4, 0
	v_mov_b32_e32 v1, v0
	s_and_b32 s26, s0, 28
	s_mov_b32 s27, 0
	s_mov_b64 s[28:29], s[2:3]
	s_mov_b64 s[30:31], s[24:25]
.LBB79_6:                               ; =>This Inner Loop Header: Depth=1
	s_clause 0x1
	s_load_b256 s[48:55], s[28:29], 0x4
	s_load_b128 s[64:67], s[28:29], 0x24
	s_load_b256 s[56:63], s[30:31], 0x0
	s_add_co_i32 s27, s27, 4
	s_wait_xcnt 0x0
	s_add_nc_u64 s[28:29], s[28:29], 48
	s_cmp_lg_u32 s26, s27
	s_add_nc_u64 s[30:31], s[30:31], 32
	s_wait_kmcnt 0x0
	v_mul_hi_u32 v3, s49, v1
	s_delay_alu instid0(VALU_DEP_1) | instskip(NEXT) | instid1(VALU_DEP_1)
	v_add_nc_u32_e32 v3, v1, v3
	v_lshrrev_b32_e32 v3, s50, v3
	s_delay_alu instid0(VALU_DEP_1) | instskip(NEXT) | instid1(VALU_DEP_1)
	v_mul_hi_u32 v5, s52, v3
	v_add_nc_u32_e32 v5, v3, v5
	s_delay_alu instid0(VALU_DEP_1) | instskip(NEXT) | instid1(VALU_DEP_1)
	v_lshrrev_b32_e32 v5, s53, v5
	v_mul_hi_u32 v6, s55, v5
	s_delay_alu instid0(VALU_DEP_1) | instskip(SKIP_1) | instid1(VALU_DEP_1)
	v_add_nc_u32_e32 v6, v5, v6
	v_mul_lo_u32 v7, v3, s48
	v_sub_nc_u32_e32 v1, v1, v7
	v_mul_lo_u32 v7, v5, s51
	s_delay_alu instid0(VALU_DEP_4) | instskip(NEXT) | instid1(VALU_DEP_3)
	v_lshrrev_b32_e32 v6, s64, v6
	v_mad_u32 v4, v1, s57, v4
	v_mad_u32 v1, v1, s56, v2
	s_delay_alu instid0(VALU_DEP_4) | instskip(NEXT) | instid1(VALU_DEP_4)
	v_sub_nc_u32_e32 v2, v3, v7
	v_mul_hi_u32 v8, s66, v6
	v_mul_lo_u32 v3, v6, s54
	s_delay_alu instid0(VALU_DEP_3) | instskip(SKIP_1) | instid1(VALU_DEP_3)
	v_mad_u32 v4, v2, s59, v4
	v_mad_u32 v2, v2, s58, v1
	v_dual_add_nc_u32 v7, v6, v8 :: v_dual_sub_nc_u32 v3, v5, v3
	s_delay_alu instid0(VALU_DEP_1) | instskip(NEXT) | instid1(VALU_DEP_2)
	v_lshrrev_b32_e32 v1, s67, v7
	v_mad_u32 v4, v3, s61, v4
	s_delay_alu instid0(VALU_DEP_4) | instskip(NEXT) | instid1(VALU_DEP_3)
	v_mad_u32 v2, v3, s60, v2
	v_mul_lo_u32 v5, v1, s65
	s_delay_alu instid0(VALU_DEP_1) | instskip(NEXT) | instid1(VALU_DEP_1)
	v_sub_nc_u32_e32 v3, v6, v5
	v_mad_u32 v4, v3, s63, v4
	s_delay_alu instid0(VALU_DEP_4)
	v_mad_u32 v2, v3, s62, v2
	s_cbranch_scc1 .LBB79_6
; %bb.7:
	s_delay_alu instid0(VALU_DEP_2)
	v_mov_b32_e32 v3, v4
	s_and_b32 s0, s0, 3
	s_mov_b32 s27, 0
	s_cmp_eq_u32 s0, 0
	s_cbranch_scc0 .LBB79_11
	s_branch .LBB79_14
.LBB79_8:
                                        ; implicit-def: $vgpr4
                                        ; implicit-def: $vgpr2
	s_branch .LBB79_15
.LBB79_9:
	v_dual_mov_b32 v4, 0 :: v_dual_mov_b32 v2, 0
	s_branch .LBB79_14
.LBB79_10:
	v_mov_b64_e32 v[2:3], 0
	v_mov_b32_e32 v1, v0
	s_mov_b32 s26, 0
                                        ; implicit-def: $vgpr4
	s_and_b32 s0, s0, 3
	s_mov_b32 s27, 0
	s_cmp_eq_u32 s0, 0
	s_cbranch_scc1 .LBB79_14
.LBB79_11:
	s_lshl_b32 s28, s26, 3
	s_mov_b32 s29, s27
	s_mul_u64 s[30:31], s[26:27], 12
	s_add_nc_u64 s[28:29], s[2:3], s[28:29]
	s_delay_alu instid0(SALU_CYCLE_1)
	s_add_nc_u64 s[26:27], s[28:29], 0xc4
	s_add_nc_u64 s[28:29], s[2:3], s[30:31]
.LBB79_12:                              ; =>This Inner Loop Header: Depth=1
	s_load_b96 s[44:46], s[28:29], 0x4
	s_load_b64 s[30:31], s[26:27], 0x0
	s_add_co_i32 s0, s0, -1
	s_wait_xcnt 0x0
	s_add_nc_u64 s[28:29], s[28:29], 12
	s_cmp_lg_u32 s0, 0
	s_add_nc_u64 s[26:27], s[26:27], 8
	s_wait_kmcnt 0x0
	v_mul_hi_u32 v4, s45, v1
	s_delay_alu instid0(VALU_DEP_1) | instskip(NEXT) | instid1(VALU_DEP_1)
	v_add_nc_u32_e32 v4, v1, v4
	v_lshrrev_b32_e32 v4, s46, v4
	s_delay_alu instid0(VALU_DEP_1) | instskip(NEXT) | instid1(VALU_DEP_1)
	v_mul_lo_u32 v5, v4, s44
	v_sub_nc_u32_e32 v1, v1, v5
	s_delay_alu instid0(VALU_DEP_1)
	v_mad_u32 v3, v1, s31, v3
	v_mad_u32 v2, v1, s30, v2
	v_mov_b32_e32 v1, v4
	s_cbranch_scc1 .LBB79_12
; %bb.13:
	s_delay_alu instid0(VALU_DEP_3)
	v_mov_b32_e32 v4, v3
.LBB79_14:
	s_cbranch_execnz .LBB79_17
.LBB79_15:
	v_mov_b32_e32 v1, 0
	s_and_not1_b32 vcc_lo, exec_lo, s40
	s_delay_alu instid0(VALU_DEP_1) | instskip(NEXT) | instid1(VALU_DEP_1)
	v_mul_u64_e32 v[2:3], s[20:21], v[0:1]
	v_add_nc_u32_e32 v2, v0, v3
	s_delay_alu instid0(VALU_DEP_1) | instskip(NEXT) | instid1(VALU_DEP_1)
	v_lshrrev_b32_e32 v6, s14, v2
	v_mul_lo_u32 v2, v6, s12
	s_delay_alu instid0(VALU_DEP_1) | instskip(NEXT) | instid1(VALU_DEP_1)
	v_sub_nc_u32_e32 v2, v0, v2
	v_mul_lo_u32 v4, v2, s17
	v_mul_lo_u32 v2, v2, s16
	s_cbranch_vccnz .LBB79_17
; %bb.16:
	v_mov_b32_e32 v7, v1
	s_delay_alu instid0(VALU_DEP_1) | instskip(NEXT) | instid1(VALU_DEP_1)
	v_mul_u64_e32 v[8:9], s[22:23], v[6:7]
	v_add_nc_u32_e32 v1, v6, v9
	s_delay_alu instid0(VALU_DEP_1) | instskip(NEXT) | instid1(VALU_DEP_1)
	v_lshrrev_b32_e32 v1, s1, v1
	v_mul_lo_u32 v1, v1, s15
	s_delay_alu instid0(VALU_DEP_1) | instskip(NEXT) | instid1(VALU_DEP_1)
	v_sub_nc_u32_e32 v1, v6, v1
	v_mad_u32 v2, v1, s18, v2
	v_mad_u32 v4, v1, s19, v4
.LBB79_17:
	v_mov_b32_e32 v5, 0
	s_and_b32 s0, 0xffff, s39
	s_delay_alu instid0(SALU_CYCLE_1) | instskip(NEXT) | instid1(VALU_DEP_1)
	s_cmp_lt_i32 s0, 11
	v_add_nc_u64_e32 v[4:5], s[6:7], v[4:5]
	s_cbranch_scc1 .LBB79_24
; %bb.18:
	s_cmp_gt_i32 s0, 25
	s_cbranch_scc0 .LBB79_34
; %bb.19:
	s_cmp_gt_i32 s0, 28
	s_cbranch_scc0 .LBB79_38
	;; [unrolled: 3-line block ×4, first 2 shown]
; %bb.22:
	s_cmp_eq_u32 s0, 46
	s_mov_b32 s28, 0
	s_cbranch_scc0 .LBB79_44
; %bb.23:
	global_load_b32 v1, v[4:5], off
	s_mov_b32 s27, -1
	s_mov_b32 s26, 0
	s_wait_loadcnt 0x0
	v_lshlrev_b32_e32 v1, 16, v1
	s_delay_alu instid0(VALU_DEP_1) | instskip(NEXT) | instid1(VALU_DEP_1)
	v_trunc_f32_e32 v1, v1
	v_mul_f32_e64 v3, 0x2f800000, |v1|
	v_ashrrev_i32_e32 v6, 31, v1
	s_delay_alu instid0(VALU_DEP_2) | instskip(NEXT) | instid1(VALU_DEP_1)
	v_floor_f32_e32 v3, v3
	v_fma_f32 v7, 0xcf800000, v3, |v1|
	v_cvt_u32_f32_e32 v1, v3
	s_delay_alu instid0(VALU_DEP_2) | instskip(NEXT) | instid1(VALU_DEP_2)
	v_cvt_u32_f32_e32 v3, v7
	v_dual_mov_b32 v7, v6 :: v_dual_bitop2_b32 v9, v1, v6 bitop3:0x14
	s_delay_alu instid0(VALU_DEP_2) | instskip(NEXT) | instid1(VALU_DEP_1)
	v_xor_b32_e32 v8, v3, v6
	v_sub_nc_u64_e32 v[6:7], v[8:9], v[6:7]
	s_branch .LBB79_46
.LBB79_24:
	s_mov_b32 s26, 0
	s_mov_b32 s27, 0
                                        ; implicit-def: $vgpr6_vgpr7
	s_cbranch_execnz .LBB79_106
.LBB79_25:
	s_and_not1_b32 vcc_lo, exec_lo, s27
	s_cbranch_vccnz .LBB79_153
.LBB79_26:
	s_wait_loadcnt 0x0
	s_delay_alu instid0(VALU_DEP_1)
	v_cmp_le_i64_e32 vcc_lo, s[8:9], v[6:7]
	v_cmp_gt_i64_e64 s0, s[10:11], v[6:7]
	s_mov_b32 s28, -1
	s_mov_b32 s27, 0
	s_mov_b32 s29, 0
	s_and_b32 s0, vcc_lo, s0
	s_delay_alu instid0(SALU_CYCLE_1) | instskip(NEXT) | instid1(SALU_CYCLE_1)
	s_and_b32 s30, s13, s0
	s_and_saveexec_b32 s0, s30
	s_cbranch_execz .LBB79_234
; %bb.27:
	v_mov_b32_e32 v3, 0
	s_and_b32 s28, s38, 0xff
	s_delay_alu instid0(SALU_CYCLE_1) | instskip(NEXT) | instid1(VALU_DEP_1)
	s_cmp_lt_i32 s28, 11
	v_add_nc_u64_e32 v[2:3], s[4:5], v[2:3]
	s_cbranch_scc1 .LBB79_35
; %bb.28:
	s_and_b32 s29, 0xffff, s28
	s_delay_alu instid0(SALU_CYCLE_1)
	s_cmp_gt_i32 s29, 25
	s_cbranch_scc0 .LBB79_39
; %bb.29:
	s_cmp_gt_i32 s29, 28
	s_cbranch_scc0 .LBB79_41
; %bb.30:
	;; [unrolled: 3-line block ×4, first 2 shown]
	s_mov_b32 s31, 0
	s_mov_b32 s27, -1
	s_cmp_eq_u32 s29, 46
	s_mov_b32 s30, 0
	s_cbranch_scc0 .LBB79_155
; %bb.33:
	v_mov_b32_e32 v1, 0
	s_mov_b32 s30, -1
	s_mov_b32 s27, 0
	global_store_b32 v[2:3], v1, off
	s_branch .LBB79_155
.LBB79_34:
	s_mov_b32 s26, 0
	s_mov_b32 s27, 0
                                        ; implicit-def: $vgpr6_vgpr7
	s_cbranch_execnz .LBB79_73
	s_branch .LBB79_105
.LBB79_35:
	s_mov_b32 s30, 0
	s_cbranch_execnz .LBB79_194
.LBB79_36:
	s_and_not1_b32 vcc_lo, exec_lo, s30
	s_cbranch_vccnz .LBB79_232
.LBB79_37:
	v_add_nc_u32_e32 v0, 0x80, v0
	s_mov_b32 s30, -1
	s_branch .LBB79_233
.LBB79_38:
	s_mov_b32 s28, -1
	s_mov_b32 s26, 0
	s_mov_b32 s27, 0
                                        ; implicit-def: $vgpr6_vgpr7
	s_branch .LBB79_56
.LBB79_39:
	s_mov_b32 s31, -1
	s_mov_b32 s30, 0
	s_branch .LBB79_174
.LBB79_40:
	s_mov_b32 s28, -1
	s_mov_b32 s26, 0
	s_mov_b32 s27, 0
                                        ; implicit-def: $vgpr6_vgpr7
	s_branch .LBB79_51
.LBB79_41:
	s_mov_b32 s31, -1
	s_mov_b32 s30, 0
	s_branch .LBB79_163
.LBB79_42:
	s_mov_b32 s28, -1
	s_mov_b32 s26, 0
	s_branch .LBB79_45
.LBB79_43:
	s_mov_b32 s31, -1
	s_mov_b32 s30, 0
	s_branch .LBB79_159
.LBB79_44:
	s_mov_b32 s26, -1
.LBB79_45:
	s_mov_b32 s27, 0
                                        ; implicit-def: $vgpr6_vgpr7
.LBB79_46:
	s_and_b32 vcc_lo, exec_lo, s28
	s_cbranch_vccz .LBB79_50
; %bb.47:
	s_cmp_eq_u32 s0, 44
	s_cbranch_scc0 .LBB79_49
; %bb.48:
	global_load_u8 v1, v[4:5], off
	s_mov_b32 s26, 0
	s_mov_b32 s27, -1
	s_wait_loadcnt 0x0
	v_lshlrev_b32_e32 v3, 23, v1
	v_cmp_ne_u32_e32 vcc_lo, 0, v1
	s_delay_alu instid0(VALU_DEP_2) | instskip(NEXT) | instid1(VALU_DEP_1)
	v_trunc_f32_e32 v3, v3
	v_mul_f32_e64 v6, 0x2f800000, |v3|
	s_delay_alu instid0(VALU_DEP_1) | instskip(SKIP_1) | instid1(VALU_DEP_2)
	v_floor_f32_e32 v7, v6
	v_ashrrev_i32_e32 v6, 31, v3
	v_fma_f32 v8, 0xcf800000, v7, |v3|
	v_cvt_u32_f32_e32 v3, v7
	s_delay_alu instid0(VALU_DEP_3) | instskip(NEXT) | instid1(VALU_DEP_3)
	v_mov_b32_e32 v7, v6
	v_cvt_u32_f32_e32 v8, v8
	s_delay_alu instid0(VALU_DEP_3) | instskip(NEXT) | instid1(VALU_DEP_2)
	v_xor_b32_e32 v9, v3, v6
	v_xor_b32_e32 v8, v8, v6
	s_delay_alu instid0(VALU_DEP_1) | instskip(NEXT) | instid1(VALU_DEP_1)
	v_sub_nc_u64_e32 v[6:7], v[8:9], v[6:7]
	v_dual_cndmask_b32 v7, 0, v7 :: v_dual_cndmask_b32 v6, 0, v6
	s_branch .LBB79_50
.LBB79_49:
	s_mov_b32 s26, -1
                                        ; implicit-def: $vgpr6_vgpr7
.LBB79_50:
	s_mov_b32 s28, 0
.LBB79_51:
	s_delay_alu instid0(SALU_CYCLE_1)
	s_and_b32 vcc_lo, exec_lo, s28
	s_cbranch_vccz .LBB79_55
; %bb.52:
	s_cmp_eq_u32 s0, 29
	s_cbranch_scc0 .LBB79_54
; %bb.53:
	global_load_b64 v[6:7], v[4:5], off
	s_mov_b32 s27, -1
	s_mov_b32 s26, 0
	s_branch .LBB79_55
.LBB79_54:
	s_mov_b32 s26, -1
                                        ; implicit-def: $vgpr6_vgpr7
.LBB79_55:
	s_mov_b32 s28, 0
.LBB79_56:
	s_delay_alu instid0(SALU_CYCLE_1)
	s_and_b32 vcc_lo, exec_lo, s28
	s_cbranch_vccz .LBB79_72
; %bb.57:
	s_cmp_lt_i32 s0, 27
	s_cbranch_scc1 .LBB79_60
; %bb.58:
	s_cmp_gt_i32 s0, 27
	s_cbranch_scc0 .LBB79_61
; %bb.59:
	s_wait_loadcnt 0x0
	global_load_b32 v6, v[4:5], off
	v_mov_b32_e32 v7, 0
	s_mov_b32 s27, 0
	s_branch .LBB79_62
.LBB79_60:
	s_mov_b32 s27, -1
                                        ; implicit-def: $vgpr6_vgpr7
	s_branch .LBB79_65
.LBB79_61:
	s_mov_b32 s27, -1
                                        ; implicit-def: $vgpr6_vgpr7
.LBB79_62:
	s_delay_alu instid0(SALU_CYCLE_1)
	s_and_not1_b32 vcc_lo, exec_lo, s27
	s_cbranch_vccnz .LBB79_64
; %bb.63:
	global_load_u16 v1, v[4:5], off
	s_mov_b32 s27, 0
	s_wait_loadcnt 0x1
	v_mov_b32_e32 v7, s27
	s_wait_loadcnt 0x0
	v_and_b32_e32 v6, 0xffff, v1
.LBB79_64:
	s_mov_b32 s27, 0
.LBB79_65:
	s_delay_alu instid0(SALU_CYCLE_1)
	s_and_not1_b32 vcc_lo, exec_lo, s27
	s_cbranch_vccnz .LBB79_71
; %bb.66:
	global_load_u8 v1, v[4:5], off
	s_mov_b32 s28, 0
	s_mov_b32 s27, exec_lo
	s_wait_loadcnt 0x0
	v_cmpx_lt_i16_e32 0x7f, v1
	s_xor_b32 s27, exec_lo, s27
	s_cbranch_execz .LBB79_82
; %bb.67:
	v_cmp_ne_u16_e32 vcc_lo, 0x80, v1
	s_and_b32 s28, vcc_lo, exec_lo
	s_and_not1_saveexec_b32 s27, s27
	s_cbranch_execnz .LBB79_83
.LBB79_68:
	s_or_b32 exec_lo, exec_lo, s27
	v_mov_b64_e32 v[6:7], 0
	s_and_saveexec_b32 s27, s28
	s_cbranch_execz .LBB79_70
.LBB79_69:
	v_and_b32_e32 v3, 0xffff, v1
	s_delay_alu instid0(VALU_DEP_1) | instskip(SKIP_1) | instid1(VALU_DEP_2)
	v_dual_lshlrev_b32 v1, 24, v1 :: v_dual_bitop2_b32 v6, 7, v3 bitop3:0x40
	v_bfe_u32 v9, v3, 3, 4
	v_and_b32_e32 v1, 0x80000000, v1
	s_delay_alu instid0(VALU_DEP_3) | instskip(NEXT) | instid1(VALU_DEP_3)
	v_clz_i32_u32_e32 v7, v6
	v_cmp_eq_u32_e32 vcc_lo, 0, v9
	s_delay_alu instid0(VALU_DEP_2) | instskip(NEXT) | instid1(VALU_DEP_1)
	v_min_u32_e32 v7, 32, v7
	v_subrev_nc_u32_e32 v8, 28, v7
	v_sub_nc_u32_e32 v7, 29, v7
	s_delay_alu instid0(VALU_DEP_2) | instskip(NEXT) | instid1(VALU_DEP_2)
	v_lshlrev_b32_e32 v3, v8, v3
	v_cndmask_b32_e32 v7, v9, v7, vcc_lo
	s_delay_alu instid0(VALU_DEP_2) | instskip(NEXT) | instid1(VALU_DEP_1)
	v_and_b32_e32 v3, 7, v3
	v_cndmask_b32_e32 v3, v6, v3, vcc_lo
	s_delay_alu instid0(VALU_DEP_3) | instskip(NEXT) | instid1(VALU_DEP_2)
	v_lshl_add_u32 v6, v7, 23, 0x3b800000
	v_lshlrev_b32_e32 v3, 20, v3
	s_delay_alu instid0(VALU_DEP_1) | instskip(NEXT) | instid1(VALU_DEP_1)
	v_or3_b32 v1, v1, v6, v3
	v_trunc_f32_e32 v1, v1
	s_delay_alu instid0(VALU_DEP_1) | instskip(SKIP_1) | instid1(VALU_DEP_2)
	v_mul_f32_e64 v3, 0x2f800000, |v1|
	v_ashrrev_i32_e32 v6, 31, v1
	v_floor_f32_e32 v3, v3
	s_delay_alu instid0(VALU_DEP_1) | instskip(SKIP_1) | instid1(VALU_DEP_2)
	v_fma_f32 v7, 0xcf800000, v3, |v1|
	v_cvt_u32_f32_e32 v1, v3
	v_cvt_u32_f32_e32 v3, v7
	s_delay_alu instid0(VALU_DEP_2) | instskip(NEXT) | instid1(VALU_DEP_2)
	v_dual_mov_b32 v7, v6 :: v_dual_bitop2_b32 v9, v1, v6 bitop3:0x14
	v_xor_b32_e32 v8, v3, v6
	s_delay_alu instid0(VALU_DEP_1)
	v_sub_nc_u64_e32 v[6:7], v[8:9], v[6:7]
.LBB79_70:
	s_or_b32 exec_lo, exec_lo, s27
.LBB79_71:
	s_mov_b32 s27, -1
.LBB79_72:
	s_branch .LBB79_105
.LBB79_73:
	s_cmp_gt_i32 s0, 22
	s_cbranch_scc0 .LBB79_81
; %bb.74:
	s_cmp_lt_i32 s0, 24
	s_cbranch_scc1 .LBB79_84
; %bb.75:
	s_cmp_gt_i32 s0, 24
	s_cbranch_scc0 .LBB79_85
; %bb.76:
	global_load_u8 v1, v[4:5], off
	s_mov_b32 s28, 0
	s_mov_b32 s27, exec_lo
	s_wait_loadcnt 0x0
	v_cmpx_lt_i16_e32 0x7f, v1
	s_xor_b32 s27, exec_lo, s27
	s_cbranch_execz .LBB79_97
; %bb.77:
	v_cmp_ne_u16_e32 vcc_lo, 0x80, v1
	s_and_b32 s28, vcc_lo, exec_lo
	s_and_not1_saveexec_b32 s27, s27
	s_cbranch_execnz .LBB79_98
.LBB79_78:
	s_or_b32 exec_lo, exec_lo, s27
	v_mov_b64_e32 v[6:7], 0
	s_and_saveexec_b32 s27, s28
	s_cbranch_execz .LBB79_80
.LBB79_79:
	v_and_b32_e32 v3, 0xffff, v1
	s_delay_alu instid0(VALU_DEP_1) | instskip(SKIP_1) | instid1(VALU_DEP_2)
	v_dual_lshlrev_b32 v1, 24, v1 :: v_dual_bitop2_b32 v6, 3, v3 bitop3:0x40
	v_bfe_u32 v9, v3, 2, 5
	v_and_b32_e32 v1, 0x80000000, v1
	s_delay_alu instid0(VALU_DEP_3) | instskip(NEXT) | instid1(VALU_DEP_3)
	v_clz_i32_u32_e32 v7, v6
	v_cmp_eq_u32_e32 vcc_lo, 0, v9
	s_delay_alu instid0(VALU_DEP_2) | instskip(NEXT) | instid1(VALU_DEP_1)
	v_min_u32_e32 v7, 32, v7
	v_subrev_nc_u32_e32 v8, 29, v7
	v_sub_nc_u32_e32 v7, 30, v7
	s_delay_alu instid0(VALU_DEP_2) | instskip(NEXT) | instid1(VALU_DEP_2)
	v_lshlrev_b32_e32 v3, v8, v3
	v_cndmask_b32_e32 v7, v9, v7, vcc_lo
	s_delay_alu instid0(VALU_DEP_2) | instskip(NEXT) | instid1(VALU_DEP_1)
	v_and_b32_e32 v3, 3, v3
	v_cndmask_b32_e32 v3, v6, v3, vcc_lo
	s_delay_alu instid0(VALU_DEP_3) | instskip(NEXT) | instid1(VALU_DEP_2)
	v_lshl_add_u32 v6, v7, 23, 0x37800000
	v_lshlrev_b32_e32 v3, 21, v3
	s_delay_alu instid0(VALU_DEP_1) | instskip(NEXT) | instid1(VALU_DEP_1)
	v_or3_b32 v1, v1, v6, v3
	v_trunc_f32_e32 v1, v1
	s_delay_alu instid0(VALU_DEP_1) | instskip(SKIP_1) | instid1(VALU_DEP_2)
	v_mul_f32_e64 v3, 0x2f800000, |v1|
	v_ashrrev_i32_e32 v6, 31, v1
	v_floor_f32_e32 v3, v3
	s_delay_alu instid0(VALU_DEP_1) | instskip(SKIP_1) | instid1(VALU_DEP_2)
	v_fma_f32 v7, 0xcf800000, v3, |v1|
	v_cvt_u32_f32_e32 v1, v3
	v_cvt_u32_f32_e32 v3, v7
	s_delay_alu instid0(VALU_DEP_2) | instskip(NEXT) | instid1(VALU_DEP_2)
	v_dual_mov_b32 v7, v6 :: v_dual_bitop2_b32 v9, v1, v6 bitop3:0x14
	v_xor_b32_e32 v8, v3, v6
	s_delay_alu instid0(VALU_DEP_1)
	v_sub_nc_u64_e32 v[6:7], v[8:9], v[6:7]
.LBB79_80:
	s_or_b32 exec_lo, exec_lo, s27
	s_mov_b32 s27, 0
	s_branch .LBB79_86
.LBB79_81:
	s_mov_b32 s28, -1
                                        ; implicit-def: $vgpr6_vgpr7
	s_branch .LBB79_92
.LBB79_82:
	s_and_not1_saveexec_b32 s27, s27
	s_cbranch_execz .LBB79_68
.LBB79_83:
	v_cmp_ne_u16_e32 vcc_lo, 0, v1
	s_and_not1_b32 s28, s28, exec_lo
	s_and_b32 s29, vcc_lo, exec_lo
	s_delay_alu instid0(SALU_CYCLE_1)
	s_or_b32 s28, s28, s29
	s_or_b32 exec_lo, exec_lo, s27
	v_mov_b64_e32 v[6:7], 0
	s_and_saveexec_b32 s27, s28
	s_cbranch_execnz .LBB79_69
	s_branch .LBB79_70
.LBB79_84:
	s_mov_b32 s27, -1
                                        ; implicit-def: $vgpr6_vgpr7
	s_branch .LBB79_89
.LBB79_85:
	s_mov_b32 s27, -1
                                        ; implicit-def: $vgpr6_vgpr7
.LBB79_86:
	s_delay_alu instid0(SALU_CYCLE_1)
	s_and_b32 vcc_lo, exec_lo, s27
	s_cbranch_vccz .LBB79_88
; %bb.87:
	global_load_u8 v1, v[4:5], off
	s_wait_loadcnt 0x0
	v_lshlrev_b32_e32 v1, 24, v1
	s_delay_alu instid0(VALU_DEP_1) | instskip(NEXT) | instid1(VALU_DEP_1)
	v_and_b32_e32 v3, 0x7f000000, v1
	v_clz_i32_u32_e32 v6, v3
	v_cmp_ne_u32_e32 vcc_lo, 0, v3
	v_add_nc_u32_e32 v8, 0x1000000, v3
	s_delay_alu instid0(VALU_DEP_3) | instskip(NEXT) | instid1(VALU_DEP_1)
	v_min_u32_e32 v6, 32, v6
	v_sub_nc_u32_e64 v6, v6, 4 clamp
	s_delay_alu instid0(VALU_DEP_1) | instskip(NEXT) | instid1(VALU_DEP_1)
	v_dual_lshlrev_b32 v7, v6, v3 :: v_dual_lshlrev_b32 v6, 23, v6
	v_lshrrev_b32_e32 v7, 4, v7
	s_delay_alu instid0(VALU_DEP_1) | instskip(NEXT) | instid1(VALU_DEP_1)
	v_dual_sub_nc_u32 v6, v7, v6 :: v_dual_ashrrev_i32 v7, 8, v8
	v_add_nc_u32_e32 v6, 0x3c000000, v6
	s_delay_alu instid0(VALU_DEP_1) | instskip(NEXT) | instid1(VALU_DEP_1)
	v_and_or_b32 v6, 0x7f800000, v7, v6
	v_cndmask_b32_e32 v3, 0, v6, vcc_lo
	s_delay_alu instid0(VALU_DEP_1) | instskip(NEXT) | instid1(VALU_DEP_1)
	v_and_or_b32 v1, 0x80000000, v1, v3
	v_trunc_f32_e32 v1, v1
	s_delay_alu instid0(VALU_DEP_1) | instskip(SKIP_1) | instid1(VALU_DEP_2)
	v_mul_f32_e64 v3, 0x2f800000, |v1|
	v_ashrrev_i32_e32 v6, 31, v1
	v_floor_f32_e32 v3, v3
	s_delay_alu instid0(VALU_DEP_1) | instskip(SKIP_1) | instid1(VALU_DEP_2)
	v_fma_f32 v7, 0xcf800000, v3, |v1|
	v_cvt_u32_f32_e32 v1, v3
	v_cvt_u32_f32_e32 v3, v7
	s_delay_alu instid0(VALU_DEP_2) | instskip(NEXT) | instid1(VALU_DEP_2)
	v_dual_mov_b32 v7, v6 :: v_dual_bitop2_b32 v9, v1, v6 bitop3:0x14
	v_xor_b32_e32 v8, v3, v6
	s_delay_alu instid0(VALU_DEP_1)
	v_sub_nc_u64_e32 v[6:7], v[8:9], v[6:7]
.LBB79_88:
	s_mov_b32 s27, 0
.LBB79_89:
	s_delay_alu instid0(SALU_CYCLE_1)
	s_and_not1_b32 vcc_lo, exec_lo, s27
	s_cbranch_vccnz .LBB79_91
; %bb.90:
	global_load_u8 v1, v[4:5], off
	s_wait_loadcnt 0x0
	v_lshlrev_b32_e32 v3, 25, v1
	v_lshlrev_b16 v1, 8, v1
	s_delay_alu instid0(VALU_DEP_1) | instskip(SKIP_1) | instid1(VALU_DEP_2)
	v_and_or_b32 v7, 0x7f00, v1, 0.5
	v_bfe_i32 v1, v1, 0, 16
	v_add_f32_e32 v7, -0.5, v7
	v_lshrrev_b32_e32 v6, 4, v3
	v_cmp_gt_u32_e32 vcc_lo, 0x8000000, v3
	s_delay_alu instid0(VALU_DEP_2) | instskip(NEXT) | instid1(VALU_DEP_1)
	v_or_b32_e32 v6, 0x70000000, v6
	v_mul_f32_e32 v6, 0x7800000, v6
	s_delay_alu instid0(VALU_DEP_1) | instskip(NEXT) | instid1(VALU_DEP_1)
	v_cndmask_b32_e32 v3, v6, v7, vcc_lo
	v_and_or_b32 v1, 0x80000000, v1, v3
	s_delay_alu instid0(VALU_DEP_1) | instskip(NEXT) | instid1(VALU_DEP_1)
	v_trunc_f32_e32 v1, v1
	v_mul_f32_e64 v3, 0x2f800000, |v1|
	v_ashrrev_i32_e32 v6, 31, v1
	s_delay_alu instid0(VALU_DEP_2) | instskip(NEXT) | instid1(VALU_DEP_1)
	v_floor_f32_e32 v3, v3
	v_fma_f32 v7, 0xcf800000, v3, |v1|
	v_cvt_u32_f32_e32 v1, v3
	s_delay_alu instid0(VALU_DEP_2) | instskip(NEXT) | instid1(VALU_DEP_2)
	v_cvt_u32_f32_e32 v3, v7
	v_dual_mov_b32 v7, v6 :: v_dual_bitop2_b32 v9, v1, v6 bitop3:0x14
	s_delay_alu instid0(VALU_DEP_2) | instskip(NEXT) | instid1(VALU_DEP_1)
	v_xor_b32_e32 v8, v3, v6
	v_sub_nc_u64_e32 v[6:7], v[8:9], v[6:7]
.LBB79_91:
	s_mov_b32 s28, 0
	s_mov_b32 s27, -1
.LBB79_92:
	s_and_not1_b32 vcc_lo, exec_lo, s28
	s_cbranch_vccnz .LBB79_105
; %bb.93:
	s_cmp_gt_i32 s0, 14
	s_cbranch_scc0 .LBB79_96
; %bb.94:
	s_cmp_eq_u32 s0, 15
	s_cbranch_scc0 .LBB79_99
; %bb.95:
	global_load_u16 v1, v[4:5], off
	s_mov_b32 s27, -1
	s_mov_b32 s26, 0
	s_wait_loadcnt 0x0
	v_lshlrev_b32_e32 v1, 16, v1
	s_delay_alu instid0(VALU_DEP_1) | instskip(NEXT) | instid1(VALU_DEP_1)
	v_trunc_f32_e32 v1, v1
	v_mul_f32_e64 v3, 0x2f800000, |v1|
	v_ashrrev_i32_e32 v6, 31, v1
	s_delay_alu instid0(VALU_DEP_2) | instskip(NEXT) | instid1(VALU_DEP_1)
	v_floor_f32_e32 v3, v3
	v_fma_f32 v7, 0xcf800000, v3, |v1|
	v_cvt_u32_f32_e32 v1, v3
	s_delay_alu instid0(VALU_DEP_2) | instskip(NEXT) | instid1(VALU_DEP_2)
	v_cvt_u32_f32_e32 v3, v7
	v_dual_mov_b32 v7, v6 :: v_dual_bitop2_b32 v9, v1, v6 bitop3:0x14
	s_delay_alu instid0(VALU_DEP_2) | instskip(NEXT) | instid1(VALU_DEP_1)
	v_xor_b32_e32 v8, v3, v6
	v_sub_nc_u64_e32 v[6:7], v[8:9], v[6:7]
	s_branch .LBB79_100
.LBB79_96:
	s_mov_b32 s28, -1
                                        ; implicit-def: $vgpr6_vgpr7
	s_branch .LBB79_101
.LBB79_97:
	s_and_not1_saveexec_b32 s27, s27
	s_cbranch_execz .LBB79_78
.LBB79_98:
	v_cmp_ne_u16_e32 vcc_lo, 0, v1
	s_and_not1_b32 s28, s28, exec_lo
	s_and_b32 s29, vcc_lo, exec_lo
	s_delay_alu instid0(SALU_CYCLE_1)
	s_or_b32 s28, s28, s29
	s_or_b32 exec_lo, exec_lo, s27
	v_mov_b64_e32 v[6:7], 0
	s_and_saveexec_b32 s27, s28
	s_cbranch_execnz .LBB79_79
	s_branch .LBB79_80
.LBB79_99:
	s_mov_b32 s26, -1
                                        ; implicit-def: $vgpr6_vgpr7
.LBB79_100:
	s_mov_b32 s28, 0
.LBB79_101:
	s_delay_alu instid0(SALU_CYCLE_1)
	s_and_b32 vcc_lo, exec_lo, s28
	s_cbranch_vccz .LBB79_105
; %bb.102:
	s_cmp_eq_u32 s0, 11
	s_cbranch_scc0 .LBB79_104
; %bb.103:
	global_load_u8 v1, v[4:5], off
	s_mov_b32 s26, 0
	s_mov_b32 s27, -1
	s_wait_loadcnt 0x1
	v_mov_b32_e32 v7, s26
	s_wait_loadcnt 0x0
	v_cmp_ne_u16_e32 vcc_lo, 0, v1
	v_cndmask_b32_e64 v6, 0, 1, vcc_lo
	s_branch .LBB79_105
.LBB79_104:
	s_mov_b32 s26, -1
                                        ; implicit-def: $vgpr6_vgpr7
.LBB79_105:
	s_branch .LBB79_25
.LBB79_106:
	s_cmp_lt_i32 s0, 5
	s_cbranch_scc1 .LBB79_111
; %bb.107:
	s_cmp_lt_i32 s0, 8
	s_cbranch_scc1 .LBB79_112
; %bb.108:
	;; [unrolled: 3-line block ×3, first 2 shown]
	s_cmp_gt_i32 s0, 9
	s_cbranch_scc0 .LBB79_114
; %bb.110:
	s_wait_loadcnt 0x0
	global_load_b64 v[6:7], v[4:5], off
	s_mov_b32 s27, 0
	s_wait_loadcnt 0x0
	v_trunc_f64_e32 v[6:7], v[6:7]
	s_delay_alu instid0(VALU_DEP_1) | instskip(NEXT) | instid1(VALU_DEP_1)
	v_ldexp_f64 v[8:9], v[6:7], 0xffffffe0
	v_floor_f64_e32 v[8:9], v[8:9]
	s_delay_alu instid0(VALU_DEP_1) | instskip(SKIP_1) | instid1(VALU_DEP_2)
	v_fmamk_f64 v[10:11], v[8:9], 0xc1f00000, v[6:7]
	v_cvt_i32_f64_e32 v7, v[8:9]
	v_cvt_u32_f64_e32 v6, v[10:11]
	s_branch .LBB79_115
.LBB79_111:
                                        ; implicit-def: $vgpr6_vgpr7
	s_branch .LBB79_133
.LBB79_112:
	s_mov_b32 s27, -1
                                        ; implicit-def: $vgpr6_vgpr7
	s_branch .LBB79_121
.LBB79_113:
	s_mov_b32 s27, -1
                                        ; implicit-def: $vgpr6_vgpr7
	s_branch .LBB79_118
.LBB79_114:
	s_mov_b32 s27, -1
                                        ; implicit-def: $vgpr6_vgpr7
.LBB79_115:
	s_delay_alu instid0(SALU_CYCLE_1)
	s_and_not1_b32 vcc_lo, exec_lo, s27
	s_cbranch_vccnz .LBB79_117
; %bb.116:
	global_load_b32 v1, v[4:5], off
	s_wait_loadcnt 0x0
	v_trunc_f32_e32 v1, v1
	s_delay_alu instid0(VALU_DEP_1) | instskip(SKIP_1) | instid1(VALU_DEP_2)
	v_mul_f32_e64 v3, 0x2f800000, |v1|
	v_ashrrev_i32_e32 v6, 31, v1
	v_floor_f32_e32 v3, v3
	s_delay_alu instid0(VALU_DEP_1) | instskip(SKIP_1) | instid1(VALU_DEP_2)
	v_fma_f32 v7, 0xcf800000, v3, |v1|
	v_cvt_u32_f32_e32 v1, v3
	v_cvt_u32_f32_e32 v3, v7
	s_delay_alu instid0(VALU_DEP_2) | instskip(NEXT) | instid1(VALU_DEP_2)
	v_dual_mov_b32 v7, v6 :: v_dual_bitop2_b32 v9, v1, v6 bitop3:0x14
	v_xor_b32_e32 v8, v3, v6
	s_delay_alu instid0(VALU_DEP_1)
	v_sub_nc_u64_e32 v[6:7], v[8:9], v[6:7]
.LBB79_117:
	s_mov_b32 s27, 0
.LBB79_118:
	s_delay_alu instid0(SALU_CYCLE_1)
	s_and_not1_b32 vcc_lo, exec_lo, s27
	s_cbranch_vccnz .LBB79_120
; %bb.119:
	global_load_b32 v1, v[4:5], off
	s_wait_loadcnt 0x0
	v_cvt_f32_f16_e32 v1, v1
	s_delay_alu instid0(VALU_DEP_1) | instskip(NEXT) | instid1(VALU_DEP_1)
	v_cvt_i32_f32_e32 v6, v1
	v_ashrrev_i32_e32 v7, 31, v6
.LBB79_120:
	s_mov_b32 s27, 0
.LBB79_121:
	s_delay_alu instid0(SALU_CYCLE_1)
	s_and_not1_b32 vcc_lo, exec_lo, s27
	s_cbranch_vccnz .LBB79_132
; %bb.122:
	s_cmp_lt_i32 s0, 6
	s_cbranch_scc1 .LBB79_125
; %bb.123:
	s_cmp_gt_i32 s0, 6
	s_cbranch_scc0 .LBB79_126
; %bb.124:
	s_wait_loadcnt 0x0
	global_load_b64 v[6:7], v[4:5], off
	s_mov_b32 s27, 0
	s_wait_loadcnt 0x0
	v_trunc_f64_e32 v[6:7], v[6:7]
	s_delay_alu instid0(VALU_DEP_1) | instskip(NEXT) | instid1(VALU_DEP_1)
	v_ldexp_f64 v[8:9], v[6:7], 0xffffffe0
	v_floor_f64_e32 v[8:9], v[8:9]
	s_delay_alu instid0(VALU_DEP_1) | instskip(SKIP_1) | instid1(VALU_DEP_2)
	v_fmamk_f64 v[10:11], v[8:9], 0xc1f00000, v[6:7]
	v_cvt_i32_f64_e32 v7, v[8:9]
	v_cvt_u32_f64_e32 v6, v[10:11]
	s_branch .LBB79_127
.LBB79_125:
	s_mov_b32 s27, -1
                                        ; implicit-def: $vgpr6_vgpr7
	s_branch .LBB79_130
.LBB79_126:
	s_mov_b32 s27, -1
                                        ; implicit-def: $vgpr6_vgpr7
.LBB79_127:
	s_delay_alu instid0(SALU_CYCLE_1)
	s_and_not1_b32 vcc_lo, exec_lo, s27
	s_cbranch_vccnz .LBB79_129
; %bb.128:
	global_load_b32 v1, v[4:5], off
	s_wait_loadcnt 0x0
	v_trunc_f32_e32 v1, v1
	s_delay_alu instid0(VALU_DEP_1) | instskip(SKIP_1) | instid1(VALU_DEP_2)
	v_mul_f32_e64 v3, 0x2f800000, |v1|
	v_ashrrev_i32_e32 v6, 31, v1
	v_floor_f32_e32 v3, v3
	s_delay_alu instid0(VALU_DEP_1) | instskip(SKIP_1) | instid1(VALU_DEP_2)
	v_fma_f32 v7, 0xcf800000, v3, |v1|
	v_cvt_u32_f32_e32 v1, v3
	v_cvt_u32_f32_e32 v3, v7
	s_delay_alu instid0(VALU_DEP_2) | instskip(NEXT) | instid1(VALU_DEP_2)
	v_dual_mov_b32 v7, v6 :: v_dual_bitop2_b32 v9, v1, v6 bitop3:0x14
	v_xor_b32_e32 v8, v3, v6
	s_delay_alu instid0(VALU_DEP_1)
	v_sub_nc_u64_e32 v[6:7], v[8:9], v[6:7]
.LBB79_129:
	s_mov_b32 s27, 0
.LBB79_130:
	s_delay_alu instid0(SALU_CYCLE_1)
	s_and_not1_b32 vcc_lo, exec_lo, s27
	s_cbranch_vccnz .LBB79_132
; %bb.131:
	global_load_u16 v1, v[4:5], off
	s_wait_loadcnt 0x0
	v_cvt_f32_f16_e32 v1, v1
	s_delay_alu instid0(VALU_DEP_1) | instskip(NEXT) | instid1(VALU_DEP_1)
	v_cvt_i32_f32_e32 v6, v1
	v_ashrrev_i32_e32 v7, 31, v6
.LBB79_132:
	s_cbranch_execnz .LBB79_152
.LBB79_133:
	s_cmp_lt_i32 s0, 2
	s_cbranch_scc1 .LBB79_137
; %bb.134:
	s_cmp_lt_i32 s0, 3
	s_cbranch_scc1 .LBB79_138
; %bb.135:
	s_cmp_gt_i32 s0, 3
	s_cbranch_scc0 .LBB79_139
; %bb.136:
	s_wait_loadcnt 0x0
	global_load_b64 v[6:7], v[4:5], off
	s_mov_b32 s27, 0
	s_branch .LBB79_140
.LBB79_137:
	s_mov_b32 s27, -1
                                        ; implicit-def: $vgpr6_vgpr7
	s_branch .LBB79_146
.LBB79_138:
	s_mov_b32 s27, -1
                                        ; implicit-def: $vgpr6_vgpr7
	s_branch .LBB79_143
.LBB79_139:
	s_mov_b32 s27, -1
                                        ; implicit-def: $vgpr6_vgpr7
.LBB79_140:
	s_delay_alu instid0(SALU_CYCLE_1)
	s_and_not1_b32 vcc_lo, exec_lo, s27
	s_cbranch_vccnz .LBB79_142
; %bb.141:
	s_wait_loadcnt 0x0
	global_load_b32 v6, v[4:5], off
	s_wait_loadcnt 0x0
	v_ashrrev_i32_e32 v7, 31, v6
.LBB79_142:
	s_mov_b32 s27, 0
.LBB79_143:
	s_delay_alu instid0(SALU_CYCLE_1)
	s_and_not1_b32 vcc_lo, exec_lo, s27
	s_cbranch_vccnz .LBB79_145
; %bb.144:
	global_load_u16 v1, v[4:5], off
	s_wait_loadcnt 0x0
	v_bfe_i32 v6, v1, 0, 16
	s_delay_alu instid0(VALU_DEP_1)
	v_ashrrev_i32_e32 v7, 31, v6
.LBB79_145:
	s_mov_b32 s27, 0
.LBB79_146:
	s_delay_alu instid0(SALU_CYCLE_1)
	s_and_not1_b32 vcc_lo, exec_lo, s27
	s_cbranch_vccnz .LBB79_152
; %bb.147:
	s_cmp_gt_i32 s0, 0
	s_mov_b32 s0, 0
	s_cbranch_scc0 .LBB79_149
; %bb.148:
	global_load_i8 v1, v[4:5], off
	s_wait_loadcnt 0x0
	v_bfe_i32 v6, v1, 0, 16
	s_delay_alu instid0(VALU_DEP_1)
	v_ashrrev_i32_e32 v7, 31, v6
	s_branch .LBB79_150
.LBB79_149:
	s_mov_b32 s0, -1
                                        ; implicit-def: $vgpr6_vgpr7
.LBB79_150:
	s_delay_alu instid0(SALU_CYCLE_1)
	s_and_not1_b32 vcc_lo, exec_lo, s0
	s_cbranch_vccnz .LBB79_152
; %bb.151:
	global_load_u8 v1, v[4:5], off
	s_mov_b32 s0, 0
	s_wait_loadcnt 0x1
	v_mov_b32_e32 v7, s0
	s_wait_loadcnt 0x0
	v_and_b32_e32 v6, 0xffff, v1
.LBB79_152:
	s_branch .LBB79_26
.LBB79_153:
	s_mov_b32 s27, 0
	s_mov_b32 s28, 0
	;; [unrolled: 1-line block ×3, first 2 shown]
                                        ; implicit-def: $vgpr0
	s_branch .LBB79_235
.LBB79_154:
	s_mov_b32 s31, -1
	s_mov_b32 s30, 0
.LBB79_155:
	s_and_b32 vcc_lo, exec_lo, s31
	s_cbranch_vccz .LBB79_158
; %bb.156:
	s_cmp_eq_u32 s29, 44
	s_mov_b32 s27, -1
	s_cbranch_scc0 .LBB79_158
; %bb.157:
	s_wait_xcnt 0x0
	v_mov_b32_e32 v1, 0
	s_mov_b32 s30, -1
	s_mov_b32 s27, 0
	s_mov_b32 s31, 0
	global_store_b8 v[2:3], v1, off
	s_branch .LBB79_159
.LBB79_158:
	s_mov_b32 s31, 0
.LBB79_159:
	s_delay_alu instid0(SALU_CYCLE_1)
	s_and_b32 vcc_lo, exec_lo, s31
	s_cbranch_vccz .LBB79_162
; %bb.160:
	s_cmp_eq_u32 s29, 29
	s_mov_b32 s27, -1
	s_cbranch_scc0 .LBB79_162
; %bb.161:
	v_mov_b64_e32 v[4:5], 0
	s_mov_b32 s30, -1
	s_mov_b32 s27, 0
	s_mov_b32 s31, 0
	global_store_b64 v[2:3], v[4:5], off
	s_branch .LBB79_163
.LBB79_162:
	s_mov_b32 s31, 0
.LBB79_163:
	s_delay_alu instid0(SALU_CYCLE_1)
	s_and_b32 vcc_lo, exec_lo, s31
	s_cbranch_vccz .LBB79_173
; %bb.164:
	s_cmp_lt_i32 s29, 27
	s_mov_b32 s30, -1
	s_cbranch_scc1 .LBB79_170
; %bb.165:
	s_cmp_gt_i32 s29, 27
	s_cbranch_scc0 .LBB79_167
; %bb.166:
	s_wait_xcnt 0x0
	v_mov_b32_e32 v1, 0
	s_mov_b32 s30, 0
	global_store_b32 v[2:3], v1, off
.LBB79_167:
	s_and_not1_b32 vcc_lo, exec_lo, s30
	s_cbranch_vccnz .LBB79_169
; %bb.168:
	s_wait_xcnt 0x0
	v_mov_b32_e32 v1, 0
	global_store_b16 v[2:3], v1, off
.LBB79_169:
	s_mov_b32 s30, 0
.LBB79_170:
	s_delay_alu instid0(SALU_CYCLE_1)
	s_and_not1_b32 vcc_lo, exec_lo, s30
	s_cbranch_vccnz .LBB79_172
; %bb.171:
	s_wait_xcnt 0x0
	v_mov_b32_e32 v1, 0
	global_store_b8 v[2:3], v1, off
.LBB79_172:
	s_mov_b32 s30, -1
.LBB79_173:
	s_mov_b32 s31, 0
.LBB79_174:
	s_delay_alu instid0(SALU_CYCLE_1)
	s_and_b32 vcc_lo, exec_lo, s31
	s_cbranch_vccz .LBB79_193
; %bb.175:
	s_cmp_gt_i32 s29, 22
	s_mov_b32 s31, -1
	s_cbranch_scc0 .LBB79_185
; %bb.176:
	s_cmp_lt_i32 s29, 24
	s_mov_b32 s30, -1
	s_cbranch_scc1 .LBB79_182
; %bb.177:
	s_cmp_gt_i32 s29, 24
	s_cbranch_scc0 .LBB79_179
; %bb.178:
	s_wait_xcnt 0x0
	v_mov_b32_e32 v1, 0
	s_mov_b32 s30, 0
	global_store_b8 v[2:3], v1, off
.LBB79_179:
	s_and_not1_b32 vcc_lo, exec_lo, s30
	s_cbranch_vccnz .LBB79_181
; %bb.180:
	s_wait_xcnt 0x0
	v_mov_b32_e32 v1, 0
	global_store_b8 v[2:3], v1, off
.LBB79_181:
	s_mov_b32 s30, 0
.LBB79_182:
	s_delay_alu instid0(SALU_CYCLE_1)
	s_and_not1_b32 vcc_lo, exec_lo, s30
	s_cbranch_vccnz .LBB79_184
; %bb.183:
	s_wait_xcnt 0x0
	v_mov_b32_e32 v1, 0
	global_store_b8 v[2:3], v1, off
.LBB79_184:
	s_mov_b32 s31, 0
	s_mov_b32 s30, -1
.LBB79_185:
	s_and_not1_b32 vcc_lo, exec_lo, s31
	s_cbranch_vccnz .LBB79_193
; %bb.186:
	s_cmp_gt_i32 s29, 14
	s_mov_b32 s31, -1
	s_cbranch_scc0 .LBB79_190
; %bb.187:
	s_cmp_eq_u32 s29, 15
	s_mov_b32 s27, -1
	s_cbranch_scc0 .LBB79_189
; %bb.188:
	s_wait_xcnt 0x0
	v_mov_b32_e32 v1, 0
	s_mov_b32 s30, -1
	s_mov_b32 s27, 0
	global_store_b16 v[2:3], v1, off
.LBB79_189:
	s_mov_b32 s31, 0
.LBB79_190:
	s_delay_alu instid0(SALU_CYCLE_1)
	s_and_b32 vcc_lo, exec_lo, s31
	s_cbranch_vccz .LBB79_193
; %bb.191:
	s_cmp_eq_u32 s29, 11
	s_mov_b32 s27, -1
	s_cbranch_scc0 .LBB79_193
; %bb.192:
	s_wait_xcnt 0x0
	v_mov_b32_e32 v1, 0
	s_mov_b32 s30, -1
	s_mov_b32 s27, 0
	global_store_b8 v[2:3], v1, off
.LBB79_193:
	s_branch .LBB79_36
.LBB79_194:
	s_and_b32 s28, 0xffff, s28
	s_mov_b32 s29, -1
	s_cmp_lt_i32 s28, 5
	s_cbranch_scc1 .LBB79_215
; %bb.195:
	s_cmp_lt_i32 s28, 8
	s_cbranch_scc1 .LBB79_205
; %bb.196:
	;; [unrolled: 3-line block ×3, first 2 shown]
	s_cmp_gt_i32 s28, 9
	s_cbranch_scc0 .LBB79_199
; %bb.198:
	s_wait_xcnt 0x0
	v_mov_b32_e32 v4, 0
	s_mov_b32 s29, 0
	s_delay_alu instid0(VALU_DEP_1)
	v_dual_mov_b32 v5, v4 :: v_dual_mov_b32 v6, v4
	v_mov_b32_e32 v7, v4
	global_store_b128 v[2:3], v[4:7], off
.LBB79_199:
	s_and_not1_b32 vcc_lo, exec_lo, s29
	s_cbranch_vccnz .LBB79_201
; %bb.200:
	s_wait_xcnt 0x0
	v_mov_b64_e32 v[4:5], 0
	global_store_b64 v[2:3], v[4:5], off
.LBB79_201:
	s_mov_b32 s29, 0
.LBB79_202:
	s_delay_alu instid0(SALU_CYCLE_1)
	s_and_not1_b32 vcc_lo, exec_lo, s29
	s_cbranch_vccnz .LBB79_204
; %bb.203:
	s_wait_xcnt 0x0
	v_mov_b32_e32 v1, 0
	global_store_b32 v[2:3], v1, off
.LBB79_204:
	s_mov_b32 s29, 0
.LBB79_205:
	s_delay_alu instid0(SALU_CYCLE_1)
	s_and_not1_b32 vcc_lo, exec_lo, s29
	s_cbranch_vccnz .LBB79_214
; %bb.206:
	s_cmp_lt_i32 s28, 6
	s_mov_b32 s29, -1
	s_cbranch_scc1 .LBB79_212
; %bb.207:
	s_cmp_gt_i32 s28, 6
	s_cbranch_scc0 .LBB79_209
; %bb.208:
	s_wait_xcnt 0x0
	v_mov_b64_e32 v[4:5], 0
	s_mov_b32 s29, 0
	global_store_b64 v[2:3], v[4:5], off
.LBB79_209:
	s_and_not1_b32 vcc_lo, exec_lo, s29
	s_cbranch_vccnz .LBB79_211
; %bb.210:
	s_wait_xcnt 0x0
	v_mov_b32_e32 v1, 0
	global_store_b32 v[2:3], v1, off
.LBB79_211:
	s_mov_b32 s29, 0
.LBB79_212:
	s_delay_alu instid0(SALU_CYCLE_1)
	s_and_not1_b32 vcc_lo, exec_lo, s29
	s_cbranch_vccnz .LBB79_214
; %bb.213:
	s_wait_xcnt 0x0
	v_mov_b32_e32 v1, 0
	global_store_b16 v[2:3], v1, off
.LBB79_214:
	s_mov_b32 s29, 0
.LBB79_215:
	s_delay_alu instid0(SALU_CYCLE_1)
	s_and_not1_b32 vcc_lo, exec_lo, s29
	s_cbranch_vccnz .LBB79_231
; %bb.216:
	s_cmp_lt_i32 s28, 2
	s_mov_b32 s29, -1
	s_cbranch_scc1 .LBB79_226
; %bb.217:
	s_cmp_lt_i32 s28, 3
	s_cbranch_scc1 .LBB79_223
; %bb.218:
	s_cmp_gt_i32 s28, 3
	s_cbranch_scc0 .LBB79_220
; %bb.219:
	s_wait_xcnt 0x0
	v_mov_b64_e32 v[4:5], 0
	s_mov_b32 s29, 0
	global_store_b64 v[2:3], v[4:5], off
.LBB79_220:
	s_and_not1_b32 vcc_lo, exec_lo, s29
	s_cbranch_vccnz .LBB79_222
; %bb.221:
	s_wait_xcnt 0x0
	v_mov_b32_e32 v1, 0
	global_store_b32 v[2:3], v1, off
.LBB79_222:
	s_mov_b32 s29, 0
.LBB79_223:
	s_delay_alu instid0(SALU_CYCLE_1)
	s_and_not1_b32 vcc_lo, exec_lo, s29
	s_cbranch_vccnz .LBB79_225
; %bb.224:
	s_wait_xcnt 0x0
	v_mov_b32_e32 v1, 0
	global_store_b16 v[2:3], v1, off
.LBB79_225:
	s_mov_b32 s29, 0
.LBB79_226:
	s_delay_alu instid0(SALU_CYCLE_1)
	s_and_not1_b32 vcc_lo, exec_lo, s29
	s_cbranch_vccnz .LBB79_231
; %bb.227:
	s_cmp_gt_i32 s28, 0
	s_mov_b32 s28, -1
	s_cbranch_scc0 .LBB79_229
; %bb.228:
	s_wait_xcnt 0x0
	v_mov_b32_e32 v1, 0
	s_mov_b32 s28, 0
	global_store_b8 v[2:3], v1, off
.LBB79_229:
	s_and_not1_b32 vcc_lo, exec_lo, s28
	s_cbranch_vccnz .LBB79_231
; %bb.230:
	s_wait_xcnt 0x0
	v_mov_b32_e32 v1, 0
	global_store_b8 v[2:3], v1, off
.LBB79_231:
	s_branch .LBB79_37
.LBB79_232:
	s_mov_b32 s30, 0
                                        ; implicit-def: $vgpr0
.LBB79_233:
	s_and_b32 s29, s27, exec_lo
	s_xor_b32 s28, exec_lo, -1
	s_and_b32 s27, s30, exec_lo
.LBB79_234:
	s_wait_xcnt 0x0
	s_or_b32 exec_lo, exec_lo, s0
.LBB79_235:
	s_delay_alu instid0(SALU_CYCLE_1)
	s_and_b32 s44, s29, exec_lo
	s_and_b32 s45, s28, exec_lo
	;; [unrolled: 1-line block ×3, first 2 shown]
	s_or_not1_b32 s26, s27, exec_lo
.LBB79_236:
	s_wait_xcnt 0x0
	s_or_b32 exec_lo, exec_lo, s47
	s_mov_b32 s27, 0
	s_mov_b32 s0, 0
                                        ; implicit-def: $vgpr4_vgpr5
                                        ; implicit-def: $vgpr2
                                        ; implicit-def: $vgpr6_vgpr7
	s_and_saveexec_b32 s47, s26
	s_cbranch_execz .LBB79_244
; %bb.237:
	s_mov_b32 s0, -1
	s_mov_b32 s48, s46
	s_mov_b32 s50, s45
	;; [unrolled: 1-line block ×3, first 2 shown]
	s_mov_b32 s51, exec_lo
	v_cmpx_gt_i32_e64 s41, v0
	s_cbranch_execz .LBB79_479
; %bb.238:
	s_and_not1_b32 vcc_lo, exec_lo, s36
	s_cbranch_vccnz .LBB79_247
; %bb.239:
	s_and_not1_b32 vcc_lo, exec_lo, s43
	s_cbranch_vccnz .LBB79_248
; %bb.240:
	s_add_co_i32 s0, s42, 1
	s_cmp_eq_u32 s34, 2
	s_cbranch_scc1 .LBB79_249
; %bb.241:
	v_dual_mov_b32 v2, 0 :: v_dual_mov_b32 v4, 0
	v_mov_b32_e32 v1, v0
	s_and_b32 s26, s0, 28
	s_mov_b64 s[28:29], s[2:3]
	s_mov_b64 s[30:31], s[24:25]
.LBB79_242:                             ; =>This Inner Loop Header: Depth=1
	s_clause 0x1
	s_load_b256 s[52:59], s[28:29], 0x4
	s_load_b128 s[68:71], s[28:29], 0x24
	s_load_b256 s[60:67], s[30:31], 0x0
	s_add_co_i32 s27, s27, 4
	s_wait_xcnt 0x0
	s_add_nc_u64 s[28:29], s[28:29], 48
	s_cmp_eq_u32 s26, s27
	s_add_nc_u64 s[30:31], s[30:31], 32
	s_wait_kmcnt 0x0
	v_mul_hi_u32 v3, s53, v1
	s_delay_alu instid0(VALU_DEP_1) | instskip(NEXT) | instid1(VALU_DEP_1)
	v_add_nc_u32_e32 v3, v1, v3
	v_lshrrev_b32_e32 v3, s54, v3
	s_delay_alu instid0(VALU_DEP_1) | instskip(NEXT) | instid1(VALU_DEP_1)
	v_mul_hi_u32 v5, s56, v3
	v_add_nc_u32_e32 v5, v3, v5
	s_delay_alu instid0(VALU_DEP_1) | instskip(SKIP_1) | instid1(VALU_DEP_1)
	v_lshrrev_b32_e32 v5, s57, v5
	s_wait_loadcnt 0x0
	v_mul_hi_u32 v6, s59, v5
	s_delay_alu instid0(VALU_DEP_1) | instskip(SKIP_1) | instid1(VALU_DEP_1)
	v_add_nc_u32_e32 v6, v5, v6
	v_mul_lo_u32 v7, v3, s52
	v_sub_nc_u32_e32 v1, v1, v7
	v_mul_lo_u32 v7, v5, s55
	s_delay_alu instid0(VALU_DEP_4) | instskip(NEXT) | instid1(VALU_DEP_3)
	v_lshrrev_b32_e32 v6, s68, v6
	v_mad_u32 v4, v1, s61, v4
	v_mad_u32 v1, v1, s60, v2
	s_delay_alu instid0(VALU_DEP_4) | instskip(NEXT) | instid1(VALU_DEP_4)
	v_sub_nc_u32_e32 v2, v3, v7
	v_mul_hi_u32 v8, s70, v6
	v_mul_lo_u32 v3, v6, s58
	s_delay_alu instid0(VALU_DEP_3) | instskip(SKIP_1) | instid1(VALU_DEP_3)
	v_mad_u32 v4, v2, s63, v4
	v_mad_u32 v2, v2, s62, v1
	v_dual_add_nc_u32 v7, v6, v8 :: v_dual_sub_nc_u32 v3, v5, v3
	s_delay_alu instid0(VALU_DEP_1) | instskip(NEXT) | instid1(VALU_DEP_2)
	v_lshrrev_b32_e32 v1, s71, v7
	v_mad_u32 v4, v3, s65, v4
	s_delay_alu instid0(VALU_DEP_4) | instskip(NEXT) | instid1(VALU_DEP_3)
	v_mad_u32 v2, v3, s64, v2
	v_mul_lo_u32 v5, v1, s69
	s_delay_alu instid0(VALU_DEP_1) | instskip(NEXT) | instid1(VALU_DEP_1)
	v_sub_nc_u32_e32 v3, v6, v5
	v_mad_u32 v4, v3, s67, v4
	s_delay_alu instid0(VALU_DEP_4)
	v_mad_u32 v2, v3, s66, v2
	s_cbranch_scc0 .LBB79_242
; %bb.243:
	s_delay_alu instid0(VALU_DEP_2)
	v_mov_b32_e32 v3, v4
	s_branch .LBB79_250
.LBB79_244:
	s_or_b32 exec_lo, exec_lo, s47
	s_mov_b32 s1, 0
	s_and_saveexec_b32 s6, s46
	s_cbranch_execnz .LBB79_817
.LBB79_245:
	s_or_b32 exec_lo, exec_lo, s6
	s_and_saveexec_b32 s6, s21
	s_delay_alu instid0(SALU_CYCLE_1)
	s_xor_b32 s6, exec_lo, s6
	s_cbranch_execz .LBB79_818
.LBB79_246:
	global_load_u8 v0, v[4:5], off
	s_mov_b32 s7, 0
	s_or_b32 s0, s0, exec_lo
	s_wait_loadcnt 0x1
	v_mov_b32_e32 v7, s7
	s_wait_loadcnt 0x0
	v_cmp_ne_u16_e32 vcc_lo, 0, v0
	v_cndmask_b32_e64 v6, 0, 1, vcc_lo
	s_wait_xcnt 0x0
	s_or_b32 exec_lo, exec_lo, s6
	s_and_saveexec_b32 s6, s27
	s_cbranch_execz .LBB79_864
	s_branch .LBB79_819
.LBB79_247:
                                        ; implicit-def: $vgpr4
                                        ; implicit-def: $vgpr2
	s_and_not1_b32 vcc_lo, exec_lo, s0
	s_cbranch_vccnz .LBB79_257
	s_branch .LBB79_255
.LBB79_248:
	v_dual_mov_b32 v4, 0 :: v_dual_mov_b32 v2, 0
	s_branch .LBB79_254
.LBB79_249:
	v_mov_b64_e32 v[2:3], 0
	v_mov_b32_e32 v1, v0
	s_mov_b32 s26, 0
                                        ; implicit-def: $vgpr4
.LBB79_250:
	s_and_b32 s0, s0, 3
	s_mov_b32 s27, 0
	s_cmp_eq_u32 s0, 0
	s_cbranch_scc1 .LBB79_254
; %bb.251:
	s_lshl_b32 s28, s26, 3
	s_mov_b32 s29, s27
	s_mul_u64 s[30:31], s[26:27], 12
	s_add_nc_u64 s[28:29], s[2:3], s[28:29]
	s_delay_alu instid0(SALU_CYCLE_1)
	s_add_nc_u64 s[26:27], s[28:29], 0xc4
	s_add_nc_u64 s[28:29], s[2:3], s[30:31]
.LBB79_252:                             ; =>This Inner Loop Header: Depth=1
	s_load_b96 s[48:50], s[28:29], 0x4
	s_load_b64 s[30:31], s[26:27], 0x0
	s_add_co_i32 s0, s0, -1
	s_wait_xcnt 0x0
	s_add_nc_u64 s[28:29], s[28:29], 12
	s_cmp_lg_u32 s0, 0
	s_add_nc_u64 s[26:27], s[26:27], 8
	s_wait_kmcnt 0x0
	v_mul_hi_u32 v4, s49, v1
	s_delay_alu instid0(VALU_DEP_1) | instskip(NEXT) | instid1(VALU_DEP_1)
	v_add_nc_u32_e32 v4, v1, v4
	v_lshrrev_b32_e32 v4, s50, v4
	s_delay_alu instid0(VALU_DEP_1) | instskip(NEXT) | instid1(VALU_DEP_1)
	v_mul_lo_u32 v5, v4, s48
	v_sub_nc_u32_e32 v1, v1, v5
	s_delay_alu instid0(VALU_DEP_1)
	v_mad_u32 v3, v1, s31, v3
	v_mad_u32 v2, v1, s30, v2
	v_mov_b32_e32 v1, v4
	s_cbranch_scc1 .LBB79_252
; %bb.253:
	s_delay_alu instid0(VALU_DEP_3)
	v_mov_b32_e32 v4, v3
.LBB79_254:
	s_cbranch_execnz .LBB79_257
.LBB79_255:
	v_mov_b32_e32 v1, 0
	s_and_not1_b32 vcc_lo, exec_lo, s40
	s_delay_alu instid0(VALU_DEP_1) | instskip(NEXT) | instid1(VALU_DEP_1)
	v_mul_u64_e32 v[2:3], s[20:21], v[0:1]
	v_add_nc_u32_e32 v2, v0, v3
	s_wait_loadcnt 0x0
	s_delay_alu instid0(VALU_DEP_1) | instskip(NEXT) | instid1(VALU_DEP_1)
	v_lshrrev_b32_e32 v6, s14, v2
	v_mul_lo_u32 v2, v6, s12
	s_delay_alu instid0(VALU_DEP_1) | instskip(NEXT) | instid1(VALU_DEP_1)
	v_sub_nc_u32_e32 v2, v0, v2
	v_mul_lo_u32 v4, v2, s17
	v_mul_lo_u32 v2, v2, s16
	s_cbranch_vccnz .LBB79_257
; %bb.256:
	v_mov_b32_e32 v7, v1
	s_delay_alu instid0(VALU_DEP_1) | instskip(NEXT) | instid1(VALU_DEP_1)
	v_mul_u64_e32 v[8:9], s[22:23], v[6:7]
	v_add_nc_u32_e32 v1, v6, v9
	s_delay_alu instid0(VALU_DEP_1) | instskip(NEXT) | instid1(VALU_DEP_1)
	v_lshrrev_b32_e32 v1, s1, v1
	v_mul_lo_u32 v1, v1, s15
	s_delay_alu instid0(VALU_DEP_1) | instskip(NEXT) | instid1(VALU_DEP_1)
	v_sub_nc_u32_e32 v1, v6, v1
	v_mad_u32 v2, v1, s18, v2
	v_mad_u32 v4, v1, s19, v4
.LBB79_257:
	v_mov_b32_e32 v5, 0
	s_and_b32 s0, 0xffff, s39
	s_delay_alu instid0(SALU_CYCLE_1) | instskip(NEXT) | instid1(VALU_DEP_1)
	s_cmp_lt_i32 s0, 11
	v_add_nc_u64_e32 v[4:5], s[6:7], v[4:5]
	s_cbranch_scc1 .LBB79_264
; %bb.258:
	s_cmp_gt_i32 s0, 25
	s_cbranch_scc0 .LBB79_274
; %bb.259:
	s_cmp_gt_i32 s0, 28
	s_cbranch_scc0 .LBB79_276
	;; [unrolled: 3-line block ×4, first 2 shown]
; %bb.262:
	s_cmp_eq_u32 s0, 46
	s_mov_b32 s28, 0
	s_cbranch_scc0 .LBB79_282
; %bb.263:
	global_load_b32 v1, v[4:5], off
	s_mov_b32 s27, -1
	s_mov_b32 s26, 0
	s_wait_loadcnt 0x0
	v_lshlrev_b32_e32 v1, 16, v1
	s_delay_alu instid0(VALU_DEP_1) | instskip(NEXT) | instid1(VALU_DEP_1)
	v_trunc_f32_e32 v1, v1
	v_mul_f32_e64 v3, 0x2f800000, |v1|
	v_ashrrev_i32_e32 v6, 31, v1
	s_delay_alu instid0(VALU_DEP_2) | instskip(NEXT) | instid1(VALU_DEP_1)
	v_floor_f32_e32 v3, v3
	v_fma_f32 v7, 0xcf800000, v3, |v1|
	v_cvt_u32_f32_e32 v1, v3
	s_delay_alu instid0(VALU_DEP_2) | instskip(NEXT) | instid1(VALU_DEP_2)
	v_cvt_u32_f32_e32 v3, v7
	v_dual_mov_b32 v7, v6 :: v_dual_bitop2_b32 v9, v1, v6 bitop3:0x14
	s_delay_alu instid0(VALU_DEP_2) | instskip(NEXT) | instid1(VALU_DEP_1)
	v_xor_b32_e32 v8, v3, v6
	v_sub_nc_u64_e32 v[6:7], v[8:9], v[6:7]
	s_branch .LBB79_284
.LBB79_264:
	s_mov_b32 s27, 0
	s_mov_b32 s26, s46
                                        ; implicit-def: $vgpr6_vgpr7
	s_cbranch_execnz .LBB79_345
.LBB79_265:
	s_and_not1_b32 vcc_lo, exec_lo, s27
	s_cbranch_vccnz .LBB79_393
.LBB79_266:
	s_wait_loadcnt 0x0
	s_delay_alu instid0(VALU_DEP_1)
	v_cmp_le_i64_e32 vcc_lo, s[8:9], v[6:7]
	v_cmp_gt_i64_e64 s0, s[10:11], v[6:7]
	s_mov_b32 s27, 0
	s_mov_b32 s28, -1
	s_mov_b32 s29, s44
	s_and_b32 s0, vcc_lo, s0
	s_delay_alu instid0(SALU_CYCLE_1)
	s_and_b32 s30, s13, s0
	s_wait_xcnt 0x0
	s_and_saveexec_b32 s0, s30
	s_cbranch_execz .LBB79_477
; %bb.267:
	v_mov_b32_e32 v3, 0
	s_and_b32 s28, s38, 0xff
	s_delay_alu instid0(SALU_CYCLE_1) | instskip(NEXT) | instid1(VALU_DEP_1)
	s_cmp_lt_i32 s28, 11
	v_add_nc_u64_e32 v[2:3], s[4:5], v[2:3]
	s_cbranch_scc1 .LBB79_275
; %bb.268:
	s_and_b32 s29, 0xffff, s28
	s_delay_alu instid0(SALU_CYCLE_1)
	s_cmp_gt_i32 s29, 25
	s_cbranch_scc0 .LBB79_277
; %bb.269:
	s_cmp_gt_i32 s29, 28
	s_cbranch_scc0 .LBB79_279
; %bb.270:
	;; [unrolled: 3-line block ×4, first 2 shown]
	s_mov_b32 s31, 0
	s_mov_b32 s27, -1
	s_cmp_eq_u32 s29, 46
	s_mov_b32 s30, 0
	s_cbranch_scc0 .LBB79_395
; %bb.273:
	v_mov_b32_e32 v1, 0
	s_mov_b32 s30, -1
	s_mov_b32 s27, 0
	global_store_b32 v[2:3], v1, off
	s_branch .LBB79_395
.LBB79_274:
	s_mov_b32 s28, -1
	s_mov_b32 s27, 0
	s_mov_b32 s26, s46
                                        ; implicit-def: $vgpr6_vgpr7
	s_branch .LBB79_311
.LBB79_275:
	s_mov_b32 s29, -1
	s_mov_b32 s30, 0
	s_mov_b32 s27, s44
	s_branch .LBB79_434
.LBB79_276:
	s_mov_b32 s28, -1
	s_mov_b32 s27, 0
	s_mov_b32 s26, s46
                                        ; implicit-def: $vgpr6_vgpr7
	s_branch .LBB79_294
.LBB79_277:
	s_mov_b32 s31, -1
	s_mov_b32 s30, 0
	s_mov_b32 s27, s44
	s_branch .LBB79_414
.LBB79_278:
	s_mov_b32 s28, -1
	s_mov_b32 s27, 0
	s_mov_b32 s26, s46
                                        ; implicit-def: $vgpr6_vgpr7
	s_branch .LBB79_289
.LBB79_279:
	s_mov_b32 s31, -1
	s_mov_b32 s30, 0
	s_mov_b32 s27, s44
	s_branch .LBB79_403
.LBB79_280:
	s_mov_b32 s28, -1
	s_mov_b32 s27, 0
	s_mov_b32 s26, s46
	s_branch .LBB79_283
.LBB79_281:
	s_mov_b32 s31, -1
	s_mov_b32 s30, 0
	s_mov_b32 s27, s44
	s_branch .LBB79_399
.LBB79_282:
	s_mov_b32 s26, -1
	s_mov_b32 s27, 0
.LBB79_283:
                                        ; implicit-def: $vgpr6_vgpr7
.LBB79_284:
	s_and_b32 vcc_lo, exec_lo, s28
	s_cbranch_vccz .LBB79_288
; %bb.285:
	s_cmp_eq_u32 s0, 44
	s_cbranch_scc0 .LBB79_287
; %bb.286:
	global_load_u8 v1, v[4:5], off
	s_mov_b32 s26, 0
	s_mov_b32 s27, -1
	s_wait_loadcnt 0x0
	v_lshlrev_b32_e32 v3, 23, v1
	v_cmp_ne_u32_e32 vcc_lo, 0, v1
	s_delay_alu instid0(VALU_DEP_2) | instskip(NEXT) | instid1(VALU_DEP_1)
	v_trunc_f32_e32 v3, v3
	v_mul_f32_e64 v6, 0x2f800000, |v3|
	s_delay_alu instid0(VALU_DEP_1) | instskip(SKIP_1) | instid1(VALU_DEP_2)
	v_floor_f32_e32 v7, v6
	v_ashrrev_i32_e32 v6, 31, v3
	v_fma_f32 v8, 0xcf800000, v7, |v3|
	v_cvt_u32_f32_e32 v3, v7
	s_delay_alu instid0(VALU_DEP_3) | instskip(NEXT) | instid1(VALU_DEP_3)
	v_mov_b32_e32 v7, v6
	v_cvt_u32_f32_e32 v8, v8
	s_delay_alu instid0(VALU_DEP_3) | instskip(NEXT) | instid1(VALU_DEP_2)
	v_xor_b32_e32 v9, v3, v6
	v_xor_b32_e32 v8, v8, v6
	s_delay_alu instid0(VALU_DEP_1) | instskip(NEXT) | instid1(VALU_DEP_1)
	v_sub_nc_u64_e32 v[6:7], v[8:9], v[6:7]
	v_dual_cndmask_b32 v7, 0, v7 :: v_dual_cndmask_b32 v6, 0, v6
	s_branch .LBB79_288
.LBB79_287:
	s_mov_b32 s26, -1
                                        ; implicit-def: $vgpr6_vgpr7
.LBB79_288:
	s_mov_b32 s28, 0
.LBB79_289:
	s_delay_alu instid0(SALU_CYCLE_1)
	s_and_b32 vcc_lo, exec_lo, s28
	s_cbranch_vccz .LBB79_293
; %bb.290:
	s_cmp_eq_u32 s0, 29
	s_cbranch_scc0 .LBB79_292
; %bb.291:
	s_wait_loadcnt 0x0
	global_load_b64 v[6:7], v[4:5], off
	s_mov_b32 s27, -1
	s_mov_b32 s26, 0
	s_branch .LBB79_293
.LBB79_292:
	s_mov_b32 s26, -1
                                        ; implicit-def: $vgpr6_vgpr7
.LBB79_293:
	s_mov_b32 s28, 0
.LBB79_294:
	s_delay_alu instid0(SALU_CYCLE_1)
	s_and_b32 vcc_lo, exec_lo, s28
	s_cbranch_vccz .LBB79_310
; %bb.295:
	s_cmp_lt_i32 s0, 27
	s_cbranch_scc1 .LBB79_298
; %bb.296:
	s_cmp_gt_i32 s0, 27
	s_cbranch_scc0 .LBB79_299
; %bb.297:
	s_wait_loadcnt 0x0
	global_load_b32 v6, v[4:5], off
	v_mov_b32_e32 v7, 0
	s_mov_b32 s27, 0
	s_branch .LBB79_300
.LBB79_298:
	s_mov_b32 s27, -1
                                        ; implicit-def: $vgpr6_vgpr7
	s_branch .LBB79_303
.LBB79_299:
	s_mov_b32 s27, -1
                                        ; implicit-def: $vgpr6_vgpr7
.LBB79_300:
	s_delay_alu instid0(SALU_CYCLE_1)
	s_and_not1_b32 vcc_lo, exec_lo, s27
	s_cbranch_vccnz .LBB79_302
; %bb.301:
	global_load_u16 v1, v[4:5], off
	s_mov_b32 s27, 0
	s_wait_loadcnt 0x1
	v_mov_b32_e32 v7, s27
	s_wait_loadcnt 0x0
	v_and_b32_e32 v6, 0xffff, v1
.LBB79_302:
	s_mov_b32 s27, 0
.LBB79_303:
	s_delay_alu instid0(SALU_CYCLE_1)
	s_and_not1_b32 vcc_lo, exec_lo, s27
	s_cbranch_vccnz .LBB79_309
; %bb.304:
	global_load_u8 v1, v[4:5], off
	s_mov_b32 s28, 0
	s_mov_b32 s27, exec_lo
	s_wait_loadcnt 0x0
	v_cmpx_lt_i16_e32 0x7f, v1
	s_xor_b32 s27, exec_lo, s27
	s_cbranch_execz .LBB79_321
; %bb.305:
	v_cmp_ne_u16_e32 vcc_lo, 0x80, v1
	s_and_b32 s28, vcc_lo, exec_lo
	s_and_not1_saveexec_b32 s27, s27
	s_cbranch_execnz .LBB79_322
.LBB79_306:
	s_or_b32 exec_lo, exec_lo, s27
	v_mov_b64_e32 v[6:7], 0
	s_and_saveexec_b32 s27, s28
	s_cbranch_execz .LBB79_308
.LBB79_307:
	v_and_b32_e32 v3, 0xffff, v1
	s_delay_alu instid0(VALU_DEP_1) | instskip(SKIP_1) | instid1(VALU_DEP_2)
	v_dual_lshlrev_b32 v1, 24, v1 :: v_dual_bitop2_b32 v6, 7, v3 bitop3:0x40
	v_bfe_u32 v9, v3, 3, 4
	v_and_b32_e32 v1, 0x80000000, v1
	s_delay_alu instid0(VALU_DEP_3) | instskip(NEXT) | instid1(VALU_DEP_3)
	v_clz_i32_u32_e32 v7, v6
	v_cmp_eq_u32_e32 vcc_lo, 0, v9
	s_delay_alu instid0(VALU_DEP_2) | instskip(NEXT) | instid1(VALU_DEP_1)
	v_min_u32_e32 v7, 32, v7
	v_subrev_nc_u32_e32 v8, 28, v7
	v_sub_nc_u32_e32 v7, 29, v7
	s_delay_alu instid0(VALU_DEP_2) | instskip(NEXT) | instid1(VALU_DEP_2)
	v_lshlrev_b32_e32 v3, v8, v3
	v_cndmask_b32_e32 v7, v9, v7, vcc_lo
	s_delay_alu instid0(VALU_DEP_2) | instskip(NEXT) | instid1(VALU_DEP_1)
	v_and_b32_e32 v3, 7, v3
	v_cndmask_b32_e32 v3, v6, v3, vcc_lo
	s_delay_alu instid0(VALU_DEP_3) | instskip(NEXT) | instid1(VALU_DEP_2)
	v_lshl_add_u32 v6, v7, 23, 0x3b800000
	v_lshlrev_b32_e32 v3, 20, v3
	s_delay_alu instid0(VALU_DEP_1) | instskip(NEXT) | instid1(VALU_DEP_1)
	v_or3_b32 v1, v1, v6, v3
	v_trunc_f32_e32 v1, v1
	s_delay_alu instid0(VALU_DEP_1) | instskip(SKIP_1) | instid1(VALU_DEP_2)
	v_mul_f32_e64 v3, 0x2f800000, |v1|
	v_ashrrev_i32_e32 v6, 31, v1
	v_floor_f32_e32 v3, v3
	s_delay_alu instid0(VALU_DEP_1) | instskip(SKIP_1) | instid1(VALU_DEP_2)
	v_fma_f32 v7, 0xcf800000, v3, |v1|
	v_cvt_u32_f32_e32 v1, v3
	v_cvt_u32_f32_e32 v3, v7
	s_delay_alu instid0(VALU_DEP_2) | instskip(NEXT) | instid1(VALU_DEP_2)
	v_dual_mov_b32 v7, v6 :: v_dual_bitop2_b32 v9, v1, v6 bitop3:0x14
	v_xor_b32_e32 v8, v3, v6
	s_delay_alu instid0(VALU_DEP_1)
	v_sub_nc_u64_e32 v[6:7], v[8:9], v[6:7]
.LBB79_308:
	s_or_b32 exec_lo, exec_lo, s27
.LBB79_309:
	s_mov_b32 s27, -1
.LBB79_310:
	s_mov_b32 s28, 0
.LBB79_311:
	s_delay_alu instid0(SALU_CYCLE_1)
	s_and_b32 vcc_lo, exec_lo, s28
	s_cbranch_vccz .LBB79_344
; %bb.312:
	s_cmp_gt_i32 s0, 22
	s_cbranch_scc0 .LBB79_320
; %bb.313:
	s_cmp_lt_i32 s0, 24
	s_cbranch_scc1 .LBB79_323
; %bb.314:
	s_cmp_gt_i32 s0, 24
	s_cbranch_scc0 .LBB79_324
; %bb.315:
	global_load_u8 v1, v[4:5], off
	s_mov_b32 s28, 0
	s_mov_b32 s27, exec_lo
	s_wait_loadcnt 0x0
	v_cmpx_lt_i16_e32 0x7f, v1
	s_xor_b32 s27, exec_lo, s27
	s_cbranch_execz .LBB79_336
; %bb.316:
	v_cmp_ne_u16_e32 vcc_lo, 0x80, v1
	s_and_b32 s28, vcc_lo, exec_lo
	s_and_not1_saveexec_b32 s27, s27
	s_cbranch_execnz .LBB79_337
.LBB79_317:
	s_or_b32 exec_lo, exec_lo, s27
	v_mov_b64_e32 v[6:7], 0
	s_and_saveexec_b32 s27, s28
	s_cbranch_execz .LBB79_319
.LBB79_318:
	v_and_b32_e32 v3, 0xffff, v1
	s_delay_alu instid0(VALU_DEP_1) | instskip(SKIP_1) | instid1(VALU_DEP_2)
	v_dual_lshlrev_b32 v1, 24, v1 :: v_dual_bitop2_b32 v6, 3, v3 bitop3:0x40
	v_bfe_u32 v9, v3, 2, 5
	v_and_b32_e32 v1, 0x80000000, v1
	s_delay_alu instid0(VALU_DEP_3) | instskip(NEXT) | instid1(VALU_DEP_3)
	v_clz_i32_u32_e32 v7, v6
	v_cmp_eq_u32_e32 vcc_lo, 0, v9
	s_delay_alu instid0(VALU_DEP_2) | instskip(NEXT) | instid1(VALU_DEP_1)
	v_min_u32_e32 v7, 32, v7
	v_subrev_nc_u32_e32 v8, 29, v7
	v_sub_nc_u32_e32 v7, 30, v7
	s_delay_alu instid0(VALU_DEP_2) | instskip(NEXT) | instid1(VALU_DEP_2)
	v_lshlrev_b32_e32 v3, v8, v3
	v_cndmask_b32_e32 v7, v9, v7, vcc_lo
	s_delay_alu instid0(VALU_DEP_2) | instskip(NEXT) | instid1(VALU_DEP_1)
	v_and_b32_e32 v3, 3, v3
	v_cndmask_b32_e32 v3, v6, v3, vcc_lo
	s_delay_alu instid0(VALU_DEP_3) | instskip(NEXT) | instid1(VALU_DEP_2)
	v_lshl_add_u32 v6, v7, 23, 0x37800000
	v_lshlrev_b32_e32 v3, 21, v3
	s_delay_alu instid0(VALU_DEP_1) | instskip(NEXT) | instid1(VALU_DEP_1)
	v_or3_b32 v1, v1, v6, v3
	v_trunc_f32_e32 v1, v1
	s_delay_alu instid0(VALU_DEP_1) | instskip(SKIP_1) | instid1(VALU_DEP_2)
	v_mul_f32_e64 v3, 0x2f800000, |v1|
	v_ashrrev_i32_e32 v6, 31, v1
	v_floor_f32_e32 v3, v3
	s_delay_alu instid0(VALU_DEP_1) | instskip(SKIP_1) | instid1(VALU_DEP_2)
	v_fma_f32 v7, 0xcf800000, v3, |v1|
	v_cvt_u32_f32_e32 v1, v3
	v_cvt_u32_f32_e32 v3, v7
	s_delay_alu instid0(VALU_DEP_2) | instskip(NEXT) | instid1(VALU_DEP_2)
	v_dual_mov_b32 v7, v6 :: v_dual_bitop2_b32 v9, v1, v6 bitop3:0x14
	v_xor_b32_e32 v8, v3, v6
	s_delay_alu instid0(VALU_DEP_1)
	v_sub_nc_u64_e32 v[6:7], v[8:9], v[6:7]
.LBB79_319:
	s_or_b32 exec_lo, exec_lo, s27
	s_mov_b32 s27, 0
	s_branch .LBB79_325
.LBB79_320:
	s_mov_b32 s28, -1
                                        ; implicit-def: $vgpr6_vgpr7
	s_branch .LBB79_331
.LBB79_321:
	s_and_not1_saveexec_b32 s27, s27
	s_cbranch_execz .LBB79_306
.LBB79_322:
	v_cmp_ne_u16_e32 vcc_lo, 0, v1
	s_and_not1_b32 s28, s28, exec_lo
	s_and_b32 s29, vcc_lo, exec_lo
	s_delay_alu instid0(SALU_CYCLE_1)
	s_or_b32 s28, s28, s29
	s_or_b32 exec_lo, exec_lo, s27
	v_mov_b64_e32 v[6:7], 0
	s_and_saveexec_b32 s27, s28
	s_cbranch_execnz .LBB79_307
	s_branch .LBB79_308
.LBB79_323:
	s_mov_b32 s27, -1
                                        ; implicit-def: $vgpr6_vgpr7
	s_branch .LBB79_328
.LBB79_324:
	s_mov_b32 s27, -1
                                        ; implicit-def: $vgpr6_vgpr7
.LBB79_325:
	s_delay_alu instid0(SALU_CYCLE_1)
	s_and_b32 vcc_lo, exec_lo, s27
	s_cbranch_vccz .LBB79_327
; %bb.326:
	global_load_u8 v1, v[4:5], off
	s_wait_loadcnt 0x0
	v_lshlrev_b32_e32 v1, 24, v1
	s_delay_alu instid0(VALU_DEP_1) | instskip(NEXT) | instid1(VALU_DEP_1)
	v_and_b32_e32 v3, 0x7f000000, v1
	v_clz_i32_u32_e32 v6, v3
	v_cmp_ne_u32_e32 vcc_lo, 0, v3
	v_add_nc_u32_e32 v8, 0x1000000, v3
	s_delay_alu instid0(VALU_DEP_3) | instskip(NEXT) | instid1(VALU_DEP_1)
	v_min_u32_e32 v6, 32, v6
	v_sub_nc_u32_e64 v6, v6, 4 clamp
	s_delay_alu instid0(VALU_DEP_1) | instskip(NEXT) | instid1(VALU_DEP_1)
	v_dual_lshlrev_b32 v7, v6, v3 :: v_dual_lshlrev_b32 v6, 23, v6
	v_lshrrev_b32_e32 v7, 4, v7
	s_delay_alu instid0(VALU_DEP_1) | instskip(NEXT) | instid1(VALU_DEP_1)
	v_dual_sub_nc_u32 v6, v7, v6 :: v_dual_ashrrev_i32 v7, 8, v8
	v_add_nc_u32_e32 v6, 0x3c000000, v6
	s_delay_alu instid0(VALU_DEP_1) | instskip(NEXT) | instid1(VALU_DEP_1)
	v_and_or_b32 v6, 0x7f800000, v7, v6
	v_cndmask_b32_e32 v3, 0, v6, vcc_lo
	s_delay_alu instid0(VALU_DEP_1) | instskip(NEXT) | instid1(VALU_DEP_1)
	v_and_or_b32 v1, 0x80000000, v1, v3
	v_trunc_f32_e32 v1, v1
	s_delay_alu instid0(VALU_DEP_1) | instskip(SKIP_1) | instid1(VALU_DEP_2)
	v_mul_f32_e64 v3, 0x2f800000, |v1|
	v_ashrrev_i32_e32 v6, 31, v1
	v_floor_f32_e32 v3, v3
	s_delay_alu instid0(VALU_DEP_1) | instskip(SKIP_1) | instid1(VALU_DEP_2)
	v_fma_f32 v7, 0xcf800000, v3, |v1|
	v_cvt_u32_f32_e32 v1, v3
	v_cvt_u32_f32_e32 v3, v7
	s_delay_alu instid0(VALU_DEP_2) | instskip(NEXT) | instid1(VALU_DEP_2)
	v_dual_mov_b32 v7, v6 :: v_dual_bitop2_b32 v9, v1, v6 bitop3:0x14
	v_xor_b32_e32 v8, v3, v6
	s_delay_alu instid0(VALU_DEP_1)
	v_sub_nc_u64_e32 v[6:7], v[8:9], v[6:7]
.LBB79_327:
	s_mov_b32 s27, 0
.LBB79_328:
	s_delay_alu instid0(SALU_CYCLE_1)
	s_and_not1_b32 vcc_lo, exec_lo, s27
	s_cbranch_vccnz .LBB79_330
; %bb.329:
	global_load_u8 v1, v[4:5], off
	s_wait_loadcnt 0x0
	v_lshlrev_b32_e32 v3, 25, v1
	v_lshlrev_b16 v1, 8, v1
	s_delay_alu instid0(VALU_DEP_1) | instskip(SKIP_1) | instid1(VALU_DEP_2)
	v_and_or_b32 v7, 0x7f00, v1, 0.5
	v_bfe_i32 v1, v1, 0, 16
	v_add_f32_e32 v7, -0.5, v7
	v_lshrrev_b32_e32 v6, 4, v3
	v_cmp_gt_u32_e32 vcc_lo, 0x8000000, v3
	s_delay_alu instid0(VALU_DEP_2) | instskip(NEXT) | instid1(VALU_DEP_1)
	v_or_b32_e32 v6, 0x70000000, v6
	v_mul_f32_e32 v6, 0x7800000, v6
	s_delay_alu instid0(VALU_DEP_1) | instskip(NEXT) | instid1(VALU_DEP_1)
	v_cndmask_b32_e32 v3, v6, v7, vcc_lo
	v_and_or_b32 v1, 0x80000000, v1, v3
	s_delay_alu instid0(VALU_DEP_1) | instskip(NEXT) | instid1(VALU_DEP_1)
	v_trunc_f32_e32 v1, v1
	v_mul_f32_e64 v3, 0x2f800000, |v1|
	v_ashrrev_i32_e32 v6, 31, v1
	s_delay_alu instid0(VALU_DEP_2) | instskip(NEXT) | instid1(VALU_DEP_1)
	v_floor_f32_e32 v3, v3
	v_fma_f32 v7, 0xcf800000, v3, |v1|
	v_cvt_u32_f32_e32 v1, v3
	s_delay_alu instid0(VALU_DEP_2) | instskip(NEXT) | instid1(VALU_DEP_2)
	v_cvt_u32_f32_e32 v3, v7
	v_dual_mov_b32 v7, v6 :: v_dual_bitop2_b32 v9, v1, v6 bitop3:0x14
	s_delay_alu instid0(VALU_DEP_2) | instskip(NEXT) | instid1(VALU_DEP_1)
	v_xor_b32_e32 v8, v3, v6
	v_sub_nc_u64_e32 v[6:7], v[8:9], v[6:7]
.LBB79_330:
	s_mov_b32 s28, 0
	s_mov_b32 s27, -1
.LBB79_331:
	s_and_not1_b32 vcc_lo, exec_lo, s28
	s_cbranch_vccnz .LBB79_344
; %bb.332:
	s_cmp_gt_i32 s0, 14
	s_cbranch_scc0 .LBB79_335
; %bb.333:
	s_cmp_eq_u32 s0, 15
	s_cbranch_scc0 .LBB79_338
; %bb.334:
	global_load_u16 v1, v[4:5], off
	s_mov_b32 s27, -1
	s_mov_b32 s26, 0
	s_wait_loadcnt 0x0
	v_lshlrev_b32_e32 v1, 16, v1
	s_delay_alu instid0(VALU_DEP_1) | instskip(NEXT) | instid1(VALU_DEP_1)
	v_trunc_f32_e32 v1, v1
	v_mul_f32_e64 v3, 0x2f800000, |v1|
	v_ashrrev_i32_e32 v6, 31, v1
	s_delay_alu instid0(VALU_DEP_2) | instskip(NEXT) | instid1(VALU_DEP_1)
	v_floor_f32_e32 v3, v3
	v_fma_f32 v7, 0xcf800000, v3, |v1|
	v_cvt_u32_f32_e32 v1, v3
	s_delay_alu instid0(VALU_DEP_2) | instskip(NEXT) | instid1(VALU_DEP_2)
	v_cvt_u32_f32_e32 v3, v7
	v_dual_mov_b32 v7, v6 :: v_dual_bitop2_b32 v9, v1, v6 bitop3:0x14
	s_delay_alu instid0(VALU_DEP_2) | instskip(NEXT) | instid1(VALU_DEP_1)
	v_xor_b32_e32 v8, v3, v6
	v_sub_nc_u64_e32 v[6:7], v[8:9], v[6:7]
	s_branch .LBB79_339
.LBB79_335:
	s_mov_b32 s28, -1
                                        ; implicit-def: $vgpr6_vgpr7
	s_branch .LBB79_340
.LBB79_336:
	s_and_not1_saveexec_b32 s27, s27
	s_cbranch_execz .LBB79_317
.LBB79_337:
	v_cmp_ne_u16_e32 vcc_lo, 0, v1
	s_and_not1_b32 s28, s28, exec_lo
	s_and_b32 s29, vcc_lo, exec_lo
	s_delay_alu instid0(SALU_CYCLE_1)
	s_or_b32 s28, s28, s29
	s_or_b32 exec_lo, exec_lo, s27
	v_mov_b64_e32 v[6:7], 0
	s_and_saveexec_b32 s27, s28
	s_cbranch_execnz .LBB79_318
	s_branch .LBB79_319
.LBB79_338:
	s_mov_b32 s26, -1
                                        ; implicit-def: $vgpr6_vgpr7
.LBB79_339:
	s_mov_b32 s28, 0
.LBB79_340:
	s_delay_alu instid0(SALU_CYCLE_1)
	s_and_b32 vcc_lo, exec_lo, s28
	s_cbranch_vccz .LBB79_344
; %bb.341:
	s_cmp_eq_u32 s0, 11
	s_cbranch_scc0 .LBB79_343
; %bb.342:
	global_load_u8 v1, v[4:5], off
	s_mov_b32 s26, 0
	s_mov_b32 s27, -1
	s_wait_loadcnt 0x1
	v_mov_b32_e32 v7, s26
	s_wait_loadcnt 0x0
	v_cmp_ne_u16_e32 vcc_lo, 0, v1
	v_cndmask_b32_e64 v6, 0, 1, vcc_lo
	s_branch .LBB79_344
.LBB79_343:
	s_mov_b32 s26, -1
                                        ; implicit-def: $vgpr6_vgpr7
.LBB79_344:
	s_branch .LBB79_265
.LBB79_345:
	s_cmp_lt_i32 s0, 5
	s_cbranch_scc1 .LBB79_350
; %bb.346:
	s_cmp_lt_i32 s0, 8
	s_cbranch_scc1 .LBB79_351
; %bb.347:
	;; [unrolled: 3-line block ×3, first 2 shown]
	s_cmp_gt_i32 s0, 9
	s_cbranch_scc0 .LBB79_353
; %bb.349:
	s_wait_loadcnt 0x0
	global_load_b64 v[6:7], v[4:5], off
	s_mov_b32 s27, 0
	s_wait_loadcnt 0x0
	v_trunc_f64_e32 v[6:7], v[6:7]
	s_delay_alu instid0(VALU_DEP_1) | instskip(NEXT) | instid1(VALU_DEP_1)
	v_ldexp_f64 v[8:9], v[6:7], 0xffffffe0
	v_floor_f64_e32 v[8:9], v[8:9]
	s_delay_alu instid0(VALU_DEP_1) | instskip(SKIP_1) | instid1(VALU_DEP_2)
	v_fmamk_f64 v[10:11], v[8:9], 0xc1f00000, v[6:7]
	v_cvt_i32_f64_e32 v7, v[8:9]
	v_cvt_u32_f64_e32 v6, v[10:11]
	s_branch .LBB79_354
.LBB79_350:
	s_mov_b32 s27, -1
                                        ; implicit-def: $vgpr6_vgpr7
	s_branch .LBB79_372
.LBB79_351:
	s_mov_b32 s27, -1
                                        ; implicit-def: $vgpr6_vgpr7
	s_branch .LBB79_360
.LBB79_352:
	s_mov_b32 s27, -1
                                        ; implicit-def: $vgpr6_vgpr7
	s_branch .LBB79_357
.LBB79_353:
	s_mov_b32 s27, -1
                                        ; implicit-def: $vgpr6_vgpr7
.LBB79_354:
	s_delay_alu instid0(SALU_CYCLE_1)
	s_and_not1_b32 vcc_lo, exec_lo, s27
	s_cbranch_vccnz .LBB79_356
; %bb.355:
	global_load_b32 v1, v[4:5], off
	s_wait_loadcnt 0x0
	v_trunc_f32_e32 v1, v1
	s_delay_alu instid0(VALU_DEP_1) | instskip(SKIP_1) | instid1(VALU_DEP_2)
	v_mul_f32_e64 v3, 0x2f800000, |v1|
	v_ashrrev_i32_e32 v6, 31, v1
	v_floor_f32_e32 v3, v3
	s_delay_alu instid0(VALU_DEP_1) | instskip(SKIP_1) | instid1(VALU_DEP_2)
	v_fma_f32 v7, 0xcf800000, v3, |v1|
	v_cvt_u32_f32_e32 v1, v3
	v_cvt_u32_f32_e32 v3, v7
	s_delay_alu instid0(VALU_DEP_2) | instskip(NEXT) | instid1(VALU_DEP_2)
	v_dual_mov_b32 v7, v6 :: v_dual_bitop2_b32 v9, v1, v6 bitop3:0x14
	v_xor_b32_e32 v8, v3, v6
	s_delay_alu instid0(VALU_DEP_1)
	v_sub_nc_u64_e32 v[6:7], v[8:9], v[6:7]
.LBB79_356:
	s_mov_b32 s27, 0
.LBB79_357:
	s_delay_alu instid0(SALU_CYCLE_1)
	s_and_not1_b32 vcc_lo, exec_lo, s27
	s_cbranch_vccnz .LBB79_359
; %bb.358:
	global_load_b32 v1, v[4:5], off
	s_wait_loadcnt 0x0
	v_cvt_f32_f16_e32 v1, v1
	s_delay_alu instid0(VALU_DEP_1) | instskip(NEXT) | instid1(VALU_DEP_1)
	v_cvt_i32_f32_e32 v6, v1
	v_ashrrev_i32_e32 v7, 31, v6
.LBB79_359:
	s_mov_b32 s27, 0
.LBB79_360:
	s_delay_alu instid0(SALU_CYCLE_1)
	s_and_not1_b32 vcc_lo, exec_lo, s27
	s_cbranch_vccnz .LBB79_371
; %bb.361:
	s_cmp_lt_i32 s0, 6
	s_cbranch_scc1 .LBB79_364
; %bb.362:
	s_cmp_gt_i32 s0, 6
	s_cbranch_scc0 .LBB79_365
; %bb.363:
	s_wait_loadcnt 0x0
	global_load_b64 v[6:7], v[4:5], off
	s_mov_b32 s27, 0
	s_wait_loadcnt 0x0
	v_trunc_f64_e32 v[6:7], v[6:7]
	s_delay_alu instid0(VALU_DEP_1) | instskip(NEXT) | instid1(VALU_DEP_1)
	v_ldexp_f64 v[8:9], v[6:7], 0xffffffe0
	v_floor_f64_e32 v[8:9], v[8:9]
	s_delay_alu instid0(VALU_DEP_1) | instskip(SKIP_1) | instid1(VALU_DEP_2)
	v_fmamk_f64 v[10:11], v[8:9], 0xc1f00000, v[6:7]
	v_cvt_i32_f64_e32 v7, v[8:9]
	v_cvt_u32_f64_e32 v6, v[10:11]
	s_branch .LBB79_366
.LBB79_364:
	s_mov_b32 s27, -1
                                        ; implicit-def: $vgpr6_vgpr7
	s_branch .LBB79_369
.LBB79_365:
	s_mov_b32 s27, -1
                                        ; implicit-def: $vgpr6_vgpr7
.LBB79_366:
	s_delay_alu instid0(SALU_CYCLE_1)
	s_and_not1_b32 vcc_lo, exec_lo, s27
	s_cbranch_vccnz .LBB79_368
; %bb.367:
	global_load_b32 v1, v[4:5], off
	s_wait_loadcnt 0x0
	v_trunc_f32_e32 v1, v1
	s_delay_alu instid0(VALU_DEP_1) | instskip(SKIP_1) | instid1(VALU_DEP_2)
	v_mul_f32_e64 v3, 0x2f800000, |v1|
	v_ashrrev_i32_e32 v6, 31, v1
	v_floor_f32_e32 v3, v3
	s_delay_alu instid0(VALU_DEP_1) | instskip(SKIP_1) | instid1(VALU_DEP_2)
	v_fma_f32 v7, 0xcf800000, v3, |v1|
	v_cvt_u32_f32_e32 v1, v3
	v_cvt_u32_f32_e32 v3, v7
	s_delay_alu instid0(VALU_DEP_2) | instskip(NEXT) | instid1(VALU_DEP_2)
	v_dual_mov_b32 v7, v6 :: v_dual_bitop2_b32 v9, v1, v6 bitop3:0x14
	v_xor_b32_e32 v8, v3, v6
	s_delay_alu instid0(VALU_DEP_1)
	v_sub_nc_u64_e32 v[6:7], v[8:9], v[6:7]
.LBB79_368:
	s_mov_b32 s27, 0
.LBB79_369:
	s_delay_alu instid0(SALU_CYCLE_1)
	s_and_not1_b32 vcc_lo, exec_lo, s27
	s_cbranch_vccnz .LBB79_371
; %bb.370:
	global_load_u16 v1, v[4:5], off
	s_wait_loadcnt 0x0
	v_cvt_f32_f16_e32 v1, v1
	s_delay_alu instid0(VALU_DEP_1) | instskip(NEXT) | instid1(VALU_DEP_1)
	v_cvt_i32_f32_e32 v6, v1
	v_ashrrev_i32_e32 v7, 31, v6
.LBB79_371:
	s_mov_b32 s27, 0
.LBB79_372:
	s_delay_alu instid0(SALU_CYCLE_1)
	s_and_not1_b32 vcc_lo, exec_lo, s27
	s_cbranch_vccnz .LBB79_392
; %bb.373:
	s_cmp_lt_i32 s0, 2
	s_cbranch_scc1 .LBB79_377
; %bb.374:
	s_cmp_lt_i32 s0, 3
	s_cbranch_scc1 .LBB79_378
; %bb.375:
	s_cmp_gt_i32 s0, 3
	s_cbranch_scc0 .LBB79_379
; %bb.376:
	s_wait_loadcnt 0x0
	global_load_b64 v[6:7], v[4:5], off
	s_mov_b32 s27, 0
	s_branch .LBB79_380
.LBB79_377:
	s_mov_b32 s27, -1
                                        ; implicit-def: $vgpr6_vgpr7
	s_branch .LBB79_386
.LBB79_378:
	s_mov_b32 s27, -1
                                        ; implicit-def: $vgpr6_vgpr7
	s_branch .LBB79_383
.LBB79_379:
	s_mov_b32 s27, -1
                                        ; implicit-def: $vgpr6_vgpr7
.LBB79_380:
	s_delay_alu instid0(SALU_CYCLE_1)
	s_and_not1_b32 vcc_lo, exec_lo, s27
	s_cbranch_vccnz .LBB79_382
; %bb.381:
	s_wait_loadcnt 0x0
	global_load_b32 v6, v[4:5], off
	s_wait_loadcnt 0x0
	v_ashrrev_i32_e32 v7, 31, v6
.LBB79_382:
	s_mov_b32 s27, 0
.LBB79_383:
	s_delay_alu instid0(SALU_CYCLE_1)
	s_and_not1_b32 vcc_lo, exec_lo, s27
	s_cbranch_vccnz .LBB79_385
; %bb.384:
	global_load_u16 v1, v[4:5], off
	s_wait_loadcnt 0x0
	v_bfe_i32 v6, v1, 0, 16
	s_delay_alu instid0(VALU_DEP_1)
	v_ashrrev_i32_e32 v7, 31, v6
.LBB79_385:
	s_mov_b32 s27, 0
.LBB79_386:
	s_delay_alu instid0(SALU_CYCLE_1)
	s_and_not1_b32 vcc_lo, exec_lo, s27
	s_cbranch_vccnz .LBB79_392
; %bb.387:
	s_cmp_gt_i32 s0, 0
	s_mov_b32 s0, 0
	s_cbranch_scc0 .LBB79_389
; %bb.388:
	global_load_i8 v1, v[4:5], off
	s_wait_loadcnt 0x0
	v_bfe_i32 v6, v1, 0, 16
	s_delay_alu instid0(VALU_DEP_1)
	v_ashrrev_i32_e32 v7, 31, v6
	s_branch .LBB79_390
.LBB79_389:
	s_mov_b32 s0, -1
                                        ; implicit-def: $vgpr6_vgpr7
.LBB79_390:
	s_delay_alu instid0(SALU_CYCLE_1)
	s_and_not1_b32 vcc_lo, exec_lo, s0
	s_cbranch_vccnz .LBB79_392
; %bb.391:
	global_load_u8 v1, v[4:5], off
	s_mov_b32 s0, 0
	s_wait_loadcnt 0x1
	v_mov_b32_e32 v7, s0
	s_wait_loadcnt 0x0
	v_and_b32_e32 v6, 0xffff, v1
.LBB79_392:
	s_branch .LBB79_266
.LBB79_393:
	s_mov_b32 s27, 0
	s_mov_b32 s29, s44
	;; [unrolled: 1-line block ×3, first 2 shown]
                                        ; implicit-def: $vgpr0
	s_branch .LBB79_478
.LBB79_394:
	s_mov_b32 s31, -1
	s_mov_b32 s30, 0
	s_mov_b32 s27, s44
.LBB79_395:
	s_and_b32 vcc_lo, exec_lo, s31
	s_cbranch_vccz .LBB79_398
; %bb.396:
	s_cmp_eq_u32 s29, 44
	s_mov_b32 s27, -1
	s_cbranch_scc0 .LBB79_398
; %bb.397:
	s_wait_xcnt 0x0
	v_mov_b32_e32 v1, 0
	s_mov_b32 s30, -1
	s_mov_b32 s27, 0
	global_store_b8 v[2:3], v1, off
.LBB79_398:
	s_mov_b32 s31, 0
.LBB79_399:
	s_delay_alu instid0(SALU_CYCLE_1)
	s_and_b32 vcc_lo, exec_lo, s31
	s_cbranch_vccz .LBB79_402
; %bb.400:
	s_cmp_eq_u32 s29, 29
	s_mov_b32 s27, -1
	s_cbranch_scc0 .LBB79_402
; %bb.401:
	v_mov_b64_e32 v[4:5], 0
	s_mov_b32 s30, -1
	s_mov_b32 s27, 0
	s_mov_b32 s31, 0
	global_store_b64 v[2:3], v[4:5], off
	s_branch .LBB79_403
.LBB79_402:
	s_mov_b32 s31, 0
.LBB79_403:
	s_delay_alu instid0(SALU_CYCLE_1)
	s_and_b32 vcc_lo, exec_lo, s31
	s_cbranch_vccz .LBB79_413
; %bb.404:
	s_cmp_lt_i32 s29, 27
	s_mov_b32 s30, -1
	s_cbranch_scc1 .LBB79_410
; %bb.405:
	s_cmp_gt_i32 s29, 27
	s_cbranch_scc0 .LBB79_407
; %bb.406:
	s_wait_xcnt 0x0
	v_mov_b32_e32 v1, 0
	s_mov_b32 s30, 0
	global_store_b32 v[2:3], v1, off
.LBB79_407:
	s_and_not1_b32 vcc_lo, exec_lo, s30
	s_cbranch_vccnz .LBB79_409
; %bb.408:
	s_wait_xcnt 0x0
	v_mov_b32_e32 v1, 0
	global_store_b16 v[2:3], v1, off
.LBB79_409:
	s_mov_b32 s30, 0
.LBB79_410:
	s_delay_alu instid0(SALU_CYCLE_1)
	s_and_not1_b32 vcc_lo, exec_lo, s30
	s_cbranch_vccnz .LBB79_412
; %bb.411:
	s_wait_xcnt 0x0
	v_mov_b32_e32 v1, 0
	global_store_b8 v[2:3], v1, off
.LBB79_412:
	s_mov_b32 s30, -1
.LBB79_413:
	s_mov_b32 s31, 0
.LBB79_414:
	s_delay_alu instid0(SALU_CYCLE_1)
	s_and_b32 vcc_lo, exec_lo, s31
	s_cbranch_vccz .LBB79_433
; %bb.415:
	s_cmp_gt_i32 s29, 22
	s_mov_b32 s31, -1
	s_cbranch_scc0 .LBB79_425
; %bb.416:
	s_cmp_lt_i32 s29, 24
	s_mov_b32 s30, -1
	s_cbranch_scc1 .LBB79_422
; %bb.417:
	s_cmp_gt_i32 s29, 24
	s_cbranch_scc0 .LBB79_419
; %bb.418:
	s_wait_xcnt 0x0
	v_mov_b32_e32 v1, 0
	s_mov_b32 s30, 0
	global_store_b8 v[2:3], v1, off
.LBB79_419:
	s_and_not1_b32 vcc_lo, exec_lo, s30
	s_cbranch_vccnz .LBB79_421
; %bb.420:
	s_wait_xcnt 0x0
	v_mov_b32_e32 v1, 0
	global_store_b8 v[2:3], v1, off
.LBB79_421:
	s_mov_b32 s30, 0
.LBB79_422:
	s_delay_alu instid0(SALU_CYCLE_1)
	s_and_not1_b32 vcc_lo, exec_lo, s30
	s_cbranch_vccnz .LBB79_424
; %bb.423:
	s_wait_xcnt 0x0
	v_mov_b32_e32 v1, 0
	global_store_b8 v[2:3], v1, off
.LBB79_424:
	s_mov_b32 s31, 0
	s_mov_b32 s30, -1
.LBB79_425:
	s_and_not1_b32 vcc_lo, exec_lo, s31
	s_cbranch_vccnz .LBB79_433
; %bb.426:
	s_cmp_gt_i32 s29, 14
	s_mov_b32 s31, -1
	s_cbranch_scc0 .LBB79_430
; %bb.427:
	s_cmp_eq_u32 s29, 15
	s_mov_b32 s27, -1
	s_cbranch_scc0 .LBB79_429
; %bb.428:
	s_wait_xcnt 0x0
	v_mov_b32_e32 v1, 0
	s_mov_b32 s30, -1
	s_mov_b32 s27, 0
	global_store_b16 v[2:3], v1, off
.LBB79_429:
	s_mov_b32 s31, 0
.LBB79_430:
	s_delay_alu instid0(SALU_CYCLE_1)
	s_and_b32 vcc_lo, exec_lo, s31
	s_cbranch_vccz .LBB79_433
; %bb.431:
	s_cmp_eq_u32 s29, 11
	s_mov_b32 s27, -1
	s_cbranch_scc0 .LBB79_433
; %bb.432:
	s_wait_xcnt 0x0
	v_mov_b32_e32 v1, 0
	s_mov_b32 s30, -1
	s_mov_b32 s27, 0
	global_store_b8 v[2:3], v1, off
.LBB79_433:
	s_mov_b32 s29, 0
.LBB79_434:
	s_delay_alu instid0(SALU_CYCLE_1)
	s_and_b32 vcc_lo, exec_lo, s29
	s_cbranch_vccz .LBB79_473
; %bb.435:
	s_and_b32 s28, 0xffff, s28
	s_mov_b32 s29, -1
	s_cmp_lt_i32 s28, 5
	s_cbranch_scc1 .LBB79_456
; %bb.436:
	s_cmp_lt_i32 s28, 8
	s_cbranch_scc1 .LBB79_446
; %bb.437:
	;; [unrolled: 3-line block ×3, first 2 shown]
	s_cmp_gt_i32 s28, 9
	s_cbranch_scc0 .LBB79_440
; %bb.439:
	s_wait_xcnt 0x0
	v_mov_b32_e32 v4, 0
	s_mov_b32 s29, 0
	s_delay_alu instid0(VALU_DEP_1)
	v_dual_mov_b32 v5, v4 :: v_dual_mov_b32 v6, v4
	v_mov_b32_e32 v7, v4
	global_store_b128 v[2:3], v[4:7], off
.LBB79_440:
	s_and_not1_b32 vcc_lo, exec_lo, s29
	s_cbranch_vccnz .LBB79_442
; %bb.441:
	s_wait_xcnt 0x0
	v_mov_b64_e32 v[4:5], 0
	global_store_b64 v[2:3], v[4:5], off
.LBB79_442:
	s_mov_b32 s29, 0
.LBB79_443:
	s_delay_alu instid0(SALU_CYCLE_1)
	s_and_not1_b32 vcc_lo, exec_lo, s29
	s_cbranch_vccnz .LBB79_445
; %bb.444:
	s_wait_xcnt 0x0
	v_mov_b32_e32 v1, 0
	global_store_b32 v[2:3], v1, off
.LBB79_445:
	s_mov_b32 s29, 0
.LBB79_446:
	s_delay_alu instid0(SALU_CYCLE_1)
	s_and_not1_b32 vcc_lo, exec_lo, s29
	s_cbranch_vccnz .LBB79_455
; %bb.447:
	s_cmp_lt_i32 s28, 6
	s_mov_b32 s29, -1
	s_cbranch_scc1 .LBB79_453
; %bb.448:
	s_cmp_gt_i32 s28, 6
	s_cbranch_scc0 .LBB79_450
; %bb.449:
	s_wait_xcnt 0x0
	v_mov_b64_e32 v[4:5], 0
	s_mov_b32 s29, 0
	global_store_b64 v[2:3], v[4:5], off
.LBB79_450:
	s_and_not1_b32 vcc_lo, exec_lo, s29
	s_cbranch_vccnz .LBB79_452
; %bb.451:
	s_wait_xcnt 0x0
	v_mov_b32_e32 v1, 0
	global_store_b32 v[2:3], v1, off
.LBB79_452:
	s_mov_b32 s29, 0
.LBB79_453:
	s_delay_alu instid0(SALU_CYCLE_1)
	s_and_not1_b32 vcc_lo, exec_lo, s29
	s_cbranch_vccnz .LBB79_455
; %bb.454:
	s_wait_xcnt 0x0
	v_mov_b32_e32 v1, 0
	global_store_b16 v[2:3], v1, off
.LBB79_455:
	s_mov_b32 s29, 0
.LBB79_456:
	s_delay_alu instid0(SALU_CYCLE_1)
	s_and_not1_b32 vcc_lo, exec_lo, s29
	s_cbranch_vccnz .LBB79_472
; %bb.457:
	s_cmp_lt_i32 s28, 2
	s_mov_b32 s29, -1
	s_cbranch_scc1 .LBB79_467
; %bb.458:
	s_cmp_lt_i32 s28, 3
	s_cbranch_scc1 .LBB79_464
; %bb.459:
	s_cmp_gt_i32 s28, 3
	s_cbranch_scc0 .LBB79_461
; %bb.460:
	s_wait_xcnt 0x0
	v_mov_b64_e32 v[4:5], 0
	s_mov_b32 s29, 0
	global_store_b64 v[2:3], v[4:5], off
.LBB79_461:
	s_and_not1_b32 vcc_lo, exec_lo, s29
	s_cbranch_vccnz .LBB79_463
; %bb.462:
	s_wait_xcnt 0x0
	v_mov_b32_e32 v1, 0
	global_store_b32 v[2:3], v1, off
.LBB79_463:
	s_mov_b32 s29, 0
.LBB79_464:
	s_delay_alu instid0(SALU_CYCLE_1)
	s_and_not1_b32 vcc_lo, exec_lo, s29
	s_cbranch_vccnz .LBB79_466
; %bb.465:
	s_wait_xcnt 0x0
	v_mov_b32_e32 v1, 0
	global_store_b16 v[2:3], v1, off
.LBB79_466:
	s_mov_b32 s29, 0
.LBB79_467:
	s_delay_alu instid0(SALU_CYCLE_1)
	s_and_not1_b32 vcc_lo, exec_lo, s29
	s_cbranch_vccnz .LBB79_472
; %bb.468:
	s_cmp_gt_i32 s28, 0
	s_mov_b32 s28, -1
	s_cbranch_scc0 .LBB79_470
; %bb.469:
	s_wait_xcnt 0x0
	v_mov_b32_e32 v1, 0
	s_mov_b32 s28, 0
	global_store_b8 v[2:3], v1, off
.LBB79_470:
	s_and_not1_b32 vcc_lo, exec_lo, s28
	s_cbranch_vccnz .LBB79_472
; %bb.471:
	s_wait_xcnt 0x0
	v_mov_b32_e32 v1, 0
	global_store_b8 v[2:3], v1, off
.LBB79_472:
	s_mov_b32 s30, -1
.LBB79_473:
	s_delay_alu instid0(SALU_CYCLE_1)
	s_and_not1_b32 vcc_lo, exec_lo, s30
	s_cbranch_vccnz .LBB79_475
; %bb.474:
	v_add_nc_u32_e32 v0, 0x80, v0
	s_mov_b32 s30, -1
	s_branch .LBB79_476
.LBB79_475:
	s_mov_b32 s30, 0
                                        ; implicit-def: $vgpr0
.LBB79_476:
	s_and_not1_b32 s28, s44, exec_lo
	s_and_b32 s27, s27, exec_lo
	s_delay_alu instid0(SALU_CYCLE_1)
	s_or_b32 s29, s28, s27
	s_xor_b32 s28, exec_lo, -1
	s_and_b32 s27, s30, exec_lo
.LBB79_477:
	s_wait_xcnt 0x0
	s_or_b32 exec_lo, exec_lo, s0
.LBB79_478:
	s_delay_alu instid0(SALU_CYCLE_1)
	s_and_not1_b32 s0, s44, exec_lo
	s_and_b32 s29, s29, exec_lo
	s_and_b32 s28, s28, exec_lo
	s_or_b32 s49, s0, s29
	s_and_not1_b32 s0, s45, exec_lo
	s_and_not1_b32 s29, s46, exec_lo
	s_and_b32 s26, s26, exec_lo
	s_or_b32 s50, s0, s28
	s_or_b32 s48, s29, s26
	s_or_not1_b32 s0, s27, exec_lo
.LBB79_479:
	s_wait_xcnt 0x0
	s_or_b32 exec_lo, exec_lo, s51
	s_mov_b32 s26, 0
	s_mov_b32 s27, 0
	;; [unrolled: 1-line block ×3, first 2 shown]
                                        ; implicit-def: $vgpr4_vgpr5
                                        ; implicit-def: $vgpr2
                                        ; implicit-def: $vgpr6_vgpr7
	s_and_saveexec_b32 s51, s0
	s_cbranch_execz .LBB79_816
; %bb.480:
	s_mov_b32 s29, -1
	s_mov_b32 s0, s48
	s_mov_b32 s31, s50
	;; [unrolled: 1-line block ×3, first 2 shown]
	s_mov_b32 s52, exec_lo
	v_cmpx_gt_i32_e64 s41, v0
	s_cbranch_execz .LBB79_721
; %bb.481:
	s_and_not1_b32 vcc_lo, exec_lo, s36
	s_cbranch_vccnz .LBB79_487
; %bb.482:
	s_and_not1_b32 vcc_lo, exec_lo, s43
	s_cbranch_vccnz .LBB79_488
; %bb.483:
	s_add_co_i32 s0, s42, 1
	s_cmp_eq_u32 s34, 2
	s_cbranch_scc1 .LBB79_489
; %bb.484:
	v_dual_mov_b32 v2, 0 :: v_dual_mov_b32 v4, 0
	v_mov_b32_e32 v1, v0
	s_and_b32 s26, s0, 28
	s_mov_b64 s[28:29], s[2:3]
	s_mov_b64 s[30:31], s[24:25]
.LBB79_485:                             ; =>This Inner Loop Header: Depth=1
	s_clause 0x1
	s_load_b256 s[56:63], s[28:29], 0x4
	s_load_b128 s[72:75], s[28:29], 0x24
	s_load_b256 s[64:71], s[30:31], 0x0
	s_add_co_i32 s27, s27, 4
	s_wait_xcnt 0x0
	s_add_nc_u64 s[28:29], s[28:29], 48
	s_cmp_eq_u32 s26, s27
	s_add_nc_u64 s[30:31], s[30:31], 32
	s_wait_kmcnt 0x0
	v_mul_hi_u32 v3, s57, v1
	s_delay_alu instid0(VALU_DEP_1) | instskip(NEXT) | instid1(VALU_DEP_1)
	v_add_nc_u32_e32 v3, v1, v3
	v_lshrrev_b32_e32 v3, s58, v3
	s_delay_alu instid0(VALU_DEP_1) | instskip(NEXT) | instid1(VALU_DEP_1)
	v_mul_hi_u32 v5, s60, v3
	v_add_nc_u32_e32 v5, v3, v5
	s_delay_alu instid0(VALU_DEP_1) | instskip(SKIP_1) | instid1(VALU_DEP_1)
	v_lshrrev_b32_e32 v5, s61, v5
	s_wait_loadcnt 0x0
	v_mul_hi_u32 v6, s63, v5
	s_delay_alu instid0(VALU_DEP_1) | instskip(SKIP_1) | instid1(VALU_DEP_1)
	v_add_nc_u32_e32 v6, v5, v6
	v_mul_lo_u32 v7, v3, s56
	v_sub_nc_u32_e32 v1, v1, v7
	v_mul_lo_u32 v7, v5, s59
	s_delay_alu instid0(VALU_DEP_4) | instskip(NEXT) | instid1(VALU_DEP_3)
	v_lshrrev_b32_e32 v6, s72, v6
	v_mad_u32 v4, v1, s65, v4
	v_mad_u32 v1, v1, s64, v2
	s_delay_alu instid0(VALU_DEP_4) | instskip(NEXT) | instid1(VALU_DEP_4)
	v_sub_nc_u32_e32 v2, v3, v7
	v_mul_hi_u32 v8, s74, v6
	v_mul_lo_u32 v3, v6, s62
	s_delay_alu instid0(VALU_DEP_3) | instskip(SKIP_1) | instid1(VALU_DEP_3)
	v_mad_u32 v4, v2, s67, v4
	v_mad_u32 v2, v2, s66, v1
	v_dual_add_nc_u32 v7, v6, v8 :: v_dual_sub_nc_u32 v3, v5, v3
	s_delay_alu instid0(VALU_DEP_1) | instskip(NEXT) | instid1(VALU_DEP_2)
	v_lshrrev_b32_e32 v1, s75, v7
	v_mad_u32 v4, v3, s69, v4
	s_delay_alu instid0(VALU_DEP_4) | instskip(NEXT) | instid1(VALU_DEP_3)
	v_mad_u32 v2, v3, s68, v2
	v_mul_lo_u32 v5, v1, s73
	s_delay_alu instid0(VALU_DEP_1) | instskip(NEXT) | instid1(VALU_DEP_1)
	v_sub_nc_u32_e32 v3, v6, v5
	v_mad_u32 v4, v3, s71, v4
	s_delay_alu instid0(VALU_DEP_4)
	v_mad_u32 v2, v3, s70, v2
	s_cbranch_scc0 .LBB79_485
; %bb.486:
	s_delay_alu instid0(VALU_DEP_2)
	v_mov_b32_e32 v3, v4
	s_branch .LBB79_490
.LBB79_487:
	s_mov_b32 s0, -1
                                        ; implicit-def: $vgpr4
                                        ; implicit-def: $vgpr2
	s_branch .LBB79_495
.LBB79_488:
	v_dual_mov_b32 v4, 0 :: v_dual_mov_b32 v2, 0
	s_branch .LBB79_494
.LBB79_489:
	v_mov_b64_e32 v[2:3], 0
	v_mov_b32_e32 v1, v0
                                        ; implicit-def: $vgpr4
.LBB79_490:
	s_and_b32 s0, s0, 3
	s_mov_b32 s27, 0
	s_cmp_eq_u32 s0, 0
	s_cbranch_scc1 .LBB79_494
; %bb.491:
	s_lshl_b32 s28, s26, 3
	s_mov_b32 s29, s27
	s_mul_u64 s[30:31], s[26:27], 12
	s_add_nc_u64 s[28:29], s[2:3], s[28:29]
	s_delay_alu instid0(SALU_CYCLE_1)
	s_add_nc_u64 s[26:27], s[28:29], 0xc4
	s_add_nc_u64 s[28:29], s[2:3], s[30:31]
.LBB79_492:                             ; =>This Inner Loop Header: Depth=1
	s_load_b96 s[56:58], s[28:29], 0x4
	s_load_b64 s[30:31], s[26:27], 0x0
	s_add_co_i32 s0, s0, -1
	s_wait_xcnt 0x0
	s_add_nc_u64 s[28:29], s[28:29], 12
	s_cmp_lg_u32 s0, 0
	s_add_nc_u64 s[26:27], s[26:27], 8
	s_wait_kmcnt 0x0
	v_mul_hi_u32 v4, s57, v1
	s_delay_alu instid0(VALU_DEP_1) | instskip(NEXT) | instid1(VALU_DEP_1)
	v_add_nc_u32_e32 v4, v1, v4
	v_lshrrev_b32_e32 v4, s58, v4
	s_delay_alu instid0(VALU_DEP_1) | instskip(NEXT) | instid1(VALU_DEP_1)
	v_mul_lo_u32 v5, v4, s56
	v_sub_nc_u32_e32 v1, v1, v5
	s_delay_alu instid0(VALU_DEP_1)
	v_mad_u32 v3, v1, s31, v3
	v_mad_u32 v2, v1, s30, v2
	v_mov_b32_e32 v1, v4
	s_cbranch_scc1 .LBB79_492
; %bb.493:
	s_delay_alu instid0(VALU_DEP_3)
	v_mov_b32_e32 v4, v3
.LBB79_494:
	s_mov_b32 s0, 0
.LBB79_495:
	s_delay_alu instid0(SALU_CYCLE_1)
	s_and_not1_b32 vcc_lo, exec_lo, s0
	s_cbranch_vccnz .LBB79_498
; %bb.496:
	v_mov_b32_e32 v1, 0
	s_and_not1_b32 vcc_lo, exec_lo, s40
	s_delay_alu instid0(VALU_DEP_1) | instskip(NEXT) | instid1(VALU_DEP_1)
	v_mul_u64_e32 v[2:3], s[20:21], v[0:1]
	v_add_nc_u32_e32 v2, v0, v3
	s_wait_loadcnt 0x0
	s_delay_alu instid0(VALU_DEP_1) | instskip(NEXT) | instid1(VALU_DEP_1)
	v_lshrrev_b32_e32 v6, s14, v2
	v_mul_lo_u32 v2, v6, s12
	s_delay_alu instid0(VALU_DEP_1) | instskip(NEXT) | instid1(VALU_DEP_1)
	v_sub_nc_u32_e32 v2, v0, v2
	v_mul_lo_u32 v4, v2, s17
	v_mul_lo_u32 v2, v2, s16
	s_cbranch_vccnz .LBB79_498
; %bb.497:
	v_mov_b32_e32 v7, v1
	s_delay_alu instid0(VALU_DEP_1) | instskip(NEXT) | instid1(VALU_DEP_1)
	v_mul_u64_e32 v[8:9], s[22:23], v[6:7]
	v_add_nc_u32_e32 v1, v6, v9
	s_delay_alu instid0(VALU_DEP_1) | instskip(NEXT) | instid1(VALU_DEP_1)
	v_lshrrev_b32_e32 v1, s1, v1
	v_mul_lo_u32 v1, v1, s15
	s_delay_alu instid0(VALU_DEP_1) | instskip(NEXT) | instid1(VALU_DEP_1)
	v_sub_nc_u32_e32 v1, v6, v1
	v_mad_u32 v2, v1, s18, v2
	v_mad_u32 v4, v1, s19, v4
.LBB79_498:
	v_mov_b32_e32 v5, 0
	s_and_b32 s0, 0xffff, s39
	s_delay_alu instid0(SALU_CYCLE_1) | instskip(NEXT) | instid1(VALU_DEP_1)
	s_cmp_lt_i32 s0, 11
	v_add_nc_u64_e32 v[4:5], s[6:7], v[4:5]
	s_cbranch_scc1 .LBB79_505
; %bb.499:
	s_cmp_gt_i32 s0, 25
	s_cbranch_scc0 .LBB79_506
; %bb.500:
	s_cmp_gt_i32 s0, 28
	s_cbranch_scc0 .LBB79_507
	;; [unrolled: 3-line block ×4, first 2 shown]
; %bb.503:
	s_cmp_eq_u32 s0, 46
	s_mov_b32 s28, 0
	s_cbranch_scc0 .LBB79_510
; %bb.504:
	global_load_b32 v1, v[4:5], off
	s_mov_b32 s27, -1
	s_mov_b32 s26, 0
	s_wait_loadcnt 0x0
	v_lshlrev_b32_e32 v1, 16, v1
	s_delay_alu instid0(VALU_DEP_1) | instskip(NEXT) | instid1(VALU_DEP_1)
	v_trunc_f32_e32 v1, v1
	v_mul_f32_e64 v3, 0x2f800000, |v1|
	v_ashrrev_i32_e32 v6, 31, v1
	s_delay_alu instid0(VALU_DEP_2) | instskip(NEXT) | instid1(VALU_DEP_1)
	v_floor_f32_e32 v3, v3
	v_fma_f32 v7, 0xcf800000, v3, |v1|
	v_cvt_u32_f32_e32 v1, v3
	s_delay_alu instid0(VALU_DEP_2) | instskip(NEXT) | instid1(VALU_DEP_2)
	v_cvt_u32_f32_e32 v3, v7
	v_dual_mov_b32 v7, v6 :: v_dual_bitop2_b32 v9, v1, v6 bitop3:0x14
	s_delay_alu instid0(VALU_DEP_2) | instskip(NEXT) | instid1(VALU_DEP_1)
	v_xor_b32_e32 v8, v3, v6
	v_sub_nc_u64_e32 v[6:7], v[8:9], v[6:7]
	s_branch .LBB79_512
.LBB79_505:
	s_mov_b32 s28, -1
	s_mov_b32 s27, 0
	s_mov_b32 s26, s48
                                        ; implicit-def: $vgpr6_vgpr7
	s_branch .LBB79_573
.LBB79_506:
	s_mov_b32 s28, -1
	s_mov_b32 s27, 0
	s_mov_b32 s26, s48
                                        ; implicit-def: $vgpr6_vgpr7
	s_branch .LBB79_539
.LBB79_507:
	s_mov_b32 s28, -1
	s_mov_b32 s27, 0
	s_mov_b32 s26, s48
                                        ; implicit-def: $vgpr6_vgpr7
	s_branch .LBB79_522
.LBB79_508:
	s_mov_b32 s28, -1
	s_mov_b32 s27, 0
	s_mov_b32 s26, s48
                                        ; implicit-def: $vgpr6_vgpr7
	s_branch .LBB79_517
.LBB79_509:
	s_mov_b32 s28, -1
	s_mov_b32 s27, 0
	s_mov_b32 s26, s48
	s_branch .LBB79_511
.LBB79_510:
	s_mov_b32 s26, -1
	s_mov_b32 s27, 0
.LBB79_511:
                                        ; implicit-def: $vgpr6_vgpr7
.LBB79_512:
	s_and_b32 vcc_lo, exec_lo, s28
	s_cbranch_vccz .LBB79_516
; %bb.513:
	s_cmp_eq_u32 s0, 44
	s_cbranch_scc0 .LBB79_515
; %bb.514:
	global_load_u8 v1, v[4:5], off
	s_mov_b32 s26, 0
	s_mov_b32 s27, -1
	s_wait_loadcnt 0x0
	v_lshlrev_b32_e32 v3, 23, v1
	v_cmp_ne_u32_e32 vcc_lo, 0, v1
	s_delay_alu instid0(VALU_DEP_2) | instskip(NEXT) | instid1(VALU_DEP_1)
	v_trunc_f32_e32 v3, v3
	v_mul_f32_e64 v6, 0x2f800000, |v3|
	s_delay_alu instid0(VALU_DEP_1) | instskip(SKIP_1) | instid1(VALU_DEP_2)
	v_floor_f32_e32 v7, v6
	v_ashrrev_i32_e32 v6, 31, v3
	v_fma_f32 v8, 0xcf800000, v7, |v3|
	v_cvt_u32_f32_e32 v3, v7
	s_delay_alu instid0(VALU_DEP_3) | instskip(NEXT) | instid1(VALU_DEP_3)
	v_mov_b32_e32 v7, v6
	v_cvt_u32_f32_e32 v8, v8
	s_delay_alu instid0(VALU_DEP_3) | instskip(NEXT) | instid1(VALU_DEP_2)
	v_xor_b32_e32 v9, v3, v6
	v_xor_b32_e32 v8, v8, v6
	s_delay_alu instid0(VALU_DEP_1) | instskip(NEXT) | instid1(VALU_DEP_1)
	v_sub_nc_u64_e32 v[6:7], v[8:9], v[6:7]
	v_dual_cndmask_b32 v7, 0, v7 :: v_dual_cndmask_b32 v6, 0, v6
	s_branch .LBB79_516
.LBB79_515:
	s_mov_b32 s26, -1
                                        ; implicit-def: $vgpr6_vgpr7
.LBB79_516:
	s_mov_b32 s28, 0
.LBB79_517:
	s_delay_alu instid0(SALU_CYCLE_1)
	s_and_b32 vcc_lo, exec_lo, s28
	s_cbranch_vccz .LBB79_521
; %bb.518:
	s_cmp_eq_u32 s0, 29
	s_cbranch_scc0 .LBB79_520
; %bb.519:
	s_wait_loadcnt 0x0
	global_load_b64 v[6:7], v[4:5], off
	s_mov_b32 s27, -1
	s_mov_b32 s26, 0
	s_branch .LBB79_521
.LBB79_520:
	s_mov_b32 s26, -1
                                        ; implicit-def: $vgpr6_vgpr7
.LBB79_521:
	s_mov_b32 s28, 0
.LBB79_522:
	s_delay_alu instid0(SALU_CYCLE_1)
	s_and_b32 vcc_lo, exec_lo, s28
	s_cbranch_vccz .LBB79_538
; %bb.523:
	s_cmp_lt_i32 s0, 27
	s_cbranch_scc1 .LBB79_526
; %bb.524:
	s_cmp_gt_i32 s0, 27
	s_cbranch_scc0 .LBB79_527
; %bb.525:
	s_wait_loadcnt 0x0
	global_load_b32 v6, v[4:5], off
	v_mov_b32_e32 v7, 0
	s_mov_b32 s27, 0
	s_branch .LBB79_528
.LBB79_526:
	s_mov_b32 s27, -1
                                        ; implicit-def: $vgpr6_vgpr7
	s_branch .LBB79_531
.LBB79_527:
	s_mov_b32 s27, -1
                                        ; implicit-def: $vgpr6_vgpr7
.LBB79_528:
	s_delay_alu instid0(SALU_CYCLE_1)
	s_and_not1_b32 vcc_lo, exec_lo, s27
	s_cbranch_vccnz .LBB79_530
; %bb.529:
	global_load_u16 v1, v[4:5], off
	s_mov_b32 s27, 0
	s_wait_loadcnt 0x1
	v_mov_b32_e32 v7, s27
	s_wait_loadcnt 0x0
	v_and_b32_e32 v6, 0xffff, v1
.LBB79_530:
	s_mov_b32 s27, 0
.LBB79_531:
	s_delay_alu instid0(SALU_CYCLE_1)
	s_and_not1_b32 vcc_lo, exec_lo, s27
	s_cbranch_vccnz .LBB79_537
; %bb.532:
	global_load_u8 v1, v[4:5], off
	s_mov_b32 s28, 0
	s_mov_b32 s27, exec_lo
	s_wait_loadcnt 0x0
	v_cmpx_lt_i16_e32 0x7f, v1
	s_xor_b32 s27, exec_lo, s27
	s_cbranch_execz .LBB79_549
; %bb.533:
	v_cmp_ne_u16_e32 vcc_lo, 0x80, v1
	s_and_b32 s28, vcc_lo, exec_lo
	s_and_not1_saveexec_b32 s27, s27
	s_cbranch_execnz .LBB79_550
.LBB79_534:
	s_or_b32 exec_lo, exec_lo, s27
	v_mov_b64_e32 v[6:7], 0
	s_and_saveexec_b32 s27, s28
	s_cbranch_execz .LBB79_536
.LBB79_535:
	v_and_b32_e32 v3, 0xffff, v1
	s_delay_alu instid0(VALU_DEP_1) | instskip(SKIP_1) | instid1(VALU_DEP_2)
	v_dual_lshlrev_b32 v1, 24, v1 :: v_dual_bitop2_b32 v6, 7, v3 bitop3:0x40
	v_bfe_u32 v9, v3, 3, 4
	v_and_b32_e32 v1, 0x80000000, v1
	s_delay_alu instid0(VALU_DEP_3) | instskip(NEXT) | instid1(VALU_DEP_3)
	v_clz_i32_u32_e32 v7, v6
	v_cmp_eq_u32_e32 vcc_lo, 0, v9
	s_delay_alu instid0(VALU_DEP_2) | instskip(NEXT) | instid1(VALU_DEP_1)
	v_min_u32_e32 v7, 32, v7
	v_subrev_nc_u32_e32 v8, 28, v7
	v_sub_nc_u32_e32 v7, 29, v7
	s_delay_alu instid0(VALU_DEP_2) | instskip(NEXT) | instid1(VALU_DEP_2)
	v_lshlrev_b32_e32 v3, v8, v3
	v_cndmask_b32_e32 v7, v9, v7, vcc_lo
	s_delay_alu instid0(VALU_DEP_2) | instskip(NEXT) | instid1(VALU_DEP_1)
	v_and_b32_e32 v3, 7, v3
	v_cndmask_b32_e32 v3, v6, v3, vcc_lo
	s_delay_alu instid0(VALU_DEP_3) | instskip(NEXT) | instid1(VALU_DEP_2)
	v_lshl_add_u32 v6, v7, 23, 0x3b800000
	v_lshlrev_b32_e32 v3, 20, v3
	s_delay_alu instid0(VALU_DEP_1) | instskip(NEXT) | instid1(VALU_DEP_1)
	v_or3_b32 v1, v1, v6, v3
	v_trunc_f32_e32 v1, v1
	s_delay_alu instid0(VALU_DEP_1) | instskip(SKIP_1) | instid1(VALU_DEP_2)
	v_mul_f32_e64 v3, 0x2f800000, |v1|
	v_ashrrev_i32_e32 v6, 31, v1
	v_floor_f32_e32 v3, v3
	s_delay_alu instid0(VALU_DEP_1) | instskip(SKIP_1) | instid1(VALU_DEP_2)
	v_fma_f32 v7, 0xcf800000, v3, |v1|
	v_cvt_u32_f32_e32 v1, v3
	v_cvt_u32_f32_e32 v3, v7
	s_delay_alu instid0(VALU_DEP_2) | instskip(NEXT) | instid1(VALU_DEP_2)
	v_dual_mov_b32 v7, v6 :: v_dual_bitop2_b32 v9, v1, v6 bitop3:0x14
	v_xor_b32_e32 v8, v3, v6
	s_delay_alu instid0(VALU_DEP_1)
	v_sub_nc_u64_e32 v[6:7], v[8:9], v[6:7]
.LBB79_536:
	s_or_b32 exec_lo, exec_lo, s27
.LBB79_537:
	s_mov_b32 s27, -1
.LBB79_538:
	s_mov_b32 s28, 0
.LBB79_539:
	s_delay_alu instid0(SALU_CYCLE_1)
	s_and_b32 vcc_lo, exec_lo, s28
	s_cbranch_vccz .LBB79_572
; %bb.540:
	s_cmp_gt_i32 s0, 22
	s_cbranch_scc0 .LBB79_548
; %bb.541:
	s_cmp_lt_i32 s0, 24
	s_cbranch_scc1 .LBB79_551
; %bb.542:
	s_cmp_gt_i32 s0, 24
	s_cbranch_scc0 .LBB79_552
; %bb.543:
	global_load_u8 v1, v[4:5], off
	s_mov_b32 s28, 0
	s_mov_b32 s27, exec_lo
	s_wait_loadcnt 0x0
	v_cmpx_lt_i16_e32 0x7f, v1
	s_xor_b32 s27, exec_lo, s27
	s_cbranch_execz .LBB79_564
; %bb.544:
	v_cmp_ne_u16_e32 vcc_lo, 0x80, v1
	s_and_b32 s28, vcc_lo, exec_lo
	s_and_not1_saveexec_b32 s27, s27
	s_cbranch_execnz .LBB79_565
.LBB79_545:
	s_or_b32 exec_lo, exec_lo, s27
	v_mov_b64_e32 v[6:7], 0
	s_and_saveexec_b32 s27, s28
	s_cbranch_execz .LBB79_547
.LBB79_546:
	v_and_b32_e32 v3, 0xffff, v1
	s_delay_alu instid0(VALU_DEP_1) | instskip(SKIP_1) | instid1(VALU_DEP_2)
	v_dual_lshlrev_b32 v1, 24, v1 :: v_dual_bitop2_b32 v6, 3, v3 bitop3:0x40
	v_bfe_u32 v9, v3, 2, 5
	v_and_b32_e32 v1, 0x80000000, v1
	s_delay_alu instid0(VALU_DEP_3) | instskip(NEXT) | instid1(VALU_DEP_3)
	v_clz_i32_u32_e32 v7, v6
	v_cmp_eq_u32_e32 vcc_lo, 0, v9
	s_delay_alu instid0(VALU_DEP_2) | instskip(NEXT) | instid1(VALU_DEP_1)
	v_min_u32_e32 v7, 32, v7
	v_subrev_nc_u32_e32 v8, 29, v7
	v_sub_nc_u32_e32 v7, 30, v7
	s_delay_alu instid0(VALU_DEP_2) | instskip(NEXT) | instid1(VALU_DEP_2)
	v_lshlrev_b32_e32 v3, v8, v3
	v_cndmask_b32_e32 v7, v9, v7, vcc_lo
	s_delay_alu instid0(VALU_DEP_2) | instskip(NEXT) | instid1(VALU_DEP_1)
	v_and_b32_e32 v3, 3, v3
	v_cndmask_b32_e32 v3, v6, v3, vcc_lo
	s_delay_alu instid0(VALU_DEP_3) | instskip(NEXT) | instid1(VALU_DEP_2)
	v_lshl_add_u32 v6, v7, 23, 0x37800000
	v_lshlrev_b32_e32 v3, 21, v3
	s_delay_alu instid0(VALU_DEP_1) | instskip(NEXT) | instid1(VALU_DEP_1)
	v_or3_b32 v1, v1, v6, v3
	v_trunc_f32_e32 v1, v1
	s_delay_alu instid0(VALU_DEP_1) | instskip(SKIP_1) | instid1(VALU_DEP_2)
	v_mul_f32_e64 v3, 0x2f800000, |v1|
	v_ashrrev_i32_e32 v6, 31, v1
	v_floor_f32_e32 v3, v3
	s_delay_alu instid0(VALU_DEP_1) | instskip(SKIP_1) | instid1(VALU_DEP_2)
	v_fma_f32 v7, 0xcf800000, v3, |v1|
	v_cvt_u32_f32_e32 v1, v3
	v_cvt_u32_f32_e32 v3, v7
	s_delay_alu instid0(VALU_DEP_2) | instskip(NEXT) | instid1(VALU_DEP_2)
	v_dual_mov_b32 v7, v6 :: v_dual_bitop2_b32 v9, v1, v6 bitop3:0x14
	v_xor_b32_e32 v8, v3, v6
	s_delay_alu instid0(VALU_DEP_1)
	v_sub_nc_u64_e32 v[6:7], v[8:9], v[6:7]
.LBB79_547:
	s_or_b32 exec_lo, exec_lo, s27
	s_mov_b32 s27, 0
	s_branch .LBB79_553
.LBB79_548:
	s_mov_b32 s28, -1
                                        ; implicit-def: $vgpr6_vgpr7
	s_branch .LBB79_559
.LBB79_549:
	s_and_not1_saveexec_b32 s27, s27
	s_cbranch_execz .LBB79_534
.LBB79_550:
	v_cmp_ne_u16_e32 vcc_lo, 0, v1
	s_and_not1_b32 s28, s28, exec_lo
	s_and_b32 s29, vcc_lo, exec_lo
	s_delay_alu instid0(SALU_CYCLE_1)
	s_or_b32 s28, s28, s29
	s_or_b32 exec_lo, exec_lo, s27
	v_mov_b64_e32 v[6:7], 0
	s_and_saveexec_b32 s27, s28
	s_cbranch_execnz .LBB79_535
	s_branch .LBB79_536
.LBB79_551:
	s_mov_b32 s27, -1
                                        ; implicit-def: $vgpr6_vgpr7
	s_branch .LBB79_556
.LBB79_552:
	s_mov_b32 s27, -1
                                        ; implicit-def: $vgpr6_vgpr7
.LBB79_553:
	s_delay_alu instid0(SALU_CYCLE_1)
	s_and_b32 vcc_lo, exec_lo, s27
	s_cbranch_vccz .LBB79_555
; %bb.554:
	global_load_u8 v1, v[4:5], off
	s_wait_loadcnt 0x0
	v_lshlrev_b32_e32 v1, 24, v1
	s_delay_alu instid0(VALU_DEP_1) | instskip(NEXT) | instid1(VALU_DEP_1)
	v_and_b32_e32 v3, 0x7f000000, v1
	v_clz_i32_u32_e32 v6, v3
	v_cmp_ne_u32_e32 vcc_lo, 0, v3
	v_add_nc_u32_e32 v8, 0x1000000, v3
	s_delay_alu instid0(VALU_DEP_3) | instskip(NEXT) | instid1(VALU_DEP_1)
	v_min_u32_e32 v6, 32, v6
	v_sub_nc_u32_e64 v6, v6, 4 clamp
	s_delay_alu instid0(VALU_DEP_1) | instskip(NEXT) | instid1(VALU_DEP_1)
	v_dual_lshlrev_b32 v7, v6, v3 :: v_dual_lshlrev_b32 v6, 23, v6
	v_lshrrev_b32_e32 v7, 4, v7
	s_delay_alu instid0(VALU_DEP_1) | instskip(NEXT) | instid1(VALU_DEP_1)
	v_dual_sub_nc_u32 v6, v7, v6 :: v_dual_ashrrev_i32 v7, 8, v8
	v_add_nc_u32_e32 v6, 0x3c000000, v6
	s_delay_alu instid0(VALU_DEP_1) | instskip(NEXT) | instid1(VALU_DEP_1)
	v_and_or_b32 v6, 0x7f800000, v7, v6
	v_cndmask_b32_e32 v3, 0, v6, vcc_lo
	s_delay_alu instid0(VALU_DEP_1) | instskip(NEXT) | instid1(VALU_DEP_1)
	v_and_or_b32 v1, 0x80000000, v1, v3
	v_trunc_f32_e32 v1, v1
	s_delay_alu instid0(VALU_DEP_1) | instskip(SKIP_1) | instid1(VALU_DEP_2)
	v_mul_f32_e64 v3, 0x2f800000, |v1|
	v_ashrrev_i32_e32 v6, 31, v1
	v_floor_f32_e32 v3, v3
	s_delay_alu instid0(VALU_DEP_1) | instskip(SKIP_1) | instid1(VALU_DEP_2)
	v_fma_f32 v7, 0xcf800000, v3, |v1|
	v_cvt_u32_f32_e32 v1, v3
	v_cvt_u32_f32_e32 v3, v7
	s_delay_alu instid0(VALU_DEP_2) | instskip(NEXT) | instid1(VALU_DEP_2)
	v_dual_mov_b32 v7, v6 :: v_dual_bitop2_b32 v9, v1, v6 bitop3:0x14
	v_xor_b32_e32 v8, v3, v6
	s_delay_alu instid0(VALU_DEP_1)
	v_sub_nc_u64_e32 v[6:7], v[8:9], v[6:7]
.LBB79_555:
	s_mov_b32 s27, 0
.LBB79_556:
	s_delay_alu instid0(SALU_CYCLE_1)
	s_and_not1_b32 vcc_lo, exec_lo, s27
	s_cbranch_vccnz .LBB79_558
; %bb.557:
	global_load_u8 v1, v[4:5], off
	s_wait_loadcnt 0x0
	v_lshlrev_b32_e32 v3, 25, v1
	v_lshlrev_b16 v1, 8, v1
	s_delay_alu instid0(VALU_DEP_1) | instskip(SKIP_1) | instid1(VALU_DEP_2)
	v_and_or_b32 v7, 0x7f00, v1, 0.5
	v_bfe_i32 v1, v1, 0, 16
	v_add_f32_e32 v7, -0.5, v7
	v_lshrrev_b32_e32 v6, 4, v3
	v_cmp_gt_u32_e32 vcc_lo, 0x8000000, v3
	s_delay_alu instid0(VALU_DEP_2) | instskip(NEXT) | instid1(VALU_DEP_1)
	v_or_b32_e32 v6, 0x70000000, v6
	v_mul_f32_e32 v6, 0x7800000, v6
	s_delay_alu instid0(VALU_DEP_1) | instskip(NEXT) | instid1(VALU_DEP_1)
	v_cndmask_b32_e32 v3, v6, v7, vcc_lo
	v_and_or_b32 v1, 0x80000000, v1, v3
	s_delay_alu instid0(VALU_DEP_1) | instskip(NEXT) | instid1(VALU_DEP_1)
	v_trunc_f32_e32 v1, v1
	v_mul_f32_e64 v3, 0x2f800000, |v1|
	v_ashrrev_i32_e32 v6, 31, v1
	s_delay_alu instid0(VALU_DEP_2) | instskip(NEXT) | instid1(VALU_DEP_1)
	v_floor_f32_e32 v3, v3
	v_fma_f32 v7, 0xcf800000, v3, |v1|
	v_cvt_u32_f32_e32 v1, v3
	s_delay_alu instid0(VALU_DEP_2) | instskip(NEXT) | instid1(VALU_DEP_2)
	v_cvt_u32_f32_e32 v3, v7
	v_dual_mov_b32 v7, v6 :: v_dual_bitop2_b32 v9, v1, v6 bitop3:0x14
	s_delay_alu instid0(VALU_DEP_2) | instskip(NEXT) | instid1(VALU_DEP_1)
	v_xor_b32_e32 v8, v3, v6
	v_sub_nc_u64_e32 v[6:7], v[8:9], v[6:7]
.LBB79_558:
	s_mov_b32 s28, 0
	s_mov_b32 s27, -1
.LBB79_559:
	s_and_not1_b32 vcc_lo, exec_lo, s28
	s_cbranch_vccnz .LBB79_572
; %bb.560:
	s_cmp_gt_i32 s0, 14
	s_cbranch_scc0 .LBB79_563
; %bb.561:
	s_cmp_eq_u32 s0, 15
	s_cbranch_scc0 .LBB79_566
; %bb.562:
	global_load_u16 v1, v[4:5], off
	s_mov_b32 s27, -1
	s_mov_b32 s26, 0
	s_wait_loadcnt 0x0
	v_lshlrev_b32_e32 v1, 16, v1
	s_delay_alu instid0(VALU_DEP_1) | instskip(NEXT) | instid1(VALU_DEP_1)
	v_trunc_f32_e32 v1, v1
	v_mul_f32_e64 v3, 0x2f800000, |v1|
	v_ashrrev_i32_e32 v6, 31, v1
	s_delay_alu instid0(VALU_DEP_2) | instskip(NEXT) | instid1(VALU_DEP_1)
	v_floor_f32_e32 v3, v3
	v_fma_f32 v7, 0xcf800000, v3, |v1|
	v_cvt_u32_f32_e32 v1, v3
	s_delay_alu instid0(VALU_DEP_2) | instskip(NEXT) | instid1(VALU_DEP_2)
	v_cvt_u32_f32_e32 v3, v7
	v_dual_mov_b32 v7, v6 :: v_dual_bitop2_b32 v9, v1, v6 bitop3:0x14
	s_delay_alu instid0(VALU_DEP_2) | instskip(NEXT) | instid1(VALU_DEP_1)
	v_xor_b32_e32 v8, v3, v6
	v_sub_nc_u64_e32 v[6:7], v[8:9], v[6:7]
	s_branch .LBB79_567
.LBB79_563:
	s_mov_b32 s28, -1
                                        ; implicit-def: $vgpr6_vgpr7
	s_branch .LBB79_568
.LBB79_564:
	s_and_not1_saveexec_b32 s27, s27
	s_cbranch_execz .LBB79_545
.LBB79_565:
	v_cmp_ne_u16_e32 vcc_lo, 0, v1
	s_and_not1_b32 s28, s28, exec_lo
	s_and_b32 s29, vcc_lo, exec_lo
	s_delay_alu instid0(SALU_CYCLE_1)
	s_or_b32 s28, s28, s29
	s_or_b32 exec_lo, exec_lo, s27
	v_mov_b64_e32 v[6:7], 0
	s_and_saveexec_b32 s27, s28
	s_cbranch_execnz .LBB79_546
	s_branch .LBB79_547
.LBB79_566:
	s_mov_b32 s26, -1
                                        ; implicit-def: $vgpr6_vgpr7
.LBB79_567:
	s_mov_b32 s28, 0
.LBB79_568:
	s_delay_alu instid0(SALU_CYCLE_1)
	s_and_b32 vcc_lo, exec_lo, s28
	s_cbranch_vccz .LBB79_572
; %bb.569:
	s_cmp_eq_u32 s0, 11
	s_cbranch_scc0 .LBB79_571
; %bb.570:
	global_load_u8 v1, v[4:5], off
	s_mov_b32 s26, 0
	s_mov_b32 s27, -1
	s_wait_loadcnt 0x1
	v_mov_b32_e32 v7, s26
	s_wait_loadcnt 0x0
	v_cmp_ne_u16_e32 vcc_lo, 0, v1
	v_cndmask_b32_e64 v6, 0, 1, vcc_lo
	s_branch .LBB79_572
.LBB79_571:
	s_mov_b32 s26, -1
                                        ; implicit-def: $vgpr6_vgpr7
.LBB79_572:
	s_mov_b32 s28, 0
.LBB79_573:
	s_delay_alu instid0(SALU_CYCLE_1)
	s_and_b32 vcc_lo, exec_lo, s28
	s_cbranch_vccz .LBB79_622
; %bb.574:
	s_cmp_lt_i32 s0, 5
	s_cbranch_scc1 .LBB79_579
; %bb.575:
	s_cmp_lt_i32 s0, 8
	s_cbranch_scc1 .LBB79_580
	;; [unrolled: 3-line block ×3, first 2 shown]
; %bb.577:
	s_cmp_gt_i32 s0, 9
	s_cbranch_scc0 .LBB79_582
; %bb.578:
	s_wait_loadcnt 0x0
	global_load_b64 v[6:7], v[4:5], off
	s_mov_b32 s27, 0
	s_wait_loadcnt 0x0
	v_trunc_f64_e32 v[6:7], v[6:7]
	s_delay_alu instid0(VALU_DEP_1) | instskip(NEXT) | instid1(VALU_DEP_1)
	v_ldexp_f64 v[8:9], v[6:7], 0xffffffe0
	v_floor_f64_e32 v[8:9], v[8:9]
	s_delay_alu instid0(VALU_DEP_1) | instskip(SKIP_1) | instid1(VALU_DEP_2)
	v_fmamk_f64 v[10:11], v[8:9], 0xc1f00000, v[6:7]
	v_cvt_i32_f64_e32 v7, v[8:9]
	v_cvt_u32_f64_e32 v6, v[10:11]
	s_branch .LBB79_583
.LBB79_579:
	s_mov_b32 s27, -1
                                        ; implicit-def: $vgpr6_vgpr7
	s_branch .LBB79_601
.LBB79_580:
	s_mov_b32 s27, -1
                                        ; implicit-def: $vgpr6_vgpr7
	s_branch .LBB79_589
.LBB79_581:
	s_mov_b32 s27, -1
                                        ; implicit-def: $vgpr6_vgpr7
	s_branch .LBB79_586
.LBB79_582:
	s_mov_b32 s27, -1
                                        ; implicit-def: $vgpr6_vgpr7
.LBB79_583:
	s_delay_alu instid0(SALU_CYCLE_1)
	s_and_not1_b32 vcc_lo, exec_lo, s27
	s_cbranch_vccnz .LBB79_585
; %bb.584:
	global_load_b32 v1, v[4:5], off
	s_wait_loadcnt 0x0
	v_trunc_f32_e32 v1, v1
	s_delay_alu instid0(VALU_DEP_1) | instskip(SKIP_1) | instid1(VALU_DEP_2)
	v_mul_f32_e64 v3, 0x2f800000, |v1|
	v_ashrrev_i32_e32 v6, 31, v1
	v_floor_f32_e32 v3, v3
	s_delay_alu instid0(VALU_DEP_1) | instskip(SKIP_1) | instid1(VALU_DEP_2)
	v_fma_f32 v7, 0xcf800000, v3, |v1|
	v_cvt_u32_f32_e32 v1, v3
	v_cvt_u32_f32_e32 v3, v7
	s_delay_alu instid0(VALU_DEP_2) | instskip(NEXT) | instid1(VALU_DEP_2)
	v_dual_mov_b32 v7, v6 :: v_dual_bitop2_b32 v9, v1, v6 bitop3:0x14
	v_xor_b32_e32 v8, v3, v6
	s_delay_alu instid0(VALU_DEP_1)
	v_sub_nc_u64_e32 v[6:7], v[8:9], v[6:7]
.LBB79_585:
	s_mov_b32 s27, 0
.LBB79_586:
	s_delay_alu instid0(SALU_CYCLE_1)
	s_and_not1_b32 vcc_lo, exec_lo, s27
	s_cbranch_vccnz .LBB79_588
; %bb.587:
	global_load_b32 v1, v[4:5], off
	s_wait_loadcnt 0x0
	v_cvt_f32_f16_e32 v1, v1
	s_delay_alu instid0(VALU_DEP_1) | instskip(NEXT) | instid1(VALU_DEP_1)
	v_cvt_i32_f32_e32 v6, v1
	v_ashrrev_i32_e32 v7, 31, v6
.LBB79_588:
	s_mov_b32 s27, 0
.LBB79_589:
	s_delay_alu instid0(SALU_CYCLE_1)
	s_and_not1_b32 vcc_lo, exec_lo, s27
	s_cbranch_vccnz .LBB79_600
; %bb.590:
	s_cmp_lt_i32 s0, 6
	s_cbranch_scc1 .LBB79_593
; %bb.591:
	s_cmp_gt_i32 s0, 6
	s_cbranch_scc0 .LBB79_594
; %bb.592:
	s_wait_loadcnt 0x0
	global_load_b64 v[6:7], v[4:5], off
	s_mov_b32 s27, 0
	s_wait_loadcnt 0x0
	v_trunc_f64_e32 v[6:7], v[6:7]
	s_delay_alu instid0(VALU_DEP_1) | instskip(NEXT) | instid1(VALU_DEP_1)
	v_ldexp_f64 v[8:9], v[6:7], 0xffffffe0
	v_floor_f64_e32 v[8:9], v[8:9]
	s_delay_alu instid0(VALU_DEP_1) | instskip(SKIP_1) | instid1(VALU_DEP_2)
	v_fmamk_f64 v[10:11], v[8:9], 0xc1f00000, v[6:7]
	v_cvt_i32_f64_e32 v7, v[8:9]
	v_cvt_u32_f64_e32 v6, v[10:11]
	s_branch .LBB79_595
.LBB79_593:
	s_mov_b32 s27, -1
                                        ; implicit-def: $vgpr6_vgpr7
	s_branch .LBB79_598
.LBB79_594:
	s_mov_b32 s27, -1
                                        ; implicit-def: $vgpr6_vgpr7
.LBB79_595:
	s_delay_alu instid0(SALU_CYCLE_1)
	s_and_not1_b32 vcc_lo, exec_lo, s27
	s_cbranch_vccnz .LBB79_597
; %bb.596:
	global_load_b32 v1, v[4:5], off
	s_wait_loadcnt 0x0
	v_trunc_f32_e32 v1, v1
	s_delay_alu instid0(VALU_DEP_1) | instskip(SKIP_1) | instid1(VALU_DEP_2)
	v_mul_f32_e64 v3, 0x2f800000, |v1|
	v_ashrrev_i32_e32 v6, 31, v1
	v_floor_f32_e32 v3, v3
	s_delay_alu instid0(VALU_DEP_1) | instskip(SKIP_1) | instid1(VALU_DEP_2)
	v_fma_f32 v7, 0xcf800000, v3, |v1|
	v_cvt_u32_f32_e32 v1, v3
	v_cvt_u32_f32_e32 v3, v7
	s_delay_alu instid0(VALU_DEP_2) | instskip(NEXT) | instid1(VALU_DEP_2)
	v_dual_mov_b32 v7, v6 :: v_dual_bitop2_b32 v9, v1, v6 bitop3:0x14
	v_xor_b32_e32 v8, v3, v6
	s_delay_alu instid0(VALU_DEP_1)
	v_sub_nc_u64_e32 v[6:7], v[8:9], v[6:7]
.LBB79_597:
	s_mov_b32 s27, 0
.LBB79_598:
	s_delay_alu instid0(SALU_CYCLE_1)
	s_and_not1_b32 vcc_lo, exec_lo, s27
	s_cbranch_vccnz .LBB79_600
; %bb.599:
	global_load_u16 v1, v[4:5], off
	s_wait_loadcnt 0x0
	v_cvt_f32_f16_e32 v1, v1
	s_delay_alu instid0(VALU_DEP_1) | instskip(NEXT) | instid1(VALU_DEP_1)
	v_cvt_i32_f32_e32 v6, v1
	v_ashrrev_i32_e32 v7, 31, v6
.LBB79_600:
	s_mov_b32 s27, 0
.LBB79_601:
	s_delay_alu instid0(SALU_CYCLE_1)
	s_and_not1_b32 vcc_lo, exec_lo, s27
	s_cbranch_vccnz .LBB79_621
; %bb.602:
	s_cmp_lt_i32 s0, 2
	s_cbranch_scc1 .LBB79_606
; %bb.603:
	s_cmp_lt_i32 s0, 3
	s_cbranch_scc1 .LBB79_607
; %bb.604:
	s_cmp_gt_i32 s0, 3
	s_cbranch_scc0 .LBB79_608
; %bb.605:
	s_wait_loadcnt 0x0
	global_load_b64 v[6:7], v[4:5], off
	s_mov_b32 s27, 0
	s_branch .LBB79_609
.LBB79_606:
	s_mov_b32 s27, -1
                                        ; implicit-def: $vgpr6_vgpr7
	s_branch .LBB79_615
.LBB79_607:
	s_mov_b32 s27, -1
                                        ; implicit-def: $vgpr6_vgpr7
	s_branch .LBB79_612
.LBB79_608:
	s_mov_b32 s27, -1
                                        ; implicit-def: $vgpr6_vgpr7
.LBB79_609:
	s_delay_alu instid0(SALU_CYCLE_1)
	s_and_not1_b32 vcc_lo, exec_lo, s27
	s_cbranch_vccnz .LBB79_611
; %bb.610:
	s_wait_loadcnt 0x0
	global_load_b32 v6, v[4:5], off
	s_wait_loadcnt 0x0
	v_ashrrev_i32_e32 v7, 31, v6
.LBB79_611:
	s_mov_b32 s27, 0
.LBB79_612:
	s_delay_alu instid0(SALU_CYCLE_1)
	s_and_not1_b32 vcc_lo, exec_lo, s27
	s_cbranch_vccnz .LBB79_614
; %bb.613:
	global_load_u16 v1, v[4:5], off
	s_wait_loadcnt 0x0
	v_bfe_i32 v6, v1, 0, 16
	s_delay_alu instid0(VALU_DEP_1)
	v_ashrrev_i32_e32 v7, 31, v6
.LBB79_614:
	s_mov_b32 s27, 0
.LBB79_615:
	s_delay_alu instid0(SALU_CYCLE_1)
	s_and_not1_b32 vcc_lo, exec_lo, s27
	s_cbranch_vccnz .LBB79_621
; %bb.616:
	s_cmp_gt_i32 s0, 0
	s_mov_b32 s0, 0
	s_cbranch_scc0 .LBB79_618
; %bb.617:
	global_load_i8 v1, v[4:5], off
	s_wait_loadcnt 0x0
	v_bfe_i32 v6, v1, 0, 16
	s_delay_alu instid0(VALU_DEP_1)
	v_ashrrev_i32_e32 v7, 31, v6
	s_branch .LBB79_619
.LBB79_618:
	s_mov_b32 s0, -1
                                        ; implicit-def: $vgpr6_vgpr7
.LBB79_619:
	s_delay_alu instid0(SALU_CYCLE_1)
	s_and_not1_b32 vcc_lo, exec_lo, s0
	s_cbranch_vccnz .LBB79_621
; %bb.620:
	global_load_u8 v1, v[4:5], off
	s_mov_b32 s0, 0
	s_wait_loadcnt 0x1
	v_mov_b32_e32 v7, s0
	s_wait_loadcnt 0x0
	v_and_b32_e32 v6, 0xffff, v1
.LBB79_621:
	s_mov_b32 s27, -1
.LBB79_622:
	s_delay_alu instid0(SALU_CYCLE_1)
	s_and_not1_b32 vcc_lo, exec_lo, s27
	s_cbranch_vccnz .LBB79_631
; %bb.623:
	s_wait_loadcnt 0x0
	s_delay_alu instid0(VALU_DEP_1)
	v_cmp_le_i64_e32 vcc_lo, s[8:9], v[6:7]
	v_cmp_gt_i64_e64 s0, s[10:11], v[6:7]
	s_mov_b32 s27, 0
	s_mov_b32 s28, -1
	s_mov_b32 s29, s49
	s_and_b32 s0, vcc_lo, s0
	s_delay_alu instid0(SALU_CYCLE_1)
	s_and_b32 s30, s13, s0
	s_wait_xcnt 0x0
	s_and_saveexec_b32 s0, s30
	s_cbranch_execz .LBB79_719
; %bb.624:
	v_mov_b32_e32 v3, 0
	s_and_b32 s28, s38, 0xff
	s_delay_alu instid0(SALU_CYCLE_1) | instskip(NEXT) | instid1(VALU_DEP_1)
	s_cmp_lt_i32 s28, 11
	v_add_nc_u64_e32 v[2:3], s[4:5], v[2:3]
	s_cbranch_scc1 .LBB79_632
; %bb.625:
	s_and_b32 s29, 0xffff, s28
	s_delay_alu instid0(SALU_CYCLE_1)
	s_cmp_gt_i32 s29, 25
	s_cbranch_scc0 .LBB79_633
; %bb.626:
	s_cmp_gt_i32 s29, 28
	s_cbranch_scc0 .LBB79_634
; %bb.627:
	;; [unrolled: 3-line block ×4, first 2 shown]
	s_mov_b32 s31, 0
	s_mov_b32 s27, -1
	s_cmp_eq_u32 s29, 46
	s_mov_b32 s30, 0
	s_cbranch_scc0 .LBB79_637
; %bb.630:
	v_mov_b32_e32 v1, 0
	s_mov_b32 s30, -1
	s_mov_b32 s27, 0
	global_store_b32 v[2:3], v1, off
	s_branch .LBB79_637
.LBB79_631:
	s_mov_b32 s27, 0
	s_mov_b32 s29, s49
	;; [unrolled: 1-line block ×3, first 2 shown]
                                        ; implicit-def: $vgpr0
	s_branch .LBB79_720
.LBB79_632:
	s_mov_b32 s29, -1
	s_mov_b32 s30, 0
	s_mov_b32 s27, s49
	s_branch .LBB79_676
.LBB79_633:
	s_mov_b32 s31, -1
	s_mov_b32 s30, 0
	s_mov_b32 s27, s49
	s_branch .LBB79_656
.LBB79_634:
	s_mov_b32 s31, -1
	s_mov_b32 s30, 0
	s_mov_b32 s27, s49
	s_branch .LBB79_645
.LBB79_635:
	s_mov_b32 s31, -1
	s_mov_b32 s30, 0
	s_mov_b32 s27, s49
	s_branch .LBB79_641
.LBB79_636:
	s_mov_b32 s31, -1
	s_mov_b32 s30, 0
	s_mov_b32 s27, s49
.LBB79_637:
	s_and_b32 vcc_lo, exec_lo, s31
	s_cbranch_vccz .LBB79_640
; %bb.638:
	s_cmp_eq_u32 s29, 44
	s_mov_b32 s27, -1
	s_cbranch_scc0 .LBB79_640
; %bb.639:
	s_wait_xcnt 0x0
	v_mov_b32_e32 v1, 0
	s_mov_b32 s30, -1
	s_mov_b32 s27, 0
	global_store_b8 v[2:3], v1, off
.LBB79_640:
	s_mov_b32 s31, 0
.LBB79_641:
	s_delay_alu instid0(SALU_CYCLE_1)
	s_and_b32 vcc_lo, exec_lo, s31
	s_cbranch_vccz .LBB79_644
; %bb.642:
	s_cmp_eq_u32 s29, 29
	s_mov_b32 s27, -1
	s_cbranch_scc0 .LBB79_644
; %bb.643:
	v_mov_b64_e32 v[4:5], 0
	s_mov_b32 s30, -1
	s_mov_b32 s27, 0
	s_mov_b32 s31, 0
	global_store_b64 v[2:3], v[4:5], off
	s_branch .LBB79_645
.LBB79_644:
	s_mov_b32 s31, 0
.LBB79_645:
	s_delay_alu instid0(SALU_CYCLE_1)
	s_and_b32 vcc_lo, exec_lo, s31
	s_cbranch_vccz .LBB79_655
; %bb.646:
	s_cmp_lt_i32 s29, 27
	s_mov_b32 s30, -1
	s_cbranch_scc1 .LBB79_652
; %bb.647:
	s_cmp_gt_i32 s29, 27
	s_cbranch_scc0 .LBB79_649
; %bb.648:
	s_wait_xcnt 0x0
	v_mov_b32_e32 v1, 0
	s_mov_b32 s30, 0
	global_store_b32 v[2:3], v1, off
.LBB79_649:
	s_and_not1_b32 vcc_lo, exec_lo, s30
	s_cbranch_vccnz .LBB79_651
; %bb.650:
	s_wait_xcnt 0x0
	v_mov_b32_e32 v1, 0
	global_store_b16 v[2:3], v1, off
.LBB79_651:
	s_mov_b32 s30, 0
.LBB79_652:
	s_delay_alu instid0(SALU_CYCLE_1)
	s_and_not1_b32 vcc_lo, exec_lo, s30
	s_cbranch_vccnz .LBB79_654
; %bb.653:
	s_wait_xcnt 0x0
	v_mov_b32_e32 v1, 0
	global_store_b8 v[2:3], v1, off
.LBB79_654:
	s_mov_b32 s30, -1
.LBB79_655:
	s_mov_b32 s31, 0
.LBB79_656:
	s_delay_alu instid0(SALU_CYCLE_1)
	s_and_b32 vcc_lo, exec_lo, s31
	s_cbranch_vccz .LBB79_675
; %bb.657:
	s_cmp_gt_i32 s29, 22
	s_mov_b32 s31, -1
	s_cbranch_scc0 .LBB79_667
; %bb.658:
	s_cmp_lt_i32 s29, 24
	s_mov_b32 s30, -1
	s_cbranch_scc1 .LBB79_664
; %bb.659:
	s_cmp_gt_i32 s29, 24
	s_cbranch_scc0 .LBB79_661
; %bb.660:
	s_wait_xcnt 0x0
	v_mov_b32_e32 v1, 0
	s_mov_b32 s30, 0
	global_store_b8 v[2:3], v1, off
.LBB79_661:
	s_and_not1_b32 vcc_lo, exec_lo, s30
	s_cbranch_vccnz .LBB79_663
; %bb.662:
	s_wait_xcnt 0x0
	v_mov_b32_e32 v1, 0
	global_store_b8 v[2:3], v1, off
.LBB79_663:
	s_mov_b32 s30, 0
.LBB79_664:
	s_delay_alu instid0(SALU_CYCLE_1)
	s_and_not1_b32 vcc_lo, exec_lo, s30
	s_cbranch_vccnz .LBB79_666
; %bb.665:
	s_wait_xcnt 0x0
	v_mov_b32_e32 v1, 0
	global_store_b8 v[2:3], v1, off
.LBB79_666:
	s_mov_b32 s31, 0
	s_mov_b32 s30, -1
.LBB79_667:
	s_and_not1_b32 vcc_lo, exec_lo, s31
	s_cbranch_vccnz .LBB79_675
; %bb.668:
	s_cmp_gt_i32 s29, 14
	s_mov_b32 s31, -1
	s_cbranch_scc0 .LBB79_672
; %bb.669:
	s_cmp_eq_u32 s29, 15
	s_mov_b32 s27, -1
	s_cbranch_scc0 .LBB79_671
; %bb.670:
	s_wait_xcnt 0x0
	v_mov_b32_e32 v1, 0
	s_mov_b32 s30, -1
	s_mov_b32 s27, 0
	global_store_b16 v[2:3], v1, off
.LBB79_671:
	s_mov_b32 s31, 0
.LBB79_672:
	s_delay_alu instid0(SALU_CYCLE_1)
	s_and_b32 vcc_lo, exec_lo, s31
	s_cbranch_vccz .LBB79_675
; %bb.673:
	s_cmp_eq_u32 s29, 11
	s_mov_b32 s27, -1
	s_cbranch_scc0 .LBB79_675
; %bb.674:
	s_wait_xcnt 0x0
	v_mov_b32_e32 v1, 0
	s_mov_b32 s30, -1
	s_mov_b32 s27, 0
	global_store_b8 v[2:3], v1, off
.LBB79_675:
	s_mov_b32 s29, 0
.LBB79_676:
	s_delay_alu instid0(SALU_CYCLE_1)
	s_and_b32 vcc_lo, exec_lo, s29
	s_cbranch_vccz .LBB79_715
; %bb.677:
	s_and_b32 s28, 0xffff, s28
	s_mov_b32 s29, -1
	s_cmp_lt_i32 s28, 5
	s_cbranch_scc1 .LBB79_698
; %bb.678:
	s_cmp_lt_i32 s28, 8
	s_cbranch_scc1 .LBB79_688
; %bb.679:
	;; [unrolled: 3-line block ×3, first 2 shown]
	s_cmp_gt_i32 s28, 9
	s_cbranch_scc0 .LBB79_682
; %bb.681:
	s_wait_xcnt 0x0
	v_mov_b32_e32 v4, 0
	s_mov_b32 s29, 0
	s_delay_alu instid0(VALU_DEP_1)
	v_dual_mov_b32 v5, v4 :: v_dual_mov_b32 v6, v4
	v_mov_b32_e32 v7, v4
	global_store_b128 v[2:3], v[4:7], off
.LBB79_682:
	s_and_not1_b32 vcc_lo, exec_lo, s29
	s_cbranch_vccnz .LBB79_684
; %bb.683:
	s_wait_xcnt 0x0
	v_mov_b64_e32 v[4:5], 0
	global_store_b64 v[2:3], v[4:5], off
.LBB79_684:
	s_mov_b32 s29, 0
.LBB79_685:
	s_delay_alu instid0(SALU_CYCLE_1)
	s_and_not1_b32 vcc_lo, exec_lo, s29
	s_cbranch_vccnz .LBB79_687
; %bb.686:
	s_wait_xcnt 0x0
	v_mov_b32_e32 v1, 0
	global_store_b32 v[2:3], v1, off
.LBB79_687:
	s_mov_b32 s29, 0
.LBB79_688:
	s_delay_alu instid0(SALU_CYCLE_1)
	s_and_not1_b32 vcc_lo, exec_lo, s29
	s_cbranch_vccnz .LBB79_697
; %bb.689:
	s_cmp_lt_i32 s28, 6
	s_mov_b32 s29, -1
	s_cbranch_scc1 .LBB79_695
; %bb.690:
	s_cmp_gt_i32 s28, 6
	s_cbranch_scc0 .LBB79_692
; %bb.691:
	s_wait_xcnt 0x0
	v_mov_b64_e32 v[4:5], 0
	s_mov_b32 s29, 0
	global_store_b64 v[2:3], v[4:5], off
.LBB79_692:
	s_and_not1_b32 vcc_lo, exec_lo, s29
	s_cbranch_vccnz .LBB79_694
; %bb.693:
	s_wait_xcnt 0x0
	v_mov_b32_e32 v1, 0
	global_store_b32 v[2:3], v1, off
.LBB79_694:
	s_mov_b32 s29, 0
.LBB79_695:
	s_delay_alu instid0(SALU_CYCLE_1)
	s_and_not1_b32 vcc_lo, exec_lo, s29
	s_cbranch_vccnz .LBB79_697
; %bb.696:
	s_wait_xcnt 0x0
	v_mov_b32_e32 v1, 0
	global_store_b16 v[2:3], v1, off
.LBB79_697:
	s_mov_b32 s29, 0
.LBB79_698:
	s_delay_alu instid0(SALU_CYCLE_1)
	s_and_not1_b32 vcc_lo, exec_lo, s29
	s_cbranch_vccnz .LBB79_714
; %bb.699:
	s_cmp_lt_i32 s28, 2
	s_mov_b32 s29, -1
	s_cbranch_scc1 .LBB79_709
; %bb.700:
	s_cmp_lt_i32 s28, 3
	s_cbranch_scc1 .LBB79_706
; %bb.701:
	s_cmp_gt_i32 s28, 3
	s_cbranch_scc0 .LBB79_703
; %bb.702:
	s_wait_xcnt 0x0
	v_mov_b64_e32 v[4:5], 0
	s_mov_b32 s29, 0
	global_store_b64 v[2:3], v[4:5], off
.LBB79_703:
	s_and_not1_b32 vcc_lo, exec_lo, s29
	s_cbranch_vccnz .LBB79_705
; %bb.704:
	s_wait_xcnt 0x0
	v_mov_b32_e32 v1, 0
	global_store_b32 v[2:3], v1, off
.LBB79_705:
	s_mov_b32 s29, 0
.LBB79_706:
	s_delay_alu instid0(SALU_CYCLE_1)
	s_and_not1_b32 vcc_lo, exec_lo, s29
	s_cbranch_vccnz .LBB79_708
; %bb.707:
	s_wait_xcnt 0x0
	v_mov_b32_e32 v1, 0
	global_store_b16 v[2:3], v1, off
.LBB79_708:
	s_mov_b32 s29, 0
.LBB79_709:
	s_delay_alu instid0(SALU_CYCLE_1)
	s_and_not1_b32 vcc_lo, exec_lo, s29
	s_cbranch_vccnz .LBB79_714
; %bb.710:
	s_cmp_gt_i32 s28, 0
	s_mov_b32 s28, -1
	s_cbranch_scc0 .LBB79_712
; %bb.711:
	s_wait_xcnt 0x0
	v_mov_b32_e32 v1, 0
	s_mov_b32 s28, 0
	global_store_b8 v[2:3], v1, off
.LBB79_712:
	s_and_not1_b32 vcc_lo, exec_lo, s28
	s_cbranch_vccnz .LBB79_714
; %bb.713:
	s_wait_xcnt 0x0
	v_mov_b32_e32 v1, 0
	global_store_b8 v[2:3], v1, off
.LBB79_714:
	s_mov_b32 s30, -1
.LBB79_715:
	s_delay_alu instid0(SALU_CYCLE_1)
	s_and_not1_b32 vcc_lo, exec_lo, s30
	s_cbranch_vccnz .LBB79_717
; %bb.716:
	v_add_nc_u32_e32 v0, 0x80, v0
	s_mov_b32 s30, -1
	s_branch .LBB79_718
.LBB79_717:
	s_mov_b32 s30, 0
                                        ; implicit-def: $vgpr0
.LBB79_718:
	s_and_not1_b32 s28, s49, exec_lo
	s_and_b32 s27, s27, exec_lo
	s_delay_alu instid0(SALU_CYCLE_1)
	s_or_b32 s29, s28, s27
	s_xor_b32 s28, exec_lo, -1
	s_and_b32 s27, s30, exec_lo
.LBB79_719:
	s_wait_xcnt 0x0
	s_or_b32 exec_lo, exec_lo, s0
.LBB79_720:
	s_delay_alu instid0(SALU_CYCLE_1)
	s_and_not1_b32 s0, s49, exec_lo
	s_and_b32 s29, s29, exec_lo
	s_and_b32 s28, s28, exec_lo
	s_or_b32 s30, s0, s29
	s_and_not1_b32 s0, s50, exec_lo
	s_and_not1_b32 s29, s48, exec_lo
	s_and_b32 s26, s26, exec_lo
	s_or_b32 s31, s0, s28
	s_or_b32 s0, s29, s26
	s_or_not1_b32 s29, s27, exec_lo
.LBB79_721:
	s_wait_xcnt 0x0
	s_or_b32 exec_lo, exec_lo, s52
	s_mov_b32 s26, 0
	s_mov_b32 s27, 0
	;; [unrolled: 1-line block ×3, first 2 shown]
                                        ; implicit-def: $vgpr4_vgpr5
                                        ; implicit-def: $vgpr2
                                        ; implicit-def: $vgpr6_vgpr7
	s_and_saveexec_b32 s52, s29
	s_cbranch_execz .LBB79_815
; %bb.722:
	v_cmp_gt_i32_e32 vcc_lo, s41, v0
	s_mov_b32 s29, s0
                                        ; implicit-def: $vgpr4_vgpr5
                                        ; implicit-def: $vgpr2
                                        ; implicit-def: $vgpr6_vgpr7
	s_and_saveexec_b32 s41, vcc_lo
	s_cbranch_execz .LBB79_814
; %bb.723:
	s_and_not1_b32 vcc_lo, exec_lo, s36
	s_cbranch_vccnz .LBB79_729
; %bb.724:
	s_and_not1_b32 vcc_lo, exec_lo, s43
	s_cbranch_vccnz .LBB79_730
; %bb.725:
	s_add_co_i32 s42, s42, 1
	s_cmp_eq_u32 s34, 2
	s_cbranch_scc1 .LBB79_731
; %bb.726:
	v_dual_mov_b32 v2, 0 :: v_dual_mov_b32 v4, 0
	v_mov_b32_e32 v1, v0
	s_and_b32 s26, s42, 28
	s_mov_b64 s[28:29], s[2:3]
.LBB79_727:                             ; =>This Inner Loop Header: Depth=1
	s_clause 0x1
	s_load_b256 s[56:63], s[28:29], 0x4
	s_load_b128 s[72:75], s[28:29], 0x24
	s_load_b256 s[64:71], s[24:25], 0x0
	s_add_co_i32 s27, s27, 4
	s_wait_xcnt 0x0
	s_add_nc_u64 s[28:29], s[28:29], 48
	s_cmp_eq_u32 s26, s27
	s_add_nc_u64 s[24:25], s[24:25], 32
	s_wait_kmcnt 0x0
	v_mul_hi_u32 v3, s57, v1
	s_delay_alu instid0(VALU_DEP_1) | instskip(NEXT) | instid1(VALU_DEP_1)
	v_add_nc_u32_e32 v3, v1, v3
	v_lshrrev_b32_e32 v3, s58, v3
	s_delay_alu instid0(VALU_DEP_1) | instskip(NEXT) | instid1(VALU_DEP_1)
	v_mul_hi_u32 v5, s60, v3
	v_add_nc_u32_e32 v5, v3, v5
	s_delay_alu instid0(VALU_DEP_1) | instskip(SKIP_1) | instid1(VALU_DEP_1)
	v_lshrrev_b32_e32 v5, s61, v5
	s_wait_loadcnt 0x0
	v_mul_hi_u32 v6, s63, v5
	s_delay_alu instid0(VALU_DEP_1) | instskip(SKIP_1) | instid1(VALU_DEP_1)
	v_add_nc_u32_e32 v6, v5, v6
	v_mul_lo_u32 v7, v3, s56
	v_sub_nc_u32_e32 v1, v1, v7
	v_mul_lo_u32 v7, v5, s59
	s_delay_alu instid0(VALU_DEP_4) | instskip(NEXT) | instid1(VALU_DEP_3)
	v_lshrrev_b32_e32 v6, s72, v6
	v_mad_u32 v4, v1, s65, v4
	v_mad_u32 v1, v1, s64, v2
	s_delay_alu instid0(VALU_DEP_4) | instskip(NEXT) | instid1(VALU_DEP_4)
	v_sub_nc_u32_e32 v2, v3, v7
	v_mul_hi_u32 v8, s74, v6
	v_mul_lo_u32 v3, v6, s62
	s_delay_alu instid0(VALU_DEP_3) | instskip(SKIP_1) | instid1(VALU_DEP_3)
	v_mad_u32 v4, v2, s67, v4
	v_mad_u32 v2, v2, s66, v1
	v_dual_add_nc_u32 v7, v6, v8 :: v_dual_sub_nc_u32 v3, v5, v3
	s_delay_alu instid0(VALU_DEP_1) | instskip(NEXT) | instid1(VALU_DEP_2)
	v_lshrrev_b32_e32 v1, s75, v7
	v_mad_u32 v4, v3, s69, v4
	s_delay_alu instid0(VALU_DEP_4) | instskip(NEXT) | instid1(VALU_DEP_3)
	v_mad_u32 v2, v3, s68, v2
	v_mul_lo_u32 v5, v1, s73
	s_delay_alu instid0(VALU_DEP_1) | instskip(NEXT) | instid1(VALU_DEP_1)
	v_sub_nc_u32_e32 v3, v6, v5
	v_mad_u32 v4, v3, s71, v4
	s_delay_alu instid0(VALU_DEP_4)
	v_mad_u32 v2, v3, s70, v2
	s_cbranch_scc0 .LBB79_727
; %bb.728:
	s_delay_alu instid0(VALU_DEP_2)
	v_mov_b32_e32 v3, v4
	s_branch .LBB79_732
.LBB79_729:
	s_mov_b32 s24, -1
                                        ; implicit-def: $vgpr4
                                        ; implicit-def: $vgpr2
	s_branch .LBB79_737
.LBB79_730:
	v_dual_mov_b32 v4, 0 :: v_dual_mov_b32 v2, 0
	s_branch .LBB79_736
.LBB79_731:
	v_mov_b64_e32 v[2:3], 0
	v_mov_b32_e32 v1, v0
                                        ; implicit-def: $vgpr4
.LBB79_732:
	s_and_b32 s28, s42, 3
	s_mov_b32 s27, 0
	s_cmp_eq_u32 s28, 0
	s_cbranch_scc1 .LBB79_736
; %bb.733:
	s_lshl_b32 s24, s26, 3
	s_mov_b32 s25, s27
	s_mul_u64 s[26:27], s[26:27], 12
	s_add_nc_u64 s[24:25], s[2:3], s[24:25]
	s_add_nc_u64 s[26:27], s[2:3], s[26:27]
	s_add_nc_u64 s[24:25], s[24:25], 0xc4
.LBB79_734:                             ; =>This Inner Loop Header: Depth=1
	s_load_b96 s[56:58], s[26:27], 0x4
	s_load_b64 s[42:43], s[24:25], 0x0
	s_add_co_i32 s28, s28, -1
	s_wait_xcnt 0x0
	s_add_nc_u64 s[26:27], s[26:27], 12
	s_cmp_lg_u32 s28, 0
	s_add_nc_u64 s[24:25], s[24:25], 8
	s_wait_kmcnt 0x0
	v_mul_hi_u32 v4, s57, v1
	s_delay_alu instid0(VALU_DEP_1) | instskip(NEXT) | instid1(VALU_DEP_1)
	v_add_nc_u32_e32 v4, v1, v4
	v_lshrrev_b32_e32 v4, s58, v4
	s_delay_alu instid0(VALU_DEP_1) | instskip(NEXT) | instid1(VALU_DEP_1)
	v_mul_lo_u32 v5, v4, s56
	v_sub_nc_u32_e32 v1, v1, v5
	s_delay_alu instid0(VALU_DEP_1)
	v_mad_u32 v3, v1, s43, v3
	v_mad_u32 v2, v1, s42, v2
	v_mov_b32_e32 v1, v4
	s_cbranch_scc1 .LBB79_734
; %bb.735:
	s_delay_alu instid0(VALU_DEP_3)
	v_mov_b32_e32 v4, v3
.LBB79_736:
	s_mov_b32 s24, 0
.LBB79_737:
	s_delay_alu instid0(SALU_CYCLE_1)
	s_and_not1_b32 vcc_lo, exec_lo, s24
	s_cbranch_vccnz .LBB79_740
; %bb.738:
	v_mov_b32_e32 v1, 0
	s_and_not1_b32 vcc_lo, exec_lo, s40
	s_delay_alu instid0(VALU_DEP_1) | instskip(NEXT) | instid1(VALU_DEP_1)
	v_mul_u64_e32 v[2:3], s[20:21], v[0:1]
	v_add_nc_u32_e32 v2, v0, v3
	s_wait_loadcnt 0x0
	s_delay_alu instid0(VALU_DEP_1) | instskip(NEXT) | instid1(VALU_DEP_1)
	v_lshrrev_b32_e32 v6, s14, v2
	v_mul_lo_u32 v2, v6, s12
	s_delay_alu instid0(VALU_DEP_1) | instskip(NEXT) | instid1(VALU_DEP_1)
	v_sub_nc_u32_e32 v0, v0, v2
	v_mul_lo_u32 v4, v0, s17
	v_mul_lo_u32 v2, v0, s16
	s_cbranch_vccnz .LBB79_740
; %bb.739:
	v_mov_b32_e32 v7, v1
	s_delay_alu instid0(VALU_DEP_1) | instskip(NEXT) | instid1(VALU_DEP_1)
	v_mul_u64_e32 v[0:1], s[22:23], v[6:7]
	v_add_nc_u32_e32 v0, v6, v1
	s_delay_alu instid0(VALU_DEP_1) | instskip(NEXT) | instid1(VALU_DEP_1)
	v_lshrrev_b32_e32 v0, s1, v0
	v_mul_lo_u32 v0, v0, s15
	s_delay_alu instid0(VALU_DEP_1) | instskip(NEXT) | instid1(VALU_DEP_1)
	v_sub_nc_u32_e32 v0, v6, v0
	v_mad_u32 v2, v0, s18, v2
	v_mad_u32 v4, v0, s19, v4
.LBB79_740:
	v_mov_b32_e32 v5, 0
	s_and_b32 s1, 0xffff, s39
	s_delay_alu instid0(SALU_CYCLE_1) | instskip(NEXT) | instid1(VALU_DEP_1)
	s_cmp_lt_i32 s1, 11
	v_add_nc_u64_e32 v[4:5], s[6:7], v[4:5]
	s_cbranch_scc1 .LBB79_747
; %bb.741:
	s_cmp_gt_i32 s1, 25
	s_mov_b32 s7, 0
	s_cbranch_scc0 .LBB79_748
; %bb.742:
	s_cmp_gt_i32 s1, 28
	s_cbranch_scc0 .LBB79_749
; %bb.743:
	s_cmp_gt_i32 s1, 43
	s_cbranch_scc0 .LBB79_750
; %bb.744:
	s_cmp_gt_i32 s1, 45
	s_cbranch_scc0 .LBB79_751
; %bb.745:
	s_cmp_eq_u32 s1, 46
	s_mov_b32 s14, 0
	s_cbranch_scc0 .LBB79_752
; %bb.746:
	global_load_b32 v0, v[4:5], off
	s_mov_b32 s6, 0
	s_mov_b32 s12, -1
	s_wait_loadcnt 0x0
	v_lshlrev_b32_e32 v0, 16, v0
	s_delay_alu instid0(VALU_DEP_1) | instskip(NEXT) | instid1(VALU_DEP_1)
	v_trunc_f32_e32 v0, v0
	v_mul_f32_e64 v1, 0x2f800000, |v0|
	s_delay_alu instid0(VALU_DEP_1) | instskip(NEXT) | instid1(VALU_DEP_1)
	v_floor_f32_e32 v1, v1
	v_fma_f32 v3, 0xcf800000, v1, |v0|
	v_ashrrev_i32_e32 v0, 31, v0
	v_cvt_u32_f32_e32 v6, v1
	s_delay_alu instid0(VALU_DEP_3) | instskip(NEXT) | instid1(VALU_DEP_2)
	v_cvt_u32_f32_e32 v3, v3
	v_dual_mov_b32 v1, v0 :: v_dual_bitop2_b32 v7, v6, v0 bitop3:0x14
	s_delay_alu instid0(VALU_DEP_2) | instskip(NEXT) | instid1(VALU_DEP_1)
	v_xor_b32_e32 v6, v3, v0
	v_sub_nc_u64_e32 v[6:7], v[6:7], v[0:1]
	s_branch .LBB79_754
.LBB79_747:
	s_mov_b32 s1, -1
	s_mov_b32 s12, 0
	s_mov_b32 s7, 0
	;; [unrolled: 1-line block ×3, first 2 shown]
                                        ; implicit-def: $vgpr6_vgpr7
	s_branch .LBB79_813
.LBB79_748:
	s_mov_b32 s14, -1
	s_mov_b32 s12, 0
	s_mov_b32 s6, s0
                                        ; implicit-def: $vgpr6_vgpr7
	s_branch .LBB79_781
.LBB79_749:
	s_mov_b32 s14, -1
	s_mov_b32 s12, 0
	s_mov_b32 s6, s0
                                        ; implicit-def: $vgpr6_vgpr7
	s_branch .LBB79_764
.LBB79_750:
	s_mov_b32 s14, -1
	s_mov_b32 s12, 0
	s_mov_b32 s6, s0
                                        ; implicit-def: $vgpr6_vgpr7
	s_branch .LBB79_759
.LBB79_751:
	s_mov_b32 s14, -1
	s_mov_b32 s12, 0
	s_mov_b32 s6, s0
	s_branch .LBB79_753
.LBB79_752:
	s_mov_b32 s6, -1
	s_mov_b32 s12, 0
.LBB79_753:
                                        ; implicit-def: $vgpr6_vgpr7
.LBB79_754:
	s_and_b32 vcc_lo, exec_lo, s14
	s_cbranch_vccz .LBB79_758
; %bb.755:
	s_cmp_eq_u32 s1, 44
	s_cbranch_scc0 .LBB79_757
; %bb.756:
	global_load_u8 v3, v[4:5], off
	s_mov_b32 s6, 0
	s_mov_b32 s12, -1
	s_wait_loadcnt 0x0
	v_cmp_ne_u32_e32 vcc_lo, 0, v3
	v_lshlrev_b32_e32 v0, 23, v3
	s_delay_alu instid0(VALU_DEP_1) | instskip(NEXT) | instid1(VALU_DEP_1)
	v_trunc_f32_e32 v0, v0
	v_mul_f32_e64 v1, 0x2f800000, |v0|
	s_delay_alu instid0(VALU_DEP_1) | instskip(NEXT) | instid1(VALU_DEP_1)
	v_floor_f32_e32 v1, v1
	v_fma_f32 v6, 0xcf800000, v1, |v0|
	v_ashrrev_i32_e32 v0, 31, v0
	v_cvt_u32_f32_e32 v7, v1
	s_delay_alu instid0(VALU_DEP_3) | instskip(NEXT) | instid1(VALU_DEP_2)
	v_cvt_u32_f32_e32 v6, v6
	v_dual_mov_b32 v1, v0 :: v_dual_bitop2_b32 v7, v7, v0 bitop3:0x14
	s_delay_alu instid0(VALU_DEP_2) | instskip(NEXT) | instid1(VALU_DEP_1)
	v_xor_b32_e32 v6, v6, v0
	v_sub_nc_u64_e32 v[0:1], v[6:7], v[0:1]
	s_delay_alu instid0(VALU_DEP_1)
	v_dual_cndmask_b32 v7, 0, v1 :: v_dual_cndmask_b32 v6, 0, v0
	s_branch .LBB79_758
.LBB79_757:
	s_mov_b32 s6, -1
                                        ; implicit-def: $vgpr6_vgpr7
.LBB79_758:
	s_mov_b32 s14, 0
.LBB79_759:
	s_delay_alu instid0(SALU_CYCLE_1)
	s_and_b32 vcc_lo, exec_lo, s14
	s_cbranch_vccz .LBB79_763
; %bb.760:
	s_cmp_eq_u32 s1, 29
	s_cbranch_scc0 .LBB79_762
; %bb.761:
	s_wait_loadcnt 0x0
	global_load_b64 v[6:7], v[4:5], off
	s_mov_b32 s6, 0
	s_mov_b32 s12, -1
	s_branch .LBB79_763
.LBB79_762:
	s_mov_b32 s6, -1
                                        ; implicit-def: $vgpr6_vgpr7
.LBB79_763:
	s_mov_b32 s14, 0
.LBB79_764:
	s_delay_alu instid0(SALU_CYCLE_1)
	s_and_b32 vcc_lo, exec_lo, s14
	s_cbranch_vccz .LBB79_780
; %bb.765:
	s_cmp_lt_i32 s1, 27
	s_cbranch_scc1 .LBB79_768
; %bb.766:
	s_cmp_gt_i32 s1, 27
	s_cbranch_scc0 .LBB79_769
; %bb.767:
	s_wait_loadcnt 0x0
	global_load_b32 v6, v[4:5], off
	v_mov_b32_e32 v7, 0
	s_mov_b32 s12, 0
	s_branch .LBB79_770
.LBB79_768:
	s_mov_b32 s12, -1
                                        ; implicit-def: $vgpr6_vgpr7
	s_branch .LBB79_773
.LBB79_769:
	s_mov_b32 s12, -1
                                        ; implicit-def: $vgpr6_vgpr7
.LBB79_770:
	s_delay_alu instid0(SALU_CYCLE_1)
	s_and_not1_b32 vcc_lo, exec_lo, s12
	s_cbranch_vccnz .LBB79_772
; %bb.771:
	global_load_u16 v0, v[4:5], off
	s_mov_b32 s12, 0
	s_wait_loadcnt 0x1
	v_mov_b32_e32 v7, s12
	s_wait_loadcnt 0x0
	v_and_b32_e32 v6, 0xffff, v0
.LBB79_772:
	s_mov_b32 s12, 0
.LBB79_773:
	s_delay_alu instid0(SALU_CYCLE_1)
	s_and_not1_b32 vcc_lo, exec_lo, s12
	s_cbranch_vccnz .LBB79_779
; %bb.774:
	global_load_u8 v0, v[4:5], off
	s_mov_b32 s14, 0
	s_mov_b32 s12, exec_lo
	s_wait_loadcnt 0x0
	v_cmpx_lt_i16_e32 0x7f, v0
	s_xor_b32 s12, exec_lo, s12
	s_cbranch_execz .LBB79_791
; %bb.775:
	v_cmp_ne_u16_e32 vcc_lo, 0x80, v0
	s_and_b32 s14, vcc_lo, exec_lo
	s_and_not1_saveexec_b32 s12, s12
	s_cbranch_execnz .LBB79_792
.LBB79_776:
	s_or_b32 exec_lo, exec_lo, s12
	v_mov_b64_e32 v[6:7], 0
	s_and_saveexec_b32 s12, s14
	s_cbranch_execz .LBB79_778
.LBB79_777:
	v_and_b32_e32 v1, 0xffff, v0
	s_delay_alu instid0(VALU_DEP_1) | instskip(SKIP_1) | instid1(VALU_DEP_2)
	v_and_b32_e32 v3, 7, v1
	v_bfe_u32 v8, v1, 3, 4
	v_clz_i32_u32_e32 v6, v3
	s_delay_alu instid0(VALU_DEP_2) | instskip(NEXT) | instid1(VALU_DEP_2)
	v_cmp_eq_u32_e32 vcc_lo, 0, v8
	v_min_u32_e32 v6, 32, v6
	s_delay_alu instid0(VALU_DEP_1) | instskip(NEXT) | instid1(VALU_DEP_1)
	v_subrev_nc_u32_e32 v7, 28, v6
	v_dual_lshlrev_b32 v1, v7, v1 :: v_dual_sub_nc_u32 v6, 29, v6
	s_delay_alu instid0(VALU_DEP_1) | instskip(NEXT) | instid1(VALU_DEP_1)
	v_dual_lshlrev_b32 v0, 24, v0 :: v_dual_bitop2_b32 v1, 7, v1 bitop3:0x40
	v_dual_cndmask_b32 v6, v8, v6 :: v_dual_cndmask_b32 v1, v3, v1
	s_delay_alu instid0(VALU_DEP_2) | instskip(NEXT) | instid1(VALU_DEP_2)
	v_and_b32_e32 v0, 0x80000000, v0
	v_lshl_add_u32 v3, v6, 23, 0x3b800000
	s_delay_alu instid0(VALU_DEP_3) | instskip(NEXT) | instid1(VALU_DEP_1)
	v_lshlrev_b32_e32 v1, 20, v1
	v_or3_b32 v0, v0, v3, v1
	s_delay_alu instid0(VALU_DEP_1) | instskip(NEXT) | instid1(VALU_DEP_1)
	v_trunc_f32_e32 v0, v0
	v_mul_f32_e64 v1, 0x2f800000, |v0|
	s_delay_alu instid0(VALU_DEP_1) | instskip(NEXT) | instid1(VALU_DEP_1)
	v_floor_f32_e32 v1, v1
	v_fma_f32 v3, 0xcf800000, v1, |v0|
	v_ashrrev_i32_e32 v0, 31, v0
	v_cvt_u32_f32_e32 v6, v1
	s_delay_alu instid0(VALU_DEP_3) | instskip(NEXT) | instid1(VALU_DEP_2)
	v_cvt_u32_f32_e32 v3, v3
	v_dual_mov_b32 v1, v0 :: v_dual_bitop2_b32 v7, v6, v0 bitop3:0x14
	s_delay_alu instid0(VALU_DEP_2) | instskip(NEXT) | instid1(VALU_DEP_1)
	v_xor_b32_e32 v6, v3, v0
	v_sub_nc_u64_e32 v[6:7], v[6:7], v[0:1]
.LBB79_778:
	s_or_b32 exec_lo, exec_lo, s12
.LBB79_779:
	s_mov_b32 s12, -1
.LBB79_780:
	s_mov_b32 s14, 0
.LBB79_781:
	s_delay_alu instid0(SALU_CYCLE_1)
	s_and_b32 vcc_lo, exec_lo, s14
	s_cbranch_vccz .LBB79_812
; %bb.782:
	s_cmp_gt_i32 s1, 22
	s_cbranch_scc0 .LBB79_790
; %bb.783:
	s_cmp_lt_i32 s1, 24
	s_cbranch_scc1 .LBB79_793
; %bb.784:
	s_cmp_gt_i32 s1, 24
	s_cbranch_scc0 .LBB79_794
; %bb.785:
	global_load_u8 v0, v[4:5], off
	s_mov_b32 s12, 0
	s_mov_b32 s7, exec_lo
	s_wait_loadcnt 0x0
	v_cmpx_lt_i16_e32 0x7f, v0
	s_xor_b32 s7, exec_lo, s7
	s_cbranch_execz .LBB79_806
; %bb.786:
	v_cmp_ne_u16_e32 vcc_lo, 0x80, v0
	s_and_b32 s12, vcc_lo, exec_lo
	s_and_not1_saveexec_b32 s7, s7
	s_cbranch_execnz .LBB79_807
.LBB79_787:
	s_or_b32 exec_lo, exec_lo, s7
	v_mov_b64_e32 v[6:7], 0
	s_and_saveexec_b32 s7, s12
	s_cbranch_execz .LBB79_789
.LBB79_788:
	v_and_b32_e32 v1, 0xffff, v0
	s_delay_alu instid0(VALU_DEP_1) | instskip(SKIP_1) | instid1(VALU_DEP_2)
	v_and_b32_e32 v3, 3, v1
	v_bfe_u32 v8, v1, 2, 5
	v_clz_i32_u32_e32 v6, v3
	s_delay_alu instid0(VALU_DEP_2) | instskip(NEXT) | instid1(VALU_DEP_2)
	v_cmp_eq_u32_e32 vcc_lo, 0, v8
	v_min_u32_e32 v6, 32, v6
	s_delay_alu instid0(VALU_DEP_1) | instskip(NEXT) | instid1(VALU_DEP_1)
	v_subrev_nc_u32_e32 v7, 29, v6
	v_dual_lshlrev_b32 v1, v7, v1 :: v_dual_sub_nc_u32 v6, 30, v6
	s_delay_alu instid0(VALU_DEP_1) | instskip(NEXT) | instid1(VALU_DEP_1)
	v_dual_lshlrev_b32 v0, 24, v0 :: v_dual_bitop2_b32 v1, 3, v1 bitop3:0x40
	v_dual_cndmask_b32 v6, v8, v6 :: v_dual_cndmask_b32 v1, v3, v1
	s_delay_alu instid0(VALU_DEP_2) | instskip(NEXT) | instid1(VALU_DEP_2)
	v_and_b32_e32 v0, 0x80000000, v0
	v_lshl_add_u32 v3, v6, 23, 0x37800000
	s_delay_alu instid0(VALU_DEP_3) | instskip(NEXT) | instid1(VALU_DEP_1)
	v_lshlrev_b32_e32 v1, 21, v1
	v_or3_b32 v0, v0, v3, v1
	s_delay_alu instid0(VALU_DEP_1) | instskip(NEXT) | instid1(VALU_DEP_1)
	v_trunc_f32_e32 v0, v0
	v_mul_f32_e64 v1, 0x2f800000, |v0|
	s_delay_alu instid0(VALU_DEP_1) | instskip(NEXT) | instid1(VALU_DEP_1)
	v_floor_f32_e32 v1, v1
	v_fma_f32 v3, 0xcf800000, v1, |v0|
	v_ashrrev_i32_e32 v0, 31, v0
	v_cvt_u32_f32_e32 v6, v1
	s_delay_alu instid0(VALU_DEP_3) | instskip(NEXT) | instid1(VALU_DEP_2)
	v_cvt_u32_f32_e32 v3, v3
	v_dual_mov_b32 v1, v0 :: v_dual_bitop2_b32 v7, v6, v0 bitop3:0x14
	s_delay_alu instid0(VALU_DEP_2) | instskip(NEXT) | instid1(VALU_DEP_1)
	v_xor_b32_e32 v6, v3, v0
	v_sub_nc_u64_e32 v[6:7], v[6:7], v[0:1]
.LBB79_789:
	s_or_b32 exec_lo, exec_lo, s7
	s_mov_b32 s7, 0
	s_branch .LBB79_795
.LBB79_790:
	s_mov_b32 s7, -1
                                        ; implicit-def: $vgpr6_vgpr7
	s_branch .LBB79_801
.LBB79_791:
	s_and_not1_saveexec_b32 s12, s12
	s_cbranch_execz .LBB79_776
.LBB79_792:
	v_cmp_ne_u16_e32 vcc_lo, 0, v0
	s_and_not1_b32 s14, s14, exec_lo
	s_and_b32 s15, vcc_lo, exec_lo
	s_delay_alu instid0(SALU_CYCLE_1)
	s_or_b32 s14, s14, s15
	s_or_b32 exec_lo, exec_lo, s12
	v_mov_b64_e32 v[6:7], 0
	s_and_saveexec_b32 s12, s14
	s_cbranch_execnz .LBB79_777
	s_branch .LBB79_778
.LBB79_793:
	s_mov_b32 s7, -1
                                        ; implicit-def: $vgpr6_vgpr7
	s_branch .LBB79_798
.LBB79_794:
	s_mov_b32 s7, -1
                                        ; implicit-def: $vgpr6_vgpr7
.LBB79_795:
	s_delay_alu instid0(SALU_CYCLE_1)
	s_and_b32 vcc_lo, exec_lo, s7
	s_cbranch_vccz .LBB79_797
; %bb.796:
	global_load_u8 v0, v[4:5], off
	s_wait_loadcnt 0x0
	v_lshlrev_b32_e32 v0, 24, v0
	s_delay_alu instid0(VALU_DEP_1) | instskip(NEXT) | instid1(VALU_DEP_1)
	v_and_b32_e32 v1, 0x7f000000, v0
	v_clz_i32_u32_e32 v3, v1
	v_add_nc_u32_e32 v7, 0x1000000, v1
	v_cmp_ne_u32_e32 vcc_lo, 0, v1
	s_delay_alu instid0(VALU_DEP_3) | instskip(NEXT) | instid1(VALU_DEP_1)
	v_min_u32_e32 v3, 32, v3
	v_sub_nc_u32_e64 v3, v3, 4 clamp
	s_delay_alu instid0(VALU_DEP_1) | instskip(NEXT) | instid1(VALU_DEP_1)
	v_dual_lshlrev_b32 v6, v3, v1 :: v_dual_lshlrev_b32 v3, 23, v3
	v_lshrrev_b32_e32 v6, 4, v6
	s_delay_alu instid0(VALU_DEP_1) | instskip(SKIP_1) | instid1(VALU_DEP_2)
	v_sub_nc_u32_e32 v3, v6, v3
	v_ashrrev_i32_e32 v6, 8, v7
	v_add_nc_u32_e32 v3, 0x3c000000, v3
	s_delay_alu instid0(VALU_DEP_1) | instskip(NEXT) | instid1(VALU_DEP_1)
	v_and_or_b32 v3, 0x7f800000, v6, v3
	v_cndmask_b32_e32 v1, 0, v3, vcc_lo
	s_delay_alu instid0(VALU_DEP_1) | instskip(NEXT) | instid1(VALU_DEP_1)
	v_and_or_b32 v0, 0x80000000, v0, v1
	v_trunc_f32_e32 v0, v0
	s_delay_alu instid0(VALU_DEP_1) | instskip(NEXT) | instid1(VALU_DEP_1)
	v_mul_f32_e64 v1, 0x2f800000, |v0|
	v_floor_f32_e32 v1, v1
	s_delay_alu instid0(VALU_DEP_1) | instskip(SKIP_2) | instid1(VALU_DEP_3)
	v_fma_f32 v3, 0xcf800000, v1, |v0|
	v_ashrrev_i32_e32 v0, 31, v0
	v_cvt_u32_f32_e32 v6, v1
	v_cvt_u32_f32_e32 v3, v3
	s_delay_alu instid0(VALU_DEP_2) | instskip(NEXT) | instid1(VALU_DEP_2)
	v_dual_mov_b32 v1, v0 :: v_dual_bitop2_b32 v7, v6, v0 bitop3:0x14
	v_xor_b32_e32 v6, v3, v0
	s_delay_alu instid0(VALU_DEP_1)
	v_sub_nc_u64_e32 v[6:7], v[6:7], v[0:1]
.LBB79_797:
	s_mov_b32 s7, 0
.LBB79_798:
	s_delay_alu instid0(SALU_CYCLE_1)
	s_and_not1_b32 vcc_lo, exec_lo, s7
	s_cbranch_vccnz .LBB79_800
; %bb.799:
	global_load_u8 v0, v[4:5], off
	s_wait_loadcnt 0x0
	v_lshlrev_b32_e32 v1, 25, v0
	v_lshlrev_b16 v0, 8, v0
	s_delay_alu instid0(VALU_DEP_1) | instskip(SKIP_1) | instid1(VALU_DEP_2)
	v_and_or_b32 v6, 0x7f00, v0, 0.5
	v_bfe_i32 v0, v0, 0, 16
	v_dual_add_f32 v6, -0.5, v6 :: v_dual_lshrrev_b32 v3, 4, v1
	v_cmp_gt_u32_e32 vcc_lo, 0x8000000, v1
	s_delay_alu instid0(VALU_DEP_2) | instskip(NEXT) | instid1(VALU_DEP_1)
	v_or_b32_e32 v3, 0x70000000, v3
	v_mul_f32_e32 v3, 0x7800000, v3
	s_delay_alu instid0(VALU_DEP_1) | instskip(NEXT) | instid1(VALU_DEP_1)
	v_cndmask_b32_e32 v1, v3, v6, vcc_lo
	v_and_or_b32 v0, 0x80000000, v0, v1
	s_delay_alu instid0(VALU_DEP_1) | instskip(NEXT) | instid1(VALU_DEP_1)
	v_trunc_f32_e32 v0, v0
	v_mul_f32_e64 v1, 0x2f800000, |v0|
	s_delay_alu instid0(VALU_DEP_1) | instskip(NEXT) | instid1(VALU_DEP_1)
	v_floor_f32_e32 v1, v1
	v_fma_f32 v3, 0xcf800000, v1, |v0|
	v_ashrrev_i32_e32 v0, 31, v0
	v_cvt_u32_f32_e32 v6, v1
	s_delay_alu instid0(VALU_DEP_3) | instskip(NEXT) | instid1(VALU_DEP_2)
	v_cvt_u32_f32_e32 v3, v3
	v_dual_mov_b32 v1, v0 :: v_dual_bitop2_b32 v7, v6, v0 bitop3:0x14
	s_delay_alu instid0(VALU_DEP_2) | instskip(NEXT) | instid1(VALU_DEP_1)
	v_xor_b32_e32 v6, v3, v0
	v_sub_nc_u64_e32 v[6:7], v[6:7], v[0:1]
.LBB79_800:
	s_mov_b32 s7, 0
	s_mov_b32 s12, -1
.LBB79_801:
	s_and_not1_b32 vcc_lo, exec_lo, s7
	s_mov_b32 s7, 0
	s_cbranch_vccnz .LBB79_812
; %bb.802:
	s_cmp_gt_i32 s1, 14
	s_cbranch_scc0 .LBB79_805
; %bb.803:
	s_cmp_eq_u32 s1, 15
	s_cbranch_scc0 .LBB79_808
; %bb.804:
	global_load_u16 v0, v[4:5], off
	s_mov_b32 s6, 0
	s_mov_b32 s12, -1
	s_wait_loadcnt 0x0
	v_lshlrev_b32_e32 v0, 16, v0
	s_delay_alu instid0(VALU_DEP_1) | instskip(NEXT) | instid1(VALU_DEP_1)
	v_trunc_f32_e32 v0, v0
	v_mul_f32_e64 v1, 0x2f800000, |v0|
	s_delay_alu instid0(VALU_DEP_1) | instskip(NEXT) | instid1(VALU_DEP_1)
	v_floor_f32_e32 v1, v1
	v_fma_f32 v3, 0xcf800000, v1, |v0|
	v_ashrrev_i32_e32 v0, 31, v0
	v_cvt_u32_f32_e32 v6, v1
	s_delay_alu instid0(VALU_DEP_3) | instskip(NEXT) | instid1(VALU_DEP_2)
	v_cvt_u32_f32_e32 v3, v3
	v_dual_mov_b32 v1, v0 :: v_dual_bitop2_b32 v7, v6, v0 bitop3:0x14
	s_delay_alu instid0(VALU_DEP_2) | instskip(NEXT) | instid1(VALU_DEP_1)
	v_xor_b32_e32 v6, v3, v0
	v_sub_nc_u64_e32 v[6:7], v[6:7], v[0:1]
	s_branch .LBB79_810
.LBB79_805:
	s_mov_b32 s7, -1
	s_branch .LBB79_809
.LBB79_806:
	s_and_not1_saveexec_b32 s7, s7
	s_cbranch_execz .LBB79_787
.LBB79_807:
	v_cmp_ne_u16_e32 vcc_lo, 0, v0
	s_and_not1_b32 s12, s12, exec_lo
	s_and_b32 s14, vcc_lo, exec_lo
	s_delay_alu instid0(SALU_CYCLE_1)
	s_or_b32 s12, s12, s14
	s_or_b32 exec_lo, exec_lo, s7
	v_mov_b64_e32 v[6:7], 0
	s_and_saveexec_b32 s7, s12
	s_cbranch_execnz .LBB79_788
	s_branch .LBB79_789
.LBB79_808:
	s_mov_b32 s6, -1
.LBB79_809:
                                        ; implicit-def: $vgpr6_vgpr7
.LBB79_810:
	s_and_b32 vcc_lo, exec_lo, s7
	s_mov_b32 s7, 0
	s_cbranch_vccz .LBB79_812
; %bb.811:
	s_cmp_lg_u32 s1, 11
	s_mov_b32 s7, -1
	s_cselect_b32 s1, -1, 0
	s_and_not1_b32 s6, s6, exec_lo
	s_and_b32 s1, s1, exec_lo
	s_delay_alu instid0(SALU_CYCLE_1)
	s_or_b32 s6, s6, s1
.LBB79_812:
	s_mov_b32 s1, 0
.LBB79_813:
	s_delay_alu instid0(SALU_CYCLE_1)
	s_and_b32 s27, s1, exec_lo
	s_and_not1_b32 s1, s0, exec_lo
	s_and_b32 s6, s6, exec_lo
	s_and_b32 s28, s12, exec_lo
	;; [unrolled: 1-line block ×3, first 2 shown]
	s_or_b32 s29, s1, s6
.LBB79_814:
	s_wait_xcnt 0x0
	s_or_b32 exec_lo, exec_lo, s41
	s_delay_alu instid0(SALU_CYCLE_1)
	s_and_not1_b32 s0, s0, exec_lo
	s_and_b32 s1, s29, exec_lo
	s_and_b32 s28, s28, exec_lo
	;; [unrolled: 1-line block ×4, first 2 shown]
	s_or_b32 s0, s0, s1
.LBB79_815:
	s_or_b32 exec_lo, exec_lo, s52
	s_delay_alu instid0(SALU_CYCLE_1)
	s_and_not1_b32 s1, s49, exec_lo
	s_and_b32 s6, s30, exec_lo
	s_and_not1_b32 s7, s50, exec_lo
	s_and_b32 s12, s31, exec_lo
	s_or_b32 s49, s1, s6
	s_and_not1_b32 s1, s48, exec_lo
	s_and_b32 s0, s0, exec_lo
	s_or_b32 s50, s7, s12
	s_and_b32 s28, s28, exec_lo
	s_and_b32 s27, s27, exec_lo
	;; [unrolled: 1-line block ×3, first 2 shown]
	s_or_b32 s48, s1, s0
.LBB79_816:
	s_or_b32 exec_lo, exec_lo, s51
	s_delay_alu instid0(SALU_CYCLE_1)
	s_and_not1_b32 s0, s44, exec_lo
	s_and_b32 s1, s49, exec_lo
	s_and_not1_b32 s6, s45, exec_lo
	s_and_b32 s7, s50, exec_lo
	s_or_b32 s44, s0, s1
	s_or_b32 s45, s6, s7
	s_and_not1_b32 s1, s46, exec_lo
	s_and_b32 s6, s48, exec_lo
	s_and_b32 s0, s28, exec_lo
	s_and_b32 s27, s27, exec_lo
	s_and_b32 s21, s26, exec_lo
	s_or_b32 s46, s1, s6
	s_or_b32 exec_lo, exec_lo, s47
	s_mov_b32 s1, 0
	s_and_saveexec_b32 s6, s46
	s_cbranch_execz .LBB79_245
.LBB79_817:
	s_mov_b32 s1, exec_lo
	s_and_not1_b32 s21, s21, exec_lo
	s_trap 2
	s_or_b32 exec_lo, exec_lo, s6
	s_and_saveexec_b32 s6, s21
	s_delay_alu instid0(SALU_CYCLE_1)
	s_xor_b32 s6, exec_lo, s6
	s_cbranch_execnz .LBB79_246
.LBB79_818:
	s_or_b32 exec_lo, exec_lo, s6
	s_and_saveexec_b32 s6, s27
	s_cbranch_execz .LBB79_864
.LBB79_819:
	s_sext_i32_i16 s7, s39
	s_delay_alu instid0(SALU_CYCLE_1)
	s_cmp_lt_i32 s7, 5
	s_cbranch_scc1 .LBB79_824
; %bb.820:
	s_cmp_lt_i32 s7, 8
	s_cbranch_scc1 .LBB79_825
; %bb.821:
	;; [unrolled: 3-line block ×3, first 2 shown]
	s_cmp_gt_i32 s7, 9
	s_cbranch_scc0 .LBB79_827
; %bb.823:
	global_load_b64 v[0:1], v[4:5], off
	s_mov_b32 s7, 0
	s_wait_loadcnt 0x0
	v_trunc_f64_e32 v[0:1], v[0:1]
	s_delay_alu instid0(VALU_DEP_1) | instskip(NEXT) | instid1(VALU_DEP_1)
	v_ldexp_f64 v[6:7], v[0:1], 0xffffffe0
	v_floor_f64_e32 v[6:7], v[6:7]
	s_delay_alu instid0(VALU_DEP_1) | instskip(SKIP_1) | instid1(VALU_DEP_2)
	v_fmamk_f64 v[0:1], v[6:7], 0xc1f00000, v[0:1]
	v_cvt_i32_f64_e32 v7, v[6:7]
	v_cvt_u32_f64_e32 v6, v[0:1]
	s_branch .LBB79_828
.LBB79_824:
                                        ; implicit-def: $vgpr6_vgpr7
	s_branch .LBB79_845
.LBB79_825:
                                        ; implicit-def: $vgpr6_vgpr7
	s_branch .LBB79_834
.LBB79_826:
	s_mov_b32 s7, -1
                                        ; implicit-def: $vgpr6_vgpr7
	s_branch .LBB79_831
.LBB79_827:
	s_mov_b32 s7, -1
                                        ; implicit-def: $vgpr6_vgpr7
.LBB79_828:
	s_delay_alu instid0(SALU_CYCLE_1)
	s_and_not1_b32 vcc_lo, exec_lo, s7
	s_cbranch_vccnz .LBB79_830
; %bb.829:
	global_load_b32 v0, v[4:5], off
	s_wait_loadcnt 0x0
	v_trunc_f32_e32 v0, v0
	s_delay_alu instid0(VALU_DEP_1) | instskip(NEXT) | instid1(VALU_DEP_1)
	v_mul_f32_e64 v1, 0x2f800000, |v0|
	v_floor_f32_e32 v1, v1
	s_delay_alu instid0(VALU_DEP_1) | instskip(SKIP_2) | instid1(VALU_DEP_3)
	v_fma_f32 v3, 0xcf800000, v1, |v0|
	v_ashrrev_i32_e32 v0, 31, v0
	v_cvt_u32_f32_e32 v6, v1
	v_cvt_u32_f32_e32 v3, v3
	s_delay_alu instid0(VALU_DEP_2) | instskip(NEXT) | instid1(VALU_DEP_2)
	v_dual_mov_b32 v1, v0 :: v_dual_bitop2_b32 v7, v6, v0 bitop3:0x14
	v_xor_b32_e32 v6, v3, v0
	s_delay_alu instid0(VALU_DEP_1)
	v_sub_nc_u64_e32 v[6:7], v[6:7], v[0:1]
.LBB79_830:
	s_mov_b32 s7, 0
.LBB79_831:
	s_delay_alu instid0(SALU_CYCLE_1)
	s_and_not1_b32 vcc_lo, exec_lo, s7
	s_cbranch_vccnz .LBB79_833
; %bb.832:
	global_load_b32 v0, v[4:5], off
	s_wait_loadcnt 0x0
	v_cvt_f32_f16_e32 v0, v0
	s_delay_alu instid0(VALU_DEP_1) | instskip(NEXT) | instid1(VALU_DEP_1)
	v_cvt_i32_f32_e32 v6, v0
	v_ashrrev_i32_e32 v7, 31, v6
.LBB79_833:
	s_cbranch_execnz .LBB79_844
.LBB79_834:
	s_sext_i32_i16 s7, s39
	s_delay_alu instid0(SALU_CYCLE_1)
	s_cmp_lt_i32 s7, 6
	s_cbranch_scc1 .LBB79_837
; %bb.835:
	s_cmp_gt_i32 s7, 6
	s_cbranch_scc0 .LBB79_838
; %bb.836:
	global_load_b64 v[0:1], v[4:5], off
	s_mov_b32 s7, 0
	s_wait_loadcnt 0x0
	v_trunc_f64_e32 v[0:1], v[0:1]
	s_delay_alu instid0(VALU_DEP_1) | instskip(NEXT) | instid1(VALU_DEP_1)
	v_ldexp_f64 v[6:7], v[0:1], 0xffffffe0
	v_floor_f64_e32 v[6:7], v[6:7]
	s_delay_alu instid0(VALU_DEP_1) | instskip(SKIP_1) | instid1(VALU_DEP_2)
	v_fmamk_f64 v[0:1], v[6:7], 0xc1f00000, v[0:1]
	v_cvt_i32_f64_e32 v7, v[6:7]
	v_cvt_u32_f64_e32 v6, v[0:1]
	s_branch .LBB79_839
.LBB79_837:
	s_mov_b32 s7, -1
                                        ; implicit-def: $vgpr6_vgpr7
	s_branch .LBB79_842
.LBB79_838:
	s_mov_b32 s7, -1
                                        ; implicit-def: $vgpr6_vgpr7
.LBB79_839:
	s_delay_alu instid0(SALU_CYCLE_1)
	s_and_not1_b32 vcc_lo, exec_lo, s7
	s_cbranch_vccnz .LBB79_841
; %bb.840:
	global_load_b32 v0, v[4:5], off
	s_wait_loadcnt 0x0
	v_trunc_f32_e32 v0, v0
	s_delay_alu instid0(VALU_DEP_1) | instskip(NEXT) | instid1(VALU_DEP_1)
	v_mul_f32_e64 v1, 0x2f800000, |v0|
	v_floor_f32_e32 v1, v1
	s_delay_alu instid0(VALU_DEP_1) | instskip(SKIP_2) | instid1(VALU_DEP_3)
	v_fma_f32 v3, 0xcf800000, v1, |v0|
	v_ashrrev_i32_e32 v0, 31, v0
	v_cvt_u32_f32_e32 v6, v1
	v_cvt_u32_f32_e32 v3, v3
	s_delay_alu instid0(VALU_DEP_2) | instskip(NEXT) | instid1(VALU_DEP_2)
	v_dual_mov_b32 v1, v0 :: v_dual_bitop2_b32 v7, v6, v0 bitop3:0x14
	v_xor_b32_e32 v6, v3, v0
	s_delay_alu instid0(VALU_DEP_1)
	v_sub_nc_u64_e32 v[6:7], v[6:7], v[0:1]
.LBB79_841:
	s_mov_b32 s7, 0
.LBB79_842:
	s_delay_alu instid0(SALU_CYCLE_1)
	s_and_not1_b32 vcc_lo, exec_lo, s7
	s_cbranch_vccnz .LBB79_844
; %bb.843:
	global_load_u16 v0, v[4:5], off
	s_wait_loadcnt 0x0
	v_cvt_f32_f16_e32 v0, v0
	s_delay_alu instid0(VALU_DEP_1) | instskip(NEXT) | instid1(VALU_DEP_1)
	v_cvt_i32_f32_e32 v6, v0
	v_ashrrev_i32_e32 v7, 31, v6
.LBB79_844:
	s_cbranch_execnz .LBB79_863
.LBB79_845:
	s_sext_i32_i16 s7, s39
	s_delay_alu instid0(SALU_CYCLE_1)
	s_cmp_lt_i32 s7, 2
	s_cbranch_scc1 .LBB79_849
; %bb.846:
	s_cmp_lt_i32 s7, 3
	s_cbranch_scc1 .LBB79_850
; %bb.847:
	s_cmp_gt_i32 s7, 3
	s_cbranch_scc0 .LBB79_851
; %bb.848:
	s_wait_loadcnt 0x0
	global_load_b64 v[6:7], v[4:5], off
	s_mov_b32 s7, 0
	s_branch .LBB79_852
.LBB79_849:
                                        ; implicit-def: $vgpr6_vgpr7
	s_branch .LBB79_858
.LBB79_850:
	s_mov_b32 s7, -1
                                        ; implicit-def: $vgpr6_vgpr7
	s_branch .LBB79_855
.LBB79_851:
	s_mov_b32 s7, -1
                                        ; implicit-def: $vgpr6_vgpr7
.LBB79_852:
	s_delay_alu instid0(SALU_CYCLE_1)
	s_and_not1_b32 vcc_lo, exec_lo, s7
	s_cbranch_vccnz .LBB79_854
; %bb.853:
	s_wait_loadcnt 0x0
	global_load_b32 v6, v[4:5], off
	s_wait_loadcnt 0x0
	v_ashrrev_i32_e32 v7, 31, v6
.LBB79_854:
	s_mov_b32 s7, 0
.LBB79_855:
	s_delay_alu instid0(SALU_CYCLE_1)
	s_and_not1_b32 vcc_lo, exec_lo, s7
	s_cbranch_vccnz .LBB79_857
; %bb.856:
	global_load_u16 v0, v[4:5], off
	s_wait_loadcnt 0x0
	v_bfe_i32 v6, v0, 0, 16
	s_delay_alu instid0(VALU_DEP_1)
	v_ashrrev_i32_e32 v7, 31, v6
.LBB79_857:
	s_cbranch_execnz .LBB79_863
.LBB79_858:
	s_sext_i32_i16 s7, s39
	s_delay_alu instid0(SALU_CYCLE_1)
	s_cmp_gt_i32 s7, 0
	s_mov_b32 s7, 0
	s_cbranch_scc0 .LBB79_860
; %bb.859:
	global_load_i8 v0, v[4:5], off
	s_wait_loadcnt 0x0
	v_bfe_i32 v6, v0, 0, 16
	s_delay_alu instid0(VALU_DEP_1)
	v_ashrrev_i32_e32 v7, 31, v6
	s_branch .LBB79_861
.LBB79_860:
	s_mov_b32 s7, -1
                                        ; implicit-def: $vgpr6_vgpr7
.LBB79_861:
	s_delay_alu instid0(SALU_CYCLE_1)
	s_and_not1_b32 vcc_lo, exec_lo, s7
	s_cbranch_vccnz .LBB79_863
; %bb.862:
	global_load_u8 v0, v[4:5], off
	s_mov_b32 s7, 0
	s_wait_loadcnt 0x1
	v_mov_b32_e32 v7, s7
	s_wait_loadcnt 0x0
	v_and_b32_e32 v6, 0xffff, v0
.LBB79_863:
	s_or_b32 s0, s0, exec_lo
.LBB79_864:
	s_wait_xcnt 0x0
	s_or_b32 exec_lo, exec_lo, s6
	s_mov_b32 s12, 0
	s_and_saveexec_b32 s6, s0
	s_delay_alu instid0(SALU_CYCLE_1)
	s_xor_b32 s6, exec_lo, s6
	s_cbranch_execz .LBB79_866
; %bb.865:
	s_wait_loadcnt 0x0
	s_delay_alu instid0(VALU_DEP_1) | instskip(SKIP_4) | instid1(SALU_CYCLE_1)
	v_cmp_le_i64_e32 vcc_lo, s[8:9], v[6:7]
	v_cmp_gt_i64_e64 s0, s[10:11], v[6:7]
	s_and_not1_b32 s7, s45, exec_lo
	s_mov_b32 s12, exec_lo
	s_and_b32 s0, vcc_lo, s0
	s_and_b32 s0, s13, s0
	s_delay_alu instid0(SALU_CYCLE_1) | instskip(NEXT) | instid1(SALU_CYCLE_1)
	s_xor_b32 s0, s0, -1
	s_and_b32 s0, s0, exec_lo
	s_delay_alu instid0(SALU_CYCLE_1)
	s_or_b32 s45, s7, s0
.LBB79_866:
	s_or_b32 exec_lo, exec_lo, s6
	s_and_saveexec_b32 s0, s45
	s_cbranch_execnz .LBB79_879
.LBB79_867:
	s_or_b32 exec_lo, exec_lo, s0
	s_mov_b32 s8, 0
	s_mov_b32 s7, 0
                                        ; implicit-def: $sgpr0
                                        ; implicit-def: $vgpr0_vgpr1
	s_and_saveexec_b32 s6, s12
	s_cbranch_execz .LBB79_875
; %bb.868:
	v_mov_b32_e32 v3, 0
	s_and_b32 s0, s38, 0xff
	s_delay_alu instid0(SALU_CYCLE_1) | instskip(NEXT) | instid1(VALU_DEP_1)
	s_cmp_lt_i32 s0, 11
	v_add_nc_u64_e32 v[0:1], s[4:5], v[2:3]
	s_cbranch_scc1 .LBB79_878
; %bb.869:
	s_and_b32 s5, 0xffff, s0
	s_mov_b32 s7, -1
	s_cmp_gt_i32 s5, 25
	s_mov_b32 s4, s44
	s_cbranch_scc0 .LBB79_899
; %bb.870:
	s_cmp_gt_i32 s5, 28
	s_mov_b32 s4, s44
	s_cbranch_scc0 .LBB79_889
; %bb.871:
	;; [unrolled: 4-line block ×4, first 2 shown]
	s_cmp_eq_u32 s5, 46
	s_mov_b32 s4, -1
	s_cbranch_scc0 .LBB79_880
; %bb.874:
	v_mov_b32_e32 v2, 0
	s_mov_b32 s4, 0
	s_mov_b32 s7, 0
	global_store_b32 v[0:1], v2, off
	s_branch .LBB79_881
.LBB79_875:
	s_or_b32 exec_lo, exec_lo, s6
	s_and_saveexec_b32 s4, s44
	s_cbranch_execnz .LBB79_918
.LBB79_876:
	s_or_b32 exec_lo, exec_lo, s4
	s_and_saveexec_b32 s4, s8
	s_delay_alu instid0(SALU_CYCLE_1)
	s_xor_b32 s4, exec_lo, s4
	s_cbranch_execz .LBB79_919
.LBB79_877:
	v_mov_b32_e32 v2, 0
	global_store_b8 v[0:1], v2, off
	s_wait_xcnt 0x0
	s_or_b32 exec_lo, exec_lo, s4
	s_and_saveexec_b32 s4, s7
	s_delay_alu instid0(SALU_CYCLE_1)
	s_xor_b32 s4, exec_lo, s4
	s_cbranch_execz .LBB79_957
	s_branch .LBB79_920
.LBB79_878:
	s_mov_b32 s7, -1
	s_mov_b32 s4, s44
	s_branch .LBB79_917
.LBB79_879:
	s_or_b32 s1, s1, exec_lo
	s_and_not1_b32 s12, s12, exec_lo
	s_trap 2
	s_branch .LBB79_867
.LBB79_880:
	s_mov_b32 s7, 0
.LBB79_881:
	s_delay_alu instid0(SALU_CYCLE_1)
	s_and_b32 vcc_lo, exec_lo, s7
	s_cbranch_vccz .LBB79_884
; %bb.882:
	s_cmp_eq_u32 s5, 44
	s_mov_b32 s4, -1
	s_cbranch_scc0 .LBB79_884
; %bb.883:
	s_wait_xcnt 0x0
	v_mov_b32_e32 v2, 0
	s_mov_b32 s4, 0
	s_mov_b32 s7, 0
	global_store_b8 v[0:1], v2, off
	s_branch .LBB79_885
.LBB79_884:
	s_mov_b32 s7, 0
.LBB79_885:
	s_delay_alu instid0(SALU_CYCLE_1)
	s_and_b32 vcc_lo, exec_lo, s7
	s_cbranch_vccz .LBB79_888
; %bb.886:
	s_cmp_eq_u32 s5, 29
	s_mov_b32 s4, -1
	s_cbranch_scc0 .LBB79_888
; %bb.887:
	s_wait_xcnt 0x0
	v_mov_b64_e32 v[2:3], 0
	s_mov_b32 s4, 0
	s_mov_b32 s7, 0
	global_store_b64 v[0:1], v[2:3], off
	s_branch .LBB79_889
.LBB79_888:
	s_mov_b32 s7, 0
.LBB79_889:
	s_delay_alu instid0(SALU_CYCLE_1)
	s_and_b32 vcc_lo, exec_lo, s7
	s_cbranch_vccz .LBB79_898
; %bb.890:
	s_cmp_lt_i32 s5, 27
	s_mov_b32 s7, -1
	s_cbranch_scc1 .LBB79_896
; %bb.891:
	s_cmp_gt_i32 s5, 27
	s_cbranch_scc0 .LBB79_893
; %bb.892:
	s_wait_xcnt 0x0
	v_mov_b32_e32 v2, 0
	s_mov_b32 s7, 0
	global_store_b32 v[0:1], v2, off
.LBB79_893:
	s_and_not1_b32 vcc_lo, exec_lo, s7
	s_cbranch_vccnz .LBB79_895
; %bb.894:
	s_wait_xcnt 0x0
	v_mov_b32_e32 v2, 0
	global_store_b16 v[0:1], v2, off
.LBB79_895:
	s_mov_b32 s7, 0
.LBB79_896:
	s_delay_alu instid0(SALU_CYCLE_1)
	s_and_not1_b32 vcc_lo, exec_lo, s7
	s_cbranch_vccnz .LBB79_898
; %bb.897:
	s_wait_xcnt 0x0
	v_mov_b32_e32 v2, 0
	global_store_b8 v[0:1], v2, off
.LBB79_898:
	s_mov_b32 s7, 0
.LBB79_899:
	s_delay_alu instid0(SALU_CYCLE_1)
	s_and_b32 vcc_lo, exec_lo, s7
	s_mov_b32 s7, 0
	s_cbranch_vccz .LBB79_917
; %bb.900:
	s_cmp_gt_i32 s5, 22
	s_mov_b32 s8, -1
	s_cbranch_scc0 .LBB79_910
; %bb.901:
	s_cmp_lt_i32 s5, 24
	s_cbranch_scc1 .LBB79_907
; %bb.902:
	s_cmp_gt_i32 s5, 24
	s_cbranch_scc0 .LBB79_904
; %bb.903:
	s_wait_xcnt 0x0
	v_mov_b32_e32 v2, 0
	s_mov_b32 s8, 0
	global_store_b8 v[0:1], v2, off
.LBB79_904:
	s_and_not1_b32 vcc_lo, exec_lo, s8
	s_cbranch_vccnz .LBB79_906
; %bb.905:
	s_wait_xcnt 0x0
	v_mov_b32_e32 v2, 0
	global_store_b8 v[0:1], v2, off
.LBB79_906:
	s_mov_b32 s8, 0
.LBB79_907:
	s_delay_alu instid0(SALU_CYCLE_1)
	s_and_not1_b32 vcc_lo, exec_lo, s8
	s_cbranch_vccnz .LBB79_909
; %bb.908:
	s_wait_xcnt 0x0
	v_mov_b32_e32 v2, 0
	global_store_b8 v[0:1], v2, off
.LBB79_909:
	s_mov_b32 s8, 0
.LBB79_910:
	s_delay_alu instid0(SALU_CYCLE_1)
	s_and_not1_b32 vcc_lo, exec_lo, s8
	s_mov_b32 s8, 0
	s_cbranch_vccnz .LBB79_917
; %bb.911:
	s_cmp_gt_i32 s5, 14
	s_mov_b32 s8, -1
	s_cbranch_scc0 .LBB79_915
; %bb.912:
	s_cmp_eq_u32 s5, 15
	s_mov_b32 s4, -1
	s_cbranch_scc0 .LBB79_914
; %bb.913:
	s_wait_xcnt 0x0
	v_mov_b32_e32 v2, 0
	s_mov_b32 s4, 0
	global_store_b16 v[0:1], v2, off
.LBB79_914:
	s_mov_b32 s8, 0
.LBB79_915:
	s_delay_alu instid0(SALU_CYCLE_1)
	s_and_b32 vcc_lo, exec_lo, s8
	s_mov_b32 s8, 0
	s_cbranch_vccz .LBB79_917
; %bb.916:
	s_cmp_lg_u32 s5, 11
	s_mov_b32 s8, -1
	s_cselect_b32 s5, -1, 0
	s_and_not1_b32 s4, s4, exec_lo
	s_and_b32 s5, s5, exec_lo
	s_delay_alu instid0(SALU_CYCLE_1)
	s_or_b32 s4, s4, s5
.LBB79_917:
	s_and_not1_b32 s5, s44, exec_lo
	s_and_b32 s4, s4, exec_lo
	s_and_b32 s7, s7, exec_lo
	s_and_b32 s8, s8, exec_lo
	s_or_b32 s44, s5, s4
	s_wait_xcnt 0x0
	s_or_b32 exec_lo, exec_lo, s6
	s_and_saveexec_b32 s4, s44
	s_cbranch_execz .LBB79_876
.LBB79_918:
	s_or_b32 s1, s1, exec_lo
	s_and_not1_b32 s8, s8, exec_lo
	s_trap 2
	s_or_b32 exec_lo, exec_lo, s4
	s_and_saveexec_b32 s4, s8
	s_delay_alu instid0(SALU_CYCLE_1)
	s_xor_b32 s4, exec_lo, s4
	s_cbranch_execnz .LBB79_877
.LBB79_919:
	s_or_b32 exec_lo, exec_lo, s4
	s_and_saveexec_b32 s4, s7
	s_delay_alu instid0(SALU_CYCLE_1)
	s_xor_b32 s4, exec_lo, s4
	s_cbranch_execz .LBB79_957
.LBB79_920:
	s_sext_i32_i16 s6, s0
	s_mov_b32 s5, -1
	s_cmp_lt_i32 s6, 5
	s_cbranch_scc1 .LBB79_941
; %bb.921:
	s_cmp_lt_i32 s6, 8
	s_cbranch_scc1 .LBB79_931
; %bb.922:
	;; [unrolled: 3-line block ×3, first 2 shown]
	s_cmp_gt_i32 s6, 9
	s_cbranch_scc0 .LBB79_925
; %bb.924:
	v_mov_b32_e32 v2, 0
	s_mov_b32 s5, 0
	s_delay_alu instid0(VALU_DEP_1)
	v_dual_mov_b32 v3, v2 :: v_dual_mov_b32 v4, v2
	v_mov_b32_e32 v5, v2
	global_store_b128 v[0:1], v[2:5], off
.LBB79_925:
	s_and_not1_b32 vcc_lo, exec_lo, s5
	s_cbranch_vccnz .LBB79_927
; %bb.926:
	s_wait_xcnt 0x0
	v_mov_b64_e32 v[2:3], 0
	global_store_b64 v[0:1], v[2:3], off
.LBB79_927:
	s_mov_b32 s5, 0
.LBB79_928:
	s_delay_alu instid0(SALU_CYCLE_1)
	s_and_not1_b32 vcc_lo, exec_lo, s5
	s_cbranch_vccnz .LBB79_930
; %bb.929:
	s_wait_xcnt 0x0
	v_mov_b32_e32 v2, 0
	global_store_b32 v[0:1], v2, off
.LBB79_930:
	s_mov_b32 s5, 0
.LBB79_931:
	s_delay_alu instid0(SALU_CYCLE_1)
	s_and_not1_b32 vcc_lo, exec_lo, s5
	s_cbranch_vccnz .LBB79_940
; %bb.932:
	s_sext_i32_i16 s6, s0
	s_mov_b32 s5, -1
	s_cmp_lt_i32 s6, 6
	s_cbranch_scc1 .LBB79_938
; %bb.933:
	s_cmp_gt_i32 s6, 6
	s_cbranch_scc0 .LBB79_935
; %bb.934:
	s_wait_xcnt 0x0
	v_mov_b64_e32 v[2:3], 0
	s_mov_b32 s5, 0
	global_store_b64 v[0:1], v[2:3], off
.LBB79_935:
	s_and_not1_b32 vcc_lo, exec_lo, s5
	s_cbranch_vccnz .LBB79_937
; %bb.936:
	s_wait_xcnt 0x0
	v_mov_b32_e32 v2, 0
	global_store_b32 v[0:1], v2, off
.LBB79_937:
	s_mov_b32 s5, 0
.LBB79_938:
	s_delay_alu instid0(SALU_CYCLE_1)
	s_and_not1_b32 vcc_lo, exec_lo, s5
	s_cbranch_vccnz .LBB79_940
; %bb.939:
	s_wait_xcnt 0x0
	v_mov_b32_e32 v2, 0
	global_store_b16 v[0:1], v2, off
.LBB79_940:
	s_mov_b32 s5, 0
.LBB79_941:
	s_delay_alu instid0(SALU_CYCLE_1)
	s_and_not1_b32 vcc_lo, exec_lo, s5
	s_cbranch_vccnz .LBB79_957
; %bb.942:
	s_sext_i32_i16 s6, s0
	s_mov_b32 s5, -1
	s_cmp_lt_i32 s6, 2
	s_cbranch_scc1 .LBB79_952
; %bb.943:
	s_cmp_lt_i32 s6, 3
	s_cbranch_scc1 .LBB79_949
; %bb.944:
	s_cmp_gt_i32 s6, 3
	s_cbranch_scc0 .LBB79_946
; %bb.945:
	s_wait_xcnt 0x0
	v_mov_b64_e32 v[2:3], 0
	s_mov_b32 s5, 0
	global_store_b64 v[0:1], v[2:3], off
.LBB79_946:
	s_and_not1_b32 vcc_lo, exec_lo, s5
	s_cbranch_vccnz .LBB79_948
; %bb.947:
	s_wait_xcnt 0x0
	v_mov_b32_e32 v2, 0
	global_store_b32 v[0:1], v2, off
.LBB79_948:
	s_mov_b32 s5, 0
.LBB79_949:
	s_delay_alu instid0(SALU_CYCLE_1)
	s_and_not1_b32 vcc_lo, exec_lo, s5
	s_cbranch_vccnz .LBB79_951
; %bb.950:
	s_wait_xcnt 0x0
	v_mov_b32_e32 v2, 0
	global_store_b16 v[0:1], v2, off
.LBB79_951:
	s_mov_b32 s5, 0
.LBB79_952:
	s_delay_alu instid0(SALU_CYCLE_1)
	s_and_not1_b32 vcc_lo, exec_lo, s5
	s_cbranch_vccnz .LBB79_957
; %bb.953:
	s_sext_i32_i16 s0, s0
	s_delay_alu instid0(SALU_CYCLE_1)
	s_cmp_gt_i32 s0, 0
	s_mov_b32 s0, -1
	s_cbranch_scc0 .LBB79_955
; %bb.954:
	s_wait_xcnt 0x0
	v_mov_b32_e32 v2, 0
	s_mov_b32 s0, 0
	global_store_b8 v[0:1], v2, off
.LBB79_955:
	s_and_not1_b32 vcc_lo, exec_lo, s0
	s_cbranch_vccnz .LBB79_957
; %bb.956:
	s_wait_xcnt 0x0
	v_mov_b32_e32 v2, 0
	global_store_b8 v[0:1], v2, off
.LBB79_957:
	s_wait_xcnt 0x0
	s_or_b32 exec_lo, exec_lo, s4
	s_delay_alu instid0(SALU_CYCLE_1)
	s_and_b32 s12, s1, exec_lo
                                        ; implicit-def: $vgpr9
                                        ; implicit-def: $vgpr0
.LBB79_958:
	s_or_saveexec_b32 s13, s37
	s_mov_b32 s4, 0
                                        ; implicit-def: $vgpr14_vgpr15
                                        ; implicit-def: $sgpr0
	s_xor_b32 exec_lo, exec_lo, s13
	s_cbranch_execz .LBB79_1853
; %bb.959:
	v_cndmask_b32_e64 v1, 0, 1, s36
	s_and_not1_b32 vcc_lo, exec_lo, s36
	s_cbranch_vccnz .LBB79_965
; %bb.960:
	s_cmp_lg_u32 s33, 0
	s_mov_b32 s8, 0
	s_cbranch_scc0 .LBB79_966
; %bb.961:
	s_min_u32 s1, s34, 15
	s_delay_alu instid0(SALU_CYCLE_1)
	s_add_co_i32 s1, s1, 1
	s_cmp_eq_u32 s34, 2
	s_cbranch_scc1 .LBB79_967
; %bb.962:
	s_wait_loadcnt 0x0
	v_dual_mov_b32 v6, 0 :: v_dual_mov_b32 v14, 0
	v_mov_b32_e32 v2, v0
	s_and_b32 s0, s1, 28
	s_add_nc_u64 s[4:5], s[2:3], 0xc4
	s_mov_b32 s9, 0
	s_mov_b64 s[6:7], s[2:3]
.LBB79_963:                             ; =>This Inner Loop Header: Depth=1
	s_clause 0x1
	s_load_b256 s[16:23], s[6:7], 0x4
	s_load_b128 s[36:39], s[6:7], 0x24
	s_load_b256 s[24:31], s[4:5], 0x0
	s_add_co_i32 s9, s9, 4
	s_wait_xcnt 0x0
	s_add_nc_u64 s[6:7], s[6:7], 48
	s_cmp_lg_u32 s0, s9
	s_add_nc_u64 s[4:5], s[4:5], 32
	s_wait_kmcnt 0x0
	v_mul_hi_u32 v3, s17, v2
	s_delay_alu instid0(VALU_DEP_1) | instskip(NEXT) | instid1(VALU_DEP_1)
	v_add_nc_u32_e32 v3, v2, v3
	v_lshrrev_b32_e32 v3, s18, v3
	s_delay_alu instid0(VALU_DEP_1) | instskip(NEXT) | instid1(VALU_DEP_1)
	v_mul_hi_u32 v4, s20, v3
	v_add_nc_u32_e32 v4, v3, v4
	s_delay_alu instid0(VALU_DEP_1) | instskip(NEXT) | instid1(VALU_DEP_1)
	v_lshrrev_b32_e32 v4, s21, v4
	v_mul_hi_u32 v5, s23, v4
	s_delay_alu instid0(VALU_DEP_1) | instskip(SKIP_1) | instid1(VALU_DEP_1)
	v_add_nc_u32_e32 v5, v4, v5
	v_mul_lo_u32 v7, v3, s16
	v_sub_nc_u32_e32 v2, v2, v7
	v_mul_lo_u32 v7, v4, s19
	s_delay_alu instid0(VALU_DEP_4) | instskip(NEXT) | instid1(VALU_DEP_3)
	v_lshrrev_b32_e32 v5, s36, v5
	v_mad_u32 v10, v2, s25, v14
	v_mad_u32 v2, v2, s24, v6
	s_delay_alu instid0(VALU_DEP_4) | instskip(NEXT) | instid1(VALU_DEP_4)
	v_sub_nc_u32_e32 v3, v3, v7
	v_mul_hi_u32 v8, s38, v5
	v_mul_lo_u32 v6, v5, s22
	s_delay_alu instid0(VALU_DEP_1) | instskip(NEXT) | instid1(VALU_DEP_4)
	v_dual_add_nc_u32 v7, v5, v8 :: v_dual_sub_nc_u32 v4, v4, v6
	v_mad_u32 v8, v3, s27, v10
	v_mad_u32 v3, v3, s26, v2
	s_delay_alu instid0(VALU_DEP_3) | instskip(NEXT) | instid1(VALU_DEP_1)
	v_lshrrev_b32_e32 v2, s39, v7
	v_mul_lo_u32 v6, v2, s37
	s_delay_alu instid0(VALU_DEP_4) | instskip(NEXT) | instid1(VALU_DEP_4)
	v_mad_u32 v7, v4, s29, v8
	v_mad_u32 v3, v4, s28, v3
	s_delay_alu instid0(VALU_DEP_3) | instskip(NEXT) | instid1(VALU_DEP_1)
	v_sub_nc_u32_e32 v4, v5, v6
	v_mad_u32 v14, v4, s31, v7
	s_delay_alu instid0(VALU_DEP_3)
	v_mad_u32 v6, v4, s30, v3
	s_cbranch_scc1 .LBB79_963
; %bb.964:
	s_delay_alu instid0(VALU_DEP_2)
	v_mov_b32_e32 v7, v14
	s_and_b32 s6, s1, 3
	s_mov_b32 s1, 0
	s_cmp_eq_u32 s6, 0
	s_cbranch_scc0 .LBB79_968
	s_branch .LBB79_971
.LBB79_965:
	s_mov_b32 s8, -1
                                        ; implicit-def: $vgpr14
                                        ; implicit-def: $vgpr6
	s_branch .LBB79_971
.LBB79_966:
	s_wait_loadcnt 0x0
	v_dual_mov_b32 v14, 0 :: v_dual_mov_b32 v6, 0
	s_branch .LBB79_971
.LBB79_967:
	s_wait_loadcnt 0x0
	v_mov_b64_e32 v[6:7], 0
	v_mov_b32_e32 v2, v0
	s_mov_b32 s0, 0
                                        ; implicit-def: $vgpr14
	s_and_b32 s6, s1, 3
	s_mov_b32 s1, 0
	s_cmp_eq_u32 s6, 0
	s_cbranch_scc1 .LBB79_971
.LBB79_968:
	s_lshl_b32 s4, s0, 3
	s_mov_b32 s5, s1
	s_mul_u64 s[10:11], s[0:1], 12
	s_add_nc_u64 s[4:5], s[2:3], s[4:5]
	s_delay_alu instid0(SALU_CYCLE_1)
	s_add_nc_u64 s[0:1], s[4:5], 0xc4
	s_add_nc_u64 s[4:5], s[2:3], s[10:11]
.LBB79_969:                             ; =>This Inner Loop Header: Depth=1
	s_load_b96 s[16:18], s[4:5], 0x4
	s_load_b64 s[10:11], s[0:1], 0x0
	s_add_co_i32 s6, s6, -1
	s_wait_xcnt 0x0
	s_add_nc_u64 s[4:5], s[4:5], 12
	s_cmp_lg_u32 s6, 0
	s_add_nc_u64 s[0:1], s[0:1], 8
	s_wait_kmcnt 0x0
	v_mul_hi_u32 v3, s17, v2
	s_delay_alu instid0(VALU_DEP_1) | instskip(NEXT) | instid1(VALU_DEP_1)
	v_add_nc_u32_e32 v3, v2, v3
	v_lshrrev_b32_e32 v3, s18, v3
	s_delay_alu instid0(VALU_DEP_1) | instskip(NEXT) | instid1(VALU_DEP_1)
	v_mul_lo_u32 v4, v3, s16
	v_sub_nc_u32_e32 v2, v2, v4
	s_delay_alu instid0(VALU_DEP_1)
	v_mad_u32 v7, v2, s11, v7
	v_mad_u32 v6, v2, s10, v6
	v_mov_b32_e32 v2, v3
	s_cbranch_scc1 .LBB79_969
; %bb.970:
	s_delay_alu instid0(VALU_DEP_3)
	v_mov_b32_e32 v14, v7
.LBB79_971:
	s_and_not1_b32 vcc_lo, exec_lo, s8
	s_cbranch_vccnz .LBB79_974
; %bb.972:
	s_clause 0x1
	s_load_b96 s[4:6], s[2:3], 0x4
	s_load_b64 s[0:1], s[2:3], 0xc4
	s_cmp_lt_u32 s33, 2
	s_wait_kmcnt 0x0
	v_mul_hi_u32 v2, s5, v0
	s_delay_alu instid0(VALU_DEP_1) | instskip(NEXT) | instid1(VALU_DEP_1)
	v_add_nc_u32_e32 v2, v0, v2
	v_lshrrev_b32_e32 v2, s6, v2
	s_delay_alu instid0(VALU_DEP_1) | instskip(NEXT) | instid1(VALU_DEP_1)
	v_mul_lo_u32 v3, v2, s4
	v_sub_nc_u32_e32 v3, v0, v3
	s_delay_alu instid0(VALU_DEP_1)
	v_mul_lo_u32 v14, v3, s1
	s_wait_loadcnt 0x0
	v_mul_lo_u32 v6, v3, s0
	s_cbranch_scc1 .LBB79_974
; %bb.973:
	s_clause 0x1
	s_load_b96 s[4:6], s[2:3], 0x10
	s_load_b64 s[0:1], s[2:3], 0xcc
	s_wait_kmcnt 0x0
	v_mul_hi_u32 v3, s5, v2
	s_delay_alu instid0(VALU_DEP_1) | instskip(NEXT) | instid1(VALU_DEP_1)
	v_add_nc_u32_e32 v3, v2, v3
	v_lshrrev_b32_e32 v3, s6, v3
	s_delay_alu instid0(VALU_DEP_1) | instskip(NEXT) | instid1(VALU_DEP_1)
	v_mul_lo_u32 v3, v3, s4
	v_sub_nc_u32_e32 v2, v2, v3
	s_delay_alu instid0(VALU_DEP_1)
	v_mad_u32 v6, v2, s0, v6
	v_mad_u32 v14, v2, s1, v14
.LBB79_974:
	v_cmp_ne_u32_e32 vcc_lo, 1, v1
	v_add_nc_u32_e32 v2, 0x80, v0
	s_cbranch_vccnz .LBB79_980
; %bb.975:
	s_cmp_lg_u32 s33, 0
	s_mov_b32 s8, 0
	s_cbranch_scc0 .LBB79_981
; %bb.976:
	s_min_u32 s1, s34, 15
	s_delay_alu instid0(SALU_CYCLE_1)
	s_add_co_i32 s1, s1, 1
	s_cmp_eq_u32 s34, 2
	s_cbranch_scc1 .LBB79_982
; %bb.977:
	v_dual_mov_b32 v4, 0 :: v_dual_mov_b32 v12, 0
	v_mov_b32_e32 v3, v2
	s_and_b32 s0, s1, 28
	s_add_nc_u64 s[4:5], s[2:3], 0xc4
	s_mov_b32 s9, 0
	s_mov_b64 s[6:7], s[2:3]
.LBB79_978:                             ; =>This Inner Loop Header: Depth=1
	s_clause 0x1
	s_load_b256 s[16:23], s[6:7], 0x4
	s_load_b128 s[36:39], s[6:7], 0x24
	s_load_b256 s[24:31], s[4:5], 0x0
	s_add_co_i32 s9, s9, 4
	s_wait_xcnt 0x0
	s_add_nc_u64 s[6:7], s[6:7], 48
	s_cmp_lg_u32 s0, s9
	s_add_nc_u64 s[4:5], s[4:5], 32
	s_wait_kmcnt 0x0
	v_mul_hi_u32 v5, s17, v3
	s_delay_alu instid0(VALU_DEP_1) | instskip(NEXT) | instid1(VALU_DEP_1)
	v_add_nc_u32_e32 v5, v3, v5
	v_lshrrev_b32_e32 v5, s18, v5
	s_wait_loadcnt 0x0
	s_delay_alu instid0(VALU_DEP_1) | instskip(NEXT) | instid1(VALU_DEP_1)
	v_mul_hi_u32 v7, s20, v5
	v_add_nc_u32_e32 v7, v5, v7
	s_delay_alu instid0(VALU_DEP_1) | instskip(NEXT) | instid1(VALU_DEP_1)
	v_lshrrev_b32_e32 v7, s21, v7
	v_mul_hi_u32 v8, s23, v7
	s_delay_alu instid0(VALU_DEP_1) | instskip(SKIP_1) | instid1(VALU_DEP_1)
	v_add_nc_u32_e32 v8, v7, v8
	v_mul_lo_u32 v10, v5, s16
	v_sub_nc_u32_e32 v3, v3, v10
	v_mul_lo_u32 v10, v7, s19
	s_delay_alu instid0(VALU_DEP_4) | instskip(NEXT) | instid1(VALU_DEP_3)
	v_lshrrev_b32_e32 v8, s36, v8
	v_mad_u32 v12, v3, s25, v12
	v_mad_u32 v3, v3, s24, v4
	s_delay_alu instid0(VALU_DEP_4) | instskip(NEXT) | instid1(VALU_DEP_4)
	v_sub_nc_u32_e32 v4, v5, v10
	v_mul_hi_u32 v11, s38, v8
	v_mul_lo_u32 v5, v8, s22
	s_delay_alu instid0(VALU_DEP_1) | instskip(NEXT) | instid1(VALU_DEP_4)
	v_dual_add_nc_u32 v10, v8, v11 :: v_dual_sub_nc_u32 v5, v7, v5
	v_mad_u32 v11, v4, s27, v12
	v_mad_u32 v4, v4, s26, v3
	s_delay_alu instid0(VALU_DEP_3) | instskip(NEXT) | instid1(VALU_DEP_1)
	v_lshrrev_b32_e32 v3, s39, v10
	v_mul_lo_u32 v7, v3, s37
	s_delay_alu instid0(VALU_DEP_4) | instskip(NEXT) | instid1(VALU_DEP_4)
	v_mad_u32 v10, v5, s29, v11
	v_mad_u32 v4, v5, s28, v4
	s_delay_alu instid0(VALU_DEP_3) | instskip(NEXT) | instid1(VALU_DEP_1)
	v_sub_nc_u32_e32 v5, v8, v7
	v_mad_u32 v12, v5, s31, v10
	s_delay_alu instid0(VALU_DEP_3)
	v_mad_u32 v4, v5, s30, v4
	s_cbranch_scc1 .LBB79_978
; %bb.979:
	s_delay_alu instid0(VALU_DEP_2)
	v_mov_b32_e32 v5, v12
	s_and_b32 s6, s1, 3
	s_mov_b32 s1, 0
	s_cmp_eq_u32 s6, 0
	s_cbranch_scc0 .LBB79_983
	s_branch .LBB79_986
.LBB79_980:
	s_mov_b32 s8, -1
                                        ; implicit-def: $vgpr12
                                        ; implicit-def: $vgpr4
	s_branch .LBB79_986
.LBB79_981:
	v_dual_mov_b32 v12, 0 :: v_dual_mov_b32 v4, 0
	s_branch .LBB79_986
.LBB79_982:
	v_mov_b64_e32 v[4:5], 0
	v_mov_b32_e32 v3, v2
	s_mov_b32 s0, 0
                                        ; implicit-def: $vgpr12
	s_and_b32 s6, s1, 3
	s_mov_b32 s1, 0
	s_cmp_eq_u32 s6, 0
	s_cbranch_scc1 .LBB79_986
.LBB79_983:
	s_lshl_b32 s4, s0, 3
	s_mov_b32 s5, s1
	s_mul_u64 s[10:11], s[0:1], 12
	s_add_nc_u64 s[4:5], s[2:3], s[4:5]
	s_delay_alu instid0(SALU_CYCLE_1)
	s_add_nc_u64 s[0:1], s[4:5], 0xc4
	s_add_nc_u64 s[4:5], s[2:3], s[10:11]
.LBB79_984:                             ; =>This Inner Loop Header: Depth=1
	s_load_b96 s[16:18], s[4:5], 0x4
	s_load_b64 s[10:11], s[0:1], 0x0
	s_add_co_i32 s6, s6, -1
	s_wait_xcnt 0x0
	s_add_nc_u64 s[4:5], s[4:5], 12
	s_cmp_lg_u32 s6, 0
	s_add_nc_u64 s[0:1], s[0:1], 8
	s_wait_loadcnt 0x0
	s_wait_kmcnt 0x0
	v_mul_hi_u32 v7, s17, v3
	s_delay_alu instid0(VALU_DEP_1) | instskip(NEXT) | instid1(VALU_DEP_1)
	v_add_nc_u32_e32 v7, v3, v7
	v_lshrrev_b32_e32 v7, s18, v7
	s_delay_alu instid0(VALU_DEP_1) | instskip(NEXT) | instid1(VALU_DEP_1)
	v_mul_lo_u32 v8, v7, s16
	v_sub_nc_u32_e32 v3, v3, v8
	s_delay_alu instid0(VALU_DEP_1)
	v_mad_u32 v5, v3, s11, v5
	v_mad_u32 v4, v3, s10, v4
	v_mov_b32_e32 v3, v7
	s_cbranch_scc1 .LBB79_984
; %bb.985:
	s_delay_alu instid0(VALU_DEP_3)
	v_mov_b32_e32 v12, v5
.LBB79_986:
	s_and_not1_b32 vcc_lo, exec_lo, s8
	s_cbranch_vccnz .LBB79_989
; %bb.987:
	s_clause 0x1
	s_load_b96 s[4:6], s[2:3], 0x4
	s_load_b64 s[0:1], s[2:3], 0xc4
	s_cmp_lt_u32 s33, 2
	s_wait_kmcnt 0x0
	v_mul_hi_u32 v3, s5, v2
	s_delay_alu instid0(VALU_DEP_1) | instskip(NEXT) | instid1(VALU_DEP_1)
	v_add_nc_u32_e32 v3, v2, v3
	v_lshrrev_b32_e32 v3, s6, v3
	s_delay_alu instid0(VALU_DEP_1) | instskip(NEXT) | instid1(VALU_DEP_1)
	v_mul_lo_u32 v4, v3, s4
	v_sub_nc_u32_e32 v2, v2, v4
	s_delay_alu instid0(VALU_DEP_1)
	v_mul_lo_u32 v12, v2, s1
	v_mul_lo_u32 v4, v2, s0
	s_cbranch_scc1 .LBB79_989
; %bb.988:
	s_clause 0x1
	s_load_b96 s[4:6], s[2:3], 0x10
	s_load_b64 s[0:1], s[2:3], 0xcc
	s_wait_kmcnt 0x0
	v_mul_hi_u32 v2, s5, v3
	s_delay_alu instid0(VALU_DEP_1) | instskip(NEXT) | instid1(VALU_DEP_1)
	v_add_nc_u32_e32 v2, v3, v2
	v_lshrrev_b32_e32 v2, s6, v2
	s_delay_alu instid0(VALU_DEP_1) | instskip(NEXT) | instid1(VALU_DEP_1)
	v_mul_lo_u32 v2, v2, s4
	v_sub_nc_u32_e32 v2, v3, v2
	s_delay_alu instid0(VALU_DEP_1)
	v_mad_u32 v4, v2, s0, v4
	v_mad_u32 v12, v2, s1, v12
.LBB79_989:
	v_cmp_ne_u32_e32 vcc_lo, 1, v1
	v_add_nc_u32_e32 v0, 0x100, v0
	s_cbranch_vccnz .LBB79_995
; %bb.990:
	s_cmp_lg_u32 s33, 0
	s_mov_b32 s8, 0
	s_cbranch_scc0 .LBB79_996
; %bb.991:
	s_min_u32 s1, s34, 15
	s_delay_alu instid0(SALU_CYCLE_1)
	s_add_co_i32 s1, s1, 1
	s_cmp_eq_u32 s34, 2
	s_cbranch_scc1 .LBB79_997
; %bb.992:
	v_dual_mov_b32 v2, 0 :: v_dual_mov_b32 v10, 0
	v_mov_b32_e32 v5, v0
	s_and_b32 s0, s1, 28
	s_add_nc_u64 s[4:5], s[2:3], 0xc4
	s_mov_b32 s9, 0
	s_mov_b64 s[6:7], s[2:3]
.LBB79_993:                             ; =>This Inner Loop Header: Depth=1
	s_clause 0x1
	s_load_b256 s[16:23], s[6:7], 0x4
	s_load_b128 s[36:39], s[6:7], 0x24
	s_load_b256 s[24:31], s[4:5], 0x0
	s_add_co_i32 s9, s9, 4
	s_wait_xcnt 0x0
	s_add_nc_u64 s[6:7], s[6:7], 48
	s_cmp_lg_u32 s0, s9
	s_add_nc_u64 s[4:5], s[4:5], 32
	s_wait_kmcnt 0x0
	v_mul_hi_u32 v3, s17, v5
	s_delay_alu instid0(VALU_DEP_1) | instskip(NEXT) | instid1(VALU_DEP_1)
	v_add_nc_u32_e32 v3, v5, v3
	v_lshrrev_b32_e32 v3, s18, v3
	s_wait_loadcnt 0x0
	s_delay_alu instid0(VALU_DEP_1) | instskip(NEXT) | instid1(VALU_DEP_1)
	v_mul_hi_u32 v7, s20, v3
	v_add_nc_u32_e32 v7, v3, v7
	s_delay_alu instid0(VALU_DEP_1) | instskip(NEXT) | instid1(VALU_DEP_1)
	v_lshrrev_b32_e32 v7, s21, v7
	v_mul_hi_u32 v8, s23, v7
	s_delay_alu instid0(VALU_DEP_1) | instskip(NEXT) | instid1(VALU_DEP_1)
	v_add_nc_u32_e32 v8, v7, v8
	v_lshrrev_b32_e32 v8, s36, v8
	v_mul_lo_u32 v11, v3, s16
	s_delay_alu instid0(VALU_DEP_2) | instskip(NEXT) | instid1(VALU_DEP_2)
	v_mul_hi_u32 v13, s38, v8
	v_sub_nc_u32_e32 v5, v5, v11
	s_delay_alu instid0(VALU_DEP_1) | instskip(SKIP_1) | instid1(VALU_DEP_4)
	v_mad_u32 v10, v5, s25, v10
	v_mad_u32 v2, v5, s24, v2
	v_add_nc_u32_e32 v5, v8, v13
	s_delay_alu instid0(VALU_DEP_1) | instskip(SKIP_1) | instid1(VALU_DEP_1)
	v_lshrrev_b32_e32 v5, s39, v5
	v_mul_lo_u32 v11, v7, s19
	v_sub_nc_u32_e32 v3, v3, v11
	v_mul_lo_u32 v11, v8, s22
	s_delay_alu instid0(VALU_DEP_2) | instskip(SKIP_1) | instid1(VALU_DEP_3)
	v_mad_u32 v10, v3, s27, v10
	v_mad_u32 v2, v3, s26, v2
	v_sub_nc_u32_e32 v3, v7, v11
	v_mul_lo_u32 v7, v5, s37
	s_delay_alu instid0(VALU_DEP_2) | instskip(NEXT) | instid1(VALU_DEP_4)
	v_mad_u32 v10, v3, s29, v10
	v_mad_u32 v2, v3, s28, v2
	s_delay_alu instid0(VALU_DEP_3) | instskip(NEXT) | instid1(VALU_DEP_1)
	v_sub_nc_u32_e32 v3, v8, v7
	v_mad_u32 v10, v3, s31, v10
	s_delay_alu instid0(VALU_DEP_3)
	v_mad_u32 v2, v3, s30, v2
	s_cbranch_scc1 .LBB79_993
; %bb.994:
	s_delay_alu instid0(VALU_DEP_2)
	v_mov_b32_e32 v3, v10
	s_and_b32 s6, s1, 3
	s_mov_b32 s1, 0
	s_cmp_eq_u32 s6, 0
	s_cbranch_scc0 .LBB79_998
	s_branch .LBB79_1001
.LBB79_995:
	s_mov_b32 s8, -1
                                        ; implicit-def: $vgpr10
                                        ; implicit-def: $vgpr2
	s_branch .LBB79_1001
.LBB79_996:
	v_dual_mov_b32 v10, 0 :: v_dual_mov_b32 v2, 0
	s_branch .LBB79_1001
.LBB79_997:
	v_mov_b64_e32 v[2:3], 0
	v_mov_b32_e32 v5, v0
	s_mov_b32 s0, 0
                                        ; implicit-def: $vgpr10
	s_and_b32 s6, s1, 3
	s_mov_b32 s1, 0
	s_cmp_eq_u32 s6, 0
	s_cbranch_scc1 .LBB79_1001
.LBB79_998:
	s_lshl_b32 s4, s0, 3
	s_mov_b32 s5, s1
	s_mul_u64 s[10:11], s[0:1], 12
	s_add_nc_u64 s[4:5], s[2:3], s[4:5]
	s_delay_alu instid0(SALU_CYCLE_1)
	s_add_nc_u64 s[0:1], s[4:5], 0xc4
	s_add_nc_u64 s[4:5], s[2:3], s[10:11]
.LBB79_999:                             ; =>This Inner Loop Header: Depth=1
	s_load_b96 s[16:18], s[4:5], 0x4
	s_load_b64 s[10:11], s[0:1], 0x0
	s_add_co_i32 s6, s6, -1
	s_wait_xcnt 0x0
	s_add_nc_u64 s[4:5], s[4:5], 12
	s_cmp_lg_u32 s6, 0
	s_add_nc_u64 s[0:1], s[0:1], 8
	s_wait_loadcnt 0x0
	s_wait_kmcnt 0x0
	v_mul_hi_u32 v7, s17, v5
	s_delay_alu instid0(VALU_DEP_1) | instskip(NEXT) | instid1(VALU_DEP_1)
	v_add_nc_u32_e32 v7, v5, v7
	v_lshrrev_b32_e32 v7, s18, v7
	s_delay_alu instid0(VALU_DEP_1) | instskip(NEXT) | instid1(VALU_DEP_1)
	v_mul_lo_u32 v8, v7, s16
	v_sub_nc_u32_e32 v5, v5, v8
	s_delay_alu instid0(VALU_DEP_1)
	v_mad_u32 v3, v5, s11, v3
	v_mad_u32 v2, v5, s10, v2
	v_mov_b32_e32 v5, v7
	s_cbranch_scc1 .LBB79_999
; %bb.1000:
	s_delay_alu instid0(VALU_DEP_3)
	v_mov_b32_e32 v10, v3
.LBB79_1001:
	s_and_not1_b32 vcc_lo, exec_lo, s8
	s_cbranch_vccnz .LBB79_1004
; %bb.1002:
	s_clause 0x1
	s_load_b96 s[4:6], s[2:3], 0x4
	s_load_b64 s[0:1], s[2:3], 0xc4
	s_cmp_lt_u32 s33, 2
	s_wait_kmcnt 0x0
	v_mul_hi_u32 v2, s5, v0
	s_delay_alu instid0(VALU_DEP_1) | instskip(NEXT) | instid1(VALU_DEP_1)
	v_add_nc_u32_e32 v2, v0, v2
	v_lshrrev_b32_e32 v3, s6, v2
	s_delay_alu instid0(VALU_DEP_1) | instskip(NEXT) | instid1(VALU_DEP_1)
	v_mul_lo_u32 v2, v3, s4
	v_sub_nc_u32_e32 v0, v0, v2
	s_delay_alu instid0(VALU_DEP_1)
	v_mul_lo_u32 v10, v0, s1
	v_mul_lo_u32 v2, v0, s0
	s_cbranch_scc1 .LBB79_1004
; %bb.1003:
	s_clause 0x1
	s_load_b96 s[4:6], s[2:3], 0x10
	s_load_b64 s[0:1], s[2:3], 0xcc
	s_wait_kmcnt 0x0
	v_mul_hi_u32 v0, s5, v3
	s_delay_alu instid0(VALU_DEP_1) | instskip(NEXT) | instid1(VALU_DEP_1)
	v_add_nc_u32_e32 v0, v3, v0
	v_lshrrev_b32_e32 v0, s6, v0
	s_delay_alu instid0(VALU_DEP_1) | instskip(NEXT) | instid1(VALU_DEP_1)
	v_mul_lo_u32 v0, v0, s4
	v_sub_nc_u32_e32 v0, v3, v0
	s_delay_alu instid0(VALU_DEP_1)
	v_mad_u32 v2, v0, s0, v2
	v_mad_u32 v10, v0, s1, v10
.LBB79_1004:
	v_cmp_ne_u32_e32 vcc_lo, 1, v1
	s_cbranch_vccnz .LBB79_1010
; %bb.1005:
	s_cmp_lg_u32 s33, 0
	s_mov_b32 s8, 0
	s_cbranch_scc0 .LBB79_1011
; %bb.1006:
	s_min_u32 s1, s34, 15
	s_delay_alu instid0(SALU_CYCLE_1)
	s_add_co_i32 s1, s1, 1
	s_cmp_eq_u32 s34, 2
	s_cbranch_scc1 .LBB79_1012
; %bb.1007:
	v_dual_mov_b32 v0, 0 :: v_dual_mov_b32 v8, 0
	v_mov_b32_e32 v3, v9
	s_and_b32 s0, s1, 28
	s_add_nc_u64 s[4:5], s[2:3], 0xc4
	s_mov_b32 s9, 0
	s_mov_b64 s[6:7], s[2:3]
.LBB79_1008:                            ; =>This Inner Loop Header: Depth=1
	s_clause 0x1
	s_load_b256 s[16:23], s[6:7], 0x4
	s_load_b128 s[36:39], s[6:7], 0x24
	s_load_b256 s[24:31], s[4:5], 0x0
	s_add_co_i32 s9, s9, 4
	s_wait_xcnt 0x0
	s_add_nc_u64 s[6:7], s[6:7], 48
	s_cmp_lg_u32 s0, s9
	s_add_nc_u64 s[4:5], s[4:5], 32
	s_wait_kmcnt 0x0
	v_mul_hi_u32 v1, s17, v3
	s_delay_alu instid0(VALU_DEP_1) | instskip(NEXT) | instid1(VALU_DEP_1)
	v_add_nc_u32_e32 v1, v3, v1
	v_lshrrev_b32_e32 v1, s18, v1
	s_delay_alu instid0(VALU_DEP_1) | instskip(NEXT) | instid1(VALU_DEP_1)
	v_mul_lo_u32 v11, v1, s16
	v_sub_nc_u32_e32 v3, v3, v11
	v_mul_hi_u32 v5, s20, v1
	s_delay_alu instid0(VALU_DEP_2) | instskip(SKIP_1) | instid1(VALU_DEP_3)
	v_mad_u32 v8, v3, s25, v8
	v_mad_u32 v0, v3, s24, v0
	v_add_nc_u32_e32 v5, v1, v5
	s_delay_alu instid0(VALU_DEP_1) | instskip(NEXT) | instid1(VALU_DEP_1)
	v_lshrrev_b32_e32 v5, s21, v5
	v_mul_lo_u32 v11, v5, s19
	s_delay_alu instid0(VALU_DEP_1) | instskip(SKIP_2) | instid1(VALU_DEP_2)
	v_sub_nc_u32_e32 v1, v1, v11
	s_wait_loadcnt 0x0
	v_mul_hi_u32 v7, s23, v5
	v_mad_u32 v8, v1, s27, v8
	v_mad_u32 v0, v1, s26, v0
	s_delay_alu instid0(VALU_DEP_3) | instskip(NEXT) | instid1(VALU_DEP_1)
	v_add_nc_u32_e32 v7, v5, v7
	v_lshrrev_b32_e32 v7, s36, v7
	s_delay_alu instid0(VALU_DEP_1) | instskip(SKIP_1) | instid1(VALU_DEP_1)
	v_mul_hi_u32 v13, s38, v7
	v_mul_lo_u32 v11, v7, s22
	v_dual_add_nc_u32 v3, v7, v13 :: v_dual_sub_nc_u32 v1, v5, v11
	s_delay_alu instid0(VALU_DEP_1) | instskip(NEXT) | instid1(VALU_DEP_2)
	v_lshrrev_b32_e32 v3, s39, v3
	v_mad_u32 v8, v1, s29, v8
	v_mad_u32 v0, v1, s28, v0
	s_delay_alu instid0(VALU_DEP_3) | instskip(NEXT) | instid1(VALU_DEP_1)
	v_mul_lo_u32 v5, v3, s37
	v_sub_nc_u32_e32 v1, v7, v5
	s_delay_alu instid0(VALU_DEP_1) | instskip(NEXT) | instid1(VALU_DEP_4)
	v_mad_u32 v8, v1, s31, v8
	v_mad_u32 v0, v1, s30, v0
	s_cbranch_scc1 .LBB79_1008
; %bb.1009:
	s_delay_alu instid0(VALU_DEP_2)
	v_mov_b32_e32 v1, v8
	s_and_b32 s6, s1, 3
	s_mov_b32 s1, 0
	s_cmp_eq_u32 s6, 0
	s_cbranch_scc0 .LBB79_1013
	s_branch .LBB79_1016
.LBB79_1010:
	s_mov_b32 s8, -1
                                        ; implicit-def: $vgpr8
                                        ; implicit-def: $vgpr0
	s_branch .LBB79_1016
.LBB79_1011:
	v_dual_mov_b32 v8, 0 :: v_dual_mov_b32 v0, 0
	s_branch .LBB79_1016
.LBB79_1012:
	v_mov_b64_e32 v[0:1], 0
	v_mov_b32_e32 v3, v9
	s_mov_b32 s0, 0
                                        ; implicit-def: $vgpr8
	s_and_b32 s6, s1, 3
	s_mov_b32 s1, 0
	s_cmp_eq_u32 s6, 0
	s_cbranch_scc1 .LBB79_1016
.LBB79_1013:
	s_lshl_b32 s4, s0, 3
	s_mov_b32 s5, s1
	s_mul_u64 s[10:11], s[0:1], 12
	s_add_nc_u64 s[4:5], s[2:3], s[4:5]
	s_delay_alu instid0(SALU_CYCLE_1)
	s_add_nc_u64 s[0:1], s[4:5], 0xc4
	s_add_nc_u64 s[4:5], s[2:3], s[10:11]
.LBB79_1014:                            ; =>This Inner Loop Header: Depth=1
	s_load_b96 s[16:18], s[4:5], 0x4
	s_load_b64 s[10:11], s[0:1], 0x0
	s_add_co_i32 s6, s6, -1
	s_wait_xcnt 0x0
	s_add_nc_u64 s[4:5], s[4:5], 12
	s_cmp_lg_u32 s6, 0
	s_add_nc_u64 s[0:1], s[0:1], 8
	s_wait_kmcnt 0x0
	v_mul_hi_u32 v5, s17, v3
	s_delay_alu instid0(VALU_DEP_1) | instskip(NEXT) | instid1(VALU_DEP_1)
	v_add_nc_u32_e32 v5, v3, v5
	v_lshrrev_b32_e32 v5, s18, v5
	s_wait_loadcnt 0x0
	s_delay_alu instid0(VALU_DEP_1) | instskip(NEXT) | instid1(VALU_DEP_1)
	v_mul_lo_u32 v7, v5, s16
	v_sub_nc_u32_e32 v3, v3, v7
	s_delay_alu instid0(VALU_DEP_1)
	v_mad_u32 v1, v3, s11, v1
	v_mad_u32 v0, v3, s10, v0
	v_mov_b32_e32 v3, v5
	s_cbranch_scc1 .LBB79_1014
; %bb.1015:
	s_delay_alu instid0(VALU_DEP_3)
	v_mov_b32_e32 v8, v1
.LBB79_1016:
	s_and_not1_b32 vcc_lo, exec_lo, s8
	s_cbranch_vccnz .LBB79_1019
; %bb.1017:
	s_clause 0x1
	s_load_b96 s[4:6], s[2:3], 0x4
	s_load_b64 s[0:1], s[2:3], 0xc4
	s_cmp_lt_u32 s33, 2
	s_wait_kmcnt 0x0
	v_mul_hi_u32 v0, s5, v9
	s_delay_alu instid0(VALU_DEP_1) | instskip(NEXT) | instid1(VALU_DEP_1)
	v_add_nc_u32_e32 v0, v9, v0
	v_lshrrev_b32_e32 v1, s6, v0
	s_delay_alu instid0(VALU_DEP_1) | instskip(NEXT) | instid1(VALU_DEP_1)
	v_mul_lo_u32 v0, v1, s4
	v_sub_nc_u32_e32 v0, v9, v0
	s_delay_alu instid0(VALU_DEP_1)
	v_mul_lo_u32 v8, v0, s1
	v_mul_lo_u32 v0, v0, s0
	s_cbranch_scc1 .LBB79_1019
; %bb.1018:
	s_clause 0x1
	s_load_b96 s[4:6], s[2:3], 0x10
	s_load_b64 s[0:1], s[2:3], 0xcc
	s_wait_kmcnt 0x0
	v_mul_hi_u32 v3, s5, v1
	s_delay_alu instid0(VALU_DEP_1) | instskip(NEXT) | instid1(VALU_DEP_1)
	v_add_nc_u32_e32 v3, v1, v3
	v_lshrrev_b32_e32 v3, s6, v3
	s_delay_alu instid0(VALU_DEP_1) | instskip(NEXT) | instid1(VALU_DEP_1)
	v_mul_lo_u32 v3, v3, s4
	v_sub_nc_u32_e32 v1, v1, v3
	s_delay_alu instid0(VALU_DEP_1)
	v_mad_u32 v0, v1, s0, v0
	v_mad_u32 v8, v1, s1, v8
.LBB79_1019:
	v_mov_b32_e32 v15, 0
	s_load_b256 s[4:11], s[2:3], 0x148
	global_load_u8 v1, v15, s[2:3] offset:361
	s_wait_kmcnt 0x0
	v_add_nc_u64_e32 v[14:15], s[6:7], v[14:15]
	s_wait_loadcnt 0x0
	v_and_b32_e32 v3, 0xffff, v1
	v_readfirstlane_b32 s15, v1
	s_delay_alu instid0(VALU_DEP_2)
	v_cmp_gt_i32_e32 vcc_lo, 11, v3
	s_cbranch_vccnz .LBB79_1026
; %bb.1020:
	s_and_b32 s0, 0xffff, s15
	s_mov_b32 s14, 0
	s_cmp_gt_i32 s0, 25
	s_cbranch_scc0 .LBB79_1037
; %bb.1021:
	s_cmp_gt_i32 s0, 28
	s_cbranch_scc0 .LBB79_1038
; %bb.1022:
	;; [unrolled: 3-line block ×4, first 2 shown]
	s_cmp_eq_u32 s0, 46
	s_mov_b32 s17, 0
	s_cbranch_scc0 .LBB79_1055
; %bb.1025:
	global_load_b32 v1, v[14:15], off
	s_mov_b32 s1, 0
	s_mov_b32 s16, -1
	s_wait_loadcnt 0x0
	v_lshlrev_b32_e32 v1, 16, v1
	s_delay_alu instid0(VALU_DEP_1) | instskip(NEXT) | instid1(VALU_DEP_1)
	v_trunc_f32_e32 v1, v1
	v_mul_f32_e64 v3, 0x2f800000, |v1|
	v_ashrrev_i32_e32 v16, 31, v1
	s_delay_alu instid0(VALU_DEP_2) | instskip(NEXT) | instid1(VALU_DEP_2)
	v_floor_f32_e32 v3, v3
	v_mov_b32_e32 v17, v16
	s_delay_alu instid0(VALU_DEP_2) | instskip(SKIP_1) | instid1(VALU_DEP_2)
	v_fma_f32 v5, 0xcf800000, v3, |v1|
	v_cvt_u32_f32_e32 v1, v3
	v_cvt_u32_f32_e32 v3, v5
	s_delay_alu instid0(VALU_DEP_2) | instskip(NEXT) | instid1(VALU_DEP_2)
	v_xor_b32_e32 v19, v1, v16
	v_xor_b32_e32 v18, v3, v16
	s_delay_alu instid0(VALU_DEP_1)
	v_sub_nc_u64_e32 v[16:17], v[18:19], v[16:17]
	s_branch .LBB79_1057
.LBB79_1026:
	s_mov_b32 s16, 0
	s_mov_b32 s1, s12
                                        ; implicit-def: $vgpr16_vgpr17
	s_cbranch_execnz .LBB79_1117
.LBB79_1027:
	s_and_not1_b32 vcc_lo, exec_lo, s16
	s_cbranch_vccnz .LBB79_1162
.LBB79_1028:
	s_wait_loadcnt 0x0
	s_delay_alu instid0(VALU_DEP_1)
	v_cmp_gt_i64_e32 vcc_lo, s[8:9], v[16:17]
	v_cmp_le_i64_e64 s0, s[10:11], v[16:17]
	s_get_pc_i64 s[16:17]
	s_add_nc_u64 s[16:17], s[16:17], .str.5@rel64+4
	s_or_b32 s0, vcc_lo, s0
	s_cmp_eq_u64 s[16:17], 0
	s_cselect_b32 s14, -1, 0
	s_delay_alu instid0(SALU_CYCLE_1) | instskip(SKIP_2) | instid1(SALU_CYCLE_1)
	s_or_b32 s0, s14, s0
	s_wait_xcnt 0x0
	s_and_saveexec_b32 s14, s0
	s_xor_b32 s0, exec_lo, s14
	s_cbranch_execnz .LBB79_1412
.LBB79_1029:
	s_or_saveexec_b32 s14, s0
	s_mov_b32 s16, 0
	s_mov_b32 s18, 0
                                        ; implicit-def: $vgpr14_vgpr15
                                        ; implicit-def: $sgpr0
	s_xor_b32 exec_lo, exec_lo, s14
	s_cbranch_execz .LBB79_1851
; %bb.1030:
	v_mov_b32_e32 v13, 0
	s_and_b32 s19, 0xffff, s15
	s_delay_alu instid0(SALU_CYCLE_1) | instskip(NEXT) | instid1(VALU_DEP_1)
	s_cmp_lt_i32 s19, 11
	v_add_nc_u64_e32 v[12:13], s[6:7], v[12:13]
	s_cbranch_scc1 .LBB79_1039
; %bb.1031:
	s_cmp_gt_i32 s19, 25
	s_cbranch_scc0 .LBB79_1051
; %bb.1032:
	s_cmp_gt_i32 s19, 28
	s_cbranch_scc0 .LBB79_1053
	;; [unrolled: 3-line block ×4, first 2 shown]
; %bb.1035:
	s_cmp_eq_u32 s19, 46
	s_mov_b32 s15, 0
	s_cbranch_scc0 .LBB79_1166
; %bb.1036:
	global_load_b32 v1, v[12:13], off
	s_mov_b32 s0, 0
	s_mov_b32 s17, -1
	s_wait_loadcnt 0x0
	v_lshlrev_b32_e32 v1, 16, v1
	s_delay_alu instid0(VALU_DEP_1) | instskip(NEXT) | instid1(VALU_DEP_1)
	v_trunc_f32_e32 v1, v1
	v_mul_f32_e64 v3, 0x2f800000, |v1|
	v_ashrrev_i32_e32 v14, 31, v1
	s_delay_alu instid0(VALU_DEP_2) | instskip(NEXT) | instid1(VALU_DEP_2)
	v_floor_f32_e32 v3, v3
	v_mov_b32_e32 v15, v14
	s_delay_alu instid0(VALU_DEP_2) | instskip(SKIP_1) | instid1(VALU_DEP_2)
	v_fma_f32 v5, 0xcf800000, v3, |v1|
	v_cvt_u32_f32_e32 v1, v3
	v_cvt_u32_f32_e32 v3, v5
	s_delay_alu instid0(VALU_DEP_2) | instskip(NEXT) | instid1(VALU_DEP_2)
	v_xor_b32_e32 v17, v1, v14
	v_xor_b32_e32 v16, v3, v14
	s_delay_alu instid0(VALU_DEP_1)
	v_sub_nc_u64_e32 v[14:15], v[16:17], v[14:15]
	s_branch .LBB79_1168
.LBB79_1037:
	s_mov_b32 s16, 0
	s_mov_b32 s1, 0
                                        ; implicit-def: $vgpr16_vgpr17
	s_cbranch_execnz .LBB79_1084
	s_branch .LBB79_1113
.LBB79_1038:
	s_mov_b32 s16, 0
	s_mov_b32 s1, 0
                                        ; implicit-def: $vgpr16_vgpr17
	s_cbranch_execz .LBB79_1083
	s_branch .LBB79_1068
.LBB79_1039:
	s_mov_b32 s17, 0
	s_mov_b32 s15, s1
                                        ; implicit-def: $vgpr14_vgpr15
	s_cbranch_execnz .LBB79_1231
.LBB79_1040:
	s_and_not1_b32 vcc_lo, exec_lo, s17
	s_cbranch_vccnz .LBB79_1279
.LBB79_1041:
	s_wait_loadcnt 0x0
	s_delay_alu instid0(VALU_DEP_1) | instskip(SKIP_4) | instid1(SALU_CYCLE_1)
	v_cmp_gt_i64_e32 vcc_lo, s[8:9], v[14:15]
	v_cmp_le_i64_e64 s0, s[10:11], v[14:15]
	s_or_b32 s0, vcc_lo, s0
	s_wait_xcnt 0x0
	s_and_saveexec_b32 s16, s0
	s_xor_b32 s0, exec_lo, s16
	s_cbranch_execnz .LBB79_1899
.LBB79_1042:
	s_or_saveexec_b32 s16, s0
	s_mov_b32 s17, 0
	s_mov_b32 s18, 0
                                        ; implicit-def: $vgpr14_vgpr15
                                        ; implicit-def: $sgpr0
	s_xor_b32 exec_lo, exec_lo, s16
	s_cbranch_execz .LBB79_1849
; %bb.1043:
	v_mov_b32_e32 v11, 0
	s_cmp_lt_i32 s19, 11
	s_delay_alu instid0(VALU_DEP_1)
	v_add_nc_u64_e32 v[10:11], s[6:7], v[10:11]
	s_cbranch_scc1 .LBB79_1054
; %bb.1044:
	s_cmp_gt_i32 s19, 25
	s_cbranch_scc0 .LBB79_1062
; %bb.1045:
	s_cmp_gt_i32 s19, 28
	s_cbranch_scc0 .LBB79_1165
	;; [unrolled: 3-line block ×4, first 2 shown]
; %bb.1048:
	s_cmp_eq_u32 s19, 46
	s_cbranch_scc0 .LBB79_1282
; %bb.1049:
	global_load_b32 v1, v[10:11], off
	s_mov_b32 s0, 0
	s_mov_b32 s20, -1
	s_wait_loadcnt 0x0
	v_lshlrev_b32_e32 v1, 16, v1
	s_delay_alu instid0(VALU_DEP_1) | instskip(NEXT) | instid1(VALU_DEP_1)
	v_trunc_f32_e32 v1, v1
	v_mul_f32_e64 v3, 0x2f800000, |v1|
	v_ashrrev_i32_e32 v12, 31, v1
	s_delay_alu instid0(VALU_DEP_2) | instskip(NEXT) | instid1(VALU_DEP_2)
	v_floor_f32_e32 v3, v3
	v_mov_b32_e32 v13, v12
	s_delay_alu instid0(VALU_DEP_2) | instskip(SKIP_1) | instid1(VALU_DEP_2)
	v_fma_f32 v5, 0xcf800000, v3, |v1|
	v_cvt_u32_f32_e32 v1, v3
	v_cvt_u32_f32_e32 v3, v5
	s_delay_alu instid0(VALU_DEP_2) | instskip(NEXT) | instid1(VALU_DEP_2)
	v_xor_b32_e32 v15, v1, v12
	v_xor_b32_e32 v14, v3, v12
	s_delay_alu instid0(VALU_DEP_1)
	v_sub_nc_u64_e32 v[12:13], v[14:15], v[12:13]
	s_branch .LBB79_1284
.LBB79_1050:
	s_mov_b32 s16, 0
	s_mov_b32 s1, 0
                                        ; implicit-def: $vgpr16_vgpr17
	s_cbranch_execnz .LBB79_1064
	s_branch .LBB79_1067
.LBB79_1051:
	s_mov_b32 s15, -1
	s_mov_b32 s17, 0
	s_mov_b32 s0, 0
                                        ; implicit-def: $vgpr14_vgpr15
	s_branch .LBB79_1196
.LBB79_1052:
	s_mov_b32 s17, -1
	s_mov_b32 s16, 0
	s_mov_b32 s1, 0
	s_branch .LBB79_1056
.LBB79_1053:
	s_mov_b32 s15, -1
	s_mov_b32 s17, 0
	s_mov_b32 s0, 0
                                        ; implicit-def: $vgpr14_vgpr15
	s_branch .LBB79_1179
.LBB79_1054:
	s_mov_b32 s0, -1
	s_mov_b32 s20, 0
	s_mov_b32 s17, s15
                                        ; implicit-def: $vgpr12_vgpr13
	s_branch .LBB79_1346
.LBB79_1055:
	s_mov_b32 s1, -1
	s_mov_b32 s16, 0
.LBB79_1056:
                                        ; implicit-def: $vgpr16_vgpr17
.LBB79_1057:
	s_and_b32 vcc_lo, exec_lo, s17
	s_cbranch_vccz .LBB79_1060
; %bb.1058:
	s_cmp_eq_u32 s0, 44
	s_cbranch_scc0 .LBB79_1063
; %bb.1059:
	global_load_u8 v1, v[14:15], off
	s_mov_b32 s1, 0
	s_mov_b32 s16, -1
	s_wait_loadcnt 0x0
	v_lshlrev_b32_e32 v3, 23, v1
	v_cmp_ne_u32_e32 vcc_lo, 0, v1
	s_delay_alu instid0(VALU_DEP_2) | instskip(NEXT) | instid1(VALU_DEP_1)
	v_trunc_f32_e32 v3, v3
	v_mul_f32_e64 v5, 0x2f800000, |v3|
	v_ashrrev_i32_e32 v16, 31, v3
	s_delay_alu instid0(VALU_DEP_2) | instskip(NEXT) | instid1(VALU_DEP_2)
	v_floor_f32_e32 v5, v5
	v_mov_b32_e32 v17, v16
	s_delay_alu instid0(VALU_DEP_2) | instskip(SKIP_1) | instid1(VALU_DEP_2)
	v_fma_f32 v7, 0xcf800000, v5, |v3|
	v_cvt_u32_f32_e32 v3, v5
	v_cvt_u32_f32_e32 v5, v7
	s_delay_alu instid0(VALU_DEP_2) | instskip(NEXT) | instid1(VALU_DEP_2)
	v_xor_b32_e32 v19, v3, v16
	v_xor_b32_e32 v18, v5, v16
	s_delay_alu instid0(VALU_DEP_1) | instskip(NEXT) | instid1(VALU_DEP_1)
	v_sub_nc_u64_e32 v[16:17], v[18:19], v[16:17]
	v_dual_cndmask_b32 v17, 0, v17 :: v_dual_cndmask_b32 v16, 0, v16
.LBB79_1060:
	s_branch .LBB79_1067
.LBB79_1061:
	s_mov_b32 s15, -1
	s_mov_b32 s17, 0
	s_mov_b32 s0, 0
                                        ; implicit-def: $vgpr14_vgpr15
	s_branch .LBB79_1174
.LBB79_1062:
	s_mov_b32 s17, -1
	s_mov_b32 s20, 0
	s_mov_b32 s0, 0
                                        ; implicit-def: $vgpr12_vgpr13
	s_branch .LBB79_1311
.LBB79_1063:
	s_mov_b32 s1, -1
                                        ; implicit-def: $vgpr16_vgpr17
	s_branch .LBB79_1067
.LBB79_1064:
	s_cmp_eq_u32 s0, 29
	s_cbranch_scc0 .LBB79_1066
; %bb.1065:
	global_load_b64 v[16:17], v[14:15], off
	s_mov_b32 s1, 0
	s_mov_b32 s16, -1
	s_branch .LBB79_1067
.LBB79_1066:
	s_mov_b32 s1, -1
                                        ; implicit-def: $vgpr16_vgpr17
.LBB79_1067:
	s_branch .LBB79_1083
.LBB79_1068:
	s_cmp_lt_i32 s0, 27
	s_cbranch_scc1 .LBB79_1071
; %bb.1069:
	s_cmp_gt_i32 s0, 27
	s_cbranch_scc0 .LBB79_1072
; %bb.1070:
	s_wait_loadcnt 0x0
	global_load_b32 v16, v[14:15], off
	v_mov_b32_e32 v17, 0
	s_mov_b32 s16, 0
	s_branch .LBB79_1073
.LBB79_1071:
	s_mov_b32 s16, -1
                                        ; implicit-def: $vgpr16_vgpr17
	s_branch .LBB79_1076
.LBB79_1072:
	s_mov_b32 s16, -1
                                        ; implicit-def: $vgpr16_vgpr17
.LBB79_1073:
	s_delay_alu instid0(SALU_CYCLE_1)
	s_and_not1_b32 vcc_lo, exec_lo, s16
	s_cbranch_vccnz .LBB79_1075
; %bb.1074:
	global_load_u16 v1, v[14:15], off
	s_mov_b32 s16, 0
	s_wait_loadcnt 0x1
	v_mov_b32_e32 v17, s16
	s_wait_loadcnt 0x0
	v_and_b32_e32 v16, 0xffff, v1
.LBB79_1075:
	s_mov_b32 s16, 0
.LBB79_1076:
	s_delay_alu instid0(SALU_CYCLE_1)
	s_and_not1_b32 vcc_lo, exec_lo, s16
	s_cbranch_vccnz .LBB79_1082
; %bb.1077:
	global_load_u8 v1, v[14:15], off
	s_mov_b32 s17, 0
	s_mov_b32 s16, exec_lo
	s_wait_loadcnt 0x0
	v_cmpx_lt_i16_e32 0x7f, v1
	s_xor_b32 s16, exec_lo, s16
	s_cbranch_execz .LBB79_1093
; %bb.1078:
	v_cmp_ne_u16_e32 vcc_lo, 0x80, v1
	s_and_b32 s17, vcc_lo, exec_lo
	s_and_not1_saveexec_b32 s16, s16
	s_cbranch_execnz .LBB79_1094
.LBB79_1079:
	s_or_b32 exec_lo, exec_lo, s16
	v_mov_b64_e32 v[16:17], 0
	s_and_saveexec_b32 s16, s17
	s_cbranch_execz .LBB79_1081
.LBB79_1080:
	v_and_b32_e32 v3, 0xffff, v1
	s_delay_alu instid0(VALU_DEP_1) | instskip(SKIP_1) | instid1(VALU_DEP_2)
	v_dual_lshlrev_b32 v1, 24, v1 :: v_dual_bitop2_b32 v5, 7, v3 bitop3:0x40
	v_bfe_u32 v11, v3, 3, 4
	v_and_b32_e32 v1, 0x80000000, v1
	s_delay_alu instid0(VALU_DEP_3) | instskip(NEXT) | instid1(VALU_DEP_3)
	v_clz_i32_u32_e32 v7, v5
	v_cmp_eq_u32_e32 vcc_lo, 0, v11
	s_delay_alu instid0(VALU_DEP_2) | instskip(NEXT) | instid1(VALU_DEP_1)
	v_min_u32_e32 v7, 32, v7
	v_subrev_nc_u32_e32 v9, 28, v7
	v_sub_nc_u32_e32 v7, 29, v7
	s_delay_alu instid0(VALU_DEP_2) | instskip(NEXT) | instid1(VALU_DEP_2)
	v_lshlrev_b32_e32 v3, v9, v3
	v_cndmask_b32_e32 v7, v11, v7, vcc_lo
	s_delay_alu instid0(VALU_DEP_2) | instskip(NEXT) | instid1(VALU_DEP_1)
	v_and_b32_e32 v3, 7, v3
	v_cndmask_b32_e32 v3, v5, v3, vcc_lo
	s_delay_alu instid0(VALU_DEP_3) | instskip(NEXT) | instid1(VALU_DEP_2)
	v_lshl_add_u32 v5, v7, 23, 0x3b800000
	v_lshlrev_b32_e32 v3, 20, v3
	s_delay_alu instid0(VALU_DEP_1) | instskip(NEXT) | instid1(VALU_DEP_1)
	v_or3_b32 v1, v1, v5, v3
	v_trunc_f32_e32 v1, v1
	s_delay_alu instid0(VALU_DEP_1) | instskip(SKIP_1) | instid1(VALU_DEP_2)
	v_mul_f32_e64 v3, 0x2f800000, |v1|
	v_ashrrev_i32_e32 v16, 31, v1
	v_floor_f32_e32 v3, v3
	s_delay_alu instid0(VALU_DEP_2) | instskip(NEXT) | instid1(VALU_DEP_2)
	v_mov_b32_e32 v17, v16
	v_fma_f32 v5, 0xcf800000, v3, |v1|
	v_cvt_u32_f32_e32 v1, v3
	s_delay_alu instid0(VALU_DEP_2) | instskip(NEXT) | instid1(VALU_DEP_2)
	v_cvt_u32_f32_e32 v3, v5
	v_xor_b32_e32 v19, v1, v16
	s_delay_alu instid0(VALU_DEP_2) | instskip(NEXT) | instid1(VALU_DEP_1)
	v_xor_b32_e32 v18, v3, v16
	v_sub_nc_u64_e32 v[16:17], v[18:19], v[16:17]
.LBB79_1081:
	s_or_b32 exec_lo, exec_lo, s16
.LBB79_1082:
	s_mov_b32 s16, -1
.LBB79_1083:
	s_branch .LBB79_1113
.LBB79_1084:
	s_cmp_gt_i32 s0, 22
	s_cbranch_scc0 .LBB79_1092
; %bb.1085:
	s_cmp_lt_i32 s0, 24
	s_cbranch_scc1 .LBB79_1095
; %bb.1086:
	s_cmp_gt_i32 s0, 24
	s_cbranch_scc0 .LBB79_1096
; %bb.1087:
	global_load_u8 v1, v[14:15], off
	s_mov_b32 s16, 0
	s_mov_b32 s14, exec_lo
	s_wait_loadcnt 0x0
	v_cmpx_lt_i16_e32 0x7f, v1
	s_xor_b32 s14, exec_lo, s14
	s_cbranch_execz .LBB79_1107
; %bb.1088:
	v_cmp_ne_u16_e32 vcc_lo, 0x80, v1
	s_and_b32 s16, vcc_lo, exec_lo
	s_and_not1_saveexec_b32 s14, s14
	s_cbranch_execnz .LBB79_1108
.LBB79_1089:
	s_or_b32 exec_lo, exec_lo, s14
	v_mov_b64_e32 v[16:17], 0
	s_and_saveexec_b32 s14, s16
	s_cbranch_execz .LBB79_1091
.LBB79_1090:
	v_and_b32_e32 v3, 0xffff, v1
	s_delay_alu instid0(VALU_DEP_1) | instskip(SKIP_1) | instid1(VALU_DEP_2)
	v_dual_lshlrev_b32 v1, 24, v1 :: v_dual_bitop2_b32 v5, 3, v3 bitop3:0x40
	v_bfe_u32 v11, v3, 2, 5
	v_and_b32_e32 v1, 0x80000000, v1
	s_delay_alu instid0(VALU_DEP_3) | instskip(NEXT) | instid1(VALU_DEP_3)
	v_clz_i32_u32_e32 v7, v5
	v_cmp_eq_u32_e32 vcc_lo, 0, v11
	s_delay_alu instid0(VALU_DEP_2) | instskip(NEXT) | instid1(VALU_DEP_1)
	v_min_u32_e32 v7, 32, v7
	v_subrev_nc_u32_e32 v9, 29, v7
	v_sub_nc_u32_e32 v7, 30, v7
	s_delay_alu instid0(VALU_DEP_2) | instskip(NEXT) | instid1(VALU_DEP_2)
	v_lshlrev_b32_e32 v3, v9, v3
	v_cndmask_b32_e32 v7, v11, v7, vcc_lo
	s_delay_alu instid0(VALU_DEP_2) | instskip(NEXT) | instid1(VALU_DEP_1)
	v_and_b32_e32 v3, 3, v3
	v_cndmask_b32_e32 v3, v5, v3, vcc_lo
	s_delay_alu instid0(VALU_DEP_3) | instskip(NEXT) | instid1(VALU_DEP_2)
	v_lshl_add_u32 v5, v7, 23, 0x37800000
	v_lshlrev_b32_e32 v3, 21, v3
	s_delay_alu instid0(VALU_DEP_1) | instskip(NEXT) | instid1(VALU_DEP_1)
	v_or3_b32 v1, v1, v5, v3
	v_trunc_f32_e32 v1, v1
	s_delay_alu instid0(VALU_DEP_1) | instskip(SKIP_1) | instid1(VALU_DEP_2)
	v_mul_f32_e64 v3, 0x2f800000, |v1|
	v_ashrrev_i32_e32 v16, 31, v1
	v_floor_f32_e32 v3, v3
	s_delay_alu instid0(VALU_DEP_2) | instskip(NEXT) | instid1(VALU_DEP_2)
	v_mov_b32_e32 v17, v16
	v_fma_f32 v5, 0xcf800000, v3, |v1|
	v_cvt_u32_f32_e32 v1, v3
	s_delay_alu instid0(VALU_DEP_2) | instskip(NEXT) | instid1(VALU_DEP_2)
	v_cvt_u32_f32_e32 v3, v5
	v_xor_b32_e32 v19, v1, v16
	s_delay_alu instid0(VALU_DEP_2) | instskip(NEXT) | instid1(VALU_DEP_1)
	v_xor_b32_e32 v18, v3, v16
	v_sub_nc_u64_e32 v[16:17], v[18:19], v[16:17]
.LBB79_1091:
	s_or_b32 exec_lo, exec_lo, s14
	s_mov_b32 s14, 0
	s_branch .LBB79_1097
.LBB79_1092:
                                        ; implicit-def: $vgpr16_vgpr17
	s_mov_b32 s14, 0
	s_branch .LBB79_1103
.LBB79_1093:
	s_and_not1_saveexec_b32 s16, s16
	s_cbranch_execz .LBB79_1079
.LBB79_1094:
	v_cmp_ne_u16_e32 vcc_lo, 0, v1
	s_and_not1_b32 s17, s17, exec_lo
	s_and_b32 s18, vcc_lo, exec_lo
	s_delay_alu instid0(SALU_CYCLE_1)
	s_or_b32 s17, s17, s18
	s_or_b32 exec_lo, exec_lo, s16
	v_mov_b64_e32 v[16:17], 0
	s_and_saveexec_b32 s16, s17
	s_cbranch_execnz .LBB79_1080
	s_branch .LBB79_1081
.LBB79_1095:
	s_mov_b32 s14, -1
                                        ; implicit-def: $vgpr16_vgpr17
	s_branch .LBB79_1100
.LBB79_1096:
	s_mov_b32 s14, -1
                                        ; implicit-def: $vgpr16_vgpr17
.LBB79_1097:
	s_delay_alu instid0(SALU_CYCLE_1)
	s_and_b32 vcc_lo, exec_lo, s14
	s_cbranch_vccz .LBB79_1099
; %bb.1098:
	global_load_u8 v1, v[14:15], off
	s_wait_loadcnt 0x0
	v_lshlrev_b32_e32 v1, 24, v1
	s_delay_alu instid0(VALU_DEP_1) | instskip(NEXT) | instid1(VALU_DEP_1)
	v_and_b32_e32 v3, 0x7f000000, v1
	v_clz_i32_u32_e32 v5, v3
	v_add_nc_u32_e32 v9, 0x1000000, v3
	v_cmp_ne_u32_e32 vcc_lo, 0, v3
	s_delay_alu instid0(VALU_DEP_3) | instskip(NEXT) | instid1(VALU_DEP_1)
	v_min_u32_e32 v5, 32, v5
	v_sub_nc_u32_e64 v5, v5, 4 clamp
	s_delay_alu instid0(VALU_DEP_1) | instskip(NEXT) | instid1(VALU_DEP_1)
	v_dual_lshlrev_b32 v7, v5, v3 :: v_dual_lshlrev_b32 v5, 23, v5
	v_lshrrev_b32_e32 v7, 4, v7
	s_delay_alu instid0(VALU_DEP_1) | instskip(SKIP_1) | instid1(VALU_DEP_2)
	v_sub_nc_u32_e32 v5, v7, v5
	v_ashrrev_i32_e32 v7, 8, v9
	v_add_nc_u32_e32 v5, 0x3c000000, v5
	s_delay_alu instid0(VALU_DEP_1) | instskip(NEXT) | instid1(VALU_DEP_1)
	v_and_or_b32 v5, 0x7f800000, v7, v5
	v_cndmask_b32_e32 v3, 0, v5, vcc_lo
	s_delay_alu instid0(VALU_DEP_1) | instskip(NEXT) | instid1(VALU_DEP_1)
	v_and_or_b32 v1, 0x80000000, v1, v3
	v_trunc_f32_e32 v1, v1
	s_delay_alu instid0(VALU_DEP_1) | instskip(SKIP_1) | instid1(VALU_DEP_2)
	v_mul_f32_e64 v3, 0x2f800000, |v1|
	v_ashrrev_i32_e32 v16, 31, v1
	v_floor_f32_e32 v3, v3
	s_delay_alu instid0(VALU_DEP_2) | instskip(NEXT) | instid1(VALU_DEP_2)
	v_mov_b32_e32 v17, v16
	v_fma_f32 v5, 0xcf800000, v3, |v1|
	v_cvt_u32_f32_e32 v1, v3
	s_delay_alu instid0(VALU_DEP_2) | instskip(NEXT) | instid1(VALU_DEP_2)
	v_cvt_u32_f32_e32 v3, v5
	v_xor_b32_e32 v19, v1, v16
	s_delay_alu instid0(VALU_DEP_2) | instskip(NEXT) | instid1(VALU_DEP_1)
	v_xor_b32_e32 v18, v3, v16
	v_sub_nc_u64_e32 v[16:17], v[18:19], v[16:17]
.LBB79_1099:
	s_mov_b32 s14, 0
.LBB79_1100:
	s_delay_alu instid0(SALU_CYCLE_1)
	s_and_not1_b32 vcc_lo, exec_lo, s14
	s_cbranch_vccnz .LBB79_1102
; %bb.1101:
	global_load_u8 v1, v[14:15], off
	s_wait_loadcnt 0x0
	v_lshlrev_b32_e32 v3, 25, v1
	v_lshlrev_b16 v1, 8, v1
	s_delay_alu instid0(VALU_DEP_1) | instskip(SKIP_1) | instid1(VALU_DEP_2)
	v_and_or_b32 v7, 0x7f00, v1, 0.5
	v_bfe_i32 v1, v1, 0, 16
	v_add_f32_e32 v7, -0.5, v7
	v_lshrrev_b32_e32 v5, 4, v3
	v_cmp_gt_u32_e32 vcc_lo, 0x8000000, v3
	s_delay_alu instid0(VALU_DEP_2) | instskip(NEXT) | instid1(VALU_DEP_1)
	v_or_b32_e32 v5, 0x70000000, v5
	v_mul_f32_e32 v5, 0x7800000, v5
	s_delay_alu instid0(VALU_DEP_1) | instskip(NEXT) | instid1(VALU_DEP_1)
	v_cndmask_b32_e32 v3, v5, v7, vcc_lo
	v_and_or_b32 v1, 0x80000000, v1, v3
	s_delay_alu instid0(VALU_DEP_1) | instskip(NEXT) | instid1(VALU_DEP_1)
	v_trunc_f32_e32 v1, v1
	v_mul_f32_e64 v3, 0x2f800000, |v1|
	v_ashrrev_i32_e32 v16, 31, v1
	s_delay_alu instid0(VALU_DEP_2) | instskip(NEXT) | instid1(VALU_DEP_2)
	v_floor_f32_e32 v3, v3
	v_mov_b32_e32 v17, v16
	s_delay_alu instid0(VALU_DEP_2) | instskip(SKIP_1) | instid1(VALU_DEP_2)
	v_fma_f32 v5, 0xcf800000, v3, |v1|
	v_cvt_u32_f32_e32 v1, v3
	v_cvt_u32_f32_e32 v3, v5
	s_delay_alu instid0(VALU_DEP_2) | instskip(NEXT) | instid1(VALU_DEP_2)
	v_xor_b32_e32 v19, v1, v16
	v_xor_b32_e32 v18, v3, v16
	s_delay_alu instid0(VALU_DEP_1)
	v_sub_nc_u64_e32 v[16:17], v[18:19], v[16:17]
.LBB79_1102:
	s_mov_b32 s16, -1
	s_mov_b32 s14, 0
	s_cbranch_execnz .LBB79_1113
.LBB79_1103:
	s_cmp_gt_i32 s0, 14
	s_cbranch_scc0 .LBB79_1106
; %bb.1104:
	s_cmp_eq_u32 s0, 15
	s_cbranch_scc0 .LBB79_1109
; %bb.1105:
	global_load_u16 v1, v[14:15], off
	s_mov_b32 s1, 0
	s_mov_b32 s16, -1
	s_wait_loadcnt 0x0
	v_lshlrev_b32_e32 v1, 16, v1
	s_delay_alu instid0(VALU_DEP_1) | instskip(NEXT) | instid1(VALU_DEP_1)
	v_trunc_f32_e32 v1, v1
	v_mul_f32_e64 v3, 0x2f800000, |v1|
	v_ashrrev_i32_e32 v16, 31, v1
	s_delay_alu instid0(VALU_DEP_2) | instskip(NEXT) | instid1(VALU_DEP_2)
	v_floor_f32_e32 v3, v3
	v_mov_b32_e32 v17, v16
	s_delay_alu instid0(VALU_DEP_2) | instskip(SKIP_1) | instid1(VALU_DEP_2)
	v_fma_f32 v5, 0xcf800000, v3, |v1|
	v_cvt_u32_f32_e32 v1, v3
	v_cvt_u32_f32_e32 v3, v5
	s_delay_alu instid0(VALU_DEP_2) | instskip(NEXT) | instid1(VALU_DEP_2)
	v_xor_b32_e32 v19, v1, v16
	v_xor_b32_e32 v18, v3, v16
	s_delay_alu instid0(VALU_DEP_1)
	v_sub_nc_u64_e32 v[16:17], v[18:19], v[16:17]
	s_branch .LBB79_1111
.LBB79_1106:
	s_mov_b32 s14, -1
	s_branch .LBB79_1110
.LBB79_1107:
	s_and_not1_saveexec_b32 s14, s14
	s_cbranch_execz .LBB79_1089
.LBB79_1108:
	v_cmp_ne_u16_e32 vcc_lo, 0, v1
	s_and_not1_b32 s16, s16, exec_lo
	s_and_b32 s17, vcc_lo, exec_lo
	s_delay_alu instid0(SALU_CYCLE_1)
	s_or_b32 s16, s16, s17
	s_or_b32 exec_lo, exec_lo, s14
	v_mov_b64_e32 v[16:17], 0
	s_and_saveexec_b32 s14, s16
	s_cbranch_execnz .LBB79_1090
	s_branch .LBB79_1091
.LBB79_1109:
	s_mov_b32 s1, -1
.LBB79_1110:
                                        ; implicit-def: $vgpr16_vgpr17
.LBB79_1111:
	s_and_b32 vcc_lo, exec_lo, s14
	s_mov_b32 s14, 0
	s_cbranch_vccz .LBB79_1113
; %bb.1112:
	s_cmp_lg_u32 s0, 11
	s_mov_b32 s14, -1
	s_cselect_b32 s1, -1, 0
.LBB79_1113:
	s_delay_alu instid0(SALU_CYCLE_1)
	s_and_b32 vcc_lo, exec_lo, s1
	s_mov_b32 s1, s12
	s_cbranch_vccnz .LBB79_1163
; %bb.1114:
	s_and_not1_b32 vcc_lo, exec_lo, s14
	s_cbranch_vccnz .LBB79_1116
.LBB79_1115:
	global_load_u8 v1, v[14:15], off
	s_mov_b32 s0, 0
	s_mov_b32 s16, -1
	s_wait_loadcnt 0x1
	v_mov_b32_e32 v17, s0
	s_wait_loadcnt 0x0
	v_cmp_ne_u16_e32 vcc_lo, 0, v1
	v_cndmask_b32_e64 v16, 0, 1, vcc_lo
.LBB79_1116:
	s_branch .LBB79_1027
.LBB79_1117:
	s_and_b32 s0, 0xffff, s15
	s_delay_alu instid0(SALU_CYCLE_1)
	s_cmp_lt_i32 s0, 5
	s_cbranch_scc1 .LBB79_1122
; %bb.1118:
	s_cmp_lt_i32 s0, 8
	s_cbranch_scc1 .LBB79_1123
; %bb.1119:
	;; [unrolled: 3-line block ×3, first 2 shown]
	s_cmp_gt_i32 s0, 9
	s_cbranch_scc0 .LBB79_1125
; %bb.1121:
	s_wait_loadcnt 0x0
	global_load_b64 v[16:17], v[14:15], off
	s_mov_b32 s14, 0
	s_wait_loadcnt 0x0
	v_trunc_f64_e32 v[16:17], v[16:17]
	s_delay_alu instid0(VALU_DEP_1) | instskip(NEXT) | instid1(VALU_DEP_1)
	v_ldexp_f64 v[18:19], v[16:17], 0xffffffe0
	v_floor_f64_e32 v[18:19], v[18:19]
	s_delay_alu instid0(VALU_DEP_1) | instskip(SKIP_1) | instid1(VALU_DEP_2)
	v_fmamk_f64 v[20:21], v[18:19], 0xc1f00000, v[16:17]
	v_cvt_i32_f64_e32 v17, v[18:19]
	v_cvt_u32_f64_e32 v16, v[20:21]
	s_branch .LBB79_1126
.LBB79_1122:
                                        ; implicit-def: $vgpr16_vgpr17
	s_branch .LBB79_1143
.LBB79_1123:
                                        ; implicit-def: $vgpr16_vgpr17
	s_branch .LBB79_1132
.LBB79_1124:
	s_mov_b32 s14, -1
                                        ; implicit-def: $vgpr16_vgpr17
	s_branch .LBB79_1129
.LBB79_1125:
	s_mov_b32 s14, -1
                                        ; implicit-def: $vgpr16_vgpr17
.LBB79_1126:
	s_delay_alu instid0(SALU_CYCLE_1)
	s_and_not1_b32 vcc_lo, exec_lo, s14
	s_cbranch_vccnz .LBB79_1128
; %bb.1127:
	global_load_b32 v1, v[14:15], off
	s_wait_loadcnt 0x0
	v_trunc_f32_e32 v1, v1
	s_delay_alu instid0(VALU_DEP_1) | instskip(SKIP_1) | instid1(VALU_DEP_2)
	v_mul_f32_e64 v3, 0x2f800000, |v1|
	v_ashrrev_i32_e32 v16, 31, v1
	v_floor_f32_e32 v3, v3
	s_delay_alu instid0(VALU_DEP_1) | instskip(SKIP_1) | instid1(VALU_DEP_4)
	v_fma_f32 v5, 0xcf800000, v3, |v1|
	v_cvt_u32_f32_e32 v1, v3
	v_mov_b32_e32 v17, v16
	s_delay_alu instid0(VALU_DEP_3) | instskip(NEXT) | instid1(VALU_DEP_3)
	v_cvt_u32_f32_e32 v3, v5
	v_xor_b32_e32 v19, v1, v16
	s_delay_alu instid0(VALU_DEP_2) | instskip(NEXT) | instid1(VALU_DEP_1)
	v_xor_b32_e32 v18, v3, v16
	v_sub_nc_u64_e32 v[16:17], v[18:19], v[16:17]
.LBB79_1128:
	s_mov_b32 s14, 0
.LBB79_1129:
	s_delay_alu instid0(SALU_CYCLE_1)
	s_and_not1_b32 vcc_lo, exec_lo, s14
	s_cbranch_vccnz .LBB79_1131
; %bb.1130:
	global_load_b32 v1, v[14:15], off
	s_wait_loadcnt 0x0
	v_cvt_f32_f16_e32 v1, v1
	s_delay_alu instid0(VALU_DEP_1) | instskip(NEXT) | instid1(VALU_DEP_1)
	v_cvt_i32_f32_e32 v16, v1
	v_ashrrev_i32_e32 v17, 31, v16
.LBB79_1131:
	s_cbranch_execnz .LBB79_1142
.LBB79_1132:
	s_cmp_lt_i32 s0, 6
	s_cbranch_scc1 .LBB79_1135
; %bb.1133:
	s_cmp_gt_i32 s0, 6
	s_cbranch_scc0 .LBB79_1136
; %bb.1134:
	s_wait_loadcnt 0x0
	global_load_b64 v[16:17], v[14:15], off
	s_mov_b32 s14, 0
	s_wait_loadcnt 0x0
	v_trunc_f64_e32 v[16:17], v[16:17]
	s_delay_alu instid0(VALU_DEP_1) | instskip(NEXT) | instid1(VALU_DEP_1)
	v_ldexp_f64 v[18:19], v[16:17], 0xffffffe0
	v_floor_f64_e32 v[18:19], v[18:19]
	s_delay_alu instid0(VALU_DEP_1) | instskip(SKIP_1) | instid1(VALU_DEP_2)
	v_fmamk_f64 v[20:21], v[18:19], 0xc1f00000, v[16:17]
	v_cvt_i32_f64_e32 v17, v[18:19]
	v_cvt_u32_f64_e32 v16, v[20:21]
	s_branch .LBB79_1137
.LBB79_1135:
	s_mov_b32 s14, -1
                                        ; implicit-def: $vgpr16_vgpr17
	s_branch .LBB79_1140
.LBB79_1136:
	s_mov_b32 s14, -1
                                        ; implicit-def: $vgpr16_vgpr17
.LBB79_1137:
	s_delay_alu instid0(SALU_CYCLE_1)
	s_and_not1_b32 vcc_lo, exec_lo, s14
	s_cbranch_vccnz .LBB79_1139
; %bb.1138:
	global_load_b32 v1, v[14:15], off
	s_wait_loadcnt 0x0
	v_trunc_f32_e32 v1, v1
	s_delay_alu instid0(VALU_DEP_1) | instskip(SKIP_1) | instid1(VALU_DEP_2)
	v_mul_f32_e64 v3, 0x2f800000, |v1|
	v_ashrrev_i32_e32 v16, 31, v1
	v_floor_f32_e32 v3, v3
	s_delay_alu instid0(VALU_DEP_1) | instskip(SKIP_1) | instid1(VALU_DEP_4)
	v_fma_f32 v5, 0xcf800000, v3, |v1|
	v_cvt_u32_f32_e32 v1, v3
	v_mov_b32_e32 v17, v16
	s_delay_alu instid0(VALU_DEP_3) | instskip(NEXT) | instid1(VALU_DEP_3)
	v_cvt_u32_f32_e32 v3, v5
	v_xor_b32_e32 v19, v1, v16
	s_delay_alu instid0(VALU_DEP_2) | instskip(NEXT) | instid1(VALU_DEP_1)
	v_xor_b32_e32 v18, v3, v16
	v_sub_nc_u64_e32 v[16:17], v[18:19], v[16:17]
.LBB79_1139:
	s_mov_b32 s14, 0
.LBB79_1140:
	s_delay_alu instid0(SALU_CYCLE_1)
	s_and_not1_b32 vcc_lo, exec_lo, s14
	s_cbranch_vccnz .LBB79_1142
; %bb.1141:
	global_load_u16 v1, v[14:15], off
	s_wait_loadcnt 0x0
	v_cvt_f32_f16_e32 v1, v1
	s_delay_alu instid0(VALU_DEP_1) | instskip(NEXT) | instid1(VALU_DEP_1)
	v_cvt_i32_f32_e32 v16, v1
	v_ashrrev_i32_e32 v17, 31, v16
.LBB79_1142:
	s_cbranch_execnz .LBB79_1161
.LBB79_1143:
	s_cmp_lt_i32 s0, 2
	s_cbranch_scc1 .LBB79_1147
; %bb.1144:
	s_cmp_lt_i32 s0, 3
	s_cbranch_scc1 .LBB79_1148
; %bb.1145:
	s_cmp_gt_i32 s0, 3
	s_cbranch_scc0 .LBB79_1149
; %bb.1146:
	s_wait_loadcnt 0x0
	global_load_b64 v[16:17], v[14:15], off
	s_mov_b32 s14, 0
	s_branch .LBB79_1150
.LBB79_1147:
                                        ; implicit-def: $vgpr16_vgpr17
	s_branch .LBB79_1156
.LBB79_1148:
	s_mov_b32 s14, -1
                                        ; implicit-def: $vgpr16_vgpr17
	s_branch .LBB79_1153
.LBB79_1149:
	s_mov_b32 s14, -1
                                        ; implicit-def: $vgpr16_vgpr17
.LBB79_1150:
	s_delay_alu instid0(SALU_CYCLE_1)
	s_and_not1_b32 vcc_lo, exec_lo, s14
	s_cbranch_vccnz .LBB79_1152
; %bb.1151:
	s_wait_loadcnt 0x0
	global_load_b32 v16, v[14:15], off
	s_wait_loadcnt 0x0
	v_ashrrev_i32_e32 v17, 31, v16
.LBB79_1152:
	s_mov_b32 s14, 0
.LBB79_1153:
	s_delay_alu instid0(SALU_CYCLE_1)
	s_and_not1_b32 vcc_lo, exec_lo, s14
	s_cbranch_vccnz .LBB79_1155
; %bb.1154:
	global_load_u16 v1, v[14:15], off
	s_wait_loadcnt 0x0
	v_bfe_i32 v16, v1, 0, 16
	s_delay_alu instid0(VALU_DEP_1)
	v_ashrrev_i32_e32 v17, 31, v16
.LBB79_1155:
	s_cbranch_execnz .LBB79_1161
.LBB79_1156:
	s_cmp_gt_i32 s0, 0
	s_mov_b32 s0, 0
	s_cbranch_scc0 .LBB79_1158
; %bb.1157:
	global_load_i8 v1, v[14:15], off
	s_wait_loadcnt 0x0
	v_bfe_i32 v16, v1, 0, 16
	s_delay_alu instid0(VALU_DEP_1)
	v_ashrrev_i32_e32 v17, 31, v16
	s_branch .LBB79_1159
.LBB79_1158:
	s_mov_b32 s0, -1
                                        ; implicit-def: $vgpr16_vgpr17
.LBB79_1159:
	s_delay_alu instid0(SALU_CYCLE_1)
	s_and_not1_b32 vcc_lo, exec_lo, s0
	s_cbranch_vccnz .LBB79_1161
; %bb.1160:
	global_load_u8 v1, v[14:15], off
	s_mov_b32 s0, 0
	s_wait_loadcnt 0x1
	v_mov_b32_e32 v17, s0
	s_wait_loadcnt 0x0
	v_and_b32_e32 v16, 0xffff, v1
.LBB79_1161:
	s_branch .LBB79_1028
.LBB79_1162:
	s_mov_b32 s16, 0
	s_mov_b32 s18, 0
                                        ; implicit-def: $vgpr14_vgpr15
                                        ; implicit-def: $sgpr0
	s_branch .LBB79_1852
.LBB79_1163:
	s_or_b32 s1, s12, exec_lo
	s_trap 2
	s_cbranch_execz .LBB79_1115
	s_branch .LBB79_1116
.LBB79_1164:
	s_mov_b32 s15, -1
	s_mov_b32 s17, 0
	s_mov_b32 s0, 0
	s_branch .LBB79_1167
.LBB79_1165:
	s_mov_b32 s17, -1
	s_mov_b32 s20, 0
	s_mov_b32 s0, 0
                                        ; implicit-def: $vgpr12_vgpr13
	s_branch .LBB79_1294
.LBB79_1166:
	s_mov_b32 s0, -1
	s_mov_b32 s17, 0
.LBB79_1167:
                                        ; implicit-def: $vgpr14_vgpr15
.LBB79_1168:
	s_and_b32 vcc_lo, exec_lo, s15
	s_cbranch_vccz .LBB79_1173
; %bb.1169:
	s_cmp_eq_u32 s19, 44
	s_cbranch_scc0 .LBB79_1172
; %bb.1170:
	global_load_u8 v1, v[12:13], off
	s_mov_b32 s0, 0
	s_mov_b32 s17, -1
	s_wait_loadcnt 0x0
	v_lshlrev_b32_e32 v3, 23, v1
	v_cmp_ne_u32_e32 vcc_lo, 0, v1
	s_delay_alu instid0(VALU_DEP_2) | instskip(NEXT) | instid1(VALU_DEP_1)
	v_trunc_f32_e32 v3, v3
	v_mul_f32_e64 v5, 0x2f800000, |v3|
	v_ashrrev_i32_e32 v14, 31, v3
	s_delay_alu instid0(VALU_DEP_2) | instskip(NEXT) | instid1(VALU_DEP_2)
	v_floor_f32_e32 v5, v5
	v_mov_b32_e32 v15, v14
	s_delay_alu instid0(VALU_DEP_2) | instskip(SKIP_1) | instid1(VALU_DEP_2)
	v_fma_f32 v7, 0xcf800000, v5, |v3|
	v_cvt_u32_f32_e32 v3, v5
	v_cvt_u32_f32_e32 v5, v7
	s_delay_alu instid0(VALU_DEP_2) | instskip(NEXT) | instid1(VALU_DEP_2)
	v_xor_b32_e32 v17, v3, v14
	v_xor_b32_e32 v16, v5, v14
	s_delay_alu instid0(VALU_DEP_1) | instskip(NEXT) | instid1(VALU_DEP_1)
	v_sub_nc_u64_e32 v[14:15], v[16:17], v[14:15]
	v_dual_cndmask_b32 v15, 0, v15 :: v_dual_cndmask_b32 v14, 0, v14
	s_branch .LBB79_1173
.LBB79_1171:
	s_mov_b32 s17, -1
	s_mov_b32 s20, 0
	s_mov_b32 s0, 0
                                        ; implicit-def: $vgpr12_vgpr13
	s_branch .LBB79_1289
.LBB79_1172:
	s_mov_b32 s0, -1
                                        ; implicit-def: $vgpr14_vgpr15
.LBB79_1173:
	s_mov_b32 s15, 0
.LBB79_1174:
	s_delay_alu instid0(SALU_CYCLE_1)
	s_and_b32 vcc_lo, exec_lo, s15
	s_cbranch_vccz .LBB79_1178
; %bb.1175:
	s_cmp_eq_u32 s19, 29
	s_cbranch_scc0 .LBB79_1177
; %bb.1176:
	global_load_b64 v[14:15], v[12:13], off
	s_mov_b32 s0, 0
	s_mov_b32 s17, -1
	s_branch .LBB79_1178
.LBB79_1177:
	s_mov_b32 s0, -1
                                        ; implicit-def: $vgpr14_vgpr15
.LBB79_1178:
	s_mov_b32 s15, 0
.LBB79_1179:
	s_delay_alu instid0(SALU_CYCLE_1)
	s_and_b32 vcc_lo, exec_lo, s15
	s_cbranch_vccz .LBB79_1195
; %bb.1180:
	s_cmp_lt_i32 s19, 27
	s_cbranch_scc1 .LBB79_1183
; %bb.1181:
	s_cmp_gt_i32 s19, 27
	s_cbranch_scc0 .LBB79_1184
; %bb.1182:
	s_wait_loadcnt 0x0
	global_load_b32 v14, v[12:13], off
	v_mov_b32_e32 v15, 0
	s_mov_b32 s15, 0
	s_branch .LBB79_1185
.LBB79_1183:
	s_mov_b32 s15, -1
                                        ; implicit-def: $vgpr14_vgpr15
	s_branch .LBB79_1188
.LBB79_1184:
	s_mov_b32 s15, -1
                                        ; implicit-def: $vgpr14_vgpr15
.LBB79_1185:
	s_delay_alu instid0(SALU_CYCLE_1)
	s_and_not1_b32 vcc_lo, exec_lo, s15
	s_cbranch_vccnz .LBB79_1187
; %bb.1186:
	global_load_u16 v1, v[12:13], off
	s_mov_b32 s15, 0
	s_wait_loadcnt 0x1
	v_mov_b32_e32 v15, s15
	s_wait_loadcnt 0x0
	v_and_b32_e32 v14, 0xffff, v1
.LBB79_1187:
	s_mov_b32 s15, 0
.LBB79_1188:
	s_delay_alu instid0(SALU_CYCLE_1)
	s_and_not1_b32 vcc_lo, exec_lo, s15
	s_cbranch_vccnz .LBB79_1194
; %bb.1189:
	global_load_u8 v1, v[12:13], off
	s_mov_b32 s17, 0
	s_mov_b32 s15, exec_lo
	s_wait_loadcnt 0x0
	v_cmpx_lt_i16_e32 0x7f, v1
	s_xor_b32 s15, exec_lo, s15
	s_cbranch_execz .LBB79_1206
; %bb.1190:
	v_cmp_ne_u16_e32 vcc_lo, 0x80, v1
	s_and_b32 s17, vcc_lo, exec_lo
	s_and_not1_saveexec_b32 s15, s15
	s_cbranch_execnz .LBB79_1207
.LBB79_1191:
	s_or_b32 exec_lo, exec_lo, s15
	v_mov_b64_e32 v[14:15], 0
	s_and_saveexec_b32 s15, s17
	s_cbranch_execz .LBB79_1193
.LBB79_1192:
	v_and_b32_e32 v3, 0xffff, v1
	s_delay_alu instid0(VALU_DEP_1) | instskip(SKIP_1) | instid1(VALU_DEP_2)
	v_dual_lshlrev_b32 v1, 24, v1 :: v_dual_bitop2_b32 v5, 7, v3 bitop3:0x40
	v_bfe_u32 v11, v3, 3, 4
	v_and_b32_e32 v1, 0x80000000, v1
	s_delay_alu instid0(VALU_DEP_3) | instskip(NEXT) | instid1(VALU_DEP_3)
	v_clz_i32_u32_e32 v7, v5
	v_cmp_eq_u32_e32 vcc_lo, 0, v11
	s_delay_alu instid0(VALU_DEP_2) | instskip(NEXT) | instid1(VALU_DEP_1)
	v_min_u32_e32 v7, 32, v7
	v_subrev_nc_u32_e32 v9, 28, v7
	v_sub_nc_u32_e32 v7, 29, v7
	s_delay_alu instid0(VALU_DEP_2) | instskip(NEXT) | instid1(VALU_DEP_2)
	v_lshlrev_b32_e32 v3, v9, v3
	v_cndmask_b32_e32 v7, v11, v7, vcc_lo
	s_delay_alu instid0(VALU_DEP_2) | instskip(NEXT) | instid1(VALU_DEP_1)
	v_and_b32_e32 v3, 7, v3
	v_cndmask_b32_e32 v3, v5, v3, vcc_lo
	s_delay_alu instid0(VALU_DEP_3) | instskip(NEXT) | instid1(VALU_DEP_2)
	v_lshl_add_u32 v5, v7, 23, 0x3b800000
	v_lshlrev_b32_e32 v3, 20, v3
	s_delay_alu instid0(VALU_DEP_1) | instskip(NEXT) | instid1(VALU_DEP_1)
	v_or3_b32 v1, v1, v5, v3
	v_trunc_f32_e32 v1, v1
	s_delay_alu instid0(VALU_DEP_1) | instskip(SKIP_1) | instid1(VALU_DEP_2)
	v_mul_f32_e64 v3, 0x2f800000, |v1|
	v_ashrrev_i32_e32 v14, 31, v1
	v_floor_f32_e32 v3, v3
	s_delay_alu instid0(VALU_DEP_2) | instskip(NEXT) | instid1(VALU_DEP_2)
	v_mov_b32_e32 v15, v14
	v_fma_f32 v5, 0xcf800000, v3, |v1|
	v_cvt_u32_f32_e32 v1, v3
	s_delay_alu instid0(VALU_DEP_2) | instskip(NEXT) | instid1(VALU_DEP_2)
	v_cvt_u32_f32_e32 v3, v5
	v_xor_b32_e32 v17, v1, v14
	s_delay_alu instid0(VALU_DEP_2) | instskip(NEXT) | instid1(VALU_DEP_1)
	v_xor_b32_e32 v16, v3, v14
	v_sub_nc_u64_e32 v[14:15], v[16:17], v[14:15]
.LBB79_1193:
	s_or_b32 exec_lo, exec_lo, s15
.LBB79_1194:
	s_mov_b32 s17, -1
.LBB79_1195:
	s_mov_b32 s15, 0
.LBB79_1196:
	s_delay_alu instid0(SALU_CYCLE_1)
	s_and_b32 vcc_lo, exec_lo, s15
	s_cbranch_vccz .LBB79_1227
; %bb.1197:
	s_cmp_gt_i32 s19, 22
	s_cbranch_scc0 .LBB79_1205
; %bb.1198:
	s_cmp_lt_i32 s19, 24
	s_cbranch_scc1 .LBB79_1208
; %bb.1199:
	s_cmp_gt_i32 s19, 24
	s_cbranch_scc0 .LBB79_1209
; %bb.1200:
	global_load_u8 v1, v[12:13], off
	s_mov_b32 s15, exec_lo
	s_wait_loadcnt 0x0
	v_cmpx_lt_i16_e32 0x7f, v1
	s_xor_b32 s15, exec_lo, s15
	s_cbranch_execz .LBB79_1221
; %bb.1201:
	v_cmp_ne_u16_e32 vcc_lo, 0x80, v1
	s_and_b32 s16, vcc_lo, exec_lo
	s_and_not1_saveexec_b32 s15, s15
	s_cbranch_execnz .LBB79_1222
.LBB79_1202:
	s_or_b32 exec_lo, exec_lo, s15
	v_mov_b64_e32 v[14:15], 0
	s_and_saveexec_b32 s15, s16
	s_cbranch_execz .LBB79_1204
.LBB79_1203:
	v_and_b32_e32 v3, 0xffff, v1
	s_delay_alu instid0(VALU_DEP_1) | instskip(SKIP_1) | instid1(VALU_DEP_2)
	v_dual_lshlrev_b32 v1, 24, v1 :: v_dual_bitop2_b32 v5, 3, v3 bitop3:0x40
	v_bfe_u32 v11, v3, 2, 5
	v_and_b32_e32 v1, 0x80000000, v1
	s_delay_alu instid0(VALU_DEP_3) | instskip(NEXT) | instid1(VALU_DEP_3)
	v_clz_i32_u32_e32 v7, v5
	v_cmp_eq_u32_e32 vcc_lo, 0, v11
	s_delay_alu instid0(VALU_DEP_2) | instskip(NEXT) | instid1(VALU_DEP_1)
	v_min_u32_e32 v7, 32, v7
	v_subrev_nc_u32_e32 v9, 29, v7
	v_sub_nc_u32_e32 v7, 30, v7
	s_delay_alu instid0(VALU_DEP_2) | instskip(NEXT) | instid1(VALU_DEP_2)
	v_lshlrev_b32_e32 v3, v9, v3
	v_cndmask_b32_e32 v7, v11, v7, vcc_lo
	s_delay_alu instid0(VALU_DEP_2) | instskip(NEXT) | instid1(VALU_DEP_1)
	v_and_b32_e32 v3, 3, v3
	v_cndmask_b32_e32 v3, v5, v3, vcc_lo
	s_delay_alu instid0(VALU_DEP_3) | instskip(NEXT) | instid1(VALU_DEP_2)
	v_lshl_add_u32 v5, v7, 23, 0x37800000
	v_lshlrev_b32_e32 v3, 21, v3
	s_delay_alu instid0(VALU_DEP_1) | instskip(NEXT) | instid1(VALU_DEP_1)
	v_or3_b32 v1, v1, v5, v3
	v_trunc_f32_e32 v1, v1
	s_delay_alu instid0(VALU_DEP_1) | instskip(SKIP_1) | instid1(VALU_DEP_2)
	v_mul_f32_e64 v3, 0x2f800000, |v1|
	v_ashrrev_i32_e32 v14, 31, v1
	v_floor_f32_e32 v3, v3
	s_delay_alu instid0(VALU_DEP_2) | instskip(NEXT) | instid1(VALU_DEP_2)
	v_mov_b32_e32 v15, v14
	v_fma_f32 v5, 0xcf800000, v3, |v1|
	v_cvt_u32_f32_e32 v1, v3
	s_delay_alu instid0(VALU_DEP_2) | instskip(NEXT) | instid1(VALU_DEP_2)
	v_cvt_u32_f32_e32 v3, v5
	v_xor_b32_e32 v17, v1, v14
	s_delay_alu instid0(VALU_DEP_2) | instskip(NEXT) | instid1(VALU_DEP_1)
	v_xor_b32_e32 v16, v3, v14
	v_sub_nc_u64_e32 v[14:15], v[16:17], v[14:15]
.LBB79_1204:
	s_or_b32 exec_lo, exec_lo, s15
	s_mov_b32 s15, 0
	s_branch .LBB79_1210
.LBB79_1205:
	s_mov_b32 s15, -1
                                        ; implicit-def: $vgpr14_vgpr15
	s_branch .LBB79_1216
.LBB79_1206:
	s_and_not1_saveexec_b32 s15, s15
	s_cbranch_execz .LBB79_1191
.LBB79_1207:
	v_cmp_ne_u16_e32 vcc_lo, 0, v1
	s_and_not1_b32 s17, s17, exec_lo
	s_and_b32 s18, vcc_lo, exec_lo
	s_delay_alu instid0(SALU_CYCLE_1)
	s_or_b32 s17, s17, s18
	s_or_b32 exec_lo, exec_lo, s15
	v_mov_b64_e32 v[14:15], 0
	s_and_saveexec_b32 s15, s17
	s_cbranch_execnz .LBB79_1192
	s_branch .LBB79_1193
.LBB79_1208:
	s_mov_b32 s15, -1
                                        ; implicit-def: $vgpr14_vgpr15
	s_branch .LBB79_1213
.LBB79_1209:
	s_mov_b32 s15, -1
                                        ; implicit-def: $vgpr14_vgpr15
.LBB79_1210:
	s_delay_alu instid0(SALU_CYCLE_1)
	s_and_b32 vcc_lo, exec_lo, s15
	s_cbranch_vccz .LBB79_1212
; %bb.1211:
	global_load_u8 v1, v[12:13], off
	s_wait_loadcnt 0x0
	v_lshlrev_b32_e32 v1, 24, v1
	s_delay_alu instid0(VALU_DEP_1) | instskip(NEXT) | instid1(VALU_DEP_1)
	v_and_b32_e32 v3, 0x7f000000, v1
	v_clz_i32_u32_e32 v5, v3
	v_add_nc_u32_e32 v9, 0x1000000, v3
	v_cmp_ne_u32_e32 vcc_lo, 0, v3
	s_delay_alu instid0(VALU_DEP_3) | instskip(NEXT) | instid1(VALU_DEP_1)
	v_min_u32_e32 v5, 32, v5
	v_sub_nc_u32_e64 v5, v5, 4 clamp
	s_delay_alu instid0(VALU_DEP_1) | instskip(NEXT) | instid1(VALU_DEP_1)
	v_dual_lshlrev_b32 v7, v5, v3 :: v_dual_lshlrev_b32 v5, 23, v5
	v_lshrrev_b32_e32 v7, 4, v7
	s_delay_alu instid0(VALU_DEP_1) | instskip(SKIP_1) | instid1(VALU_DEP_2)
	v_sub_nc_u32_e32 v5, v7, v5
	v_ashrrev_i32_e32 v7, 8, v9
	v_add_nc_u32_e32 v5, 0x3c000000, v5
	s_delay_alu instid0(VALU_DEP_1) | instskip(NEXT) | instid1(VALU_DEP_1)
	v_and_or_b32 v5, 0x7f800000, v7, v5
	v_cndmask_b32_e32 v3, 0, v5, vcc_lo
	s_delay_alu instid0(VALU_DEP_1) | instskip(NEXT) | instid1(VALU_DEP_1)
	v_and_or_b32 v1, 0x80000000, v1, v3
	v_trunc_f32_e32 v1, v1
	s_delay_alu instid0(VALU_DEP_1) | instskip(SKIP_1) | instid1(VALU_DEP_2)
	v_mul_f32_e64 v3, 0x2f800000, |v1|
	v_ashrrev_i32_e32 v14, 31, v1
	v_floor_f32_e32 v3, v3
	s_delay_alu instid0(VALU_DEP_2) | instskip(NEXT) | instid1(VALU_DEP_2)
	v_mov_b32_e32 v15, v14
	v_fma_f32 v5, 0xcf800000, v3, |v1|
	v_cvt_u32_f32_e32 v1, v3
	s_delay_alu instid0(VALU_DEP_2) | instskip(NEXT) | instid1(VALU_DEP_2)
	v_cvt_u32_f32_e32 v3, v5
	v_xor_b32_e32 v17, v1, v14
	s_delay_alu instid0(VALU_DEP_2) | instskip(NEXT) | instid1(VALU_DEP_1)
	v_xor_b32_e32 v16, v3, v14
	v_sub_nc_u64_e32 v[14:15], v[16:17], v[14:15]
.LBB79_1212:
	s_mov_b32 s15, 0
.LBB79_1213:
	s_delay_alu instid0(SALU_CYCLE_1)
	s_and_not1_b32 vcc_lo, exec_lo, s15
	s_cbranch_vccnz .LBB79_1215
; %bb.1214:
	global_load_u8 v1, v[12:13], off
	s_wait_loadcnt 0x0
	v_lshlrev_b32_e32 v3, 25, v1
	v_lshlrev_b16 v1, 8, v1
	s_delay_alu instid0(VALU_DEP_1) | instskip(SKIP_1) | instid1(VALU_DEP_2)
	v_and_or_b32 v7, 0x7f00, v1, 0.5
	v_bfe_i32 v1, v1, 0, 16
	v_add_f32_e32 v7, -0.5, v7
	v_lshrrev_b32_e32 v5, 4, v3
	v_cmp_gt_u32_e32 vcc_lo, 0x8000000, v3
	s_delay_alu instid0(VALU_DEP_2) | instskip(NEXT) | instid1(VALU_DEP_1)
	v_or_b32_e32 v5, 0x70000000, v5
	v_mul_f32_e32 v5, 0x7800000, v5
	s_delay_alu instid0(VALU_DEP_1) | instskip(NEXT) | instid1(VALU_DEP_1)
	v_cndmask_b32_e32 v3, v5, v7, vcc_lo
	v_and_or_b32 v1, 0x80000000, v1, v3
	s_delay_alu instid0(VALU_DEP_1) | instskip(NEXT) | instid1(VALU_DEP_1)
	v_trunc_f32_e32 v1, v1
	v_mul_f32_e64 v3, 0x2f800000, |v1|
	v_ashrrev_i32_e32 v14, 31, v1
	s_delay_alu instid0(VALU_DEP_2) | instskip(NEXT) | instid1(VALU_DEP_2)
	v_floor_f32_e32 v3, v3
	v_mov_b32_e32 v15, v14
	s_delay_alu instid0(VALU_DEP_2) | instskip(SKIP_1) | instid1(VALU_DEP_2)
	v_fma_f32 v5, 0xcf800000, v3, |v1|
	v_cvt_u32_f32_e32 v1, v3
	v_cvt_u32_f32_e32 v3, v5
	s_delay_alu instid0(VALU_DEP_2) | instskip(NEXT) | instid1(VALU_DEP_2)
	v_xor_b32_e32 v17, v1, v14
	v_xor_b32_e32 v16, v3, v14
	s_delay_alu instid0(VALU_DEP_1)
	v_sub_nc_u64_e32 v[14:15], v[16:17], v[14:15]
.LBB79_1215:
	s_mov_b32 s15, 0
	s_mov_b32 s17, -1
.LBB79_1216:
	s_and_not1_b32 vcc_lo, exec_lo, s15
	s_mov_b32 s16, 0
	s_cbranch_vccnz .LBB79_1227
; %bb.1217:
	s_cmp_gt_i32 s19, 14
	s_cbranch_scc0 .LBB79_1220
; %bb.1218:
	s_cmp_eq_u32 s19, 15
	s_cbranch_scc0 .LBB79_1223
; %bb.1219:
	global_load_u16 v1, v[12:13], off
	s_mov_b32 s0, 0
	s_mov_b32 s17, -1
	s_wait_loadcnt 0x0
	v_lshlrev_b32_e32 v1, 16, v1
	s_delay_alu instid0(VALU_DEP_1) | instskip(NEXT) | instid1(VALU_DEP_1)
	v_trunc_f32_e32 v1, v1
	v_mul_f32_e64 v3, 0x2f800000, |v1|
	v_ashrrev_i32_e32 v14, 31, v1
	s_delay_alu instid0(VALU_DEP_2) | instskip(NEXT) | instid1(VALU_DEP_2)
	v_floor_f32_e32 v3, v3
	v_mov_b32_e32 v15, v14
	s_delay_alu instid0(VALU_DEP_2) | instskip(SKIP_1) | instid1(VALU_DEP_2)
	v_fma_f32 v5, 0xcf800000, v3, |v1|
	v_cvt_u32_f32_e32 v1, v3
	v_cvt_u32_f32_e32 v3, v5
	s_delay_alu instid0(VALU_DEP_2) | instskip(NEXT) | instid1(VALU_DEP_2)
	v_xor_b32_e32 v17, v1, v14
	v_xor_b32_e32 v16, v3, v14
	s_delay_alu instid0(VALU_DEP_1)
	v_sub_nc_u64_e32 v[14:15], v[16:17], v[14:15]
	s_branch .LBB79_1224
.LBB79_1220:
	s_mov_b32 s15, -1
                                        ; implicit-def: $vgpr14_vgpr15
	s_branch .LBB79_1225
.LBB79_1221:
	s_and_not1_saveexec_b32 s15, s15
	s_cbranch_execz .LBB79_1202
.LBB79_1222:
	v_cmp_ne_u16_e32 vcc_lo, 0, v1
	s_and_not1_b32 s16, s16, exec_lo
	s_and_b32 s17, vcc_lo, exec_lo
	s_delay_alu instid0(SALU_CYCLE_1)
	s_or_b32 s16, s16, s17
	s_or_b32 exec_lo, exec_lo, s15
	v_mov_b64_e32 v[14:15], 0
	s_and_saveexec_b32 s15, s16
	s_cbranch_execnz .LBB79_1203
	s_branch .LBB79_1204
.LBB79_1223:
	s_mov_b32 s0, -1
                                        ; implicit-def: $vgpr14_vgpr15
.LBB79_1224:
	s_mov_b32 s15, 0
.LBB79_1225:
	s_delay_alu instid0(SALU_CYCLE_1)
	s_and_b32 vcc_lo, exec_lo, s15
	s_cbranch_vccz .LBB79_1227
; %bb.1226:
	s_cmp_lg_u32 s19, 11
	s_mov_b32 s16, -1
	s_cselect_b32 s0, -1, 0
.LBB79_1227:
	s_delay_alu instid0(SALU_CYCLE_1)
	s_and_b32 vcc_lo, exec_lo, s0
	s_mov_b32 s15, s1
	s_cbranch_vccnz .LBB79_1280
; %bb.1228:
	s_and_not1_b32 vcc_lo, exec_lo, s16
	s_cbranch_vccnz .LBB79_1230
.LBB79_1229:
	global_load_u8 v1, v[12:13], off
	s_mov_b32 s0, 0
	s_mov_b32 s17, -1
	s_wait_loadcnt 0x1
	v_mov_b32_e32 v15, s0
	s_wait_loadcnt 0x0
	v_cmp_ne_u16_e32 vcc_lo, 0, v1
	v_cndmask_b32_e64 v14, 0, 1, vcc_lo
.LBB79_1230:
	s_branch .LBB79_1040
.LBB79_1231:
	s_cmp_lt_i32 s19, 5
	s_cbranch_scc1 .LBB79_1236
; %bb.1232:
	s_cmp_lt_i32 s19, 8
	s_cbranch_scc1 .LBB79_1237
; %bb.1233:
	;; [unrolled: 3-line block ×3, first 2 shown]
	s_cmp_gt_i32 s19, 9
	s_cbranch_scc0 .LBB79_1239
; %bb.1235:
	s_wait_loadcnt 0x0
	global_load_b64 v[14:15], v[12:13], off
	s_mov_b32 s0, 0
	s_wait_loadcnt 0x0
	v_trunc_f64_e32 v[14:15], v[14:15]
	s_delay_alu instid0(VALU_DEP_1) | instskip(NEXT) | instid1(VALU_DEP_1)
	v_ldexp_f64 v[16:17], v[14:15], 0xffffffe0
	v_floor_f64_e32 v[16:17], v[16:17]
	s_delay_alu instid0(VALU_DEP_1) | instskip(SKIP_1) | instid1(VALU_DEP_2)
	v_fmamk_f64 v[18:19], v[16:17], 0xc1f00000, v[14:15]
	v_cvt_i32_f64_e32 v15, v[16:17]
	v_cvt_u32_f64_e32 v14, v[18:19]
	s_branch .LBB79_1240
.LBB79_1236:
	s_mov_b32 s0, -1
                                        ; implicit-def: $vgpr14_vgpr15
	s_branch .LBB79_1258
.LBB79_1237:
	s_mov_b32 s0, -1
                                        ; implicit-def: $vgpr14_vgpr15
	s_branch .LBB79_1246
.LBB79_1238:
	s_mov_b32 s0, -1
                                        ; implicit-def: $vgpr14_vgpr15
	s_branch .LBB79_1243
.LBB79_1239:
	s_mov_b32 s0, -1
                                        ; implicit-def: $vgpr14_vgpr15
.LBB79_1240:
	s_delay_alu instid0(SALU_CYCLE_1)
	s_and_not1_b32 vcc_lo, exec_lo, s0
	s_cbranch_vccnz .LBB79_1242
; %bb.1241:
	global_load_b32 v1, v[12:13], off
	s_wait_loadcnt 0x0
	v_trunc_f32_e32 v1, v1
	s_delay_alu instid0(VALU_DEP_1) | instskip(SKIP_1) | instid1(VALU_DEP_2)
	v_mul_f32_e64 v3, 0x2f800000, |v1|
	v_ashrrev_i32_e32 v14, 31, v1
	v_floor_f32_e32 v3, v3
	s_delay_alu instid0(VALU_DEP_1) | instskip(SKIP_1) | instid1(VALU_DEP_4)
	v_fma_f32 v5, 0xcf800000, v3, |v1|
	v_cvt_u32_f32_e32 v1, v3
	v_mov_b32_e32 v15, v14
	s_delay_alu instid0(VALU_DEP_3) | instskip(NEXT) | instid1(VALU_DEP_3)
	v_cvt_u32_f32_e32 v3, v5
	v_xor_b32_e32 v17, v1, v14
	s_delay_alu instid0(VALU_DEP_2) | instskip(NEXT) | instid1(VALU_DEP_1)
	v_xor_b32_e32 v16, v3, v14
	v_sub_nc_u64_e32 v[14:15], v[16:17], v[14:15]
.LBB79_1242:
	s_mov_b32 s0, 0
.LBB79_1243:
	s_delay_alu instid0(SALU_CYCLE_1)
	s_and_not1_b32 vcc_lo, exec_lo, s0
	s_cbranch_vccnz .LBB79_1245
; %bb.1244:
	global_load_b32 v1, v[12:13], off
	s_wait_loadcnt 0x0
	v_cvt_f32_f16_e32 v1, v1
	s_delay_alu instid0(VALU_DEP_1) | instskip(NEXT) | instid1(VALU_DEP_1)
	v_cvt_i32_f32_e32 v14, v1
	v_ashrrev_i32_e32 v15, 31, v14
.LBB79_1245:
	s_mov_b32 s0, 0
.LBB79_1246:
	s_delay_alu instid0(SALU_CYCLE_1)
	s_and_not1_b32 vcc_lo, exec_lo, s0
	s_cbranch_vccnz .LBB79_1257
; %bb.1247:
	s_cmp_lt_i32 s19, 6
	s_cbranch_scc1 .LBB79_1250
; %bb.1248:
	s_cmp_gt_i32 s19, 6
	s_cbranch_scc0 .LBB79_1251
; %bb.1249:
	s_wait_loadcnt 0x0
	global_load_b64 v[14:15], v[12:13], off
	s_mov_b32 s0, 0
	s_wait_loadcnt 0x0
	v_trunc_f64_e32 v[14:15], v[14:15]
	s_delay_alu instid0(VALU_DEP_1) | instskip(NEXT) | instid1(VALU_DEP_1)
	v_ldexp_f64 v[16:17], v[14:15], 0xffffffe0
	v_floor_f64_e32 v[16:17], v[16:17]
	s_delay_alu instid0(VALU_DEP_1) | instskip(SKIP_1) | instid1(VALU_DEP_2)
	v_fmamk_f64 v[18:19], v[16:17], 0xc1f00000, v[14:15]
	v_cvt_i32_f64_e32 v15, v[16:17]
	v_cvt_u32_f64_e32 v14, v[18:19]
	s_branch .LBB79_1252
.LBB79_1250:
	s_mov_b32 s0, -1
                                        ; implicit-def: $vgpr14_vgpr15
	s_branch .LBB79_1255
.LBB79_1251:
	s_mov_b32 s0, -1
                                        ; implicit-def: $vgpr14_vgpr15
.LBB79_1252:
	s_delay_alu instid0(SALU_CYCLE_1)
	s_and_not1_b32 vcc_lo, exec_lo, s0
	s_cbranch_vccnz .LBB79_1254
; %bb.1253:
	global_load_b32 v1, v[12:13], off
	s_wait_loadcnt 0x0
	v_trunc_f32_e32 v1, v1
	s_delay_alu instid0(VALU_DEP_1) | instskip(SKIP_1) | instid1(VALU_DEP_2)
	v_mul_f32_e64 v3, 0x2f800000, |v1|
	v_ashrrev_i32_e32 v14, 31, v1
	v_floor_f32_e32 v3, v3
	s_delay_alu instid0(VALU_DEP_1) | instskip(SKIP_1) | instid1(VALU_DEP_4)
	v_fma_f32 v5, 0xcf800000, v3, |v1|
	v_cvt_u32_f32_e32 v1, v3
	v_mov_b32_e32 v15, v14
	s_delay_alu instid0(VALU_DEP_3) | instskip(NEXT) | instid1(VALU_DEP_3)
	v_cvt_u32_f32_e32 v3, v5
	v_xor_b32_e32 v17, v1, v14
	s_delay_alu instid0(VALU_DEP_2) | instskip(NEXT) | instid1(VALU_DEP_1)
	v_xor_b32_e32 v16, v3, v14
	v_sub_nc_u64_e32 v[14:15], v[16:17], v[14:15]
.LBB79_1254:
	s_mov_b32 s0, 0
.LBB79_1255:
	s_delay_alu instid0(SALU_CYCLE_1)
	s_and_not1_b32 vcc_lo, exec_lo, s0
	s_cbranch_vccnz .LBB79_1257
; %bb.1256:
	global_load_u16 v1, v[12:13], off
	s_wait_loadcnt 0x0
	v_cvt_f32_f16_e32 v1, v1
	s_delay_alu instid0(VALU_DEP_1) | instskip(NEXT) | instid1(VALU_DEP_1)
	v_cvt_i32_f32_e32 v14, v1
	v_ashrrev_i32_e32 v15, 31, v14
.LBB79_1257:
	s_mov_b32 s0, 0
.LBB79_1258:
	s_delay_alu instid0(SALU_CYCLE_1)
	s_and_not1_b32 vcc_lo, exec_lo, s0
	s_cbranch_vccnz .LBB79_1278
; %bb.1259:
	s_cmp_lt_i32 s19, 2
	s_cbranch_scc1 .LBB79_1263
; %bb.1260:
	s_cmp_lt_i32 s19, 3
	s_cbranch_scc1 .LBB79_1264
; %bb.1261:
	s_cmp_gt_i32 s19, 3
	s_cbranch_scc0 .LBB79_1265
; %bb.1262:
	s_wait_loadcnt 0x0
	global_load_b64 v[14:15], v[12:13], off
	s_mov_b32 s0, 0
	s_branch .LBB79_1266
.LBB79_1263:
	s_mov_b32 s0, -1
                                        ; implicit-def: $vgpr14_vgpr15
	s_branch .LBB79_1272
.LBB79_1264:
	s_mov_b32 s0, -1
                                        ; implicit-def: $vgpr14_vgpr15
	s_branch .LBB79_1269
.LBB79_1265:
	s_mov_b32 s0, -1
                                        ; implicit-def: $vgpr14_vgpr15
.LBB79_1266:
	s_delay_alu instid0(SALU_CYCLE_1)
	s_and_not1_b32 vcc_lo, exec_lo, s0
	s_cbranch_vccnz .LBB79_1268
; %bb.1267:
	s_wait_loadcnt 0x0
	global_load_b32 v14, v[12:13], off
	s_wait_loadcnt 0x0
	v_ashrrev_i32_e32 v15, 31, v14
.LBB79_1268:
	s_mov_b32 s0, 0
.LBB79_1269:
	s_delay_alu instid0(SALU_CYCLE_1)
	s_and_not1_b32 vcc_lo, exec_lo, s0
	s_cbranch_vccnz .LBB79_1271
; %bb.1270:
	global_load_u16 v1, v[12:13], off
	s_wait_loadcnt 0x0
	v_bfe_i32 v14, v1, 0, 16
	s_delay_alu instid0(VALU_DEP_1)
	v_ashrrev_i32_e32 v15, 31, v14
.LBB79_1271:
	s_mov_b32 s0, 0
.LBB79_1272:
	s_delay_alu instid0(SALU_CYCLE_1)
	s_and_not1_b32 vcc_lo, exec_lo, s0
	s_cbranch_vccnz .LBB79_1278
; %bb.1273:
	s_cmp_gt_i32 s19, 0
	s_mov_b32 s0, 0
	s_cbranch_scc0 .LBB79_1275
; %bb.1274:
	global_load_i8 v1, v[12:13], off
	s_wait_loadcnt 0x0
	v_bfe_i32 v14, v1, 0, 16
	s_delay_alu instid0(VALU_DEP_1)
	v_ashrrev_i32_e32 v15, 31, v14
	s_branch .LBB79_1276
.LBB79_1275:
	s_mov_b32 s0, -1
                                        ; implicit-def: $vgpr14_vgpr15
.LBB79_1276:
	s_delay_alu instid0(SALU_CYCLE_1)
	s_and_not1_b32 vcc_lo, exec_lo, s0
	s_cbranch_vccnz .LBB79_1278
; %bb.1277:
	global_load_u8 v1, v[12:13], off
	s_mov_b32 s0, 0
	s_wait_loadcnt 0x1
	v_mov_b32_e32 v15, s0
	s_wait_loadcnt 0x0
	v_and_b32_e32 v14, 0xffff, v1
.LBB79_1278:
	s_branch .LBB79_1041
.LBB79_1279:
	s_mov_b32 s17, 0
	s_mov_b32 s18, 0
                                        ; implicit-def: $vgpr14_vgpr15
                                        ; implicit-def: $sgpr0
	s_branch .LBB79_1850
.LBB79_1280:
	s_or_b32 s15, s1, exec_lo
	s_trap 2
	s_cbranch_execz .LBB79_1229
	s_branch .LBB79_1230
.LBB79_1281:
	s_mov_b32 s17, -1
	s_mov_b32 s20, 0
	s_mov_b32 s0, 0
	s_branch .LBB79_1283
.LBB79_1282:
	s_mov_b32 s0, -1
	s_mov_b32 s20, 0
.LBB79_1283:
                                        ; implicit-def: $vgpr12_vgpr13
.LBB79_1284:
	s_and_b32 vcc_lo, exec_lo, s17
	s_cbranch_vccz .LBB79_1288
; %bb.1285:
	s_cmp_eq_u32 s19, 44
	s_cbranch_scc0 .LBB79_1287
; %bb.1286:
	global_load_u8 v1, v[10:11], off
	s_mov_b32 s0, 0
	s_mov_b32 s20, -1
	s_wait_loadcnt 0x0
	v_lshlrev_b32_e32 v3, 23, v1
	v_cmp_ne_u32_e32 vcc_lo, 0, v1
	s_delay_alu instid0(VALU_DEP_2) | instskip(NEXT) | instid1(VALU_DEP_1)
	v_trunc_f32_e32 v3, v3
	v_mul_f32_e64 v5, 0x2f800000, |v3|
	v_ashrrev_i32_e32 v12, 31, v3
	s_delay_alu instid0(VALU_DEP_2) | instskip(NEXT) | instid1(VALU_DEP_2)
	v_floor_f32_e32 v5, v5
	v_mov_b32_e32 v13, v12
	s_delay_alu instid0(VALU_DEP_2) | instskip(SKIP_1) | instid1(VALU_DEP_2)
	v_fma_f32 v7, 0xcf800000, v5, |v3|
	v_cvt_u32_f32_e32 v3, v5
	v_cvt_u32_f32_e32 v5, v7
	s_delay_alu instid0(VALU_DEP_2) | instskip(NEXT) | instid1(VALU_DEP_2)
	v_xor_b32_e32 v15, v3, v12
	v_xor_b32_e32 v14, v5, v12
	s_delay_alu instid0(VALU_DEP_1) | instskip(NEXT) | instid1(VALU_DEP_1)
	v_sub_nc_u64_e32 v[12:13], v[14:15], v[12:13]
	v_dual_cndmask_b32 v13, 0, v13 :: v_dual_cndmask_b32 v12, 0, v12
	s_branch .LBB79_1288
.LBB79_1287:
	s_mov_b32 s0, -1
                                        ; implicit-def: $vgpr12_vgpr13
.LBB79_1288:
	s_mov_b32 s17, 0
.LBB79_1289:
	s_delay_alu instid0(SALU_CYCLE_1)
	s_and_b32 vcc_lo, exec_lo, s17
	s_cbranch_vccz .LBB79_1293
; %bb.1290:
	s_cmp_eq_u32 s19, 29
	s_cbranch_scc0 .LBB79_1292
; %bb.1291:
	global_load_b64 v[12:13], v[10:11], off
	s_mov_b32 s0, 0
	s_mov_b32 s20, -1
	s_branch .LBB79_1293
.LBB79_1292:
	s_mov_b32 s0, -1
                                        ; implicit-def: $vgpr12_vgpr13
.LBB79_1293:
	s_mov_b32 s17, 0
.LBB79_1294:
	s_delay_alu instid0(SALU_CYCLE_1)
	s_and_b32 vcc_lo, exec_lo, s17
	s_cbranch_vccz .LBB79_1310
; %bb.1295:
	s_cmp_lt_i32 s19, 27
	s_cbranch_scc1 .LBB79_1298
; %bb.1296:
	s_cmp_gt_i32 s19, 27
	s_cbranch_scc0 .LBB79_1299
; %bb.1297:
	s_wait_loadcnt 0x0
	global_load_b32 v12, v[10:11], off
	v_mov_b32_e32 v13, 0
	s_mov_b32 s17, 0
	s_branch .LBB79_1300
.LBB79_1298:
	s_mov_b32 s17, -1
                                        ; implicit-def: $vgpr12_vgpr13
	s_branch .LBB79_1303
.LBB79_1299:
	s_mov_b32 s17, -1
                                        ; implicit-def: $vgpr12_vgpr13
.LBB79_1300:
	s_delay_alu instid0(SALU_CYCLE_1)
	s_and_not1_b32 vcc_lo, exec_lo, s17
	s_cbranch_vccnz .LBB79_1302
; %bb.1301:
	global_load_u16 v1, v[10:11], off
	s_mov_b32 s17, 0
	s_wait_loadcnt 0x1
	v_mov_b32_e32 v13, s17
	s_wait_loadcnt 0x0
	v_and_b32_e32 v12, 0xffff, v1
.LBB79_1302:
	s_mov_b32 s17, 0
.LBB79_1303:
	s_delay_alu instid0(SALU_CYCLE_1)
	s_and_not1_b32 vcc_lo, exec_lo, s17
	s_cbranch_vccnz .LBB79_1309
; %bb.1304:
	global_load_u8 v1, v[10:11], off
	s_mov_b32 s20, 0
	s_mov_b32 s17, exec_lo
	s_wait_loadcnt 0x0
	v_cmpx_lt_i16_e32 0x7f, v1
	s_xor_b32 s17, exec_lo, s17
	s_cbranch_execz .LBB79_1321
; %bb.1305:
	v_cmp_ne_u16_e32 vcc_lo, 0x80, v1
	s_and_b32 s20, vcc_lo, exec_lo
	s_and_not1_saveexec_b32 s17, s17
	s_cbranch_execnz .LBB79_1322
.LBB79_1306:
	s_or_b32 exec_lo, exec_lo, s17
	v_mov_b64_e32 v[12:13], 0
	s_and_saveexec_b32 s17, s20
	s_cbranch_execz .LBB79_1308
.LBB79_1307:
	v_and_b32_e32 v3, 0xffff, v1
	s_delay_alu instid0(VALU_DEP_1) | instskip(SKIP_1) | instid1(VALU_DEP_2)
	v_dual_lshlrev_b32 v1, 24, v1 :: v_dual_bitop2_b32 v5, 7, v3 bitop3:0x40
	v_bfe_u32 v12, v3, 3, 4
	v_and_b32_e32 v1, 0x80000000, v1
	s_delay_alu instid0(VALU_DEP_3) | instskip(NEXT) | instid1(VALU_DEP_3)
	v_clz_i32_u32_e32 v7, v5
	v_cmp_eq_u32_e32 vcc_lo, 0, v12
	s_delay_alu instid0(VALU_DEP_2) | instskip(NEXT) | instid1(VALU_DEP_1)
	v_min_u32_e32 v7, 32, v7
	v_subrev_nc_u32_e32 v9, 28, v7
	v_sub_nc_u32_e32 v7, 29, v7
	s_delay_alu instid0(VALU_DEP_2) | instskip(NEXT) | instid1(VALU_DEP_2)
	v_lshlrev_b32_e32 v3, v9, v3
	v_cndmask_b32_e32 v7, v12, v7, vcc_lo
	s_delay_alu instid0(VALU_DEP_2) | instskip(NEXT) | instid1(VALU_DEP_1)
	v_and_b32_e32 v3, 7, v3
	v_cndmask_b32_e32 v3, v5, v3, vcc_lo
	s_delay_alu instid0(VALU_DEP_3) | instskip(NEXT) | instid1(VALU_DEP_2)
	v_lshl_add_u32 v5, v7, 23, 0x3b800000
	v_lshlrev_b32_e32 v3, 20, v3
	s_delay_alu instid0(VALU_DEP_1) | instskip(NEXT) | instid1(VALU_DEP_1)
	v_or3_b32 v1, v1, v5, v3
	v_trunc_f32_e32 v1, v1
	s_delay_alu instid0(VALU_DEP_1) | instskip(SKIP_1) | instid1(VALU_DEP_2)
	v_mul_f32_e64 v3, 0x2f800000, |v1|
	v_ashrrev_i32_e32 v12, 31, v1
	v_floor_f32_e32 v3, v3
	s_delay_alu instid0(VALU_DEP_2) | instskip(NEXT) | instid1(VALU_DEP_2)
	v_mov_b32_e32 v13, v12
	v_fma_f32 v5, 0xcf800000, v3, |v1|
	v_cvt_u32_f32_e32 v1, v3
	s_delay_alu instid0(VALU_DEP_2) | instskip(NEXT) | instid1(VALU_DEP_2)
	v_cvt_u32_f32_e32 v3, v5
	v_xor_b32_e32 v15, v1, v12
	s_delay_alu instid0(VALU_DEP_2) | instskip(NEXT) | instid1(VALU_DEP_1)
	v_xor_b32_e32 v14, v3, v12
	v_sub_nc_u64_e32 v[12:13], v[14:15], v[12:13]
.LBB79_1308:
	s_or_b32 exec_lo, exec_lo, s17
.LBB79_1309:
	s_mov_b32 s20, -1
.LBB79_1310:
	s_mov_b32 s17, 0
.LBB79_1311:
	s_delay_alu instid0(SALU_CYCLE_1)
	s_and_b32 vcc_lo, exec_lo, s17
	s_cbranch_vccz .LBB79_1342
; %bb.1312:
	s_cmp_gt_i32 s19, 22
	s_cbranch_scc0 .LBB79_1320
; %bb.1313:
	s_cmp_lt_i32 s19, 24
	s_cbranch_scc1 .LBB79_1323
; %bb.1314:
	s_cmp_gt_i32 s19, 24
	s_cbranch_scc0 .LBB79_1324
; %bb.1315:
	global_load_u8 v1, v[10:11], off
	s_mov_b32 s17, exec_lo
	s_wait_loadcnt 0x0
	v_cmpx_lt_i16_e32 0x7f, v1
	s_xor_b32 s17, exec_lo, s17
	s_cbranch_execz .LBB79_1336
; %bb.1316:
	v_cmp_ne_u16_e32 vcc_lo, 0x80, v1
	s_and_b32 s18, vcc_lo, exec_lo
	s_and_not1_saveexec_b32 s17, s17
	s_cbranch_execnz .LBB79_1337
.LBB79_1317:
	s_or_b32 exec_lo, exec_lo, s17
	v_mov_b64_e32 v[12:13], 0
	s_and_saveexec_b32 s17, s18
	s_cbranch_execz .LBB79_1319
.LBB79_1318:
	v_and_b32_e32 v3, 0xffff, v1
	s_delay_alu instid0(VALU_DEP_1) | instskip(SKIP_1) | instid1(VALU_DEP_2)
	v_dual_lshlrev_b32 v1, 24, v1 :: v_dual_bitop2_b32 v5, 3, v3 bitop3:0x40
	v_bfe_u32 v12, v3, 2, 5
	v_and_b32_e32 v1, 0x80000000, v1
	s_delay_alu instid0(VALU_DEP_3) | instskip(NEXT) | instid1(VALU_DEP_3)
	v_clz_i32_u32_e32 v7, v5
	v_cmp_eq_u32_e32 vcc_lo, 0, v12
	s_delay_alu instid0(VALU_DEP_2) | instskip(NEXT) | instid1(VALU_DEP_1)
	v_min_u32_e32 v7, 32, v7
	v_subrev_nc_u32_e32 v9, 29, v7
	v_sub_nc_u32_e32 v7, 30, v7
	s_delay_alu instid0(VALU_DEP_2) | instskip(NEXT) | instid1(VALU_DEP_2)
	v_lshlrev_b32_e32 v3, v9, v3
	v_cndmask_b32_e32 v7, v12, v7, vcc_lo
	s_delay_alu instid0(VALU_DEP_2) | instskip(NEXT) | instid1(VALU_DEP_1)
	v_and_b32_e32 v3, 3, v3
	v_cndmask_b32_e32 v3, v5, v3, vcc_lo
	s_delay_alu instid0(VALU_DEP_3) | instskip(NEXT) | instid1(VALU_DEP_2)
	v_lshl_add_u32 v5, v7, 23, 0x37800000
	v_lshlrev_b32_e32 v3, 21, v3
	s_delay_alu instid0(VALU_DEP_1) | instskip(NEXT) | instid1(VALU_DEP_1)
	v_or3_b32 v1, v1, v5, v3
	v_trunc_f32_e32 v1, v1
	s_delay_alu instid0(VALU_DEP_1) | instskip(SKIP_1) | instid1(VALU_DEP_2)
	v_mul_f32_e64 v3, 0x2f800000, |v1|
	v_ashrrev_i32_e32 v12, 31, v1
	v_floor_f32_e32 v3, v3
	s_delay_alu instid0(VALU_DEP_2) | instskip(NEXT) | instid1(VALU_DEP_2)
	v_mov_b32_e32 v13, v12
	v_fma_f32 v5, 0xcf800000, v3, |v1|
	v_cvt_u32_f32_e32 v1, v3
	s_delay_alu instid0(VALU_DEP_2) | instskip(NEXT) | instid1(VALU_DEP_2)
	v_cvt_u32_f32_e32 v3, v5
	v_xor_b32_e32 v15, v1, v12
	s_delay_alu instid0(VALU_DEP_2) | instskip(NEXT) | instid1(VALU_DEP_1)
	v_xor_b32_e32 v14, v3, v12
	v_sub_nc_u64_e32 v[12:13], v[14:15], v[12:13]
.LBB79_1319:
	s_or_b32 exec_lo, exec_lo, s17
	s_mov_b32 s17, 0
	s_branch .LBB79_1325
.LBB79_1320:
	s_mov_b32 s17, -1
                                        ; implicit-def: $vgpr12_vgpr13
	s_branch .LBB79_1331
.LBB79_1321:
	s_and_not1_saveexec_b32 s17, s17
	s_cbranch_execz .LBB79_1306
.LBB79_1322:
	v_cmp_ne_u16_e32 vcc_lo, 0, v1
	s_and_not1_b32 s20, s20, exec_lo
	s_and_b32 s21, vcc_lo, exec_lo
	s_delay_alu instid0(SALU_CYCLE_1)
	s_or_b32 s20, s20, s21
	s_or_b32 exec_lo, exec_lo, s17
	v_mov_b64_e32 v[12:13], 0
	s_and_saveexec_b32 s17, s20
	s_cbranch_execnz .LBB79_1307
	s_branch .LBB79_1308
.LBB79_1323:
	s_mov_b32 s17, -1
                                        ; implicit-def: $vgpr12_vgpr13
	s_branch .LBB79_1328
.LBB79_1324:
	s_mov_b32 s17, -1
                                        ; implicit-def: $vgpr12_vgpr13
.LBB79_1325:
	s_delay_alu instid0(SALU_CYCLE_1)
	s_and_b32 vcc_lo, exec_lo, s17
	s_cbranch_vccz .LBB79_1327
; %bb.1326:
	global_load_u8 v1, v[10:11], off
	s_wait_loadcnt 0x0
	v_lshlrev_b32_e32 v1, 24, v1
	s_delay_alu instid0(VALU_DEP_1) | instskip(NEXT) | instid1(VALU_DEP_1)
	v_and_b32_e32 v3, 0x7f000000, v1
	v_clz_i32_u32_e32 v5, v3
	v_add_nc_u32_e32 v9, 0x1000000, v3
	v_cmp_ne_u32_e32 vcc_lo, 0, v3
	s_delay_alu instid0(VALU_DEP_3) | instskip(NEXT) | instid1(VALU_DEP_1)
	v_min_u32_e32 v5, 32, v5
	v_sub_nc_u32_e64 v5, v5, 4 clamp
	s_delay_alu instid0(VALU_DEP_1) | instskip(NEXT) | instid1(VALU_DEP_1)
	v_dual_lshlrev_b32 v7, v5, v3 :: v_dual_lshlrev_b32 v5, 23, v5
	v_lshrrev_b32_e32 v7, 4, v7
	s_delay_alu instid0(VALU_DEP_1) | instskip(SKIP_1) | instid1(VALU_DEP_2)
	v_sub_nc_u32_e32 v5, v7, v5
	v_ashrrev_i32_e32 v7, 8, v9
	v_add_nc_u32_e32 v5, 0x3c000000, v5
	s_delay_alu instid0(VALU_DEP_1) | instskip(NEXT) | instid1(VALU_DEP_1)
	v_and_or_b32 v5, 0x7f800000, v7, v5
	v_cndmask_b32_e32 v3, 0, v5, vcc_lo
	s_delay_alu instid0(VALU_DEP_1) | instskip(NEXT) | instid1(VALU_DEP_1)
	v_and_or_b32 v1, 0x80000000, v1, v3
	v_trunc_f32_e32 v1, v1
	s_delay_alu instid0(VALU_DEP_1) | instskip(SKIP_1) | instid1(VALU_DEP_2)
	v_mul_f32_e64 v3, 0x2f800000, |v1|
	v_ashrrev_i32_e32 v12, 31, v1
	v_floor_f32_e32 v3, v3
	s_delay_alu instid0(VALU_DEP_2) | instskip(NEXT) | instid1(VALU_DEP_2)
	v_mov_b32_e32 v13, v12
	v_fma_f32 v5, 0xcf800000, v3, |v1|
	v_cvt_u32_f32_e32 v1, v3
	s_delay_alu instid0(VALU_DEP_2) | instskip(NEXT) | instid1(VALU_DEP_2)
	v_cvt_u32_f32_e32 v3, v5
	v_xor_b32_e32 v15, v1, v12
	s_delay_alu instid0(VALU_DEP_2) | instskip(NEXT) | instid1(VALU_DEP_1)
	v_xor_b32_e32 v14, v3, v12
	v_sub_nc_u64_e32 v[12:13], v[14:15], v[12:13]
.LBB79_1327:
	s_mov_b32 s17, 0
.LBB79_1328:
	s_delay_alu instid0(SALU_CYCLE_1)
	s_and_not1_b32 vcc_lo, exec_lo, s17
	s_cbranch_vccnz .LBB79_1330
; %bb.1329:
	global_load_u8 v1, v[10:11], off
	s_wait_loadcnt 0x0
	v_lshlrev_b32_e32 v3, 25, v1
	v_lshlrev_b16 v1, 8, v1
	s_delay_alu instid0(VALU_DEP_1) | instskip(SKIP_1) | instid1(VALU_DEP_2)
	v_and_or_b32 v7, 0x7f00, v1, 0.5
	v_bfe_i32 v1, v1, 0, 16
	v_add_f32_e32 v7, -0.5, v7
	v_lshrrev_b32_e32 v5, 4, v3
	v_cmp_gt_u32_e32 vcc_lo, 0x8000000, v3
	s_delay_alu instid0(VALU_DEP_2) | instskip(NEXT) | instid1(VALU_DEP_1)
	v_or_b32_e32 v5, 0x70000000, v5
	v_mul_f32_e32 v5, 0x7800000, v5
	s_delay_alu instid0(VALU_DEP_1) | instskip(NEXT) | instid1(VALU_DEP_1)
	v_cndmask_b32_e32 v3, v5, v7, vcc_lo
	v_and_or_b32 v1, 0x80000000, v1, v3
	s_delay_alu instid0(VALU_DEP_1) | instskip(NEXT) | instid1(VALU_DEP_1)
	v_trunc_f32_e32 v1, v1
	v_mul_f32_e64 v3, 0x2f800000, |v1|
	v_ashrrev_i32_e32 v12, 31, v1
	s_delay_alu instid0(VALU_DEP_2) | instskip(NEXT) | instid1(VALU_DEP_2)
	v_floor_f32_e32 v3, v3
	v_mov_b32_e32 v13, v12
	s_delay_alu instid0(VALU_DEP_2) | instskip(SKIP_1) | instid1(VALU_DEP_2)
	v_fma_f32 v5, 0xcf800000, v3, |v1|
	v_cvt_u32_f32_e32 v1, v3
	v_cvt_u32_f32_e32 v3, v5
	s_delay_alu instid0(VALU_DEP_2) | instskip(NEXT) | instid1(VALU_DEP_2)
	v_xor_b32_e32 v15, v1, v12
	v_xor_b32_e32 v14, v3, v12
	s_delay_alu instid0(VALU_DEP_1)
	v_sub_nc_u64_e32 v[12:13], v[14:15], v[12:13]
.LBB79_1330:
	s_mov_b32 s17, 0
	s_mov_b32 s20, -1
.LBB79_1331:
	s_and_not1_b32 vcc_lo, exec_lo, s17
	s_mov_b32 s18, 0
	s_cbranch_vccnz .LBB79_1342
; %bb.1332:
	s_cmp_gt_i32 s19, 14
	s_cbranch_scc0 .LBB79_1335
; %bb.1333:
	s_cmp_eq_u32 s19, 15
	s_cbranch_scc0 .LBB79_1338
; %bb.1334:
	global_load_u16 v1, v[10:11], off
	s_mov_b32 s0, 0
	s_mov_b32 s20, -1
	s_wait_loadcnt 0x0
	v_lshlrev_b32_e32 v1, 16, v1
	s_delay_alu instid0(VALU_DEP_1) | instskip(NEXT) | instid1(VALU_DEP_1)
	v_trunc_f32_e32 v1, v1
	v_mul_f32_e64 v3, 0x2f800000, |v1|
	v_ashrrev_i32_e32 v12, 31, v1
	s_delay_alu instid0(VALU_DEP_2) | instskip(NEXT) | instid1(VALU_DEP_2)
	v_floor_f32_e32 v3, v3
	v_mov_b32_e32 v13, v12
	s_delay_alu instid0(VALU_DEP_2) | instskip(SKIP_1) | instid1(VALU_DEP_2)
	v_fma_f32 v5, 0xcf800000, v3, |v1|
	v_cvt_u32_f32_e32 v1, v3
	v_cvt_u32_f32_e32 v3, v5
	s_delay_alu instid0(VALU_DEP_2) | instskip(NEXT) | instid1(VALU_DEP_2)
	v_xor_b32_e32 v15, v1, v12
	v_xor_b32_e32 v14, v3, v12
	s_delay_alu instid0(VALU_DEP_1)
	v_sub_nc_u64_e32 v[12:13], v[14:15], v[12:13]
	s_branch .LBB79_1339
.LBB79_1335:
	s_mov_b32 s17, -1
                                        ; implicit-def: $vgpr12_vgpr13
	s_branch .LBB79_1340
.LBB79_1336:
	s_and_not1_saveexec_b32 s17, s17
	s_cbranch_execz .LBB79_1317
.LBB79_1337:
	v_cmp_ne_u16_e32 vcc_lo, 0, v1
	s_and_not1_b32 s18, s18, exec_lo
	s_and_b32 s20, vcc_lo, exec_lo
	s_delay_alu instid0(SALU_CYCLE_1)
	s_or_b32 s18, s18, s20
	s_or_b32 exec_lo, exec_lo, s17
	v_mov_b64_e32 v[12:13], 0
	s_and_saveexec_b32 s17, s18
	s_cbranch_execnz .LBB79_1318
	s_branch .LBB79_1319
.LBB79_1338:
	s_mov_b32 s0, -1
                                        ; implicit-def: $vgpr12_vgpr13
.LBB79_1339:
	s_mov_b32 s17, 0
.LBB79_1340:
	s_delay_alu instid0(SALU_CYCLE_1)
	s_and_b32 vcc_lo, exec_lo, s17
	s_cbranch_vccz .LBB79_1342
; %bb.1341:
	s_cmp_lg_u32 s19, 11
	s_mov_b32 s18, -1
	s_cselect_b32 s0, -1, 0
.LBB79_1342:
	s_delay_alu instid0(SALU_CYCLE_1)
	s_and_b32 vcc_lo, exec_lo, s0
	s_mov_b32 s17, s15
	s_cbranch_vccnz .LBB79_1409
; %bb.1343:
	s_and_not1_b32 vcc_lo, exec_lo, s18
	s_cbranch_vccnz .LBB79_1345
.LBB79_1344:
	global_load_u8 v1, v[10:11], off
	s_mov_b32 s0, 0
	s_mov_b32 s20, -1
	s_wait_loadcnt 0x1
	v_mov_b32_e32 v13, s0
	s_wait_loadcnt 0x0
	v_cmp_ne_u16_e32 vcc_lo, 0, v1
	v_cndmask_b32_e64 v12, 0, 1, vcc_lo
.LBB79_1345:
	s_mov_b32 s0, 0
.LBB79_1346:
	s_delay_alu instid0(SALU_CYCLE_1)
	s_and_b32 vcc_lo, exec_lo, s0
	s_cbranch_vccz .LBB79_1395
; %bb.1347:
	s_cmp_lt_i32 s19, 5
	s_cbranch_scc1 .LBB79_1352
; %bb.1348:
	s_cmp_lt_i32 s19, 8
	s_cbranch_scc1 .LBB79_1353
	;; [unrolled: 3-line block ×3, first 2 shown]
; %bb.1350:
	s_cmp_gt_i32 s19, 9
	s_cbranch_scc0 .LBB79_1355
; %bb.1351:
	s_wait_loadcnt 0x0
	global_load_b64 v[12:13], v[10:11], off
	s_mov_b32 s0, 0
	s_wait_loadcnt 0x0
	v_trunc_f64_e32 v[12:13], v[12:13]
	s_delay_alu instid0(VALU_DEP_1) | instskip(NEXT) | instid1(VALU_DEP_1)
	v_ldexp_f64 v[14:15], v[12:13], 0xffffffe0
	v_floor_f64_e32 v[14:15], v[14:15]
	s_delay_alu instid0(VALU_DEP_1) | instskip(SKIP_1) | instid1(VALU_DEP_2)
	v_fmamk_f64 v[16:17], v[14:15], 0xc1f00000, v[12:13]
	v_cvt_i32_f64_e32 v13, v[14:15]
	v_cvt_u32_f64_e32 v12, v[16:17]
	s_branch .LBB79_1356
.LBB79_1352:
	s_mov_b32 s0, -1
                                        ; implicit-def: $vgpr12_vgpr13
	s_branch .LBB79_1374
.LBB79_1353:
	s_mov_b32 s0, -1
                                        ; implicit-def: $vgpr12_vgpr13
	s_branch .LBB79_1362
.LBB79_1354:
	s_mov_b32 s0, -1
                                        ; implicit-def: $vgpr12_vgpr13
	s_branch .LBB79_1359
.LBB79_1355:
	s_mov_b32 s0, -1
                                        ; implicit-def: $vgpr12_vgpr13
.LBB79_1356:
	s_delay_alu instid0(SALU_CYCLE_1)
	s_and_not1_b32 vcc_lo, exec_lo, s0
	s_cbranch_vccnz .LBB79_1358
; %bb.1357:
	global_load_b32 v1, v[10:11], off
	s_wait_loadcnt 0x0
	v_trunc_f32_e32 v1, v1
	s_delay_alu instid0(VALU_DEP_1) | instskip(SKIP_1) | instid1(VALU_DEP_2)
	v_mul_f32_e64 v3, 0x2f800000, |v1|
	v_ashrrev_i32_e32 v12, 31, v1
	v_floor_f32_e32 v3, v3
	s_delay_alu instid0(VALU_DEP_1) | instskip(SKIP_1) | instid1(VALU_DEP_4)
	v_fma_f32 v5, 0xcf800000, v3, |v1|
	v_cvt_u32_f32_e32 v1, v3
	v_mov_b32_e32 v13, v12
	s_delay_alu instid0(VALU_DEP_3) | instskip(NEXT) | instid1(VALU_DEP_3)
	v_cvt_u32_f32_e32 v3, v5
	v_xor_b32_e32 v15, v1, v12
	s_delay_alu instid0(VALU_DEP_2) | instskip(NEXT) | instid1(VALU_DEP_1)
	v_xor_b32_e32 v14, v3, v12
	v_sub_nc_u64_e32 v[12:13], v[14:15], v[12:13]
.LBB79_1358:
	s_mov_b32 s0, 0
.LBB79_1359:
	s_delay_alu instid0(SALU_CYCLE_1)
	s_and_not1_b32 vcc_lo, exec_lo, s0
	s_cbranch_vccnz .LBB79_1361
; %bb.1360:
	global_load_b32 v1, v[10:11], off
	s_wait_loadcnt 0x0
	v_cvt_f32_f16_e32 v1, v1
	s_delay_alu instid0(VALU_DEP_1) | instskip(NEXT) | instid1(VALU_DEP_1)
	v_cvt_i32_f32_e32 v12, v1
	v_ashrrev_i32_e32 v13, 31, v12
.LBB79_1361:
	s_mov_b32 s0, 0
.LBB79_1362:
	s_delay_alu instid0(SALU_CYCLE_1)
	s_and_not1_b32 vcc_lo, exec_lo, s0
	s_cbranch_vccnz .LBB79_1373
; %bb.1363:
	s_cmp_lt_i32 s19, 6
	s_cbranch_scc1 .LBB79_1366
; %bb.1364:
	s_cmp_gt_i32 s19, 6
	s_cbranch_scc0 .LBB79_1367
; %bb.1365:
	s_wait_loadcnt 0x0
	global_load_b64 v[12:13], v[10:11], off
	s_mov_b32 s0, 0
	s_wait_loadcnt 0x0
	v_trunc_f64_e32 v[12:13], v[12:13]
	s_delay_alu instid0(VALU_DEP_1) | instskip(NEXT) | instid1(VALU_DEP_1)
	v_ldexp_f64 v[14:15], v[12:13], 0xffffffe0
	v_floor_f64_e32 v[14:15], v[14:15]
	s_delay_alu instid0(VALU_DEP_1) | instskip(SKIP_1) | instid1(VALU_DEP_2)
	v_fmamk_f64 v[16:17], v[14:15], 0xc1f00000, v[12:13]
	v_cvt_i32_f64_e32 v13, v[14:15]
	v_cvt_u32_f64_e32 v12, v[16:17]
	s_branch .LBB79_1368
.LBB79_1366:
	s_mov_b32 s0, -1
                                        ; implicit-def: $vgpr12_vgpr13
	s_branch .LBB79_1371
.LBB79_1367:
	s_mov_b32 s0, -1
                                        ; implicit-def: $vgpr12_vgpr13
.LBB79_1368:
	s_delay_alu instid0(SALU_CYCLE_1)
	s_and_not1_b32 vcc_lo, exec_lo, s0
	s_cbranch_vccnz .LBB79_1370
; %bb.1369:
	global_load_b32 v1, v[10:11], off
	s_wait_loadcnt 0x0
	v_trunc_f32_e32 v1, v1
	s_delay_alu instid0(VALU_DEP_1) | instskip(SKIP_1) | instid1(VALU_DEP_2)
	v_mul_f32_e64 v3, 0x2f800000, |v1|
	v_ashrrev_i32_e32 v12, 31, v1
	v_floor_f32_e32 v3, v3
	s_delay_alu instid0(VALU_DEP_1) | instskip(SKIP_1) | instid1(VALU_DEP_4)
	v_fma_f32 v5, 0xcf800000, v3, |v1|
	v_cvt_u32_f32_e32 v1, v3
	v_mov_b32_e32 v13, v12
	s_delay_alu instid0(VALU_DEP_3) | instskip(NEXT) | instid1(VALU_DEP_3)
	v_cvt_u32_f32_e32 v3, v5
	v_xor_b32_e32 v15, v1, v12
	s_delay_alu instid0(VALU_DEP_2) | instskip(NEXT) | instid1(VALU_DEP_1)
	v_xor_b32_e32 v14, v3, v12
	v_sub_nc_u64_e32 v[12:13], v[14:15], v[12:13]
.LBB79_1370:
	s_mov_b32 s0, 0
.LBB79_1371:
	s_delay_alu instid0(SALU_CYCLE_1)
	s_and_not1_b32 vcc_lo, exec_lo, s0
	s_cbranch_vccnz .LBB79_1373
; %bb.1372:
	global_load_u16 v1, v[10:11], off
	s_wait_loadcnt 0x0
	v_cvt_f32_f16_e32 v1, v1
	s_delay_alu instid0(VALU_DEP_1) | instskip(NEXT) | instid1(VALU_DEP_1)
	v_cvt_i32_f32_e32 v12, v1
	v_ashrrev_i32_e32 v13, 31, v12
.LBB79_1373:
	s_mov_b32 s0, 0
.LBB79_1374:
	s_delay_alu instid0(SALU_CYCLE_1)
	s_and_not1_b32 vcc_lo, exec_lo, s0
	s_cbranch_vccnz .LBB79_1394
; %bb.1375:
	s_cmp_lt_i32 s19, 2
	s_cbranch_scc1 .LBB79_1379
; %bb.1376:
	s_cmp_lt_i32 s19, 3
	s_cbranch_scc1 .LBB79_1380
; %bb.1377:
	s_cmp_gt_i32 s19, 3
	s_cbranch_scc0 .LBB79_1381
; %bb.1378:
	s_wait_loadcnt 0x0
	global_load_b64 v[12:13], v[10:11], off
	s_mov_b32 s0, 0
	s_branch .LBB79_1382
.LBB79_1379:
	s_mov_b32 s0, -1
                                        ; implicit-def: $vgpr12_vgpr13
	s_branch .LBB79_1388
.LBB79_1380:
	s_mov_b32 s0, -1
                                        ; implicit-def: $vgpr12_vgpr13
	s_branch .LBB79_1385
.LBB79_1381:
	s_mov_b32 s0, -1
                                        ; implicit-def: $vgpr12_vgpr13
.LBB79_1382:
	s_delay_alu instid0(SALU_CYCLE_1)
	s_and_not1_b32 vcc_lo, exec_lo, s0
	s_cbranch_vccnz .LBB79_1384
; %bb.1383:
	s_wait_loadcnt 0x0
	global_load_b32 v12, v[10:11], off
	s_wait_loadcnt 0x0
	v_ashrrev_i32_e32 v13, 31, v12
.LBB79_1384:
	s_mov_b32 s0, 0
.LBB79_1385:
	s_delay_alu instid0(SALU_CYCLE_1)
	s_and_not1_b32 vcc_lo, exec_lo, s0
	s_cbranch_vccnz .LBB79_1387
; %bb.1386:
	global_load_u16 v1, v[10:11], off
	s_wait_loadcnt 0x0
	v_bfe_i32 v12, v1, 0, 16
	s_delay_alu instid0(VALU_DEP_1)
	v_ashrrev_i32_e32 v13, 31, v12
.LBB79_1387:
	s_mov_b32 s0, 0
.LBB79_1388:
	s_delay_alu instid0(SALU_CYCLE_1)
	s_and_not1_b32 vcc_lo, exec_lo, s0
	s_cbranch_vccnz .LBB79_1394
; %bb.1389:
	s_cmp_gt_i32 s19, 0
	s_mov_b32 s0, 0
	s_cbranch_scc0 .LBB79_1391
; %bb.1390:
	global_load_i8 v1, v[10:11], off
	s_wait_loadcnt 0x0
	v_bfe_i32 v12, v1, 0, 16
	s_delay_alu instid0(VALU_DEP_1)
	v_ashrrev_i32_e32 v13, 31, v12
	s_branch .LBB79_1392
.LBB79_1391:
	s_mov_b32 s0, -1
                                        ; implicit-def: $vgpr12_vgpr13
.LBB79_1392:
	s_delay_alu instid0(SALU_CYCLE_1)
	s_and_not1_b32 vcc_lo, exec_lo, s0
	s_cbranch_vccnz .LBB79_1394
; %bb.1393:
	global_load_u8 v1, v[10:11], off
	s_mov_b32 s0, 0
	s_wait_loadcnt 0x1
	v_mov_b32_e32 v13, s0
	s_wait_loadcnt 0x0
	v_and_b32_e32 v12, 0xffff, v1
.LBB79_1394:
	s_mov_b32 s20, -1
.LBB79_1395:
	s_delay_alu instid0(SALU_CYCLE_1)
	s_and_not1_b32 vcc_lo, exec_lo, s20
	s_cbranch_vccnz .LBB79_1405
; %bb.1396:
	s_wait_loadcnt 0x0
	s_delay_alu instid0(VALU_DEP_1) | instskip(SKIP_4) | instid1(SALU_CYCLE_1)
	v_cmp_gt_i64_e32 vcc_lo, s[8:9], v[12:13]
	v_cmp_le_i64_e64 s0, s[10:11], v[12:13]
	s_or_b32 s0, vcc_lo, s0
	s_wait_xcnt 0x0
	s_and_saveexec_b32 s18, s0
	s_xor_b32 s0, exec_lo, s18
	s_cbranch_execnz .LBB79_1902
.LBB79_1397:
	s_or_saveexec_b32 s18, s0
	s_mov_b32 s20, 0
	s_mov_b32 s21, 0
                                        ; implicit-def: $vgpr14_vgpr15
                                        ; implicit-def: $sgpr0
	s_xor_b32 exec_lo, exec_lo, s18
	s_cbranch_execz .LBB79_1847
; %bb.1398:
	v_mov_b32_e32 v9, 0
	s_cmp_lt_i32 s19, 11
	s_delay_alu instid0(VALU_DEP_1)
	v_add_nc_u64_e32 v[8:9], s[6:7], v[8:9]
	s_cbranch_scc1 .LBB79_1406
; %bb.1399:
	s_cmp_gt_i32 s19, 25
	s_mov_b32 s7, 0
	s_cbranch_scc0 .LBB79_1407
; %bb.1400:
	s_cmp_gt_i32 s19, 28
	s_cbranch_scc0 .LBB79_1408
; %bb.1401:
	s_cmp_gt_i32 s19, 43
	;; [unrolled: 3-line block ×3, first 2 shown]
	s_cbranch_scc0 .LBB79_1411
; %bb.1403:
	s_cmp_eq_u32 s19, 46
	s_mov_b32 s6, 0
	s_cbranch_scc0 .LBB79_1413
; %bb.1404:
	global_load_b32 v1, v[8:9], off
	s_mov_b32 s0, 0
	s_mov_b32 s20, -1
	s_wait_loadcnt 0x0
	v_lshlrev_b32_e32 v1, 16, v1
	s_delay_alu instid0(VALU_DEP_1) | instskip(NEXT) | instid1(VALU_DEP_1)
	v_trunc_f32_e32 v1, v1
	v_mul_f32_e64 v3, 0x2f800000, |v1|
	v_ashrrev_i32_e32 v10, 31, v1
	s_delay_alu instid0(VALU_DEP_2) | instskip(NEXT) | instid1(VALU_DEP_2)
	v_floor_f32_e32 v3, v3
	v_mov_b32_e32 v11, v10
	s_delay_alu instid0(VALU_DEP_2) | instskip(SKIP_1) | instid1(VALU_DEP_2)
	v_fma_f32 v5, 0xcf800000, v3, |v1|
	v_cvt_u32_f32_e32 v1, v3
	v_cvt_u32_f32_e32 v3, v5
	s_delay_alu instid0(VALU_DEP_2) | instskip(NEXT) | instid1(VALU_DEP_2)
	v_xor_b32_e32 v13, v1, v10
	v_xor_b32_e32 v12, v3, v10
	s_delay_alu instid0(VALU_DEP_1)
	v_sub_nc_u64_e32 v[10:11], v[12:13], v[10:11]
	s_branch .LBB79_1415
.LBB79_1405:
	s_mov_b32 s20, 0
	s_mov_b32 s21, 0
                                        ; implicit-def: $vgpr14_vgpr15
                                        ; implicit-def: $sgpr0
	s_branch .LBB79_1848
.LBB79_1406:
	s_mov_b32 s0, -1
	s_mov_b32 s6, s17
                                        ; implicit-def: $vgpr10_vgpr11
	s_branch .LBB79_1477
.LBB79_1407:
	s_mov_b32 s6, -1
	s_mov_b32 s0, 0
                                        ; implicit-def: $vgpr10_vgpr11
	s_branch .LBB79_1442
.LBB79_1408:
	s_mov_b32 s6, -1
	s_mov_b32 s0, 0
                                        ; implicit-def: $vgpr10_vgpr11
	s_branch .LBB79_1425
.LBB79_1409:
	s_or_b32 s17, s15, exec_lo
	s_trap 2
	s_cbranch_execz .LBB79_1344
	s_branch .LBB79_1345
.LBB79_1410:
	s_mov_b32 s6, -1
	s_mov_b32 s0, 0
                                        ; implicit-def: $vgpr10_vgpr11
	s_branch .LBB79_1420
.LBB79_1411:
	s_mov_b32 s6, -1
	s_mov_b32 s0, 0
	s_branch .LBB79_1414
.LBB79_1412:
	s_or_b32 s1, s1, exec_lo
	s_trap 2
                                        ; implicit-def: $vgpr12
                                        ; implicit-def: $vgpr10
                                        ; implicit-def: $vgpr8
                                        ; implicit-def: $vgpr0
                                        ; implicit-def: $vgpr6
                                        ; implicit-def: $vgpr4
                                        ; implicit-def: $vgpr2
	s_branch .LBB79_1029
.LBB79_1413:
	s_mov_b32 s0, -1
.LBB79_1414:
                                        ; implicit-def: $vgpr10_vgpr11
.LBB79_1415:
	s_and_b32 vcc_lo, exec_lo, s6
	s_cbranch_vccz .LBB79_1419
; %bb.1416:
	s_cmp_eq_u32 s19, 44
	s_cbranch_scc0 .LBB79_1418
; %bb.1417:
	global_load_u8 v1, v[8:9], off
	s_mov_b32 s0, 0
	s_mov_b32 s20, -1
	s_wait_loadcnt 0x0
	v_lshlrev_b32_e32 v3, 23, v1
	v_cmp_ne_u32_e32 vcc_lo, 0, v1
	s_delay_alu instid0(VALU_DEP_2) | instskip(NEXT) | instid1(VALU_DEP_1)
	v_trunc_f32_e32 v3, v3
	v_mul_f32_e64 v5, 0x2f800000, |v3|
	v_ashrrev_i32_e32 v10, 31, v3
	s_delay_alu instid0(VALU_DEP_2) | instskip(NEXT) | instid1(VALU_DEP_2)
	v_floor_f32_e32 v5, v5
	v_mov_b32_e32 v11, v10
	s_delay_alu instid0(VALU_DEP_2) | instskip(SKIP_1) | instid1(VALU_DEP_2)
	v_fma_f32 v7, 0xcf800000, v5, |v3|
	v_cvt_u32_f32_e32 v3, v5
	v_cvt_u32_f32_e32 v5, v7
	s_delay_alu instid0(VALU_DEP_2) | instskip(NEXT) | instid1(VALU_DEP_2)
	v_xor_b32_e32 v13, v3, v10
	v_xor_b32_e32 v12, v5, v10
	s_delay_alu instid0(VALU_DEP_1) | instskip(NEXT) | instid1(VALU_DEP_1)
	v_sub_nc_u64_e32 v[10:11], v[12:13], v[10:11]
	v_dual_cndmask_b32 v11, 0, v11 :: v_dual_cndmask_b32 v10, 0, v10
	s_branch .LBB79_1419
.LBB79_1418:
	s_mov_b32 s0, -1
                                        ; implicit-def: $vgpr10_vgpr11
.LBB79_1419:
	s_mov_b32 s6, 0
.LBB79_1420:
	s_delay_alu instid0(SALU_CYCLE_1)
	s_and_b32 vcc_lo, exec_lo, s6
	s_cbranch_vccz .LBB79_1424
; %bb.1421:
	s_cmp_eq_u32 s19, 29
	s_cbranch_scc0 .LBB79_1423
; %bb.1422:
	global_load_b64 v[10:11], v[8:9], off
	s_mov_b32 s0, 0
	s_mov_b32 s20, -1
	s_branch .LBB79_1424
.LBB79_1423:
	s_mov_b32 s0, -1
                                        ; implicit-def: $vgpr10_vgpr11
.LBB79_1424:
	s_mov_b32 s6, 0
.LBB79_1425:
	s_delay_alu instid0(SALU_CYCLE_1)
	s_and_b32 vcc_lo, exec_lo, s6
	s_cbranch_vccz .LBB79_1441
; %bb.1426:
	s_cmp_lt_i32 s19, 27
	s_cbranch_scc1 .LBB79_1429
; %bb.1427:
	s_cmp_gt_i32 s19, 27
	s_cbranch_scc0 .LBB79_1430
; %bb.1428:
	s_wait_loadcnt 0x0
	global_load_b32 v10, v[8:9], off
	v_mov_b32_e32 v11, 0
	s_mov_b32 s6, 0
	s_branch .LBB79_1431
.LBB79_1429:
	s_mov_b32 s6, -1
                                        ; implicit-def: $vgpr10_vgpr11
	s_branch .LBB79_1434
.LBB79_1430:
	s_mov_b32 s6, -1
                                        ; implicit-def: $vgpr10_vgpr11
.LBB79_1431:
	s_delay_alu instid0(SALU_CYCLE_1)
	s_and_not1_b32 vcc_lo, exec_lo, s6
	s_cbranch_vccnz .LBB79_1433
; %bb.1432:
	global_load_u16 v1, v[8:9], off
	s_mov_b32 s6, 0
	s_wait_loadcnt 0x1
	v_mov_b32_e32 v11, s6
	s_wait_loadcnt 0x0
	v_and_b32_e32 v10, 0xffff, v1
.LBB79_1433:
	s_mov_b32 s6, 0
.LBB79_1434:
	s_delay_alu instid0(SALU_CYCLE_1)
	s_and_not1_b32 vcc_lo, exec_lo, s6
	s_cbranch_vccnz .LBB79_1440
; %bb.1435:
	global_load_u8 v1, v[8:9], off
	s_mov_b32 s20, 0
	s_mov_b32 s6, exec_lo
	s_wait_loadcnt 0x0
	v_cmpx_lt_i16_e32 0x7f, v1
	s_xor_b32 s6, exec_lo, s6
	s_cbranch_execz .LBB79_1452
; %bb.1436:
	v_cmp_ne_u16_e32 vcc_lo, 0x80, v1
	s_and_b32 s20, vcc_lo, exec_lo
	s_and_not1_saveexec_b32 s6, s6
	s_cbranch_execnz .LBB79_1453
.LBB79_1437:
	s_or_b32 exec_lo, exec_lo, s6
	v_mov_b64_e32 v[10:11], 0
	s_and_saveexec_b32 s6, s20
	s_cbranch_execz .LBB79_1439
.LBB79_1438:
	v_and_b32_e32 v3, 0xffff, v1
	s_delay_alu instid0(VALU_DEP_1) | instskip(SKIP_1) | instid1(VALU_DEP_2)
	v_dual_lshlrev_b32 v1, 24, v1 :: v_dual_bitop2_b32 v5, 7, v3 bitop3:0x40
	v_bfe_u32 v11, v3, 3, 4
	v_and_b32_e32 v1, 0x80000000, v1
	s_delay_alu instid0(VALU_DEP_3) | instskip(NEXT) | instid1(VALU_DEP_3)
	v_clz_i32_u32_e32 v7, v5
	v_cmp_eq_u32_e32 vcc_lo, 0, v11
	s_delay_alu instid0(VALU_DEP_2) | instskip(NEXT) | instid1(VALU_DEP_1)
	v_min_u32_e32 v7, 32, v7
	v_subrev_nc_u32_e32 v10, 28, v7
	v_sub_nc_u32_e32 v7, 29, v7
	s_delay_alu instid0(VALU_DEP_2) | instskip(NEXT) | instid1(VALU_DEP_2)
	v_lshlrev_b32_e32 v3, v10, v3
	v_cndmask_b32_e32 v7, v11, v7, vcc_lo
	s_delay_alu instid0(VALU_DEP_2) | instskip(NEXT) | instid1(VALU_DEP_1)
	v_and_b32_e32 v3, 7, v3
	v_cndmask_b32_e32 v3, v5, v3, vcc_lo
	s_delay_alu instid0(VALU_DEP_3) | instskip(NEXT) | instid1(VALU_DEP_2)
	v_lshl_add_u32 v5, v7, 23, 0x3b800000
	v_lshlrev_b32_e32 v3, 20, v3
	s_delay_alu instid0(VALU_DEP_1) | instskip(NEXT) | instid1(VALU_DEP_1)
	v_or3_b32 v1, v1, v5, v3
	v_trunc_f32_e32 v1, v1
	s_delay_alu instid0(VALU_DEP_1) | instskip(SKIP_1) | instid1(VALU_DEP_2)
	v_mul_f32_e64 v3, 0x2f800000, |v1|
	v_ashrrev_i32_e32 v10, 31, v1
	v_floor_f32_e32 v3, v3
	s_delay_alu instid0(VALU_DEP_2) | instskip(NEXT) | instid1(VALU_DEP_2)
	v_mov_b32_e32 v11, v10
	v_fma_f32 v5, 0xcf800000, v3, |v1|
	v_cvt_u32_f32_e32 v1, v3
	s_delay_alu instid0(VALU_DEP_2) | instskip(NEXT) | instid1(VALU_DEP_2)
	v_cvt_u32_f32_e32 v3, v5
	v_xor_b32_e32 v13, v1, v10
	s_delay_alu instid0(VALU_DEP_2) | instskip(NEXT) | instid1(VALU_DEP_1)
	v_xor_b32_e32 v12, v3, v10
	v_sub_nc_u64_e32 v[10:11], v[12:13], v[10:11]
.LBB79_1439:
	s_or_b32 exec_lo, exec_lo, s6
.LBB79_1440:
	s_mov_b32 s20, -1
.LBB79_1441:
	s_mov_b32 s6, 0
.LBB79_1442:
	s_delay_alu instid0(SALU_CYCLE_1)
	s_and_b32 vcc_lo, exec_lo, s6
	s_cbranch_vccz .LBB79_1473
; %bb.1443:
	s_cmp_gt_i32 s19, 22
	s_cbranch_scc0 .LBB79_1451
; %bb.1444:
	s_cmp_lt_i32 s19, 24
	s_cbranch_scc1 .LBB79_1454
; %bb.1445:
	s_cmp_gt_i32 s19, 24
	s_cbranch_scc0 .LBB79_1455
; %bb.1446:
	global_load_u8 v1, v[8:9], off
	s_mov_b32 s6, exec_lo
	s_wait_loadcnt 0x0
	v_cmpx_lt_i16_e32 0x7f, v1
	s_xor_b32 s6, exec_lo, s6
	s_cbranch_execz .LBB79_1467
; %bb.1447:
	v_cmp_ne_u16_e32 vcc_lo, 0x80, v1
	s_and_b32 s7, vcc_lo, exec_lo
	s_and_not1_saveexec_b32 s6, s6
	s_cbranch_execnz .LBB79_1468
.LBB79_1448:
	s_or_b32 exec_lo, exec_lo, s6
	v_mov_b64_e32 v[10:11], 0
	s_and_saveexec_b32 s6, s7
	s_cbranch_execz .LBB79_1450
.LBB79_1449:
	v_and_b32_e32 v3, 0xffff, v1
	s_delay_alu instid0(VALU_DEP_1) | instskip(SKIP_1) | instid1(VALU_DEP_2)
	v_dual_lshlrev_b32 v1, 24, v1 :: v_dual_bitop2_b32 v5, 3, v3 bitop3:0x40
	v_bfe_u32 v11, v3, 2, 5
	v_and_b32_e32 v1, 0x80000000, v1
	s_delay_alu instid0(VALU_DEP_3) | instskip(NEXT) | instid1(VALU_DEP_3)
	v_clz_i32_u32_e32 v7, v5
	v_cmp_eq_u32_e32 vcc_lo, 0, v11
	s_delay_alu instid0(VALU_DEP_2) | instskip(NEXT) | instid1(VALU_DEP_1)
	v_min_u32_e32 v7, 32, v7
	v_subrev_nc_u32_e32 v10, 29, v7
	v_sub_nc_u32_e32 v7, 30, v7
	s_delay_alu instid0(VALU_DEP_2) | instskip(NEXT) | instid1(VALU_DEP_2)
	v_lshlrev_b32_e32 v3, v10, v3
	v_cndmask_b32_e32 v7, v11, v7, vcc_lo
	s_delay_alu instid0(VALU_DEP_2) | instskip(NEXT) | instid1(VALU_DEP_1)
	v_and_b32_e32 v3, 3, v3
	v_cndmask_b32_e32 v3, v5, v3, vcc_lo
	s_delay_alu instid0(VALU_DEP_3) | instskip(NEXT) | instid1(VALU_DEP_2)
	v_lshl_add_u32 v5, v7, 23, 0x37800000
	v_lshlrev_b32_e32 v3, 21, v3
	s_delay_alu instid0(VALU_DEP_1) | instskip(NEXT) | instid1(VALU_DEP_1)
	v_or3_b32 v1, v1, v5, v3
	v_trunc_f32_e32 v1, v1
	s_delay_alu instid0(VALU_DEP_1) | instskip(SKIP_1) | instid1(VALU_DEP_2)
	v_mul_f32_e64 v3, 0x2f800000, |v1|
	v_ashrrev_i32_e32 v10, 31, v1
	v_floor_f32_e32 v3, v3
	s_delay_alu instid0(VALU_DEP_2) | instskip(NEXT) | instid1(VALU_DEP_2)
	v_mov_b32_e32 v11, v10
	v_fma_f32 v5, 0xcf800000, v3, |v1|
	v_cvt_u32_f32_e32 v1, v3
	s_delay_alu instid0(VALU_DEP_2) | instskip(NEXT) | instid1(VALU_DEP_2)
	v_cvt_u32_f32_e32 v3, v5
	v_xor_b32_e32 v13, v1, v10
	s_delay_alu instid0(VALU_DEP_2) | instskip(NEXT) | instid1(VALU_DEP_1)
	v_xor_b32_e32 v12, v3, v10
	v_sub_nc_u64_e32 v[10:11], v[12:13], v[10:11]
.LBB79_1450:
	s_or_b32 exec_lo, exec_lo, s6
	s_mov_b32 s6, 0
	s_branch .LBB79_1456
.LBB79_1451:
	s_mov_b32 s6, -1
                                        ; implicit-def: $vgpr10_vgpr11
	s_branch .LBB79_1462
.LBB79_1452:
	s_and_not1_saveexec_b32 s6, s6
	s_cbranch_execz .LBB79_1437
.LBB79_1453:
	v_cmp_ne_u16_e32 vcc_lo, 0, v1
	s_and_not1_b32 s20, s20, exec_lo
	s_and_b32 s21, vcc_lo, exec_lo
	s_delay_alu instid0(SALU_CYCLE_1)
	s_or_b32 s20, s20, s21
	s_or_b32 exec_lo, exec_lo, s6
	v_mov_b64_e32 v[10:11], 0
	s_and_saveexec_b32 s6, s20
	s_cbranch_execnz .LBB79_1438
	s_branch .LBB79_1439
.LBB79_1454:
	s_mov_b32 s6, -1
                                        ; implicit-def: $vgpr10_vgpr11
	s_branch .LBB79_1459
.LBB79_1455:
	s_mov_b32 s6, -1
                                        ; implicit-def: $vgpr10_vgpr11
.LBB79_1456:
	s_delay_alu instid0(SALU_CYCLE_1)
	s_and_b32 vcc_lo, exec_lo, s6
	s_cbranch_vccz .LBB79_1458
; %bb.1457:
	global_load_u8 v1, v[8:9], off
	s_wait_loadcnt 0x0
	v_lshlrev_b32_e32 v1, 24, v1
	s_delay_alu instid0(VALU_DEP_1) | instskip(NEXT) | instid1(VALU_DEP_1)
	v_and_b32_e32 v3, 0x7f000000, v1
	v_clz_i32_u32_e32 v5, v3
	v_cmp_ne_u32_e32 vcc_lo, 0, v3
	v_add_nc_u32_e32 v10, 0x1000000, v3
	s_delay_alu instid0(VALU_DEP_3) | instskip(NEXT) | instid1(VALU_DEP_1)
	v_min_u32_e32 v5, 32, v5
	v_sub_nc_u32_e64 v5, v5, 4 clamp
	s_delay_alu instid0(VALU_DEP_1) | instskip(NEXT) | instid1(VALU_DEP_1)
	v_dual_lshlrev_b32 v7, v5, v3 :: v_dual_lshlrev_b32 v5, 23, v5
	v_lshrrev_b32_e32 v7, 4, v7
	s_delay_alu instid0(VALU_DEP_1) | instskip(NEXT) | instid1(VALU_DEP_1)
	v_dual_sub_nc_u32 v5, v7, v5 :: v_dual_ashrrev_i32 v7, 8, v10
	v_add_nc_u32_e32 v5, 0x3c000000, v5
	s_delay_alu instid0(VALU_DEP_1) | instskip(NEXT) | instid1(VALU_DEP_1)
	v_and_or_b32 v5, 0x7f800000, v7, v5
	v_cndmask_b32_e32 v3, 0, v5, vcc_lo
	s_delay_alu instid0(VALU_DEP_1) | instskip(NEXT) | instid1(VALU_DEP_1)
	v_and_or_b32 v1, 0x80000000, v1, v3
	v_trunc_f32_e32 v1, v1
	s_delay_alu instid0(VALU_DEP_1) | instskip(SKIP_1) | instid1(VALU_DEP_2)
	v_mul_f32_e64 v3, 0x2f800000, |v1|
	v_ashrrev_i32_e32 v10, 31, v1
	v_floor_f32_e32 v3, v3
	s_delay_alu instid0(VALU_DEP_1) | instskip(SKIP_1) | instid1(VALU_DEP_4)
	v_fma_f32 v5, 0xcf800000, v3, |v1|
	v_cvt_u32_f32_e32 v1, v3
	v_mov_b32_e32 v11, v10
	s_delay_alu instid0(VALU_DEP_3) | instskip(NEXT) | instid1(VALU_DEP_3)
	v_cvt_u32_f32_e32 v3, v5
	v_xor_b32_e32 v13, v1, v10
	s_delay_alu instid0(VALU_DEP_2) | instskip(NEXT) | instid1(VALU_DEP_1)
	v_xor_b32_e32 v12, v3, v10
	v_sub_nc_u64_e32 v[10:11], v[12:13], v[10:11]
.LBB79_1458:
	s_mov_b32 s6, 0
.LBB79_1459:
	s_delay_alu instid0(SALU_CYCLE_1)
	s_and_not1_b32 vcc_lo, exec_lo, s6
	s_cbranch_vccnz .LBB79_1461
; %bb.1460:
	global_load_u8 v1, v[8:9], off
	s_wait_loadcnt 0x0
	v_lshlrev_b32_e32 v3, 25, v1
	v_lshlrev_b16 v1, 8, v1
	s_delay_alu instid0(VALU_DEP_1) | instskip(SKIP_1) | instid1(VALU_DEP_2)
	v_and_or_b32 v7, 0x7f00, v1, 0.5
	v_bfe_i32 v1, v1, 0, 16
	v_add_f32_e32 v7, -0.5, v7
	v_lshrrev_b32_e32 v5, 4, v3
	v_cmp_gt_u32_e32 vcc_lo, 0x8000000, v3
	s_delay_alu instid0(VALU_DEP_2) | instskip(NEXT) | instid1(VALU_DEP_1)
	v_or_b32_e32 v5, 0x70000000, v5
	v_mul_f32_e32 v5, 0x7800000, v5
	s_delay_alu instid0(VALU_DEP_1) | instskip(NEXT) | instid1(VALU_DEP_1)
	v_cndmask_b32_e32 v3, v5, v7, vcc_lo
	v_and_or_b32 v1, 0x80000000, v1, v3
	s_delay_alu instid0(VALU_DEP_1) | instskip(NEXT) | instid1(VALU_DEP_1)
	v_trunc_f32_e32 v1, v1
	v_mul_f32_e64 v3, 0x2f800000, |v1|
	v_ashrrev_i32_e32 v10, 31, v1
	s_delay_alu instid0(VALU_DEP_2) | instskip(NEXT) | instid1(VALU_DEP_2)
	v_floor_f32_e32 v3, v3
	v_mov_b32_e32 v11, v10
	s_delay_alu instid0(VALU_DEP_2) | instskip(SKIP_1) | instid1(VALU_DEP_2)
	v_fma_f32 v5, 0xcf800000, v3, |v1|
	v_cvt_u32_f32_e32 v1, v3
	v_cvt_u32_f32_e32 v3, v5
	s_delay_alu instid0(VALU_DEP_2) | instskip(NEXT) | instid1(VALU_DEP_2)
	v_xor_b32_e32 v13, v1, v10
	v_xor_b32_e32 v12, v3, v10
	s_delay_alu instid0(VALU_DEP_1)
	v_sub_nc_u64_e32 v[10:11], v[12:13], v[10:11]
.LBB79_1461:
	s_mov_b32 s6, 0
	s_mov_b32 s20, -1
.LBB79_1462:
	s_and_not1_b32 vcc_lo, exec_lo, s6
	s_mov_b32 s7, 0
	s_cbranch_vccnz .LBB79_1473
; %bb.1463:
	s_cmp_gt_i32 s19, 14
	s_cbranch_scc0 .LBB79_1466
; %bb.1464:
	s_cmp_eq_u32 s19, 15
	s_cbranch_scc0 .LBB79_1469
; %bb.1465:
	global_load_u16 v1, v[8:9], off
	s_mov_b32 s0, 0
	s_mov_b32 s20, -1
	s_wait_loadcnt 0x0
	v_lshlrev_b32_e32 v1, 16, v1
	s_delay_alu instid0(VALU_DEP_1) | instskip(NEXT) | instid1(VALU_DEP_1)
	v_trunc_f32_e32 v1, v1
	v_mul_f32_e64 v3, 0x2f800000, |v1|
	v_ashrrev_i32_e32 v10, 31, v1
	s_delay_alu instid0(VALU_DEP_2) | instskip(NEXT) | instid1(VALU_DEP_2)
	v_floor_f32_e32 v3, v3
	v_mov_b32_e32 v11, v10
	s_delay_alu instid0(VALU_DEP_2) | instskip(SKIP_1) | instid1(VALU_DEP_2)
	v_fma_f32 v5, 0xcf800000, v3, |v1|
	v_cvt_u32_f32_e32 v1, v3
	v_cvt_u32_f32_e32 v3, v5
	s_delay_alu instid0(VALU_DEP_2) | instskip(NEXT) | instid1(VALU_DEP_2)
	v_xor_b32_e32 v13, v1, v10
	v_xor_b32_e32 v12, v3, v10
	s_delay_alu instid0(VALU_DEP_1)
	v_sub_nc_u64_e32 v[10:11], v[12:13], v[10:11]
	s_branch .LBB79_1470
.LBB79_1466:
	s_mov_b32 s6, -1
                                        ; implicit-def: $vgpr10_vgpr11
	s_branch .LBB79_1471
.LBB79_1467:
	s_and_not1_saveexec_b32 s6, s6
	s_cbranch_execz .LBB79_1448
.LBB79_1468:
	v_cmp_ne_u16_e32 vcc_lo, 0, v1
	s_and_not1_b32 s7, s7, exec_lo
	s_and_b32 s20, vcc_lo, exec_lo
	s_delay_alu instid0(SALU_CYCLE_1)
	s_or_b32 s7, s7, s20
	s_or_b32 exec_lo, exec_lo, s6
	v_mov_b64_e32 v[10:11], 0
	s_and_saveexec_b32 s6, s7
	s_cbranch_execnz .LBB79_1449
	s_branch .LBB79_1450
.LBB79_1469:
	s_mov_b32 s0, -1
                                        ; implicit-def: $vgpr10_vgpr11
.LBB79_1470:
	s_mov_b32 s6, 0
.LBB79_1471:
	s_delay_alu instid0(SALU_CYCLE_1)
	s_and_b32 vcc_lo, exec_lo, s6
	s_cbranch_vccz .LBB79_1473
; %bb.1472:
	s_cmp_lg_u32 s19, 11
	s_mov_b32 s7, -1
	s_cselect_b32 s0, -1, 0
.LBB79_1473:
	s_delay_alu instid0(SALU_CYCLE_1)
	s_and_b32 vcc_lo, exec_lo, s0
	s_mov_b32 s6, s17
	s_cbranch_vccnz .LBB79_1896
; %bb.1474:
	s_and_not1_b32 vcc_lo, exec_lo, s7
	s_cbranch_vccnz .LBB79_1476
.LBB79_1475:
	global_load_u8 v1, v[8:9], off
	s_mov_b32 s0, 0
	s_mov_b32 s20, -1
	s_wait_loadcnt 0x1
	v_mov_b32_e32 v11, s0
	s_wait_loadcnt 0x0
	v_cmp_ne_u16_e32 vcc_lo, 0, v1
	v_cndmask_b32_e64 v10, 0, 1, vcc_lo
.LBB79_1476:
	s_mov_b32 s0, 0
.LBB79_1477:
	s_delay_alu instid0(SALU_CYCLE_1)
	s_and_b32 vcc_lo, exec_lo, s0
	s_cbranch_vccz .LBB79_1526
; %bb.1478:
	s_cmp_lt_i32 s19, 5
	s_cbranch_scc1 .LBB79_1483
; %bb.1479:
	s_cmp_lt_i32 s19, 8
	s_cbranch_scc1 .LBB79_1484
	;; [unrolled: 3-line block ×3, first 2 shown]
; %bb.1481:
	s_cmp_gt_i32 s19, 9
	s_cbranch_scc0 .LBB79_1486
; %bb.1482:
	s_wait_loadcnt 0x0
	global_load_b64 v[10:11], v[8:9], off
	s_mov_b32 s0, 0
	s_wait_loadcnt 0x0
	v_trunc_f64_e32 v[10:11], v[10:11]
	s_delay_alu instid0(VALU_DEP_1) | instskip(NEXT) | instid1(VALU_DEP_1)
	v_ldexp_f64 v[12:13], v[10:11], 0xffffffe0
	v_floor_f64_e32 v[12:13], v[12:13]
	s_delay_alu instid0(VALU_DEP_1) | instskip(SKIP_1) | instid1(VALU_DEP_2)
	v_fmamk_f64 v[14:15], v[12:13], 0xc1f00000, v[10:11]
	v_cvt_i32_f64_e32 v11, v[12:13]
	v_cvt_u32_f64_e32 v10, v[14:15]
	s_branch .LBB79_1487
.LBB79_1483:
	s_mov_b32 s0, -1
                                        ; implicit-def: $vgpr10_vgpr11
	s_branch .LBB79_1505
.LBB79_1484:
	s_mov_b32 s0, -1
                                        ; implicit-def: $vgpr10_vgpr11
	s_branch .LBB79_1493
.LBB79_1485:
	s_mov_b32 s0, -1
                                        ; implicit-def: $vgpr10_vgpr11
	s_branch .LBB79_1490
.LBB79_1486:
	s_mov_b32 s0, -1
                                        ; implicit-def: $vgpr10_vgpr11
.LBB79_1487:
	s_delay_alu instid0(SALU_CYCLE_1)
	s_and_not1_b32 vcc_lo, exec_lo, s0
	s_cbranch_vccnz .LBB79_1489
; %bb.1488:
	global_load_b32 v1, v[8:9], off
	s_wait_loadcnt 0x0
	v_trunc_f32_e32 v1, v1
	s_delay_alu instid0(VALU_DEP_1) | instskip(SKIP_1) | instid1(VALU_DEP_2)
	v_mul_f32_e64 v3, 0x2f800000, |v1|
	v_ashrrev_i32_e32 v10, 31, v1
	v_floor_f32_e32 v3, v3
	s_delay_alu instid0(VALU_DEP_1) | instskip(SKIP_1) | instid1(VALU_DEP_4)
	v_fma_f32 v5, 0xcf800000, v3, |v1|
	v_cvt_u32_f32_e32 v1, v3
	v_mov_b32_e32 v11, v10
	s_delay_alu instid0(VALU_DEP_3) | instskip(NEXT) | instid1(VALU_DEP_3)
	v_cvt_u32_f32_e32 v3, v5
	v_xor_b32_e32 v13, v1, v10
	s_delay_alu instid0(VALU_DEP_2) | instskip(NEXT) | instid1(VALU_DEP_1)
	v_xor_b32_e32 v12, v3, v10
	v_sub_nc_u64_e32 v[10:11], v[12:13], v[10:11]
.LBB79_1489:
	s_mov_b32 s0, 0
.LBB79_1490:
	s_delay_alu instid0(SALU_CYCLE_1)
	s_and_not1_b32 vcc_lo, exec_lo, s0
	s_cbranch_vccnz .LBB79_1492
; %bb.1491:
	global_load_b32 v1, v[8:9], off
	s_wait_loadcnt 0x0
	v_cvt_f32_f16_e32 v1, v1
	s_delay_alu instid0(VALU_DEP_1) | instskip(NEXT) | instid1(VALU_DEP_1)
	v_cvt_i32_f32_e32 v10, v1
	v_ashrrev_i32_e32 v11, 31, v10
.LBB79_1492:
	s_mov_b32 s0, 0
.LBB79_1493:
	s_delay_alu instid0(SALU_CYCLE_1)
	s_and_not1_b32 vcc_lo, exec_lo, s0
	s_cbranch_vccnz .LBB79_1504
; %bb.1494:
	s_cmp_lt_i32 s19, 6
	s_cbranch_scc1 .LBB79_1497
; %bb.1495:
	s_cmp_gt_i32 s19, 6
	s_cbranch_scc0 .LBB79_1498
; %bb.1496:
	s_wait_loadcnt 0x0
	global_load_b64 v[10:11], v[8:9], off
	s_mov_b32 s0, 0
	s_wait_loadcnt 0x0
	v_trunc_f64_e32 v[10:11], v[10:11]
	s_delay_alu instid0(VALU_DEP_1) | instskip(NEXT) | instid1(VALU_DEP_1)
	v_ldexp_f64 v[12:13], v[10:11], 0xffffffe0
	v_floor_f64_e32 v[12:13], v[12:13]
	s_delay_alu instid0(VALU_DEP_1) | instskip(SKIP_1) | instid1(VALU_DEP_2)
	v_fmamk_f64 v[14:15], v[12:13], 0xc1f00000, v[10:11]
	v_cvt_i32_f64_e32 v11, v[12:13]
	v_cvt_u32_f64_e32 v10, v[14:15]
	s_branch .LBB79_1499
.LBB79_1497:
	s_mov_b32 s0, -1
                                        ; implicit-def: $vgpr10_vgpr11
	s_branch .LBB79_1502
.LBB79_1498:
	s_mov_b32 s0, -1
                                        ; implicit-def: $vgpr10_vgpr11
.LBB79_1499:
	s_delay_alu instid0(SALU_CYCLE_1)
	s_and_not1_b32 vcc_lo, exec_lo, s0
	s_cbranch_vccnz .LBB79_1501
; %bb.1500:
	global_load_b32 v1, v[8:9], off
	s_wait_loadcnt 0x0
	v_trunc_f32_e32 v1, v1
	s_delay_alu instid0(VALU_DEP_1) | instskip(SKIP_1) | instid1(VALU_DEP_2)
	v_mul_f32_e64 v3, 0x2f800000, |v1|
	v_ashrrev_i32_e32 v10, 31, v1
	v_floor_f32_e32 v3, v3
	s_delay_alu instid0(VALU_DEP_1) | instskip(SKIP_1) | instid1(VALU_DEP_4)
	v_fma_f32 v5, 0xcf800000, v3, |v1|
	v_cvt_u32_f32_e32 v1, v3
	v_mov_b32_e32 v11, v10
	s_delay_alu instid0(VALU_DEP_3) | instskip(NEXT) | instid1(VALU_DEP_3)
	v_cvt_u32_f32_e32 v3, v5
	v_xor_b32_e32 v13, v1, v10
	s_delay_alu instid0(VALU_DEP_2) | instskip(NEXT) | instid1(VALU_DEP_1)
	v_xor_b32_e32 v12, v3, v10
	v_sub_nc_u64_e32 v[10:11], v[12:13], v[10:11]
.LBB79_1501:
	s_mov_b32 s0, 0
.LBB79_1502:
	s_delay_alu instid0(SALU_CYCLE_1)
	s_and_not1_b32 vcc_lo, exec_lo, s0
	s_cbranch_vccnz .LBB79_1504
; %bb.1503:
	global_load_u16 v1, v[8:9], off
	s_wait_loadcnt 0x0
	v_cvt_f32_f16_e32 v1, v1
	s_delay_alu instid0(VALU_DEP_1) | instskip(NEXT) | instid1(VALU_DEP_1)
	v_cvt_i32_f32_e32 v10, v1
	v_ashrrev_i32_e32 v11, 31, v10
.LBB79_1504:
	s_mov_b32 s0, 0
.LBB79_1505:
	s_delay_alu instid0(SALU_CYCLE_1)
	s_and_not1_b32 vcc_lo, exec_lo, s0
	s_cbranch_vccnz .LBB79_1525
; %bb.1506:
	s_cmp_lt_i32 s19, 2
	s_cbranch_scc1 .LBB79_1510
; %bb.1507:
	s_cmp_lt_i32 s19, 3
	s_cbranch_scc1 .LBB79_1511
; %bb.1508:
	s_cmp_gt_i32 s19, 3
	s_cbranch_scc0 .LBB79_1512
; %bb.1509:
	s_wait_loadcnt 0x0
	global_load_b64 v[10:11], v[8:9], off
	s_mov_b32 s0, 0
	s_branch .LBB79_1513
.LBB79_1510:
	s_mov_b32 s0, -1
                                        ; implicit-def: $vgpr10_vgpr11
	s_branch .LBB79_1519
.LBB79_1511:
	s_mov_b32 s0, -1
                                        ; implicit-def: $vgpr10_vgpr11
	s_branch .LBB79_1516
.LBB79_1512:
	s_mov_b32 s0, -1
                                        ; implicit-def: $vgpr10_vgpr11
.LBB79_1513:
	s_delay_alu instid0(SALU_CYCLE_1)
	s_and_not1_b32 vcc_lo, exec_lo, s0
	s_cbranch_vccnz .LBB79_1515
; %bb.1514:
	s_wait_loadcnt 0x0
	global_load_b32 v10, v[8:9], off
	s_wait_loadcnt 0x0
	v_ashrrev_i32_e32 v11, 31, v10
.LBB79_1515:
	s_mov_b32 s0, 0
.LBB79_1516:
	s_delay_alu instid0(SALU_CYCLE_1)
	s_and_not1_b32 vcc_lo, exec_lo, s0
	s_cbranch_vccnz .LBB79_1518
; %bb.1517:
	global_load_u16 v1, v[8:9], off
	s_wait_loadcnt 0x0
	v_bfe_i32 v10, v1, 0, 16
	s_delay_alu instid0(VALU_DEP_1)
	v_ashrrev_i32_e32 v11, 31, v10
.LBB79_1518:
	s_mov_b32 s0, 0
.LBB79_1519:
	s_delay_alu instid0(SALU_CYCLE_1)
	s_and_not1_b32 vcc_lo, exec_lo, s0
	s_cbranch_vccnz .LBB79_1525
; %bb.1520:
	s_cmp_gt_i32 s19, 0
	s_mov_b32 s0, 0
	s_cbranch_scc0 .LBB79_1522
; %bb.1521:
	global_load_i8 v1, v[8:9], off
	s_wait_loadcnt 0x0
	v_bfe_i32 v10, v1, 0, 16
	s_delay_alu instid0(VALU_DEP_1)
	v_ashrrev_i32_e32 v11, 31, v10
	s_branch .LBB79_1523
.LBB79_1522:
	s_mov_b32 s0, -1
                                        ; implicit-def: $vgpr10_vgpr11
.LBB79_1523:
	s_delay_alu instid0(SALU_CYCLE_1)
	s_and_not1_b32 vcc_lo, exec_lo, s0
	s_cbranch_vccnz .LBB79_1525
; %bb.1524:
	global_load_u8 v1, v[8:9], off
	s_mov_b32 s0, 0
	s_wait_loadcnt 0x1
	v_mov_b32_e32 v11, s0
	s_wait_loadcnt 0x0
	v_and_b32_e32 v10, 0xffff, v1
.LBB79_1525:
	s_mov_b32 s20, -1
.LBB79_1526:
	s_delay_alu instid0(SALU_CYCLE_1)
	s_and_not1_b32 vcc_lo, exec_lo, s20
	s_cbranch_vccnz .LBB79_1577
; %bb.1527:
	s_wait_loadcnt 0x0
	s_delay_alu instid0(VALU_DEP_1) | instskip(SKIP_4) | instid1(SALU_CYCLE_1)
	v_cmp_gt_i64_e32 vcc_lo, s[8:9], v[10:11]
	v_cmp_le_i64_e64 s0, s[10:11], v[10:11]
	s_or_b32 s0, vcc_lo, s0
	s_wait_xcnt 0x0
	s_and_saveexec_b32 s7, s0
	s_xor_b32 s0, exec_lo, s7
	s_cbranch_execnz .LBB79_1904
.LBB79_1528:
	s_or_saveexec_b32 s7, s0
	s_mov_b32 s8, 0
	s_mov_b32 s9, 0
                                        ; implicit-def: $vgpr14_vgpr15
                                        ; implicit-def: $sgpr0
	s_xor_b32 exec_lo, exec_lo, s7
	s_cbranch_execz .LBB79_1845
; %bb.1529:
	s_load_b32 s0, s[2:3], 0x168
	v_mov_b32_e32 v7, 0
	s_delay_alu instid0(VALU_DEP_1) | instskip(SKIP_2) | instid1(SALU_CYCLE_1)
	v_add_nc_u64_e32 v[6:7], s[4:5], v[6:7]
	s_wait_kmcnt 0x0
	s_and_b32 s0, s0, 0xff
	s_cmp_lt_i32 s0, 11
	s_cbranch_scc1 .LBB79_1578
; %bb.1530:
	s_and_b32 s2, 0xffff, s0
	s_mov_b32 s10, -1
	s_cmp_gt_i32 s2, 25
	s_mov_b32 s3, 0
	s_cbranch_scc0 .LBB79_1555
; %bb.1531:
	s_cmp_gt_i32 s2, 28
	s_cbranch_scc0 .LBB79_1544
; %bb.1532:
	s_cmp_gt_i32 s2, 43
	;; [unrolled: 3-line block ×3, first 2 shown]
	s_cbranch_scc0 .LBB79_1536
; %bb.1534:
	s_mov_b32 s3, -1
	s_mov_b32 s10, 0
	s_cmp_eq_u32 s2, 46
	s_cbranch_scc0 .LBB79_1536
; %bb.1535:
	v_mov_b32_e32 v1, 0
	s_mov_b32 s3, 0
	s_mov_b32 s8, -1
	global_store_b32 v[6:7], v1, off
.LBB79_1536:
	s_and_b32 vcc_lo, exec_lo, s10
	s_cbranch_vccz .LBB79_1539
; %bb.1537:
	s_cmp_eq_u32 s2, 44
	s_mov_b32 s3, -1
	s_cbranch_scc0 .LBB79_1539
; %bb.1538:
	s_wait_xcnt 0x0
	v_mov_b32_e32 v1, 0
	s_mov_b32 s3, 0
	s_mov_b32 s8, -1
	global_store_b8 v[6:7], v1, off
.LBB79_1539:
	s_mov_b32 s10, 0
.LBB79_1540:
	s_delay_alu instid0(SALU_CYCLE_1)
	s_and_b32 vcc_lo, exec_lo, s10
	s_cbranch_vccz .LBB79_1543
; %bb.1541:
	s_cmp_eq_u32 s2, 29
	s_mov_b32 s3, -1
	s_cbranch_scc0 .LBB79_1543
; %bb.1542:
	v_mov_b64_e32 v[8:9], 0
	s_mov_b32 s3, 0
	s_mov_b32 s8, -1
	global_store_b64 v[6:7], v[8:9], off
.LBB79_1543:
	s_mov_b32 s10, 0
.LBB79_1544:
	s_delay_alu instid0(SALU_CYCLE_1)
	s_and_b32 vcc_lo, exec_lo, s10
	s_cbranch_vccz .LBB79_1554
; %bb.1545:
	s_cmp_lt_i32 s2, 27
	s_mov_b32 s8, -1
	s_cbranch_scc1 .LBB79_1551
; %bb.1546:
	s_cmp_gt_i32 s2, 27
	s_cbranch_scc0 .LBB79_1548
; %bb.1547:
	s_wait_xcnt 0x0
	v_mov_b32_e32 v1, 0
	s_mov_b32 s8, 0
	global_store_b32 v[6:7], v1, off
.LBB79_1548:
	s_and_not1_b32 vcc_lo, exec_lo, s8
	s_cbranch_vccnz .LBB79_1550
; %bb.1549:
	s_wait_xcnt 0x0
	v_mov_b32_e32 v1, 0
	global_store_b16 v[6:7], v1, off
.LBB79_1550:
	s_mov_b32 s8, 0
.LBB79_1551:
	s_delay_alu instid0(SALU_CYCLE_1)
	s_and_not1_b32 vcc_lo, exec_lo, s8
	s_cbranch_vccnz .LBB79_1553
; %bb.1552:
	s_wait_xcnt 0x0
	v_mov_b32_e32 v1, 0
	global_store_b8 v[6:7], v1, off
.LBB79_1553:
	s_mov_b32 s8, -1
.LBB79_1554:
	s_mov_b32 s10, 0
.LBB79_1555:
	s_delay_alu instid0(SALU_CYCLE_1)
	s_and_b32 vcc_lo, exec_lo, s10
	s_cbranch_vccz .LBB79_1573
; %bb.1556:
	s_cmp_gt_i32 s2, 22
	s_mov_b32 s9, -1
	s_cbranch_scc0 .LBB79_1566
; %bb.1557:
	s_cmp_lt_i32 s2, 24
	s_mov_b32 s8, -1
	s_cbranch_scc1 .LBB79_1563
; %bb.1558:
	s_cmp_gt_i32 s2, 24
	s_cbranch_scc0 .LBB79_1560
; %bb.1559:
	s_wait_xcnt 0x0
	v_mov_b32_e32 v1, 0
	s_mov_b32 s8, 0
	global_store_b8 v[6:7], v1, off
.LBB79_1560:
	s_and_not1_b32 vcc_lo, exec_lo, s8
	s_cbranch_vccnz .LBB79_1562
; %bb.1561:
	s_wait_xcnt 0x0
	v_mov_b32_e32 v1, 0
	global_store_b8 v[6:7], v1, off
.LBB79_1562:
	s_mov_b32 s8, 0
.LBB79_1563:
	s_delay_alu instid0(SALU_CYCLE_1)
	s_and_not1_b32 vcc_lo, exec_lo, s8
	s_cbranch_vccnz .LBB79_1565
; %bb.1564:
	s_wait_xcnt 0x0
	v_mov_b32_e32 v1, 0
	global_store_b8 v[6:7], v1, off
.LBB79_1565:
	s_mov_b32 s9, 0
	s_mov_b32 s8, -1
.LBB79_1566:
	s_and_not1_b32 vcc_lo, exec_lo, s9
	s_mov_b32 s9, 0
	s_cbranch_vccnz .LBB79_1573
; %bb.1567:
	s_cmp_gt_i32 s2, 14
	s_mov_b32 s9, -1
	s_cbranch_scc0 .LBB79_1571
; %bb.1568:
	s_cmp_eq_u32 s2, 15
	s_mov_b32 s3, -1
	s_cbranch_scc0 .LBB79_1570
; %bb.1569:
	s_wait_xcnt 0x0
	v_mov_b32_e32 v1, 0
	s_mov_b32 s3, 0
	s_mov_b32 s8, -1
	global_store_b16 v[6:7], v1, off
.LBB79_1570:
	s_mov_b32 s9, 0
.LBB79_1571:
	s_delay_alu instid0(SALU_CYCLE_1)
	s_and_b32 vcc_lo, exec_lo, s9
	s_mov_b32 s9, 0
	s_cbranch_vccz .LBB79_1573
; %bb.1572:
	s_cmp_lg_u32 s2, 11
	s_mov_b32 s9, -1
	s_cselect_b32 s3, -1, 0
.LBB79_1573:
	s_delay_alu instid0(SALU_CYCLE_1)
	s_and_b32 vcc_lo, exec_lo, s3
	s_mov_b32 s2, s6
	s_cbranch_vccnz .LBB79_1898
; %bb.1574:
	s_and_not1_b32 vcc_lo, exec_lo, s9
	s_cbranch_vccnz .LBB79_1576
.LBB79_1575:
	s_wait_xcnt 0x0
	v_mov_b32_e32 v1, 0
	s_mov_b32 s8, -1
	global_store_b8 v[6:7], v1, off
.LBB79_1576:
	s_mov_b32 s3, 0
	s_branch .LBB79_1579
.LBB79_1577:
	s_mov_b32 s8, 0
	s_mov_b32 s9, 0
                                        ; implicit-def: $vgpr14_vgpr15
                                        ; implicit-def: $sgpr0
	s_branch .LBB79_1846
.LBB79_1578:
	s_mov_b32 s3, -1
	s_mov_b32 s2, s6
.LBB79_1579:
	s_and_b32 vcc_lo, exec_lo, s3
	s_cbranch_vccz .LBB79_1618
; %bb.1580:
	s_and_b32 s3, 0xffff, s0
	s_mov_b32 s8, -1
	s_cmp_lt_i32 s3, 5
	s_cbranch_scc1 .LBB79_1601
; %bb.1581:
	s_cmp_lt_i32 s3, 8
	s_cbranch_scc1 .LBB79_1591
; %bb.1582:
	;; [unrolled: 3-line block ×3, first 2 shown]
	s_cmp_gt_i32 s3, 9
	s_cbranch_scc0 .LBB79_1585
; %bb.1584:
	s_wait_xcnt 0x0
	v_mov_b32_e32 v8, 0
	s_mov_b32 s8, 0
	s_delay_alu instid0(VALU_DEP_1)
	v_dual_mov_b32 v9, v8 :: v_dual_mov_b32 v10, v8
	v_mov_b32_e32 v11, v8
	global_store_b128 v[6:7], v[8:11], off
.LBB79_1585:
	s_and_not1_b32 vcc_lo, exec_lo, s8
	s_cbranch_vccnz .LBB79_1587
; %bb.1586:
	s_wait_xcnt 0x0
	v_mov_b64_e32 v[8:9], 0
	global_store_b64 v[6:7], v[8:9], off
.LBB79_1587:
	s_mov_b32 s8, 0
.LBB79_1588:
	s_delay_alu instid0(SALU_CYCLE_1)
	s_and_not1_b32 vcc_lo, exec_lo, s8
	s_cbranch_vccnz .LBB79_1590
; %bb.1589:
	s_wait_xcnt 0x0
	v_mov_b32_e32 v1, 0
	global_store_b32 v[6:7], v1, off
.LBB79_1590:
	s_mov_b32 s8, 0
.LBB79_1591:
	s_delay_alu instid0(SALU_CYCLE_1)
	s_and_not1_b32 vcc_lo, exec_lo, s8
	s_cbranch_vccnz .LBB79_1600
; %bb.1592:
	s_cmp_lt_i32 s3, 6
	s_mov_b32 s8, -1
	s_cbranch_scc1 .LBB79_1598
; %bb.1593:
	s_cmp_gt_i32 s3, 6
	s_cbranch_scc0 .LBB79_1595
; %bb.1594:
	s_wait_xcnt 0x0
	v_mov_b64_e32 v[8:9], 0
	s_mov_b32 s8, 0
	global_store_b64 v[6:7], v[8:9], off
.LBB79_1595:
	s_and_not1_b32 vcc_lo, exec_lo, s8
	s_cbranch_vccnz .LBB79_1597
; %bb.1596:
	s_wait_xcnt 0x0
	v_mov_b32_e32 v1, 0
	global_store_b32 v[6:7], v1, off
.LBB79_1597:
	s_mov_b32 s8, 0
.LBB79_1598:
	s_delay_alu instid0(SALU_CYCLE_1)
	s_and_not1_b32 vcc_lo, exec_lo, s8
	s_cbranch_vccnz .LBB79_1600
; %bb.1599:
	s_wait_xcnt 0x0
	v_mov_b32_e32 v1, 0
	global_store_b16 v[6:7], v1, off
.LBB79_1600:
	s_mov_b32 s8, 0
.LBB79_1601:
	s_delay_alu instid0(SALU_CYCLE_1)
	s_and_not1_b32 vcc_lo, exec_lo, s8
	s_cbranch_vccnz .LBB79_1617
; %bb.1602:
	s_cmp_lt_i32 s3, 2
	s_mov_b32 s8, -1
	s_cbranch_scc1 .LBB79_1612
; %bb.1603:
	s_cmp_lt_i32 s3, 3
	s_cbranch_scc1 .LBB79_1609
; %bb.1604:
	s_cmp_gt_i32 s3, 3
	s_cbranch_scc0 .LBB79_1606
; %bb.1605:
	s_wait_xcnt 0x0
	v_mov_b64_e32 v[8:9], 0
	s_mov_b32 s8, 0
	global_store_b64 v[6:7], v[8:9], off
.LBB79_1606:
	s_and_not1_b32 vcc_lo, exec_lo, s8
	s_cbranch_vccnz .LBB79_1608
; %bb.1607:
	s_wait_xcnt 0x0
	v_mov_b32_e32 v1, 0
	global_store_b32 v[6:7], v1, off
.LBB79_1608:
	s_mov_b32 s8, 0
.LBB79_1609:
	s_delay_alu instid0(SALU_CYCLE_1)
	s_and_not1_b32 vcc_lo, exec_lo, s8
	s_cbranch_vccnz .LBB79_1611
; %bb.1610:
	s_wait_xcnt 0x0
	v_mov_b32_e32 v1, 0
	global_store_b16 v[6:7], v1, off
.LBB79_1611:
	s_mov_b32 s8, 0
.LBB79_1612:
	s_delay_alu instid0(SALU_CYCLE_1)
	s_and_not1_b32 vcc_lo, exec_lo, s8
	s_cbranch_vccnz .LBB79_1617
; %bb.1613:
	s_cmp_gt_i32 s3, 0
	s_mov_b32 s3, -1
	s_cbranch_scc0 .LBB79_1615
; %bb.1614:
	s_wait_xcnt 0x0
	v_mov_b32_e32 v1, 0
	s_mov_b32 s3, 0
	global_store_b8 v[6:7], v1, off
.LBB79_1615:
	s_and_not1_b32 vcc_lo, exec_lo, s3
	s_cbranch_vccnz .LBB79_1617
; %bb.1616:
	s_wait_xcnt 0x0
	v_mov_b32_e32 v1, 0
	global_store_b8 v[6:7], v1, off
.LBB79_1617:
	s_mov_b32 s8, -1
.LBB79_1618:
	s_delay_alu instid0(SALU_CYCLE_1)
	s_and_not1_b32 vcc_lo, exec_lo, s8
	s_cbranch_vccnz .LBB79_1843
; %bb.1619:
	v_mov_b32_e32 v5, 0
	s_and_b32 s3, 0xffff, s0
	s_delay_alu instid0(SALU_CYCLE_1) | instskip(NEXT) | instid1(VALU_DEP_1)
	s_cmp_lt_i32 s3, 11
	v_add_nc_u64_e32 v[4:5], s[4:5], v[4:5]
	s_cbranch_scc1 .LBB79_1667
; %bb.1620:
	s_mov_b32 s11, -1
	s_mov_b32 s10, 0
	s_cmp_gt_i32 s3, 25
	s_mov_b32 s9, 0
	s_mov_b32 s8, 0
	s_cbranch_scc0 .LBB79_1645
; %bb.1621:
	s_cmp_gt_i32 s3, 28
	s_cbranch_scc0 .LBB79_1634
; %bb.1622:
	s_cmp_gt_i32 s3, 43
	s_cbranch_scc0 .LBB79_1630
; %bb.1623:
	s_cmp_gt_i32 s3, 45
	s_cbranch_scc0 .LBB79_1626
; %bb.1624:
	s_mov_b32 s8, -1
	s_mov_b32 s11, 0
	s_cmp_eq_u32 s3, 46
	s_cbranch_scc0 .LBB79_1626
; %bb.1625:
	s_wait_xcnt 0x0
	v_mov_b32_e32 v1, 0
	s_mov_b32 s8, 0
	s_mov_b32 s9, -1
	global_store_b32 v[4:5], v1, off
.LBB79_1626:
	s_and_b32 vcc_lo, exec_lo, s11
	s_cbranch_vccz .LBB79_1629
; %bb.1627:
	s_cmp_eq_u32 s3, 44
	s_mov_b32 s8, -1
	s_cbranch_scc0 .LBB79_1629
; %bb.1628:
	s_wait_xcnt 0x0
	v_mov_b32_e32 v1, 0
	s_mov_b32 s8, 0
	s_mov_b32 s9, -1
	global_store_b8 v[4:5], v1, off
.LBB79_1629:
	s_mov_b32 s11, 0
.LBB79_1630:
	s_delay_alu instid0(SALU_CYCLE_1)
	s_and_b32 vcc_lo, exec_lo, s11
	s_cbranch_vccz .LBB79_1633
; %bb.1631:
	s_cmp_eq_u32 s3, 29
	s_mov_b32 s8, -1
	s_cbranch_scc0 .LBB79_1633
; %bb.1632:
	s_wait_xcnt 0x0
	v_mov_b64_e32 v[6:7], 0
	s_mov_b32 s8, 0
	s_mov_b32 s9, -1
	global_store_b64 v[4:5], v[6:7], off
.LBB79_1633:
	s_mov_b32 s11, 0
.LBB79_1634:
	s_delay_alu instid0(SALU_CYCLE_1)
	s_and_b32 vcc_lo, exec_lo, s11
	s_cbranch_vccz .LBB79_1644
; %bb.1635:
	s_cmp_lt_i32 s3, 27
	s_mov_b32 s9, -1
	s_cbranch_scc1 .LBB79_1641
; %bb.1636:
	s_cmp_gt_i32 s3, 27
	s_cbranch_scc0 .LBB79_1638
; %bb.1637:
	s_wait_xcnt 0x0
	v_mov_b32_e32 v1, 0
	s_mov_b32 s9, 0
	global_store_b32 v[4:5], v1, off
.LBB79_1638:
	s_and_not1_b32 vcc_lo, exec_lo, s9
	s_cbranch_vccnz .LBB79_1640
; %bb.1639:
	s_wait_xcnt 0x0
	v_mov_b32_e32 v1, 0
	global_store_b16 v[4:5], v1, off
.LBB79_1640:
	s_mov_b32 s9, 0
.LBB79_1641:
	s_delay_alu instid0(SALU_CYCLE_1)
	s_and_not1_b32 vcc_lo, exec_lo, s9
	s_cbranch_vccnz .LBB79_1643
; %bb.1642:
	s_wait_xcnt 0x0
	v_mov_b32_e32 v1, 0
	global_store_b8 v[4:5], v1, off
.LBB79_1643:
	s_mov_b32 s9, -1
.LBB79_1644:
	s_mov_b32 s11, 0
.LBB79_1645:
	s_delay_alu instid0(SALU_CYCLE_1)
	s_and_b32 vcc_lo, exec_lo, s11
	s_cbranch_vccz .LBB79_1663
; %bb.1646:
	s_cmp_gt_i32 s3, 22
	s_mov_b32 s10, -1
	s_cbranch_scc0 .LBB79_1656
; %bb.1647:
	s_cmp_lt_i32 s3, 24
	s_mov_b32 s9, -1
	s_cbranch_scc1 .LBB79_1653
; %bb.1648:
	s_cmp_gt_i32 s3, 24
	s_cbranch_scc0 .LBB79_1650
; %bb.1649:
	s_wait_xcnt 0x0
	v_mov_b32_e32 v1, 0
	s_mov_b32 s9, 0
	global_store_b8 v[4:5], v1, off
.LBB79_1650:
	s_and_not1_b32 vcc_lo, exec_lo, s9
	s_cbranch_vccnz .LBB79_1652
; %bb.1651:
	s_wait_xcnt 0x0
	v_mov_b32_e32 v1, 0
	global_store_b8 v[4:5], v1, off
.LBB79_1652:
	s_mov_b32 s9, 0
.LBB79_1653:
	s_delay_alu instid0(SALU_CYCLE_1)
	s_and_not1_b32 vcc_lo, exec_lo, s9
	s_cbranch_vccnz .LBB79_1655
; %bb.1654:
	s_wait_xcnt 0x0
	v_mov_b32_e32 v1, 0
	global_store_b8 v[4:5], v1, off
.LBB79_1655:
	s_mov_b32 s10, 0
	s_mov_b32 s9, -1
.LBB79_1656:
	s_and_not1_b32 vcc_lo, exec_lo, s10
	s_mov_b32 s10, 0
	s_cbranch_vccnz .LBB79_1663
; %bb.1657:
	s_cmp_gt_i32 s3, 14
	s_mov_b32 s10, -1
	s_cbranch_scc0 .LBB79_1661
; %bb.1658:
	s_cmp_eq_u32 s3, 15
	s_mov_b32 s8, -1
	s_cbranch_scc0 .LBB79_1660
; %bb.1659:
	s_wait_xcnt 0x0
	v_mov_b32_e32 v1, 0
	s_mov_b32 s8, 0
	s_mov_b32 s9, -1
	global_store_b16 v[4:5], v1, off
.LBB79_1660:
	s_mov_b32 s10, 0
.LBB79_1661:
	s_delay_alu instid0(SALU_CYCLE_1)
	s_and_b32 vcc_lo, exec_lo, s10
	s_mov_b32 s10, 0
	s_cbranch_vccz .LBB79_1663
; %bb.1662:
	s_cmp_lg_u32 s3, 11
	s_mov_b32 s10, -1
	s_cselect_b32 s8, -1, 0
.LBB79_1663:
	s_delay_alu instid0(SALU_CYCLE_1)
	s_and_b32 vcc_lo, exec_lo, s8
	s_cbranch_vccnz .LBB79_1900
; %bb.1664:
	s_and_not1_b32 vcc_lo, exec_lo, s10
	s_cbranch_vccnz .LBB79_1666
.LBB79_1665:
	s_wait_xcnt 0x0
	v_mov_b32_e32 v1, 0
	s_mov_b32 s9, -1
	global_store_b8 v[4:5], v1, off
.LBB79_1666:
	s_mov_b32 s8, 0
	s_branch .LBB79_1668
.LBB79_1667:
	s_mov_b32 s8, -1
	s_mov_b32 s9, 0
.LBB79_1668:
	s_and_b32 vcc_lo, exec_lo, s8
	s_cbranch_vccz .LBB79_1707
; %bb.1669:
	s_cmp_lt_i32 s3, 5
	s_mov_b32 s8, -1
	s_cbranch_scc1 .LBB79_1690
; %bb.1670:
	s_cmp_lt_i32 s3, 8
	s_cbranch_scc1 .LBB79_1680
; %bb.1671:
	s_cmp_lt_i32 s3, 9
	s_cbranch_scc1 .LBB79_1677
; %bb.1672:
	s_cmp_gt_i32 s3, 9
	s_cbranch_scc0 .LBB79_1674
; %bb.1673:
	s_wait_xcnt 0x0
	v_mov_b32_e32 v6, 0
	s_mov_b32 s8, 0
	s_delay_alu instid0(VALU_DEP_1)
	v_dual_mov_b32 v7, v6 :: v_dual_mov_b32 v8, v6
	v_mov_b32_e32 v9, v6
	global_store_b128 v[4:5], v[6:9], off
.LBB79_1674:
	s_and_not1_b32 vcc_lo, exec_lo, s8
	s_cbranch_vccnz .LBB79_1676
; %bb.1675:
	s_wait_xcnt 0x0
	v_mov_b64_e32 v[6:7], 0
	global_store_b64 v[4:5], v[6:7], off
.LBB79_1676:
	s_mov_b32 s8, 0
.LBB79_1677:
	s_delay_alu instid0(SALU_CYCLE_1)
	s_and_not1_b32 vcc_lo, exec_lo, s8
	s_cbranch_vccnz .LBB79_1679
; %bb.1678:
	s_wait_xcnt 0x0
	v_mov_b32_e32 v1, 0
	global_store_b32 v[4:5], v1, off
.LBB79_1679:
	s_mov_b32 s8, 0
.LBB79_1680:
	s_delay_alu instid0(SALU_CYCLE_1)
	s_and_not1_b32 vcc_lo, exec_lo, s8
	s_cbranch_vccnz .LBB79_1689
; %bb.1681:
	s_cmp_lt_i32 s3, 6
	s_mov_b32 s8, -1
	s_cbranch_scc1 .LBB79_1687
; %bb.1682:
	s_cmp_gt_i32 s3, 6
	s_cbranch_scc0 .LBB79_1684
; %bb.1683:
	s_wait_xcnt 0x0
	v_mov_b64_e32 v[6:7], 0
	s_mov_b32 s8, 0
	global_store_b64 v[4:5], v[6:7], off
.LBB79_1684:
	s_and_not1_b32 vcc_lo, exec_lo, s8
	s_cbranch_vccnz .LBB79_1686
; %bb.1685:
	s_wait_xcnt 0x0
	v_mov_b32_e32 v1, 0
	global_store_b32 v[4:5], v1, off
.LBB79_1686:
	s_mov_b32 s8, 0
.LBB79_1687:
	s_delay_alu instid0(SALU_CYCLE_1)
	s_and_not1_b32 vcc_lo, exec_lo, s8
	s_cbranch_vccnz .LBB79_1689
; %bb.1688:
	s_wait_xcnt 0x0
	v_mov_b32_e32 v1, 0
	global_store_b16 v[4:5], v1, off
.LBB79_1689:
	s_mov_b32 s8, 0
.LBB79_1690:
	s_delay_alu instid0(SALU_CYCLE_1)
	s_and_not1_b32 vcc_lo, exec_lo, s8
	s_cbranch_vccnz .LBB79_1706
; %bb.1691:
	s_cmp_lt_i32 s3, 2
	s_mov_b32 s8, -1
	s_cbranch_scc1 .LBB79_1701
; %bb.1692:
	s_cmp_lt_i32 s3, 3
	s_cbranch_scc1 .LBB79_1698
; %bb.1693:
	s_cmp_gt_i32 s3, 3
	s_cbranch_scc0 .LBB79_1695
; %bb.1694:
	s_wait_xcnt 0x0
	v_mov_b64_e32 v[6:7], 0
	s_mov_b32 s8, 0
	global_store_b64 v[4:5], v[6:7], off
.LBB79_1695:
	s_and_not1_b32 vcc_lo, exec_lo, s8
	s_cbranch_vccnz .LBB79_1697
; %bb.1696:
	s_wait_xcnt 0x0
	v_mov_b32_e32 v1, 0
	global_store_b32 v[4:5], v1, off
.LBB79_1697:
	s_mov_b32 s8, 0
.LBB79_1698:
	s_delay_alu instid0(SALU_CYCLE_1)
	s_and_not1_b32 vcc_lo, exec_lo, s8
	s_cbranch_vccnz .LBB79_1700
; %bb.1699:
	s_wait_xcnt 0x0
	v_mov_b32_e32 v1, 0
	global_store_b16 v[4:5], v1, off
.LBB79_1700:
	s_mov_b32 s8, 0
.LBB79_1701:
	s_delay_alu instid0(SALU_CYCLE_1)
	s_and_not1_b32 vcc_lo, exec_lo, s8
	s_cbranch_vccnz .LBB79_1706
; %bb.1702:
	s_cmp_gt_i32 s3, 0
	s_mov_b32 s8, -1
	s_cbranch_scc0 .LBB79_1704
; %bb.1703:
	s_wait_xcnt 0x0
	v_mov_b32_e32 v1, 0
	s_mov_b32 s8, 0
	global_store_b8 v[4:5], v1, off
.LBB79_1704:
	s_and_not1_b32 vcc_lo, exec_lo, s8
	s_cbranch_vccnz .LBB79_1706
; %bb.1705:
	s_wait_xcnt 0x0
	v_mov_b32_e32 v1, 0
	global_store_b8 v[4:5], v1, off
.LBB79_1706:
	s_mov_b32 s9, -1
.LBB79_1707:
	s_delay_alu instid0(SALU_CYCLE_1)
	s_and_not1_b32 vcc_lo, exec_lo, s9
	s_cbranch_vccnz .LBB79_1843
; %bb.1708:
	v_mov_b32_e32 v3, 0
	s_cmp_lt_i32 s3, 11
	s_delay_alu instid0(VALU_DEP_1)
	v_add_nc_u64_e32 v[2:3], s[4:5], v[2:3]
	s_cbranch_scc1 .LBB79_1756
; %bb.1709:
	s_mov_b32 s11, -1
	s_mov_b32 s10, 0
	s_cmp_gt_i32 s3, 25
	s_mov_b32 s9, 0
	s_mov_b32 s8, 0
	s_cbranch_scc0 .LBB79_1734
; %bb.1710:
	s_cmp_gt_i32 s3, 28
	s_cbranch_scc0 .LBB79_1723
; %bb.1711:
	s_cmp_gt_i32 s3, 43
	;; [unrolled: 3-line block ×3, first 2 shown]
	s_cbranch_scc0 .LBB79_1715
; %bb.1713:
	s_mov_b32 s8, -1
	s_mov_b32 s11, 0
	s_cmp_eq_u32 s3, 46
	s_cbranch_scc0 .LBB79_1715
; %bb.1714:
	s_wait_xcnt 0x0
	v_mov_b32_e32 v1, 0
	s_mov_b32 s8, 0
	s_mov_b32 s9, -1
	global_store_b32 v[2:3], v1, off
.LBB79_1715:
	s_and_b32 vcc_lo, exec_lo, s11
	s_cbranch_vccz .LBB79_1718
; %bb.1716:
	s_cmp_eq_u32 s3, 44
	s_mov_b32 s8, -1
	s_cbranch_scc0 .LBB79_1718
; %bb.1717:
	s_wait_xcnt 0x0
	v_mov_b32_e32 v1, 0
	s_mov_b32 s8, 0
	s_mov_b32 s9, -1
	global_store_b8 v[2:3], v1, off
.LBB79_1718:
	s_mov_b32 s11, 0
.LBB79_1719:
	s_delay_alu instid0(SALU_CYCLE_1)
	s_and_b32 vcc_lo, exec_lo, s11
	s_cbranch_vccz .LBB79_1722
; %bb.1720:
	s_cmp_eq_u32 s3, 29
	s_mov_b32 s8, -1
	s_cbranch_scc0 .LBB79_1722
; %bb.1721:
	s_wait_xcnt 0x0
	v_mov_b64_e32 v[4:5], 0
	s_mov_b32 s8, 0
	s_mov_b32 s9, -1
	global_store_b64 v[2:3], v[4:5], off
.LBB79_1722:
	s_mov_b32 s11, 0
.LBB79_1723:
	s_delay_alu instid0(SALU_CYCLE_1)
	s_and_b32 vcc_lo, exec_lo, s11
	s_cbranch_vccz .LBB79_1733
; %bb.1724:
	s_cmp_lt_i32 s3, 27
	s_mov_b32 s9, -1
	s_cbranch_scc1 .LBB79_1730
; %bb.1725:
	s_cmp_gt_i32 s3, 27
	s_cbranch_scc0 .LBB79_1727
; %bb.1726:
	s_wait_xcnt 0x0
	v_mov_b32_e32 v1, 0
	s_mov_b32 s9, 0
	global_store_b32 v[2:3], v1, off
.LBB79_1727:
	s_and_not1_b32 vcc_lo, exec_lo, s9
	s_cbranch_vccnz .LBB79_1729
; %bb.1728:
	s_wait_xcnt 0x0
	v_mov_b32_e32 v1, 0
	global_store_b16 v[2:3], v1, off
.LBB79_1729:
	s_mov_b32 s9, 0
.LBB79_1730:
	s_delay_alu instid0(SALU_CYCLE_1)
	s_and_not1_b32 vcc_lo, exec_lo, s9
	s_cbranch_vccnz .LBB79_1732
; %bb.1731:
	s_wait_xcnt 0x0
	v_mov_b32_e32 v1, 0
	global_store_b8 v[2:3], v1, off
.LBB79_1732:
	s_mov_b32 s9, -1
.LBB79_1733:
	s_mov_b32 s11, 0
.LBB79_1734:
	s_delay_alu instid0(SALU_CYCLE_1)
	s_and_b32 vcc_lo, exec_lo, s11
	s_cbranch_vccz .LBB79_1752
; %bb.1735:
	s_cmp_gt_i32 s3, 22
	s_mov_b32 s10, -1
	s_cbranch_scc0 .LBB79_1745
; %bb.1736:
	s_cmp_lt_i32 s3, 24
	s_mov_b32 s9, -1
	s_cbranch_scc1 .LBB79_1742
; %bb.1737:
	s_cmp_gt_i32 s3, 24
	s_cbranch_scc0 .LBB79_1739
; %bb.1738:
	s_wait_xcnt 0x0
	v_mov_b32_e32 v1, 0
	s_mov_b32 s9, 0
	global_store_b8 v[2:3], v1, off
.LBB79_1739:
	s_and_not1_b32 vcc_lo, exec_lo, s9
	s_cbranch_vccnz .LBB79_1741
; %bb.1740:
	s_wait_xcnt 0x0
	v_mov_b32_e32 v1, 0
	global_store_b8 v[2:3], v1, off
.LBB79_1741:
	s_mov_b32 s9, 0
.LBB79_1742:
	s_delay_alu instid0(SALU_CYCLE_1)
	s_and_not1_b32 vcc_lo, exec_lo, s9
	s_cbranch_vccnz .LBB79_1744
; %bb.1743:
	s_wait_xcnt 0x0
	v_mov_b32_e32 v1, 0
	global_store_b8 v[2:3], v1, off
.LBB79_1744:
	s_mov_b32 s10, 0
	s_mov_b32 s9, -1
.LBB79_1745:
	s_and_not1_b32 vcc_lo, exec_lo, s10
	s_mov_b32 s10, 0
	s_cbranch_vccnz .LBB79_1752
; %bb.1746:
	s_cmp_gt_i32 s3, 14
	s_mov_b32 s10, -1
	s_cbranch_scc0 .LBB79_1750
; %bb.1747:
	s_cmp_eq_u32 s3, 15
	s_mov_b32 s8, -1
	s_cbranch_scc0 .LBB79_1749
; %bb.1748:
	s_wait_xcnt 0x0
	v_mov_b32_e32 v1, 0
	s_mov_b32 s8, 0
	s_mov_b32 s9, -1
	global_store_b16 v[2:3], v1, off
.LBB79_1749:
	s_mov_b32 s10, 0
.LBB79_1750:
	s_delay_alu instid0(SALU_CYCLE_1)
	s_and_b32 vcc_lo, exec_lo, s10
	s_mov_b32 s10, 0
	s_cbranch_vccz .LBB79_1752
; %bb.1751:
	s_cmp_lg_u32 s3, 11
	s_mov_b32 s10, -1
	s_cselect_b32 s8, -1, 0
.LBB79_1752:
	s_delay_alu instid0(SALU_CYCLE_1)
	s_and_b32 vcc_lo, exec_lo, s8
	s_cbranch_vccnz .LBB79_1901
; %bb.1753:
	s_and_not1_b32 vcc_lo, exec_lo, s10
	s_cbranch_vccnz .LBB79_1755
.LBB79_1754:
	s_wait_xcnt 0x0
	v_mov_b32_e32 v1, 0
	s_mov_b32 s9, -1
	global_store_b8 v[2:3], v1, off
.LBB79_1755:
	s_mov_b32 s8, 0
	s_branch .LBB79_1757
.LBB79_1756:
	s_mov_b32 s8, -1
	s_mov_b32 s9, 0
.LBB79_1757:
	s_and_b32 vcc_lo, exec_lo, s8
	s_cbranch_vccz .LBB79_1796
; %bb.1758:
	s_cmp_lt_i32 s3, 5
	s_mov_b32 s8, -1
	s_cbranch_scc1 .LBB79_1779
; %bb.1759:
	s_cmp_lt_i32 s3, 8
	s_cbranch_scc1 .LBB79_1769
; %bb.1760:
	s_cmp_lt_i32 s3, 9
	s_cbranch_scc1 .LBB79_1766
; %bb.1761:
	s_cmp_gt_i32 s3, 9
	s_cbranch_scc0 .LBB79_1763
; %bb.1762:
	s_wait_xcnt 0x0
	v_mov_b32_e32 v4, 0
	s_mov_b32 s8, 0
	s_delay_alu instid0(VALU_DEP_1)
	v_dual_mov_b32 v5, v4 :: v_dual_mov_b32 v6, v4
	v_mov_b32_e32 v7, v4
	global_store_b128 v[2:3], v[4:7], off
.LBB79_1763:
	s_and_not1_b32 vcc_lo, exec_lo, s8
	s_cbranch_vccnz .LBB79_1765
; %bb.1764:
	s_wait_xcnt 0x0
	v_mov_b64_e32 v[4:5], 0
	global_store_b64 v[2:3], v[4:5], off
.LBB79_1765:
	s_mov_b32 s8, 0
.LBB79_1766:
	s_delay_alu instid0(SALU_CYCLE_1)
	s_and_not1_b32 vcc_lo, exec_lo, s8
	s_cbranch_vccnz .LBB79_1768
; %bb.1767:
	s_wait_xcnt 0x0
	v_mov_b32_e32 v1, 0
	global_store_b32 v[2:3], v1, off
.LBB79_1768:
	s_mov_b32 s8, 0
.LBB79_1769:
	s_delay_alu instid0(SALU_CYCLE_1)
	s_and_not1_b32 vcc_lo, exec_lo, s8
	s_cbranch_vccnz .LBB79_1778
; %bb.1770:
	s_cmp_lt_i32 s3, 6
	s_mov_b32 s8, -1
	s_cbranch_scc1 .LBB79_1776
; %bb.1771:
	s_cmp_gt_i32 s3, 6
	s_cbranch_scc0 .LBB79_1773
; %bb.1772:
	s_wait_xcnt 0x0
	v_mov_b64_e32 v[4:5], 0
	s_mov_b32 s8, 0
	global_store_b64 v[2:3], v[4:5], off
.LBB79_1773:
	s_and_not1_b32 vcc_lo, exec_lo, s8
	s_cbranch_vccnz .LBB79_1775
; %bb.1774:
	s_wait_xcnt 0x0
	v_mov_b32_e32 v1, 0
	global_store_b32 v[2:3], v1, off
.LBB79_1775:
	s_mov_b32 s8, 0
.LBB79_1776:
	s_delay_alu instid0(SALU_CYCLE_1)
	s_and_not1_b32 vcc_lo, exec_lo, s8
	s_cbranch_vccnz .LBB79_1778
; %bb.1777:
	s_wait_xcnt 0x0
	v_mov_b32_e32 v1, 0
	global_store_b16 v[2:3], v1, off
.LBB79_1778:
	s_mov_b32 s8, 0
.LBB79_1779:
	s_delay_alu instid0(SALU_CYCLE_1)
	s_and_not1_b32 vcc_lo, exec_lo, s8
	s_cbranch_vccnz .LBB79_1795
; %bb.1780:
	s_cmp_lt_i32 s3, 2
	s_mov_b32 s8, -1
	s_cbranch_scc1 .LBB79_1790
; %bb.1781:
	s_cmp_lt_i32 s3, 3
	s_cbranch_scc1 .LBB79_1787
; %bb.1782:
	s_cmp_gt_i32 s3, 3
	s_cbranch_scc0 .LBB79_1784
; %bb.1783:
	s_wait_xcnt 0x0
	v_mov_b64_e32 v[4:5], 0
	s_mov_b32 s8, 0
	global_store_b64 v[2:3], v[4:5], off
.LBB79_1784:
	s_and_not1_b32 vcc_lo, exec_lo, s8
	s_cbranch_vccnz .LBB79_1786
; %bb.1785:
	s_wait_xcnt 0x0
	v_mov_b32_e32 v1, 0
	global_store_b32 v[2:3], v1, off
.LBB79_1786:
	s_mov_b32 s8, 0
.LBB79_1787:
	s_delay_alu instid0(SALU_CYCLE_1)
	s_and_not1_b32 vcc_lo, exec_lo, s8
	s_cbranch_vccnz .LBB79_1789
; %bb.1788:
	s_wait_xcnt 0x0
	v_mov_b32_e32 v1, 0
	global_store_b16 v[2:3], v1, off
.LBB79_1789:
	s_mov_b32 s8, 0
.LBB79_1790:
	s_delay_alu instid0(SALU_CYCLE_1)
	s_and_not1_b32 vcc_lo, exec_lo, s8
	s_cbranch_vccnz .LBB79_1795
; %bb.1791:
	s_cmp_gt_i32 s3, 0
	s_mov_b32 s8, -1
	s_cbranch_scc0 .LBB79_1793
; %bb.1792:
	s_wait_xcnt 0x0
	v_mov_b32_e32 v1, 0
	s_mov_b32 s8, 0
	global_store_b8 v[2:3], v1, off
.LBB79_1793:
	s_and_not1_b32 vcc_lo, exec_lo, s8
	s_cbranch_vccnz .LBB79_1795
; %bb.1794:
	s_wait_xcnt 0x0
	v_mov_b32_e32 v1, 0
	global_store_b8 v[2:3], v1, off
.LBB79_1795:
	s_mov_b32 s9, -1
.LBB79_1796:
	s_delay_alu instid0(SALU_CYCLE_1)
	s_and_not1_b32 vcc_lo, exec_lo, s9
	s_cbranch_vccnz .LBB79_1843
; %bb.1797:
	s_wait_xcnt 0x0
	v_mov_b32_e32 v1, 0
	s_cmp_lt_i32 s3, 11
	s_delay_alu instid0(VALU_DEP_1)
	v_add_nc_u64_e32 v[14:15], s[4:5], v[0:1]
	s_cbranch_scc1 .LBB79_1897
; %bb.1798:
	s_mov_b32 s8, -1
	s_mov_b32 s4, 0
	s_cmp_gt_i32 s3, 25
	s_mov_b32 s5, 0
	s_cbranch_scc0 .LBB79_1823
; %bb.1799:
	s_cmp_gt_i32 s3, 28
	s_cbranch_scc0 .LBB79_1813
; %bb.1800:
	s_cmp_gt_i32 s3, 43
	;; [unrolled: 3-line block ×3, first 2 shown]
	s_cbranch_scc0 .LBB79_1805
; %bb.1802:
	s_cmp_eq_u32 s3, 46
	s_mov_b32 s5, -1
	s_cbranch_scc0 .LBB79_1804
; %bb.1803:
	v_mov_b32_e32 v0, 0
	s_mov_b32 s5, 0
	global_store_b32 v[14:15], v0, off
.LBB79_1804:
	s_mov_b32 s8, 0
.LBB79_1805:
	s_delay_alu instid0(SALU_CYCLE_1)
	s_and_b32 vcc_lo, exec_lo, s8
	s_cbranch_vccz .LBB79_1808
; %bb.1806:
	s_cmp_eq_u32 s3, 44
	s_mov_b32 s5, -1
	s_cbranch_scc0 .LBB79_1808
; %bb.1807:
	s_wait_xcnt 0x0
	v_mov_b32_e32 v0, 0
	s_mov_b32 s5, 0
	global_store_b8 v[14:15], v0, off
.LBB79_1808:
	s_mov_b32 s8, 0
.LBB79_1809:
	s_delay_alu instid0(SALU_CYCLE_1)
	s_and_b32 vcc_lo, exec_lo, s8
	s_cbranch_vccz .LBB79_1812
; %bb.1810:
	s_cmp_eq_u32 s3, 29
	s_mov_b32 s5, -1
	s_cbranch_scc0 .LBB79_1812
; %bb.1811:
	s_wait_xcnt 0x0
	v_mov_b64_e32 v[0:1], 0
	s_mov_b32 s5, 0
	global_store_b64 v[14:15], v[0:1], off
.LBB79_1812:
	s_mov_b32 s8, 0
.LBB79_1813:
	s_delay_alu instid0(SALU_CYCLE_1)
	s_and_b32 vcc_lo, exec_lo, s8
	s_cbranch_vccz .LBB79_1822
; %bb.1814:
	s_cmp_lt_i32 s3, 27
	s_mov_b32 s8, -1
	s_cbranch_scc1 .LBB79_1820
; %bb.1815:
	s_cmp_gt_i32 s3, 27
	s_cbranch_scc0 .LBB79_1817
; %bb.1816:
	s_wait_xcnt 0x0
	v_mov_b32_e32 v0, 0
	s_mov_b32 s8, 0
	global_store_b32 v[14:15], v0, off
.LBB79_1817:
	s_and_not1_b32 vcc_lo, exec_lo, s8
	s_cbranch_vccnz .LBB79_1819
; %bb.1818:
	s_wait_xcnt 0x0
	v_mov_b32_e32 v0, 0
	global_store_b16 v[14:15], v0, off
.LBB79_1819:
	s_mov_b32 s8, 0
.LBB79_1820:
	s_delay_alu instid0(SALU_CYCLE_1)
	s_and_not1_b32 vcc_lo, exec_lo, s8
	s_cbranch_vccnz .LBB79_1822
; %bb.1821:
	s_wait_xcnt 0x0
	v_mov_b32_e32 v0, 0
	global_store_b8 v[14:15], v0, off
.LBB79_1822:
	s_mov_b32 s8, 0
.LBB79_1823:
	s_delay_alu instid0(SALU_CYCLE_1)
	s_and_b32 vcc_lo, exec_lo, s8
	s_cbranch_vccz .LBB79_1841
; %bb.1824:
	s_cmp_gt_i32 s3, 22
	s_mov_b32 s4, -1
	s_cbranch_scc0 .LBB79_1834
; %bb.1825:
	s_cmp_lt_i32 s3, 24
	s_cbranch_scc1 .LBB79_1831
; %bb.1826:
	s_cmp_gt_i32 s3, 24
	s_cbranch_scc0 .LBB79_1828
; %bb.1827:
	s_wait_xcnt 0x0
	v_mov_b32_e32 v0, 0
	s_mov_b32 s4, 0
	global_store_b8 v[14:15], v0, off
.LBB79_1828:
	s_and_not1_b32 vcc_lo, exec_lo, s4
	s_cbranch_vccnz .LBB79_1830
; %bb.1829:
	s_wait_xcnt 0x0
	v_mov_b32_e32 v0, 0
	global_store_b8 v[14:15], v0, off
.LBB79_1830:
	s_mov_b32 s4, 0
.LBB79_1831:
	s_delay_alu instid0(SALU_CYCLE_1)
	s_and_not1_b32 vcc_lo, exec_lo, s4
	s_cbranch_vccnz .LBB79_1833
; %bb.1832:
	s_wait_xcnt 0x0
	v_mov_b32_e32 v0, 0
	global_store_b8 v[14:15], v0, off
.LBB79_1833:
	s_mov_b32 s4, 0
.LBB79_1834:
	s_delay_alu instid0(SALU_CYCLE_1)
	s_and_not1_b32 vcc_lo, exec_lo, s4
	s_mov_b32 s4, 0
	s_cbranch_vccnz .LBB79_1841
; %bb.1835:
	s_cmp_gt_i32 s3, 14
	s_mov_b32 s4, -1
	s_cbranch_scc0 .LBB79_1839
; %bb.1836:
	s_cmp_eq_u32 s3, 15
	s_mov_b32 s5, -1
	s_cbranch_scc0 .LBB79_1838
; %bb.1837:
	s_wait_xcnt 0x0
	v_mov_b32_e32 v0, 0
	s_mov_b32 s5, 0
	global_store_b16 v[14:15], v0, off
.LBB79_1838:
	s_mov_b32 s4, 0
.LBB79_1839:
	s_delay_alu instid0(SALU_CYCLE_1)
	s_and_b32 vcc_lo, exec_lo, s4
	s_mov_b32 s4, 0
	s_cbranch_vccz .LBB79_1841
; %bb.1840:
	s_cmp_lg_u32 s3, 11
	s_mov_b32 s4, -1
	s_cselect_b32 s5, -1, 0
.LBB79_1841:
	s_delay_alu instid0(SALU_CYCLE_1)
	s_and_b32 vcc_lo, exec_lo, s5
	s_cbranch_vccnz .LBB79_1903
.LBB79_1842:
	s_mov_b32 s3, 0
	s_branch .LBB79_1844
.LBB79_1843:
	s_mov_b32 s3, 0
	s_mov_b32 s4, 0
                                        ; implicit-def: $vgpr14_vgpr15
                                        ; implicit-def: $sgpr0
.LBB79_1844:
	s_and_b32 s9, s3, exec_lo
	s_and_not1_b32 s3, s6, exec_lo
	s_and_b32 s2, s2, exec_lo
	s_and_b32 s8, s4, exec_lo
	s_or_b32 s6, s3, s2
.LBB79_1845:
	s_wait_xcnt 0x0
	s_or_b32 exec_lo, exec_lo, s7
.LBB79_1846:
	s_delay_alu instid0(SALU_CYCLE_1)
	s_and_not1_b32 s2, s17, exec_lo
	s_and_b32 s3, s6, exec_lo
	s_and_b32 s21, s9, exec_lo
	;; [unrolled: 1-line block ×3, first 2 shown]
	s_or_b32 s17, s2, s3
.LBB79_1847:
	s_wait_xcnt 0x0
	s_or_b32 exec_lo, exec_lo, s18
.LBB79_1848:
	s_delay_alu instid0(SALU_CYCLE_1)
	s_and_not1_b32 s2, s15, exec_lo
	s_and_b32 s3, s17, exec_lo
	s_and_b32 s18, s21, exec_lo
	;; [unrolled: 1-line block ×3, first 2 shown]
	s_or_b32 s15, s2, s3
.LBB79_1849:
	s_wait_xcnt 0x0
	s_or_b32 exec_lo, exec_lo, s16
.LBB79_1850:
	s_delay_alu instid0(SALU_CYCLE_1)
	s_and_not1_b32 s1, s1, exec_lo
	s_and_b32 s2, s15, exec_lo
	s_and_b32 s18, s18, exec_lo
	;; [unrolled: 1-line block ×3, first 2 shown]
	s_or_b32 s1, s1, s2
.LBB79_1851:
	s_wait_xcnt 0x0
	s_or_b32 exec_lo, exec_lo, s14
.LBB79_1852:
	s_delay_alu instid0(SALU_CYCLE_1)
	s_and_not1_b32 s2, s12, exec_lo
	s_and_b32 s1, s1, exec_lo
	s_and_b32 s4, s18, exec_lo
	;; [unrolled: 1-line block ×3, first 2 shown]
	s_or_b32 s12, s2, s1
.LBB79_1853:
	s_wait_xcnt 0x0
	s_or_b32 exec_lo, exec_lo, s13
	s_and_saveexec_b32 s1, s12
	s_cbranch_execz .LBB79_1856
; %bb.1854:
	; divergent unreachable
	s_or_b32 exec_lo, exec_lo, s1
	s_and_saveexec_b32 s1, s35
	s_delay_alu instid0(SALU_CYCLE_1)
	s_xor_b32 s1, exec_lo, s1
	s_cbranch_execnz .LBB79_1857
.LBB79_1855:
	s_or_b32 exec_lo, exec_lo, s1
	s_and_saveexec_b32 s1, s4
	s_cbranch_execnz .LBB79_1858
	s_branch .LBB79_1895
.LBB79_1856:
	s_or_b32 exec_lo, exec_lo, s1
	s_and_saveexec_b32 s1, s35
	s_delay_alu instid0(SALU_CYCLE_1)
	s_xor_b32 s1, exec_lo, s1
	s_cbranch_execz .LBB79_1855
.LBB79_1857:
	v_mov_b32_e32 v0, 0
	s_wait_loadcnt 0x0
	global_store_b8 v[14:15], v0, off
	s_wait_xcnt 0x0
	s_or_b32 exec_lo, exec_lo, s1
	s_and_saveexec_b32 s1, s4
	s_cbranch_execz .LBB79_1895
.LBB79_1858:
	s_sext_i32_i16 s2, s0
	s_mov_b32 s1, -1
	s_cmp_lt_i32 s2, 5
	s_cbranch_scc1 .LBB79_1879
; %bb.1859:
	s_cmp_lt_i32 s2, 8
	s_cbranch_scc1 .LBB79_1869
; %bb.1860:
	;; [unrolled: 3-line block ×3, first 2 shown]
	s_cmp_gt_i32 s2, 9
	s_cbranch_scc0 .LBB79_1863
; %bb.1862:
	v_mov_b32_e32 v0, 0
	s_mov_b32 s1, 0
	s_delay_alu instid0(VALU_DEP_1)
	v_dual_mov_b32 v1, v0 :: v_dual_mov_b32 v2, v0
	v_mov_b32_e32 v3, v0
	s_wait_loadcnt 0x0
	global_store_b128 v[14:15], v[0:3], off
.LBB79_1863:
	s_and_not1_b32 vcc_lo, exec_lo, s1
	s_cbranch_vccnz .LBB79_1865
; %bb.1864:
	s_wait_xcnt 0x0
	v_mov_b64_e32 v[0:1], 0
	s_wait_loadcnt 0x0
	global_store_b64 v[14:15], v[0:1], off
.LBB79_1865:
	s_mov_b32 s1, 0
.LBB79_1866:
	s_delay_alu instid0(SALU_CYCLE_1)
	s_and_not1_b32 vcc_lo, exec_lo, s1
	s_cbranch_vccnz .LBB79_1868
; %bb.1867:
	s_wait_xcnt 0x0
	v_mov_b32_e32 v0, 0
	s_wait_loadcnt 0x0
	global_store_b32 v[14:15], v0, off
.LBB79_1868:
	s_mov_b32 s1, 0
.LBB79_1869:
	s_delay_alu instid0(SALU_CYCLE_1)
	s_and_not1_b32 vcc_lo, exec_lo, s1
	s_cbranch_vccnz .LBB79_1878
; %bb.1870:
	s_sext_i32_i16 s2, s0
	s_mov_b32 s1, -1
	s_cmp_lt_i32 s2, 6
	s_cbranch_scc1 .LBB79_1876
; %bb.1871:
	s_cmp_gt_i32 s2, 6
	s_cbranch_scc0 .LBB79_1873
; %bb.1872:
	s_wait_xcnt 0x0
	v_mov_b64_e32 v[0:1], 0
	s_mov_b32 s1, 0
	s_wait_loadcnt 0x0
	global_store_b64 v[14:15], v[0:1], off
.LBB79_1873:
	s_and_not1_b32 vcc_lo, exec_lo, s1
	s_cbranch_vccnz .LBB79_1875
; %bb.1874:
	s_wait_xcnt 0x0
	v_mov_b32_e32 v0, 0
	s_wait_loadcnt 0x0
	global_store_b32 v[14:15], v0, off
.LBB79_1875:
	s_mov_b32 s1, 0
.LBB79_1876:
	s_delay_alu instid0(SALU_CYCLE_1)
	s_and_not1_b32 vcc_lo, exec_lo, s1
	s_cbranch_vccnz .LBB79_1878
; %bb.1877:
	s_wait_xcnt 0x0
	v_mov_b32_e32 v0, 0
	s_wait_loadcnt 0x0
	global_store_b16 v[14:15], v0, off
.LBB79_1878:
	s_mov_b32 s1, 0
.LBB79_1879:
	s_delay_alu instid0(SALU_CYCLE_1)
	s_and_not1_b32 vcc_lo, exec_lo, s1
	s_cbranch_vccnz .LBB79_1895
; %bb.1880:
	s_sext_i32_i16 s2, s0
	s_mov_b32 s1, -1
	s_cmp_lt_i32 s2, 2
	s_cbranch_scc1 .LBB79_1890
; %bb.1881:
	s_cmp_lt_i32 s2, 3
	s_cbranch_scc1 .LBB79_1887
; %bb.1882:
	s_cmp_gt_i32 s2, 3
	s_cbranch_scc0 .LBB79_1884
; %bb.1883:
	s_wait_xcnt 0x0
	v_mov_b64_e32 v[0:1], 0
	s_mov_b32 s1, 0
	s_wait_loadcnt 0x0
	global_store_b64 v[14:15], v[0:1], off
.LBB79_1884:
	s_and_not1_b32 vcc_lo, exec_lo, s1
	s_cbranch_vccnz .LBB79_1886
; %bb.1885:
	s_wait_xcnt 0x0
	v_mov_b32_e32 v0, 0
	s_wait_loadcnt 0x0
	global_store_b32 v[14:15], v0, off
.LBB79_1886:
	s_mov_b32 s1, 0
.LBB79_1887:
	s_delay_alu instid0(SALU_CYCLE_1)
	s_and_not1_b32 vcc_lo, exec_lo, s1
	s_cbranch_vccnz .LBB79_1889
; %bb.1888:
	s_wait_xcnt 0x0
	v_mov_b32_e32 v0, 0
	s_wait_loadcnt 0x0
	global_store_b16 v[14:15], v0, off
.LBB79_1889:
	s_mov_b32 s1, 0
.LBB79_1890:
	s_delay_alu instid0(SALU_CYCLE_1)
	s_and_not1_b32 vcc_lo, exec_lo, s1
	s_cbranch_vccnz .LBB79_1895
; %bb.1891:
	s_sext_i32_i16 s0, s0
	s_delay_alu instid0(SALU_CYCLE_1)
	s_cmp_gt_i32 s0, 0
	s_mov_b32 s0, -1
	s_cbranch_scc0 .LBB79_1893
; %bb.1892:
	s_wait_xcnt 0x0
	v_mov_b32_e32 v0, 0
	s_mov_b32 s0, 0
	s_wait_loadcnt 0x0
	global_store_b8 v[14:15], v0, off
.LBB79_1893:
	s_and_not1_b32 vcc_lo, exec_lo, s0
	s_cbranch_vccnz .LBB79_1895
; %bb.1894:
	s_wait_xcnt 0x0
	v_mov_b32_e32 v0, 0
	s_wait_loadcnt 0x0
	global_store_b8 v[14:15], v0, off
	s_endpgm
.LBB79_1895:
	s_endpgm
.LBB79_1896:
	s_or_b32 s6, s17, exec_lo
	s_trap 2
	s_cbranch_execz .LBB79_1475
	s_branch .LBB79_1476
.LBB79_1897:
	s_mov_b32 s4, 0
	s_mov_b32 s3, -1
	s_branch .LBB79_1844
.LBB79_1898:
	s_or_b32 s2, s6, exec_lo
	s_trap 2
	s_cbranch_execz .LBB79_1575
	s_branch .LBB79_1576
.LBB79_1899:
	s_or_b32 s15, s15, exec_lo
	s_trap 2
                                        ; implicit-def: $vgpr10
                                        ; implicit-def: $vgpr8
                                        ; implicit-def: $vgpr0
                                        ; implicit-def: $vgpr6
                                        ; implicit-def: $vgpr4
                                        ; implicit-def: $vgpr2
	s_branch .LBB79_1042
.LBB79_1900:
	s_or_b32 s2, s2, exec_lo
	s_trap 2
	s_cbranch_execz .LBB79_1665
	s_branch .LBB79_1666
.LBB79_1901:
	s_or_b32 s2, s2, exec_lo
	s_trap 2
	s_cbranch_execz .LBB79_1754
	s_branch .LBB79_1755
.LBB79_1902:
	s_or_b32 s17, s17, exec_lo
	s_trap 2
                                        ; implicit-def: $vgpr8
                                        ; implicit-def: $vgpr0
                                        ; implicit-def: $vgpr6
                                        ; implicit-def: $vgpr4
                                        ; implicit-def: $vgpr2
	s_branch .LBB79_1397
.LBB79_1903:
	s_mov_b32 s4, 0
	s_or_b32 s2, s2, exec_lo
	s_trap 2
	s_branch .LBB79_1842
.LBB79_1904:
	s_or_b32 s6, s6, exec_lo
	s_trap 2
                                        ; implicit-def: $vgpr0
                                        ; implicit-def: $vgpr6
                                        ; implicit-def: $vgpr4
                                        ; implicit-def: $vgpr2
	s_branch .LBB79_1528
	.section	.rodata,"a",@progbits
	.p2align	6, 0x0
	.amdhsa_kernel _ZN2at6native32elementwise_kernel_manual_unrollILi128ELi4EZNS0_15gpu_kernel_implIZZZNS0_12_GLOBAL__N_142_validate_compressed_sparse_indices_kernelILNS3_8CDimNameE1ENS3_18CUDAKernelLauncherENS3_14EmptyVecKernelENS3_8DummyVecELm8EEEvRKNS_6TensorESB_lllENKUlvE0_clEvENKUlvE0_clEvEUllE_EEvRNS_18TensorIteratorBaseERKT_EUlibE0_EEviT1_
		.amdhsa_group_segment_fixed_size 0
		.amdhsa_private_segment_fixed_size 0
		.amdhsa_kernarg_size 376
		.amdhsa_user_sgpr_count 2
		.amdhsa_user_sgpr_dispatch_ptr 0
		.amdhsa_user_sgpr_queue_ptr 0
		.amdhsa_user_sgpr_kernarg_segment_ptr 1
		.amdhsa_user_sgpr_dispatch_id 0
		.amdhsa_user_sgpr_kernarg_preload_length 0
		.amdhsa_user_sgpr_kernarg_preload_offset 0
		.amdhsa_user_sgpr_private_segment_size 0
		.amdhsa_wavefront_size32 1
		.amdhsa_uses_dynamic_stack 0
		.amdhsa_enable_private_segment 0
		.amdhsa_system_sgpr_workgroup_id_x 1
		.amdhsa_system_sgpr_workgroup_id_y 0
		.amdhsa_system_sgpr_workgroup_id_z 0
		.amdhsa_system_sgpr_workgroup_info 0
		.amdhsa_system_vgpr_workitem_id 0
		.amdhsa_next_free_vgpr 22
		.amdhsa_next_free_sgpr 76
		.amdhsa_named_barrier_count 0
		.amdhsa_reserve_vcc 1
		.amdhsa_float_round_mode_32 0
		.amdhsa_float_round_mode_16_64 0
		.amdhsa_float_denorm_mode_32 3
		.amdhsa_float_denorm_mode_16_64 3
		.amdhsa_fp16_overflow 0
		.amdhsa_memory_ordered 1
		.amdhsa_forward_progress 1
		.amdhsa_inst_pref_size 255
		.amdhsa_round_robin_scheduling 0
		.amdhsa_exception_fp_ieee_invalid_op 0
		.amdhsa_exception_fp_denorm_src 0
		.amdhsa_exception_fp_ieee_div_zero 0
		.amdhsa_exception_fp_ieee_overflow 0
		.amdhsa_exception_fp_ieee_underflow 0
		.amdhsa_exception_fp_ieee_inexact 0
		.amdhsa_exception_int_div_zero 0
	.end_amdhsa_kernel
	.section	.text._ZN2at6native32elementwise_kernel_manual_unrollILi128ELi4EZNS0_15gpu_kernel_implIZZZNS0_12_GLOBAL__N_142_validate_compressed_sparse_indices_kernelILNS3_8CDimNameE1ENS3_18CUDAKernelLauncherENS3_14EmptyVecKernelENS3_8DummyVecELm8EEEvRKNS_6TensorESB_lllENKUlvE0_clEvENKUlvE0_clEvEUllE_EEvRNS_18TensorIteratorBaseERKT_EUlibE0_EEviT1_,"axG",@progbits,_ZN2at6native32elementwise_kernel_manual_unrollILi128ELi4EZNS0_15gpu_kernel_implIZZZNS0_12_GLOBAL__N_142_validate_compressed_sparse_indices_kernelILNS3_8CDimNameE1ENS3_18CUDAKernelLauncherENS3_14EmptyVecKernelENS3_8DummyVecELm8EEEvRKNS_6TensorESB_lllENKUlvE0_clEvENKUlvE0_clEvEUllE_EEvRNS_18TensorIteratorBaseERKT_EUlibE0_EEviT1_,comdat
.Lfunc_end79:
	.size	_ZN2at6native32elementwise_kernel_manual_unrollILi128ELi4EZNS0_15gpu_kernel_implIZZZNS0_12_GLOBAL__N_142_validate_compressed_sparse_indices_kernelILNS3_8CDimNameE1ENS3_18CUDAKernelLauncherENS3_14EmptyVecKernelENS3_8DummyVecELm8EEEvRKNS_6TensorESB_lllENKUlvE0_clEvENKUlvE0_clEvEUllE_EEvRNS_18TensorIteratorBaseERKT_EUlibE0_EEviT1_, .Lfunc_end79-_ZN2at6native32elementwise_kernel_manual_unrollILi128ELi4EZNS0_15gpu_kernel_implIZZZNS0_12_GLOBAL__N_142_validate_compressed_sparse_indices_kernelILNS3_8CDimNameE1ENS3_18CUDAKernelLauncherENS3_14EmptyVecKernelENS3_8DummyVecELm8EEEvRKNS_6TensorESB_lllENKUlvE0_clEvENKUlvE0_clEvEUllE_EEvRNS_18TensorIteratorBaseERKT_EUlibE0_EEviT1_
                                        ; -- End function
	.set _ZN2at6native32elementwise_kernel_manual_unrollILi128ELi4EZNS0_15gpu_kernel_implIZZZNS0_12_GLOBAL__N_142_validate_compressed_sparse_indices_kernelILNS3_8CDimNameE1ENS3_18CUDAKernelLauncherENS3_14EmptyVecKernelENS3_8DummyVecELm8EEEvRKNS_6TensorESB_lllENKUlvE0_clEvENKUlvE0_clEvEUllE_EEvRNS_18TensorIteratorBaseERKT_EUlibE0_EEviT1_.num_vgpr, 22
	.set _ZN2at6native32elementwise_kernel_manual_unrollILi128ELi4EZNS0_15gpu_kernel_implIZZZNS0_12_GLOBAL__N_142_validate_compressed_sparse_indices_kernelILNS3_8CDimNameE1ENS3_18CUDAKernelLauncherENS3_14EmptyVecKernelENS3_8DummyVecELm8EEEvRKNS_6TensorESB_lllENKUlvE0_clEvENKUlvE0_clEvEUllE_EEvRNS_18TensorIteratorBaseERKT_EUlibE0_EEviT1_.num_agpr, 0
	.set _ZN2at6native32elementwise_kernel_manual_unrollILi128ELi4EZNS0_15gpu_kernel_implIZZZNS0_12_GLOBAL__N_142_validate_compressed_sparse_indices_kernelILNS3_8CDimNameE1ENS3_18CUDAKernelLauncherENS3_14EmptyVecKernelENS3_8DummyVecELm8EEEvRKNS_6TensorESB_lllENKUlvE0_clEvENKUlvE0_clEvEUllE_EEvRNS_18TensorIteratorBaseERKT_EUlibE0_EEviT1_.numbered_sgpr, 76
	.set _ZN2at6native32elementwise_kernel_manual_unrollILi128ELi4EZNS0_15gpu_kernel_implIZZZNS0_12_GLOBAL__N_142_validate_compressed_sparse_indices_kernelILNS3_8CDimNameE1ENS3_18CUDAKernelLauncherENS3_14EmptyVecKernelENS3_8DummyVecELm8EEEvRKNS_6TensorESB_lllENKUlvE0_clEvENKUlvE0_clEvEUllE_EEvRNS_18TensorIteratorBaseERKT_EUlibE0_EEviT1_.num_named_barrier, 0
	.set _ZN2at6native32elementwise_kernel_manual_unrollILi128ELi4EZNS0_15gpu_kernel_implIZZZNS0_12_GLOBAL__N_142_validate_compressed_sparse_indices_kernelILNS3_8CDimNameE1ENS3_18CUDAKernelLauncherENS3_14EmptyVecKernelENS3_8DummyVecELm8EEEvRKNS_6TensorESB_lllENKUlvE0_clEvENKUlvE0_clEvEUllE_EEvRNS_18TensorIteratorBaseERKT_EUlibE0_EEviT1_.private_seg_size, 0
	.set _ZN2at6native32elementwise_kernel_manual_unrollILi128ELi4EZNS0_15gpu_kernel_implIZZZNS0_12_GLOBAL__N_142_validate_compressed_sparse_indices_kernelILNS3_8CDimNameE1ENS3_18CUDAKernelLauncherENS3_14EmptyVecKernelENS3_8DummyVecELm8EEEvRKNS_6TensorESB_lllENKUlvE0_clEvENKUlvE0_clEvEUllE_EEvRNS_18TensorIteratorBaseERKT_EUlibE0_EEviT1_.uses_vcc, 1
	.set _ZN2at6native32elementwise_kernel_manual_unrollILi128ELi4EZNS0_15gpu_kernel_implIZZZNS0_12_GLOBAL__N_142_validate_compressed_sparse_indices_kernelILNS3_8CDimNameE1ENS3_18CUDAKernelLauncherENS3_14EmptyVecKernelENS3_8DummyVecELm8EEEvRKNS_6TensorESB_lllENKUlvE0_clEvENKUlvE0_clEvEUllE_EEvRNS_18TensorIteratorBaseERKT_EUlibE0_EEviT1_.uses_flat_scratch, 0
	.set _ZN2at6native32elementwise_kernel_manual_unrollILi128ELi4EZNS0_15gpu_kernel_implIZZZNS0_12_GLOBAL__N_142_validate_compressed_sparse_indices_kernelILNS3_8CDimNameE1ENS3_18CUDAKernelLauncherENS3_14EmptyVecKernelENS3_8DummyVecELm8EEEvRKNS_6TensorESB_lllENKUlvE0_clEvENKUlvE0_clEvEUllE_EEvRNS_18TensorIteratorBaseERKT_EUlibE0_EEviT1_.has_dyn_sized_stack, 0
	.set _ZN2at6native32elementwise_kernel_manual_unrollILi128ELi4EZNS0_15gpu_kernel_implIZZZNS0_12_GLOBAL__N_142_validate_compressed_sparse_indices_kernelILNS3_8CDimNameE1ENS3_18CUDAKernelLauncherENS3_14EmptyVecKernelENS3_8DummyVecELm8EEEvRKNS_6TensorESB_lllENKUlvE0_clEvENKUlvE0_clEvEUllE_EEvRNS_18TensorIteratorBaseERKT_EUlibE0_EEviT1_.has_recursion, 0
	.set _ZN2at6native32elementwise_kernel_manual_unrollILi128ELi4EZNS0_15gpu_kernel_implIZZZNS0_12_GLOBAL__N_142_validate_compressed_sparse_indices_kernelILNS3_8CDimNameE1ENS3_18CUDAKernelLauncherENS3_14EmptyVecKernelENS3_8DummyVecELm8EEEvRKNS_6TensorESB_lllENKUlvE0_clEvENKUlvE0_clEvEUllE_EEvRNS_18TensorIteratorBaseERKT_EUlibE0_EEviT1_.has_indirect_call, 0
	.section	.AMDGPU.csdata,"",@progbits
; Kernel info:
; codeLenInByte = 40364
; TotalNumSgprs: 78
; NumVgprs: 22
; ScratchSize: 0
; MemoryBound: 1
; FloatMode: 240
; IeeeMode: 1
; LDSByteSize: 0 bytes/workgroup (compile time only)
; SGPRBlocks: 0
; VGPRBlocks: 1
; NumSGPRsForWavesPerEU: 78
; NumVGPRsForWavesPerEU: 22
; NamedBarCnt: 0
; Occupancy: 16
; WaveLimiterHint : 1
; COMPUTE_PGM_RSRC2:SCRATCH_EN: 0
; COMPUTE_PGM_RSRC2:USER_SGPR: 2
; COMPUTE_PGM_RSRC2:TRAP_HANDLER: 0
; COMPUTE_PGM_RSRC2:TGID_X_EN: 1
; COMPUTE_PGM_RSRC2:TGID_Y_EN: 0
; COMPUTE_PGM_RSRC2:TGID_Z_EN: 0
; COMPUTE_PGM_RSRC2:TIDIG_COMP_CNT: 0
	.section	.text._ZN2at6native29vectorized_elementwise_kernelILi16EZZZNS0_12_GLOBAL__N_142_validate_compressed_sparse_indices_kernelILNS2_8CDimNameE1ENS2_18CUDAKernelLauncherENS2_14EmptyVecKernelENS2_8DummyVecELm8EEEvRKNS_6TensorESA_lllENKUlvE1_clEvENKUlvE_clEvEUliiiiiE_St5arrayIPcLm6EEEEviT0_T1_,"axG",@progbits,_ZN2at6native29vectorized_elementwise_kernelILi16EZZZNS0_12_GLOBAL__N_142_validate_compressed_sparse_indices_kernelILNS2_8CDimNameE1ENS2_18CUDAKernelLauncherENS2_14EmptyVecKernelENS2_8DummyVecELm8EEEvRKNS_6TensorESA_lllENKUlvE1_clEvENKUlvE_clEvEUliiiiiE_St5arrayIPcLm6EEEEviT0_T1_,comdat
	.globl	_ZN2at6native29vectorized_elementwise_kernelILi16EZZZNS0_12_GLOBAL__N_142_validate_compressed_sparse_indices_kernelILNS2_8CDimNameE1ENS2_18CUDAKernelLauncherENS2_14EmptyVecKernelENS2_8DummyVecELm8EEEvRKNS_6TensorESA_lllENKUlvE1_clEvENKUlvE_clEvEUliiiiiE_St5arrayIPcLm6EEEEviT0_T1_ ; -- Begin function _ZN2at6native29vectorized_elementwise_kernelILi16EZZZNS0_12_GLOBAL__N_142_validate_compressed_sparse_indices_kernelILNS2_8CDimNameE1ENS2_18CUDAKernelLauncherENS2_14EmptyVecKernelENS2_8DummyVecELm8EEEvRKNS_6TensorESA_lllENKUlvE1_clEvENKUlvE_clEvEUliiiiiE_St5arrayIPcLm6EEEEviT0_T1_
	.p2align	8
	.type	_ZN2at6native29vectorized_elementwise_kernelILi16EZZZNS0_12_GLOBAL__N_142_validate_compressed_sparse_indices_kernelILNS2_8CDimNameE1ENS2_18CUDAKernelLauncherENS2_14EmptyVecKernelENS2_8DummyVecELm8EEEvRKNS_6TensorESA_lllENKUlvE1_clEvENKUlvE_clEvEUliiiiiE_St5arrayIPcLm6EEEEviT0_T1_,@function
_ZN2at6native29vectorized_elementwise_kernelILi16EZZZNS0_12_GLOBAL__N_142_validate_compressed_sparse_indices_kernelILNS2_8CDimNameE1ENS2_18CUDAKernelLauncherENS2_14EmptyVecKernelENS2_8DummyVecELm8EEEvRKNS_6TensorESA_lllENKUlvE1_clEvENKUlvE_clEvEUliiiiiE_St5arrayIPcLm6EEEEviT0_T1_: ; @_ZN2at6native29vectorized_elementwise_kernelILi16EZZZNS0_12_GLOBAL__N_142_validate_compressed_sparse_indices_kernelILNS2_8CDimNameE1ENS2_18CUDAKernelLauncherENS2_14EmptyVecKernelENS2_8DummyVecELm8EEEvRKNS_6TensorESA_lllENKUlvE1_clEvENKUlvE_clEvEUliiiiiE_St5arrayIPcLm6EEEEviT0_T1_
; %bb.0:
	s_clause 0x2
	s_load_b32 s3, s[0:1], 0x0
	s_load_b128 s[12:15], s[0:1], 0xd0
	s_load_b256 s[4:11], s[0:1], 0xb0
	s_bfe_u32 s2, ttmp6, 0x4000c
	s_and_b32 s16, ttmp6, 15
	s_add_co_i32 s2, s2, 1
	s_getreg_b32 s17, hwreg(HW_REG_IB_STS2, 6, 4)
	s_mul_i32 s2, ttmp9, s2
	s_or_b64 s[20:21], s[0:1], 8
	s_add_co_i32 s16, s16, s2
	s_cmp_eq_u32 s17, 0
	s_mov_b32 s44, 0
	s_wait_xcnt 0x0
	s_cselect_b32 s0, ttmp9, s16
	s_get_pc_i64 s[22:23]
	s_add_nc_u64 s[22:23], s[22:23], .str.6@rel64+4
	s_lshl_b32 s2, s0, 10
	s_mov_b32 s0, -1
	s_wait_kmcnt 0x0
	s_sub_co_i32 s33, s3, s2
	s_mov_b32 s3, 0
	s_cmp_gt_i32 s33, 0x3ff
	s_cbranch_scc0 .LBB80_75
; %bb.1:
	s_ashr_i32 s3, s2, 31
	s_mov_b32 s34, -1
	s_lshl_b64 s[24:25], s[2:3], 2
	s_cmp_lg_u64 s[22:23], 0
	s_add_nc_u64 s[0:1], s[6:7], s[24:25]
	s_cselect_b32 s16, -1, 0
	global_load_b128 v[10:13], v0, s[0:1] scale_offset
	s_wait_xcnt 0x0
	s_load_b32 s0, s[20:21], 0x0
	s_mov_b32 s3, 0
	s_mov_b32 s31, 0
	;; [unrolled: 1-line block ×4, first 2 shown]
                                        ; implicit-def: $sgpr27
                                        ; implicit-def: $sgpr17
                                        ; implicit-def: $sgpr30
                                        ; implicit-def: $sgpr26
                                        ; implicit-def: $sgpr28_sgpr29
                                        ; implicit-def: $vgpr14_vgpr15_vgpr16_vgpr17
                                        ; implicit-def: $vgpr2_vgpr3_vgpr4_vgpr5
                                        ; implicit-def: $vgpr6_vgpr7_vgpr8_vgpr9
                                        ; implicit-def: $vgpr18
	s_wait_loadcnt 0x0
	s_wait_kmcnt 0x0
	v_cmp_eq_u32_e32 vcc_lo, s0, v10
	s_mov_b32 s0, 0
	s_and_b32 s18, s16, vcc_lo
                                        ; implicit-def: $sgpr16
	s_delay_alu instid0(SALU_CYCLE_1)
	s_and_saveexec_b32 s45, s18
	s_cbranch_execz .LBB80_64
; %bb.2:
	s_add_nc_u64 s[0:1], s[8:9], s[24:25]
	s_load_b128 s[16:19], s[20:21], 0x8
	global_load_b128 v[18:21], v0, s[0:1] scale_offset
	s_get_pc_i64 s[26:27]
	s_add_nc_u64 s[26:27], s[26:27], .str.7@rel64+4
	s_wait_xcnt 0x0
	s_mov_b32 s0, -1
	s_cmp_lg_u64 s[26:27], 0
	s_mov_b32 s34, 0
	s_wait_kmcnt 0x0
	s_cselect_b32 s17, -1, 0
	s_mov_b32 s1, 0
	s_mov_b32 s35, 0
                                        ; implicit-def: $sgpr27
                                        ; implicit-def: $sgpr30
                                        ; implicit-def: $sgpr26
                                        ; implicit-def: $sgpr28_sgpr29
                                        ; implicit-def: $vgpr14_vgpr15_vgpr16_vgpr17
                                        ; implicit-def: $vgpr2_vgpr3_vgpr4_vgpr5
                                        ; implicit-def: $vgpr6_vgpr7_vgpr8_vgpr9
	s_wait_loadcnt 0x0
	v_cmp_eq_u32_e32 vcc_lo, s18, v18
	s_and_b32 s36, s17, vcc_lo
                                        ; implicit-def: $sgpr17
	s_delay_alu instid0(SALU_CYCLE_1)
	s_and_saveexec_b32 s46, s36
	s_cbranch_execz .LBB80_63
; %bb.3:
	s_add_nc_u64 s[0:1], s[10:11], s[24:25]
	s_add_nc_u64 s[26:27], s[12:13], s[24:25]
	s_clause 0x1
	global_load_b128 v[6:9], v0, s[0:1] scale_offset
	global_load_b128 v[2:5], v0, s[26:27] scale_offset
	s_wait_xcnt 0x0
	s_load_b64 s[26:27], s[20:21], 0x18
	s_get_pc_i64 s[28:29]
	s_add_nc_u64 s[28:29], s[28:29], .str.8@rel64+4
	s_mov_b32 s1, -1
	s_cmp_lg_u64 s[28:29], 0
	s_mov_b32 s36, 0
	s_cselect_b32 s17, -1, 0
                                        ; implicit-def: $sgpr27
                                        ; implicit-def: $sgpr30
                                        ; implicit-def: $sgpr28_sgpr29
                                        ; implicit-def: $vgpr14_vgpr15_vgpr16_vgpr17
	s_wait_loadcnt 0x0
	v_sub_nc_u32_e32 v1, v2, v6
	s_delay_alu instid0(VALU_DEP_1) | instskip(SKIP_2) | instid1(SALU_CYCLE_1)
	v_cmp_le_i32_e32 vcc_lo, v10, v1
	v_cmp_ge_i32_e64 s0, s16, v1
	s_and_b32 s0, vcc_lo, s0
	s_and_b32 s0, s17, s0
                                        ; implicit-def: $sgpr17
	s_delay_alu instid0(SALU_CYCLE_1)
	s_and_saveexec_b32 s47, s0
	s_cbranch_execz .LBB80_62
; %bb.4:
	s_add_nc_u64 s[0:1], s[14:15], s[24:25]
	s_load_b64 s[28:29], s[20:21], 0xa0
	global_load_b128 v[14:17], v0, s[0:1] scale_offset
	s_wait_xcnt 0x0
	v_cmp_gt_i64_e64 s0, s[18:19], 0
	s_wait_kmcnt 0x0
	s_add_co_i32 s30, s26, -1
	v_mov_b64_e32 v[22:23], 0
	s_cmp_gt_i32 s30, -1
	s_cselect_b32 s1, -1, 0
	s_delay_alu instid0(SALU_CYCLE_1) | instskip(NEXT) | instid1(SALU_CYCLE_1)
	s_and_b32 s17, s0, s1
	s_and_not1_b32 vcc_lo, exec_lo, s17
	s_cbranch_vccnz .LBB80_11
; %bb.5:
	s_wait_loadcnt 0x0
	v_dual_mov_b32 v22, v14 :: v_dual_ashrrev_i32 v23, 31, v14
	s_ashr_i32 s31, s30, 31
	v_mov_b32_e32 v24, 0
	s_lshl_b64 s[0:1], s[30:31], 3
	s_mov_b64 s[34:35], 0xffffffff
	v_mul_u64_e32 v[26:27], s[18:19], v[22:23]
	v_mov_b64_e32 v[22:23], 0
	s_add_nc_u64 s[0:1], s[20:21], s[0:1]
	s_mov_b32 s27, s26
	s_add_nc_u64 s[36:37], s[0:1], 32
	s_mov_b32 s1, 0
	s_branch .LBB80_7
.LBB80_6:                               ;   in Loop: Header=BB80_7 Depth=1
	s_or_b32 exec_lo, exec_lo, s0
	s_delay_alu instid0(VALU_DEP_1)
	v_mul_u64_e32 v[30:31], s[38:39], v[28:29]
	s_load_b64 s[38:39], s[36:37], 0x40
	s_add_co_i32 s27, s27, -1
	s_wait_xcnt 0x0
	s_add_nc_u64 s[36:37], s[36:37], -8
	s_cmp_eq_u32 s27, 0
	s_delay_alu instid0(VALU_DEP_1) | instskip(SKIP_1) | instid1(VALU_DEP_1)
	v_sub_nc_u64_e32 v[26:27], v[26:27], v[30:31]
	s_wait_kmcnt 0x0
	v_mad_nc_u64_u32 v[22:23], v26, s38, v[22:23]
	s_delay_alu instid0(VALU_DEP_1) | instskip(NEXT) | instid1(VALU_DEP_1)
	v_mad_u32 v1, v27, s38, v23
	v_mad_u32 v23, v26, s39, v1
	v_mov_b64_e32 v[26:27], v[28:29]
	s_cbranch_scc1 .LBB80_11
.LBB80_7:                               ; =>This Inner Loop Header: Depth=1
	s_load_b64 s[38:39], s[36:37], 0x0
                                        ; implicit-def: $vgpr28_vgpr29
	s_mov_b32 s0, exec_lo
	s_wait_kmcnt 0x0
	s_delay_alu instid0(VALU_DEP_1) | instskip(NEXT) | instid1(VALU_DEP_1)
	v_or_b32_e32 v25, s39, v27
	v_cmpx_ne_u64_e32 0, v[24:25]
	s_xor_b32 s31, exec_lo, s0
	s_cbranch_execz .LBB80_9
; %bb.8:                                ;   in Loop: Header=BB80_7 Depth=1
	s_ashr_i32 s40, s39, 31
	v_dual_mov_b32 v33, v24 :: v_dual_ashrrev_i32 v28, 31, v27
	s_mov_b32 s41, s40
	v_mov_b32_e32 v41, v24
	s_add_nc_u64 s[42:43], s[38:39], s[40:41]
	s_delay_alu instid0(VALU_DEP_2) | instskip(SKIP_1) | instid1(SALU_CYCLE_1)
	v_mov_b32_e32 v29, v28
	s_xor_b64 s[42:43], s[42:43], s[40:41]
	s_cvt_f32_u32 s0, s42
	s_cvt_f32_u32 s41, s43
	s_sub_nc_u64 s[50:51], 0, s[42:43]
	v_add_nc_u64_e32 v[30:31], v[26:27], v[28:29]
	v_mov_b32_e32 v37, v24
	s_fmamk_f32 s0, s41, 0x4f800000, s0
	s_delay_alu instid0(SALU_CYCLE_3) | instskip(NEXT) | instid1(VALU_DEP_2)
	v_s_rcp_f32 s0, s0
	v_xor_b32_e32 v32, v30, v28
	s_delay_alu instid0(VALU_DEP_3) | instskip(NEXT) | instid1(TRANS32_DEP_1)
	v_xor_b32_e32 v36, v31, v28
	s_mul_f32 s0, s0, 0x5f7ffffc
	s_delay_alu instid0(SALU_CYCLE_3) | instskip(NEXT) | instid1(SALU_CYCLE_3)
	s_mul_f32 s41, s0, 0x2f800000
	s_trunc_f32 s41, s41
	s_delay_alu instid0(SALU_CYCLE_3) | instskip(SKIP_1) | instid1(SALU_CYCLE_2)
	s_fmamk_f32 s0, s41, 0xcf800000, s0
	s_cvt_u32_f32 s49, s41
	s_cvt_u32_f32 s48, s0
	s_delay_alu instid0(SALU_CYCLE_3) | instskip(NEXT) | instid1(SALU_CYCLE_1)
	s_mul_u64 s[52:53], s[50:51], s[48:49]
	s_mul_hi_u32 s55, s48, s53
	s_mul_i32 s54, s48, s53
	s_mul_hi_u32 s0, s48, s52
	s_mul_i32 s56, s49, s52
	s_add_nc_u64 s[54:55], s[0:1], s[54:55]
	s_mul_hi_u32 s41, s49, s52
	s_mul_hi_u32 s57, s49, s53
	s_add_co_u32 s0, s54, s56
	s_add_co_ci_u32 s0, s55, s41
	s_mul_i32 s52, s49, s53
	s_add_co_ci_u32 s53, s57, 0
	s_delay_alu instid0(SALU_CYCLE_1) | instskip(NEXT) | instid1(SALU_CYCLE_1)
	s_add_nc_u64 s[52:53], s[0:1], s[52:53]
	s_add_co_u32 s48, s48, s52
	s_cselect_b32 s0, -1, 0
	s_delay_alu instid0(SALU_CYCLE_1) | instskip(SKIP_1) | instid1(SALU_CYCLE_1)
	s_cmp_lg_u32 s0, 0
	s_add_co_ci_u32 s49, s49, s53
	s_mul_u64 s[50:51], s[50:51], s[48:49]
	s_delay_alu instid0(SALU_CYCLE_1)
	s_mul_hi_u32 s53, s48, s51
	s_mul_i32 s52, s48, s51
	s_mul_hi_u32 s0, s48, s50
	s_mul_i32 s54, s49, s50
	s_add_nc_u64 s[52:53], s[0:1], s[52:53]
	s_mul_hi_u32 s41, s49, s50
	s_mul_hi_u32 s55, s49, s51
	s_add_co_u32 s0, s52, s54
	s_add_co_ci_u32 s0, s53, s41
	s_mul_i32 s50, s49, s51
	s_add_co_ci_u32 s51, s55, 0
	s_delay_alu instid0(SALU_CYCLE_1) | instskip(NEXT) | instid1(SALU_CYCLE_1)
	s_add_nc_u64 s[50:51], s[0:1], s[50:51]
	s_add_co_u32 s48, s48, s50
	s_cselect_b32 s0, -1, 0
	v_mul_hi_u32 v40, v32, s48
	s_cmp_lg_u32 s0, 0
	s_add_co_ci_u32 s0, s49, s51
	s_and_b64 s[50:51], s[48:49], s[34:35]
	v_mul_u64_e32 v[34:35], s[0:1], v[32:33]
	v_mul_u64_e32 v[30:31], s[50:51], v[36:37]
	;; [unrolled: 1-line block ×3, first 2 shown]
	s_delay_alu instid0(VALU_DEP_3) | instskip(NEXT) | instid1(VALU_DEP_1)
	v_add_nc_u64_e32 v[34:35], v[40:41], v[34:35]
	v_add_co_u32 v1, vcc_lo, v34, v30
	s_delay_alu instid0(VALU_DEP_2) | instskip(NEXT) | instid1(VALU_DEP_4)
	v_add_co_ci_u32_e32 v40, vcc_lo, v35, v31, vcc_lo
	v_add_co_ci_u32_e32 v39, vcc_lo, 0, v39, vcc_lo
	s_delay_alu instid0(VALU_DEP_1) | instskip(NEXT) | instid1(VALU_DEP_1)
	v_add_nc_u64_e32 v[30:31], v[40:41], v[38:39]
	v_mul_u64_e32 v[34:35], s[42:43], v[30:31]
	s_delay_alu instid0(VALU_DEP_1) | instskip(NEXT) | instid1(VALU_DEP_2)
	v_sub_nc_u32_e32 v1, v36, v35
	v_sub_co_u32 v14, vcc_lo, v32, v34
	s_delay_alu instid0(VALU_DEP_1) | instskip(NEXT) | instid1(VALU_DEP_3)
	v_sub_co_ci_u32_e64 v29, null, v36, v35, vcc_lo
	v_subrev_co_ci_u32_e64 v1, null, s43, v1, vcc_lo
	s_delay_alu instid0(VALU_DEP_3) | instskip(SKIP_1) | instid1(VALU_DEP_3)
	v_sub_co_u32 v25, s0, v14, s42
	v_add_nc_u64_e32 v[34:35], 1, v[30:31]
	v_subrev_co_ci_u32_e64 v1, null, 0, v1, s0
	s_delay_alu instid0(VALU_DEP_3) | instskip(SKIP_1) | instid1(VALU_DEP_3)
	v_cmp_le_u32_e32 vcc_lo, s42, v25
	v_cndmask_b32_e64 v25, 0, -1, vcc_lo
	v_cmp_le_u32_e32 vcc_lo, s43, v1
	v_cndmask_b32_e64 v32, 0, -1, vcc_lo
	;; [unrolled: 2-line block ×4, first 2 shown]
	v_cmp_eq_u32_e32 vcc_lo, s43, v1
	v_cndmask_b32_e32 v1, v32, v25, vcc_lo
	v_cmp_eq_u32_e32 vcc_lo, s43, v29
	v_add_nc_u64_e32 v[32:33], 2, v[30:31]
	v_cndmask_b32_e32 v14, v36, v14, vcc_lo
	s_delay_alu instid0(VALU_DEP_4) | instskip(NEXT) | instid1(VALU_DEP_2)
	v_cmp_ne_u32_e32 vcc_lo, 0, v1
	v_cmp_ne_u32_e64 s0, 0, v14
	s_delay_alu instid0(VALU_DEP_4) | instskip(NEXT) | instid1(VALU_DEP_1)
	v_dual_cndmask_b32 v1, v35, v33 :: v_dual_cndmask_b32 v14, v34, v32
	v_dual_cndmask_b32 v1, v31, v1, s0 :: v_dual_bitop2_b32 v28, s40, v28 bitop3:0x14
	s_delay_alu instid0(VALU_DEP_1) | instskip(NEXT) | instid1(VALU_DEP_2)
	v_dual_cndmask_b32 v14, v30, v14, s0 :: v_dual_mov_b32 v29, v28
	v_xor_b32_e32 v31, v1, v28
	s_delay_alu instid0(VALU_DEP_2) | instskip(NEXT) | instid1(VALU_DEP_1)
	v_xor_b32_e32 v30, v14, v28
	v_sub_nc_u64_e32 v[28:29], v[30:31], v[28:29]
.LBB80_9:                               ;   in Loop: Header=BB80_7 Depth=1
	s_and_not1_saveexec_b32 s0, s31
	s_cbranch_execz .LBB80_6
; %bb.10:                               ;   in Loop: Header=BB80_7 Depth=1
	v_cvt_f32_u32_e32 v1, s38
	s_sub_co_i32 s31, 0, s38
	v_mov_b32_e32 v29, v24
	s_delay_alu instid0(VALU_DEP_2) | instskip(SKIP_1) | instid1(TRANS32_DEP_1)
	v_rcp_iflag_f32_e32 v1, v1
	v_nop
	v_mul_f32_e32 v1, 0x4f7ffffe, v1
	s_delay_alu instid0(VALU_DEP_1) | instskip(NEXT) | instid1(VALU_DEP_1)
	v_cvt_u32_f32_e32 v1, v1
	v_mul_lo_u32 v14, s31, v1
	s_delay_alu instid0(VALU_DEP_1) | instskip(NEXT) | instid1(VALU_DEP_1)
	v_mul_hi_u32 v14, v1, v14
	v_add_nc_u32_e32 v1, v1, v14
	s_delay_alu instid0(VALU_DEP_1) | instskip(NEXT) | instid1(VALU_DEP_1)
	v_mul_hi_u32 v1, v26, v1
	v_mul_lo_u32 v14, v1, s38
	s_delay_alu instid0(VALU_DEP_1) | instskip(NEXT) | instid1(VALU_DEP_1)
	v_dual_add_nc_u32 v25, 1, v1 :: v_dual_sub_nc_u32 v14, v26, v14
	v_subrev_nc_u32_e32 v28, s38, v14
	v_cmp_le_u32_e32 vcc_lo, s38, v14
	s_delay_alu instid0(VALU_DEP_2) | instskip(NEXT) | instid1(VALU_DEP_1)
	v_dual_cndmask_b32 v14, v14, v28 :: v_dual_cndmask_b32 v1, v1, v25
	v_cmp_le_u32_e32 vcc_lo, s38, v14
	s_delay_alu instid0(VALU_DEP_2) | instskip(NEXT) | instid1(VALU_DEP_1)
	v_add_nc_u32_e32 v25, 1, v1
	v_cndmask_b32_e32 v28, v1, v25, vcc_lo
	s_branch .LBB80_6
.LBB80_11:
	s_get_pc_i64 s[0:1]
	s_add_nc_u64 s[0:1], s[0:1], .str.9@rel64+4
	s_mov_b32 s35, -1
	s_cmp_lg_u64 s[0:1], 0
	s_mov_b32 s0, 0
	s_cselect_b32 s27, -1, 0
	s_mov_b32 s48, 0
	s_mov_b32 s1, exec_lo
	v_cmpx_gt_i32_e64 v2, v6
	s_cbranch_execz .LBB80_17
; %bb.12:
	v_lshlrev_b64_e32 v[22:23], 2, v[22:23]
	v_dual_mov_b32 v24, v6 :: v_dual_ashrrev_i32 v25, 31, v6
	v_dual_mov_b32 v28, v2 :: v_dual_ashrrev_i32 v29, 31, v2
	s_mov_b32 s31, 0
	s_xor_b32 s35, s27, -1
	s_delay_alu instid0(VALU_DEP_2) | instskip(SKIP_1) | instid1(VALU_DEP_2)
	v_lshl_add_u64 v[24:25], v[24:25], 2, v[22:23]
	v_add_nc_u64_e32 v[26:27], s[28:29], v[22:23]
                                        ; implicit-def: $sgpr34
                                        ; implicit-def: $sgpr37
                                        ; implicit-def: $sgpr36
	v_add_nc_u64_e32 v[24:25], s[28:29], v[24:25]
	s_delay_alu instid0(VALU_DEP_1) | instskip(NEXT) | instid1(VALU_DEP_3)
	v_add_nc_u64_e32 v[22:23], 4, v[24:25]
	v_lshl_add_u64 v[24:25], v[28:29], 2, v[26:27]
	s_branch .LBB80_14
.LBB80_13:                              ;   in Loop: Header=BB80_14 Depth=1
	s_or_b32 exec_lo, exec_lo, s38
	s_delay_alu instid0(SALU_CYCLE_1) | instskip(NEXT) | instid1(SALU_CYCLE_1)
	s_and_b32 s38, exec_lo, s37
	s_or_b32 s31, s38, s31
	s_and_not1_b32 s34, s34, exec_lo
	s_and_b32 s38, s36, exec_lo
	s_delay_alu instid0(SALU_CYCLE_1)
	s_or_b32 s34, s34, s38
	s_and_not1_b32 exec_lo, exec_lo, s31
	s_cbranch_execz .LBB80_16
.LBB80_14:                              ; =>This Inner Loop Header: Depth=1
	s_or_b32 s36, s36, exec_lo
	s_or_b32 s37, s37, exec_lo
	s_mov_b32 s38, exec_lo
	s_delay_alu instid0(VALU_DEP_2)
	v_cmpx_lt_u64_e64 v[22:23], v[24:25]
	s_cbranch_execz .LBB80_13
; %bb.15:                               ;   in Loop: Header=BB80_14 Depth=1
	global_load_b64 v[26:27], v[22:23], off offset:-4
	s_wait_xcnt 0x0
	v_add_nc_u64_e32 v[22:23], 4, v[22:23]
	s_and_not1_b32 s37, s37, exec_lo
	s_and_not1_b32 s36, s36, exec_lo
	s_wait_loadcnt 0x0
	v_cmp_ge_i32_e32 vcc_lo, v26, v27
	s_or_b32 s39, s35, vcc_lo
	s_delay_alu instid0(SALU_CYCLE_1) | instskip(NEXT) | instid1(SALU_CYCLE_1)
	s_and_b32 s39, s39, exec_lo
	s_or_b32 s37, s37, s39
	s_branch .LBB80_13
.LBB80_16:
	s_or_b32 exec_lo, exec_lo, s31
	s_delay_alu instid0(SALU_CYCLE_1)
	s_mov_b32 s48, exec_lo
	s_or_not1_b32 s35, s34, exec_lo
.LBB80_17:
	s_or_b32 exec_lo, exec_lo, s1
	s_mov_b32 s31, 0
	s_mov_b32 s34, 0
	;; [unrolled: 1-line block ×3, first 2 shown]
	s_and_saveexec_b32 s49, s35
	s_cbranch_execz .LBB80_61
; %bb.18:
	s_mov_b32 s0, -1
	s_mov_b32 s1, 0
	s_mov_b32 s35, 0
	s_mov_b32 s50, exec_lo
	v_cmpx_eq_u32_e64 v11, v10
	s_cbranch_execz .LBB80_60
; %bb.19:
	s_mov_b32 s1, -1
	s_mov_b32 s0, 0
	s_mov_b32 s37, 0
	s_mov_b32 s51, exec_lo
	v_cmpx_eq_u32_e64 v19, v18
	s_cbranch_execz .LBB80_59
; %bb.20:
	v_sub_nc_u32_e32 v1, v3, v7
	s_delay_alu instid0(VALU_DEP_1) | instskip(SKIP_2) | instid1(SALU_CYCLE_1)
	v_cmp_le_i32_e32 vcc_lo, v10, v1
	v_cmp_ge_i32_e64 s0, s16, v1
	s_and_b32 s0, vcc_lo, s0
	s_and_saveexec_b32 s52, s0
	s_cbranch_execz .LBB80_58
; %bb.21:
	v_mov_b64_e32 v[22:23], 0
	s_and_not1_b32 vcc_lo, exec_lo, s17
	s_cbranch_vccnz .LBB80_28
; %bb.22:
	s_wait_loadcnt 0x0
	v_dual_mov_b32 v22, v15 :: v_dual_ashrrev_i32 v23, 31, v15
	s_ashr_i32 s31, s30, 31
	v_mov_b32_e32 v14, 0
	s_lshl_b64 s[0:1], s[30:31], 3
	s_mov_b64 s[34:35], 0xffffffff
	v_mul_u64_e32 v[24:25], s[18:19], v[22:23]
	v_mov_b64_e32 v[22:23], 0
	s_add_nc_u64 s[0:1], s[20:21], s[0:1]
	s_mov_b32 s31, s26
	s_add_nc_u64 s[36:37], s[0:1], 32
	s_mov_b32 s1, 0
	s_branch .LBB80_24
.LBB80_23:                              ;   in Loop: Header=BB80_24 Depth=1
	s_or_b32 exec_lo, exec_lo, s0
	s_delay_alu instid0(VALU_DEP_1)
	v_mul_u64_e32 v[28:29], s[38:39], v[26:27]
	s_load_b64 s[38:39], s[36:37], 0x40
	s_add_co_i32 s31, s31, -1
	s_wait_xcnt 0x0
	s_add_nc_u64 s[36:37], s[36:37], -8
	s_cmp_lg_u32 s31, 0
	s_delay_alu instid0(VALU_DEP_1) | instskip(SKIP_1) | instid1(VALU_DEP_1)
	v_sub_nc_u64_e32 v[24:25], v[24:25], v[28:29]
	s_wait_kmcnt 0x0
	v_mad_nc_u64_u32 v[22:23], v24, s38, v[22:23]
	s_delay_alu instid0(VALU_DEP_1) | instskip(NEXT) | instid1(VALU_DEP_1)
	v_mad_u32 v1, v25, s38, v23
	v_mad_u32 v23, v24, s39, v1
	v_mov_b64_e32 v[24:25], v[26:27]
	s_cbranch_scc0 .LBB80_28
.LBB80_24:                              ; =>This Inner Loop Header: Depth=1
	s_load_b64 s[38:39], s[36:37], 0x0
                                        ; implicit-def: $vgpr26_vgpr27
	s_mov_b32 s0, exec_lo
	s_wait_kmcnt 0x0
	s_delay_alu instid0(VALU_DEP_1) | instskip(NEXT) | instid1(VALU_DEP_1)
	v_or_b32_e32 v15, s39, v25
	v_cmpx_ne_u64_e32 0, v[14:15]
	s_xor_b32 s53, exec_lo, s0
	s_cbranch_execz .LBB80_26
; %bb.25:                               ;   in Loop: Header=BB80_24 Depth=1
	s_ashr_i32 s40, s39, 31
	v_dual_mov_b32 v31, v14 :: v_dual_ashrrev_i32 v26, 31, v25
	s_mov_b32 s41, s40
	v_mov_b32_e32 v39, v14
	s_add_nc_u64 s[42:43], s[38:39], s[40:41]
	s_delay_alu instid0(VALU_DEP_2) | instskip(SKIP_1) | instid1(SALU_CYCLE_1)
	v_mov_b32_e32 v27, v26
	s_xor_b64 s[42:43], s[42:43], s[40:41]
	s_cvt_f32_u32 s0, s42
	s_cvt_f32_u32 s41, s43
	s_sub_nc_u64 s[56:57], 0, s[42:43]
	v_add_nc_u64_e32 v[28:29], v[24:25], v[26:27]
	v_mov_b32_e32 v35, v14
	s_fmamk_f32 s0, s41, 0x4f800000, s0
	s_delay_alu instid0(SALU_CYCLE_3) | instskip(NEXT) | instid1(VALU_DEP_2)
	v_s_rcp_f32 s0, s0
	v_xor_b32_e32 v30, v28, v26
	s_delay_alu instid0(VALU_DEP_3) | instskip(NEXT) | instid1(TRANS32_DEP_1)
	v_xor_b32_e32 v34, v29, v26
	s_mul_f32 s0, s0, 0x5f7ffffc
	s_delay_alu instid0(SALU_CYCLE_3) | instskip(NEXT) | instid1(SALU_CYCLE_3)
	s_mul_f32 s41, s0, 0x2f800000
	s_trunc_f32 s41, s41
	s_delay_alu instid0(SALU_CYCLE_3) | instskip(SKIP_1) | instid1(SALU_CYCLE_2)
	s_fmamk_f32 s0, s41, 0xcf800000, s0
	s_cvt_u32_f32 s55, s41
	s_cvt_u32_f32 s54, s0
	s_delay_alu instid0(SALU_CYCLE_3) | instskip(NEXT) | instid1(SALU_CYCLE_1)
	s_mul_u64 s[58:59], s[56:57], s[54:55]
	s_mul_hi_u32 s61, s54, s59
	s_mul_i32 s60, s54, s59
	s_mul_hi_u32 s0, s54, s58
	s_mul_i32 s62, s55, s58
	s_add_nc_u64 s[60:61], s[0:1], s[60:61]
	s_mul_hi_u32 s41, s55, s58
	s_mul_hi_u32 s63, s55, s59
	s_add_co_u32 s0, s60, s62
	s_add_co_ci_u32 s0, s61, s41
	s_mul_i32 s58, s55, s59
	s_add_co_ci_u32 s59, s63, 0
	s_delay_alu instid0(SALU_CYCLE_1) | instskip(NEXT) | instid1(SALU_CYCLE_1)
	s_add_nc_u64 s[58:59], s[0:1], s[58:59]
	s_add_co_u32 s54, s54, s58
	s_cselect_b32 s0, -1, 0
	s_delay_alu instid0(SALU_CYCLE_1) | instskip(SKIP_1) | instid1(SALU_CYCLE_1)
	s_cmp_lg_u32 s0, 0
	s_add_co_ci_u32 s55, s55, s59
	s_mul_u64 s[56:57], s[56:57], s[54:55]
	s_delay_alu instid0(SALU_CYCLE_1)
	s_mul_hi_u32 s59, s54, s57
	s_mul_i32 s58, s54, s57
	s_mul_hi_u32 s0, s54, s56
	s_mul_i32 s60, s55, s56
	s_add_nc_u64 s[58:59], s[0:1], s[58:59]
	s_mul_hi_u32 s41, s55, s56
	s_mul_hi_u32 s61, s55, s57
	s_add_co_u32 s0, s58, s60
	s_add_co_ci_u32 s0, s59, s41
	s_mul_i32 s56, s55, s57
	s_add_co_ci_u32 s57, s61, 0
	s_delay_alu instid0(SALU_CYCLE_1) | instskip(NEXT) | instid1(SALU_CYCLE_1)
	s_add_nc_u64 s[56:57], s[0:1], s[56:57]
	s_add_co_u32 s54, s54, s56
	s_cselect_b32 s0, -1, 0
	v_mul_hi_u32 v38, v30, s54
	s_cmp_lg_u32 s0, 0
	s_add_co_ci_u32 s0, s55, s57
	s_and_b64 s[56:57], s[54:55], s[34:35]
	v_mul_u64_e32 v[32:33], s[0:1], v[30:31]
	v_mul_u64_e32 v[28:29], s[56:57], v[34:35]
	;; [unrolled: 1-line block ×3, first 2 shown]
	s_delay_alu instid0(VALU_DEP_3) | instskip(NEXT) | instid1(VALU_DEP_1)
	v_add_nc_u64_e32 v[32:33], v[38:39], v[32:33]
	v_add_co_u32 v1, vcc_lo, v32, v28
	s_delay_alu instid0(VALU_DEP_2) | instskip(NEXT) | instid1(VALU_DEP_4)
	v_add_co_ci_u32_e32 v38, vcc_lo, v33, v29, vcc_lo
	v_add_co_ci_u32_e32 v37, vcc_lo, 0, v37, vcc_lo
	s_delay_alu instid0(VALU_DEP_1) | instskip(NEXT) | instid1(VALU_DEP_1)
	v_add_nc_u64_e32 v[28:29], v[38:39], v[36:37]
	v_mul_u64_e32 v[32:33], s[42:43], v[28:29]
	s_delay_alu instid0(VALU_DEP_1) | instskip(NEXT) | instid1(VALU_DEP_2)
	v_sub_nc_u32_e32 v1, v34, v33
	v_sub_co_u32 v2, vcc_lo, v30, v32
	s_delay_alu instid0(VALU_DEP_1) | instskip(NEXT) | instid1(VALU_DEP_3)
	v_sub_co_ci_u32_e64 v11, null, v34, v33, vcc_lo
	v_subrev_co_ci_u32_e64 v1, null, s43, v1, vcc_lo
	s_delay_alu instid0(VALU_DEP_3) | instskip(SKIP_1) | instid1(VALU_DEP_3)
	v_sub_co_u32 v6, s0, v2, s42
	v_add_nc_u64_e32 v[30:31], 2, v[28:29]
	v_subrev_co_ci_u32_e64 v1, null, 0, v1, s0
	s_delay_alu instid0(VALU_DEP_3) | instskip(SKIP_2) | instid1(VALU_DEP_4)
	v_cmp_le_u32_e32 vcc_lo, s42, v6
	v_add_nc_u64_e32 v[32:33], 1, v[28:29]
	v_cndmask_b32_e64 v6, 0, -1, vcc_lo
	v_cmp_le_u32_e32 vcc_lo, s43, v1
	v_cndmask_b32_e64 v15, 0, -1, vcc_lo
	v_cmp_le_u32_e32 vcc_lo, s42, v2
	v_cndmask_b32_e64 v2, 0, -1, vcc_lo
	v_cmp_le_u32_e32 vcc_lo, s43, v11
	v_cndmask_b32_e64 v19, 0, -1, vcc_lo
	v_cmp_eq_u32_e32 vcc_lo, s43, v1
	v_cndmask_b32_e32 v1, v15, v6, vcc_lo
	v_cmp_eq_u32_e32 vcc_lo, s43, v11
	s_delay_alu instid0(VALU_DEP_4) | instskip(NEXT) | instid1(VALU_DEP_3)
	v_cndmask_b32_e32 v2, v19, v2, vcc_lo
	v_cmp_ne_u32_e32 vcc_lo, 0, v1
	s_delay_alu instid0(VALU_DEP_2) | instskip(SKIP_1) | instid1(VALU_DEP_1)
	v_cmp_ne_u32_e64 s0, 0, v2
	v_dual_cndmask_b32 v1, v33, v31 :: v_dual_cndmask_b32 v2, v32, v30
	v_dual_cndmask_b32 v1, v29, v1, s0 :: v_dual_bitop2_b32 v26, s40, v26 bitop3:0x14
	s_delay_alu instid0(VALU_DEP_1) | instskip(NEXT) | instid1(VALU_DEP_2)
	v_dual_cndmask_b32 v2, v28, v2, s0 :: v_dual_mov_b32 v27, v26
	v_xor_b32_e32 v29, v1, v26
	s_delay_alu instid0(VALU_DEP_2) | instskip(NEXT) | instid1(VALU_DEP_1)
	v_xor_b32_e32 v28, v2, v26
	v_sub_nc_u64_e32 v[26:27], v[28:29], v[26:27]
.LBB80_26:                              ;   in Loop: Header=BB80_24 Depth=1
	s_and_not1_saveexec_b32 s0, s53
	s_cbranch_execz .LBB80_23
; %bb.27:                               ;   in Loop: Header=BB80_24 Depth=1
	v_cvt_f32_u32_e32 v1, s38
	s_sub_co_i32 s40, 0, s38
	v_mov_b32_e32 v27, v14
	s_delay_alu instid0(VALU_DEP_2) | instskip(SKIP_1) | instid1(TRANS32_DEP_1)
	v_rcp_iflag_f32_e32 v1, v1
	v_nop
	v_mul_f32_e32 v1, 0x4f7ffffe, v1
	s_delay_alu instid0(VALU_DEP_1) | instskip(NEXT) | instid1(VALU_DEP_1)
	v_cvt_u32_f32_e32 v1, v1
	v_mul_lo_u32 v2, s40, v1
	s_delay_alu instid0(VALU_DEP_1) | instskip(NEXT) | instid1(VALU_DEP_1)
	v_mul_hi_u32 v2, v1, v2
	v_add_nc_u32_e32 v1, v1, v2
	s_delay_alu instid0(VALU_DEP_1) | instskip(NEXT) | instid1(VALU_DEP_1)
	v_mul_hi_u32 v1, v24, v1
	v_mul_lo_u32 v2, v1, s38
	s_delay_alu instid0(VALU_DEP_1) | instskip(NEXT) | instid1(VALU_DEP_1)
	v_dual_add_nc_u32 v6, 1, v1 :: v_dual_sub_nc_u32 v2, v24, v2
	v_subrev_nc_u32_e32 v11, s38, v2
	v_cmp_le_u32_e32 vcc_lo, s38, v2
	s_delay_alu instid0(VALU_DEP_2) | instskip(NEXT) | instid1(VALU_DEP_1)
	v_dual_cndmask_b32 v2, v2, v11 :: v_dual_cndmask_b32 v1, v1, v6
	v_cmp_le_u32_e32 vcc_lo, s38, v2
	s_delay_alu instid0(VALU_DEP_2) | instskip(NEXT) | instid1(VALU_DEP_1)
	v_add_nc_u32_e32 v6, 1, v1
	v_cndmask_b32_e32 v26, v1, v6, vcc_lo
	s_branch .LBB80_23
.LBB80_28:
	s_mov_b32 s36, -1
	s_mov_b32 s0, 0
	s_mov_b32 s53, 0
	s_mov_b32 s1, exec_lo
	v_cmpx_gt_i32_e64 v3, v7
	s_cbranch_execz .LBB80_34
; %bb.29:
	s_wait_loadcnt 0x0
	s_delay_alu instid0(VALU_DEP_2) | instskip(SKIP_3) | instid1(VALU_DEP_1)
	v_lshlrev_b64_e32 v[14:15], 2, v[22:23]
	v_dual_mov_b32 v22, v7 :: v_dual_ashrrev_i32 v23, 31, v7
	s_mov_b32 s31, 0
	s_xor_b32 s35, s27, -1
                                        ; implicit-def: $sgpr34
                                        ; implicit-def: $sgpr37
                                        ; implicit-def: $sgpr36
	v_lshl_add_u64 v[6:7], v[22:23], 2, v[14:15]
	v_add_nc_u64_e32 v[14:15], s[28:29], v[14:15]
	v_dual_mov_b32 v22, v3 :: v_dual_ashrrev_i32 v23, 31, v3
	s_delay_alu instid0(VALU_DEP_3) | instskip(NEXT) | instid1(VALU_DEP_1)
	v_add_nc_u64_e32 v[6:7], s[28:29], v[6:7]
	v_add_nc_u64_e32 v[2:3], 4, v[6:7]
	s_delay_alu instid0(VALU_DEP_3)
	v_lshl_add_u64 v[6:7], v[22:23], 2, v[14:15]
	s_branch .LBB80_31
.LBB80_30:                              ;   in Loop: Header=BB80_31 Depth=1
	s_or_b32 exec_lo, exec_lo, s38
	s_delay_alu instid0(SALU_CYCLE_1) | instskip(NEXT) | instid1(SALU_CYCLE_1)
	s_and_b32 s38, exec_lo, s37
	s_or_b32 s31, s38, s31
	s_and_not1_b32 s34, s34, exec_lo
	s_and_b32 s38, s36, exec_lo
	s_delay_alu instid0(SALU_CYCLE_1)
	s_or_b32 s34, s34, s38
	s_and_not1_b32 exec_lo, exec_lo, s31
	s_cbranch_execz .LBB80_33
.LBB80_31:                              ; =>This Inner Loop Header: Depth=1
	s_or_b32 s36, s36, exec_lo
	s_or_b32 s37, s37, exec_lo
	s_mov_b32 s38, exec_lo
	s_delay_alu instid0(VALU_DEP_2)
	v_cmpx_lt_u64_e64 v[2:3], v[6:7]
	s_cbranch_execz .LBB80_30
; %bb.32:                               ;   in Loop: Header=BB80_31 Depth=1
	global_load_b64 v[14:15], v[2:3], off offset:-4
	s_and_not1_b32 s37, s37, exec_lo
	s_wait_xcnt 0x0
	v_add_nc_u64_e32 v[2:3], 4, v[2:3]
	s_and_not1_b32 s36, s36, exec_lo
	s_wait_loadcnt 0x0
	v_cmp_ge_i32_e32 vcc_lo, v14, v15
	s_or_b32 s39, s35, vcc_lo
	s_delay_alu instid0(SALU_CYCLE_1) | instskip(NEXT) | instid1(SALU_CYCLE_1)
	s_and_b32 s39, s39, exec_lo
	s_or_b32 s37, s37, s39
	s_branch .LBB80_30
.LBB80_33:
	s_or_b32 exec_lo, exec_lo, s31
	s_delay_alu instid0(SALU_CYCLE_1)
	s_mov_b32 s53, exec_lo
	s_or_not1_b32 s36, s34, exec_lo
.LBB80_34:
	s_or_b32 exec_lo, exec_lo, s1
	s_mov_b32 s31, 0
	s_mov_b32 s34, 0
	;; [unrolled: 1-line block ×3, first 2 shown]
	s_and_saveexec_b32 s54, s36
	s_cbranch_execz .LBB80_57
; %bb.35:
	s_mov_b32 s0, -1
	s_mov_b32 s1, 0
	s_mov_b32 s36, 0
	s_mov_b32 s55, exec_lo
	v_cmpx_eq_u32_e64 v12, v10
	s_cbranch_execz .LBB80_56
; %bb.36:
	s_mov_b32 s1, -1
	s_mov_b32 s0, 0
	s_mov_b32 s56, exec_lo
	v_cmpx_eq_u32_e64 v20, v18
	s_cbranch_execz .LBB80_55
; %bb.37:
	v_sub_nc_u32_e32 v1, v4, v8
	s_delay_alu instid0(VALU_DEP_1) | instskip(SKIP_2) | instid1(SALU_CYCLE_1)
	v_cmp_le_i32_e32 vcc_lo, v10, v1
	v_cmp_ge_i32_e64 s0, s16, v1
	s_and_b32 s0, vcc_lo, s0
	s_and_saveexec_b32 s57, s0
	s_cbranch_execz .LBB80_54
; %bb.38:
	v_mov_b64_e32 v[2:3], 0
	s_and_not1_b32 vcc_lo, exec_lo, s17
	s_cbranch_vccnz .LBB80_45
; %bb.39:
	s_wait_loadcnt 0x0
	v_dual_mov_b32 v2, v16 :: v_dual_ashrrev_i32 v3, 31, v16
	s_ashr_i32 s31, s30, 31
	v_mov_b32_e32 v6, 0
	s_lshl_b64 s[0:1], s[30:31], 3
	s_mov_b64 s[34:35], 0xffffffff
	v_mul_u64_e32 v[14:15], s[18:19], v[2:3]
	v_mov_b64_e32 v[2:3], 0
	s_add_nc_u64 s[0:1], s[20:21], s[0:1]
	s_mov_b32 s31, s26
	s_add_nc_u64 s[36:37], s[0:1], 32
	s_mov_b32 s1, 0
	s_branch .LBB80_41
.LBB80_40:                              ;   in Loop: Header=BB80_41 Depth=1
	s_or_b32 exec_lo, exec_lo, s0
	s_delay_alu instid0(VALU_DEP_1)
	v_mul_u64_e32 v[24:25], s[38:39], v[22:23]
	s_load_b64 s[38:39], s[36:37], 0x40
	s_add_co_i32 s31, s31, -1
	s_wait_xcnt 0x0
	s_add_nc_u64 s[36:37], s[36:37], -8
	s_cmp_lg_u32 s31, 0
	s_delay_alu instid0(VALU_DEP_1) | instskip(SKIP_1) | instid1(VALU_DEP_1)
	v_sub_nc_u64_e32 v[14:15], v[14:15], v[24:25]
	s_wait_kmcnt 0x0
	v_mad_nc_u64_u32 v[2:3], v14, s38, v[2:3]
	s_delay_alu instid0(VALU_DEP_1) | instskip(NEXT) | instid1(VALU_DEP_1)
	v_mad_u32 v1, v15, s38, v3
	v_mad_u32 v3, v14, s39, v1
	v_mov_b64_e32 v[14:15], v[22:23]
	s_cbranch_scc0 .LBB80_45
.LBB80_41:                              ; =>This Inner Loop Header: Depth=1
	s_load_b64 s[38:39], s[36:37], 0x0
                                        ; implicit-def: $vgpr22_vgpr23
	s_mov_b32 s0, exec_lo
	s_wait_kmcnt 0x0
	s_delay_alu instid0(VALU_DEP_1) | instskip(NEXT) | instid1(VALU_DEP_1)
	v_or_b32_e32 v7, s39, v15
	v_cmpx_ne_u64_e32 0, v[6:7]
	s_xor_b32 s58, exec_lo, s0
	s_cbranch_execz .LBB80_43
; %bb.42:                               ;   in Loop: Header=BB80_41 Depth=1
	s_ashr_i32 s40, s39, 31
	v_dual_mov_b32 v27, v6 :: v_dual_ashrrev_i32 v22, 31, v15
	s_mov_b32 s41, s40
	v_mov_b32_e32 v35, v6
	s_add_nc_u64 s[42:43], s[38:39], s[40:41]
	s_delay_alu instid0(VALU_DEP_2) | instskip(SKIP_1) | instid1(SALU_CYCLE_1)
	v_mov_b32_e32 v23, v22
	s_xor_b64 s[42:43], s[42:43], s[40:41]
	s_cvt_f32_u32 s0, s42
	s_cvt_f32_u32 s41, s43
	s_sub_nc_u64 s[62:63], 0, s[42:43]
	v_add_nc_u64_e32 v[24:25], v[14:15], v[22:23]
	v_mov_b32_e32 v31, v6
	s_fmamk_f32 s0, s41, 0x4f800000, s0
	s_delay_alu instid0(SALU_CYCLE_3) | instskip(NEXT) | instid1(VALU_DEP_2)
	v_s_rcp_f32 s0, s0
	v_xor_b32_e32 v26, v24, v22
	s_delay_alu instid0(VALU_DEP_3) | instskip(NEXT) | instid1(TRANS32_DEP_1)
	v_xor_b32_e32 v30, v25, v22
	s_mul_f32 s0, s0, 0x5f7ffffc
	s_delay_alu instid0(SALU_CYCLE_3) | instskip(NEXT) | instid1(SALU_CYCLE_3)
	s_mul_f32 s41, s0, 0x2f800000
	s_trunc_f32 s41, s41
	s_delay_alu instid0(SALU_CYCLE_3) | instskip(SKIP_1) | instid1(SALU_CYCLE_2)
	s_fmamk_f32 s0, s41, 0xcf800000, s0
	s_cvt_u32_f32 s61, s41
	s_cvt_u32_f32 s60, s0
	s_delay_alu instid0(SALU_CYCLE_3) | instskip(NEXT) | instid1(SALU_CYCLE_1)
	s_mul_u64 s[64:65], s[62:63], s[60:61]
	s_mul_hi_u32 s67, s60, s65
	s_mul_i32 s66, s60, s65
	s_mul_hi_u32 s0, s60, s64
	s_mul_i32 s59, s61, s64
	s_add_nc_u64 s[66:67], s[0:1], s[66:67]
	s_mul_hi_u32 s41, s61, s64
	s_mul_hi_u32 s68, s61, s65
	s_add_co_u32 s0, s66, s59
	s_add_co_ci_u32 s0, s67, s41
	s_mul_i32 s64, s61, s65
	s_add_co_ci_u32 s65, s68, 0
	s_delay_alu instid0(SALU_CYCLE_1) | instskip(NEXT) | instid1(SALU_CYCLE_1)
	s_add_nc_u64 s[64:65], s[0:1], s[64:65]
	s_add_co_u32 s60, s60, s64
	s_cselect_b32 s0, -1, 0
	s_delay_alu instid0(SALU_CYCLE_1) | instskip(SKIP_1) | instid1(SALU_CYCLE_1)
	s_cmp_lg_u32 s0, 0
	s_add_co_ci_u32 s61, s61, s65
	s_mul_u64 s[62:63], s[62:63], s[60:61]
	s_delay_alu instid0(SALU_CYCLE_1)
	s_mul_hi_u32 s65, s60, s63
	s_mul_i32 s64, s60, s63
	s_mul_hi_u32 s0, s60, s62
	s_mul_i32 s59, s61, s62
	s_add_nc_u64 s[64:65], s[0:1], s[64:65]
	s_mul_hi_u32 s41, s61, s62
	s_mul_hi_u32 s66, s61, s63
	s_add_co_u32 s0, s64, s59
	s_add_co_ci_u32 s0, s65, s41
	s_mul_i32 s62, s61, s63
	s_add_co_ci_u32 s63, s66, 0
	s_delay_alu instid0(SALU_CYCLE_1) | instskip(NEXT) | instid1(SALU_CYCLE_1)
	s_add_nc_u64 s[62:63], s[0:1], s[62:63]
	s_add_co_u32 s60, s60, s62
	s_cselect_b32 s0, -1, 0
	v_mul_hi_u32 v34, v26, s60
	s_cmp_lg_u32 s0, 0
	s_add_co_ci_u32 s0, s61, s63
	s_and_b64 s[62:63], s[60:61], s[34:35]
	v_mul_u64_e32 v[28:29], s[0:1], v[26:27]
	v_mul_u64_e32 v[24:25], s[62:63], v[30:31]
	;; [unrolled: 1-line block ×3, first 2 shown]
	s_delay_alu instid0(VALU_DEP_3) | instskip(NEXT) | instid1(VALU_DEP_1)
	v_add_nc_u64_e32 v[28:29], v[34:35], v[28:29]
	v_add_co_u32 v1, vcc_lo, v28, v24
	s_delay_alu instid0(VALU_DEP_2) | instskip(NEXT) | instid1(VALU_DEP_4)
	v_add_co_ci_u32_e32 v34, vcc_lo, v29, v25, vcc_lo
	v_add_co_ci_u32_e32 v33, vcc_lo, 0, v33, vcc_lo
	s_delay_alu instid0(VALU_DEP_1) | instskip(NEXT) | instid1(VALU_DEP_1)
	v_add_nc_u64_e32 v[24:25], v[34:35], v[32:33]
	v_mul_u64_e32 v[28:29], s[42:43], v[24:25]
	s_delay_alu instid0(VALU_DEP_1) | instskip(NEXT) | instid1(VALU_DEP_2)
	v_sub_nc_u32_e32 v1, v30, v29
	v_sub_co_u32 v7, vcc_lo, v26, v28
	s_delay_alu instid0(VALU_DEP_1) | instskip(NEXT) | instid1(VALU_DEP_3)
	v_sub_co_ci_u32_e64 v12, null, v30, v29, vcc_lo
	v_subrev_co_ci_u32_e64 v1, null, s43, v1, vcc_lo
	s_delay_alu instid0(VALU_DEP_3) | instskip(SKIP_1) | instid1(VALU_DEP_3)
	v_sub_co_u32 v11, s0, v7, s42
	v_add_nc_u64_e32 v[26:27], 2, v[24:25]
	v_subrev_co_ci_u32_e64 v1, null, 0, v1, s0
	s_delay_alu instid0(VALU_DEP_3) | instskip(SKIP_2) | instid1(VALU_DEP_4)
	v_cmp_le_u32_e32 vcc_lo, s42, v11
	v_add_nc_u64_e32 v[28:29], 1, v[24:25]
	v_cndmask_b32_e64 v11, 0, -1, vcc_lo
	v_cmp_le_u32_e32 vcc_lo, s43, v1
	v_cndmask_b32_e64 v16, 0, -1, vcc_lo
	v_cmp_le_u32_e32 vcc_lo, s42, v7
	;; [unrolled: 2-line block ×3, first 2 shown]
	v_cndmask_b32_e64 v19, 0, -1, vcc_lo
	v_cmp_eq_u32_e32 vcc_lo, s43, v1
	v_cndmask_b32_e32 v1, v16, v11, vcc_lo
	v_cmp_eq_u32_e32 vcc_lo, s43, v12
	s_delay_alu instid0(VALU_DEP_4) | instskip(NEXT) | instid1(VALU_DEP_3)
	v_cndmask_b32_e32 v7, v19, v7, vcc_lo
	v_cmp_ne_u32_e32 vcc_lo, 0, v1
	s_delay_alu instid0(VALU_DEP_2) | instskip(SKIP_1) | instid1(VALU_DEP_1)
	v_cmp_ne_u32_e64 s0, 0, v7
	v_dual_cndmask_b32 v1, v29, v27, vcc_lo :: v_dual_cndmask_b32 v7, v28, v26, vcc_lo
	v_dual_cndmask_b32 v1, v25, v1, s0 :: v_dual_bitop2_b32 v22, s40, v22 bitop3:0x14
	s_delay_alu instid0(VALU_DEP_1) | instskip(NEXT) | instid1(VALU_DEP_2)
	v_dual_cndmask_b32 v7, v24, v7, s0 :: v_dual_mov_b32 v23, v22
	v_xor_b32_e32 v25, v1, v22
	s_delay_alu instid0(VALU_DEP_2) | instskip(NEXT) | instid1(VALU_DEP_1)
	v_xor_b32_e32 v24, v7, v22
	v_sub_nc_u64_e32 v[22:23], v[24:25], v[22:23]
.LBB80_43:                              ;   in Loop: Header=BB80_41 Depth=1
	s_and_not1_saveexec_b32 s0, s58
	s_cbranch_execz .LBB80_40
; %bb.44:                               ;   in Loop: Header=BB80_41 Depth=1
	v_cvt_f32_u32_e32 v1, s38
	s_sub_co_i32 s40, 0, s38
	v_mov_b32_e32 v23, v6
	s_delay_alu instid0(VALU_DEP_2) | instskip(SKIP_1) | instid1(TRANS32_DEP_1)
	v_rcp_iflag_f32_e32 v1, v1
	v_nop
	v_mul_f32_e32 v1, 0x4f7ffffe, v1
	s_delay_alu instid0(VALU_DEP_1) | instskip(NEXT) | instid1(VALU_DEP_1)
	v_cvt_u32_f32_e32 v1, v1
	v_mul_lo_u32 v7, s40, v1
	s_delay_alu instid0(VALU_DEP_1) | instskip(NEXT) | instid1(VALU_DEP_1)
	v_mul_hi_u32 v7, v1, v7
	v_add_nc_u32_e32 v1, v1, v7
	s_delay_alu instid0(VALU_DEP_1) | instskip(NEXT) | instid1(VALU_DEP_1)
	v_mul_hi_u32 v1, v14, v1
	v_mul_lo_u32 v7, v1, s38
	s_delay_alu instid0(VALU_DEP_1) | instskip(NEXT) | instid1(VALU_DEP_1)
	v_sub_nc_u32_e32 v7, v14, v7
	v_subrev_nc_u32_e32 v12, s38, v7
	v_cmp_le_u32_e32 vcc_lo, s38, v7
	s_delay_alu instid0(VALU_DEP_2) | instskip(NEXT) | instid1(VALU_DEP_1)
	v_dual_add_nc_u32 v11, 1, v1 :: v_dual_cndmask_b32 v7, v7, v12, vcc_lo
	v_cndmask_b32_e32 v1, v1, v11, vcc_lo
	s_delay_alu instid0(VALU_DEP_2) | instskip(NEXT) | instid1(VALU_DEP_2)
	v_cmp_le_u32_e32 vcc_lo, s38, v7
	v_add_nc_u32_e32 v11, 1, v1
	s_delay_alu instid0(VALU_DEP_1)
	v_cndmask_b32_e32 v22, v1, v11, vcc_lo
	s_branch .LBB80_40
.LBB80_45:
	s_mov_b32 s35, -1
	s_mov_b32 s0, 0
	s_mov_b32 s31, 0
	s_mov_b32 s1, exec_lo
	v_cmpx_gt_i32_e64 v4, v8
	s_cbranch_execz .LBB80_51
; %bb.46:
	s_delay_alu instid0(VALU_DEP_2) | instskip(SKIP_3) | instid1(VALU_DEP_2)
	v_lshlrev_b64_e32 v[2:3], 2, v[2:3]
	v_dual_mov_b32 v6, v8 :: v_dual_ashrrev_i32 v7, 31, v8
	v_dual_mov_b32 v22, v4 :: v_dual_ashrrev_i32 v23, 31, v4
	s_xor_b32 s35, s27, -1
                                        ; implicit-def: $sgpr34
                                        ; implicit-def: $sgpr37
                                        ; implicit-def: $sgpr36
	v_lshl_add_u64 v[6:7], v[6:7], 2, v[2:3]
	s_wait_loadcnt 0x0
	v_add_nc_u64_e32 v[14:15], s[28:29], v[2:3]
	s_delay_alu instid0(VALU_DEP_2) | instskip(NEXT) | instid1(VALU_DEP_1)
	v_add_nc_u64_e32 v[6:7], s[28:29], v[6:7]
	v_add_nc_u64_e32 v[2:3], 4, v[6:7]
	s_delay_alu instid0(VALU_DEP_3)
	v_lshl_add_u64 v[6:7], v[22:23], 2, v[14:15]
	s_branch .LBB80_48
.LBB80_47:                              ;   in Loop: Header=BB80_48 Depth=1
	s_or_b32 exec_lo, exec_lo, s38
	s_delay_alu instid0(SALU_CYCLE_1) | instskip(NEXT) | instid1(SALU_CYCLE_1)
	s_and_b32 s38, exec_lo, s37
	s_or_b32 s31, s38, s31
	s_and_not1_b32 s34, s34, exec_lo
	s_and_b32 s38, s36, exec_lo
	s_delay_alu instid0(SALU_CYCLE_1)
	s_or_b32 s34, s34, s38
	s_and_not1_b32 exec_lo, exec_lo, s31
	s_cbranch_execz .LBB80_50
.LBB80_48:                              ; =>This Inner Loop Header: Depth=1
	s_or_b32 s36, s36, exec_lo
	s_or_b32 s37, s37, exec_lo
	s_mov_b32 s38, exec_lo
	s_delay_alu instid0(VALU_DEP_2)
	v_cmpx_lt_u64_e64 v[2:3], v[6:7]
	s_cbranch_execz .LBB80_47
; %bb.49:                               ;   in Loop: Header=BB80_48 Depth=1
	global_load_b64 v[14:15], v[2:3], off offset:-4
	s_and_not1_b32 s37, s37, exec_lo
	s_wait_xcnt 0x0
	v_add_nc_u64_e32 v[2:3], 4, v[2:3]
	s_and_not1_b32 s36, s36, exec_lo
	s_wait_loadcnt 0x0
	v_cmp_ge_i32_e32 vcc_lo, v14, v15
	s_or_b32 s39, s35, vcc_lo
	s_delay_alu instid0(SALU_CYCLE_1) | instskip(NEXT) | instid1(SALU_CYCLE_1)
	s_and_b32 s39, s39, exec_lo
	s_or_b32 s37, s37, s39
	s_branch .LBB80_47
.LBB80_50:
	s_or_b32 exec_lo, exec_lo, s31
	s_delay_alu instid0(SALU_CYCLE_1)
	s_mov_b32 s31, exec_lo
	s_or_not1_b32 s35, s34, exec_lo
.LBB80_51:
	s_or_b32 exec_lo, exec_lo, s1
	s_mov_b32 s34, 0
	s_and_saveexec_b32 s1, s35
	s_delay_alu instid0(SALU_CYCLE_1)
	s_xor_b32 s1, exec_lo, s1
; %bb.52:
	v_cmp_ne_u32_e32 vcc_lo, v13, v10
	s_mov_b32 s34, exec_lo
	s_and_not1_b32 s31, s31, exec_lo
	s_and_b32 s0, vcc_lo, exec_lo
; %bb.53:
	s_or_b32 exec_lo, exec_lo, s1
	s_delay_alu instid0(SALU_CYCLE_1)
	s_and_b32 s35, s31, exec_lo
	s_xor_b32 s1, exec_lo, -1
	s_and_b32 s31, s34, exec_lo
	s_and_b32 s34, s0, exec_lo
.LBB80_54:
	s_or_b32 exec_lo, exec_lo, s57
	s_delay_alu instid0(SALU_CYCLE_1)
	s_and_b32 s36, s35, exec_lo
	s_and_b32 s35, s1, exec_lo
	s_xor_b32 s1, exec_lo, -1
	s_and_b32 s31, s31, exec_lo
	s_and_b32 s0, s34, exec_lo
.LBB80_55:
	s_or_b32 exec_lo, exec_lo, s56
	s_delay_alu instid0(SALU_CYCLE_1)
	s_and_b32 s36, s36, exec_lo
	s_and_b32 s35, s35, exec_lo
	;; [unrolled: 1-line block ×4, first 2 shown]
	s_or_not1_b32 s0, s0, exec_lo
.LBB80_56:
	s_or_b32 exec_lo, exec_lo, s55
	s_delay_alu instid0(SALU_CYCLE_1)
	s_and_not1_b32 s31, s53, exec_lo
	s_and_b32 s36, s36, exec_lo
	s_and_b32 s35, s35, exec_lo
	s_or_b32 s53, s31, s36
	s_and_b32 s34, s34, exec_lo
	s_and_b32 s31, s1, exec_lo
	;; [unrolled: 1-line block ×3, first 2 shown]
.LBB80_57:
	s_or_b32 exec_lo, exec_lo, s54
	s_delay_alu instid0(SALU_CYCLE_1)
	s_and_b32 s36, s53, exec_lo
	s_or_not1_b32 s1, s35, exec_lo
	s_and_b32 s35, s34, exec_lo
	s_and_b32 s34, s31, exec_lo
	;; [unrolled: 1-line block ×3, first 2 shown]
.LBB80_58:
	s_or_b32 exec_lo, exec_lo, s52
	s_delay_alu instid0(SALU_CYCLE_1)
	s_and_b32 s36, s36, exec_lo
	s_and_b32 s37, s1, exec_lo
	s_or_not1_b32 s1, s35, exec_lo
	s_and_b32 s34, s34, exec_lo
	s_and_b32 s0, s31, exec_lo
.LBB80_59:
	s_or_b32 exec_lo, exec_lo, s51
	s_delay_alu instid0(SALU_CYCLE_1)
	s_and_b32 s36, s36, exec_lo
	s_and_b32 s35, s37, exec_lo
	;; [unrolled: 1-line block ×4, first 2 shown]
	s_or_not1_b32 s0, s0, exec_lo
.LBB80_60:
	s_or_b32 exec_lo, exec_lo, s50
	s_delay_alu instid0(SALU_CYCLE_1)
	s_and_not1_b32 s34, s48, exec_lo
	s_and_b32 s36, s36, exec_lo
	s_and_b32 s0, s0, exec_lo
	s_or_b32 s48, s34, s36
	s_and_b32 s36, s35, exec_lo
	s_and_b32 s34, s31, exec_lo
	;; [unrolled: 1-line block ×3, first 2 shown]
.LBB80_61:
	s_or_b32 exec_lo, exec_lo, s49
	s_delay_alu instid0(SALU_CYCLE_1)
	s_and_b32 s35, s48, exec_lo
	s_or_not1_b32 s1, s36, exec_lo
	s_and_b32 s36, s34, exec_lo
	s_and_b32 s31, s31, exec_lo
	s_and_b32 s34, s0, exec_lo
.LBB80_62:
	s_or_b32 exec_lo, exec_lo, s47
	s_delay_alu instid0(SALU_CYCLE_1)
	s_and_b32 s35, s35, exec_lo
	s_and_b32 s1, s1, exec_lo
	s_or_not1_b32 s0, s36, exec_lo
	s_and_b32 s31, s31, exec_lo
	s_and_b32 s34, s34, exec_lo
.LBB80_63:
	s_or_b32 exec_lo, exec_lo, s46
	s_delay_alu instid0(SALU_CYCLE_1)
	s_and_b32 s38, s35, exec_lo
	s_and_b32 s1, s1, exec_lo
	;; [unrolled: 1-line block ×4, first 2 shown]
	s_or_not1_b32 s34, s34, exec_lo
.LBB80_64:
	s_or_b32 exec_lo, exec_lo, s45
	s_and_saveexec_b32 s35, s34
	s_cbranch_execnz .LBB80_208
.LBB80_65:
	s_or_b32 exec_lo, exec_lo, s35
	s_mov_b32 s34, 0
	s_and_saveexec_b32 s35, s31
	s_delay_alu instid0(SALU_CYCLE_1)
	s_xor_b32 s31, exec_lo, s35
; %bb.66:
	v_cmp_ne_u32_e32 vcc_lo, v21, v18
	s_and_not1_b32 s0, s0, exec_lo
	s_mov_b32 s34, exec_lo
	s_and_b32 s35, vcc_lo, exec_lo
	s_delay_alu instid0(SALU_CYCLE_1)
	s_or_b32 s0, s0, s35
; %bb.67:
	s_or_b32 exec_lo, exec_lo, s31
	s_and_saveexec_b32 s31, s0
	s_cbranch_execnz .LBB80_209
.LBB80_68:
	s_or_b32 exec_lo, exec_lo, s31
	s_mov_b32 s31, 0
	s_and_saveexec_b32 s0, s34
	s_delay_alu instid0(SALU_CYCLE_1)
	s_xor_b32 s34, exec_lo, s0
	s_cbranch_execz .LBB80_95
; %bb.69:
	v_sub_nc_u32_e32 v1, v5, v9
	s_and_not1_b32 s1, s1, exec_lo
	s_mov_b32 s31, exec_lo
	s_delay_alu instid0(VALU_DEP_1) | instskip(SKIP_2) | instid1(SALU_CYCLE_1)
	v_cmp_gt_i32_e32 vcc_lo, v10, v1
	v_cmp_lt_i32_e64 s0, s16, v1
	s_or_b32 s0, vcc_lo, s0
	s_and_b32 s0, s0, exec_lo
	s_delay_alu instid0(SALU_CYCLE_1)
	s_or_b32 s1, s1, s0
	s_or_b32 exec_lo, exec_lo, s34
	s_and_saveexec_b32 s0, s1
	s_cbranch_execz .LBB80_96
.LBB80_70:
	s_or_b32 s3, s3, exec_lo
	s_and_not1_b32 s31, s31, exec_lo
	s_trap 2
	s_or_b32 exec_lo, exec_lo, s0
	s_mov_b32 s0, 0
	s_and_saveexec_b32 s39, s31
	s_cbranch_execnz .LBB80_97
.LBB80_71:
	s_or_b32 exec_lo, exec_lo, s39
	s_and_saveexec_b32 s1, s38
	s_cbranch_execnz .LBB80_125
.LBB80_72:
	s_or_b32 exec_lo, exec_lo, s1
	s_and_saveexec_b32 s1, s0
	s_delay_alu instid0(SALU_CYCLE_1)
	s_xor_b32 s0, exec_lo, s1
	s_cbranch_execz .LBB80_74
.LBB80_73:
	v_mov_b32_e32 v2, 0
	s_add_nc_u64 s[16:17], s[4:5], s[24:25]
	s_delay_alu instid0(VALU_DEP_1)
	v_dual_mov_b32 v3, v2 :: v_dual_mov_b32 v4, v2
	v_mov_b32_e32 v5, v2
	global_store_b128 v0, v[2:5], s[16:17] scale_offset
.LBB80_74:
	s_wait_xcnt 0x0
	s_or_b32 exec_lo, exec_lo, s0
	s_mov_b32 s0, 0
.LBB80_75:
	s_delay_alu instid0(SALU_CYCLE_1)
	s_and_b32 vcc_lo, exec_lo, s0
	s_cbranch_vccz .LBB80_104
; %bb.76:
	v_mov_b64_e32 v[6:7], 0
	v_cmp_gt_i32_e64 s0, s33, v0
	v_dual_mov_b32 v1, 0 :: v_dual_mov_b32 v3, 0
	s_wait_loadcnt 0x0
	v_or_b32_e32 v17, 0x100, v0
	v_dual_mov_b32 v2, 0 :: v_dual_mov_b32 v4, 0
	v_dual_mov_b32 v9, 0 :: v_dual_mov_b32 v11, 0
	;; [unrolled: 1-line block ×8, first 2 shown]
	v_mov_b32_e32 v24, 0
	s_and_saveexec_b32 s1, s0
	s_cbranch_execz .LBB80_84
; %bb.77:
	v_dual_mov_b32 v18, 0 :: v_dual_bitop2_b32 v1, s2, v0 bitop3:0x54
	v_mov_b64_e32 v[6:7], 0
	v_dual_mov_b32 v14, 0 :: v_dual_mov_b32 v16, 0
	s_clause 0x4
	global_load_b32 v21, v1, s[6:7] scale_offset
	global_load_b32 v23, v1, s[8:9] scale_offset
	;; [unrolled: 1-line block ×5, first 2 shown]
	v_dual_mov_b32 v19, 0 :: v_dual_mov_b32 v15, 0
	v_dual_mov_b32 v13, 0 :: v_dual_mov_b32 v8, 0
	;; [unrolled: 1-line block ×5, first 2 shown]
	s_wait_xcnt 0x0
	v_mov_b32_e32 v1, 0
	s_mov_b32 s16, exec_lo
	v_cmpx_gt_u32_e64 s33, v17
	s_cbranch_execz .LBB80_83
; %bb.78:
	v_dual_mov_b32 v13, 0 :: v_dual_add_nc_u32 v12, s2, v0
	v_or_b32_e32 v1, 0x200, v0
	v_mov_b64_e32 v[6:7], 0
	v_dual_mov_b32 v8, 0 :: v_dual_mov_b32 v10, 0
	s_clause 0x4
	global_load_b32 v15, v12, s[6:7] offset:1024 scale_offset
	global_load_b32 v19, v12, s[8:9] offset:1024 scale_offset
	;; [unrolled: 1-line block ×5, first 2 shown]
	v_cmp_gt_u32_e32 vcc_lo, s33, v1
	v_dual_mov_b32 v11, 0 :: v_dual_mov_b32 v9, 0
	v_dual_mov_b32 v4, 0 :: v_dual_mov_b32 v2, 0
	;; [unrolled: 1-line block ×3, first 2 shown]
	s_wait_xcnt 0x0
	s_and_saveexec_b32 s17, vcc_lo
	s_cbranch_execz .LBB80_82
; %bb.79:
	v_lshlrev_b64_e32 v[2:3], 2, v[12:13]
	v_or_b32_e32 v1, 0x300, v0
	v_mov_b64_e32 v[6:7], 0
	s_delay_alu instid0(VALU_DEP_2) | instskip(NEXT) | instid1(VALU_DEP_4)
	v_cmp_gt_u32_e32 vcc_lo, s33, v1
	v_add_nc_u64_e32 v[4:5], s[6:7], v[2:3]
	v_add_nc_u64_e32 v[26:27], s[8:9], v[2:3]
	;; [unrolled: 1-line block ×5, first 2 shown]
	v_dual_mov_b32 v2, 0 :: v_dual_mov_b32 v3, 0
	global_load_b32 v9, v[4:5], off offset:2048
	global_load_b32 v11, v[26:27], off offset:2048
	;; [unrolled: 1-line block ×5, first 2 shown]
	v_mov_b32_e32 v1, 0
	s_wait_xcnt 0x0
	s_and_saveexec_b32 s6, vcc_lo
	s_cbranch_execz .LBB80_81
; %bb.80:
	global_load_b32 v6, v[28:29], off offset:3072
	global_load_b32 v1, v[4:5], off offset:3072
	;; [unrolled: 1-line block ×5, first 2 shown]
	s_wait_loadcnt 0x4
	v_ashrrev_i32_e32 v7, 31, v6
.LBB80_81:
	s_wait_xcnt 0x0
	s_or_b32 exec_lo, exec_lo, s6
	s_wait_loadcnt 0x0
	v_dual_mov_b32 v4, v13 :: v_dual_mov_b32 v13, v12
.LBB80_82:
	s_or_b32 exec_lo, exec_lo, s17
.LBB80_83:
	s_delay_alu instid0(SALU_CYCLE_1)
	s_or_b32 exec_lo, exec_lo, s16
.LBB80_84:
	s_delay_alu instid0(SALU_CYCLE_1)
	s_or_b32 exec_lo, exec_lo, s1
	s_clause 0x3
	s_load_b128 s[8:11], s[20:21], 0x8
	s_load_b32 s28, s[20:21], 0x18
	s_load_b32 s36, s[20:21], 0x0
	s_load_b64 s[6:7], s[20:21], 0xa0
	s_cmp_lg_u64 s[22:23], 0
	s_get_pc_i64 s[12:13]
	s_add_nc_u64 s[12:13], s[12:13], .str.7@rel64+4
	s_get_pc_i64 s[14:15]
	s_add_nc_u64 s[14:15], s[14:15], .str.8@rel64+4
	s_cselect_b32 s37, -1, 0
	s_cmp_lg_u64 s[12:13], 0
	s_mov_b32 s1, -1
	s_cselect_b32 s34, -1, 0
	s_cmp_lg_u64 s[14:15], 0
	s_get_pc_i64 s[14:15]
	s_add_nc_u64 s[14:15], s[14:15], .str.9@rel64+4
	s_cselect_b32 s30, -1, 0
	s_mov_b32 s43, 0
	s_mov_b32 s41, 0
	;; [unrolled: 1-line block ×5, first 2 shown]
	s_wait_kmcnt 0x0
	v_cmp_gt_i64_e64 s9, s[10:11], 0
	s_add_co_i32 s12, s28, -1
	s_delay_alu instid0(SALU_CYCLE_1) | instskip(SKIP_1) | instid1(SALU_CYCLE_1)
	s_cmp_gt_i32 s12, -1
	s_cselect_b32 s13, -1, 0
	s_and_b32 s9, s9, s13
	s_cmp_lg_u64 s[14:15], 0
	s_cselect_b32 s29, -1, 0
	s_and_saveexec_b32 s31, s0
	s_cbranch_execz .LBB80_131
; %bb.85:
	s_wait_loadcnt 0x4
	v_cmp_eq_u32_e32 vcc_lo, s36, v21
	s_mov_b32 s13, -1
	s_mov_b32 s1, 0
	s_mov_b32 s14, 0
	s_mov_b32 s15, 0
	s_and_b32 s17, s37, vcc_lo
	s_mov_b32 s16, 0
	s_and_saveexec_b32 s35, s17
	s_cbranch_execz .LBB80_130
; %bb.86:
	s_wait_loadcnt 0x3
	v_cmp_eq_u32_e32 vcc_lo, s10, v23
	s_and_b32 s16, s34, vcc_lo
	s_delay_alu instid0(SALU_CYCLE_1)
	s_and_saveexec_b32 s38, s16
	s_cbranch_execz .LBB80_129
; %bb.87:
	s_wait_loadcnt 0x1
	v_sub_nc_u32_e32 v5, v20, v22
	s_delay_alu instid0(VALU_DEP_1)
	v_cmp_le_i32_e32 vcc_lo, v21, v5
	v_cmp_ge_i32_e64 s1, s8, v5
	s_and_b32 s14, vcc_lo, s1
	s_mov_b32 s1, 0
	s_and_b32 s15, s30, s14
	s_mov_b32 s14, 0
	s_and_saveexec_b32 s39, s15
	s_cbranch_execz .LBB80_128
; %bb.88:
	v_mov_b64_e32 v[26:27], 0
	s_and_not1_b32 vcc_lo, exec_lo, s9
	s_cbranch_vccnz .LBB80_118
; %bb.89:
	s_wait_loadcnt 0x0
	v_ashrrev_i32_e32 v25, 31, v24
	s_ashr_i32 s13, s12, 31
	v_mov_b64_e32 v[26:27], 0
	s_lshl_b64 s[16:17], s[12:13], 3
	s_mov_b64 s[14:15], 0xffffffff
	v_mul_u64_e32 v[28:29], s[10:11], v[24:25]
	v_mov_b32_e32 v24, 0
	s_add_nc_u64 s[16:17], s[20:21], s[16:17]
	s_mov_b32 s19, 0
	s_add_nc_u64 s[16:17], s[16:17], 32
	s_mov_b32 s13, s28
	s_branch .LBB80_91
.LBB80_90:                              ;   in Loop: Header=BB80_91 Depth=1
	s_or_b32 exec_lo, exec_lo, s1
	s_delay_alu instid0(VALU_DEP_1)
	v_mul_u64_e32 v[32:33], s[22:23], v[30:31]
	s_load_b64 s[22:23], s[16:17], 0x40
	s_add_co_i32 s13, s13, -1
	s_wait_xcnt 0x0
	s_add_nc_u64 s[16:17], s[16:17], -8
	s_cmp_eq_u32 s13, 0
	s_delay_alu instid0(VALU_DEP_1) | instskip(SKIP_1) | instid1(VALU_DEP_1)
	v_sub_nc_u64_e32 v[28:29], v[28:29], v[32:33]
	s_wait_kmcnt 0x0
	v_mad_nc_u64_u32 v[26:27], v28, s22, v[26:27]
	s_delay_alu instid0(VALU_DEP_1) | instskip(NEXT) | instid1(VALU_DEP_1)
	v_mad_u32 v5, v29, s22, v27
	v_mad_u32 v27, v28, s23, v5
	v_mov_b64_e32 v[28:29], v[30:31]
	s_cbranch_scc1 .LBB80_118
.LBB80_91:                              ; =>This Inner Loop Header: Depth=1
	s_load_b64 s[22:23], s[16:17], 0x0
                                        ; implicit-def: $vgpr30_vgpr31
	s_mov_b32 s1, exec_lo
	s_wait_kmcnt 0x0
	s_delay_alu instid0(VALU_DEP_1) | instskip(NEXT) | instid1(VALU_DEP_1)
	v_or_b32_e32 v25, s23, v29
	v_cmpx_ne_u64_e32 0, v[24:25]
	s_xor_b32 s40, exec_lo, s1
	s_cbranch_execz .LBB80_93
; %bb.92:                               ;   in Loop: Header=BB80_91 Depth=1
	s_ashr_i32 s24, s23, 31
	v_dual_mov_b32 v35, v24 :: v_dual_ashrrev_i32 v30, 31, v29
	s_mov_b32 s25, s24
	s_delay_alu instid0(SALU_CYCLE_1) | instskip(NEXT) | instid1(VALU_DEP_1)
	s_add_nc_u64 s[26:27], s[22:23], s[24:25]
	v_mov_b32_e32 v31, v30
	s_xor_b64 s[26:27], s[26:27], s[24:25]
	s_delay_alu instid0(SALU_CYCLE_1)
	s_cvt_f32_u32 s1, s26
	s_cvt_f32_u32 s18, s27
	s_sub_nc_u64 s[46:47], 0, s[26:27]
	v_add_nc_u64_e32 v[32:33], v[28:29], v[30:31]
	v_mov_b32_e32 v39, v24
	s_fmamk_f32 s1, s18, 0x4f800000, s1
	s_delay_alu instid0(SALU_CYCLE_3) | instskip(NEXT) | instid1(VALU_DEP_2)
	v_s_rcp_f32 s1, s1
	v_xor_b32_e32 v34, v32, v30
	s_delay_alu instid0(VALU_DEP_3) | instskip(NEXT) | instid1(TRANS32_DEP_1)
	v_dual_mov_b32 v43, v24 :: v_dual_bitop2_b32 v38, v33, v30 bitop3:0x14
	s_mul_f32 s1, s1, 0x5f7ffffc
	s_delay_alu instid0(SALU_CYCLE_3) | instskip(NEXT) | instid1(SALU_CYCLE_3)
	s_mul_f32 s18, s1, 0x2f800000
	s_trunc_f32 s18, s18
	s_delay_alu instid0(SALU_CYCLE_3) | instskip(SKIP_1) | instid1(SALU_CYCLE_2)
	s_fmamk_f32 s1, s18, 0xcf800000, s1
	s_cvt_u32_f32 s45, s18
	s_cvt_u32_f32 s44, s1
	s_delay_alu instid0(SALU_CYCLE_3) | instskip(NEXT) | instid1(SALU_CYCLE_1)
	s_mul_u64 s[48:49], s[46:47], s[44:45]
	s_mul_hi_u32 s51, s44, s49
	s_mul_i32 s50, s44, s49
	s_mul_hi_u32 s18, s44, s48
	s_mul_i32 s25, s45, s48
	s_add_nc_u64 s[50:51], s[18:19], s[50:51]
	s_mul_hi_u32 s1, s45, s48
	s_mul_hi_u32 s41, s45, s49
	s_add_co_u32 s18, s50, s25
	s_add_co_ci_u32 s18, s51, s1
	s_mul_i32 s48, s45, s49
	s_add_co_ci_u32 s49, s41, 0
	s_delay_alu instid0(SALU_CYCLE_1) | instskip(NEXT) | instid1(SALU_CYCLE_1)
	s_add_nc_u64 s[48:49], s[18:19], s[48:49]
	s_add_co_u32 s44, s44, s48
	s_cselect_b32 s1, -1, 0
	s_delay_alu instid0(SALU_CYCLE_1) | instskip(SKIP_1) | instid1(SALU_CYCLE_1)
	s_cmp_lg_u32 s1, 0
	s_add_co_ci_u32 s45, s45, s49
	s_mul_u64 s[46:47], s[46:47], s[44:45]
	s_delay_alu instid0(SALU_CYCLE_1)
	s_mul_hi_u32 s49, s44, s47
	s_mul_i32 s48, s44, s47
	s_mul_hi_u32 s18, s44, s46
	s_mul_i32 s25, s45, s46
	s_add_nc_u64 s[48:49], s[18:19], s[48:49]
	s_mul_hi_u32 s1, s45, s46
	s_mul_hi_u32 s41, s45, s47
	s_add_co_u32 s18, s48, s25
	s_add_co_ci_u32 s18, s49, s1
	s_mul_i32 s46, s45, s47
	s_add_co_ci_u32 s47, s41, 0
	s_delay_alu instid0(SALU_CYCLE_1) | instskip(NEXT) | instid1(SALU_CYCLE_1)
	s_add_nc_u64 s[46:47], s[18:19], s[46:47]
	s_add_co_u32 s42, s44, s46
	s_cselect_b32 s1, -1, 0
	v_mul_hi_u32 v42, v34, s42
	s_cmp_lg_u32 s1, 0
	s_add_co_ci_u32 s18, s45, s47
	s_and_b64 s[44:45], s[42:43], s[14:15]
	v_mul_u64_e32 v[36:37], s[18:19], v[34:35]
	v_mul_u64_e32 v[32:33], s[44:45], v[38:39]
	;; [unrolled: 1-line block ×3, first 2 shown]
	s_delay_alu instid0(VALU_DEP_3) | instskip(NEXT) | instid1(VALU_DEP_1)
	v_add_nc_u64_e32 v[36:37], v[42:43], v[36:37]
	v_add_co_u32 v5, vcc_lo, v36, v32
	s_delay_alu instid0(VALU_DEP_2) | instskip(NEXT) | instid1(VALU_DEP_4)
	v_add_co_ci_u32_e32 v42, vcc_lo, v37, v33, vcc_lo
	v_add_co_ci_u32_e32 v41, vcc_lo, 0, v41, vcc_lo
	s_delay_alu instid0(VALU_DEP_1) | instskip(NEXT) | instid1(VALU_DEP_1)
	v_add_nc_u64_e32 v[32:33], v[42:43], v[40:41]
	v_mul_u64_e32 v[36:37], s[26:27], v[32:33]
	s_delay_alu instid0(VALU_DEP_1) | instskip(NEXT) | instid1(VALU_DEP_2)
	v_sub_nc_u32_e32 v5, v38, v37
	v_sub_co_u32 v12, vcc_lo, v34, v36
	s_delay_alu instid0(VALU_DEP_1) | instskip(NEXT) | instid1(VALU_DEP_3)
	v_sub_co_ci_u32_e64 v23, null, v38, v37, vcc_lo
	v_subrev_co_ci_u32_e64 v5, null, s27, v5, vcc_lo
	s_delay_alu instid0(VALU_DEP_3) | instskip(SKIP_1) | instid1(VALU_DEP_3)
	v_sub_co_u32 v21, s1, v12, s26
	v_add_nc_u64_e32 v[34:35], 2, v[32:33]
	v_subrev_co_ci_u32_e64 v5, null, 0, v5, s1
	s_delay_alu instid0(VALU_DEP_3) | instskip(SKIP_2) | instid1(VALU_DEP_4)
	v_cmp_le_u32_e32 vcc_lo, s26, v21
	v_add_nc_u64_e32 v[36:37], 1, v[32:33]
	v_cndmask_b32_e64 v21, 0, -1, vcc_lo
	v_cmp_le_u32_e32 vcc_lo, s27, v5
	v_cndmask_b32_e64 v25, 0, -1, vcc_lo
	v_cmp_le_u32_e32 vcc_lo, s26, v12
	;; [unrolled: 2-line block ×3, first 2 shown]
	v_cndmask_b32_e64 v31, 0, -1, vcc_lo
	v_cmp_eq_u32_e32 vcc_lo, s27, v5
	v_cndmask_b32_e32 v5, v25, v21, vcc_lo
	v_cmp_eq_u32_e32 vcc_lo, s27, v23
	s_delay_alu instid0(VALU_DEP_4) | instskip(NEXT) | instid1(VALU_DEP_3)
	v_cndmask_b32_e32 v12, v31, v12, vcc_lo
	v_cmp_ne_u32_e32 vcc_lo, 0, v5
	s_delay_alu instid0(VALU_DEP_2) | instskip(SKIP_1) | instid1(VALU_DEP_1)
	v_cmp_ne_u32_e64 s1, 0, v12
	v_dual_cndmask_b32 v5, v37, v35 :: v_dual_cndmask_b32 v12, v36, v34
	v_dual_cndmask_b32 v5, v33, v5, s1 :: v_dual_bitop2_b32 v30, s24, v30 bitop3:0x14
	s_delay_alu instid0(VALU_DEP_1) | instskip(NEXT) | instid1(VALU_DEP_2)
	v_dual_cndmask_b32 v12, v32, v12, s1 :: v_dual_mov_b32 v31, v30
	v_xor_b32_e32 v33, v5, v30
	s_delay_alu instid0(VALU_DEP_2) | instskip(NEXT) | instid1(VALU_DEP_1)
	v_xor_b32_e32 v32, v12, v30
	v_sub_nc_u64_e32 v[30:31], v[32:33], v[30:31]
.LBB80_93:                              ;   in Loop: Header=BB80_91 Depth=1
	s_and_not1_saveexec_b32 s1, s40
	s_cbranch_execz .LBB80_90
; %bb.94:                               ;   in Loop: Header=BB80_91 Depth=1
	v_cvt_f32_u32_e32 v5, s22
	s_sub_co_i32 s18, 0, s22
	v_mov_b32_e32 v31, v24
	s_delay_alu instid0(VALU_DEP_2) | instskip(SKIP_1) | instid1(TRANS32_DEP_1)
	v_rcp_iflag_f32_e32 v5, v5
	v_nop
	v_mul_f32_e32 v5, 0x4f7ffffe, v5
	s_delay_alu instid0(VALU_DEP_1) | instskip(NEXT) | instid1(VALU_DEP_1)
	v_cvt_u32_f32_e32 v5, v5
	v_mul_lo_u32 v12, s18, v5
	s_delay_alu instid0(VALU_DEP_1) | instskip(NEXT) | instid1(VALU_DEP_1)
	v_mul_hi_u32 v12, v5, v12
	v_add_nc_u32_e32 v5, v5, v12
	s_delay_alu instid0(VALU_DEP_1) | instskip(NEXT) | instid1(VALU_DEP_1)
	v_mul_hi_u32 v5, v28, v5
	v_mul_lo_u32 v12, v5, s22
	s_delay_alu instid0(VALU_DEP_1) | instskip(NEXT) | instid1(VALU_DEP_1)
	v_dual_add_nc_u32 v21, 1, v5 :: v_dual_sub_nc_u32 v12, v28, v12
	v_subrev_nc_u32_e32 v23, s22, v12
	v_cmp_le_u32_e32 vcc_lo, s22, v12
	s_delay_alu instid0(VALU_DEP_2) | instskip(NEXT) | instid1(VALU_DEP_1)
	v_dual_cndmask_b32 v12, v12, v23 :: v_dual_cndmask_b32 v5, v5, v21
	v_cmp_le_u32_e32 vcc_lo, s22, v12
	s_delay_alu instid0(VALU_DEP_2) | instskip(NEXT) | instid1(VALU_DEP_1)
	v_add_nc_u32_e32 v21, 1, v5
	v_cndmask_b32_e32 v30, v5, v21, vcc_lo
	s_branch .LBB80_90
.LBB80_95:
	s_or_b32 exec_lo, exec_lo, s34
	s_and_saveexec_b32 s0, s1
	s_cbranch_execnz .LBB80_70
.LBB80_96:
	s_or_b32 exec_lo, exec_lo, s0
	s_mov_b32 s0, 0
	s_and_saveexec_b32 s39, s31
	s_cbranch_execz .LBB80_71
.LBB80_97:
	v_mov_b64_e32 v[2:3], 0
	s_and_not1_b32 vcc_lo, exec_lo, s17
	s_cbranch_vccnz .LBB80_113
; %bb.98:
	s_wait_loadcnt 0x0
	v_dual_mov_b32 v2, v17 :: v_dual_ashrrev_i32 v3, 31, v17
	s_ashr_i32 s31, s30, 31
	v_mov_b32_e32 v6, 0
	s_lshl_b64 s[0:1], s[30:31], 3
	s_mov_b64 s[16:17], 0xffffffff
	v_mul_u64_e32 v[10:11], s[18:19], v[2:3]
	v_mov_b64_e32 v[2:3], 0
	s_add_nc_u64 s[0:1], s[20:21], s[0:1]
	s_delay_alu instid0(SALU_CYCLE_1)
	s_add_nc_u64 s[18:19], s[0:1], 32
	s_mov_b32 s1, 0
	s_branch .LBB80_100
.LBB80_99:                              ;   in Loop: Header=BB80_100 Depth=1
	s_or_b32 exec_lo, exec_lo, s0
	s_delay_alu instid0(VALU_DEP_1)
	v_mul_u64_e32 v[14:15], s[30:31], v[12:13]
	s_load_b64 s[30:31], s[18:19], 0x40
	s_add_co_i32 s26, s26, -1
	s_wait_xcnt 0x0
	s_add_nc_u64 s[18:19], s[18:19], -8
	s_cmp_lg_u32 s26, 0
	s_delay_alu instid0(VALU_DEP_1) | instskip(SKIP_1) | instid1(VALU_DEP_1)
	v_sub_nc_u64_e32 v[10:11], v[10:11], v[14:15]
	s_wait_kmcnt 0x0
	v_mad_nc_u64_u32 v[2:3], v10, s30, v[2:3]
	s_delay_alu instid0(VALU_DEP_1) | instskip(NEXT) | instid1(VALU_DEP_1)
	v_mad_u32 v1, v11, s30, v3
	v_mad_u32 v3, v10, s31, v1
	v_mov_b64_e32 v[10:11], v[12:13]
	s_cbranch_scc0 .LBB80_113
.LBB80_100:                             ; =>This Inner Loop Header: Depth=1
	s_load_b64 s[30:31], s[18:19], 0x0
                                        ; implicit-def: $vgpr12_vgpr13
	s_mov_b32 s0, exec_lo
	s_wait_kmcnt 0x0
	s_delay_alu instid0(VALU_DEP_1) | instskip(NEXT) | instid1(VALU_DEP_1)
	v_or_b32_e32 v7, s31, v11
	v_cmpx_ne_u64_e32 0, v[6:7]
	s_xor_b32 s40, exec_lo, s0
	s_cbranch_execz .LBB80_102
; %bb.101:                              ;   in Loop: Header=BB80_100 Depth=1
	s_ashr_i32 s34, s31, 31
	v_dual_mov_b32 v17, v6 :: v_dual_ashrrev_i32 v12, 31, v11
	s_mov_b32 s35, s34
	s_delay_alu instid0(SALU_CYCLE_1) | instskip(NEXT) | instid1(VALU_DEP_1)
	s_add_nc_u64 s[36:37], s[30:31], s[34:35]
	v_mov_b32_e32 v13, v12
	s_xor_b64 s[36:37], s[36:37], s[34:35]
	s_delay_alu instid0(SALU_CYCLE_1)
	s_cvt_f32_u32 s0, s36
	s_cvt_f32_u32 s35, s37
	s_sub_nc_u64 s[46:47], 0, s[36:37]
	v_add_nc_u64_e32 v[14:15], v[10:11], v[12:13]
	v_mov_b32_e32 v21, v6
	s_fmamk_f32 s0, s35, 0x4f800000, s0
	s_delay_alu instid0(SALU_CYCLE_3) | instskip(NEXT) | instid1(VALU_DEP_2)
	v_s_rcp_f32 s0, s0
	v_xor_b32_e32 v16, v14, v12
	s_delay_alu instid0(VALU_DEP_3) | instskip(NEXT) | instid1(TRANS32_DEP_1)
	v_dual_mov_b32 v25, v6 :: v_dual_bitop2_b32 v20, v15, v12 bitop3:0x14
	s_mul_f32 s0, s0, 0x5f7ffffc
	s_delay_alu instid0(SALU_CYCLE_3) | instskip(NEXT) | instid1(SALU_CYCLE_3)
	s_mul_f32 s35, s0, 0x2f800000
	s_trunc_f32 s35, s35
	s_delay_alu instid0(SALU_CYCLE_3) | instskip(SKIP_1) | instid1(SALU_CYCLE_2)
	s_fmamk_f32 s0, s35, 0xcf800000, s0
	s_cvt_u32_f32 s43, s35
	s_cvt_u32_f32 s42, s0
	s_delay_alu instid0(SALU_CYCLE_3) | instskip(NEXT) | instid1(SALU_CYCLE_1)
	s_mul_u64 s[48:49], s[46:47], s[42:43]
	s_mul_hi_u32 s51, s42, s49
	s_mul_i32 s50, s42, s49
	s_mul_hi_u32 s0, s42, s48
	s_mul_i32 s41, s43, s48
	s_add_nc_u64 s[50:51], s[0:1], s[50:51]
	s_mul_hi_u32 s35, s43, s48
	s_mul_hi_u32 s45, s43, s49
	s_add_co_u32 s0, s50, s41
	s_add_co_ci_u32 s0, s51, s35
	s_mul_i32 s48, s43, s49
	s_add_co_ci_u32 s49, s45, 0
	s_delay_alu instid0(SALU_CYCLE_1) | instskip(NEXT) | instid1(SALU_CYCLE_1)
	s_add_nc_u64 s[48:49], s[0:1], s[48:49]
	s_add_co_u32 s42, s42, s48
	s_cselect_b32 s0, -1, 0
	s_delay_alu instid0(SALU_CYCLE_1) | instskip(SKIP_1) | instid1(SALU_CYCLE_1)
	s_cmp_lg_u32 s0, 0
	s_add_co_ci_u32 s43, s43, s49
	s_mul_u64 s[46:47], s[46:47], s[42:43]
	s_delay_alu instid0(SALU_CYCLE_1)
	s_mul_hi_u32 s49, s42, s47
	s_mul_i32 s48, s42, s47
	s_mul_hi_u32 s0, s42, s46
	s_mul_i32 s41, s43, s46
	s_add_nc_u64 s[48:49], s[0:1], s[48:49]
	s_mul_hi_u32 s35, s43, s46
	s_mul_hi_u32 s45, s43, s47
	s_add_co_u32 s0, s48, s41
	s_add_co_ci_u32 s0, s49, s35
	s_mul_i32 s46, s43, s47
	s_add_co_ci_u32 s47, s45, 0
	s_delay_alu instid0(SALU_CYCLE_1) | instskip(NEXT) | instid1(SALU_CYCLE_1)
	s_add_nc_u64 s[46:47], s[0:1], s[46:47]
	s_add_co_u32 s42, s42, s46
	s_cselect_b32 s0, -1, 0
	v_mul_hi_u32 v24, v16, s42
	s_cmp_lg_u32 s0, 0
	s_add_co_ci_u32 s0, s43, s47
	s_and_b64 s[46:47], s[42:43], s[16:17]
	v_mul_u64_e32 v[18:19], s[0:1], v[16:17]
	v_mul_u64_e32 v[14:15], s[46:47], v[20:21]
	;; [unrolled: 1-line block ×3, first 2 shown]
	s_delay_alu instid0(VALU_DEP_3) | instskip(NEXT) | instid1(VALU_DEP_1)
	v_add_nc_u64_e32 v[18:19], v[24:25], v[18:19]
	v_add_co_u32 v1, vcc_lo, v18, v14
	s_delay_alu instid0(VALU_DEP_2) | instskip(NEXT) | instid1(VALU_DEP_4)
	v_add_co_ci_u32_e32 v24, vcc_lo, v19, v15, vcc_lo
	v_add_co_ci_u32_e32 v23, vcc_lo, 0, v23, vcc_lo
	s_delay_alu instid0(VALU_DEP_1) | instskip(NEXT) | instid1(VALU_DEP_1)
	v_add_nc_u64_e32 v[14:15], v[24:25], v[22:23]
	v_mul_u64_e32 v[18:19], s[36:37], v[14:15]
	s_delay_alu instid0(VALU_DEP_1) | instskip(NEXT) | instid1(VALU_DEP_2)
	v_sub_nc_u32_e32 v1, v20, v19
	v_sub_co_u32 v4, vcc_lo, v16, v18
	s_delay_alu instid0(VALU_DEP_1) | instskip(NEXT) | instid1(VALU_DEP_3)
	v_sub_co_ci_u32_e64 v8, null, v20, v19, vcc_lo
	v_subrev_co_ci_u32_e64 v1, null, s37, v1, vcc_lo
	s_delay_alu instid0(VALU_DEP_3) | instskip(SKIP_1) | instid1(VALU_DEP_3)
	v_sub_co_u32 v7, s0, v4, s36
	v_add_nc_u64_e32 v[16:17], 2, v[14:15]
	v_subrev_co_ci_u32_e64 v1, null, 0, v1, s0
	s_delay_alu instid0(VALU_DEP_3) | instskip(SKIP_2) | instid1(VALU_DEP_4)
	v_cmp_le_u32_e32 vcc_lo, s36, v7
	v_add_nc_u64_e32 v[18:19], 1, v[14:15]
	v_cndmask_b32_e64 v7, 0, -1, vcc_lo
	v_cmp_le_u32_e32 vcc_lo, s37, v1
	v_cndmask_b32_e64 v13, 0, -1, vcc_lo
	v_cmp_le_u32_e32 vcc_lo, s36, v4
	v_cndmask_b32_e64 v4, 0, -1, vcc_lo
	v_cmp_le_u32_e32 vcc_lo, s37, v8
	v_cndmask_b32_e64 v20, 0, -1, vcc_lo
	v_cmp_eq_u32_e32 vcc_lo, s37, v1
	v_cndmask_b32_e32 v1, v13, v7, vcc_lo
	v_cmp_eq_u32_e32 vcc_lo, s37, v8
	s_delay_alu instid0(VALU_DEP_4) | instskip(NEXT) | instid1(VALU_DEP_3)
	v_cndmask_b32_e32 v4, v20, v4, vcc_lo
	v_cmp_ne_u32_e32 vcc_lo, 0, v1
	s_delay_alu instid0(VALU_DEP_2) | instskip(SKIP_1) | instid1(VALU_DEP_1)
	v_cmp_ne_u32_e64 s0, 0, v4
	v_dual_cndmask_b32 v1, v19, v17 :: v_dual_cndmask_b32 v4, v18, v16
	v_dual_cndmask_b32 v1, v15, v1, s0 :: v_dual_bitop2_b32 v12, s34, v12 bitop3:0x14
	s_delay_alu instid0(VALU_DEP_1) | instskip(NEXT) | instid1(VALU_DEP_2)
	v_dual_cndmask_b32 v4, v14, v4, s0 :: v_dual_mov_b32 v13, v12
	v_xor_b32_e32 v15, v1, v12
	s_delay_alu instid0(VALU_DEP_2) | instskip(NEXT) | instid1(VALU_DEP_1)
	v_xor_b32_e32 v14, v4, v12
	v_sub_nc_u64_e32 v[12:13], v[14:15], v[12:13]
.LBB80_102:                             ;   in Loop: Header=BB80_100 Depth=1
	s_and_not1_saveexec_b32 s0, s40
	s_cbranch_execz .LBB80_99
; %bb.103:                              ;   in Loop: Header=BB80_100 Depth=1
	v_cvt_f32_u32_e32 v1, s30
	s_sub_co_i32 s34, 0, s30
	v_mov_b32_e32 v13, v6
	s_delay_alu instid0(VALU_DEP_2) | instskip(SKIP_1) | instid1(TRANS32_DEP_1)
	v_rcp_iflag_f32_e32 v1, v1
	v_nop
	v_mul_f32_e32 v1, 0x4f7ffffe, v1
	s_delay_alu instid0(VALU_DEP_1) | instskip(NEXT) | instid1(VALU_DEP_1)
	v_cvt_u32_f32_e32 v1, v1
	v_mul_lo_u32 v4, s34, v1
	s_delay_alu instid0(VALU_DEP_1) | instskip(NEXT) | instid1(VALU_DEP_1)
	v_mul_hi_u32 v4, v1, v4
	v_add_nc_u32_e32 v1, v1, v4
	s_delay_alu instid0(VALU_DEP_1) | instskip(NEXT) | instid1(VALU_DEP_1)
	v_mul_hi_u32 v1, v10, v1
	v_mul_lo_u32 v4, v1, s30
	s_delay_alu instid0(VALU_DEP_1) | instskip(NEXT) | instid1(VALU_DEP_1)
	v_sub_nc_u32_e32 v4, v10, v4
	v_subrev_nc_u32_e32 v8, s30, v4
	v_cmp_le_u32_e32 vcc_lo, s30, v4
	s_delay_alu instid0(VALU_DEP_2) | instskip(NEXT) | instid1(VALU_DEP_1)
	v_dual_cndmask_b32 v4, v4, v8 :: v_dual_add_nc_u32 v7, 1, v1
	v_cndmask_b32_e32 v1, v1, v7, vcc_lo
	s_delay_alu instid0(VALU_DEP_2) | instskip(NEXT) | instid1(VALU_DEP_2)
	v_cmp_le_u32_e32 vcc_lo, s30, v4
	v_add_nc_u32_e32 v7, 1, v1
	s_delay_alu instid0(VALU_DEP_1)
	v_cndmask_b32_e32 v12, v1, v7, vcc_lo
	s_branch .LBB80_99
.LBB80_104:
                                        ; implicit-def: $sgpr0
                                        ; implicit-def: $sgpr31
                                        ; implicit-def: $sgpr40
                                        ; implicit-def: $sgpr22
                                        ; implicit-def: $vgpr0
	s_and_saveexec_b32 s1, s3
.LBB80_105:
	; divergent unreachable
.LBB80_106:
	s_delay_alu instid0(SALU_CYCLE_1)
	s_or_b32 exec_lo, exec_lo, s1
	s_and_saveexec_b32 s1, s44
	s_cbranch_execz .LBB80_112
; %bb.107:
	s_and_b32 exec_lo, exec_lo, s0
	s_cbranch_execz .LBB80_112
; %bb.108:
	v_dual_mov_b32 v1, 0 :: v_dual_bitop2_b32 v2, s2, v0 bitop3:0x54
	global_store_b32 v2, v1, s[4:5] scale_offset
	s_wait_xcnt 0x0
	s_and_b32 exec_lo, exec_lo, s31
	s_cbranch_execz .LBB80_112
; %bb.109:
	v_add_nc_u32_e32 v0, s2, v0
	global_store_b32 v0, v1, s[4:5] offset:1024 scale_offset
	s_wait_xcnt 0x0
	s_and_b32 exec_lo, exec_lo, s40
	s_cbranch_execz .LBB80_112
; %bb.110:
	v_lshl_add_u64 v[0:1], v[0:1], 2, s[4:5]
	v_mov_b32_e32 v2, 0
	global_store_b32 v[0:1], v2, off offset:2048
	s_wait_xcnt 0x0
	s_and_b32 exec_lo, exec_lo, s22
	s_cbranch_execz .LBB80_112
; %bb.111:
	global_store_b32 v[0:1], v2, off offset:3072
.LBB80_112:
	s_endpgm
.LBB80_113:
	s_mov_b32 s1, s38
	s_mov_b32 s0, exec_lo
	v_cmpx_gt_i32_e64 v5, v9
	s_cbranch_execz .LBB80_124
; %bb.114:
	s_delay_alu instid0(VALU_DEP_2)
	v_lshlrev_b64_e32 v[2:3], 2, v[2:3]
	v_dual_mov_b32 v6, v9 :: v_dual_ashrrev_i32 v7, 31, v9
	v_dual_mov_b32 v10, v5 :: v_dual_ashrrev_i32 v11, 31, v5
	s_mov_b32 s1, 0
	s_wait_kmcnt 0x0
	s_xor_b32 s17, s27, -1
	s_delay_alu instid0(VALU_DEP_3) | instskip(SKIP_1) | instid1(VALU_DEP_2)
	v_lshl_add_u64 v[6:7], v[6:7], 2, v[2:3]
	v_add_nc_u64_e32 v[8:9], s[28:29], v[2:3]
                                        ; implicit-def: $sgpr16
                                        ; implicit-def: $sgpr19
                                        ; implicit-def: $sgpr18
	v_add_nc_u64_e32 v[6:7], s[28:29], v[6:7]
	s_delay_alu instid0(VALU_DEP_2) | instskip(NEXT) | instid1(VALU_DEP_2)
	v_lshl_add_u64 v[4:5], v[10:11], 2, v[8:9]
	v_add_nc_u64_e32 v[2:3], 4, v[6:7]
	s_branch .LBB80_116
.LBB80_115:                             ;   in Loop: Header=BB80_116 Depth=1
	s_or_b32 exec_lo, exec_lo, s26
	s_xor_b32 s26, s18, -1
	s_and_b32 s27, exec_lo, s19
	s_delay_alu instid0(SALU_CYCLE_1) | instskip(SKIP_2) | instid1(SALU_CYCLE_1)
	s_or_b32 s1, s27, s1
	s_and_not1_b32 s16, s16, exec_lo
	s_and_b32 s26, s26, exec_lo
	s_or_b32 s16, s16, s26
	s_and_not1_b32 exec_lo, exec_lo, s1
	s_cbranch_execz .LBB80_123
.LBB80_116:                             ; =>This Inner Loop Header: Depth=1
	s_or_b32 s18, s18, exec_lo
	s_or_b32 s19, s19, exec_lo
	s_mov_b32 s26, exec_lo
	s_delay_alu instid0(VALU_DEP_1)
	v_cmpx_lt_u64_e64 v[2:3], v[4:5]
	s_cbranch_execz .LBB80_115
; %bb.117:                              ;   in Loop: Header=BB80_116 Depth=1
	global_load_b64 v[6:7], v[2:3], off offset:-4
	s_wait_xcnt 0x0
	v_add_nc_u64_e32 v[2:3], 4, v[2:3]
	s_and_not1_b32 s19, s19, exec_lo
	s_and_not1_b32 s18, s18, exec_lo
	s_wait_loadcnt 0x0
	v_cmp_ge_i32_e32 vcc_lo, v6, v7
	s_or_b32 s27, s17, vcc_lo
	s_delay_alu instid0(SALU_CYCLE_1) | instskip(NEXT) | instid1(SALU_CYCLE_1)
	s_and_b32 s27, s27, exec_lo
	s_or_b32 s19, s19, s27
	s_branch .LBB80_115
.LBB80_118:
	s_mov_b32 s15, -1
	s_mov_b32 s13, 0
	s_mov_b32 s1, exec_lo
	v_cmpx_gt_i32_e64 v20, v22
	s_cbranch_execz .LBB80_127
; %bb.119:
	s_wait_loadcnt 0x0
	s_delay_alu instid0(VALU_DEP_2) | instskip(SKIP_2) | instid1(VALU_DEP_1)
	v_lshlrev_b64_e32 v[24:25], 2, v[26:27]
	v_dual_ashrrev_i32 v23, 31, v22 :: v_dual_ashrrev_i32 v21, 31, v20
	s_xor_b32 s15, s29, -1
                                        ; implicit-def: $sgpr14
                                        ; implicit-def: $sgpr17
                                        ; implicit-def: $sgpr16
	v_lshl_add_u64 v[22:23], v[22:23], 2, v[24:25]
	v_add_nc_u64_e32 v[24:25], s[6:7], v[24:25]
	s_delay_alu instid0(VALU_DEP_2) | instskip(NEXT) | instid1(VALU_DEP_2)
	v_add_nc_u64_e32 v[22:23], s[6:7], v[22:23]
	v_lshl_add_u64 v[20:21], v[20:21], 2, v[24:25]
	s_delay_alu instid0(VALU_DEP_2)
	v_add_nc_u64_e32 v[22:23], 4, v[22:23]
	s_branch .LBB80_121
.LBB80_120:                             ;   in Loop: Header=BB80_121 Depth=1
	s_or_b32 exec_lo, exec_lo, s18
	s_delay_alu instid0(SALU_CYCLE_1) | instskip(NEXT) | instid1(SALU_CYCLE_1)
	s_and_b32 s18, exec_lo, s17
	s_or_b32 s13, s18, s13
	s_and_not1_b32 s14, s14, exec_lo
	s_and_b32 s18, s16, exec_lo
	s_delay_alu instid0(SALU_CYCLE_1)
	s_or_b32 s14, s14, s18
	s_and_not1_b32 exec_lo, exec_lo, s13
	s_cbranch_execz .LBB80_126
.LBB80_121:                             ; =>This Inner Loop Header: Depth=1
	s_or_b32 s16, s16, exec_lo
	s_or_b32 s17, s17, exec_lo
	s_mov_b32 s18, exec_lo
	s_delay_alu instid0(VALU_DEP_1)
	v_cmpx_lt_u64_e64 v[22:23], v[20:21]
	s_cbranch_execz .LBB80_120
; %bb.122:                              ;   in Loop: Header=BB80_121 Depth=1
	global_load_b64 v[24:25], v[22:23], off offset:-4
	s_wait_xcnt 0x0
	v_add_nc_u64_e32 v[22:23], 4, v[22:23]
	s_and_not1_b32 s17, s17, exec_lo
	s_and_not1_b32 s16, s16, exec_lo
	s_wait_loadcnt 0x0
	v_cmp_ge_i32_e32 vcc_lo, v24, v25
	s_or_b32 s19, s15, vcc_lo
	s_delay_alu instid0(SALU_CYCLE_1) | instskip(NEXT) | instid1(SALU_CYCLE_1)
	s_and_b32 s19, s19, exec_lo
	s_or_b32 s17, s17, s19
	s_branch .LBB80_120
.LBB80_123:
	s_or_b32 exec_lo, exec_lo, s1
	s_delay_alu instid0(SALU_CYCLE_1) | instskip(SKIP_1) | instid1(SALU_CYCLE_1)
	s_and_not1_b32 s1, s38, exec_lo
	s_and_b32 s16, s16, exec_lo
	s_or_b32 s1, s1, s16
.LBB80_124:
	s_or_b32 exec_lo, exec_lo, s0
	s_delay_alu instid0(SALU_CYCLE_1)
	s_and_not1_b32 s16, s38, exec_lo
	s_and_b32 s1, s1, exec_lo
	s_mov_b32 s0, exec_lo
	s_or_b32 s38, s16, s1
	s_or_b32 exec_lo, exec_lo, s39
	s_and_saveexec_b32 s1, s38
	s_cbranch_execz .LBB80_72
.LBB80_125:
	s_or_b32 s3, s3, exec_lo
	s_and_not1_b32 s0, s0, exec_lo
	s_trap 2
	s_or_b32 exec_lo, exec_lo, s1
	s_and_saveexec_b32 s1, s0
	s_delay_alu instid0(SALU_CYCLE_1)
	s_xor_b32 s0, exec_lo, s1
	s_cbranch_execnz .LBB80_73
	s_branch .LBB80_74
.LBB80_126:
	s_or_b32 exec_lo, exec_lo, s13
	s_delay_alu instid0(SALU_CYCLE_1)
	s_mov_b32 s13, exec_lo
	s_or_not1_b32 s15, s14, exec_lo
.LBB80_127:
	s_or_b32 exec_lo, exec_lo, s1
	s_delay_alu instid0(SALU_CYCLE_1)
	s_and_b32 s14, s13, exec_lo
	s_xor_b32 s13, exec_lo, -1
	s_and_b32 s1, s15, exec_lo
.LBB80_128:
	s_or_b32 exec_lo, exec_lo, s39
	s_delay_alu instid0(SALU_CYCLE_1)
	s_and_b32 s15, s14, exec_lo
	s_and_b32 s14, s13, exec_lo
	s_xor_b32 s13, exec_lo, -1
	s_and_b32 s1, s1, exec_lo
.LBB80_129:
	s_or_b32 exec_lo, exec_lo, s38
	s_delay_alu instid0(SALU_CYCLE_1)
	s_and_b32 s16, s15, exec_lo
	s_and_b32 s15, s14, exec_lo
	;; [unrolled: 1-line block ×3, first 2 shown]
	s_xor_b32 s13, exec_lo, -1
	s_and_b32 s1, s1, exec_lo
.LBB80_130:
	s_or_b32 exec_lo, exec_lo, s35
	s_delay_alu instid0(SALU_CYCLE_1)
	s_and_b32 s35, s16, exec_lo
	s_and_b32 s38, s15, exec_lo
	;; [unrolled: 1-line block ×4, first 2 shown]
	s_or_not1_b32 s1, s1, exec_lo
.LBB80_131:
	s_or_b32 exec_lo, exec_lo, s31
	s_mov_b32 s44, 0
                                        ; implicit-def: $sgpr31
                                        ; implicit-def: $sgpr40
                                        ; implicit-def: $sgpr22
	s_and_saveexec_b32 s42, s1
	s_cbranch_execz .LBB80_143
; %bb.132:
	v_cmp_gt_i32_e64 s31, s33, v17
	s_mov_b32 s1, -1
	s_mov_b32 s48, 0
	s_mov_b32 s43, s41
	;; [unrolled: 1-line block ×4, first 2 shown]
	s_and_saveexec_b32 s40, s31
	s_cbranch_execz .LBB80_179
; %bb.133:
	s_wait_loadcnt 0x4
	v_cmp_eq_u32_e32 vcc_lo, s36, v15
	s_mov_b32 s13, -1
	s_mov_b32 s1, 0
	s_mov_b32 s15, s39
	;; [unrolled: 1-line block ×3, first 2 shown]
	s_and_b32 s17, s37, vcc_lo
	s_mov_b32 s14, 0
	s_and_saveexec_b32 s43, s17
	s_cbranch_execz .LBB80_178
; %bb.134:
	s_wait_loadcnt 0x3
	v_cmp_eq_u32_e32 vcc_lo, s10, v19
	s_mov_b32 s15, s38
	s_and_b32 s16, s34, vcc_lo
	s_delay_alu instid0(SALU_CYCLE_1)
	s_and_saveexec_b32 s44, s16
	s_cbranch_execz .LBB80_177
; %bb.135:
	s_wait_loadcnt 0x1
	v_sub_nc_u32_e32 v5, v14, v16
	s_delay_alu instid0(VALU_DEP_1)
	v_cmp_le_i32_e32 vcc_lo, v15, v5
	v_cmp_ge_i32_e64 s1, s8, v5
	s_and_b32 s14, vcc_lo, s1
	s_mov_b32 s1, 0
	s_and_b32 s15, s30, s14
	s_mov_b32 s14, 0
	s_and_saveexec_b32 s45, s15
	s_cbranch_execz .LBB80_176
; %bb.136:
	v_mov_b64_e32 v[20:21], 0
	s_and_not1_b32 vcc_lo, exec_lo, s9
	s_cbranch_vccnz .LBB80_169
; %bb.137:
	s_wait_loadcnt 0x0
	v_ashrrev_i32_e32 v19, 31, v18
	s_ashr_i32 s13, s12, 31
	v_mov_b64_e32 v[20:21], 0
	s_lshl_b64 s[16:17], s[12:13], 3
	s_mov_b64 s[14:15], 0xffffffff
	v_mul_u64_e32 v[22:23], s[10:11], v[18:19]
	v_mov_b32_e32 v18, 0
	s_add_nc_u64 s[16:17], s[20:21], s[16:17]
	s_mov_b32 s19, 0
	s_add_nc_u64 s[16:17], s[16:17], 32
	s_mov_b32 s13, s28
	s_branch .LBB80_139
.LBB80_138:                             ;   in Loop: Header=BB80_139 Depth=1
	s_or_b32 exec_lo, exec_lo, s1
	s_delay_alu instid0(VALU_DEP_1)
	v_mul_u64_e32 v[26:27], s[22:23], v[24:25]
	s_load_b64 s[22:23], s[16:17], 0x40
	s_add_co_i32 s13, s13, -1
	s_wait_xcnt 0x0
	s_add_nc_u64 s[16:17], s[16:17], -8
	s_cmp_lg_u32 s13, 0
	s_delay_alu instid0(VALU_DEP_1) | instskip(SKIP_1) | instid1(VALU_DEP_1)
	v_sub_nc_u64_e32 v[22:23], v[22:23], v[26:27]
	s_wait_kmcnt 0x0
	v_mad_nc_u64_u32 v[20:21], v22, s22, v[20:21]
	s_delay_alu instid0(VALU_DEP_1) | instskip(NEXT) | instid1(VALU_DEP_1)
	v_mad_u32 v5, v23, s22, v21
	v_mad_u32 v21, v22, s23, v5
	v_mov_b64_e32 v[22:23], v[24:25]
	s_cbranch_scc0 .LBB80_169
.LBB80_139:                             ; =>This Inner Loop Header: Depth=1
	s_load_b64 s[22:23], s[16:17], 0x0
                                        ; implicit-def: $vgpr24_vgpr25
	s_mov_b32 s1, exec_lo
	s_wait_kmcnt 0x0
	s_delay_alu instid0(VALU_DEP_1) | instskip(NEXT) | instid1(VALU_DEP_1)
	v_or_b32_e32 v19, s23, v23
	v_cmpx_ne_u64_e32 0, v[18:19]
	s_xor_b32 s46, exec_lo, s1
	s_cbranch_execz .LBB80_141
; %bb.140:                              ;   in Loop: Header=BB80_139 Depth=1
	s_ashr_i32 s24, s23, 31
	v_dual_mov_b32 v29, v18 :: v_dual_ashrrev_i32 v24, 31, v23
	s_mov_b32 s25, s24
	s_delay_alu instid0(SALU_CYCLE_1) | instskip(NEXT) | instid1(VALU_DEP_1)
	s_add_nc_u64 s[26:27], s[22:23], s[24:25]
	v_mov_b32_e32 v25, v24
	s_xor_b64 s[26:27], s[26:27], s[24:25]
	s_delay_alu instid0(SALU_CYCLE_1)
	s_cvt_f32_u32 s1, s26
	s_cvt_f32_u32 s18, s27
	s_sub_nc_u64 s[52:53], 0, s[26:27]
	v_add_nc_u64_e32 v[26:27], v[22:23], v[24:25]
	v_mov_b32_e32 v33, v18
	s_fmamk_f32 s1, s18, 0x4f800000, s1
	s_delay_alu instid0(SALU_CYCLE_3) | instskip(NEXT) | instid1(VALU_DEP_2)
	v_s_rcp_f32 s1, s1
	v_xor_b32_e32 v28, v26, v24
	s_delay_alu instid0(VALU_DEP_3) | instskip(NEXT) | instid1(TRANS32_DEP_1)
	v_dual_mov_b32 v37, v18 :: v_dual_bitop2_b32 v32, v27, v24 bitop3:0x14
	s_mul_f32 s1, s1, 0x5f7ffffc
	s_delay_alu instid0(SALU_CYCLE_3) | instskip(NEXT) | instid1(SALU_CYCLE_3)
	s_mul_f32 s18, s1, 0x2f800000
	s_trunc_f32 s18, s18
	s_delay_alu instid0(SALU_CYCLE_3) | instskip(SKIP_1) | instid1(SALU_CYCLE_2)
	s_fmamk_f32 s1, s18, 0xcf800000, s1
	s_cvt_u32_f32 s51, s18
	s_cvt_u32_f32 s50, s1
	s_delay_alu instid0(SALU_CYCLE_3) | instskip(NEXT) | instid1(SALU_CYCLE_1)
	s_mul_u64 s[54:55], s[52:53], s[50:51]
	s_mul_hi_u32 s57, s50, s55
	s_mul_i32 s56, s50, s55
	s_mul_hi_u32 s18, s50, s54
	s_mul_i32 s25, s51, s54
	s_add_nc_u64 s[56:57], s[18:19], s[56:57]
	s_mul_hi_u32 s1, s51, s54
	s_mul_hi_u32 s47, s51, s55
	s_add_co_u32 s18, s56, s25
	s_add_co_ci_u32 s18, s57, s1
	s_mul_i32 s54, s51, s55
	s_add_co_ci_u32 s55, s47, 0
	s_delay_alu instid0(SALU_CYCLE_1) | instskip(NEXT) | instid1(SALU_CYCLE_1)
	s_add_nc_u64 s[54:55], s[18:19], s[54:55]
	s_add_co_u32 s50, s50, s54
	s_cselect_b32 s1, -1, 0
	s_delay_alu instid0(SALU_CYCLE_1) | instskip(SKIP_1) | instid1(SALU_CYCLE_1)
	s_cmp_lg_u32 s1, 0
	s_add_co_ci_u32 s51, s51, s55
	s_mul_u64 s[52:53], s[52:53], s[50:51]
	s_delay_alu instid0(SALU_CYCLE_1)
	s_mul_hi_u32 s55, s50, s53
	s_mul_i32 s54, s50, s53
	s_mul_hi_u32 s18, s50, s52
	s_mul_i32 s25, s51, s52
	s_add_nc_u64 s[54:55], s[18:19], s[54:55]
	s_mul_hi_u32 s1, s51, s52
	s_mul_hi_u32 s47, s51, s53
	s_add_co_u32 s18, s54, s25
	s_add_co_ci_u32 s18, s55, s1
	s_mul_i32 s52, s51, s53
	s_add_co_ci_u32 s53, s47, 0
	s_delay_alu instid0(SALU_CYCLE_1) | instskip(NEXT) | instid1(SALU_CYCLE_1)
	s_add_nc_u64 s[52:53], s[18:19], s[52:53]
	s_add_co_u32 s50, s50, s52
	s_cselect_b32 s1, -1, 0
	v_mul_hi_u32 v36, v28, s50
	s_cmp_lg_u32 s1, 0
	s_add_co_ci_u32 s18, s51, s53
	s_and_b64 s[52:53], s[50:51], s[14:15]
	v_mul_u64_e32 v[30:31], s[18:19], v[28:29]
	v_mul_u64_e32 v[26:27], s[52:53], v[32:33]
	;; [unrolled: 1-line block ×3, first 2 shown]
	s_delay_alu instid0(VALU_DEP_3) | instskip(NEXT) | instid1(VALU_DEP_1)
	v_add_nc_u64_e32 v[30:31], v[36:37], v[30:31]
	v_add_co_u32 v5, vcc_lo, v30, v26
	s_delay_alu instid0(VALU_DEP_2) | instskip(NEXT) | instid1(VALU_DEP_4)
	v_add_co_ci_u32_e32 v36, vcc_lo, v31, v27, vcc_lo
	v_add_co_ci_u32_e32 v35, vcc_lo, 0, v35, vcc_lo
	s_delay_alu instid0(VALU_DEP_1) | instskip(NEXT) | instid1(VALU_DEP_1)
	v_add_nc_u64_e32 v[26:27], v[36:37], v[34:35]
	v_mul_u64_e32 v[30:31], s[26:27], v[26:27]
	s_delay_alu instid0(VALU_DEP_1) | instskip(NEXT) | instid1(VALU_DEP_2)
	v_sub_nc_u32_e32 v5, v32, v31
	v_sub_co_u32 v12, vcc_lo, v28, v30
	s_delay_alu instid0(VALU_DEP_1) | instskip(NEXT) | instid1(VALU_DEP_3)
	v_sub_co_ci_u32_e64 v17, null, v32, v31, vcc_lo
	v_subrev_co_ci_u32_e64 v5, null, s27, v5, vcc_lo
	s_delay_alu instid0(VALU_DEP_3) | instskip(SKIP_1) | instid1(VALU_DEP_3)
	v_sub_co_u32 v15, s1, v12, s26
	v_add_nc_u64_e32 v[28:29], 2, v[26:27]
	v_subrev_co_ci_u32_e64 v5, null, 0, v5, s1
	s_delay_alu instid0(VALU_DEP_3) | instskip(SKIP_2) | instid1(VALU_DEP_4)
	v_cmp_le_u32_e32 vcc_lo, s26, v15
	v_add_nc_u64_e32 v[30:31], 1, v[26:27]
	v_cndmask_b32_e64 v15, 0, -1, vcc_lo
	v_cmp_le_u32_e32 vcc_lo, s27, v5
	v_cndmask_b32_e64 v19, 0, -1, vcc_lo
	v_cmp_le_u32_e32 vcc_lo, s26, v12
	;; [unrolled: 2-line block ×3, first 2 shown]
	v_cndmask_b32_e64 v25, 0, -1, vcc_lo
	v_cmp_eq_u32_e32 vcc_lo, s27, v5
	v_cndmask_b32_e32 v5, v19, v15, vcc_lo
	v_cmp_eq_u32_e32 vcc_lo, s27, v17
	s_delay_alu instid0(VALU_DEP_4) | instskip(NEXT) | instid1(VALU_DEP_3)
	v_cndmask_b32_e32 v12, v25, v12, vcc_lo
	v_cmp_ne_u32_e32 vcc_lo, 0, v5
	s_delay_alu instid0(VALU_DEP_2) | instskip(SKIP_1) | instid1(VALU_DEP_1)
	v_cmp_ne_u32_e64 s1, 0, v12
	v_dual_cndmask_b32 v5, v31, v29 :: v_dual_cndmask_b32 v12, v30, v28
	v_dual_cndmask_b32 v5, v27, v5, s1 :: v_dual_bitop2_b32 v24, s24, v24 bitop3:0x14
	s_delay_alu instid0(VALU_DEP_1) | instskip(NEXT) | instid1(VALU_DEP_2)
	v_dual_cndmask_b32 v12, v26, v12, s1 :: v_dual_mov_b32 v25, v24
	v_xor_b32_e32 v27, v5, v24
	s_delay_alu instid0(VALU_DEP_2) | instskip(NEXT) | instid1(VALU_DEP_1)
	v_xor_b32_e32 v26, v12, v24
	v_sub_nc_u64_e32 v[24:25], v[26:27], v[24:25]
.LBB80_141:                             ;   in Loop: Header=BB80_139 Depth=1
	s_and_not1_saveexec_b32 s1, s46
	s_cbranch_execz .LBB80_138
; %bb.142:                              ;   in Loop: Header=BB80_139 Depth=1
	v_cvt_f32_u32_e32 v5, s22
	s_sub_co_i32 s18, 0, s22
	v_mov_b32_e32 v25, v18
	s_delay_alu instid0(VALU_DEP_2) | instskip(SKIP_1) | instid1(TRANS32_DEP_1)
	v_rcp_iflag_f32_e32 v5, v5
	v_nop
	v_mul_f32_e32 v5, 0x4f7ffffe, v5
	s_delay_alu instid0(VALU_DEP_1) | instskip(NEXT) | instid1(VALU_DEP_1)
	v_cvt_u32_f32_e32 v5, v5
	v_mul_lo_u32 v12, s18, v5
	s_delay_alu instid0(VALU_DEP_1) | instskip(NEXT) | instid1(VALU_DEP_1)
	v_mul_hi_u32 v12, v5, v12
	v_add_nc_u32_e32 v5, v5, v12
	s_delay_alu instid0(VALU_DEP_1) | instskip(NEXT) | instid1(VALU_DEP_1)
	v_mul_hi_u32 v5, v22, v5
	v_mul_lo_u32 v12, v5, s22
	s_delay_alu instid0(VALU_DEP_1) | instskip(NEXT) | instid1(VALU_DEP_1)
	v_dual_add_nc_u32 v15, 1, v5 :: v_dual_sub_nc_u32 v12, v22, v12
	v_subrev_nc_u32_e32 v17, s22, v12
	v_cmp_le_u32_e32 vcc_lo, s22, v12
	s_delay_alu instid0(VALU_DEP_2) | instskip(NEXT) | instid1(VALU_DEP_1)
	v_dual_cndmask_b32 v12, v12, v17 :: v_dual_cndmask_b32 v5, v5, v15
	v_cmp_le_u32_e32 vcc_lo, s22, v12
	s_delay_alu instid0(VALU_DEP_2) | instskip(NEXT) | instid1(VALU_DEP_1)
	v_add_nc_u32_e32 v15, 1, v5
	v_cndmask_b32_e32 v24, v5, v15, vcc_lo
	s_branch .LBB80_138
.LBB80_143:
	s_or_b32 exec_lo, exec_lo, s42
	s_and_saveexec_b32 s1, s41
	s_cbranch_execnz .LBB80_207
.LBB80_144:
	s_or_b32 exec_lo, exec_lo, s1
	s_mov_b32 s1, 0
	s_and_saveexec_b32 s13, s43
	s_delay_alu instid0(SALU_CYCLE_1)
	s_xor_b32 s13, exec_lo, s13
; %bb.145:
	v_cmp_ne_u32_e32 vcc_lo, s10, v3
	s_xor_b32 s14, s34, -1
	s_and_not1_b32 s15, s39, exec_lo
	s_mov_b32 s1, exec_lo
	s_or_b32 s14, s14, vcc_lo
	s_delay_alu instid0(SALU_CYCLE_1) | instskip(NEXT) | instid1(SALU_CYCLE_1)
	s_and_b32 s14, s14, exec_lo
	s_or_b32 s39, s15, s14
; %bb.146:
	s_or_b32 exec_lo, exec_lo, s13
	s_and_saveexec_b32 s13, s39
	s_cbranch_execnz .LBB80_210
.LBB80_147:
	s_or_b32 exec_lo, exec_lo, s13
	s_mov_b32 s13, 0
	s_and_saveexec_b32 s14, s1
	s_delay_alu instid0(SALU_CYCLE_1)
	s_xor_b32 s14, exec_lo, s14
	s_cbranch_execz .LBB80_152
; %bb.148:
	v_sub_nc_u32_e32 v3, v4, v2
	s_mov_b32 s13, exec_lo
	s_delay_alu instid0(VALU_DEP_1) | instskip(SKIP_3) | instid1(SALU_CYCLE_1)
	v_cmp_le_i32_e32 vcc_lo, v1, v3
	v_cmp_ge_i32_e64 s1, s8, v3
	s_and_not1_b32 s8, s38, exec_lo
	s_and_b32 s1, vcc_lo, s1
	s_and_b32 s1, s30, s1
	s_delay_alu instid0(SALU_CYCLE_1) | instskip(NEXT) | instid1(SALU_CYCLE_1)
	s_xor_b32 s1, s1, -1
	s_and_b32 s1, s1, exec_lo
	s_delay_alu instid0(SALU_CYCLE_1)
	s_or_b32 s38, s8, s1
	s_or_b32 exec_lo, exec_lo, s14
	s_and_saveexec_b32 s1, s38
	s_cbranch_execz .LBB80_153
.LBB80_149:
	s_or_b32 s3, s3, exec_lo
	s_and_not1_b32 s13, s13, exec_lo
	s_trap 2
	s_or_b32 exec_lo, exec_lo, s1
	s_and_saveexec_b32 s23, s13
	s_cbranch_execnz .LBB80_154
.LBB80_150:
	s_or_b32 exec_lo, exec_lo, s23
	s_and_saveexec_b32 s1, s35
	s_cbranch_execnz .LBB80_168
.LBB80_151:
	s_or_b32 exec_lo, exec_lo, s1
	s_and_saveexec_b32 s1, s3
	s_cbranch_execnz .LBB80_105
	s_branch .LBB80_106
.LBB80_152:
	s_or_b32 exec_lo, exec_lo, s14
	s_and_saveexec_b32 s1, s38
	s_cbranch_execnz .LBB80_149
.LBB80_153:
	s_or_b32 exec_lo, exec_lo, s1
	s_and_saveexec_b32 s23, s13
	s_cbranch_execz .LBB80_150
.LBB80_154:
	v_mov_b64_e32 v[8:9], 0
	s_and_not1_b32 vcc_lo, exec_lo, s9
	s_cbranch_vccnz .LBB80_161
; %bb.155:
	v_mul_u64_e32 v[10:11], s[10:11], v[6:7]
	s_ashr_i32 s13, s12, 31
	v_mov_b64_e32 v[8:9], 0
	s_lshl_b64 s[10:11], s[12:13], 3
	v_mov_b32_e32 v6, 0
	s_add_nc_u64 s[10:11], s[20:21], s[10:11]
	s_mov_b64 s[8:9], 0xffffffff
	s_add_nc_u64 s[10:11], s[10:11], 32
	s_mov_b32 s13, 0
	s_branch .LBB80_157
.LBB80_156:                             ;   in Loop: Header=BB80_157 Depth=1
	s_or_b32 exec_lo, exec_lo, s1
	s_wait_loadcnt 0x1
	s_delay_alu instid0(VALU_DEP_1)
	v_mul_u64_e32 v[14:15], s[14:15], v[12:13]
	s_load_b64 s[14:15], s[10:11], 0x40
	s_add_co_i32 s28, s28, -1
	s_wait_xcnt 0x0
	s_add_nc_u64 s[10:11], s[10:11], -8
	s_cmp_lg_u32 s28, 0
	s_delay_alu instid0(VALU_DEP_1) | instskip(SKIP_1) | instid1(VALU_DEP_1)
	v_sub_nc_u64_e32 v[10:11], v[10:11], v[14:15]
	s_wait_kmcnt 0x0
	v_mad_nc_u64_u32 v[8:9], v10, s14, v[8:9]
	s_delay_alu instid0(VALU_DEP_1) | instskip(NEXT) | instid1(VALU_DEP_1)
	v_mad_u32 v1, v11, s14, v9
	v_mad_u32 v9, v10, s15, v1
	v_mov_b64_e32 v[10:11], v[12:13]
	s_cbranch_scc0 .LBB80_161
.LBB80_157:                             ; =>This Inner Loop Header: Depth=1
	s_load_b64 s[14:15], s[10:11], 0x0
                                        ; implicit-def: $vgpr12_vgpr13
	s_mov_b32 s1, exec_lo
	s_wait_kmcnt 0x0
	s_delay_alu instid0(VALU_DEP_1) | instskip(NEXT) | instid1(VALU_DEP_1)
	v_or_b32_e32 v7, s15, v11
	v_cmpx_ne_u64_e32 0, v[6:7]
	s_xor_b32 s20, exec_lo, s1
	s_cbranch_execz .LBB80_159
; %bb.158:                              ;   in Loop: Header=BB80_157 Depth=1
	s_ashr_i32 s16, s15, 31
	v_dual_mov_b32 v17, v6 :: v_dual_ashrrev_i32 v12, 31, v11
	s_mov_b32 s17, s16
	s_delay_alu instid0(SALU_CYCLE_1) | instskip(NEXT) | instid1(VALU_DEP_1)
	s_add_nc_u64 s[18:19], s[14:15], s[16:17]
	v_mov_b32_e32 v13, v12
	s_xor_b64 s[18:19], s[18:19], s[16:17]
	s_delay_alu instid0(SALU_CYCLE_1)
	s_cvt_f32_u32 s1, s18
	s_cvt_f32_u32 s12, s19
	s_sub_nc_u64 s[26:27], 0, s[18:19]
	s_wait_loadcnt 0x1
	v_add_nc_u64_e32 v[14:15], v[10:11], v[12:13]
	v_mov_b32_e32 v21, v6
	s_fmamk_f32 s1, s12, 0x4f800000, s1
	s_delay_alu instid0(SALU_CYCLE_3) | instskip(NEXT) | instid1(VALU_DEP_2)
	v_s_rcp_f32 s1, s1
	v_xor_b32_e32 v16, v14, v12
	s_delay_alu instid0(VALU_DEP_3) | instskip(NEXT) | instid1(TRANS32_DEP_1)
	v_dual_mov_b32 v25, v6 :: v_dual_bitop2_b32 v20, v15, v12 bitop3:0x14
	s_mul_f32 s1, s1, 0x5f7ffffc
	s_delay_alu instid0(SALU_CYCLE_3) | instskip(NEXT) | instid1(SALU_CYCLE_3)
	s_mul_f32 s12, s1, 0x2f800000
	s_trunc_f32 s12, s12
	s_delay_alu instid0(SALU_CYCLE_3) | instskip(SKIP_1) | instid1(SALU_CYCLE_2)
	s_fmamk_f32 s1, s12, 0xcf800000, s1
	s_cvt_u32_f32 s25, s12
	s_cvt_u32_f32 s24, s1
	s_delay_alu instid0(SALU_CYCLE_3) | instskip(NEXT) | instid1(SALU_CYCLE_1)
	s_mul_u64 s[36:37], s[26:27], s[24:25]
	s_mul_hi_u32 s39, s24, s37
	s_mul_i32 s38, s24, s37
	s_mul_hi_u32 s12, s24, s36
	s_mul_i32 s17, s25, s36
	s_add_nc_u64 s[38:39], s[12:13], s[38:39]
	s_mul_hi_u32 s1, s25, s36
	s_mul_hi_u32 s21, s25, s37
	s_add_co_u32 s12, s38, s17
	s_add_co_ci_u32 s12, s39, s1
	s_mul_i32 s36, s25, s37
	s_add_co_ci_u32 s37, s21, 0
	s_delay_alu instid0(SALU_CYCLE_1) | instskip(NEXT) | instid1(SALU_CYCLE_1)
	s_add_nc_u64 s[36:37], s[12:13], s[36:37]
	s_add_co_u32 s24, s24, s36
	s_cselect_b32 s1, -1, 0
	s_delay_alu instid0(SALU_CYCLE_1) | instskip(SKIP_1) | instid1(SALU_CYCLE_1)
	s_cmp_lg_u32 s1, 0
	s_add_co_ci_u32 s25, s25, s37
	s_mul_u64 s[26:27], s[26:27], s[24:25]
	s_delay_alu instid0(SALU_CYCLE_1)
	s_mul_hi_u32 s37, s24, s27
	s_mul_i32 s36, s24, s27
	s_mul_hi_u32 s12, s24, s26
	s_mul_i32 s17, s25, s26
	s_add_nc_u64 s[36:37], s[12:13], s[36:37]
	s_mul_hi_u32 s1, s25, s26
	s_mul_hi_u32 s21, s25, s27
	s_add_co_u32 s12, s36, s17
	s_add_co_ci_u32 s12, s37, s1
	s_mul_i32 s26, s25, s27
	s_add_co_ci_u32 s27, s21, 0
	s_delay_alu instid0(SALU_CYCLE_1) | instskip(NEXT) | instid1(SALU_CYCLE_1)
	s_add_nc_u64 s[26:27], s[12:13], s[26:27]
	s_add_co_u32 s24, s24, s26
	s_cselect_b32 s1, -1, 0
	s_wait_loadcnt 0x0
	v_mul_hi_u32 v24, v16, s24
	s_cmp_lg_u32 s1, 0
	s_add_co_ci_u32 s12, s25, s27
	s_and_b64 s[26:27], s[24:25], s[8:9]
	v_mul_u64_e32 v[18:19], s[12:13], v[16:17]
	v_mul_u64_e32 v[14:15], s[26:27], v[20:21]
	;; [unrolled: 1-line block ×3, first 2 shown]
	s_delay_alu instid0(VALU_DEP_3) | instskip(NEXT) | instid1(VALU_DEP_1)
	v_add_nc_u64_e32 v[18:19], v[24:25], v[18:19]
	v_add_co_u32 v1, vcc_lo, v18, v14
	s_delay_alu instid0(VALU_DEP_2) | instskip(NEXT) | instid1(VALU_DEP_4)
	v_add_co_ci_u32_e32 v24, vcc_lo, v19, v15, vcc_lo
	v_add_co_ci_u32_e32 v23, vcc_lo, 0, v23, vcc_lo
	s_delay_alu instid0(VALU_DEP_1) | instskip(NEXT) | instid1(VALU_DEP_1)
	v_add_nc_u64_e32 v[14:15], v[24:25], v[22:23]
	v_mul_u64_e32 v[18:19], s[18:19], v[14:15]
	s_delay_alu instid0(VALU_DEP_1) | instskip(NEXT) | instid1(VALU_DEP_2)
	v_sub_nc_u32_e32 v1, v20, v19
	v_sub_co_u32 v3, vcc_lo, v16, v18
	s_delay_alu instid0(VALU_DEP_1) | instskip(NEXT) | instid1(VALU_DEP_3)
	v_sub_co_ci_u32_e64 v7, null, v20, v19, vcc_lo
	v_subrev_co_ci_u32_e64 v1, null, s19, v1, vcc_lo
	s_delay_alu instid0(VALU_DEP_3) | instskip(SKIP_1) | instid1(VALU_DEP_3)
	v_sub_co_u32 v5, s1, v3, s18
	v_add_nc_u64_e32 v[16:17], 2, v[14:15]
	v_subrev_co_ci_u32_e64 v1, null, 0, v1, s1
	s_delay_alu instid0(VALU_DEP_3) | instskip(SKIP_2) | instid1(VALU_DEP_4)
	v_cmp_le_u32_e32 vcc_lo, s18, v5
	v_add_nc_u64_e32 v[18:19], 1, v[14:15]
	v_cndmask_b32_e64 v5, 0, -1, vcc_lo
	v_cmp_le_u32_e32 vcc_lo, s19, v1
	v_cndmask_b32_e64 v13, 0, -1, vcc_lo
	v_cmp_le_u32_e32 vcc_lo, s18, v3
	;; [unrolled: 2-line block ×3, first 2 shown]
	v_cndmask_b32_e64 v20, 0, -1, vcc_lo
	v_cmp_eq_u32_e32 vcc_lo, s19, v1
	v_cndmask_b32_e32 v1, v13, v5, vcc_lo
	v_cmp_eq_u32_e32 vcc_lo, s19, v7
	s_delay_alu instid0(VALU_DEP_4) | instskip(NEXT) | instid1(VALU_DEP_3)
	v_cndmask_b32_e32 v3, v20, v3, vcc_lo
	v_cmp_ne_u32_e32 vcc_lo, 0, v1
	s_delay_alu instid0(VALU_DEP_2) | instskip(SKIP_1) | instid1(VALU_DEP_1)
	v_cmp_ne_u32_e64 s1, 0, v3
	v_dual_cndmask_b32 v1, v19, v17, vcc_lo :: v_dual_cndmask_b32 v3, v18, v16, vcc_lo
	v_dual_cndmask_b32 v1, v15, v1, s1 :: v_dual_bitop2_b32 v12, s16, v12 bitop3:0x14
	s_delay_alu instid0(VALU_DEP_1) | instskip(NEXT) | instid1(VALU_DEP_2)
	v_dual_cndmask_b32 v3, v14, v3, s1 :: v_dual_mov_b32 v13, v12
	v_xor_b32_e32 v15, v1, v12
	s_delay_alu instid0(VALU_DEP_2) | instskip(NEXT) | instid1(VALU_DEP_1)
	v_xor_b32_e32 v14, v3, v12
	v_sub_nc_u64_e32 v[12:13], v[14:15], v[12:13]
.LBB80_159:                             ;   in Loop: Header=BB80_157 Depth=1
	s_and_not1_saveexec_b32 s1, s20
	s_cbranch_execz .LBB80_156
; %bb.160:                              ;   in Loop: Header=BB80_157 Depth=1
	v_cvt_f32_u32_e32 v1, s14
	s_sub_co_i32 s12, 0, s14
	v_mov_b32_e32 v13, v6
	s_delay_alu instid0(VALU_DEP_2) | instskip(SKIP_1) | instid1(TRANS32_DEP_1)
	v_rcp_iflag_f32_e32 v1, v1
	v_nop
	v_mul_f32_e32 v1, 0x4f7ffffe, v1
	s_delay_alu instid0(VALU_DEP_1) | instskip(NEXT) | instid1(VALU_DEP_1)
	v_cvt_u32_f32_e32 v1, v1
	v_mul_lo_u32 v3, s12, v1
	s_delay_alu instid0(VALU_DEP_1) | instskip(NEXT) | instid1(VALU_DEP_1)
	v_mul_hi_u32 v3, v1, v3
	v_add_nc_u32_e32 v1, v1, v3
	s_delay_alu instid0(VALU_DEP_1) | instskip(NEXT) | instid1(VALU_DEP_1)
	v_mul_hi_u32 v1, v10, v1
	v_mul_lo_u32 v3, v1, s14
	s_delay_alu instid0(VALU_DEP_1) | instskip(NEXT) | instid1(VALU_DEP_1)
	v_sub_nc_u32_e32 v3, v10, v3
	v_subrev_nc_u32_e32 v7, s14, v3
	v_cmp_le_u32_e32 vcc_lo, s14, v3
	s_delay_alu instid0(VALU_DEP_2) | instskip(NEXT) | instid1(VALU_DEP_1)
	v_dual_add_nc_u32 v5, 1, v1 :: v_dual_cndmask_b32 v3, v3, v7, vcc_lo
	v_cndmask_b32_e32 v1, v1, v5, vcc_lo
	s_delay_alu instid0(VALU_DEP_2) | instskip(NEXT) | instid1(VALU_DEP_2)
	v_cmp_le_u32_e32 vcc_lo, s14, v3
	v_add_nc_u32_e32 v5, 1, v1
	s_delay_alu instid0(VALU_DEP_1)
	v_cndmask_b32_e32 v12, v1, v5, vcc_lo
	s_branch .LBB80_156
.LBB80_161:
	s_mov_b32 s8, s35
	s_mov_b32 s1, exec_lo
	v_cmpx_gt_i32_e64 v4, v2
	s_cbranch_execz .LBB80_167
; %bb.162:
	s_delay_alu instid0(VALU_DEP_2) | instskip(SKIP_2) | instid1(VALU_DEP_1)
	v_lshlrev_b64_e32 v[6:7], 2, v[8:9]
	v_dual_ashrrev_i32 v3, 31, v2 :: v_dual_ashrrev_i32 v5, 31, v4
	s_xor_b32 s8, s29, -1
                                        ; implicit-def: $sgpr10
                                        ; implicit-def: $sgpr9
	v_lshl_add_u64 v[2:3], v[2:3], 2, v[6:7]
	v_add_nc_u64_e32 v[6:7], s[6:7], v[6:7]
	s_delay_alu instid0(VALU_DEP_2) | instskip(SKIP_1) | instid1(VALU_DEP_2)
	v_add_nc_u64_e32 v[2:3], s[6:7], v[2:3]
	s_mov_b32 s6, 0
                                        ; implicit-def: $sgpr7
	v_lshl_add_u64 v[4:5], v[4:5], 2, v[6:7]
	s_delay_alu instid0(VALU_DEP_2)
	v_add_nc_u64_e32 v[2:3], 4, v[2:3]
	s_branch .LBB80_164
.LBB80_163:                             ;   in Loop: Header=BB80_164 Depth=1
	s_or_b32 exec_lo, exec_lo, s11
	s_xor_b32 s11, s9, -1
	s_and_b32 s12, exec_lo, s10
	s_delay_alu instid0(SALU_CYCLE_1) | instskip(SKIP_2) | instid1(SALU_CYCLE_1)
	s_or_b32 s6, s12, s6
	s_and_not1_b32 s7, s7, exec_lo
	s_and_b32 s11, s11, exec_lo
	s_or_b32 s7, s7, s11
	s_and_not1_b32 exec_lo, exec_lo, s6
	s_cbranch_execz .LBB80_166
.LBB80_164:                             ; =>This Inner Loop Header: Depth=1
	s_or_b32 s9, s9, exec_lo
	s_or_b32 s10, s10, exec_lo
	s_mov_b32 s11, exec_lo
	s_delay_alu instid0(VALU_DEP_1)
	v_cmpx_lt_u64_e64 v[2:3], v[4:5]
	s_cbranch_execz .LBB80_163
; %bb.165:                              ;   in Loop: Header=BB80_164 Depth=1
	global_load_b64 v[6:7], v[2:3], off offset:-4
	s_wait_xcnt 0x0
	v_add_nc_u64_e32 v[2:3], 4, v[2:3]
	s_and_not1_b32 s10, s10, exec_lo
	s_and_not1_b32 s9, s9, exec_lo
	s_wait_loadcnt 0x0
	v_cmp_ge_i32_e32 vcc_lo, v6, v7
	s_or_b32 s12, s8, vcc_lo
	s_delay_alu instid0(SALU_CYCLE_1) | instskip(NEXT) | instid1(SALU_CYCLE_1)
	s_and_b32 s12, s12, exec_lo
	s_or_b32 s10, s10, s12
	s_branch .LBB80_163
.LBB80_166:
	s_or_b32 exec_lo, exec_lo, s6
	s_delay_alu instid0(SALU_CYCLE_1) | instskip(SKIP_1) | instid1(SALU_CYCLE_1)
	s_and_not1_b32 s6, s35, exec_lo
	s_and_b32 s7, s7, exec_lo
	s_or_b32 s8, s6, s7
.LBB80_167:
	s_or_b32 exec_lo, exec_lo, s1
	s_delay_alu instid0(SALU_CYCLE_1)
	s_and_not1_b32 s1, s35, exec_lo
	s_and_b32 s6, s8, exec_lo
	s_or_b32 s44, s44, exec_lo
	s_or_b32 s35, s1, s6
	s_or_b32 exec_lo, exec_lo, s23
	s_and_saveexec_b32 s1, s35
	s_cbranch_execz .LBB80_151
.LBB80_168:
	s_and_not1_b32 s44, s44, exec_lo
	s_or_b32 s3, s3, exec_lo
	s_trap 2
	s_or_b32 exec_lo, exec_lo, s1
	s_and_saveexec_b32 s1, s3
	s_cbranch_execnz .LBB80_105
	s_branch .LBB80_106
.LBB80_169:
	s_mov_b32 s15, -1
	s_mov_b32 s13, 0
	s_mov_b32 s1, exec_lo
	v_cmpx_gt_i32_e64 v14, v16
	s_cbranch_execz .LBB80_175
; %bb.170:
	s_wait_loadcnt 0x0
	s_delay_alu instid0(VALU_DEP_2) | instskip(SKIP_2) | instid1(VALU_DEP_1)
	v_lshlrev_b64_e32 v[18:19], 2, v[20:21]
	v_dual_ashrrev_i32 v17, 31, v16 :: v_dual_ashrrev_i32 v15, 31, v14
	s_xor_b32 s15, s29, -1
                                        ; implicit-def: $sgpr14
                                        ; implicit-def: $sgpr17
                                        ; implicit-def: $sgpr16
	v_lshl_add_u64 v[16:17], v[16:17], 2, v[18:19]
	v_add_nc_u64_e32 v[18:19], s[6:7], v[18:19]
	s_delay_alu instid0(VALU_DEP_2) | instskip(NEXT) | instid1(VALU_DEP_2)
	v_add_nc_u64_e32 v[16:17], s[6:7], v[16:17]
	v_lshl_add_u64 v[14:15], v[14:15], 2, v[18:19]
	s_delay_alu instid0(VALU_DEP_2)
	v_add_nc_u64_e32 v[16:17], 4, v[16:17]
	s_branch .LBB80_172
.LBB80_171:                             ;   in Loop: Header=BB80_172 Depth=1
	s_or_b32 exec_lo, exec_lo, s18
	s_delay_alu instid0(SALU_CYCLE_1) | instskip(NEXT) | instid1(SALU_CYCLE_1)
	s_and_b32 s18, exec_lo, s17
	s_or_b32 s13, s18, s13
	s_and_not1_b32 s14, s14, exec_lo
	s_and_b32 s18, s16, exec_lo
	s_delay_alu instid0(SALU_CYCLE_1)
	s_or_b32 s14, s14, s18
	s_and_not1_b32 exec_lo, exec_lo, s13
	s_cbranch_execz .LBB80_174
.LBB80_172:                             ; =>This Inner Loop Header: Depth=1
	s_or_b32 s16, s16, exec_lo
	s_or_b32 s17, s17, exec_lo
	s_mov_b32 s18, exec_lo
	s_delay_alu instid0(VALU_DEP_1)
	v_cmpx_lt_u64_e64 v[16:17], v[14:15]
	s_cbranch_execz .LBB80_171
; %bb.173:                              ;   in Loop: Header=BB80_172 Depth=1
	global_load_b64 v[18:19], v[16:17], off offset:-4
	s_wait_xcnt 0x0
	v_add_nc_u64_e32 v[16:17], 4, v[16:17]
	s_and_not1_b32 s17, s17, exec_lo
	s_and_not1_b32 s16, s16, exec_lo
	s_wait_loadcnt 0x0
	v_cmp_ge_i32_e32 vcc_lo, v18, v19
	s_or_b32 s19, s15, vcc_lo
	s_delay_alu instid0(SALU_CYCLE_1) | instskip(NEXT) | instid1(SALU_CYCLE_1)
	s_and_b32 s19, s19, exec_lo
	s_or_b32 s17, s17, s19
	s_branch .LBB80_171
.LBB80_174:
	s_or_b32 exec_lo, exec_lo, s13
	s_delay_alu instid0(SALU_CYCLE_1)
	s_mov_b32 s13, exec_lo
	s_or_not1_b32 s15, s14, exec_lo
.LBB80_175:
	s_or_b32 exec_lo, exec_lo, s1
	s_delay_alu instid0(SALU_CYCLE_1)
	s_and_b32 s14, s13, exec_lo
	s_xor_b32 s13, exec_lo, -1
	s_and_b32 s1, s15, exec_lo
.LBB80_176:
	s_or_b32 exec_lo, exec_lo, s45
	s_delay_alu instid0(SALU_CYCLE_1)
	s_and_not1_b32 s15, s38, exec_lo
	s_and_b32 s13, s13, exec_lo
	s_and_b32 s14, s14, exec_lo
	s_or_b32 s15, s15, s13
	s_xor_b32 s13, exec_lo, -1
	s_and_b32 s1, s1, exec_lo
.LBB80_177:
	s_or_b32 exec_lo, exec_lo, s44
	s_delay_alu instid0(SALU_CYCLE_1)
	s_and_not1_b32 s16, s38, exec_lo
	s_and_b32 s15, s15, exec_lo
	s_and_not1_b32 s17, s39, exec_lo
	s_and_b32 s13, s13, exec_lo
	s_and_b32 s14, s14, exec_lo
	s_or_b32 s16, s16, s15
	s_or_b32 s15, s17, s13
	s_xor_b32 s13, exec_lo, -1
	s_and_b32 s1, s1, exec_lo
.LBB80_178:
	s_or_b32 exec_lo, exec_lo, s43
	s_delay_alu instid0(SALU_CYCLE_1)
	s_and_not1_b32 s17, s38, exec_lo
	s_and_b32 s16, s16, exec_lo
	s_and_b32 s44, s14, exec_lo
	s_or_b32 s45, s17, s16
	s_and_not1_b32 s14, s39, exec_lo
	s_and_b32 s15, s15, exec_lo
	s_and_not1_b32 s16, s41, exec_lo
	s_and_b32 s13, s13, exec_lo
	s_or_b32 s46, s14, s15
	s_or_b32 s43, s16, s13
	s_or_not1_b32 s1, s1, exec_lo
.LBB80_179:
	s_or_b32 exec_lo, exec_lo, s40
	s_mov_b32 s15, 0
                                        ; implicit-def: $sgpr40
                                        ; implicit-def: $sgpr22
	s_and_saveexec_b32 s47, s1
	s_cbranch_execz .LBB80_206
; %bb.180:
	v_or_b32_e32 v5, 0x200, v0
	s_mov_b32 s17, -1
	s_mov_b32 s48, 0
	s_mov_b32 s1, s43
	;; [unrolled: 1-line block ×3, first 2 shown]
	v_cmp_gt_i32_e64 s40, s33, v5
	s_mov_b32 s13, s45
	s_and_saveexec_b32 s49, s40
	s_cbranch_execz .LBB80_201
; %bb.181:
	v_cmp_eq_u32_e32 vcc_lo, s36, v9
	s_mov_b32 s1, -1
	s_mov_b32 s16, 0
	s_mov_b32 s17, s46
	;; [unrolled: 1-line block ×3, first 2 shown]
	s_and_b32 s14, s37, vcc_lo
	s_mov_b32 s13, 0
	s_and_saveexec_b32 s50, s14
	s_cbranch_execz .LBB80_200
; %bb.182:
	v_cmp_eq_u32_e32 vcc_lo, s10, v11
	s_mov_b32 s14, 0
	s_mov_b32 s15, s45
	s_and_b32 s13, s34, vcc_lo
	s_delay_alu instid0(SALU_CYCLE_1)
	s_and_saveexec_b32 s51, s13
	s_cbranch_execz .LBB80_199
; %bb.183:
	v_sub_nc_u32_e32 v5, v8, v10
	s_mov_b32 s14, -1
	s_mov_b32 s13, 0
	s_delay_alu instid0(VALU_DEP_1) | instskip(SKIP_2) | instid1(SALU_CYCLE_1)
	v_cmp_le_i32_e32 vcc_lo, v9, v5
	v_cmp_ge_i32_e64 s1, s8, v5
	s_and_b32 s1, vcc_lo, s1
	s_and_b32 s15, s30, s1
	s_mov_b32 s1, 0
	s_and_saveexec_b32 s52, s15
	s_cbranch_execz .LBB80_198
; %bb.184:
	s_wait_loadcnt 0x1
	v_mov_b64_e32 v[14:15], 0
	s_and_not1_b32 vcc_lo, exec_lo, s9
	s_cbranch_vccnz .LBB80_191
; %bb.185:
	v_dual_mov_b32 v14, v13 :: v_dual_ashrrev_i32 v15, 31, v13
	s_ashr_i32 s13, s12, 31
	v_mov_b32_e32 v12, 0
	s_lshl_b64 s[16:17], s[12:13], 3
	s_mov_b64 s[14:15], 0xffffffff
	v_mul_u64_e32 v[16:17], s[10:11], v[14:15]
	v_mov_b64_e32 v[14:15], 0
	s_add_nc_u64 s[16:17], s[20:21], s[16:17]
	s_mov_b32 s19, 0
	s_add_nc_u64 s[16:17], s[16:17], 32
	s_mov_b32 s13, s28
	s_branch .LBB80_187
.LBB80_186:                             ;   in Loop: Header=BB80_187 Depth=1
	s_or_b32 exec_lo, exec_lo, s1
	s_wait_loadcnt 0x0
	s_delay_alu instid0(VALU_DEP_1)
	v_mul_u64_e32 v[20:21], s[22:23], v[18:19]
	s_load_b64 s[22:23], s[16:17], 0x40
	s_add_co_i32 s13, s13, -1
	s_wait_xcnt 0x0
	s_add_nc_u64 s[16:17], s[16:17], -8
	s_cmp_lg_u32 s13, 0
	s_delay_alu instid0(VALU_DEP_1) | instskip(SKIP_1) | instid1(VALU_DEP_1)
	v_sub_nc_u64_e32 v[16:17], v[16:17], v[20:21]
	s_wait_kmcnt 0x0
	v_mad_nc_u64_u32 v[14:15], v16, s22, v[14:15]
	s_delay_alu instid0(VALU_DEP_1) | instskip(NEXT) | instid1(VALU_DEP_1)
	v_mad_u32 v5, v17, s22, v15
	v_mad_u32 v15, v16, s23, v5
	v_mov_b64_e32 v[16:17], v[18:19]
	s_cbranch_scc0 .LBB80_191
.LBB80_187:                             ; =>This Inner Loop Header: Depth=1
	s_load_b64 s[22:23], s[16:17], 0x0
                                        ; implicit-def: $vgpr18_vgpr19
	s_mov_b32 s1, exec_lo
	s_wait_kmcnt 0x0
	s_delay_alu instid0(VALU_DEP_1) | instskip(NEXT) | instid1(VALU_DEP_1)
	v_or_b32_e32 v13, s23, v17
	v_cmpx_ne_u64_e32 0, v[12:13]
	s_xor_b32 s53, exec_lo, s1
	s_cbranch_execz .LBB80_189
; %bb.188:                              ;   in Loop: Header=BB80_187 Depth=1
	s_ashr_i32 s24, s23, 31
	s_wait_loadcnt 0x0
	v_dual_mov_b32 v23, v12 :: v_dual_ashrrev_i32 v18, 31, v17
	s_mov_b32 s25, s24
	s_delay_alu instid0(SALU_CYCLE_1) | instskip(NEXT) | instid1(VALU_DEP_1)
	s_add_nc_u64 s[26:27], s[22:23], s[24:25]
	v_mov_b32_e32 v19, v18
	s_xor_b64 s[26:27], s[26:27], s[24:25]
	s_delay_alu instid0(SALU_CYCLE_1)
	s_cvt_f32_u32 s1, s26
	s_cvt_f32_u32 s18, s27
	s_sub_nc_u64 s[56:57], 0, s[26:27]
	v_add_nc_u64_e32 v[20:21], v[16:17], v[18:19]
	v_mov_b32_e32 v27, v12
	s_fmamk_f32 s1, s18, 0x4f800000, s1
	s_delay_alu instid0(SALU_CYCLE_3) | instskip(NEXT) | instid1(VALU_DEP_2)
	v_s_rcp_f32 s1, s1
	v_xor_b32_e32 v22, v20, v18
	s_delay_alu instid0(VALU_DEP_3) | instskip(NEXT) | instid1(TRANS32_DEP_1)
	v_dual_mov_b32 v31, v12 :: v_dual_bitop2_b32 v26, v21, v18 bitop3:0x14
	s_mul_f32 s1, s1, 0x5f7ffffc
	s_delay_alu instid0(SALU_CYCLE_3) | instskip(NEXT) | instid1(SALU_CYCLE_3)
	s_mul_f32 s18, s1, 0x2f800000
	s_trunc_f32 s18, s18
	s_delay_alu instid0(SALU_CYCLE_3) | instskip(SKIP_1) | instid1(SALU_CYCLE_2)
	s_fmamk_f32 s1, s18, 0xcf800000, s1
	s_cvt_u32_f32 s55, s18
	s_cvt_u32_f32 s54, s1
	s_delay_alu instid0(SALU_CYCLE_3) | instskip(NEXT) | instid1(SALU_CYCLE_1)
	s_mul_u64 s[58:59], s[56:57], s[54:55]
	s_mul_hi_u32 s61, s54, s59
	s_mul_i32 s60, s54, s59
	s_mul_hi_u32 s18, s54, s58
	s_mul_i32 s25, s55, s58
	s_add_nc_u64 s[60:61], s[18:19], s[60:61]
	s_mul_hi_u32 s1, s55, s58
	s_mul_hi_u32 s62, s55, s59
	s_add_co_u32 s18, s60, s25
	s_add_co_ci_u32 s18, s61, s1
	s_mul_i32 s58, s55, s59
	s_add_co_ci_u32 s59, s62, 0
	s_delay_alu instid0(SALU_CYCLE_1) | instskip(NEXT) | instid1(SALU_CYCLE_1)
	s_add_nc_u64 s[58:59], s[18:19], s[58:59]
	s_add_co_u32 s54, s54, s58
	s_cselect_b32 s1, -1, 0
	s_delay_alu instid0(SALU_CYCLE_1) | instskip(SKIP_1) | instid1(SALU_CYCLE_1)
	s_cmp_lg_u32 s1, 0
	s_add_co_ci_u32 s55, s55, s59
	s_mul_u64 s[56:57], s[56:57], s[54:55]
	s_delay_alu instid0(SALU_CYCLE_1)
	s_mul_hi_u32 s59, s54, s57
	s_mul_i32 s58, s54, s57
	s_mul_hi_u32 s18, s54, s56
	s_mul_i32 s25, s55, s56
	s_add_nc_u64 s[58:59], s[18:19], s[58:59]
	s_mul_hi_u32 s1, s55, s56
	s_mul_hi_u32 s60, s55, s57
	s_add_co_u32 s18, s58, s25
	s_add_co_ci_u32 s18, s59, s1
	s_mul_i32 s56, s55, s57
	s_add_co_ci_u32 s57, s60, 0
	s_delay_alu instid0(SALU_CYCLE_1) | instskip(NEXT) | instid1(SALU_CYCLE_1)
	s_add_nc_u64 s[56:57], s[18:19], s[56:57]
	s_add_co_u32 s54, s54, s56
	s_cselect_b32 s1, -1, 0
	v_mul_hi_u32 v30, v22, s54
	s_cmp_lg_u32 s1, 0
	s_add_co_ci_u32 s18, s55, s57
	s_and_b64 s[56:57], s[54:55], s[14:15]
	v_mul_u64_e32 v[24:25], s[18:19], v[22:23]
	v_mul_u64_e32 v[20:21], s[56:57], v[26:27]
	;; [unrolled: 1-line block ×3, first 2 shown]
	s_delay_alu instid0(VALU_DEP_3) | instskip(NEXT) | instid1(VALU_DEP_1)
	v_add_nc_u64_e32 v[24:25], v[30:31], v[24:25]
	v_add_co_u32 v5, vcc_lo, v24, v20
	s_delay_alu instid0(VALU_DEP_2) | instskip(NEXT) | instid1(VALU_DEP_4)
	v_add_co_ci_u32_e32 v30, vcc_lo, v25, v21, vcc_lo
	v_add_co_ci_u32_e32 v29, vcc_lo, 0, v29, vcc_lo
	s_delay_alu instid0(VALU_DEP_1) | instskip(NEXT) | instid1(VALU_DEP_1)
	v_add_nc_u64_e32 v[20:21], v[30:31], v[28:29]
	v_mul_u64_e32 v[24:25], s[26:27], v[20:21]
	s_delay_alu instid0(VALU_DEP_1) | instskip(NEXT) | instid1(VALU_DEP_2)
	v_sub_nc_u32_e32 v5, v26, v25
	v_sub_co_u32 v9, vcc_lo, v22, v24
	s_delay_alu instid0(VALU_DEP_1) | instskip(NEXT) | instid1(VALU_DEP_3)
	v_sub_co_ci_u32_e64 v13, null, v26, v25, vcc_lo
	v_subrev_co_ci_u32_e64 v5, null, s27, v5, vcc_lo
	s_delay_alu instid0(VALU_DEP_3) | instskip(SKIP_1) | instid1(VALU_DEP_3)
	v_sub_co_u32 v11, s1, v9, s26
	v_add_nc_u64_e32 v[22:23], 2, v[20:21]
	v_subrev_co_ci_u32_e64 v5, null, 0, v5, s1
	s_delay_alu instid0(VALU_DEP_3) | instskip(SKIP_2) | instid1(VALU_DEP_4)
	v_cmp_le_u32_e32 vcc_lo, s26, v11
	v_add_nc_u64_e32 v[24:25], 1, v[20:21]
	v_cndmask_b32_e64 v11, 0, -1, vcc_lo
	v_cmp_le_u32_e32 vcc_lo, s27, v5
	v_cndmask_b32_e64 v19, 0, -1, vcc_lo
	v_cmp_le_u32_e32 vcc_lo, s26, v9
	;; [unrolled: 2-line block ×3, first 2 shown]
	v_cndmask_b32_e64 v26, 0, -1, vcc_lo
	v_cmp_eq_u32_e32 vcc_lo, s27, v5
	v_cndmask_b32_e32 v5, v19, v11, vcc_lo
	v_cmp_eq_u32_e32 vcc_lo, s27, v13
	s_delay_alu instid0(VALU_DEP_4) | instskip(NEXT) | instid1(VALU_DEP_3)
	v_cndmask_b32_e32 v9, v26, v9, vcc_lo
	v_cmp_ne_u32_e32 vcc_lo, 0, v5
	s_delay_alu instid0(VALU_DEP_2) | instskip(SKIP_1) | instid1(VALU_DEP_1)
	v_cmp_ne_u32_e64 s1, 0, v9
	v_dual_cndmask_b32 v5, v25, v23, vcc_lo :: v_dual_cndmask_b32 v9, v24, v22, vcc_lo
	v_dual_cndmask_b32 v5, v21, v5, s1 :: v_dual_bitop2_b32 v18, s24, v18 bitop3:0x14
	s_delay_alu instid0(VALU_DEP_1) | instskip(NEXT) | instid1(VALU_DEP_2)
	v_dual_cndmask_b32 v9, v20, v9, s1 :: v_dual_mov_b32 v19, v18
	v_xor_b32_e32 v21, v5, v18
	s_delay_alu instid0(VALU_DEP_2) | instskip(NEXT) | instid1(VALU_DEP_1)
	v_xor_b32_e32 v20, v9, v18
	v_sub_nc_u64_e32 v[18:19], v[20:21], v[18:19]
.LBB80_189:                             ;   in Loop: Header=BB80_187 Depth=1
	s_and_not1_saveexec_b32 s1, s53
	s_cbranch_execz .LBB80_186
; %bb.190:                              ;   in Loop: Header=BB80_187 Depth=1
	v_cvt_f32_u32_e32 v5, s22
	s_sub_co_i32 s18, 0, s22
	v_mov_b32_e32 v19, v12
	s_delay_alu instid0(VALU_DEP_2) | instskip(SKIP_1) | instid1(TRANS32_DEP_1)
	v_rcp_iflag_f32_e32 v5, v5
	v_nop
	v_mul_f32_e32 v5, 0x4f7ffffe, v5
	s_delay_alu instid0(VALU_DEP_1) | instskip(NEXT) | instid1(VALU_DEP_1)
	v_cvt_u32_f32_e32 v5, v5
	v_mul_lo_u32 v9, s18, v5
	s_delay_alu instid0(VALU_DEP_1) | instskip(NEXT) | instid1(VALU_DEP_1)
	v_mul_hi_u32 v9, v5, v9
	v_add_nc_u32_e32 v5, v5, v9
	s_delay_alu instid0(VALU_DEP_1) | instskip(NEXT) | instid1(VALU_DEP_1)
	v_mul_hi_u32 v5, v16, v5
	v_mul_lo_u32 v9, v5, s22
	v_add_nc_u32_e32 v11, 1, v5
	s_delay_alu instid0(VALU_DEP_2) | instskip(NEXT) | instid1(VALU_DEP_1)
	v_sub_nc_u32_e32 v9, v16, v9
	v_subrev_nc_u32_e32 v13, s22, v9
	v_cmp_le_u32_e32 vcc_lo, s22, v9
	s_delay_alu instid0(VALU_DEP_2) | instskip(SKIP_1) | instid1(VALU_DEP_2)
	v_cndmask_b32_e32 v9, v9, v13, vcc_lo
	v_cndmask_b32_e32 v5, v5, v11, vcc_lo
	v_cmp_le_u32_e32 vcc_lo, s22, v9
	s_delay_alu instid0(VALU_DEP_2) | instskip(SKIP_1) | instid1(VALU_DEP_1)
	v_add_nc_u32_e32 v11, 1, v5
	s_wait_loadcnt 0x0
	v_cndmask_b32_e32 v18, v5, v11, vcc_lo
	s_branch .LBB80_186
.LBB80_191:
	s_mov_b32 s13, -1
	s_mov_b32 s15, 0
	s_mov_b32 s1, exec_lo
	v_cmpx_gt_i32_e64 v8, v10
	s_cbranch_execz .LBB80_197
; %bb.192:
	s_delay_alu instid0(VALU_DEP_2) | instskip(SKIP_3) | instid1(VALU_DEP_1)
	v_lshlrev_b64_e32 v[12:13], 2, v[14:15]
	v_dual_ashrrev_i32 v11, 31, v10 :: v_dual_ashrrev_i32 v9, 31, v8
	s_mov_b32 s13, 0
	s_xor_b32 s15, s29, -1
                                        ; implicit-def: $sgpr14
                                        ; implicit-def: $sgpr17
                                        ; implicit-def: $sgpr16
	v_lshl_add_u64 v[10:11], v[10:11], 2, v[12:13]
	v_add_nc_u64_e32 v[12:13], s[6:7], v[12:13]
	s_delay_alu instid0(VALU_DEP_2) | instskip(NEXT) | instid1(VALU_DEP_2)
	v_add_nc_u64_e32 v[10:11], s[6:7], v[10:11]
	v_lshl_add_u64 v[8:9], v[8:9], 2, v[12:13]
	s_delay_alu instid0(VALU_DEP_2)
	v_add_nc_u64_e32 v[10:11], 4, v[10:11]
	s_branch .LBB80_194
.LBB80_193:                             ;   in Loop: Header=BB80_194 Depth=1
	s_or_b32 exec_lo, exec_lo, s18
	s_delay_alu instid0(SALU_CYCLE_1) | instskip(NEXT) | instid1(SALU_CYCLE_1)
	s_and_b32 s18, exec_lo, s17
	s_or_b32 s13, s18, s13
	s_and_not1_b32 s14, s14, exec_lo
	s_and_b32 s18, s16, exec_lo
	s_delay_alu instid0(SALU_CYCLE_1)
	s_or_b32 s14, s14, s18
	s_and_not1_b32 exec_lo, exec_lo, s13
	s_cbranch_execz .LBB80_196
.LBB80_194:                             ; =>This Inner Loop Header: Depth=1
	s_or_b32 s16, s16, exec_lo
	s_or_b32 s17, s17, exec_lo
	s_mov_b32 s18, exec_lo
	s_delay_alu instid0(VALU_DEP_1)
	v_cmpx_lt_u64_e64 v[10:11], v[8:9]
	s_cbranch_execz .LBB80_193
; %bb.195:                              ;   in Loop: Header=BB80_194 Depth=1
	global_load_b64 v[12:13], v[10:11], off offset:-4
	s_wait_xcnt 0x0
	v_add_nc_u64_e32 v[10:11], 4, v[10:11]
	s_and_not1_b32 s17, s17, exec_lo
	s_and_not1_b32 s16, s16, exec_lo
	s_wait_loadcnt 0x0
	v_cmp_ge_i32_e32 vcc_lo, v12, v13
	s_or_b32 s19, s15, vcc_lo
	s_delay_alu instid0(SALU_CYCLE_1) | instskip(NEXT) | instid1(SALU_CYCLE_1)
	s_and_b32 s19, s19, exec_lo
	s_or_b32 s17, s17, s19
	s_branch .LBB80_193
.LBB80_196:
	s_or_b32 exec_lo, exec_lo, s13
	s_delay_alu instid0(SALU_CYCLE_1)
	s_mov_b32 s15, exec_lo
	s_or_not1_b32 s13, s14, exec_lo
.LBB80_197:
	s_or_b32 exec_lo, exec_lo, s1
	s_delay_alu instid0(SALU_CYCLE_1)
	s_and_b32 s1, s15, exec_lo
	s_xor_b32 s14, exec_lo, -1
	s_and_b32 s13, s13, exec_lo
.LBB80_198:
	s_or_b32 exec_lo, exec_lo, s52
	s_delay_alu instid0(SALU_CYCLE_1)
	s_and_not1_b32 s15, s45, exec_lo
	s_and_b32 s14, s14, exec_lo
	s_and_b32 s16, s1, exec_lo
	s_or_b32 s15, s15, s14
	s_xor_b32 s1, exec_lo, -1
	s_and_b32 s14, s13, exec_lo
.LBB80_199:
	s_or_b32 exec_lo, exec_lo, s51
	s_delay_alu instid0(SALU_CYCLE_1)
	s_and_b32 s13, s16, exec_lo
	s_and_not1_b32 s16, s45, exec_lo
	s_and_b32 s15, s15, exec_lo
	s_and_not1_b32 s17, s46, exec_lo
	s_and_b32 s1, s1, exec_lo
	s_or_b32 s15, s16, s15
	s_or_b32 s17, s17, s1
	s_xor_b32 s1, exec_lo, -1
	s_and_b32 s16, s14, exec_lo
.LBB80_200:
	s_or_b32 exec_lo, exec_lo, s50
	s_delay_alu instid0(SALU_CYCLE_1)
	s_and_not1_b32 s14, s45, exec_lo
	s_and_b32 s18, s15, exec_lo
	s_and_b32 s15, s13, exec_lo
	s_or_b32 s13, s14, s18
	s_and_not1_b32 s14, s46, exec_lo
	s_and_b32 s17, s17, exec_lo
	s_and_not1_b32 s18, s43, exec_lo
	s_and_b32 s1, s1, exec_lo
	s_or_b32 s14, s14, s17
	s_or_b32 s1, s18, s1
	s_or_not1_b32 s17, s16, exec_lo
.LBB80_201:
	s_or_b32 exec_lo, exec_lo, s49
	s_mov_b32 s18, 0
                                        ; implicit-def: $sgpr22
	s_and_saveexec_b32 s16, s17
	s_cbranch_execz .LBB80_205
; %bb.202:
	v_or_b32_e32 v5, 0x300, v0
	s_mov_b32 s17, 0
	s_mov_b32 s18, -1
	s_mov_b32 s19, s1
	s_delay_alu instid0(VALU_DEP_1) | instskip(SKIP_1) | instid1(SALU_CYCLE_1)
	v_cmp_gt_i32_e64 s22, s33, v5
	s_and_saveexec_b32 s23, s22
	s_xor_b32 s23, exec_lo, s23
; %bb.203:
	v_cmp_ne_u32_e32 vcc_lo, s36, v1
	s_xor_b32 s18, s37, -1
	s_and_not1_b32 s19, s1, exec_lo
	s_mov_b32 s17, exec_lo
	s_or_b32 s18, s18, vcc_lo
	s_delay_alu instid0(SALU_CYCLE_1)
	s_and_b32 s24, s18, exec_lo
	s_xor_b32 s18, exec_lo, -1
	s_or_b32 s19, s19, s24
; %bb.204:
	s_or_b32 exec_lo, exec_lo, s23
	s_delay_alu instid0(SALU_CYCLE_1)
	s_and_not1_b32 s1, s1, exec_lo
	s_and_b32 s19, s19, exec_lo
	s_and_b32 s18, s18, exec_lo
	s_and_not1_b32 s15, s15, exec_lo
	s_and_b32 s48, s17, exec_lo
	s_or_b32 s1, s1, s19
.LBB80_205:
	s_or_b32 exec_lo, exec_lo, s16
	s_delay_alu instid0(SALU_CYCLE_1)
	s_and_not1_b32 s16, s44, exec_lo
	s_and_b32 s17, s15, exec_lo
	s_and_b32 s13, s13, exec_lo
	s_or_b32 s44, s16, s17
	s_and_not1_b32 s16, s45, exec_lo
	s_and_not1_b32 s17, s46, exec_lo
	s_and_b32 s14, s14, exec_lo
	s_or_b32 s45, s16, s13
	s_and_not1_b32 s13, s43, exec_lo
	s_and_b32 s1, s1, exec_lo
	s_and_b32 s15, s18, exec_lo
	s_or_b32 s46, s17, s14
	s_and_b32 s48, s48, exec_lo
	s_or_b32 s43, s13, s1
.LBB80_206:
	s_or_b32 exec_lo, exec_lo, s47
	s_delay_alu instid0(SALU_CYCLE_1)
	s_and_not1_b32 s1, s35, exec_lo
	s_and_b32 s13, s44, exec_lo
	s_and_b32 s44, s15, exec_lo
	s_or_b32 s35, s1, s13
	s_and_not1_b32 s1, s38, exec_lo
	s_and_b32 s13, s45, exec_lo
	s_and_not1_b32 s14, s39, exec_lo
	s_and_b32 s15, s46, exec_lo
	s_or_b32 s38, s1, s13
	s_and_not1_b32 s1, s41, exec_lo
	s_and_b32 s13, s43, exec_lo
	s_or_b32 s39, s14, s15
	s_and_b32 s43, s48, exec_lo
	s_or_b32 s41, s1, s13
	s_or_b32 exec_lo, exec_lo, s42
	s_and_saveexec_b32 s1, s41
	s_cbranch_execz .LBB80_144
.LBB80_207:
	s_or_b32 s3, s3, exec_lo
	s_and_not1_b32 s43, s43, exec_lo
	s_trap 2
	s_branch .LBB80_144
.LBB80_208:
	s_mov_b32 s3, exec_lo
	s_and_not1_b32 s31, s31, exec_lo
	s_trap 2
	s_branch .LBB80_65
.LBB80_209:
	s_or_b32 s3, s3, exec_lo
	s_and_not1_b32 s34, s34, exec_lo
	s_trap 2
	s_branch .LBB80_68
.LBB80_210:
	s_or_b32 s3, s3, exec_lo
	s_and_not1_b32 s1, s1, exec_lo
	s_trap 2
	s_branch .LBB80_147
	.section	.rodata,"a",@progbits
	.p2align	6, 0x0
	.amdhsa_kernel _ZN2at6native29vectorized_elementwise_kernelILi16EZZZNS0_12_GLOBAL__N_142_validate_compressed_sparse_indices_kernelILNS2_8CDimNameE1ENS2_18CUDAKernelLauncherENS2_14EmptyVecKernelENS2_8DummyVecELm8EEEvRKNS_6TensorESA_lllENKUlvE1_clEvENKUlvE_clEvEUliiiiiE_St5arrayIPcLm6EEEEviT0_T1_
		.amdhsa_group_segment_fixed_size 0
		.amdhsa_private_segment_fixed_size 0
		.amdhsa_kernarg_size 224
		.amdhsa_user_sgpr_count 2
		.amdhsa_user_sgpr_dispatch_ptr 0
		.amdhsa_user_sgpr_queue_ptr 0
		.amdhsa_user_sgpr_kernarg_segment_ptr 1
		.amdhsa_user_sgpr_dispatch_id 0
		.amdhsa_user_sgpr_kernarg_preload_length 0
		.amdhsa_user_sgpr_kernarg_preload_offset 0
		.amdhsa_user_sgpr_private_segment_size 0
		.amdhsa_wavefront_size32 1
		.amdhsa_uses_dynamic_stack 0
		.amdhsa_enable_private_segment 0
		.amdhsa_system_sgpr_workgroup_id_x 1
		.amdhsa_system_sgpr_workgroup_id_y 0
		.amdhsa_system_sgpr_workgroup_id_z 0
		.amdhsa_system_sgpr_workgroup_info 0
		.amdhsa_system_vgpr_workitem_id 0
		.amdhsa_next_free_vgpr 44
		.amdhsa_next_free_sgpr 69
		.amdhsa_named_barrier_count 0
		.amdhsa_reserve_vcc 1
		.amdhsa_float_round_mode_32 0
		.amdhsa_float_round_mode_16_64 0
		.amdhsa_float_denorm_mode_32 3
		.amdhsa_float_denorm_mode_16_64 3
		.amdhsa_fp16_overflow 0
		.amdhsa_memory_ordered 1
		.amdhsa_forward_progress 1
		.amdhsa_inst_pref_size 103
		.amdhsa_round_robin_scheduling 0
		.amdhsa_exception_fp_ieee_invalid_op 0
		.amdhsa_exception_fp_denorm_src 0
		.amdhsa_exception_fp_ieee_div_zero 0
		.amdhsa_exception_fp_ieee_overflow 0
		.amdhsa_exception_fp_ieee_underflow 0
		.amdhsa_exception_fp_ieee_inexact 0
		.amdhsa_exception_int_div_zero 0
	.end_amdhsa_kernel
	.section	.text._ZN2at6native29vectorized_elementwise_kernelILi16EZZZNS0_12_GLOBAL__N_142_validate_compressed_sparse_indices_kernelILNS2_8CDimNameE1ENS2_18CUDAKernelLauncherENS2_14EmptyVecKernelENS2_8DummyVecELm8EEEvRKNS_6TensorESA_lllENKUlvE1_clEvENKUlvE_clEvEUliiiiiE_St5arrayIPcLm6EEEEviT0_T1_,"axG",@progbits,_ZN2at6native29vectorized_elementwise_kernelILi16EZZZNS0_12_GLOBAL__N_142_validate_compressed_sparse_indices_kernelILNS2_8CDimNameE1ENS2_18CUDAKernelLauncherENS2_14EmptyVecKernelENS2_8DummyVecELm8EEEvRKNS_6TensorESA_lllENKUlvE1_clEvENKUlvE_clEvEUliiiiiE_St5arrayIPcLm6EEEEviT0_T1_,comdat
.Lfunc_end80:
	.size	_ZN2at6native29vectorized_elementwise_kernelILi16EZZZNS0_12_GLOBAL__N_142_validate_compressed_sparse_indices_kernelILNS2_8CDimNameE1ENS2_18CUDAKernelLauncherENS2_14EmptyVecKernelENS2_8DummyVecELm8EEEvRKNS_6TensorESA_lllENKUlvE1_clEvENKUlvE_clEvEUliiiiiE_St5arrayIPcLm6EEEEviT0_T1_, .Lfunc_end80-_ZN2at6native29vectorized_elementwise_kernelILi16EZZZNS0_12_GLOBAL__N_142_validate_compressed_sparse_indices_kernelILNS2_8CDimNameE1ENS2_18CUDAKernelLauncherENS2_14EmptyVecKernelENS2_8DummyVecELm8EEEvRKNS_6TensorESA_lllENKUlvE1_clEvENKUlvE_clEvEUliiiiiE_St5arrayIPcLm6EEEEviT0_T1_
                                        ; -- End function
	.set _ZN2at6native29vectorized_elementwise_kernelILi16EZZZNS0_12_GLOBAL__N_142_validate_compressed_sparse_indices_kernelILNS2_8CDimNameE1ENS2_18CUDAKernelLauncherENS2_14EmptyVecKernelENS2_8DummyVecELm8EEEvRKNS_6TensorESA_lllENKUlvE1_clEvENKUlvE_clEvEUliiiiiE_St5arrayIPcLm6EEEEviT0_T1_.num_vgpr, 44
	.set _ZN2at6native29vectorized_elementwise_kernelILi16EZZZNS0_12_GLOBAL__N_142_validate_compressed_sparse_indices_kernelILNS2_8CDimNameE1ENS2_18CUDAKernelLauncherENS2_14EmptyVecKernelENS2_8DummyVecELm8EEEvRKNS_6TensorESA_lllENKUlvE1_clEvENKUlvE_clEvEUliiiiiE_St5arrayIPcLm6EEEEviT0_T1_.num_agpr, 0
	.set _ZN2at6native29vectorized_elementwise_kernelILi16EZZZNS0_12_GLOBAL__N_142_validate_compressed_sparse_indices_kernelILNS2_8CDimNameE1ENS2_18CUDAKernelLauncherENS2_14EmptyVecKernelENS2_8DummyVecELm8EEEvRKNS_6TensorESA_lllENKUlvE1_clEvENKUlvE_clEvEUliiiiiE_St5arrayIPcLm6EEEEviT0_T1_.numbered_sgpr, 69
	.set _ZN2at6native29vectorized_elementwise_kernelILi16EZZZNS0_12_GLOBAL__N_142_validate_compressed_sparse_indices_kernelILNS2_8CDimNameE1ENS2_18CUDAKernelLauncherENS2_14EmptyVecKernelENS2_8DummyVecELm8EEEvRKNS_6TensorESA_lllENKUlvE1_clEvENKUlvE_clEvEUliiiiiE_St5arrayIPcLm6EEEEviT0_T1_.num_named_barrier, 0
	.set _ZN2at6native29vectorized_elementwise_kernelILi16EZZZNS0_12_GLOBAL__N_142_validate_compressed_sparse_indices_kernelILNS2_8CDimNameE1ENS2_18CUDAKernelLauncherENS2_14EmptyVecKernelENS2_8DummyVecELm8EEEvRKNS_6TensorESA_lllENKUlvE1_clEvENKUlvE_clEvEUliiiiiE_St5arrayIPcLm6EEEEviT0_T1_.private_seg_size, 0
	.set _ZN2at6native29vectorized_elementwise_kernelILi16EZZZNS0_12_GLOBAL__N_142_validate_compressed_sparse_indices_kernelILNS2_8CDimNameE1ENS2_18CUDAKernelLauncherENS2_14EmptyVecKernelENS2_8DummyVecELm8EEEvRKNS_6TensorESA_lllENKUlvE1_clEvENKUlvE_clEvEUliiiiiE_St5arrayIPcLm6EEEEviT0_T1_.uses_vcc, 1
	.set _ZN2at6native29vectorized_elementwise_kernelILi16EZZZNS0_12_GLOBAL__N_142_validate_compressed_sparse_indices_kernelILNS2_8CDimNameE1ENS2_18CUDAKernelLauncherENS2_14EmptyVecKernelENS2_8DummyVecELm8EEEvRKNS_6TensorESA_lllENKUlvE1_clEvENKUlvE_clEvEUliiiiiE_St5arrayIPcLm6EEEEviT0_T1_.uses_flat_scratch, 0
	.set _ZN2at6native29vectorized_elementwise_kernelILi16EZZZNS0_12_GLOBAL__N_142_validate_compressed_sparse_indices_kernelILNS2_8CDimNameE1ENS2_18CUDAKernelLauncherENS2_14EmptyVecKernelENS2_8DummyVecELm8EEEvRKNS_6TensorESA_lllENKUlvE1_clEvENKUlvE_clEvEUliiiiiE_St5arrayIPcLm6EEEEviT0_T1_.has_dyn_sized_stack, 0
	.set _ZN2at6native29vectorized_elementwise_kernelILi16EZZZNS0_12_GLOBAL__N_142_validate_compressed_sparse_indices_kernelILNS2_8CDimNameE1ENS2_18CUDAKernelLauncherENS2_14EmptyVecKernelENS2_8DummyVecELm8EEEvRKNS_6TensorESA_lllENKUlvE1_clEvENKUlvE_clEvEUliiiiiE_St5arrayIPcLm6EEEEviT0_T1_.has_recursion, 0
	.set _ZN2at6native29vectorized_elementwise_kernelILi16EZZZNS0_12_GLOBAL__N_142_validate_compressed_sparse_indices_kernelILNS2_8CDimNameE1ENS2_18CUDAKernelLauncherENS2_14EmptyVecKernelENS2_8DummyVecELm8EEEvRKNS_6TensorESA_lllENKUlvE1_clEvENKUlvE_clEvEUliiiiiE_St5arrayIPcLm6EEEEviT0_T1_.has_indirect_call, 0
	.section	.AMDGPU.csdata,"",@progbits
; Kernel info:
; codeLenInByte = 13072
; TotalNumSgprs: 71
; NumVgprs: 44
; ScratchSize: 0
; MemoryBound: 0
; FloatMode: 240
; IeeeMode: 1
; LDSByteSize: 0 bytes/workgroup (compile time only)
; SGPRBlocks: 0
; VGPRBlocks: 2
; NumSGPRsForWavesPerEU: 71
; NumVGPRsForWavesPerEU: 44
; NamedBarCnt: 0
; Occupancy: 16
; WaveLimiterHint : 1
; COMPUTE_PGM_RSRC2:SCRATCH_EN: 0
; COMPUTE_PGM_RSRC2:USER_SGPR: 2
; COMPUTE_PGM_RSRC2:TRAP_HANDLER: 0
; COMPUTE_PGM_RSRC2:TGID_X_EN: 1
; COMPUTE_PGM_RSRC2:TGID_Y_EN: 0
; COMPUTE_PGM_RSRC2:TGID_Z_EN: 0
; COMPUTE_PGM_RSRC2:TIDIG_COMP_CNT: 0
	.section	.text._ZN2at6native29vectorized_elementwise_kernelILi8EZZZNS0_12_GLOBAL__N_142_validate_compressed_sparse_indices_kernelILNS2_8CDimNameE1ENS2_18CUDAKernelLauncherENS2_14EmptyVecKernelENS2_8DummyVecELm8EEEvRKNS_6TensorESA_lllENKUlvE1_clEvENKUlvE_clEvEUliiiiiE_St5arrayIPcLm6EEEEviT0_T1_,"axG",@progbits,_ZN2at6native29vectorized_elementwise_kernelILi8EZZZNS0_12_GLOBAL__N_142_validate_compressed_sparse_indices_kernelILNS2_8CDimNameE1ENS2_18CUDAKernelLauncherENS2_14EmptyVecKernelENS2_8DummyVecELm8EEEvRKNS_6TensorESA_lllENKUlvE1_clEvENKUlvE_clEvEUliiiiiE_St5arrayIPcLm6EEEEviT0_T1_,comdat
	.globl	_ZN2at6native29vectorized_elementwise_kernelILi8EZZZNS0_12_GLOBAL__N_142_validate_compressed_sparse_indices_kernelILNS2_8CDimNameE1ENS2_18CUDAKernelLauncherENS2_14EmptyVecKernelENS2_8DummyVecELm8EEEvRKNS_6TensorESA_lllENKUlvE1_clEvENKUlvE_clEvEUliiiiiE_St5arrayIPcLm6EEEEviT0_T1_ ; -- Begin function _ZN2at6native29vectorized_elementwise_kernelILi8EZZZNS0_12_GLOBAL__N_142_validate_compressed_sparse_indices_kernelILNS2_8CDimNameE1ENS2_18CUDAKernelLauncherENS2_14EmptyVecKernelENS2_8DummyVecELm8EEEvRKNS_6TensorESA_lllENKUlvE1_clEvENKUlvE_clEvEUliiiiiE_St5arrayIPcLm6EEEEviT0_T1_
	.p2align	8
	.type	_ZN2at6native29vectorized_elementwise_kernelILi8EZZZNS0_12_GLOBAL__N_142_validate_compressed_sparse_indices_kernelILNS2_8CDimNameE1ENS2_18CUDAKernelLauncherENS2_14EmptyVecKernelENS2_8DummyVecELm8EEEvRKNS_6TensorESA_lllENKUlvE1_clEvENKUlvE_clEvEUliiiiiE_St5arrayIPcLm6EEEEviT0_T1_,@function
_ZN2at6native29vectorized_elementwise_kernelILi8EZZZNS0_12_GLOBAL__N_142_validate_compressed_sparse_indices_kernelILNS2_8CDimNameE1ENS2_18CUDAKernelLauncherENS2_14EmptyVecKernelENS2_8DummyVecELm8EEEvRKNS_6TensorESA_lllENKUlvE1_clEvENKUlvE_clEvEUliiiiiE_St5arrayIPcLm6EEEEviT0_T1_: ; @_ZN2at6native29vectorized_elementwise_kernelILi8EZZZNS0_12_GLOBAL__N_142_validate_compressed_sparse_indices_kernelILNS2_8CDimNameE1ENS2_18CUDAKernelLauncherENS2_14EmptyVecKernelENS2_8DummyVecELm8EEEvRKNS_6TensorESA_lllENKUlvE1_clEvENKUlvE_clEvEUliiiiiE_St5arrayIPcLm6EEEEviT0_T1_
; %bb.0:
	s_clause 0x2
	s_load_b32 s3, s[0:1], 0x0
	s_load_b128 s[12:15], s[0:1], 0xd0
	s_load_b256 s[4:11], s[0:1], 0xb0
	s_bfe_u32 s2, ttmp6, 0x4000c
	s_and_b32 s16, ttmp6, 15
	s_add_co_i32 s2, s2, 1
	s_getreg_b32 s17, hwreg(HW_REG_IB_STS2, 6, 4)
	s_mul_i32 s2, ttmp9, s2
	s_or_b64 s[20:21], s[0:1], 8
	s_add_co_i32 s16, s16, s2
	s_cmp_eq_u32 s17, 0
	s_mov_b32 s44, 0
	s_wait_xcnt 0x0
	s_cselect_b32 s0, ttmp9, s16
	s_get_pc_i64 s[22:23]
	s_add_nc_u64 s[22:23], s[22:23], .str.6@rel64+4
	s_lshl_b32 s2, s0, 10
	s_mov_b32 s0, -1
	s_wait_kmcnt 0x0
	s_sub_co_i32 s33, s3, s2
	s_mov_b32 s3, 0
	s_cmp_gt_i32 s33, 0x3ff
	s_cbranch_scc0 .LBB81_75
; %bb.1:
	s_ashr_i32 s3, s2, 31
	s_mov_b32 s34, -1
	s_lshl_b64 s[24:25], s[2:3], 2
	s_cmp_lg_u64 s[22:23], 0
	s_add_nc_u64 s[0:1], s[6:7], s[24:25]
	s_cselect_b32 s16, -1, 0
	global_load_b128 v[10:13], v0, s[0:1] scale_offset
	s_wait_xcnt 0x0
	s_load_b32 s0, s[20:21], 0x0
	s_mov_b32 s3, 0
	s_mov_b32 s31, 0
	;; [unrolled: 1-line block ×4, first 2 shown]
                                        ; implicit-def: $sgpr27
                                        ; implicit-def: $sgpr17
                                        ; implicit-def: $sgpr30
                                        ; implicit-def: $sgpr26
                                        ; implicit-def: $sgpr28_sgpr29
                                        ; implicit-def: $vgpr14_vgpr15_vgpr16_vgpr17
                                        ; implicit-def: $vgpr2_vgpr3_vgpr4_vgpr5
                                        ; implicit-def: $vgpr6_vgpr7_vgpr8_vgpr9
                                        ; implicit-def: $vgpr18
	s_wait_loadcnt 0x0
	s_wait_kmcnt 0x0
	v_cmp_eq_u32_e32 vcc_lo, s0, v10
	s_mov_b32 s0, 0
	s_and_b32 s18, s16, vcc_lo
                                        ; implicit-def: $sgpr16
	s_delay_alu instid0(SALU_CYCLE_1)
	s_and_saveexec_b32 s45, s18
	s_cbranch_execz .LBB81_64
; %bb.2:
	s_add_nc_u64 s[0:1], s[8:9], s[24:25]
	s_load_b128 s[16:19], s[20:21], 0x8
	global_load_b128 v[18:21], v0, s[0:1] scale_offset
	s_get_pc_i64 s[26:27]
	s_add_nc_u64 s[26:27], s[26:27], .str.7@rel64+4
	s_wait_xcnt 0x0
	s_mov_b32 s0, -1
	s_cmp_lg_u64 s[26:27], 0
	s_mov_b32 s34, 0
	s_wait_kmcnt 0x0
	s_cselect_b32 s17, -1, 0
	s_mov_b32 s1, 0
	s_mov_b32 s35, 0
                                        ; implicit-def: $sgpr27
                                        ; implicit-def: $sgpr30
                                        ; implicit-def: $sgpr26
                                        ; implicit-def: $sgpr28_sgpr29
                                        ; implicit-def: $vgpr14_vgpr15_vgpr16_vgpr17
                                        ; implicit-def: $vgpr2_vgpr3_vgpr4_vgpr5
                                        ; implicit-def: $vgpr6_vgpr7_vgpr8_vgpr9
	s_wait_loadcnt 0x0
	v_cmp_eq_u32_e32 vcc_lo, s18, v18
	s_and_b32 s36, s17, vcc_lo
                                        ; implicit-def: $sgpr17
	s_delay_alu instid0(SALU_CYCLE_1)
	s_and_saveexec_b32 s46, s36
	s_cbranch_execz .LBB81_63
; %bb.3:
	s_add_nc_u64 s[0:1], s[10:11], s[24:25]
	s_add_nc_u64 s[26:27], s[12:13], s[24:25]
	s_clause 0x1
	global_load_b128 v[6:9], v0, s[0:1] scale_offset
	global_load_b128 v[2:5], v0, s[26:27] scale_offset
	s_wait_xcnt 0x0
	s_load_b64 s[26:27], s[20:21], 0x18
	s_get_pc_i64 s[28:29]
	s_add_nc_u64 s[28:29], s[28:29], .str.8@rel64+4
	s_mov_b32 s1, -1
	s_cmp_lg_u64 s[28:29], 0
	s_mov_b32 s36, 0
	s_cselect_b32 s17, -1, 0
                                        ; implicit-def: $sgpr27
                                        ; implicit-def: $sgpr30
                                        ; implicit-def: $sgpr28_sgpr29
                                        ; implicit-def: $vgpr14_vgpr15_vgpr16_vgpr17
	s_wait_loadcnt 0x0
	v_sub_nc_u32_e32 v1, v2, v6
	s_delay_alu instid0(VALU_DEP_1) | instskip(SKIP_2) | instid1(SALU_CYCLE_1)
	v_cmp_le_i32_e32 vcc_lo, v10, v1
	v_cmp_ge_i32_e64 s0, s16, v1
	s_and_b32 s0, vcc_lo, s0
	s_and_b32 s0, s17, s0
                                        ; implicit-def: $sgpr17
	s_delay_alu instid0(SALU_CYCLE_1)
	s_and_saveexec_b32 s47, s0
	s_cbranch_execz .LBB81_62
; %bb.4:
	s_add_nc_u64 s[0:1], s[14:15], s[24:25]
	s_load_b64 s[28:29], s[20:21], 0xa0
	global_load_b128 v[14:17], v0, s[0:1] scale_offset
	s_wait_xcnt 0x0
	v_cmp_gt_i64_e64 s0, s[18:19], 0
	s_wait_kmcnt 0x0
	s_add_co_i32 s30, s26, -1
	v_mov_b64_e32 v[22:23], 0
	s_cmp_gt_i32 s30, -1
	s_cselect_b32 s1, -1, 0
	s_delay_alu instid0(SALU_CYCLE_1) | instskip(NEXT) | instid1(SALU_CYCLE_1)
	s_and_b32 s17, s0, s1
	s_and_not1_b32 vcc_lo, exec_lo, s17
	s_cbranch_vccnz .LBB81_11
; %bb.5:
	s_wait_loadcnt 0x0
	v_dual_mov_b32 v22, v14 :: v_dual_ashrrev_i32 v23, 31, v14
	s_ashr_i32 s31, s30, 31
	v_mov_b32_e32 v24, 0
	s_lshl_b64 s[0:1], s[30:31], 3
	s_mov_b64 s[34:35], 0xffffffff
	v_mul_u64_e32 v[26:27], s[18:19], v[22:23]
	v_mov_b64_e32 v[22:23], 0
	s_add_nc_u64 s[0:1], s[20:21], s[0:1]
	s_mov_b32 s27, s26
	s_add_nc_u64 s[36:37], s[0:1], 32
	s_mov_b32 s1, 0
	s_branch .LBB81_7
.LBB81_6:                               ;   in Loop: Header=BB81_7 Depth=1
	s_or_b32 exec_lo, exec_lo, s0
	s_delay_alu instid0(VALU_DEP_1)
	v_mul_u64_e32 v[30:31], s[38:39], v[28:29]
	s_load_b64 s[38:39], s[36:37], 0x40
	s_add_co_i32 s27, s27, -1
	s_wait_xcnt 0x0
	s_add_nc_u64 s[36:37], s[36:37], -8
	s_cmp_eq_u32 s27, 0
	s_delay_alu instid0(VALU_DEP_1) | instskip(SKIP_1) | instid1(VALU_DEP_1)
	v_sub_nc_u64_e32 v[26:27], v[26:27], v[30:31]
	s_wait_kmcnt 0x0
	v_mad_nc_u64_u32 v[22:23], v26, s38, v[22:23]
	s_delay_alu instid0(VALU_DEP_1) | instskip(NEXT) | instid1(VALU_DEP_1)
	v_mad_u32 v1, v27, s38, v23
	v_mad_u32 v23, v26, s39, v1
	v_mov_b64_e32 v[26:27], v[28:29]
	s_cbranch_scc1 .LBB81_11
.LBB81_7:                               ; =>This Inner Loop Header: Depth=1
	s_load_b64 s[38:39], s[36:37], 0x0
                                        ; implicit-def: $vgpr28_vgpr29
	s_mov_b32 s0, exec_lo
	s_wait_kmcnt 0x0
	s_delay_alu instid0(VALU_DEP_1) | instskip(NEXT) | instid1(VALU_DEP_1)
	v_or_b32_e32 v25, s39, v27
	v_cmpx_ne_u64_e32 0, v[24:25]
	s_xor_b32 s31, exec_lo, s0
	s_cbranch_execz .LBB81_9
; %bb.8:                                ;   in Loop: Header=BB81_7 Depth=1
	s_ashr_i32 s40, s39, 31
	v_dual_mov_b32 v33, v24 :: v_dual_ashrrev_i32 v28, 31, v27
	s_mov_b32 s41, s40
	v_mov_b32_e32 v41, v24
	s_add_nc_u64 s[42:43], s[38:39], s[40:41]
	s_delay_alu instid0(VALU_DEP_2) | instskip(SKIP_1) | instid1(SALU_CYCLE_1)
	v_mov_b32_e32 v29, v28
	s_xor_b64 s[42:43], s[42:43], s[40:41]
	s_cvt_f32_u32 s0, s42
	s_cvt_f32_u32 s41, s43
	s_sub_nc_u64 s[50:51], 0, s[42:43]
	v_add_nc_u64_e32 v[30:31], v[26:27], v[28:29]
	v_mov_b32_e32 v37, v24
	s_fmamk_f32 s0, s41, 0x4f800000, s0
	s_delay_alu instid0(SALU_CYCLE_3) | instskip(NEXT) | instid1(VALU_DEP_2)
	v_s_rcp_f32 s0, s0
	v_xor_b32_e32 v32, v30, v28
	s_delay_alu instid0(VALU_DEP_3) | instskip(NEXT) | instid1(TRANS32_DEP_1)
	v_xor_b32_e32 v36, v31, v28
	s_mul_f32 s0, s0, 0x5f7ffffc
	s_delay_alu instid0(SALU_CYCLE_3) | instskip(NEXT) | instid1(SALU_CYCLE_3)
	s_mul_f32 s41, s0, 0x2f800000
	s_trunc_f32 s41, s41
	s_delay_alu instid0(SALU_CYCLE_3) | instskip(SKIP_1) | instid1(SALU_CYCLE_2)
	s_fmamk_f32 s0, s41, 0xcf800000, s0
	s_cvt_u32_f32 s49, s41
	s_cvt_u32_f32 s48, s0
	s_delay_alu instid0(SALU_CYCLE_3) | instskip(NEXT) | instid1(SALU_CYCLE_1)
	s_mul_u64 s[52:53], s[50:51], s[48:49]
	s_mul_hi_u32 s55, s48, s53
	s_mul_i32 s54, s48, s53
	s_mul_hi_u32 s0, s48, s52
	s_mul_i32 s56, s49, s52
	s_add_nc_u64 s[54:55], s[0:1], s[54:55]
	s_mul_hi_u32 s41, s49, s52
	s_mul_hi_u32 s57, s49, s53
	s_add_co_u32 s0, s54, s56
	s_add_co_ci_u32 s0, s55, s41
	s_mul_i32 s52, s49, s53
	s_add_co_ci_u32 s53, s57, 0
	s_delay_alu instid0(SALU_CYCLE_1) | instskip(NEXT) | instid1(SALU_CYCLE_1)
	s_add_nc_u64 s[52:53], s[0:1], s[52:53]
	s_add_co_u32 s48, s48, s52
	s_cselect_b32 s0, -1, 0
	s_delay_alu instid0(SALU_CYCLE_1) | instskip(SKIP_1) | instid1(SALU_CYCLE_1)
	s_cmp_lg_u32 s0, 0
	s_add_co_ci_u32 s49, s49, s53
	s_mul_u64 s[50:51], s[50:51], s[48:49]
	s_delay_alu instid0(SALU_CYCLE_1)
	s_mul_hi_u32 s53, s48, s51
	s_mul_i32 s52, s48, s51
	s_mul_hi_u32 s0, s48, s50
	s_mul_i32 s54, s49, s50
	s_add_nc_u64 s[52:53], s[0:1], s[52:53]
	s_mul_hi_u32 s41, s49, s50
	s_mul_hi_u32 s55, s49, s51
	s_add_co_u32 s0, s52, s54
	s_add_co_ci_u32 s0, s53, s41
	s_mul_i32 s50, s49, s51
	s_add_co_ci_u32 s51, s55, 0
	s_delay_alu instid0(SALU_CYCLE_1) | instskip(NEXT) | instid1(SALU_CYCLE_1)
	s_add_nc_u64 s[50:51], s[0:1], s[50:51]
	s_add_co_u32 s48, s48, s50
	s_cselect_b32 s0, -1, 0
	v_mul_hi_u32 v40, v32, s48
	s_cmp_lg_u32 s0, 0
	s_add_co_ci_u32 s0, s49, s51
	s_and_b64 s[50:51], s[48:49], s[34:35]
	v_mul_u64_e32 v[34:35], s[0:1], v[32:33]
	v_mul_u64_e32 v[30:31], s[50:51], v[36:37]
	;; [unrolled: 1-line block ×3, first 2 shown]
	s_delay_alu instid0(VALU_DEP_3) | instskip(NEXT) | instid1(VALU_DEP_1)
	v_add_nc_u64_e32 v[34:35], v[40:41], v[34:35]
	v_add_co_u32 v1, vcc_lo, v34, v30
	s_delay_alu instid0(VALU_DEP_2) | instskip(NEXT) | instid1(VALU_DEP_4)
	v_add_co_ci_u32_e32 v40, vcc_lo, v35, v31, vcc_lo
	v_add_co_ci_u32_e32 v39, vcc_lo, 0, v39, vcc_lo
	s_delay_alu instid0(VALU_DEP_1) | instskip(NEXT) | instid1(VALU_DEP_1)
	v_add_nc_u64_e32 v[30:31], v[40:41], v[38:39]
	v_mul_u64_e32 v[34:35], s[42:43], v[30:31]
	s_delay_alu instid0(VALU_DEP_1) | instskip(NEXT) | instid1(VALU_DEP_2)
	v_sub_nc_u32_e32 v1, v36, v35
	v_sub_co_u32 v14, vcc_lo, v32, v34
	s_delay_alu instid0(VALU_DEP_1) | instskip(NEXT) | instid1(VALU_DEP_3)
	v_sub_co_ci_u32_e64 v29, null, v36, v35, vcc_lo
	v_subrev_co_ci_u32_e64 v1, null, s43, v1, vcc_lo
	s_delay_alu instid0(VALU_DEP_3) | instskip(SKIP_1) | instid1(VALU_DEP_3)
	v_sub_co_u32 v25, s0, v14, s42
	v_add_nc_u64_e32 v[34:35], 1, v[30:31]
	v_subrev_co_ci_u32_e64 v1, null, 0, v1, s0
	s_delay_alu instid0(VALU_DEP_3) | instskip(SKIP_1) | instid1(VALU_DEP_3)
	v_cmp_le_u32_e32 vcc_lo, s42, v25
	v_cndmask_b32_e64 v25, 0, -1, vcc_lo
	v_cmp_le_u32_e32 vcc_lo, s43, v1
	v_cndmask_b32_e64 v32, 0, -1, vcc_lo
	v_cmp_le_u32_e32 vcc_lo, s42, v14
	v_cndmask_b32_e64 v14, 0, -1, vcc_lo
	v_cmp_le_u32_e32 vcc_lo, s43, v29
	v_cndmask_b32_e64 v36, 0, -1, vcc_lo
	v_cmp_eq_u32_e32 vcc_lo, s43, v1
	v_cndmask_b32_e32 v1, v32, v25, vcc_lo
	v_cmp_eq_u32_e32 vcc_lo, s43, v29
	v_add_nc_u64_e32 v[32:33], 2, v[30:31]
	v_cndmask_b32_e32 v14, v36, v14, vcc_lo
	s_delay_alu instid0(VALU_DEP_4) | instskip(NEXT) | instid1(VALU_DEP_2)
	v_cmp_ne_u32_e32 vcc_lo, 0, v1
	v_cmp_ne_u32_e64 s0, 0, v14
	s_delay_alu instid0(VALU_DEP_4) | instskip(NEXT) | instid1(VALU_DEP_1)
	v_dual_cndmask_b32 v1, v35, v33 :: v_dual_cndmask_b32 v14, v34, v32
	v_dual_cndmask_b32 v1, v31, v1, s0 :: v_dual_bitop2_b32 v28, s40, v28 bitop3:0x14
	s_delay_alu instid0(VALU_DEP_1) | instskip(NEXT) | instid1(VALU_DEP_2)
	v_dual_cndmask_b32 v14, v30, v14, s0 :: v_dual_mov_b32 v29, v28
	v_xor_b32_e32 v31, v1, v28
	s_delay_alu instid0(VALU_DEP_2) | instskip(NEXT) | instid1(VALU_DEP_1)
	v_xor_b32_e32 v30, v14, v28
	v_sub_nc_u64_e32 v[28:29], v[30:31], v[28:29]
.LBB81_9:                               ;   in Loop: Header=BB81_7 Depth=1
	s_and_not1_saveexec_b32 s0, s31
	s_cbranch_execz .LBB81_6
; %bb.10:                               ;   in Loop: Header=BB81_7 Depth=1
	v_cvt_f32_u32_e32 v1, s38
	s_sub_co_i32 s31, 0, s38
	v_mov_b32_e32 v29, v24
	s_delay_alu instid0(VALU_DEP_2) | instskip(SKIP_1) | instid1(TRANS32_DEP_1)
	v_rcp_iflag_f32_e32 v1, v1
	v_nop
	v_mul_f32_e32 v1, 0x4f7ffffe, v1
	s_delay_alu instid0(VALU_DEP_1) | instskip(NEXT) | instid1(VALU_DEP_1)
	v_cvt_u32_f32_e32 v1, v1
	v_mul_lo_u32 v14, s31, v1
	s_delay_alu instid0(VALU_DEP_1) | instskip(NEXT) | instid1(VALU_DEP_1)
	v_mul_hi_u32 v14, v1, v14
	v_add_nc_u32_e32 v1, v1, v14
	s_delay_alu instid0(VALU_DEP_1) | instskip(NEXT) | instid1(VALU_DEP_1)
	v_mul_hi_u32 v1, v26, v1
	v_mul_lo_u32 v14, v1, s38
	s_delay_alu instid0(VALU_DEP_1) | instskip(NEXT) | instid1(VALU_DEP_1)
	v_dual_add_nc_u32 v25, 1, v1 :: v_dual_sub_nc_u32 v14, v26, v14
	v_subrev_nc_u32_e32 v28, s38, v14
	v_cmp_le_u32_e32 vcc_lo, s38, v14
	s_delay_alu instid0(VALU_DEP_2) | instskip(NEXT) | instid1(VALU_DEP_1)
	v_dual_cndmask_b32 v14, v14, v28 :: v_dual_cndmask_b32 v1, v1, v25
	v_cmp_le_u32_e32 vcc_lo, s38, v14
	s_delay_alu instid0(VALU_DEP_2) | instskip(NEXT) | instid1(VALU_DEP_1)
	v_add_nc_u32_e32 v25, 1, v1
	v_cndmask_b32_e32 v28, v1, v25, vcc_lo
	s_branch .LBB81_6
.LBB81_11:
	s_get_pc_i64 s[0:1]
	s_add_nc_u64 s[0:1], s[0:1], .str.9@rel64+4
	s_mov_b32 s35, -1
	s_cmp_lg_u64 s[0:1], 0
	s_mov_b32 s0, 0
	s_cselect_b32 s27, -1, 0
	s_mov_b32 s48, 0
	s_mov_b32 s1, exec_lo
	v_cmpx_gt_i32_e64 v2, v6
	s_cbranch_execz .LBB81_17
; %bb.12:
	v_lshlrev_b64_e32 v[22:23], 2, v[22:23]
	v_dual_mov_b32 v24, v6 :: v_dual_ashrrev_i32 v25, 31, v6
	v_dual_mov_b32 v28, v2 :: v_dual_ashrrev_i32 v29, 31, v2
	s_mov_b32 s31, 0
	s_xor_b32 s35, s27, -1
	s_delay_alu instid0(VALU_DEP_2) | instskip(SKIP_1) | instid1(VALU_DEP_2)
	v_lshl_add_u64 v[24:25], v[24:25], 2, v[22:23]
	v_add_nc_u64_e32 v[26:27], s[28:29], v[22:23]
                                        ; implicit-def: $sgpr34
                                        ; implicit-def: $sgpr37
                                        ; implicit-def: $sgpr36
	v_add_nc_u64_e32 v[24:25], s[28:29], v[24:25]
	s_delay_alu instid0(VALU_DEP_1) | instskip(NEXT) | instid1(VALU_DEP_3)
	v_add_nc_u64_e32 v[22:23], 4, v[24:25]
	v_lshl_add_u64 v[24:25], v[28:29], 2, v[26:27]
	s_branch .LBB81_14
.LBB81_13:                              ;   in Loop: Header=BB81_14 Depth=1
	s_or_b32 exec_lo, exec_lo, s38
	s_delay_alu instid0(SALU_CYCLE_1) | instskip(NEXT) | instid1(SALU_CYCLE_1)
	s_and_b32 s38, exec_lo, s37
	s_or_b32 s31, s38, s31
	s_and_not1_b32 s34, s34, exec_lo
	s_and_b32 s38, s36, exec_lo
	s_delay_alu instid0(SALU_CYCLE_1)
	s_or_b32 s34, s34, s38
	s_and_not1_b32 exec_lo, exec_lo, s31
	s_cbranch_execz .LBB81_16
.LBB81_14:                              ; =>This Inner Loop Header: Depth=1
	s_or_b32 s36, s36, exec_lo
	s_or_b32 s37, s37, exec_lo
	s_mov_b32 s38, exec_lo
	s_delay_alu instid0(VALU_DEP_2)
	v_cmpx_lt_u64_e64 v[22:23], v[24:25]
	s_cbranch_execz .LBB81_13
; %bb.15:                               ;   in Loop: Header=BB81_14 Depth=1
	global_load_b64 v[26:27], v[22:23], off offset:-4
	s_wait_xcnt 0x0
	v_add_nc_u64_e32 v[22:23], 4, v[22:23]
	s_and_not1_b32 s37, s37, exec_lo
	s_and_not1_b32 s36, s36, exec_lo
	s_wait_loadcnt 0x0
	v_cmp_ge_i32_e32 vcc_lo, v26, v27
	s_or_b32 s39, s35, vcc_lo
	s_delay_alu instid0(SALU_CYCLE_1) | instskip(NEXT) | instid1(SALU_CYCLE_1)
	s_and_b32 s39, s39, exec_lo
	s_or_b32 s37, s37, s39
	s_branch .LBB81_13
.LBB81_16:
	s_or_b32 exec_lo, exec_lo, s31
	s_delay_alu instid0(SALU_CYCLE_1)
	s_mov_b32 s48, exec_lo
	s_or_not1_b32 s35, s34, exec_lo
.LBB81_17:
	s_or_b32 exec_lo, exec_lo, s1
	s_mov_b32 s31, 0
	s_mov_b32 s34, 0
	;; [unrolled: 1-line block ×3, first 2 shown]
	s_and_saveexec_b32 s49, s35
	s_cbranch_execz .LBB81_61
; %bb.18:
	s_mov_b32 s0, -1
	s_mov_b32 s1, 0
	s_mov_b32 s35, 0
	s_mov_b32 s50, exec_lo
	v_cmpx_eq_u32_e64 v11, v10
	s_cbranch_execz .LBB81_60
; %bb.19:
	s_mov_b32 s1, -1
	s_mov_b32 s0, 0
	s_mov_b32 s37, 0
	s_mov_b32 s51, exec_lo
	v_cmpx_eq_u32_e64 v19, v18
	s_cbranch_execz .LBB81_59
; %bb.20:
	v_sub_nc_u32_e32 v1, v3, v7
	s_delay_alu instid0(VALU_DEP_1) | instskip(SKIP_2) | instid1(SALU_CYCLE_1)
	v_cmp_le_i32_e32 vcc_lo, v10, v1
	v_cmp_ge_i32_e64 s0, s16, v1
	s_and_b32 s0, vcc_lo, s0
	s_and_saveexec_b32 s52, s0
	s_cbranch_execz .LBB81_58
; %bb.21:
	v_mov_b64_e32 v[22:23], 0
	s_and_not1_b32 vcc_lo, exec_lo, s17
	s_cbranch_vccnz .LBB81_28
; %bb.22:
	s_wait_loadcnt 0x0
	v_dual_mov_b32 v22, v15 :: v_dual_ashrrev_i32 v23, 31, v15
	s_ashr_i32 s31, s30, 31
	v_mov_b32_e32 v14, 0
	s_lshl_b64 s[0:1], s[30:31], 3
	s_mov_b64 s[34:35], 0xffffffff
	v_mul_u64_e32 v[24:25], s[18:19], v[22:23]
	v_mov_b64_e32 v[22:23], 0
	s_add_nc_u64 s[0:1], s[20:21], s[0:1]
	s_mov_b32 s31, s26
	s_add_nc_u64 s[36:37], s[0:1], 32
	s_mov_b32 s1, 0
	s_branch .LBB81_24
.LBB81_23:                              ;   in Loop: Header=BB81_24 Depth=1
	s_or_b32 exec_lo, exec_lo, s0
	s_delay_alu instid0(VALU_DEP_1)
	v_mul_u64_e32 v[28:29], s[38:39], v[26:27]
	s_load_b64 s[38:39], s[36:37], 0x40
	s_add_co_i32 s31, s31, -1
	s_wait_xcnt 0x0
	s_add_nc_u64 s[36:37], s[36:37], -8
	s_cmp_lg_u32 s31, 0
	s_delay_alu instid0(VALU_DEP_1) | instskip(SKIP_1) | instid1(VALU_DEP_1)
	v_sub_nc_u64_e32 v[24:25], v[24:25], v[28:29]
	s_wait_kmcnt 0x0
	v_mad_nc_u64_u32 v[22:23], v24, s38, v[22:23]
	s_delay_alu instid0(VALU_DEP_1) | instskip(NEXT) | instid1(VALU_DEP_1)
	v_mad_u32 v1, v25, s38, v23
	v_mad_u32 v23, v24, s39, v1
	v_mov_b64_e32 v[24:25], v[26:27]
	s_cbranch_scc0 .LBB81_28
.LBB81_24:                              ; =>This Inner Loop Header: Depth=1
	s_load_b64 s[38:39], s[36:37], 0x0
                                        ; implicit-def: $vgpr26_vgpr27
	s_mov_b32 s0, exec_lo
	s_wait_kmcnt 0x0
	s_delay_alu instid0(VALU_DEP_1) | instskip(NEXT) | instid1(VALU_DEP_1)
	v_or_b32_e32 v15, s39, v25
	v_cmpx_ne_u64_e32 0, v[14:15]
	s_xor_b32 s53, exec_lo, s0
	s_cbranch_execz .LBB81_26
; %bb.25:                               ;   in Loop: Header=BB81_24 Depth=1
	s_ashr_i32 s40, s39, 31
	v_dual_mov_b32 v31, v14 :: v_dual_ashrrev_i32 v26, 31, v25
	s_mov_b32 s41, s40
	v_mov_b32_e32 v39, v14
	s_add_nc_u64 s[42:43], s[38:39], s[40:41]
	s_delay_alu instid0(VALU_DEP_2) | instskip(SKIP_1) | instid1(SALU_CYCLE_1)
	v_mov_b32_e32 v27, v26
	s_xor_b64 s[42:43], s[42:43], s[40:41]
	s_cvt_f32_u32 s0, s42
	s_cvt_f32_u32 s41, s43
	s_sub_nc_u64 s[56:57], 0, s[42:43]
	v_add_nc_u64_e32 v[28:29], v[24:25], v[26:27]
	v_mov_b32_e32 v35, v14
	s_fmamk_f32 s0, s41, 0x4f800000, s0
	s_delay_alu instid0(SALU_CYCLE_3) | instskip(NEXT) | instid1(VALU_DEP_2)
	v_s_rcp_f32 s0, s0
	v_xor_b32_e32 v30, v28, v26
	s_delay_alu instid0(VALU_DEP_3) | instskip(NEXT) | instid1(TRANS32_DEP_1)
	v_xor_b32_e32 v34, v29, v26
	s_mul_f32 s0, s0, 0x5f7ffffc
	s_delay_alu instid0(SALU_CYCLE_3) | instskip(NEXT) | instid1(SALU_CYCLE_3)
	s_mul_f32 s41, s0, 0x2f800000
	s_trunc_f32 s41, s41
	s_delay_alu instid0(SALU_CYCLE_3) | instskip(SKIP_1) | instid1(SALU_CYCLE_2)
	s_fmamk_f32 s0, s41, 0xcf800000, s0
	s_cvt_u32_f32 s55, s41
	s_cvt_u32_f32 s54, s0
	s_delay_alu instid0(SALU_CYCLE_3) | instskip(NEXT) | instid1(SALU_CYCLE_1)
	s_mul_u64 s[58:59], s[56:57], s[54:55]
	s_mul_hi_u32 s61, s54, s59
	s_mul_i32 s60, s54, s59
	s_mul_hi_u32 s0, s54, s58
	s_mul_i32 s62, s55, s58
	s_add_nc_u64 s[60:61], s[0:1], s[60:61]
	s_mul_hi_u32 s41, s55, s58
	s_mul_hi_u32 s63, s55, s59
	s_add_co_u32 s0, s60, s62
	s_add_co_ci_u32 s0, s61, s41
	s_mul_i32 s58, s55, s59
	s_add_co_ci_u32 s59, s63, 0
	s_delay_alu instid0(SALU_CYCLE_1) | instskip(NEXT) | instid1(SALU_CYCLE_1)
	s_add_nc_u64 s[58:59], s[0:1], s[58:59]
	s_add_co_u32 s54, s54, s58
	s_cselect_b32 s0, -1, 0
	s_delay_alu instid0(SALU_CYCLE_1) | instskip(SKIP_1) | instid1(SALU_CYCLE_1)
	s_cmp_lg_u32 s0, 0
	s_add_co_ci_u32 s55, s55, s59
	s_mul_u64 s[56:57], s[56:57], s[54:55]
	s_delay_alu instid0(SALU_CYCLE_1)
	s_mul_hi_u32 s59, s54, s57
	s_mul_i32 s58, s54, s57
	s_mul_hi_u32 s0, s54, s56
	s_mul_i32 s60, s55, s56
	s_add_nc_u64 s[58:59], s[0:1], s[58:59]
	s_mul_hi_u32 s41, s55, s56
	s_mul_hi_u32 s61, s55, s57
	s_add_co_u32 s0, s58, s60
	s_add_co_ci_u32 s0, s59, s41
	s_mul_i32 s56, s55, s57
	s_add_co_ci_u32 s57, s61, 0
	s_delay_alu instid0(SALU_CYCLE_1) | instskip(NEXT) | instid1(SALU_CYCLE_1)
	s_add_nc_u64 s[56:57], s[0:1], s[56:57]
	s_add_co_u32 s54, s54, s56
	s_cselect_b32 s0, -1, 0
	v_mul_hi_u32 v38, v30, s54
	s_cmp_lg_u32 s0, 0
	s_add_co_ci_u32 s0, s55, s57
	s_and_b64 s[56:57], s[54:55], s[34:35]
	v_mul_u64_e32 v[32:33], s[0:1], v[30:31]
	v_mul_u64_e32 v[28:29], s[56:57], v[34:35]
	;; [unrolled: 1-line block ×3, first 2 shown]
	s_delay_alu instid0(VALU_DEP_3) | instskip(NEXT) | instid1(VALU_DEP_1)
	v_add_nc_u64_e32 v[32:33], v[38:39], v[32:33]
	v_add_co_u32 v1, vcc_lo, v32, v28
	s_delay_alu instid0(VALU_DEP_2) | instskip(NEXT) | instid1(VALU_DEP_4)
	v_add_co_ci_u32_e32 v38, vcc_lo, v33, v29, vcc_lo
	v_add_co_ci_u32_e32 v37, vcc_lo, 0, v37, vcc_lo
	s_delay_alu instid0(VALU_DEP_1) | instskip(NEXT) | instid1(VALU_DEP_1)
	v_add_nc_u64_e32 v[28:29], v[38:39], v[36:37]
	v_mul_u64_e32 v[32:33], s[42:43], v[28:29]
	s_delay_alu instid0(VALU_DEP_1) | instskip(NEXT) | instid1(VALU_DEP_2)
	v_sub_nc_u32_e32 v1, v34, v33
	v_sub_co_u32 v2, vcc_lo, v30, v32
	s_delay_alu instid0(VALU_DEP_1) | instskip(NEXT) | instid1(VALU_DEP_3)
	v_sub_co_ci_u32_e64 v11, null, v34, v33, vcc_lo
	v_subrev_co_ci_u32_e64 v1, null, s43, v1, vcc_lo
	s_delay_alu instid0(VALU_DEP_3) | instskip(SKIP_1) | instid1(VALU_DEP_3)
	v_sub_co_u32 v6, s0, v2, s42
	v_add_nc_u64_e32 v[30:31], 2, v[28:29]
	v_subrev_co_ci_u32_e64 v1, null, 0, v1, s0
	s_delay_alu instid0(VALU_DEP_3) | instskip(SKIP_2) | instid1(VALU_DEP_4)
	v_cmp_le_u32_e32 vcc_lo, s42, v6
	v_add_nc_u64_e32 v[32:33], 1, v[28:29]
	v_cndmask_b32_e64 v6, 0, -1, vcc_lo
	v_cmp_le_u32_e32 vcc_lo, s43, v1
	v_cndmask_b32_e64 v15, 0, -1, vcc_lo
	v_cmp_le_u32_e32 vcc_lo, s42, v2
	;; [unrolled: 2-line block ×3, first 2 shown]
	v_cndmask_b32_e64 v19, 0, -1, vcc_lo
	v_cmp_eq_u32_e32 vcc_lo, s43, v1
	v_cndmask_b32_e32 v1, v15, v6, vcc_lo
	v_cmp_eq_u32_e32 vcc_lo, s43, v11
	s_delay_alu instid0(VALU_DEP_4) | instskip(NEXT) | instid1(VALU_DEP_3)
	v_cndmask_b32_e32 v2, v19, v2, vcc_lo
	v_cmp_ne_u32_e32 vcc_lo, 0, v1
	s_delay_alu instid0(VALU_DEP_2) | instskip(SKIP_1) | instid1(VALU_DEP_1)
	v_cmp_ne_u32_e64 s0, 0, v2
	v_dual_cndmask_b32 v1, v33, v31 :: v_dual_cndmask_b32 v2, v32, v30
	v_dual_cndmask_b32 v1, v29, v1, s0 :: v_dual_bitop2_b32 v26, s40, v26 bitop3:0x14
	s_delay_alu instid0(VALU_DEP_1) | instskip(NEXT) | instid1(VALU_DEP_2)
	v_dual_cndmask_b32 v2, v28, v2, s0 :: v_dual_mov_b32 v27, v26
	v_xor_b32_e32 v29, v1, v26
	s_delay_alu instid0(VALU_DEP_2) | instskip(NEXT) | instid1(VALU_DEP_1)
	v_xor_b32_e32 v28, v2, v26
	v_sub_nc_u64_e32 v[26:27], v[28:29], v[26:27]
.LBB81_26:                              ;   in Loop: Header=BB81_24 Depth=1
	s_and_not1_saveexec_b32 s0, s53
	s_cbranch_execz .LBB81_23
; %bb.27:                               ;   in Loop: Header=BB81_24 Depth=1
	v_cvt_f32_u32_e32 v1, s38
	s_sub_co_i32 s40, 0, s38
	v_mov_b32_e32 v27, v14
	s_delay_alu instid0(VALU_DEP_2) | instskip(SKIP_1) | instid1(TRANS32_DEP_1)
	v_rcp_iflag_f32_e32 v1, v1
	v_nop
	v_mul_f32_e32 v1, 0x4f7ffffe, v1
	s_delay_alu instid0(VALU_DEP_1) | instskip(NEXT) | instid1(VALU_DEP_1)
	v_cvt_u32_f32_e32 v1, v1
	v_mul_lo_u32 v2, s40, v1
	s_delay_alu instid0(VALU_DEP_1) | instskip(NEXT) | instid1(VALU_DEP_1)
	v_mul_hi_u32 v2, v1, v2
	v_add_nc_u32_e32 v1, v1, v2
	s_delay_alu instid0(VALU_DEP_1) | instskip(NEXT) | instid1(VALU_DEP_1)
	v_mul_hi_u32 v1, v24, v1
	v_mul_lo_u32 v2, v1, s38
	s_delay_alu instid0(VALU_DEP_1) | instskip(NEXT) | instid1(VALU_DEP_1)
	v_dual_add_nc_u32 v6, 1, v1 :: v_dual_sub_nc_u32 v2, v24, v2
	v_subrev_nc_u32_e32 v11, s38, v2
	v_cmp_le_u32_e32 vcc_lo, s38, v2
	s_delay_alu instid0(VALU_DEP_2) | instskip(NEXT) | instid1(VALU_DEP_1)
	v_dual_cndmask_b32 v2, v2, v11 :: v_dual_cndmask_b32 v1, v1, v6
	v_cmp_le_u32_e32 vcc_lo, s38, v2
	s_delay_alu instid0(VALU_DEP_2) | instskip(NEXT) | instid1(VALU_DEP_1)
	v_add_nc_u32_e32 v6, 1, v1
	v_cndmask_b32_e32 v26, v1, v6, vcc_lo
	s_branch .LBB81_23
.LBB81_28:
	s_mov_b32 s36, -1
	s_mov_b32 s0, 0
	s_mov_b32 s53, 0
	s_mov_b32 s1, exec_lo
	v_cmpx_gt_i32_e64 v3, v7
	s_cbranch_execz .LBB81_34
; %bb.29:
	s_wait_loadcnt 0x0
	s_delay_alu instid0(VALU_DEP_2) | instskip(SKIP_3) | instid1(VALU_DEP_1)
	v_lshlrev_b64_e32 v[14:15], 2, v[22:23]
	v_dual_mov_b32 v22, v7 :: v_dual_ashrrev_i32 v23, 31, v7
	s_mov_b32 s31, 0
	s_xor_b32 s35, s27, -1
                                        ; implicit-def: $sgpr34
                                        ; implicit-def: $sgpr37
                                        ; implicit-def: $sgpr36
	v_lshl_add_u64 v[6:7], v[22:23], 2, v[14:15]
	v_add_nc_u64_e32 v[14:15], s[28:29], v[14:15]
	v_dual_mov_b32 v22, v3 :: v_dual_ashrrev_i32 v23, 31, v3
	s_delay_alu instid0(VALU_DEP_3) | instskip(NEXT) | instid1(VALU_DEP_1)
	v_add_nc_u64_e32 v[6:7], s[28:29], v[6:7]
	v_add_nc_u64_e32 v[2:3], 4, v[6:7]
	s_delay_alu instid0(VALU_DEP_3)
	v_lshl_add_u64 v[6:7], v[22:23], 2, v[14:15]
	s_branch .LBB81_31
.LBB81_30:                              ;   in Loop: Header=BB81_31 Depth=1
	s_or_b32 exec_lo, exec_lo, s38
	s_delay_alu instid0(SALU_CYCLE_1) | instskip(NEXT) | instid1(SALU_CYCLE_1)
	s_and_b32 s38, exec_lo, s37
	s_or_b32 s31, s38, s31
	s_and_not1_b32 s34, s34, exec_lo
	s_and_b32 s38, s36, exec_lo
	s_delay_alu instid0(SALU_CYCLE_1)
	s_or_b32 s34, s34, s38
	s_and_not1_b32 exec_lo, exec_lo, s31
	s_cbranch_execz .LBB81_33
.LBB81_31:                              ; =>This Inner Loop Header: Depth=1
	s_or_b32 s36, s36, exec_lo
	s_or_b32 s37, s37, exec_lo
	s_mov_b32 s38, exec_lo
	s_delay_alu instid0(VALU_DEP_2)
	v_cmpx_lt_u64_e64 v[2:3], v[6:7]
	s_cbranch_execz .LBB81_30
; %bb.32:                               ;   in Loop: Header=BB81_31 Depth=1
	global_load_b64 v[14:15], v[2:3], off offset:-4
	s_and_not1_b32 s37, s37, exec_lo
	s_wait_xcnt 0x0
	v_add_nc_u64_e32 v[2:3], 4, v[2:3]
	s_and_not1_b32 s36, s36, exec_lo
	s_wait_loadcnt 0x0
	v_cmp_ge_i32_e32 vcc_lo, v14, v15
	s_or_b32 s39, s35, vcc_lo
	s_delay_alu instid0(SALU_CYCLE_1) | instskip(NEXT) | instid1(SALU_CYCLE_1)
	s_and_b32 s39, s39, exec_lo
	s_or_b32 s37, s37, s39
	s_branch .LBB81_30
.LBB81_33:
	s_or_b32 exec_lo, exec_lo, s31
	s_delay_alu instid0(SALU_CYCLE_1)
	s_mov_b32 s53, exec_lo
	s_or_not1_b32 s36, s34, exec_lo
.LBB81_34:
	s_or_b32 exec_lo, exec_lo, s1
	s_mov_b32 s31, 0
	s_mov_b32 s34, 0
	;; [unrolled: 1-line block ×3, first 2 shown]
	s_and_saveexec_b32 s54, s36
	s_cbranch_execz .LBB81_57
; %bb.35:
	s_mov_b32 s0, -1
	s_mov_b32 s1, 0
	s_mov_b32 s36, 0
	s_mov_b32 s55, exec_lo
	v_cmpx_eq_u32_e64 v12, v10
	s_cbranch_execz .LBB81_56
; %bb.36:
	s_mov_b32 s1, -1
	s_mov_b32 s0, 0
	s_mov_b32 s56, exec_lo
	v_cmpx_eq_u32_e64 v20, v18
	s_cbranch_execz .LBB81_55
; %bb.37:
	v_sub_nc_u32_e32 v1, v4, v8
	s_delay_alu instid0(VALU_DEP_1) | instskip(SKIP_2) | instid1(SALU_CYCLE_1)
	v_cmp_le_i32_e32 vcc_lo, v10, v1
	v_cmp_ge_i32_e64 s0, s16, v1
	s_and_b32 s0, vcc_lo, s0
	s_and_saveexec_b32 s57, s0
	s_cbranch_execz .LBB81_54
; %bb.38:
	v_mov_b64_e32 v[2:3], 0
	s_and_not1_b32 vcc_lo, exec_lo, s17
	s_cbranch_vccnz .LBB81_45
; %bb.39:
	s_wait_loadcnt 0x0
	v_dual_mov_b32 v2, v16 :: v_dual_ashrrev_i32 v3, 31, v16
	s_ashr_i32 s31, s30, 31
	v_mov_b32_e32 v6, 0
	s_lshl_b64 s[0:1], s[30:31], 3
	s_mov_b64 s[34:35], 0xffffffff
	v_mul_u64_e32 v[14:15], s[18:19], v[2:3]
	v_mov_b64_e32 v[2:3], 0
	s_add_nc_u64 s[0:1], s[20:21], s[0:1]
	s_mov_b32 s31, s26
	s_add_nc_u64 s[36:37], s[0:1], 32
	s_mov_b32 s1, 0
	s_branch .LBB81_41
.LBB81_40:                              ;   in Loop: Header=BB81_41 Depth=1
	s_or_b32 exec_lo, exec_lo, s0
	s_delay_alu instid0(VALU_DEP_1)
	v_mul_u64_e32 v[24:25], s[38:39], v[22:23]
	s_load_b64 s[38:39], s[36:37], 0x40
	s_add_co_i32 s31, s31, -1
	s_wait_xcnt 0x0
	s_add_nc_u64 s[36:37], s[36:37], -8
	s_cmp_lg_u32 s31, 0
	s_delay_alu instid0(VALU_DEP_1) | instskip(SKIP_1) | instid1(VALU_DEP_1)
	v_sub_nc_u64_e32 v[14:15], v[14:15], v[24:25]
	s_wait_kmcnt 0x0
	v_mad_nc_u64_u32 v[2:3], v14, s38, v[2:3]
	s_delay_alu instid0(VALU_DEP_1) | instskip(NEXT) | instid1(VALU_DEP_1)
	v_mad_u32 v1, v15, s38, v3
	v_mad_u32 v3, v14, s39, v1
	v_mov_b64_e32 v[14:15], v[22:23]
	s_cbranch_scc0 .LBB81_45
.LBB81_41:                              ; =>This Inner Loop Header: Depth=1
	s_load_b64 s[38:39], s[36:37], 0x0
                                        ; implicit-def: $vgpr22_vgpr23
	s_mov_b32 s0, exec_lo
	s_wait_kmcnt 0x0
	s_delay_alu instid0(VALU_DEP_1) | instskip(NEXT) | instid1(VALU_DEP_1)
	v_or_b32_e32 v7, s39, v15
	v_cmpx_ne_u64_e32 0, v[6:7]
	s_xor_b32 s58, exec_lo, s0
	s_cbranch_execz .LBB81_43
; %bb.42:                               ;   in Loop: Header=BB81_41 Depth=1
	s_ashr_i32 s40, s39, 31
	v_dual_mov_b32 v27, v6 :: v_dual_ashrrev_i32 v22, 31, v15
	s_mov_b32 s41, s40
	v_mov_b32_e32 v35, v6
	s_add_nc_u64 s[42:43], s[38:39], s[40:41]
	s_delay_alu instid0(VALU_DEP_2) | instskip(SKIP_1) | instid1(SALU_CYCLE_1)
	v_mov_b32_e32 v23, v22
	s_xor_b64 s[42:43], s[42:43], s[40:41]
	s_cvt_f32_u32 s0, s42
	s_cvt_f32_u32 s41, s43
	s_sub_nc_u64 s[62:63], 0, s[42:43]
	v_add_nc_u64_e32 v[24:25], v[14:15], v[22:23]
	v_mov_b32_e32 v31, v6
	s_fmamk_f32 s0, s41, 0x4f800000, s0
	s_delay_alu instid0(SALU_CYCLE_3) | instskip(NEXT) | instid1(VALU_DEP_2)
	v_s_rcp_f32 s0, s0
	v_xor_b32_e32 v26, v24, v22
	s_delay_alu instid0(VALU_DEP_3) | instskip(NEXT) | instid1(TRANS32_DEP_1)
	v_xor_b32_e32 v30, v25, v22
	s_mul_f32 s0, s0, 0x5f7ffffc
	s_delay_alu instid0(SALU_CYCLE_3) | instskip(NEXT) | instid1(SALU_CYCLE_3)
	s_mul_f32 s41, s0, 0x2f800000
	s_trunc_f32 s41, s41
	s_delay_alu instid0(SALU_CYCLE_3) | instskip(SKIP_1) | instid1(SALU_CYCLE_2)
	s_fmamk_f32 s0, s41, 0xcf800000, s0
	s_cvt_u32_f32 s61, s41
	s_cvt_u32_f32 s60, s0
	s_delay_alu instid0(SALU_CYCLE_3) | instskip(NEXT) | instid1(SALU_CYCLE_1)
	s_mul_u64 s[64:65], s[62:63], s[60:61]
	s_mul_hi_u32 s67, s60, s65
	s_mul_i32 s66, s60, s65
	s_mul_hi_u32 s0, s60, s64
	s_mul_i32 s59, s61, s64
	s_add_nc_u64 s[66:67], s[0:1], s[66:67]
	s_mul_hi_u32 s41, s61, s64
	s_mul_hi_u32 s68, s61, s65
	s_add_co_u32 s0, s66, s59
	s_add_co_ci_u32 s0, s67, s41
	s_mul_i32 s64, s61, s65
	s_add_co_ci_u32 s65, s68, 0
	s_delay_alu instid0(SALU_CYCLE_1) | instskip(NEXT) | instid1(SALU_CYCLE_1)
	s_add_nc_u64 s[64:65], s[0:1], s[64:65]
	s_add_co_u32 s60, s60, s64
	s_cselect_b32 s0, -1, 0
	s_delay_alu instid0(SALU_CYCLE_1) | instskip(SKIP_1) | instid1(SALU_CYCLE_1)
	s_cmp_lg_u32 s0, 0
	s_add_co_ci_u32 s61, s61, s65
	s_mul_u64 s[62:63], s[62:63], s[60:61]
	s_delay_alu instid0(SALU_CYCLE_1)
	s_mul_hi_u32 s65, s60, s63
	s_mul_i32 s64, s60, s63
	s_mul_hi_u32 s0, s60, s62
	s_mul_i32 s59, s61, s62
	s_add_nc_u64 s[64:65], s[0:1], s[64:65]
	s_mul_hi_u32 s41, s61, s62
	s_mul_hi_u32 s66, s61, s63
	s_add_co_u32 s0, s64, s59
	s_add_co_ci_u32 s0, s65, s41
	s_mul_i32 s62, s61, s63
	s_add_co_ci_u32 s63, s66, 0
	s_delay_alu instid0(SALU_CYCLE_1) | instskip(NEXT) | instid1(SALU_CYCLE_1)
	s_add_nc_u64 s[62:63], s[0:1], s[62:63]
	s_add_co_u32 s60, s60, s62
	s_cselect_b32 s0, -1, 0
	v_mul_hi_u32 v34, v26, s60
	s_cmp_lg_u32 s0, 0
	s_add_co_ci_u32 s0, s61, s63
	s_and_b64 s[62:63], s[60:61], s[34:35]
	v_mul_u64_e32 v[28:29], s[0:1], v[26:27]
	v_mul_u64_e32 v[24:25], s[62:63], v[30:31]
	;; [unrolled: 1-line block ×3, first 2 shown]
	s_delay_alu instid0(VALU_DEP_3) | instskip(NEXT) | instid1(VALU_DEP_1)
	v_add_nc_u64_e32 v[28:29], v[34:35], v[28:29]
	v_add_co_u32 v1, vcc_lo, v28, v24
	s_delay_alu instid0(VALU_DEP_2) | instskip(NEXT) | instid1(VALU_DEP_4)
	v_add_co_ci_u32_e32 v34, vcc_lo, v29, v25, vcc_lo
	v_add_co_ci_u32_e32 v33, vcc_lo, 0, v33, vcc_lo
	s_delay_alu instid0(VALU_DEP_1) | instskip(NEXT) | instid1(VALU_DEP_1)
	v_add_nc_u64_e32 v[24:25], v[34:35], v[32:33]
	v_mul_u64_e32 v[28:29], s[42:43], v[24:25]
	s_delay_alu instid0(VALU_DEP_1) | instskip(NEXT) | instid1(VALU_DEP_2)
	v_sub_nc_u32_e32 v1, v30, v29
	v_sub_co_u32 v7, vcc_lo, v26, v28
	s_delay_alu instid0(VALU_DEP_1) | instskip(NEXT) | instid1(VALU_DEP_3)
	v_sub_co_ci_u32_e64 v12, null, v30, v29, vcc_lo
	v_subrev_co_ci_u32_e64 v1, null, s43, v1, vcc_lo
	s_delay_alu instid0(VALU_DEP_3) | instskip(SKIP_1) | instid1(VALU_DEP_3)
	v_sub_co_u32 v11, s0, v7, s42
	v_add_nc_u64_e32 v[26:27], 2, v[24:25]
	v_subrev_co_ci_u32_e64 v1, null, 0, v1, s0
	s_delay_alu instid0(VALU_DEP_3) | instskip(SKIP_2) | instid1(VALU_DEP_4)
	v_cmp_le_u32_e32 vcc_lo, s42, v11
	v_add_nc_u64_e32 v[28:29], 1, v[24:25]
	v_cndmask_b32_e64 v11, 0, -1, vcc_lo
	v_cmp_le_u32_e32 vcc_lo, s43, v1
	v_cndmask_b32_e64 v16, 0, -1, vcc_lo
	v_cmp_le_u32_e32 vcc_lo, s42, v7
	;; [unrolled: 2-line block ×3, first 2 shown]
	v_cndmask_b32_e64 v19, 0, -1, vcc_lo
	v_cmp_eq_u32_e32 vcc_lo, s43, v1
	v_cndmask_b32_e32 v1, v16, v11, vcc_lo
	v_cmp_eq_u32_e32 vcc_lo, s43, v12
	s_delay_alu instid0(VALU_DEP_4) | instskip(NEXT) | instid1(VALU_DEP_3)
	v_cndmask_b32_e32 v7, v19, v7, vcc_lo
	v_cmp_ne_u32_e32 vcc_lo, 0, v1
	s_delay_alu instid0(VALU_DEP_2) | instskip(SKIP_1) | instid1(VALU_DEP_1)
	v_cmp_ne_u32_e64 s0, 0, v7
	v_dual_cndmask_b32 v1, v29, v27, vcc_lo :: v_dual_cndmask_b32 v7, v28, v26, vcc_lo
	v_dual_cndmask_b32 v1, v25, v1, s0 :: v_dual_bitop2_b32 v22, s40, v22 bitop3:0x14
	s_delay_alu instid0(VALU_DEP_1) | instskip(NEXT) | instid1(VALU_DEP_2)
	v_dual_cndmask_b32 v7, v24, v7, s0 :: v_dual_mov_b32 v23, v22
	v_xor_b32_e32 v25, v1, v22
	s_delay_alu instid0(VALU_DEP_2) | instskip(NEXT) | instid1(VALU_DEP_1)
	v_xor_b32_e32 v24, v7, v22
	v_sub_nc_u64_e32 v[22:23], v[24:25], v[22:23]
.LBB81_43:                              ;   in Loop: Header=BB81_41 Depth=1
	s_and_not1_saveexec_b32 s0, s58
	s_cbranch_execz .LBB81_40
; %bb.44:                               ;   in Loop: Header=BB81_41 Depth=1
	v_cvt_f32_u32_e32 v1, s38
	s_sub_co_i32 s40, 0, s38
	v_mov_b32_e32 v23, v6
	s_delay_alu instid0(VALU_DEP_2) | instskip(SKIP_1) | instid1(TRANS32_DEP_1)
	v_rcp_iflag_f32_e32 v1, v1
	v_nop
	v_mul_f32_e32 v1, 0x4f7ffffe, v1
	s_delay_alu instid0(VALU_DEP_1) | instskip(NEXT) | instid1(VALU_DEP_1)
	v_cvt_u32_f32_e32 v1, v1
	v_mul_lo_u32 v7, s40, v1
	s_delay_alu instid0(VALU_DEP_1) | instskip(NEXT) | instid1(VALU_DEP_1)
	v_mul_hi_u32 v7, v1, v7
	v_add_nc_u32_e32 v1, v1, v7
	s_delay_alu instid0(VALU_DEP_1) | instskip(NEXT) | instid1(VALU_DEP_1)
	v_mul_hi_u32 v1, v14, v1
	v_mul_lo_u32 v7, v1, s38
	s_delay_alu instid0(VALU_DEP_1) | instskip(NEXT) | instid1(VALU_DEP_1)
	v_sub_nc_u32_e32 v7, v14, v7
	v_subrev_nc_u32_e32 v12, s38, v7
	v_cmp_le_u32_e32 vcc_lo, s38, v7
	s_delay_alu instid0(VALU_DEP_2) | instskip(NEXT) | instid1(VALU_DEP_1)
	v_dual_add_nc_u32 v11, 1, v1 :: v_dual_cndmask_b32 v7, v7, v12, vcc_lo
	v_cndmask_b32_e32 v1, v1, v11, vcc_lo
	s_delay_alu instid0(VALU_DEP_2) | instskip(NEXT) | instid1(VALU_DEP_2)
	v_cmp_le_u32_e32 vcc_lo, s38, v7
	v_add_nc_u32_e32 v11, 1, v1
	s_delay_alu instid0(VALU_DEP_1)
	v_cndmask_b32_e32 v22, v1, v11, vcc_lo
	s_branch .LBB81_40
.LBB81_45:
	s_mov_b32 s35, -1
	s_mov_b32 s0, 0
	s_mov_b32 s31, 0
	s_mov_b32 s1, exec_lo
	v_cmpx_gt_i32_e64 v4, v8
	s_cbranch_execz .LBB81_51
; %bb.46:
	s_delay_alu instid0(VALU_DEP_2) | instskip(SKIP_3) | instid1(VALU_DEP_2)
	v_lshlrev_b64_e32 v[2:3], 2, v[2:3]
	v_dual_mov_b32 v6, v8 :: v_dual_ashrrev_i32 v7, 31, v8
	v_dual_mov_b32 v22, v4 :: v_dual_ashrrev_i32 v23, 31, v4
	s_xor_b32 s35, s27, -1
                                        ; implicit-def: $sgpr34
                                        ; implicit-def: $sgpr37
                                        ; implicit-def: $sgpr36
	v_lshl_add_u64 v[6:7], v[6:7], 2, v[2:3]
	s_wait_loadcnt 0x0
	v_add_nc_u64_e32 v[14:15], s[28:29], v[2:3]
	s_delay_alu instid0(VALU_DEP_2) | instskip(NEXT) | instid1(VALU_DEP_1)
	v_add_nc_u64_e32 v[6:7], s[28:29], v[6:7]
	v_add_nc_u64_e32 v[2:3], 4, v[6:7]
	s_delay_alu instid0(VALU_DEP_3)
	v_lshl_add_u64 v[6:7], v[22:23], 2, v[14:15]
	s_branch .LBB81_48
.LBB81_47:                              ;   in Loop: Header=BB81_48 Depth=1
	s_or_b32 exec_lo, exec_lo, s38
	s_delay_alu instid0(SALU_CYCLE_1) | instskip(NEXT) | instid1(SALU_CYCLE_1)
	s_and_b32 s38, exec_lo, s37
	s_or_b32 s31, s38, s31
	s_and_not1_b32 s34, s34, exec_lo
	s_and_b32 s38, s36, exec_lo
	s_delay_alu instid0(SALU_CYCLE_1)
	s_or_b32 s34, s34, s38
	s_and_not1_b32 exec_lo, exec_lo, s31
	s_cbranch_execz .LBB81_50
.LBB81_48:                              ; =>This Inner Loop Header: Depth=1
	s_or_b32 s36, s36, exec_lo
	s_or_b32 s37, s37, exec_lo
	s_mov_b32 s38, exec_lo
	s_delay_alu instid0(VALU_DEP_2)
	v_cmpx_lt_u64_e64 v[2:3], v[6:7]
	s_cbranch_execz .LBB81_47
; %bb.49:                               ;   in Loop: Header=BB81_48 Depth=1
	global_load_b64 v[14:15], v[2:3], off offset:-4
	s_and_not1_b32 s37, s37, exec_lo
	s_wait_xcnt 0x0
	v_add_nc_u64_e32 v[2:3], 4, v[2:3]
	s_and_not1_b32 s36, s36, exec_lo
	s_wait_loadcnt 0x0
	v_cmp_ge_i32_e32 vcc_lo, v14, v15
	s_or_b32 s39, s35, vcc_lo
	s_delay_alu instid0(SALU_CYCLE_1) | instskip(NEXT) | instid1(SALU_CYCLE_1)
	s_and_b32 s39, s39, exec_lo
	s_or_b32 s37, s37, s39
	s_branch .LBB81_47
.LBB81_50:
	s_or_b32 exec_lo, exec_lo, s31
	s_delay_alu instid0(SALU_CYCLE_1)
	s_mov_b32 s31, exec_lo
	s_or_not1_b32 s35, s34, exec_lo
.LBB81_51:
	s_or_b32 exec_lo, exec_lo, s1
	s_mov_b32 s34, 0
	s_and_saveexec_b32 s1, s35
	s_delay_alu instid0(SALU_CYCLE_1)
	s_xor_b32 s1, exec_lo, s1
; %bb.52:
	v_cmp_ne_u32_e32 vcc_lo, v13, v10
	s_mov_b32 s34, exec_lo
	s_and_not1_b32 s31, s31, exec_lo
	s_and_b32 s0, vcc_lo, exec_lo
; %bb.53:
	s_or_b32 exec_lo, exec_lo, s1
	s_delay_alu instid0(SALU_CYCLE_1)
	s_and_b32 s35, s31, exec_lo
	s_xor_b32 s1, exec_lo, -1
	s_and_b32 s31, s34, exec_lo
	s_and_b32 s34, s0, exec_lo
.LBB81_54:
	s_or_b32 exec_lo, exec_lo, s57
	s_delay_alu instid0(SALU_CYCLE_1)
	s_and_b32 s36, s35, exec_lo
	s_and_b32 s35, s1, exec_lo
	s_xor_b32 s1, exec_lo, -1
	s_and_b32 s31, s31, exec_lo
	s_and_b32 s0, s34, exec_lo
.LBB81_55:
	s_or_b32 exec_lo, exec_lo, s56
	s_delay_alu instid0(SALU_CYCLE_1)
	s_and_b32 s36, s36, exec_lo
	s_and_b32 s35, s35, exec_lo
	;; [unrolled: 1-line block ×4, first 2 shown]
	s_or_not1_b32 s0, s0, exec_lo
.LBB81_56:
	s_or_b32 exec_lo, exec_lo, s55
	s_delay_alu instid0(SALU_CYCLE_1)
	s_and_not1_b32 s31, s53, exec_lo
	s_and_b32 s36, s36, exec_lo
	s_and_b32 s35, s35, exec_lo
	s_or_b32 s53, s31, s36
	s_and_b32 s34, s34, exec_lo
	s_and_b32 s31, s1, exec_lo
	;; [unrolled: 1-line block ×3, first 2 shown]
.LBB81_57:
	s_or_b32 exec_lo, exec_lo, s54
	s_delay_alu instid0(SALU_CYCLE_1)
	s_and_b32 s36, s53, exec_lo
	s_or_not1_b32 s1, s35, exec_lo
	s_and_b32 s35, s34, exec_lo
	s_and_b32 s34, s31, exec_lo
	;; [unrolled: 1-line block ×3, first 2 shown]
.LBB81_58:
	s_or_b32 exec_lo, exec_lo, s52
	s_delay_alu instid0(SALU_CYCLE_1)
	s_and_b32 s36, s36, exec_lo
	s_and_b32 s37, s1, exec_lo
	s_or_not1_b32 s1, s35, exec_lo
	s_and_b32 s34, s34, exec_lo
	s_and_b32 s0, s31, exec_lo
.LBB81_59:
	s_or_b32 exec_lo, exec_lo, s51
	s_delay_alu instid0(SALU_CYCLE_1)
	s_and_b32 s36, s36, exec_lo
	s_and_b32 s35, s37, exec_lo
	;; [unrolled: 1-line block ×4, first 2 shown]
	s_or_not1_b32 s0, s0, exec_lo
.LBB81_60:
	s_or_b32 exec_lo, exec_lo, s50
	s_delay_alu instid0(SALU_CYCLE_1)
	s_and_not1_b32 s34, s48, exec_lo
	s_and_b32 s36, s36, exec_lo
	s_and_b32 s0, s0, exec_lo
	s_or_b32 s48, s34, s36
	s_and_b32 s36, s35, exec_lo
	s_and_b32 s34, s31, exec_lo
	;; [unrolled: 1-line block ×3, first 2 shown]
.LBB81_61:
	s_or_b32 exec_lo, exec_lo, s49
	s_delay_alu instid0(SALU_CYCLE_1)
	s_and_b32 s35, s48, exec_lo
	s_or_not1_b32 s1, s36, exec_lo
	s_and_b32 s36, s34, exec_lo
	s_and_b32 s31, s31, exec_lo
	;; [unrolled: 1-line block ×3, first 2 shown]
.LBB81_62:
	s_or_b32 exec_lo, exec_lo, s47
	s_delay_alu instid0(SALU_CYCLE_1)
	s_and_b32 s35, s35, exec_lo
	s_and_b32 s1, s1, exec_lo
	s_or_not1_b32 s0, s36, exec_lo
	s_and_b32 s31, s31, exec_lo
	s_and_b32 s34, s34, exec_lo
.LBB81_63:
	s_or_b32 exec_lo, exec_lo, s46
	s_delay_alu instid0(SALU_CYCLE_1)
	s_and_b32 s38, s35, exec_lo
	s_and_b32 s1, s1, exec_lo
	;; [unrolled: 1-line block ×4, first 2 shown]
	s_or_not1_b32 s34, s34, exec_lo
.LBB81_64:
	s_or_b32 exec_lo, exec_lo, s45
	s_and_saveexec_b32 s35, s34
	s_cbranch_execnz .LBB81_208
.LBB81_65:
	s_or_b32 exec_lo, exec_lo, s35
	s_mov_b32 s34, 0
	s_and_saveexec_b32 s35, s31
	s_delay_alu instid0(SALU_CYCLE_1)
	s_xor_b32 s31, exec_lo, s35
; %bb.66:
	v_cmp_ne_u32_e32 vcc_lo, v21, v18
	s_and_not1_b32 s0, s0, exec_lo
	s_mov_b32 s34, exec_lo
	s_and_b32 s35, vcc_lo, exec_lo
	s_delay_alu instid0(SALU_CYCLE_1)
	s_or_b32 s0, s0, s35
; %bb.67:
	s_or_b32 exec_lo, exec_lo, s31
	s_and_saveexec_b32 s31, s0
	s_cbranch_execnz .LBB81_209
.LBB81_68:
	s_or_b32 exec_lo, exec_lo, s31
	s_mov_b32 s31, 0
	s_and_saveexec_b32 s0, s34
	s_delay_alu instid0(SALU_CYCLE_1)
	s_xor_b32 s34, exec_lo, s0
	s_cbranch_execz .LBB81_95
; %bb.69:
	v_sub_nc_u32_e32 v1, v5, v9
	s_and_not1_b32 s1, s1, exec_lo
	s_mov_b32 s31, exec_lo
	s_delay_alu instid0(VALU_DEP_1) | instskip(SKIP_2) | instid1(SALU_CYCLE_1)
	v_cmp_gt_i32_e32 vcc_lo, v10, v1
	v_cmp_lt_i32_e64 s0, s16, v1
	s_or_b32 s0, vcc_lo, s0
	s_and_b32 s0, s0, exec_lo
	s_delay_alu instid0(SALU_CYCLE_1)
	s_or_b32 s1, s1, s0
	s_or_b32 exec_lo, exec_lo, s34
	s_and_saveexec_b32 s0, s1
	s_cbranch_execz .LBB81_96
.LBB81_70:
	s_or_b32 s3, s3, exec_lo
	s_and_not1_b32 s31, s31, exec_lo
	s_trap 2
	s_or_b32 exec_lo, exec_lo, s0
	s_mov_b32 s0, 0
	s_and_saveexec_b32 s39, s31
	s_cbranch_execnz .LBB81_97
.LBB81_71:
	s_or_b32 exec_lo, exec_lo, s39
	s_and_saveexec_b32 s1, s38
	s_cbranch_execnz .LBB81_125
.LBB81_72:
	s_or_b32 exec_lo, exec_lo, s1
	s_and_saveexec_b32 s1, s0
	s_delay_alu instid0(SALU_CYCLE_1)
	s_xor_b32 s0, exec_lo, s1
	s_cbranch_execz .LBB81_74
.LBB81_73:
	v_mov_b32_e32 v2, 0
	s_add_nc_u64 s[16:17], s[4:5], s[24:25]
	s_delay_alu instid0(VALU_DEP_1)
	v_dual_mov_b32 v3, v2 :: v_dual_mov_b32 v4, v2
	v_mov_b32_e32 v5, v2
	global_store_b128 v0, v[2:5], s[16:17] scale_offset
.LBB81_74:
	s_wait_xcnt 0x0
	s_or_b32 exec_lo, exec_lo, s0
	s_mov_b32 s0, 0
.LBB81_75:
	s_delay_alu instid0(SALU_CYCLE_1)
	s_and_b32 vcc_lo, exec_lo, s0
	s_cbranch_vccz .LBB81_104
; %bb.76:
	v_mov_b64_e32 v[6:7], 0
	v_cmp_gt_i32_e64 s0, s33, v0
	v_dual_mov_b32 v1, 0 :: v_dual_mov_b32 v3, 0
	s_wait_loadcnt 0x0
	v_or_b32_e32 v17, 0x100, v0
	v_dual_mov_b32 v2, 0 :: v_dual_mov_b32 v4, 0
	v_dual_mov_b32 v9, 0 :: v_dual_mov_b32 v11, 0
	;; [unrolled: 1-line block ×8, first 2 shown]
	v_mov_b32_e32 v24, 0
	s_and_saveexec_b32 s1, s0
	s_cbranch_execz .LBB81_84
; %bb.77:
	v_dual_mov_b32 v18, 0 :: v_dual_bitop2_b32 v1, s2, v0 bitop3:0x54
	v_mov_b64_e32 v[6:7], 0
	v_dual_mov_b32 v14, 0 :: v_dual_mov_b32 v16, 0
	s_clause 0x4
	global_load_b32 v21, v1, s[6:7] scale_offset
	global_load_b32 v23, v1, s[8:9] scale_offset
	;; [unrolled: 1-line block ×5, first 2 shown]
	v_dual_mov_b32 v19, 0 :: v_dual_mov_b32 v15, 0
	v_dual_mov_b32 v13, 0 :: v_dual_mov_b32 v8, 0
	v_dual_mov_b32 v10, 0 :: v_dual_mov_b32 v11, 0
	v_dual_mov_b32 v9, 0 :: v_dual_mov_b32 v4, 0
	v_dual_mov_b32 v2, 0 :: v_dual_mov_b32 v3, 0
	s_wait_xcnt 0x0
	v_mov_b32_e32 v1, 0
	s_mov_b32 s16, exec_lo
	v_cmpx_gt_u32_e64 s33, v17
	s_cbranch_execz .LBB81_83
; %bb.78:
	v_dual_mov_b32 v13, 0 :: v_dual_add_nc_u32 v12, s2, v0
	v_or_b32_e32 v1, 0x200, v0
	v_mov_b64_e32 v[6:7], 0
	v_dual_mov_b32 v8, 0 :: v_dual_mov_b32 v10, 0
	s_clause 0x4
	global_load_b32 v15, v12, s[6:7] offset:1024 scale_offset
	global_load_b32 v19, v12, s[8:9] offset:1024 scale_offset
	;; [unrolled: 1-line block ×5, first 2 shown]
	v_cmp_gt_u32_e32 vcc_lo, s33, v1
	v_dual_mov_b32 v11, 0 :: v_dual_mov_b32 v9, 0
	v_dual_mov_b32 v4, 0 :: v_dual_mov_b32 v2, 0
	;; [unrolled: 1-line block ×3, first 2 shown]
	s_wait_xcnt 0x0
	s_and_saveexec_b32 s17, vcc_lo
	s_cbranch_execz .LBB81_82
; %bb.79:
	v_lshlrev_b64_e32 v[2:3], 2, v[12:13]
	v_or_b32_e32 v1, 0x300, v0
	v_mov_b64_e32 v[6:7], 0
	s_delay_alu instid0(VALU_DEP_2) | instskip(NEXT) | instid1(VALU_DEP_4)
	v_cmp_gt_u32_e32 vcc_lo, s33, v1
	v_add_nc_u64_e32 v[4:5], s[6:7], v[2:3]
	v_add_nc_u64_e32 v[26:27], s[8:9], v[2:3]
	;; [unrolled: 1-line block ×5, first 2 shown]
	v_dual_mov_b32 v2, 0 :: v_dual_mov_b32 v3, 0
	global_load_b32 v9, v[4:5], off offset:2048
	global_load_b32 v11, v[26:27], off offset:2048
	;; [unrolled: 1-line block ×5, first 2 shown]
	v_mov_b32_e32 v1, 0
	s_wait_xcnt 0x0
	s_and_saveexec_b32 s6, vcc_lo
	s_cbranch_execz .LBB81_81
; %bb.80:
	global_load_b32 v6, v[28:29], off offset:3072
	global_load_b32 v1, v[4:5], off offset:3072
	;; [unrolled: 1-line block ×5, first 2 shown]
	s_wait_loadcnt 0x4
	v_ashrrev_i32_e32 v7, 31, v6
.LBB81_81:
	s_wait_xcnt 0x0
	s_or_b32 exec_lo, exec_lo, s6
	s_wait_loadcnt 0x0
	v_dual_mov_b32 v4, v13 :: v_dual_mov_b32 v13, v12
.LBB81_82:
	s_or_b32 exec_lo, exec_lo, s17
.LBB81_83:
	s_delay_alu instid0(SALU_CYCLE_1)
	s_or_b32 exec_lo, exec_lo, s16
.LBB81_84:
	s_delay_alu instid0(SALU_CYCLE_1)
	s_or_b32 exec_lo, exec_lo, s1
	s_clause 0x3
	s_load_b128 s[8:11], s[20:21], 0x8
	s_load_b32 s28, s[20:21], 0x18
	s_load_b32 s36, s[20:21], 0x0
	s_load_b64 s[6:7], s[20:21], 0xa0
	s_cmp_lg_u64 s[22:23], 0
	s_get_pc_i64 s[12:13]
	s_add_nc_u64 s[12:13], s[12:13], .str.7@rel64+4
	s_get_pc_i64 s[14:15]
	s_add_nc_u64 s[14:15], s[14:15], .str.8@rel64+4
	s_cselect_b32 s37, -1, 0
	s_cmp_lg_u64 s[12:13], 0
	s_mov_b32 s1, -1
	s_cselect_b32 s34, -1, 0
	s_cmp_lg_u64 s[14:15], 0
	s_get_pc_i64 s[14:15]
	s_add_nc_u64 s[14:15], s[14:15], .str.9@rel64+4
	s_cselect_b32 s30, -1, 0
	s_mov_b32 s43, 0
	s_mov_b32 s41, 0
	;; [unrolled: 1-line block ×5, first 2 shown]
	s_wait_kmcnt 0x0
	v_cmp_gt_i64_e64 s9, s[10:11], 0
	s_add_co_i32 s12, s28, -1
	s_delay_alu instid0(SALU_CYCLE_1) | instskip(SKIP_1) | instid1(SALU_CYCLE_1)
	s_cmp_gt_i32 s12, -1
	s_cselect_b32 s13, -1, 0
	s_and_b32 s9, s9, s13
	s_cmp_lg_u64 s[14:15], 0
	s_cselect_b32 s29, -1, 0
	s_and_saveexec_b32 s31, s0
	s_cbranch_execz .LBB81_131
; %bb.85:
	s_wait_loadcnt 0x4
	v_cmp_eq_u32_e32 vcc_lo, s36, v21
	s_mov_b32 s13, -1
	s_mov_b32 s1, 0
	s_mov_b32 s14, 0
	;; [unrolled: 1-line block ×3, first 2 shown]
	s_and_b32 s17, s37, vcc_lo
	s_mov_b32 s16, 0
	s_and_saveexec_b32 s35, s17
	s_cbranch_execz .LBB81_130
; %bb.86:
	s_wait_loadcnt 0x3
	v_cmp_eq_u32_e32 vcc_lo, s10, v23
	s_and_b32 s16, s34, vcc_lo
	s_delay_alu instid0(SALU_CYCLE_1)
	s_and_saveexec_b32 s38, s16
	s_cbranch_execz .LBB81_129
; %bb.87:
	s_wait_loadcnt 0x1
	v_sub_nc_u32_e32 v5, v20, v22
	s_delay_alu instid0(VALU_DEP_1)
	v_cmp_le_i32_e32 vcc_lo, v21, v5
	v_cmp_ge_i32_e64 s1, s8, v5
	s_and_b32 s14, vcc_lo, s1
	s_mov_b32 s1, 0
	s_and_b32 s15, s30, s14
	s_mov_b32 s14, 0
	s_and_saveexec_b32 s39, s15
	s_cbranch_execz .LBB81_128
; %bb.88:
	v_mov_b64_e32 v[26:27], 0
	s_and_not1_b32 vcc_lo, exec_lo, s9
	s_cbranch_vccnz .LBB81_118
; %bb.89:
	s_wait_loadcnt 0x0
	v_ashrrev_i32_e32 v25, 31, v24
	s_ashr_i32 s13, s12, 31
	v_mov_b64_e32 v[26:27], 0
	s_lshl_b64 s[16:17], s[12:13], 3
	s_mov_b64 s[14:15], 0xffffffff
	v_mul_u64_e32 v[28:29], s[10:11], v[24:25]
	v_mov_b32_e32 v24, 0
	s_add_nc_u64 s[16:17], s[20:21], s[16:17]
	s_mov_b32 s19, 0
	s_add_nc_u64 s[16:17], s[16:17], 32
	s_mov_b32 s13, s28
	s_branch .LBB81_91
.LBB81_90:                              ;   in Loop: Header=BB81_91 Depth=1
	s_or_b32 exec_lo, exec_lo, s1
	s_delay_alu instid0(VALU_DEP_1)
	v_mul_u64_e32 v[32:33], s[22:23], v[30:31]
	s_load_b64 s[22:23], s[16:17], 0x40
	s_add_co_i32 s13, s13, -1
	s_wait_xcnt 0x0
	s_add_nc_u64 s[16:17], s[16:17], -8
	s_cmp_eq_u32 s13, 0
	s_delay_alu instid0(VALU_DEP_1) | instskip(SKIP_1) | instid1(VALU_DEP_1)
	v_sub_nc_u64_e32 v[28:29], v[28:29], v[32:33]
	s_wait_kmcnt 0x0
	v_mad_nc_u64_u32 v[26:27], v28, s22, v[26:27]
	s_delay_alu instid0(VALU_DEP_1) | instskip(NEXT) | instid1(VALU_DEP_1)
	v_mad_u32 v5, v29, s22, v27
	v_mad_u32 v27, v28, s23, v5
	v_mov_b64_e32 v[28:29], v[30:31]
	s_cbranch_scc1 .LBB81_118
.LBB81_91:                              ; =>This Inner Loop Header: Depth=1
	s_load_b64 s[22:23], s[16:17], 0x0
                                        ; implicit-def: $vgpr30_vgpr31
	s_mov_b32 s1, exec_lo
	s_wait_kmcnt 0x0
	s_delay_alu instid0(VALU_DEP_1) | instskip(NEXT) | instid1(VALU_DEP_1)
	v_or_b32_e32 v25, s23, v29
	v_cmpx_ne_u64_e32 0, v[24:25]
	s_xor_b32 s40, exec_lo, s1
	s_cbranch_execz .LBB81_93
; %bb.92:                               ;   in Loop: Header=BB81_91 Depth=1
	s_ashr_i32 s24, s23, 31
	v_dual_mov_b32 v35, v24 :: v_dual_ashrrev_i32 v30, 31, v29
	s_mov_b32 s25, s24
	s_delay_alu instid0(SALU_CYCLE_1) | instskip(NEXT) | instid1(VALU_DEP_1)
	s_add_nc_u64 s[26:27], s[22:23], s[24:25]
	v_mov_b32_e32 v31, v30
	s_xor_b64 s[26:27], s[26:27], s[24:25]
	s_delay_alu instid0(SALU_CYCLE_1)
	s_cvt_f32_u32 s1, s26
	s_cvt_f32_u32 s18, s27
	s_sub_nc_u64 s[46:47], 0, s[26:27]
	v_add_nc_u64_e32 v[32:33], v[28:29], v[30:31]
	v_mov_b32_e32 v39, v24
	s_fmamk_f32 s1, s18, 0x4f800000, s1
	s_delay_alu instid0(SALU_CYCLE_3) | instskip(NEXT) | instid1(VALU_DEP_2)
	v_s_rcp_f32 s1, s1
	v_xor_b32_e32 v34, v32, v30
	s_delay_alu instid0(VALU_DEP_3) | instskip(NEXT) | instid1(TRANS32_DEP_1)
	v_dual_mov_b32 v43, v24 :: v_dual_bitop2_b32 v38, v33, v30 bitop3:0x14
	s_mul_f32 s1, s1, 0x5f7ffffc
	s_delay_alu instid0(SALU_CYCLE_3) | instskip(NEXT) | instid1(SALU_CYCLE_3)
	s_mul_f32 s18, s1, 0x2f800000
	s_trunc_f32 s18, s18
	s_delay_alu instid0(SALU_CYCLE_3) | instskip(SKIP_1) | instid1(SALU_CYCLE_2)
	s_fmamk_f32 s1, s18, 0xcf800000, s1
	s_cvt_u32_f32 s45, s18
	s_cvt_u32_f32 s44, s1
	s_delay_alu instid0(SALU_CYCLE_3) | instskip(NEXT) | instid1(SALU_CYCLE_1)
	s_mul_u64 s[48:49], s[46:47], s[44:45]
	s_mul_hi_u32 s51, s44, s49
	s_mul_i32 s50, s44, s49
	s_mul_hi_u32 s18, s44, s48
	s_mul_i32 s25, s45, s48
	s_add_nc_u64 s[50:51], s[18:19], s[50:51]
	s_mul_hi_u32 s1, s45, s48
	s_mul_hi_u32 s41, s45, s49
	s_add_co_u32 s18, s50, s25
	s_add_co_ci_u32 s18, s51, s1
	s_mul_i32 s48, s45, s49
	s_add_co_ci_u32 s49, s41, 0
	s_delay_alu instid0(SALU_CYCLE_1) | instskip(NEXT) | instid1(SALU_CYCLE_1)
	s_add_nc_u64 s[48:49], s[18:19], s[48:49]
	s_add_co_u32 s44, s44, s48
	s_cselect_b32 s1, -1, 0
	s_delay_alu instid0(SALU_CYCLE_1) | instskip(SKIP_1) | instid1(SALU_CYCLE_1)
	s_cmp_lg_u32 s1, 0
	s_add_co_ci_u32 s45, s45, s49
	s_mul_u64 s[46:47], s[46:47], s[44:45]
	s_delay_alu instid0(SALU_CYCLE_1)
	s_mul_hi_u32 s49, s44, s47
	s_mul_i32 s48, s44, s47
	s_mul_hi_u32 s18, s44, s46
	s_mul_i32 s25, s45, s46
	s_add_nc_u64 s[48:49], s[18:19], s[48:49]
	s_mul_hi_u32 s1, s45, s46
	s_mul_hi_u32 s41, s45, s47
	s_add_co_u32 s18, s48, s25
	s_add_co_ci_u32 s18, s49, s1
	s_mul_i32 s46, s45, s47
	s_add_co_ci_u32 s47, s41, 0
	s_delay_alu instid0(SALU_CYCLE_1) | instskip(NEXT) | instid1(SALU_CYCLE_1)
	s_add_nc_u64 s[46:47], s[18:19], s[46:47]
	s_add_co_u32 s42, s44, s46
	s_cselect_b32 s1, -1, 0
	v_mul_hi_u32 v42, v34, s42
	s_cmp_lg_u32 s1, 0
	s_add_co_ci_u32 s18, s45, s47
	s_and_b64 s[44:45], s[42:43], s[14:15]
	v_mul_u64_e32 v[36:37], s[18:19], v[34:35]
	v_mul_u64_e32 v[32:33], s[44:45], v[38:39]
	;; [unrolled: 1-line block ×3, first 2 shown]
	s_delay_alu instid0(VALU_DEP_3) | instskip(NEXT) | instid1(VALU_DEP_1)
	v_add_nc_u64_e32 v[36:37], v[42:43], v[36:37]
	v_add_co_u32 v5, vcc_lo, v36, v32
	s_delay_alu instid0(VALU_DEP_2) | instskip(NEXT) | instid1(VALU_DEP_4)
	v_add_co_ci_u32_e32 v42, vcc_lo, v37, v33, vcc_lo
	v_add_co_ci_u32_e32 v41, vcc_lo, 0, v41, vcc_lo
	s_delay_alu instid0(VALU_DEP_1) | instskip(NEXT) | instid1(VALU_DEP_1)
	v_add_nc_u64_e32 v[32:33], v[42:43], v[40:41]
	v_mul_u64_e32 v[36:37], s[26:27], v[32:33]
	s_delay_alu instid0(VALU_DEP_1) | instskip(NEXT) | instid1(VALU_DEP_2)
	v_sub_nc_u32_e32 v5, v38, v37
	v_sub_co_u32 v12, vcc_lo, v34, v36
	s_delay_alu instid0(VALU_DEP_1) | instskip(NEXT) | instid1(VALU_DEP_3)
	v_sub_co_ci_u32_e64 v23, null, v38, v37, vcc_lo
	v_subrev_co_ci_u32_e64 v5, null, s27, v5, vcc_lo
	s_delay_alu instid0(VALU_DEP_3) | instskip(SKIP_1) | instid1(VALU_DEP_3)
	v_sub_co_u32 v21, s1, v12, s26
	v_add_nc_u64_e32 v[34:35], 2, v[32:33]
	v_subrev_co_ci_u32_e64 v5, null, 0, v5, s1
	s_delay_alu instid0(VALU_DEP_3) | instskip(SKIP_2) | instid1(VALU_DEP_4)
	v_cmp_le_u32_e32 vcc_lo, s26, v21
	v_add_nc_u64_e32 v[36:37], 1, v[32:33]
	v_cndmask_b32_e64 v21, 0, -1, vcc_lo
	v_cmp_le_u32_e32 vcc_lo, s27, v5
	v_cndmask_b32_e64 v25, 0, -1, vcc_lo
	v_cmp_le_u32_e32 vcc_lo, s26, v12
	;; [unrolled: 2-line block ×3, first 2 shown]
	v_cndmask_b32_e64 v31, 0, -1, vcc_lo
	v_cmp_eq_u32_e32 vcc_lo, s27, v5
	v_cndmask_b32_e32 v5, v25, v21, vcc_lo
	v_cmp_eq_u32_e32 vcc_lo, s27, v23
	s_delay_alu instid0(VALU_DEP_4) | instskip(NEXT) | instid1(VALU_DEP_3)
	v_cndmask_b32_e32 v12, v31, v12, vcc_lo
	v_cmp_ne_u32_e32 vcc_lo, 0, v5
	s_delay_alu instid0(VALU_DEP_2) | instskip(SKIP_1) | instid1(VALU_DEP_1)
	v_cmp_ne_u32_e64 s1, 0, v12
	v_dual_cndmask_b32 v5, v37, v35 :: v_dual_cndmask_b32 v12, v36, v34
	v_dual_cndmask_b32 v5, v33, v5, s1 :: v_dual_bitop2_b32 v30, s24, v30 bitop3:0x14
	s_delay_alu instid0(VALU_DEP_1) | instskip(NEXT) | instid1(VALU_DEP_2)
	v_dual_cndmask_b32 v12, v32, v12, s1 :: v_dual_mov_b32 v31, v30
	v_xor_b32_e32 v33, v5, v30
	s_delay_alu instid0(VALU_DEP_2) | instskip(NEXT) | instid1(VALU_DEP_1)
	v_xor_b32_e32 v32, v12, v30
	v_sub_nc_u64_e32 v[30:31], v[32:33], v[30:31]
.LBB81_93:                              ;   in Loop: Header=BB81_91 Depth=1
	s_and_not1_saveexec_b32 s1, s40
	s_cbranch_execz .LBB81_90
; %bb.94:                               ;   in Loop: Header=BB81_91 Depth=1
	v_cvt_f32_u32_e32 v5, s22
	s_sub_co_i32 s18, 0, s22
	v_mov_b32_e32 v31, v24
	s_delay_alu instid0(VALU_DEP_2) | instskip(SKIP_1) | instid1(TRANS32_DEP_1)
	v_rcp_iflag_f32_e32 v5, v5
	v_nop
	v_mul_f32_e32 v5, 0x4f7ffffe, v5
	s_delay_alu instid0(VALU_DEP_1) | instskip(NEXT) | instid1(VALU_DEP_1)
	v_cvt_u32_f32_e32 v5, v5
	v_mul_lo_u32 v12, s18, v5
	s_delay_alu instid0(VALU_DEP_1) | instskip(NEXT) | instid1(VALU_DEP_1)
	v_mul_hi_u32 v12, v5, v12
	v_add_nc_u32_e32 v5, v5, v12
	s_delay_alu instid0(VALU_DEP_1) | instskip(NEXT) | instid1(VALU_DEP_1)
	v_mul_hi_u32 v5, v28, v5
	v_mul_lo_u32 v12, v5, s22
	s_delay_alu instid0(VALU_DEP_1) | instskip(NEXT) | instid1(VALU_DEP_1)
	v_dual_add_nc_u32 v21, 1, v5 :: v_dual_sub_nc_u32 v12, v28, v12
	v_subrev_nc_u32_e32 v23, s22, v12
	v_cmp_le_u32_e32 vcc_lo, s22, v12
	s_delay_alu instid0(VALU_DEP_2) | instskip(NEXT) | instid1(VALU_DEP_1)
	v_dual_cndmask_b32 v12, v12, v23 :: v_dual_cndmask_b32 v5, v5, v21
	v_cmp_le_u32_e32 vcc_lo, s22, v12
	s_delay_alu instid0(VALU_DEP_2) | instskip(NEXT) | instid1(VALU_DEP_1)
	v_add_nc_u32_e32 v21, 1, v5
	v_cndmask_b32_e32 v30, v5, v21, vcc_lo
	s_branch .LBB81_90
.LBB81_95:
	s_or_b32 exec_lo, exec_lo, s34
	s_and_saveexec_b32 s0, s1
	s_cbranch_execnz .LBB81_70
.LBB81_96:
	s_or_b32 exec_lo, exec_lo, s0
	s_mov_b32 s0, 0
	s_and_saveexec_b32 s39, s31
	s_cbranch_execz .LBB81_71
.LBB81_97:
	v_mov_b64_e32 v[2:3], 0
	s_and_not1_b32 vcc_lo, exec_lo, s17
	s_cbranch_vccnz .LBB81_113
; %bb.98:
	s_wait_loadcnt 0x0
	v_dual_mov_b32 v2, v17 :: v_dual_ashrrev_i32 v3, 31, v17
	s_ashr_i32 s31, s30, 31
	v_mov_b32_e32 v6, 0
	s_lshl_b64 s[0:1], s[30:31], 3
	s_mov_b64 s[16:17], 0xffffffff
	v_mul_u64_e32 v[10:11], s[18:19], v[2:3]
	v_mov_b64_e32 v[2:3], 0
	s_add_nc_u64 s[0:1], s[20:21], s[0:1]
	s_delay_alu instid0(SALU_CYCLE_1)
	s_add_nc_u64 s[18:19], s[0:1], 32
	s_mov_b32 s1, 0
	s_branch .LBB81_100
.LBB81_99:                              ;   in Loop: Header=BB81_100 Depth=1
	s_or_b32 exec_lo, exec_lo, s0
	s_delay_alu instid0(VALU_DEP_1)
	v_mul_u64_e32 v[14:15], s[30:31], v[12:13]
	s_load_b64 s[30:31], s[18:19], 0x40
	s_add_co_i32 s26, s26, -1
	s_wait_xcnt 0x0
	s_add_nc_u64 s[18:19], s[18:19], -8
	s_cmp_lg_u32 s26, 0
	s_delay_alu instid0(VALU_DEP_1) | instskip(SKIP_1) | instid1(VALU_DEP_1)
	v_sub_nc_u64_e32 v[10:11], v[10:11], v[14:15]
	s_wait_kmcnt 0x0
	v_mad_nc_u64_u32 v[2:3], v10, s30, v[2:3]
	s_delay_alu instid0(VALU_DEP_1) | instskip(NEXT) | instid1(VALU_DEP_1)
	v_mad_u32 v1, v11, s30, v3
	v_mad_u32 v3, v10, s31, v1
	v_mov_b64_e32 v[10:11], v[12:13]
	s_cbranch_scc0 .LBB81_113
.LBB81_100:                             ; =>This Inner Loop Header: Depth=1
	s_load_b64 s[30:31], s[18:19], 0x0
                                        ; implicit-def: $vgpr12_vgpr13
	s_mov_b32 s0, exec_lo
	s_wait_kmcnt 0x0
	s_delay_alu instid0(VALU_DEP_1) | instskip(NEXT) | instid1(VALU_DEP_1)
	v_or_b32_e32 v7, s31, v11
	v_cmpx_ne_u64_e32 0, v[6:7]
	s_xor_b32 s40, exec_lo, s0
	s_cbranch_execz .LBB81_102
; %bb.101:                              ;   in Loop: Header=BB81_100 Depth=1
	s_ashr_i32 s34, s31, 31
	v_dual_mov_b32 v17, v6 :: v_dual_ashrrev_i32 v12, 31, v11
	s_mov_b32 s35, s34
	s_delay_alu instid0(SALU_CYCLE_1) | instskip(NEXT) | instid1(VALU_DEP_1)
	s_add_nc_u64 s[36:37], s[30:31], s[34:35]
	v_mov_b32_e32 v13, v12
	s_xor_b64 s[36:37], s[36:37], s[34:35]
	s_delay_alu instid0(SALU_CYCLE_1)
	s_cvt_f32_u32 s0, s36
	s_cvt_f32_u32 s35, s37
	s_sub_nc_u64 s[46:47], 0, s[36:37]
	v_add_nc_u64_e32 v[14:15], v[10:11], v[12:13]
	v_mov_b32_e32 v21, v6
	s_fmamk_f32 s0, s35, 0x4f800000, s0
	s_delay_alu instid0(SALU_CYCLE_3) | instskip(NEXT) | instid1(VALU_DEP_2)
	v_s_rcp_f32 s0, s0
	v_xor_b32_e32 v16, v14, v12
	s_delay_alu instid0(VALU_DEP_3) | instskip(NEXT) | instid1(TRANS32_DEP_1)
	v_dual_mov_b32 v25, v6 :: v_dual_bitop2_b32 v20, v15, v12 bitop3:0x14
	s_mul_f32 s0, s0, 0x5f7ffffc
	s_delay_alu instid0(SALU_CYCLE_3) | instskip(NEXT) | instid1(SALU_CYCLE_3)
	s_mul_f32 s35, s0, 0x2f800000
	s_trunc_f32 s35, s35
	s_delay_alu instid0(SALU_CYCLE_3) | instskip(SKIP_1) | instid1(SALU_CYCLE_2)
	s_fmamk_f32 s0, s35, 0xcf800000, s0
	s_cvt_u32_f32 s43, s35
	s_cvt_u32_f32 s42, s0
	s_delay_alu instid0(SALU_CYCLE_3) | instskip(NEXT) | instid1(SALU_CYCLE_1)
	s_mul_u64 s[48:49], s[46:47], s[42:43]
	s_mul_hi_u32 s51, s42, s49
	s_mul_i32 s50, s42, s49
	s_mul_hi_u32 s0, s42, s48
	s_mul_i32 s41, s43, s48
	s_add_nc_u64 s[50:51], s[0:1], s[50:51]
	s_mul_hi_u32 s35, s43, s48
	s_mul_hi_u32 s45, s43, s49
	s_add_co_u32 s0, s50, s41
	s_add_co_ci_u32 s0, s51, s35
	s_mul_i32 s48, s43, s49
	s_add_co_ci_u32 s49, s45, 0
	s_delay_alu instid0(SALU_CYCLE_1) | instskip(NEXT) | instid1(SALU_CYCLE_1)
	s_add_nc_u64 s[48:49], s[0:1], s[48:49]
	s_add_co_u32 s42, s42, s48
	s_cselect_b32 s0, -1, 0
	s_delay_alu instid0(SALU_CYCLE_1) | instskip(SKIP_1) | instid1(SALU_CYCLE_1)
	s_cmp_lg_u32 s0, 0
	s_add_co_ci_u32 s43, s43, s49
	s_mul_u64 s[46:47], s[46:47], s[42:43]
	s_delay_alu instid0(SALU_CYCLE_1)
	s_mul_hi_u32 s49, s42, s47
	s_mul_i32 s48, s42, s47
	s_mul_hi_u32 s0, s42, s46
	s_mul_i32 s41, s43, s46
	s_add_nc_u64 s[48:49], s[0:1], s[48:49]
	s_mul_hi_u32 s35, s43, s46
	s_mul_hi_u32 s45, s43, s47
	s_add_co_u32 s0, s48, s41
	s_add_co_ci_u32 s0, s49, s35
	s_mul_i32 s46, s43, s47
	s_add_co_ci_u32 s47, s45, 0
	s_delay_alu instid0(SALU_CYCLE_1) | instskip(NEXT) | instid1(SALU_CYCLE_1)
	s_add_nc_u64 s[46:47], s[0:1], s[46:47]
	s_add_co_u32 s42, s42, s46
	s_cselect_b32 s0, -1, 0
	v_mul_hi_u32 v24, v16, s42
	s_cmp_lg_u32 s0, 0
	s_add_co_ci_u32 s0, s43, s47
	s_and_b64 s[46:47], s[42:43], s[16:17]
	v_mul_u64_e32 v[18:19], s[0:1], v[16:17]
	v_mul_u64_e32 v[14:15], s[46:47], v[20:21]
	;; [unrolled: 1-line block ×3, first 2 shown]
	s_delay_alu instid0(VALU_DEP_3) | instskip(NEXT) | instid1(VALU_DEP_1)
	v_add_nc_u64_e32 v[18:19], v[24:25], v[18:19]
	v_add_co_u32 v1, vcc_lo, v18, v14
	s_delay_alu instid0(VALU_DEP_2) | instskip(NEXT) | instid1(VALU_DEP_4)
	v_add_co_ci_u32_e32 v24, vcc_lo, v19, v15, vcc_lo
	v_add_co_ci_u32_e32 v23, vcc_lo, 0, v23, vcc_lo
	s_delay_alu instid0(VALU_DEP_1) | instskip(NEXT) | instid1(VALU_DEP_1)
	v_add_nc_u64_e32 v[14:15], v[24:25], v[22:23]
	v_mul_u64_e32 v[18:19], s[36:37], v[14:15]
	s_delay_alu instid0(VALU_DEP_1) | instskip(NEXT) | instid1(VALU_DEP_2)
	v_sub_nc_u32_e32 v1, v20, v19
	v_sub_co_u32 v4, vcc_lo, v16, v18
	s_delay_alu instid0(VALU_DEP_1) | instskip(NEXT) | instid1(VALU_DEP_3)
	v_sub_co_ci_u32_e64 v8, null, v20, v19, vcc_lo
	v_subrev_co_ci_u32_e64 v1, null, s37, v1, vcc_lo
	s_delay_alu instid0(VALU_DEP_3) | instskip(SKIP_1) | instid1(VALU_DEP_3)
	v_sub_co_u32 v7, s0, v4, s36
	v_add_nc_u64_e32 v[16:17], 2, v[14:15]
	v_subrev_co_ci_u32_e64 v1, null, 0, v1, s0
	s_delay_alu instid0(VALU_DEP_3) | instskip(SKIP_2) | instid1(VALU_DEP_4)
	v_cmp_le_u32_e32 vcc_lo, s36, v7
	v_add_nc_u64_e32 v[18:19], 1, v[14:15]
	v_cndmask_b32_e64 v7, 0, -1, vcc_lo
	v_cmp_le_u32_e32 vcc_lo, s37, v1
	v_cndmask_b32_e64 v13, 0, -1, vcc_lo
	v_cmp_le_u32_e32 vcc_lo, s36, v4
	v_cndmask_b32_e64 v4, 0, -1, vcc_lo
	v_cmp_le_u32_e32 vcc_lo, s37, v8
	v_cndmask_b32_e64 v20, 0, -1, vcc_lo
	v_cmp_eq_u32_e32 vcc_lo, s37, v1
	v_cndmask_b32_e32 v1, v13, v7, vcc_lo
	v_cmp_eq_u32_e32 vcc_lo, s37, v8
	s_delay_alu instid0(VALU_DEP_4) | instskip(NEXT) | instid1(VALU_DEP_3)
	v_cndmask_b32_e32 v4, v20, v4, vcc_lo
	v_cmp_ne_u32_e32 vcc_lo, 0, v1
	s_delay_alu instid0(VALU_DEP_2) | instskip(SKIP_1) | instid1(VALU_DEP_1)
	v_cmp_ne_u32_e64 s0, 0, v4
	v_dual_cndmask_b32 v1, v19, v17 :: v_dual_cndmask_b32 v4, v18, v16
	v_dual_cndmask_b32 v1, v15, v1, s0 :: v_dual_bitop2_b32 v12, s34, v12 bitop3:0x14
	s_delay_alu instid0(VALU_DEP_1) | instskip(NEXT) | instid1(VALU_DEP_2)
	v_dual_cndmask_b32 v4, v14, v4, s0 :: v_dual_mov_b32 v13, v12
	v_xor_b32_e32 v15, v1, v12
	s_delay_alu instid0(VALU_DEP_2) | instskip(NEXT) | instid1(VALU_DEP_1)
	v_xor_b32_e32 v14, v4, v12
	v_sub_nc_u64_e32 v[12:13], v[14:15], v[12:13]
.LBB81_102:                             ;   in Loop: Header=BB81_100 Depth=1
	s_and_not1_saveexec_b32 s0, s40
	s_cbranch_execz .LBB81_99
; %bb.103:                              ;   in Loop: Header=BB81_100 Depth=1
	v_cvt_f32_u32_e32 v1, s30
	s_sub_co_i32 s34, 0, s30
	v_mov_b32_e32 v13, v6
	s_delay_alu instid0(VALU_DEP_2) | instskip(SKIP_1) | instid1(TRANS32_DEP_1)
	v_rcp_iflag_f32_e32 v1, v1
	v_nop
	v_mul_f32_e32 v1, 0x4f7ffffe, v1
	s_delay_alu instid0(VALU_DEP_1) | instskip(NEXT) | instid1(VALU_DEP_1)
	v_cvt_u32_f32_e32 v1, v1
	v_mul_lo_u32 v4, s34, v1
	s_delay_alu instid0(VALU_DEP_1) | instskip(NEXT) | instid1(VALU_DEP_1)
	v_mul_hi_u32 v4, v1, v4
	v_add_nc_u32_e32 v1, v1, v4
	s_delay_alu instid0(VALU_DEP_1) | instskip(NEXT) | instid1(VALU_DEP_1)
	v_mul_hi_u32 v1, v10, v1
	v_mul_lo_u32 v4, v1, s30
	s_delay_alu instid0(VALU_DEP_1) | instskip(NEXT) | instid1(VALU_DEP_1)
	v_sub_nc_u32_e32 v4, v10, v4
	v_subrev_nc_u32_e32 v8, s30, v4
	v_cmp_le_u32_e32 vcc_lo, s30, v4
	s_delay_alu instid0(VALU_DEP_2) | instskip(NEXT) | instid1(VALU_DEP_1)
	v_dual_cndmask_b32 v4, v4, v8 :: v_dual_add_nc_u32 v7, 1, v1
	v_cndmask_b32_e32 v1, v1, v7, vcc_lo
	s_delay_alu instid0(VALU_DEP_2) | instskip(NEXT) | instid1(VALU_DEP_2)
	v_cmp_le_u32_e32 vcc_lo, s30, v4
	v_add_nc_u32_e32 v7, 1, v1
	s_delay_alu instid0(VALU_DEP_1)
	v_cndmask_b32_e32 v12, v1, v7, vcc_lo
	s_branch .LBB81_99
.LBB81_104:
                                        ; implicit-def: $sgpr0
                                        ; implicit-def: $sgpr31
                                        ; implicit-def: $sgpr40
                                        ; implicit-def: $sgpr22
                                        ; implicit-def: $vgpr0
	s_and_saveexec_b32 s1, s3
.LBB81_105:
	; divergent unreachable
.LBB81_106:
	s_delay_alu instid0(SALU_CYCLE_1)
	s_or_b32 exec_lo, exec_lo, s1
	s_and_saveexec_b32 s1, s44
	s_cbranch_execz .LBB81_112
; %bb.107:
	s_and_b32 exec_lo, exec_lo, s0
	s_cbranch_execz .LBB81_112
; %bb.108:
	v_dual_mov_b32 v1, 0 :: v_dual_bitop2_b32 v2, s2, v0 bitop3:0x54
	global_store_b32 v2, v1, s[4:5] scale_offset
	s_wait_xcnt 0x0
	s_and_b32 exec_lo, exec_lo, s31
	s_cbranch_execz .LBB81_112
; %bb.109:
	v_add_nc_u32_e32 v0, s2, v0
	global_store_b32 v0, v1, s[4:5] offset:1024 scale_offset
	s_wait_xcnt 0x0
	s_and_b32 exec_lo, exec_lo, s40
	s_cbranch_execz .LBB81_112
; %bb.110:
	v_lshl_add_u64 v[0:1], v[0:1], 2, s[4:5]
	v_mov_b32_e32 v2, 0
	global_store_b32 v[0:1], v2, off offset:2048
	s_wait_xcnt 0x0
	s_and_b32 exec_lo, exec_lo, s22
	s_cbranch_execz .LBB81_112
; %bb.111:
	global_store_b32 v[0:1], v2, off offset:3072
.LBB81_112:
	s_endpgm
.LBB81_113:
	s_mov_b32 s1, s38
	s_mov_b32 s0, exec_lo
	v_cmpx_gt_i32_e64 v5, v9
	s_cbranch_execz .LBB81_124
; %bb.114:
	s_delay_alu instid0(VALU_DEP_2)
	v_lshlrev_b64_e32 v[2:3], 2, v[2:3]
	v_dual_mov_b32 v6, v9 :: v_dual_ashrrev_i32 v7, 31, v9
	v_dual_mov_b32 v10, v5 :: v_dual_ashrrev_i32 v11, 31, v5
	s_mov_b32 s1, 0
	s_wait_kmcnt 0x0
	s_xor_b32 s17, s27, -1
	s_delay_alu instid0(VALU_DEP_3) | instskip(SKIP_1) | instid1(VALU_DEP_2)
	v_lshl_add_u64 v[6:7], v[6:7], 2, v[2:3]
	v_add_nc_u64_e32 v[8:9], s[28:29], v[2:3]
                                        ; implicit-def: $sgpr16
                                        ; implicit-def: $sgpr19
                                        ; implicit-def: $sgpr18
	v_add_nc_u64_e32 v[6:7], s[28:29], v[6:7]
	s_delay_alu instid0(VALU_DEP_2) | instskip(NEXT) | instid1(VALU_DEP_2)
	v_lshl_add_u64 v[4:5], v[10:11], 2, v[8:9]
	v_add_nc_u64_e32 v[2:3], 4, v[6:7]
	s_branch .LBB81_116
.LBB81_115:                             ;   in Loop: Header=BB81_116 Depth=1
	s_or_b32 exec_lo, exec_lo, s26
	s_xor_b32 s26, s18, -1
	s_and_b32 s27, exec_lo, s19
	s_delay_alu instid0(SALU_CYCLE_1) | instskip(SKIP_2) | instid1(SALU_CYCLE_1)
	s_or_b32 s1, s27, s1
	s_and_not1_b32 s16, s16, exec_lo
	s_and_b32 s26, s26, exec_lo
	s_or_b32 s16, s16, s26
	s_and_not1_b32 exec_lo, exec_lo, s1
	s_cbranch_execz .LBB81_123
.LBB81_116:                             ; =>This Inner Loop Header: Depth=1
	s_or_b32 s18, s18, exec_lo
	s_or_b32 s19, s19, exec_lo
	s_mov_b32 s26, exec_lo
	s_delay_alu instid0(VALU_DEP_1)
	v_cmpx_lt_u64_e64 v[2:3], v[4:5]
	s_cbranch_execz .LBB81_115
; %bb.117:                              ;   in Loop: Header=BB81_116 Depth=1
	global_load_b64 v[6:7], v[2:3], off offset:-4
	s_wait_xcnt 0x0
	v_add_nc_u64_e32 v[2:3], 4, v[2:3]
	s_and_not1_b32 s19, s19, exec_lo
	s_and_not1_b32 s18, s18, exec_lo
	s_wait_loadcnt 0x0
	v_cmp_ge_i32_e32 vcc_lo, v6, v7
	s_or_b32 s27, s17, vcc_lo
	s_delay_alu instid0(SALU_CYCLE_1) | instskip(NEXT) | instid1(SALU_CYCLE_1)
	s_and_b32 s27, s27, exec_lo
	s_or_b32 s19, s19, s27
	s_branch .LBB81_115
.LBB81_118:
	s_mov_b32 s15, -1
	s_mov_b32 s13, 0
	s_mov_b32 s1, exec_lo
	v_cmpx_gt_i32_e64 v20, v22
	s_cbranch_execz .LBB81_127
; %bb.119:
	s_wait_loadcnt 0x0
	s_delay_alu instid0(VALU_DEP_2) | instskip(SKIP_2) | instid1(VALU_DEP_1)
	v_lshlrev_b64_e32 v[24:25], 2, v[26:27]
	v_dual_ashrrev_i32 v23, 31, v22 :: v_dual_ashrrev_i32 v21, 31, v20
	s_xor_b32 s15, s29, -1
                                        ; implicit-def: $sgpr14
                                        ; implicit-def: $sgpr17
                                        ; implicit-def: $sgpr16
	v_lshl_add_u64 v[22:23], v[22:23], 2, v[24:25]
	v_add_nc_u64_e32 v[24:25], s[6:7], v[24:25]
	s_delay_alu instid0(VALU_DEP_2) | instskip(NEXT) | instid1(VALU_DEP_2)
	v_add_nc_u64_e32 v[22:23], s[6:7], v[22:23]
	v_lshl_add_u64 v[20:21], v[20:21], 2, v[24:25]
	s_delay_alu instid0(VALU_DEP_2)
	v_add_nc_u64_e32 v[22:23], 4, v[22:23]
	s_branch .LBB81_121
.LBB81_120:                             ;   in Loop: Header=BB81_121 Depth=1
	s_or_b32 exec_lo, exec_lo, s18
	s_delay_alu instid0(SALU_CYCLE_1) | instskip(NEXT) | instid1(SALU_CYCLE_1)
	s_and_b32 s18, exec_lo, s17
	s_or_b32 s13, s18, s13
	s_and_not1_b32 s14, s14, exec_lo
	s_and_b32 s18, s16, exec_lo
	s_delay_alu instid0(SALU_CYCLE_1)
	s_or_b32 s14, s14, s18
	s_and_not1_b32 exec_lo, exec_lo, s13
	s_cbranch_execz .LBB81_126
.LBB81_121:                             ; =>This Inner Loop Header: Depth=1
	s_or_b32 s16, s16, exec_lo
	s_or_b32 s17, s17, exec_lo
	s_mov_b32 s18, exec_lo
	s_delay_alu instid0(VALU_DEP_1)
	v_cmpx_lt_u64_e64 v[22:23], v[20:21]
	s_cbranch_execz .LBB81_120
; %bb.122:                              ;   in Loop: Header=BB81_121 Depth=1
	global_load_b64 v[24:25], v[22:23], off offset:-4
	s_wait_xcnt 0x0
	v_add_nc_u64_e32 v[22:23], 4, v[22:23]
	s_and_not1_b32 s17, s17, exec_lo
	s_and_not1_b32 s16, s16, exec_lo
	s_wait_loadcnt 0x0
	v_cmp_ge_i32_e32 vcc_lo, v24, v25
	s_or_b32 s19, s15, vcc_lo
	s_delay_alu instid0(SALU_CYCLE_1) | instskip(NEXT) | instid1(SALU_CYCLE_1)
	s_and_b32 s19, s19, exec_lo
	s_or_b32 s17, s17, s19
	s_branch .LBB81_120
.LBB81_123:
	s_or_b32 exec_lo, exec_lo, s1
	s_delay_alu instid0(SALU_CYCLE_1) | instskip(SKIP_1) | instid1(SALU_CYCLE_1)
	s_and_not1_b32 s1, s38, exec_lo
	s_and_b32 s16, s16, exec_lo
	s_or_b32 s1, s1, s16
.LBB81_124:
	s_or_b32 exec_lo, exec_lo, s0
	s_delay_alu instid0(SALU_CYCLE_1)
	s_and_not1_b32 s16, s38, exec_lo
	s_and_b32 s1, s1, exec_lo
	s_mov_b32 s0, exec_lo
	s_or_b32 s38, s16, s1
	s_or_b32 exec_lo, exec_lo, s39
	s_and_saveexec_b32 s1, s38
	s_cbranch_execz .LBB81_72
.LBB81_125:
	s_or_b32 s3, s3, exec_lo
	s_and_not1_b32 s0, s0, exec_lo
	s_trap 2
	s_or_b32 exec_lo, exec_lo, s1
	s_and_saveexec_b32 s1, s0
	s_delay_alu instid0(SALU_CYCLE_1)
	s_xor_b32 s0, exec_lo, s1
	s_cbranch_execnz .LBB81_73
	s_branch .LBB81_74
.LBB81_126:
	s_or_b32 exec_lo, exec_lo, s13
	s_delay_alu instid0(SALU_CYCLE_1)
	s_mov_b32 s13, exec_lo
	s_or_not1_b32 s15, s14, exec_lo
.LBB81_127:
	s_or_b32 exec_lo, exec_lo, s1
	s_delay_alu instid0(SALU_CYCLE_1)
	s_and_b32 s14, s13, exec_lo
	s_xor_b32 s13, exec_lo, -1
	s_and_b32 s1, s15, exec_lo
.LBB81_128:
	s_or_b32 exec_lo, exec_lo, s39
	s_delay_alu instid0(SALU_CYCLE_1)
	s_and_b32 s15, s14, exec_lo
	s_and_b32 s14, s13, exec_lo
	s_xor_b32 s13, exec_lo, -1
	s_and_b32 s1, s1, exec_lo
.LBB81_129:
	s_or_b32 exec_lo, exec_lo, s38
	s_delay_alu instid0(SALU_CYCLE_1)
	s_and_b32 s16, s15, exec_lo
	s_and_b32 s15, s14, exec_lo
	;; [unrolled: 1-line block ×3, first 2 shown]
	s_xor_b32 s13, exec_lo, -1
	s_and_b32 s1, s1, exec_lo
.LBB81_130:
	s_or_b32 exec_lo, exec_lo, s35
	s_delay_alu instid0(SALU_CYCLE_1)
	s_and_b32 s35, s16, exec_lo
	s_and_b32 s38, s15, exec_lo
	;; [unrolled: 1-line block ×4, first 2 shown]
	s_or_not1_b32 s1, s1, exec_lo
.LBB81_131:
	s_or_b32 exec_lo, exec_lo, s31
	s_mov_b32 s44, 0
                                        ; implicit-def: $sgpr31
                                        ; implicit-def: $sgpr40
                                        ; implicit-def: $sgpr22
	s_and_saveexec_b32 s42, s1
	s_cbranch_execz .LBB81_143
; %bb.132:
	v_cmp_gt_i32_e64 s31, s33, v17
	s_mov_b32 s1, -1
	s_mov_b32 s48, 0
	s_mov_b32 s43, s41
	;; [unrolled: 1-line block ×4, first 2 shown]
	s_and_saveexec_b32 s40, s31
	s_cbranch_execz .LBB81_179
; %bb.133:
	s_wait_loadcnt 0x4
	v_cmp_eq_u32_e32 vcc_lo, s36, v15
	s_mov_b32 s13, -1
	s_mov_b32 s1, 0
	s_mov_b32 s15, s39
	;; [unrolled: 1-line block ×3, first 2 shown]
	s_and_b32 s17, s37, vcc_lo
	s_mov_b32 s14, 0
	s_and_saveexec_b32 s43, s17
	s_cbranch_execz .LBB81_178
; %bb.134:
	s_wait_loadcnt 0x3
	v_cmp_eq_u32_e32 vcc_lo, s10, v19
	s_mov_b32 s15, s38
	s_and_b32 s16, s34, vcc_lo
	s_delay_alu instid0(SALU_CYCLE_1)
	s_and_saveexec_b32 s44, s16
	s_cbranch_execz .LBB81_177
; %bb.135:
	s_wait_loadcnt 0x1
	v_sub_nc_u32_e32 v5, v14, v16
	s_delay_alu instid0(VALU_DEP_1)
	v_cmp_le_i32_e32 vcc_lo, v15, v5
	v_cmp_ge_i32_e64 s1, s8, v5
	s_and_b32 s14, vcc_lo, s1
	s_mov_b32 s1, 0
	s_and_b32 s15, s30, s14
	s_mov_b32 s14, 0
	s_and_saveexec_b32 s45, s15
	s_cbranch_execz .LBB81_176
; %bb.136:
	v_mov_b64_e32 v[20:21], 0
	s_and_not1_b32 vcc_lo, exec_lo, s9
	s_cbranch_vccnz .LBB81_169
; %bb.137:
	s_wait_loadcnt 0x0
	v_ashrrev_i32_e32 v19, 31, v18
	s_ashr_i32 s13, s12, 31
	v_mov_b64_e32 v[20:21], 0
	s_lshl_b64 s[16:17], s[12:13], 3
	s_mov_b64 s[14:15], 0xffffffff
	v_mul_u64_e32 v[22:23], s[10:11], v[18:19]
	v_mov_b32_e32 v18, 0
	s_add_nc_u64 s[16:17], s[20:21], s[16:17]
	s_mov_b32 s19, 0
	s_add_nc_u64 s[16:17], s[16:17], 32
	s_mov_b32 s13, s28
	s_branch .LBB81_139
.LBB81_138:                             ;   in Loop: Header=BB81_139 Depth=1
	s_or_b32 exec_lo, exec_lo, s1
	s_delay_alu instid0(VALU_DEP_1)
	v_mul_u64_e32 v[26:27], s[22:23], v[24:25]
	s_load_b64 s[22:23], s[16:17], 0x40
	s_add_co_i32 s13, s13, -1
	s_wait_xcnt 0x0
	s_add_nc_u64 s[16:17], s[16:17], -8
	s_cmp_lg_u32 s13, 0
	s_delay_alu instid0(VALU_DEP_1) | instskip(SKIP_1) | instid1(VALU_DEP_1)
	v_sub_nc_u64_e32 v[22:23], v[22:23], v[26:27]
	s_wait_kmcnt 0x0
	v_mad_nc_u64_u32 v[20:21], v22, s22, v[20:21]
	s_delay_alu instid0(VALU_DEP_1) | instskip(NEXT) | instid1(VALU_DEP_1)
	v_mad_u32 v5, v23, s22, v21
	v_mad_u32 v21, v22, s23, v5
	v_mov_b64_e32 v[22:23], v[24:25]
	s_cbranch_scc0 .LBB81_169
.LBB81_139:                             ; =>This Inner Loop Header: Depth=1
	s_load_b64 s[22:23], s[16:17], 0x0
                                        ; implicit-def: $vgpr24_vgpr25
	s_mov_b32 s1, exec_lo
	s_wait_kmcnt 0x0
	s_delay_alu instid0(VALU_DEP_1) | instskip(NEXT) | instid1(VALU_DEP_1)
	v_or_b32_e32 v19, s23, v23
	v_cmpx_ne_u64_e32 0, v[18:19]
	s_xor_b32 s46, exec_lo, s1
	s_cbranch_execz .LBB81_141
; %bb.140:                              ;   in Loop: Header=BB81_139 Depth=1
	s_ashr_i32 s24, s23, 31
	v_dual_mov_b32 v29, v18 :: v_dual_ashrrev_i32 v24, 31, v23
	s_mov_b32 s25, s24
	s_delay_alu instid0(SALU_CYCLE_1) | instskip(NEXT) | instid1(VALU_DEP_1)
	s_add_nc_u64 s[26:27], s[22:23], s[24:25]
	v_mov_b32_e32 v25, v24
	s_xor_b64 s[26:27], s[26:27], s[24:25]
	s_delay_alu instid0(SALU_CYCLE_1)
	s_cvt_f32_u32 s1, s26
	s_cvt_f32_u32 s18, s27
	s_sub_nc_u64 s[52:53], 0, s[26:27]
	v_add_nc_u64_e32 v[26:27], v[22:23], v[24:25]
	v_mov_b32_e32 v33, v18
	s_fmamk_f32 s1, s18, 0x4f800000, s1
	s_delay_alu instid0(SALU_CYCLE_3) | instskip(NEXT) | instid1(VALU_DEP_2)
	v_s_rcp_f32 s1, s1
	v_xor_b32_e32 v28, v26, v24
	s_delay_alu instid0(VALU_DEP_3) | instskip(NEXT) | instid1(TRANS32_DEP_1)
	v_dual_mov_b32 v37, v18 :: v_dual_bitop2_b32 v32, v27, v24 bitop3:0x14
	s_mul_f32 s1, s1, 0x5f7ffffc
	s_delay_alu instid0(SALU_CYCLE_3) | instskip(NEXT) | instid1(SALU_CYCLE_3)
	s_mul_f32 s18, s1, 0x2f800000
	s_trunc_f32 s18, s18
	s_delay_alu instid0(SALU_CYCLE_3) | instskip(SKIP_1) | instid1(SALU_CYCLE_2)
	s_fmamk_f32 s1, s18, 0xcf800000, s1
	s_cvt_u32_f32 s51, s18
	s_cvt_u32_f32 s50, s1
	s_delay_alu instid0(SALU_CYCLE_3) | instskip(NEXT) | instid1(SALU_CYCLE_1)
	s_mul_u64 s[54:55], s[52:53], s[50:51]
	s_mul_hi_u32 s57, s50, s55
	s_mul_i32 s56, s50, s55
	s_mul_hi_u32 s18, s50, s54
	s_mul_i32 s25, s51, s54
	s_add_nc_u64 s[56:57], s[18:19], s[56:57]
	s_mul_hi_u32 s1, s51, s54
	s_mul_hi_u32 s47, s51, s55
	s_add_co_u32 s18, s56, s25
	s_add_co_ci_u32 s18, s57, s1
	s_mul_i32 s54, s51, s55
	s_add_co_ci_u32 s55, s47, 0
	s_delay_alu instid0(SALU_CYCLE_1) | instskip(NEXT) | instid1(SALU_CYCLE_1)
	s_add_nc_u64 s[54:55], s[18:19], s[54:55]
	s_add_co_u32 s50, s50, s54
	s_cselect_b32 s1, -1, 0
	s_delay_alu instid0(SALU_CYCLE_1) | instskip(SKIP_1) | instid1(SALU_CYCLE_1)
	s_cmp_lg_u32 s1, 0
	s_add_co_ci_u32 s51, s51, s55
	s_mul_u64 s[52:53], s[52:53], s[50:51]
	s_delay_alu instid0(SALU_CYCLE_1)
	s_mul_hi_u32 s55, s50, s53
	s_mul_i32 s54, s50, s53
	s_mul_hi_u32 s18, s50, s52
	s_mul_i32 s25, s51, s52
	s_add_nc_u64 s[54:55], s[18:19], s[54:55]
	s_mul_hi_u32 s1, s51, s52
	s_mul_hi_u32 s47, s51, s53
	s_add_co_u32 s18, s54, s25
	s_add_co_ci_u32 s18, s55, s1
	s_mul_i32 s52, s51, s53
	s_add_co_ci_u32 s53, s47, 0
	s_delay_alu instid0(SALU_CYCLE_1) | instskip(NEXT) | instid1(SALU_CYCLE_1)
	s_add_nc_u64 s[52:53], s[18:19], s[52:53]
	s_add_co_u32 s50, s50, s52
	s_cselect_b32 s1, -1, 0
	v_mul_hi_u32 v36, v28, s50
	s_cmp_lg_u32 s1, 0
	s_add_co_ci_u32 s18, s51, s53
	s_and_b64 s[52:53], s[50:51], s[14:15]
	v_mul_u64_e32 v[30:31], s[18:19], v[28:29]
	v_mul_u64_e32 v[26:27], s[52:53], v[32:33]
	;; [unrolled: 1-line block ×3, first 2 shown]
	s_delay_alu instid0(VALU_DEP_3) | instskip(NEXT) | instid1(VALU_DEP_1)
	v_add_nc_u64_e32 v[30:31], v[36:37], v[30:31]
	v_add_co_u32 v5, vcc_lo, v30, v26
	s_delay_alu instid0(VALU_DEP_2) | instskip(NEXT) | instid1(VALU_DEP_4)
	v_add_co_ci_u32_e32 v36, vcc_lo, v31, v27, vcc_lo
	v_add_co_ci_u32_e32 v35, vcc_lo, 0, v35, vcc_lo
	s_delay_alu instid0(VALU_DEP_1) | instskip(NEXT) | instid1(VALU_DEP_1)
	v_add_nc_u64_e32 v[26:27], v[36:37], v[34:35]
	v_mul_u64_e32 v[30:31], s[26:27], v[26:27]
	s_delay_alu instid0(VALU_DEP_1) | instskip(NEXT) | instid1(VALU_DEP_2)
	v_sub_nc_u32_e32 v5, v32, v31
	v_sub_co_u32 v12, vcc_lo, v28, v30
	s_delay_alu instid0(VALU_DEP_1) | instskip(NEXT) | instid1(VALU_DEP_3)
	v_sub_co_ci_u32_e64 v17, null, v32, v31, vcc_lo
	v_subrev_co_ci_u32_e64 v5, null, s27, v5, vcc_lo
	s_delay_alu instid0(VALU_DEP_3) | instskip(SKIP_1) | instid1(VALU_DEP_3)
	v_sub_co_u32 v15, s1, v12, s26
	v_add_nc_u64_e32 v[28:29], 2, v[26:27]
	v_subrev_co_ci_u32_e64 v5, null, 0, v5, s1
	s_delay_alu instid0(VALU_DEP_3) | instskip(SKIP_2) | instid1(VALU_DEP_4)
	v_cmp_le_u32_e32 vcc_lo, s26, v15
	v_add_nc_u64_e32 v[30:31], 1, v[26:27]
	v_cndmask_b32_e64 v15, 0, -1, vcc_lo
	v_cmp_le_u32_e32 vcc_lo, s27, v5
	v_cndmask_b32_e64 v19, 0, -1, vcc_lo
	v_cmp_le_u32_e32 vcc_lo, s26, v12
	;; [unrolled: 2-line block ×3, first 2 shown]
	v_cndmask_b32_e64 v25, 0, -1, vcc_lo
	v_cmp_eq_u32_e32 vcc_lo, s27, v5
	v_cndmask_b32_e32 v5, v19, v15, vcc_lo
	v_cmp_eq_u32_e32 vcc_lo, s27, v17
	s_delay_alu instid0(VALU_DEP_4) | instskip(NEXT) | instid1(VALU_DEP_3)
	v_cndmask_b32_e32 v12, v25, v12, vcc_lo
	v_cmp_ne_u32_e32 vcc_lo, 0, v5
	s_delay_alu instid0(VALU_DEP_2) | instskip(SKIP_1) | instid1(VALU_DEP_1)
	v_cmp_ne_u32_e64 s1, 0, v12
	v_dual_cndmask_b32 v5, v31, v29 :: v_dual_cndmask_b32 v12, v30, v28
	v_dual_cndmask_b32 v5, v27, v5, s1 :: v_dual_bitop2_b32 v24, s24, v24 bitop3:0x14
	s_delay_alu instid0(VALU_DEP_1) | instskip(NEXT) | instid1(VALU_DEP_2)
	v_dual_cndmask_b32 v12, v26, v12, s1 :: v_dual_mov_b32 v25, v24
	v_xor_b32_e32 v27, v5, v24
	s_delay_alu instid0(VALU_DEP_2) | instskip(NEXT) | instid1(VALU_DEP_1)
	v_xor_b32_e32 v26, v12, v24
	v_sub_nc_u64_e32 v[24:25], v[26:27], v[24:25]
.LBB81_141:                             ;   in Loop: Header=BB81_139 Depth=1
	s_and_not1_saveexec_b32 s1, s46
	s_cbranch_execz .LBB81_138
; %bb.142:                              ;   in Loop: Header=BB81_139 Depth=1
	v_cvt_f32_u32_e32 v5, s22
	s_sub_co_i32 s18, 0, s22
	v_mov_b32_e32 v25, v18
	s_delay_alu instid0(VALU_DEP_2) | instskip(SKIP_1) | instid1(TRANS32_DEP_1)
	v_rcp_iflag_f32_e32 v5, v5
	v_nop
	v_mul_f32_e32 v5, 0x4f7ffffe, v5
	s_delay_alu instid0(VALU_DEP_1) | instskip(NEXT) | instid1(VALU_DEP_1)
	v_cvt_u32_f32_e32 v5, v5
	v_mul_lo_u32 v12, s18, v5
	s_delay_alu instid0(VALU_DEP_1) | instskip(NEXT) | instid1(VALU_DEP_1)
	v_mul_hi_u32 v12, v5, v12
	v_add_nc_u32_e32 v5, v5, v12
	s_delay_alu instid0(VALU_DEP_1) | instskip(NEXT) | instid1(VALU_DEP_1)
	v_mul_hi_u32 v5, v22, v5
	v_mul_lo_u32 v12, v5, s22
	s_delay_alu instid0(VALU_DEP_1) | instskip(NEXT) | instid1(VALU_DEP_1)
	v_dual_add_nc_u32 v15, 1, v5 :: v_dual_sub_nc_u32 v12, v22, v12
	v_subrev_nc_u32_e32 v17, s22, v12
	v_cmp_le_u32_e32 vcc_lo, s22, v12
	s_delay_alu instid0(VALU_DEP_2) | instskip(NEXT) | instid1(VALU_DEP_1)
	v_dual_cndmask_b32 v12, v12, v17 :: v_dual_cndmask_b32 v5, v5, v15
	v_cmp_le_u32_e32 vcc_lo, s22, v12
	s_delay_alu instid0(VALU_DEP_2) | instskip(NEXT) | instid1(VALU_DEP_1)
	v_add_nc_u32_e32 v15, 1, v5
	v_cndmask_b32_e32 v24, v5, v15, vcc_lo
	s_branch .LBB81_138
.LBB81_143:
	s_or_b32 exec_lo, exec_lo, s42
	s_and_saveexec_b32 s1, s41
	s_cbranch_execnz .LBB81_207
.LBB81_144:
	s_or_b32 exec_lo, exec_lo, s1
	s_mov_b32 s1, 0
	s_and_saveexec_b32 s13, s43
	s_delay_alu instid0(SALU_CYCLE_1)
	s_xor_b32 s13, exec_lo, s13
; %bb.145:
	v_cmp_ne_u32_e32 vcc_lo, s10, v3
	s_xor_b32 s14, s34, -1
	s_and_not1_b32 s15, s39, exec_lo
	s_mov_b32 s1, exec_lo
	s_or_b32 s14, s14, vcc_lo
	s_delay_alu instid0(SALU_CYCLE_1) | instskip(NEXT) | instid1(SALU_CYCLE_1)
	s_and_b32 s14, s14, exec_lo
	s_or_b32 s39, s15, s14
; %bb.146:
	s_or_b32 exec_lo, exec_lo, s13
	s_and_saveexec_b32 s13, s39
	s_cbranch_execnz .LBB81_210
.LBB81_147:
	s_or_b32 exec_lo, exec_lo, s13
	s_mov_b32 s13, 0
	s_and_saveexec_b32 s14, s1
	s_delay_alu instid0(SALU_CYCLE_1)
	s_xor_b32 s14, exec_lo, s14
	s_cbranch_execz .LBB81_152
; %bb.148:
	v_sub_nc_u32_e32 v3, v4, v2
	s_mov_b32 s13, exec_lo
	s_delay_alu instid0(VALU_DEP_1) | instskip(SKIP_3) | instid1(SALU_CYCLE_1)
	v_cmp_le_i32_e32 vcc_lo, v1, v3
	v_cmp_ge_i32_e64 s1, s8, v3
	s_and_not1_b32 s8, s38, exec_lo
	s_and_b32 s1, vcc_lo, s1
	s_and_b32 s1, s30, s1
	s_delay_alu instid0(SALU_CYCLE_1) | instskip(NEXT) | instid1(SALU_CYCLE_1)
	s_xor_b32 s1, s1, -1
	s_and_b32 s1, s1, exec_lo
	s_delay_alu instid0(SALU_CYCLE_1)
	s_or_b32 s38, s8, s1
	s_or_b32 exec_lo, exec_lo, s14
	s_and_saveexec_b32 s1, s38
	s_cbranch_execz .LBB81_153
.LBB81_149:
	s_or_b32 s3, s3, exec_lo
	s_and_not1_b32 s13, s13, exec_lo
	s_trap 2
	s_or_b32 exec_lo, exec_lo, s1
	s_and_saveexec_b32 s23, s13
	s_cbranch_execnz .LBB81_154
.LBB81_150:
	s_or_b32 exec_lo, exec_lo, s23
	s_and_saveexec_b32 s1, s35
	s_cbranch_execnz .LBB81_168
.LBB81_151:
	s_or_b32 exec_lo, exec_lo, s1
	s_and_saveexec_b32 s1, s3
	s_cbranch_execnz .LBB81_105
	s_branch .LBB81_106
.LBB81_152:
	s_or_b32 exec_lo, exec_lo, s14
	s_and_saveexec_b32 s1, s38
	s_cbranch_execnz .LBB81_149
.LBB81_153:
	s_or_b32 exec_lo, exec_lo, s1
	s_and_saveexec_b32 s23, s13
	s_cbranch_execz .LBB81_150
.LBB81_154:
	v_mov_b64_e32 v[8:9], 0
	s_and_not1_b32 vcc_lo, exec_lo, s9
	s_cbranch_vccnz .LBB81_161
; %bb.155:
	v_mul_u64_e32 v[10:11], s[10:11], v[6:7]
	s_ashr_i32 s13, s12, 31
	v_mov_b64_e32 v[8:9], 0
	s_lshl_b64 s[10:11], s[12:13], 3
	v_mov_b32_e32 v6, 0
	s_add_nc_u64 s[10:11], s[20:21], s[10:11]
	s_mov_b64 s[8:9], 0xffffffff
	s_add_nc_u64 s[10:11], s[10:11], 32
	s_mov_b32 s13, 0
	s_branch .LBB81_157
.LBB81_156:                             ;   in Loop: Header=BB81_157 Depth=1
	s_or_b32 exec_lo, exec_lo, s1
	s_wait_loadcnt 0x1
	s_delay_alu instid0(VALU_DEP_1)
	v_mul_u64_e32 v[14:15], s[14:15], v[12:13]
	s_load_b64 s[14:15], s[10:11], 0x40
	s_add_co_i32 s28, s28, -1
	s_wait_xcnt 0x0
	s_add_nc_u64 s[10:11], s[10:11], -8
	s_cmp_lg_u32 s28, 0
	s_delay_alu instid0(VALU_DEP_1) | instskip(SKIP_1) | instid1(VALU_DEP_1)
	v_sub_nc_u64_e32 v[10:11], v[10:11], v[14:15]
	s_wait_kmcnt 0x0
	v_mad_nc_u64_u32 v[8:9], v10, s14, v[8:9]
	s_delay_alu instid0(VALU_DEP_1) | instskip(NEXT) | instid1(VALU_DEP_1)
	v_mad_u32 v1, v11, s14, v9
	v_mad_u32 v9, v10, s15, v1
	v_mov_b64_e32 v[10:11], v[12:13]
	s_cbranch_scc0 .LBB81_161
.LBB81_157:                             ; =>This Inner Loop Header: Depth=1
	s_load_b64 s[14:15], s[10:11], 0x0
                                        ; implicit-def: $vgpr12_vgpr13
	s_mov_b32 s1, exec_lo
	s_wait_kmcnt 0x0
	s_delay_alu instid0(VALU_DEP_1) | instskip(NEXT) | instid1(VALU_DEP_1)
	v_or_b32_e32 v7, s15, v11
	v_cmpx_ne_u64_e32 0, v[6:7]
	s_xor_b32 s20, exec_lo, s1
	s_cbranch_execz .LBB81_159
; %bb.158:                              ;   in Loop: Header=BB81_157 Depth=1
	s_ashr_i32 s16, s15, 31
	v_dual_mov_b32 v17, v6 :: v_dual_ashrrev_i32 v12, 31, v11
	s_mov_b32 s17, s16
	s_delay_alu instid0(SALU_CYCLE_1) | instskip(NEXT) | instid1(VALU_DEP_1)
	s_add_nc_u64 s[18:19], s[14:15], s[16:17]
	v_mov_b32_e32 v13, v12
	s_xor_b64 s[18:19], s[18:19], s[16:17]
	s_delay_alu instid0(SALU_CYCLE_1)
	s_cvt_f32_u32 s1, s18
	s_cvt_f32_u32 s12, s19
	s_sub_nc_u64 s[26:27], 0, s[18:19]
	s_wait_loadcnt 0x1
	v_add_nc_u64_e32 v[14:15], v[10:11], v[12:13]
	v_mov_b32_e32 v21, v6
	s_fmamk_f32 s1, s12, 0x4f800000, s1
	s_delay_alu instid0(SALU_CYCLE_3) | instskip(NEXT) | instid1(VALU_DEP_2)
	v_s_rcp_f32 s1, s1
	v_xor_b32_e32 v16, v14, v12
	s_delay_alu instid0(VALU_DEP_3) | instskip(NEXT) | instid1(TRANS32_DEP_1)
	v_dual_mov_b32 v25, v6 :: v_dual_bitop2_b32 v20, v15, v12 bitop3:0x14
	s_mul_f32 s1, s1, 0x5f7ffffc
	s_delay_alu instid0(SALU_CYCLE_3) | instskip(NEXT) | instid1(SALU_CYCLE_3)
	s_mul_f32 s12, s1, 0x2f800000
	s_trunc_f32 s12, s12
	s_delay_alu instid0(SALU_CYCLE_3) | instskip(SKIP_1) | instid1(SALU_CYCLE_2)
	s_fmamk_f32 s1, s12, 0xcf800000, s1
	s_cvt_u32_f32 s25, s12
	s_cvt_u32_f32 s24, s1
	s_delay_alu instid0(SALU_CYCLE_3) | instskip(NEXT) | instid1(SALU_CYCLE_1)
	s_mul_u64 s[36:37], s[26:27], s[24:25]
	s_mul_hi_u32 s39, s24, s37
	s_mul_i32 s38, s24, s37
	s_mul_hi_u32 s12, s24, s36
	s_mul_i32 s17, s25, s36
	s_add_nc_u64 s[38:39], s[12:13], s[38:39]
	s_mul_hi_u32 s1, s25, s36
	s_mul_hi_u32 s21, s25, s37
	s_add_co_u32 s12, s38, s17
	s_add_co_ci_u32 s12, s39, s1
	s_mul_i32 s36, s25, s37
	s_add_co_ci_u32 s37, s21, 0
	s_delay_alu instid0(SALU_CYCLE_1) | instskip(NEXT) | instid1(SALU_CYCLE_1)
	s_add_nc_u64 s[36:37], s[12:13], s[36:37]
	s_add_co_u32 s24, s24, s36
	s_cselect_b32 s1, -1, 0
	s_delay_alu instid0(SALU_CYCLE_1) | instskip(SKIP_1) | instid1(SALU_CYCLE_1)
	s_cmp_lg_u32 s1, 0
	s_add_co_ci_u32 s25, s25, s37
	s_mul_u64 s[26:27], s[26:27], s[24:25]
	s_delay_alu instid0(SALU_CYCLE_1)
	s_mul_hi_u32 s37, s24, s27
	s_mul_i32 s36, s24, s27
	s_mul_hi_u32 s12, s24, s26
	s_mul_i32 s17, s25, s26
	s_add_nc_u64 s[36:37], s[12:13], s[36:37]
	s_mul_hi_u32 s1, s25, s26
	s_mul_hi_u32 s21, s25, s27
	s_add_co_u32 s12, s36, s17
	s_add_co_ci_u32 s12, s37, s1
	s_mul_i32 s26, s25, s27
	s_add_co_ci_u32 s27, s21, 0
	s_delay_alu instid0(SALU_CYCLE_1) | instskip(NEXT) | instid1(SALU_CYCLE_1)
	s_add_nc_u64 s[26:27], s[12:13], s[26:27]
	s_add_co_u32 s24, s24, s26
	s_cselect_b32 s1, -1, 0
	s_wait_loadcnt 0x0
	v_mul_hi_u32 v24, v16, s24
	s_cmp_lg_u32 s1, 0
	s_add_co_ci_u32 s12, s25, s27
	s_and_b64 s[26:27], s[24:25], s[8:9]
	v_mul_u64_e32 v[18:19], s[12:13], v[16:17]
	v_mul_u64_e32 v[14:15], s[26:27], v[20:21]
	v_mul_u64_e32 v[22:23], s[12:13], v[20:21]
	s_delay_alu instid0(VALU_DEP_3) | instskip(NEXT) | instid1(VALU_DEP_1)
	v_add_nc_u64_e32 v[18:19], v[24:25], v[18:19]
	v_add_co_u32 v1, vcc_lo, v18, v14
	s_delay_alu instid0(VALU_DEP_2) | instskip(NEXT) | instid1(VALU_DEP_4)
	v_add_co_ci_u32_e32 v24, vcc_lo, v19, v15, vcc_lo
	v_add_co_ci_u32_e32 v23, vcc_lo, 0, v23, vcc_lo
	s_delay_alu instid0(VALU_DEP_1) | instskip(NEXT) | instid1(VALU_DEP_1)
	v_add_nc_u64_e32 v[14:15], v[24:25], v[22:23]
	v_mul_u64_e32 v[18:19], s[18:19], v[14:15]
	s_delay_alu instid0(VALU_DEP_1) | instskip(NEXT) | instid1(VALU_DEP_2)
	v_sub_nc_u32_e32 v1, v20, v19
	v_sub_co_u32 v3, vcc_lo, v16, v18
	s_delay_alu instid0(VALU_DEP_1) | instskip(NEXT) | instid1(VALU_DEP_3)
	v_sub_co_ci_u32_e64 v7, null, v20, v19, vcc_lo
	v_subrev_co_ci_u32_e64 v1, null, s19, v1, vcc_lo
	s_delay_alu instid0(VALU_DEP_3) | instskip(SKIP_1) | instid1(VALU_DEP_3)
	v_sub_co_u32 v5, s1, v3, s18
	v_add_nc_u64_e32 v[16:17], 2, v[14:15]
	v_subrev_co_ci_u32_e64 v1, null, 0, v1, s1
	s_delay_alu instid0(VALU_DEP_3) | instskip(SKIP_2) | instid1(VALU_DEP_4)
	v_cmp_le_u32_e32 vcc_lo, s18, v5
	v_add_nc_u64_e32 v[18:19], 1, v[14:15]
	v_cndmask_b32_e64 v5, 0, -1, vcc_lo
	v_cmp_le_u32_e32 vcc_lo, s19, v1
	v_cndmask_b32_e64 v13, 0, -1, vcc_lo
	v_cmp_le_u32_e32 vcc_lo, s18, v3
	;; [unrolled: 2-line block ×3, first 2 shown]
	v_cndmask_b32_e64 v20, 0, -1, vcc_lo
	v_cmp_eq_u32_e32 vcc_lo, s19, v1
	v_cndmask_b32_e32 v1, v13, v5, vcc_lo
	v_cmp_eq_u32_e32 vcc_lo, s19, v7
	s_delay_alu instid0(VALU_DEP_4) | instskip(NEXT) | instid1(VALU_DEP_3)
	v_cndmask_b32_e32 v3, v20, v3, vcc_lo
	v_cmp_ne_u32_e32 vcc_lo, 0, v1
	s_delay_alu instid0(VALU_DEP_2) | instskip(SKIP_1) | instid1(VALU_DEP_1)
	v_cmp_ne_u32_e64 s1, 0, v3
	v_dual_cndmask_b32 v1, v19, v17, vcc_lo :: v_dual_cndmask_b32 v3, v18, v16, vcc_lo
	v_dual_cndmask_b32 v1, v15, v1, s1 :: v_dual_bitop2_b32 v12, s16, v12 bitop3:0x14
	s_delay_alu instid0(VALU_DEP_1) | instskip(NEXT) | instid1(VALU_DEP_2)
	v_dual_cndmask_b32 v3, v14, v3, s1 :: v_dual_mov_b32 v13, v12
	v_xor_b32_e32 v15, v1, v12
	s_delay_alu instid0(VALU_DEP_2) | instskip(NEXT) | instid1(VALU_DEP_1)
	v_xor_b32_e32 v14, v3, v12
	v_sub_nc_u64_e32 v[12:13], v[14:15], v[12:13]
.LBB81_159:                             ;   in Loop: Header=BB81_157 Depth=1
	s_and_not1_saveexec_b32 s1, s20
	s_cbranch_execz .LBB81_156
; %bb.160:                              ;   in Loop: Header=BB81_157 Depth=1
	v_cvt_f32_u32_e32 v1, s14
	s_sub_co_i32 s12, 0, s14
	v_mov_b32_e32 v13, v6
	s_delay_alu instid0(VALU_DEP_2) | instskip(SKIP_1) | instid1(TRANS32_DEP_1)
	v_rcp_iflag_f32_e32 v1, v1
	v_nop
	v_mul_f32_e32 v1, 0x4f7ffffe, v1
	s_delay_alu instid0(VALU_DEP_1) | instskip(NEXT) | instid1(VALU_DEP_1)
	v_cvt_u32_f32_e32 v1, v1
	v_mul_lo_u32 v3, s12, v1
	s_delay_alu instid0(VALU_DEP_1) | instskip(NEXT) | instid1(VALU_DEP_1)
	v_mul_hi_u32 v3, v1, v3
	v_add_nc_u32_e32 v1, v1, v3
	s_delay_alu instid0(VALU_DEP_1) | instskip(NEXT) | instid1(VALU_DEP_1)
	v_mul_hi_u32 v1, v10, v1
	v_mul_lo_u32 v3, v1, s14
	s_delay_alu instid0(VALU_DEP_1) | instskip(NEXT) | instid1(VALU_DEP_1)
	v_sub_nc_u32_e32 v3, v10, v3
	v_subrev_nc_u32_e32 v7, s14, v3
	v_cmp_le_u32_e32 vcc_lo, s14, v3
	s_delay_alu instid0(VALU_DEP_2) | instskip(NEXT) | instid1(VALU_DEP_1)
	v_dual_add_nc_u32 v5, 1, v1 :: v_dual_cndmask_b32 v3, v3, v7, vcc_lo
	v_cndmask_b32_e32 v1, v1, v5, vcc_lo
	s_delay_alu instid0(VALU_DEP_2) | instskip(NEXT) | instid1(VALU_DEP_2)
	v_cmp_le_u32_e32 vcc_lo, s14, v3
	v_add_nc_u32_e32 v5, 1, v1
	s_delay_alu instid0(VALU_DEP_1)
	v_cndmask_b32_e32 v12, v1, v5, vcc_lo
	s_branch .LBB81_156
.LBB81_161:
	s_mov_b32 s8, s35
	s_mov_b32 s1, exec_lo
	v_cmpx_gt_i32_e64 v4, v2
	s_cbranch_execz .LBB81_167
; %bb.162:
	s_delay_alu instid0(VALU_DEP_2) | instskip(SKIP_2) | instid1(VALU_DEP_1)
	v_lshlrev_b64_e32 v[6:7], 2, v[8:9]
	v_dual_ashrrev_i32 v3, 31, v2 :: v_dual_ashrrev_i32 v5, 31, v4
	s_xor_b32 s8, s29, -1
                                        ; implicit-def: $sgpr10
                                        ; implicit-def: $sgpr9
	v_lshl_add_u64 v[2:3], v[2:3], 2, v[6:7]
	v_add_nc_u64_e32 v[6:7], s[6:7], v[6:7]
	s_delay_alu instid0(VALU_DEP_2) | instskip(SKIP_1) | instid1(VALU_DEP_2)
	v_add_nc_u64_e32 v[2:3], s[6:7], v[2:3]
	s_mov_b32 s6, 0
                                        ; implicit-def: $sgpr7
	v_lshl_add_u64 v[4:5], v[4:5], 2, v[6:7]
	s_delay_alu instid0(VALU_DEP_2)
	v_add_nc_u64_e32 v[2:3], 4, v[2:3]
	s_branch .LBB81_164
.LBB81_163:                             ;   in Loop: Header=BB81_164 Depth=1
	s_or_b32 exec_lo, exec_lo, s11
	s_xor_b32 s11, s9, -1
	s_and_b32 s12, exec_lo, s10
	s_delay_alu instid0(SALU_CYCLE_1) | instskip(SKIP_2) | instid1(SALU_CYCLE_1)
	s_or_b32 s6, s12, s6
	s_and_not1_b32 s7, s7, exec_lo
	s_and_b32 s11, s11, exec_lo
	s_or_b32 s7, s7, s11
	s_and_not1_b32 exec_lo, exec_lo, s6
	s_cbranch_execz .LBB81_166
.LBB81_164:                             ; =>This Inner Loop Header: Depth=1
	s_or_b32 s9, s9, exec_lo
	s_or_b32 s10, s10, exec_lo
	s_mov_b32 s11, exec_lo
	s_delay_alu instid0(VALU_DEP_1)
	v_cmpx_lt_u64_e64 v[2:3], v[4:5]
	s_cbranch_execz .LBB81_163
; %bb.165:                              ;   in Loop: Header=BB81_164 Depth=1
	global_load_b64 v[6:7], v[2:3], off offset:-4
	s_wait_xcnt 0x0
	v_add_nc_u64_e32 v[2:3], 4, v[2:3]
	s_and_not1_b32 s10, s10, exec_lo
	s_and_not1_b32 s9, s9, exec_lo
	s_wait_loadcnt 0x0
	v_cmp_ge_i32_e32 vcc_lo, v6, v7
	s_or_b32 s12, s8, vcc_lo
	s_delay_alu instid0(SALU_CYCLE_1) | instskip(NEXT) | instid1(SALU_CYCLE_1)
	s_and_b32 s12, s12, exec_lo
	s_or_b32 s10, s10, s12
	s_branch .LBB81_163
.LBB81_166:
	s_or_b32 exec_lo, exec_lo, s6
	s_delay_alu instid0(SALU_CYCLE_1) | instskip(SKIP_1) | instid1(SALU_CYCLE_1)
	s_and_not1_b32 s6, s35, exec_lo
	s_and_b32 s7, s7, exec_lo
	s_or_b32 s8, s6, s7
.LBB81_167:
	s_or_b32 exec_lo, exec_lo, s1
	s_delay_alu instid0(SALU_CYCLE_1)
	s_and_not1_b32 s1, s35, exec_lo
	s_and_b32 s6, s8, exec_lo
	s_or_b32 s44, s44, exec_lo
	s_or_b32 s35, s1, s6
	s_or_b32 exec_lo, exec_lo, s23
	s_and_saveexec_b32 s1, s35
	s_cbranch_execz .LBB81_151
.LBB81_168:
	s_and_not1_b32 s44, s44, exec_lo
	s_or_b32 s3, s3, exec_lo
	s_trap 2
	s_or_b32 exec_lo, exec_lo, s1
	s_and_saveexec_b32 s1, s3
	s_cbranch_execnz .LBB81_105
	s_branch .LBB81_106
.LBB81_169:
	s_mov_b32 s15, -1
	s_mov_b32 s13, 0
	s_mov_b32 s1, exec_lo
	v_cmpx_gt_i32_e64 v14, v16
	s_cbranch_execz .LBB81_175
; %bb.170:
	s_wait_loadcnt 0x0
	s_delay_alu instid0(VALU_DEP_2) | instskip(SKIP_2) | instid1(VALU_DEP_1)
	v_lshlrev_b64_e32 v[18:19], 2, v[20:21]
	v_dual_ashrrev_i32 v17, 31, v16 :: v_dual_ashrrev_i32 v15, 31, v14
	s_xor_b32 s15, s29, -1
                                        ; implicit-def: $sgpr14
                                        ; implicit-def: $sgpr17
                                        ; implicit-def: $sgpr16
	v_lshl_add_u64 v[16:17], v[16:17], 2, v[18:19]
	v_add_nc_u64_e32 v[18:19], s[6:7], v[18:19]
	s_delay_alu instid0(VALU_DEP_2) | instskip(NEXT) | instid1(VALU_DEP_2)
	v_add_nc_u64_e32 v[16:17], s[6:7], v[16:17]
	v_lshl_add_u64 v[14:15], v[14:15], 2, v[18:19]
	s_delay_alu instid0(VALU_DEP_2)
	v_add_nc_u64_e32 v[16:17], 4, v[16:17]
	s_branch .LBB81_172
.LBB81_171:                             ;   in Loop: Header=BB81_172 Depth=1
	s_or_b32 exec_lo, exec_lo, s18
	s_delay_alu instid0(SALU_CYCLE_1) | instskip(NEXT) | instid1(SALU_CYCLE_1)
	s_and_b32 s18, exec_lo, s17
	s_or_b32 s13, s18, s13
	s_and_not1_b32 s14, s14, exec_lo
	s_and_b32 s18, s16, exec_lo
	s_delay_alu instid0(SALU_CYCLE_1)
	s_or_b32 s14, s14, s18
	s_and_not1_b32 exec_lo, exec_lo, s13
	s_cbranch_execz .LBB81_174
.LBB81_172:                             ; =>This Inner Loop Header: Depth=1
	s_or_b32 s16, s16, exec_lo
	s_or_b32 s17, s17, exec_lo
	s_mov_b32 s18, exec_lo
	s_delay_alu instid0(VALU_DEP_1)
	v_cmpx_lt_u64_e64 v[16:17], v[14:15]
	s_cbranch_execz .LBB81_171
; %bb.173:                              ;   in Loop: Header=BB81_172 Depth=1
	global_load_b64 v[18:19], v[16:17], off offset:-4
	s_wait_xcnt 0x0
	v_add_nc_u64_e32 v[16:17], 4, v[16:17]
	s_and_not1_b32 s17, s17, exec_lo
	s_and_not1_b32 s16, s16, exec_lo
	s_wait_loadcnt 0x0
	v_cmp_ge_i32_e32 vcc_lo, v18, v19
	s_or_b32 s19, s15, vcc_lo
	s_delay_alu instid0(SALU_CYCLE_1) | instskip(NEXT) | instid1(SALU_CYCLE_1)
	s_and_b32 s19, s19, exec_lo
	s_or_b32 s17, s17, s19
	s_branch .LBB81_171
.LBB81_174:
	s_or_b32 exec_lo, exec_lo, s13
	s_delay_alu instid0(SALU_CYCLE_1)
	s_mov_b32 s13, exec_lo
	s_or_not1_b32 s15, s14, exec_lo
.LBB81_175:
	s_or_b32 exec_lo, exec_lo, s1
	s_delay_alu instid0(SALU_CYCLE_1)
	s_and_b32 s14, s13, exec_lo
	s_xor_b32 s13, exec_lo, -1
	s_and_b32 s1, s15, exec_lo
.LBB81_176:
	s_or_b32 exec_lo, exec_lo, s45
	s_delay_alu instid0(SALU_CYCLE_1)
	s_and_not1_b32 s15, s38, exec_lo
	s_and_b32 s13, s13, exec_lo
	s_and_b32 s14, s14, exec_lo
	s_or_b32 s15, s15, s13
	s_xor_b32 s13, exec_lo, -1
	s_and_b32 s1, s1, exec_lo
.LBB81_177:
	s_or_b32 exec_lo, exec_lo, s44
	s_delay_alu instid0(SALU_CYCLE_1)
	s_and_not1_b32 s16, s38, exec_lo
	s_and_b32 s15, s15, exec_lo
	s_and_not1_b32 s17, s39, exec_lo
	s_and_b32 s13, s13, exec_lo
	s_and_b32 s14, s14, exec_lo
	s_or_b32 s16, s16, s15
	s_or_b32 s15, s17, s13
	s_xor_b32 s13, exec_lo, -1
	s_and_b32 s1, s1, exec_lo
.LBB81_178:
	s_or_b32 exec_lo, exec_lo, s43
	s_delay_alu instid0(SALU_CYCLE_1)
	s_and_not1_b32 s17, s38, exec_lo
	s_and_b32 s16, s16, exec_lo
	s_and_b32 s44, s14, exec_lo
	s_or_b32 s45, s17, s16
	s_and_not1_b32 s14, s39, exec_lo
	s_and_b32 s15, s15, exec_lo
	s_and_not1_b32 s16, s41, exec_lo
	s_and_b32 s13, s13, exec_lo
	s_or_b32 s46, s14, s15
	s_or_b32 s43, s16, s13
	s_or_not1_b32 s1, s1, exec_lo
.LBB81_179:
	s_or_b32 exec_lo, exec_lo, s40
	s_mov_b32 s15, 0
                                        ; implicit-def: $sgpr40
                                        ; implicit-def: $sgpr22
	s_and_saveexec_b32 s47, s1
	s_cbranch_execz .LBB81_206
; %bb.180:
	v_or_b32_e32 v5, 0x200, v0
	s_mov_b32 s17, -1
	s_mov_b32 s48, 0
	s_mov_b32 s1, s43
	;; [unrolled: 1-line block ×3, first 2 shown]
	v_cmp_gt_i32_e64 s40, s33, v5
	s_mov_b32 s13, s45
	s_and_saveexec_b32 s49, s40
	s_cbranch_execz .LBB81_201
; %bb.181:
	v_cmp_eq_u32_e32 vcc_lo, s36, v9
	s_mov_b32 s1, -1
	s_mov_b32 s16, 0
	s_mov_b32 s17, s46
	;; [unrolled: 1-line block ×3, first 2 shown]
	s_and_b32 s14, s37, vcc_lo
	s_mov_b32 s13, 0
	s_and_saveexec_b32 s50, s14
	s_cbranch_execz .LBB81_200
; %bb.182:
	v_cmp_eq_u32_e32 vcc_lo, s10, v11
	s_mov_b32 s14, 0
	s_mov_b32 s15, s45
	s_and_b32 s13, s34, vcc_lo
	s_delay_alu instid0(SALU_CYCLE_1)
	s_and_saveexec_b32 s51, s13
	s_cbranch_execz .LBB81_199
; %bb.183:
	v_sub_nc_u32_e32 v5, v8, v10
	s_mov_b32 s14, -1
	s_mov_b32 s13, 0
	s_delay_alu instid0(VALU_DEP_1) | instskip(SKIP_2) | instid1(SALU_CYCLE_1)
	v_cmp_le_i32_e32 vcc_lo, v9, v5
	v_cmp_ge_i32_e64 s1, s8, v5
	s_and_b32 s1, vcc_lo, s1
	s_and_b32 s15, s30, s1
	s_mov_b32 s1, 0
	s_and_saveexec_b32 s52, s15
	s_cbranch_execz .LBB81_198
; %bb.184:
	s_wait_loadcnt 0x1
	v_mov_b64_e32 v[14:15], 0
	s_and_not1_b32 vcc_lo, exec_lo, s9
	s_cbranch_vccnz .LBB81_191
; %bb.185:
	v_dual_mov_b32 v14, v13 :: v_dual_ashrrev_i32 v15, 31, v13
	s_ashr_i32 s13, s12, 31
	v_mov_b32_e32 v12, 0
	s_lshl_b64 s[16:17], s[12:13], 3
	s_mov_b64 s[14:15], 0xffffffff
	v_mul_u64_e32 v[16:17], s[10:11], v[14:15]
	v_mov_b64_e32 v[14:15], 0
	s_add_nc_u64 s[16:17], s[20:21], s[16:17]
	s_mov_b32 s19, 0
	s_add_nc_u64 s[16:17], s[16:17], 32
	s_mov_b32 s13, s28
	s_branch .LBB81_187
.LBB81_186:                             ;   in Loop: Header=BB81_187 Depth=1
	s_or_b32 exec_lo, exec_lo, s1
	s_wait_loadcnt 0x0
	s_delay_alu instid0(VALU_DEP_1)
	v_mul_u64_e32 v[20:21], s[22:23], v[18:19]
	s_load_b64 s[22:23], s[16:17], 0x40
	s_add_co_i32 s13, s13, -1
	s_wait_xcnt 0x0
	s_add_nc_u64 s[16:17], s[16:17], -8
	s_cmp_lg_u32 s13, 0
	s_delay_alu instid0(VALU_DEP_1) | instskip(SKIP_1) | instid1(VALU_DEP_1)
	v_sub_nc_u64_e32 v[16:17], v[16:17], v[20:21]
	s_wait_kmcnt 0x0
	v_mad_nc_u64_u32 v[14:15], v16, s22, v[14:15]
	s_delay_alu instid0(VALU_DEP_1) | instskip(NEXT) | instid1(VALU_DEP_1)
	v_mad_u32 v5, v17, s22, v15
	v_mad_u32 v15, v16, s23, v5
	v_mov_b64_e32 v[16:17], v[18:19]
	s_cbranch_scc0 .LBB81_191
.LBB81_187:                             ; =>This Inner Loop Header: Depth=1
	s_load_b64 s[22:23], s[16:17], 0x0
                                        ; implicit-def: $vgpr18_vgpr19
	s_mov_b32 s1, exec_lo
	s_wait_kmcnt 0x0
	s_delay_alu instid0(VALU_DEP_1) | instskip(NEXT) | instid1(VALU_DEP_1)
	v_or_b32_e32 v13, s23, v17
	v_cmpx_ne_u64_e32 0, v[12:13]
	s_xor_b32 s53, exec_lo, s1
	s_cbranch_execz .LBB81_189
; %bb.188:                              ;   in Loop: Header=BB81_187 Depth=1
	s_ashr_i32 s24, s23, 31
	s_wait_loadcnt 0x0
	v_dual_mov_b32 v23, v12 :: v_dual_ashrrev_i32 v18, 31, v17
	s_mov_b32 s25, s24
	s_delay_alu instid0(SALU_CYCLE_1) | instskip(NEXT) | instid1(VALU_DEP_1)
	s_add_nc_u64 s[26:27], s[22:23], s[24:25]
	v_mov_b32_e32 v19, v18
	s_xor_b64 s[26:27], s[26:27], s[24:25]
	s_delay_alu instid0(SALU_CYCLE_1)
	s_cvt_f32_u32 s1, s26
	s_cvt_f32_u32 s18, s27
	s_sub_nc_u64 s[56:57], 0, s[26:27]
	v_add_nc_u64_e32 v[20:21], v[16:17], v[18:19]
	v_mov_b32_e32 v27, v12
	s_fmamk_f32 s1, s18, 0x4f800000, s1
	s_delay_alu instid0(SALU_CYCLE_3) | instskip(NEXT) | instid1(VALU_DEP_2)
	v_s_rcp_f32 s1, s1
	v_xor_b32_e32 v22, v20, v18
	s_delay_alu instid0(VALU_DEP_3) | instskip(NEXT) | instid1(TRANS32_DEP_1)
	v_dual_mov_b32 v31, v12 :: v_dual_bitop2_b32 v26, v21, v18 bitop3:0x14
	s_mul_f32 s1, s1, 0x5f7ffffc
	s_delay_alu instid0(SALU_CYCLE_3) | instskip(NEXT) | instid1(SALU_CYCLE_3)
	s_mul_f32 s18, s1, 0x2f800000
	s_trunc_f32 s18, s18
	s_delay_alu instid0(SALU_CYCLE_3) | instskip(SKIP_1) | instid1(SALU_CYCLE_2)
	s_fmamk_f32 s1, s18, 0xcf800000, s1
	s_cvt_u32_f32 s55, s18
	s_cvt_u32_f32 s54, s1
	s_delay_alu instid0(SALU_CYCLE_3) | instskip(NEXT) | instid1(SALU_CYCLE_1)
	s_mul_u64 s[58:59], s[56:57], s[54:55]
	s_mul_hi_u32 s61, s54, s59
	s_mul_i32 s60, s54, s59
	s_mul_hi_u32 s18, s54, s58
	s_mul_i32 s25, s55, s58
	s_add_nc_u64 s[60:61], s[18:19], s[60:61]
	s_mul_hi_u32 s1, s55, s58
	s_mul_hi_u32 s62, s55, s59
	s_add_co_u32 s18, s60, s25
	s_add_co_ci_u32 s18, s61, s1
	s_mul_i32 s58, s55, s59
	s_add_co_ci_u32 s59, s62, 0
	s_delay_alu instid0(SALU_CYCLE_1) | instskip(NEXT) | instid1(SALU_CYCLE_1)
	s_add_nc_u64 s[58:59], s[18:19], s[58:59]
	s_add_co_u32 s54, s54, s58
	s_cselect_b32 s1, -1, 0
	s_delay_alu instid0(SALU_CYCLE_1) | instskip(SKIP_1) | instid1(SALU_CYCLE_1)
	s_cmp_lg_u32 s1, 0
	s_add_co_ci_u32 s55, s55, s59
	s_mul_u64 s[56:57], s[56:57], s[54:55]
	s_delay_alu instid0(SALU_CYCLE_1)
	s_mul_hi_u32 s59, s54, s57
	s_mul_i32 s58, s54, s57
	s_mul_hi_u32 s18, s54, s56
	s_mul_i32 s25, s55, s56
	s_add_nc_u64 s[58:59], s[18:19], s[58:59]
	s_mul_hi_u32 s1, s55, s56
	s_mul_hi_u32 s60, s55, s57
	s_add_co_u32 s18, s58, s25
	s_add_co_ci_u32 s18, s59, s1
	s_mul_i32 s56, s55, s57
	s_add_co_ci_u32 s57, s60, 0
	s_delay_alu instid0(SALU_CYCLE_1) | instskip(NEXT) | instid1(SALU_CYCLE_1)
	s_add_nc_u64 s[56:57], s[18:19], s[56:57]
	s_add_co_u32 s54, s54, s56
	s_cselect_b32 s1, -1, 0
	v_mul_hi_u32 v30, v22, s54
	s_cmp_lg_u32 s1, 0
	s_add_co_ci_u32 s18, s55, s57
	s_and_b64 s[56:57], s[54:55], s[14:15]
	v_mul_u64_e32 v[24:25], s[18:19], v[22:23]
	v_mul_u64_e32 v[20:21], s[56:57], v[26:27]
	;; [unrolled: 1-line block ×3, first 2 shown]
	s_delay_alu instid0(VALU_DEP_3) | instskip(NEXT) | instid1(VALU_DEP_1)
	v_add_nc_u64_e32 v[24:25], v[30:31], v[24:25]
	v_add_co_u32 v5, vcc_lo, v24, v20
	s_delay_alu instid0(VALU_DEP_2) | instskip(NEXT) | instid1(VALU_DEP_4)
	v_add_co_ci_u32_e32 v30, vcc_lo, v25, v21, vcc_lo
	v_add_co_ci_u32_e32 v29, vcc_lo, 0, v29, vcc_lo
	s_delay_alu instid0(VALU_DEP_1) | instskip(NEXT) | instid1(VALU_DEP_1)
	v_add_nc_u64_e32 v[20:21], v[30:31], v[28:29]
	v_mul_u64_e32 v[24:25], s[26:27], v[20:21]
	s_delay_alu instid0(VALU_DEP_1) | instskip(NEXT) | instid1(VALU_DEP_2)
	v_sub_nc_u32_e32 v5, v26, v25
	v_sub_co_u32 v9, vcc_lo, v22, v24
	s_delay_alu instid0(VALU_DEP_1) | instskip(NEXT) | instid1(VALU_DEP_3)
	v_sub_co_ci_u32_e64 v13, null, v26, v25, vcc_lo
	v_subrev_co_ci_u32_e64 v5, null, s27, v5, vcc_lo
	s_delay_alu instid0(VALU_DEP_3) | instskip(SKIP_1) | instid1(VALU_DEP_3)
	v_sub_co_u32 v11, s1, v9, s26
	v_add_nc_u64_e32 v[22:23], 2, v[20:21]
	v_subrev_co_ci_u32_e64 v5, null, 0, v5, s1
	s_delay_alu instid0(VALU_DEP_3) | instskip(SKIP_2) | instid1(VALU_DEP_4)
	v_cmp_le_u32_e32 vcc_lo, s26, v11
	v_add_nc_u64_e32 v[24:25], 1, v[20:21]
	v_cndmask_b32_e64 v11, 0, -1, vcc_lo
	v_cmp_le_u32_e32 vcc_lo, s27, v5
	v_cndmask_b32_e64 v19, 0, -1, vcc_lo
	v_cmp_le_u32_e32 vcc_lo, s26, v9
	;; [unrolled: 2-line block ×3, first 2 shown]
	v_cndmask_b32_e64 v26, 0, -1, vcc_lo
	v_cmp_eq_u32_e32 vcc_lo, s27, v5
	v_cndmask_b32_e32 v5, v19, v11, vcc_lo
	v_cmp_eq_u32_e32 vcc_lo, s27, v13
	s_delay_alu instid0(VALU_DEP_4) | instskip(NEXT) | instid1(VALU_DEP_3)
	v_cndmask_b32_e32 v9, v26, v9, vcc_lo
	v_cmp_ne_u32_e32 vcc_lo, 0, v5
	s_delay_alu instid0(VALU_DEP_2) | instskip(SKIP_1) | instid1(VALU_DEP_1)
	v_cmp_ne_u32_e64 s1, 0, v9
	v_dual_cndmask_b32 v5, v25, v23, vcc_lo :: v_dual_cndmask_b32 v9, v24, v22, vcc_lo
	v_dual_cndmask_b32 v5, v21, v5, s1 :: v_dual_bitop2_b32 v18, s24, v18 bitop3:0x14
	s_delay_alu instid0(VALU_DEP_1) | instskip(NEXT) | instid1(VALU_DEP_2)
	v_dual_cndmask_b32 v9, v20, v9, s1 :: v_dual_mov_b32 v19, v18
	v_xor_b32_e32 v21, v5, v18
	s_delay_alu instid0(VALU_DEP_2) | instskip(NEXT) | instid1(VALU_DEP_1)
	v_xor_b32_e32 v20, v9, v18
	v_sub_nc_u64_e32 v[18:19], v[20:21], v[18:19]
.LBB81_189:                             ;   in Loop: Header=BB81_187 Depth=1
	s_and_not1_saveexec_b32 s1, s53
	s_cbranch_execz .LBB81_186
; %bb.190:                              ;   in Loop: Header=BB81_187 Depth=1
	v_cvt_f32_u32_e32 v5, s22
	s_sub_co_i32 s18, 0, s22
	v_mov_b32_e32 v19, v12
	s_delay_alu instid0(VALU_DEP_2) | instskip(SKIP_1) | instid1(TRANS32_DEP_1)
	v_rcp_iflag_f32_e32 v5, v5
	v_nop
	v_mul_f32_e32 v5, 0x4f7ffffe, v5
	s_delay_alu instid0(VALU_DEP_1) | instskip(NEXT) | instid1(VALU_DEP_1)
	v_cvt_u32_f32_e32 v5, v5
	v_mul_lo_u32 v9, s18, v5
	s_delay_alu instid0(VALU_DEP_1) | instskip(NEXT) | instid1(VALU_DEP_1)
	v_mul_hi_u32 v9, v5, v9
	v_add_nc_u32_e32 v5, v5, v9
	s_delay_alu instid0(VALU_DEP_1) | instskip(NEXT) | instid1(VALU_DEP_1)
	v_mul_hi_u32 v5, v16, v5
	v_mul_lo_u32 v9, v5, s22
	v_add_nc_u32_e32 v11, 1, v5
	s_delay_alu instid0(VALU_DEP_2) | instskip(NEXT) | instid1(VALU_DEP_1)
	v_sub_nc_u32_e32 v9, v16, v9
	v_subrev_nc_u32_e32 v13, s22, v9
	v_cmp_le_u32_e32 vcc_lo, s22, v9
	s_delay_alu instid0(VALU_DEP_2) | instskip(SKIP_1) | instid1(VALU_DEP_2)
	v_cndmask_b32_e32 v9, v9, v13, vcc_lo
	v_cndmask_b32_e32 v5, v5, v11, vcc_lo
	v_cmp_le_u32_e32 vcc_lo, s22, v9
	s_delay_alu instid0(VALU_DEP_2) | instskip(SKIP_1) | instid1(VALU_DEP_1)
	v_add_nc_u32_e32 v11, 1, v5
	s_wait_loadcnt 0x0
	v_cndmask_b32_e32 v18, v5, v11, vcc_lo
	s_branch .LBB81_186
.LBB81_191:
	s_mov_b32 s13, -1
	s_mov_b32 s15, 0
	s_mov_b32 s1, exec_lo
	v_cmpx_gt_i32_e64 v8, v10
	s_cbranch_execz .LBB81_197
; %bb.192:
	s_delay_alu instid0(VALU_DEP_2) | instskip(SKIP_3) | instid1(VALU_DEP_1)
	v_lshlrev_b64_e32 v[12:13], 2, v[14:15]
	v_dual_ashrrev_i32 v11, 31, v10 :: v_dual_ashrrev_i32 v9, 31, v8
	s_mov_b32 s13, 0
	s_xor_b32 s15, s29, -1
                                        ; implicit-def: $sgpr14
                                        ; implicit-def: $sgpr17
                                        ; implicit-def: $sgpr16
	v_lshl_add_u64 v[10:11], v[10:11], 2, v[12:13]
	v_add_nc_u64_e32 v[12:13], s[6:7], v[12:13]
	s_delay_alu instid0(VALU_DEP_2) | instskip(NEXT) | instid1(VALU_DEP_2)
	v_add_nc_u64_e32 v[10:11], s[6:7], v[10:11]
	v_lshl_add_u64 v[8:9], v[8:9], 2, v[12:13]
	s_delay_alu instid0(VALU_DEP_2)
	v_add_nc_u64_e32 v[10:11], 4, v[10:11]
	s_branch .LBB81_194
.LBB81_193:                             ;   in Loop: Header=BB81_194 Depth=1
	s_or_b32 exec_lo, exec_lo, s18
	s_delay_alu instid0(SALU_CYCLE_1) | instskip(NEXT) | instid1(SALU_CYCLE_1)
	s_and_b32 s18, exec_lo, s17
	s_or_b32 s13, s18, s13
	s_and_not1_b32 s14, s14, exec_lo
	s_and_b32 s18, s16, exec_lo
	s_delay_alu instid0(SALU_CYCLE_1)
	s_or_b32 s14, s14, s18
	s_and_not1_b32 exec_lo, exec_lo, s13
	s_cbranch_execz .LBB81_196
.LBB81_194:                             ; =>This Inner Loop Header: Depth=1
	s_or_b32 s16, s16, exec_lo
	s_or_b32 s17, s17, exec_lo
	s_mov_b32 s18, exec_lo
	s_delay_alu instid0(VALU_DEP_1)
	v_cmpx_lt_u64_e64 v[10:11], v[8:9]
	s_cbranch_execz .LBB81_193
; %bb.195:                              ;   in Loop: Header=BB81_194 Depth=1
	global_load_b64 v[12:13], v[10:11], off offset:-4
	s_wait_xcnt 0x0
	v_add_nc_u64_e32 v[10:11], 4, v[10:11]
	s_and_not1_b32 s17, s17, exec_lo
	s_and_not1_b32 s16, s16, exec_lo
	s_wait_loadcnt 0x0
	v_cmp_ge_i32_e32 vcc_lo, v12, v13
	s_or_b32 s19, s15, vcc_lo
	s_delay_alu instid0(SALU_CYCLE_1) | instskip(NEXT) | instid1(SALU_CYCLE_1)
	s_and_b32 s19, s19, exec_lo
	s_or_b32 s17, s17, s19
	s_branch .LBB81_193
.LBB81_196:
	s_or_b32 exec_lo, exec_lo, s13
	s_delay_alu instid0(SALU_CYCLE_1)
	s_mov_b32 s15, exec_lo
	s_or_not1_b32 s13, s14, exec_lo
.LBB81_197:
	s_or_b32 exec_lo, exec_lo, s1
	s_delay_alu instid0(SALU_CYCLE_1)
	s_and_b32 s1, s15, exec_lo
	s_xor_b32 s14, exec_lo, -1
	s_and_b32 s13, s13, exec_lo
.LBB81_198:
	s_or_b32 exec_lo, exec_lo, s52
	s_delay_alu instid0(SALU_CYCLE_1)
	s_and_not1_b32 s15, s45, exec_lo
	s_and_b32 s14, s14, exec_lo
	s_and_b32 s16, s1, exec_lo
	s_or_b32 s15, s15, s14
	s_xor_b32 s1, exec_lo, -1
	s_and_b32 s14, s13, exec_lo
.LBB81_199:
	s_or_b32 exec_lo, exec_lo, s51
	s_delay_alu instid0(SALU_CYCLE_1)
	s_and_b32 s13, s16, exec_lo
	s_and_not1_b32 s16, s45, exec_lo
	s_and_b32 s15, s15, exec_lo
	s_and_not1_b32 s17, s46, exec_lo
	s_and_b32 s1, s1, exec_lo
	s_or_b32 s15, s16, s15
	s_or_b32 s17, s17, s1
	s_xor_b32 s1, exec_lo, -1
	s_and_b32 s16, s14, exec_lo
.LBB81_200:
	s_or_b32 exec_lo, exec_lo, s50
	s_delay_alu instid0(SALU_CYCLE_1)
	s_and_not1_b32 s14, s45, exec_lo
	s_and_b32 s18, s15, exec_lo
	s_and_b32 s15, s13, exec_lo
	s_or_b32 s13, s14, s18
	s_and_not1_b32 s14, s46, exec_lo
	s_and_b32 s17, s17, exec_lo
	s_and_not1_b32 s18, s43, exec_lo
	s_and_b32 s1, s1, exec_lo
	s_or_b32 s14, s14, s17
	s_or_b32 s1, s18, s1
	s_or_not1_b32 s17, s16, exec_lo
.LBB81_201:
	s_or_b32 exec_lo, exec_lo, s49
	s_mov_b32 s18, 0
                                        ; implicit-def: $sgpr22
	s_and_saveexec_b32 s16, s17
	s_cbranch_execz .LBB81_205
; %bb.202:
	v_or_b32_e32 v5, 0x300, v0
	s_mov_b32 s17, 0
	s_mov_b32 s18, -1
	s_mov_b32 s19, s1
	s_delay_alu instid0(VALU_DEP_1) | instskip(SKIP_1) | instid1(SALU_CYCLE_1)
	v_cmp_gt_i32_e64 s22, s33, v5
	s_and_saveexec_b32 s23, s22
	s_xor_b32 s23, exec_lo, s23
; %bb.203:
	v_cmp_ne_u32_e32 vcc_lo, s36, v1
	s_xor_b32 s18, s37, -1
	s_and_not1_b32 s19, s1, exec_lo
	s_mov_b32 s17, exec_lo
	s_or_b32 s18, s18, vcc_lo
	s_delay_alu instid0(SALU_CYCLE_1)
	s_and_b32 s24, s18, exec_lo
	s_xor_b32 s18, exec_lo, -1
	s_or_b32 s19, s19, s24
; %bb.204:
	s_or_b32 exec_lo, exec_lo, s23
	s_delay_alu instid0(SALU_CYCLE_1)
	s_and_not1_b32 s1, s1, exec_lo
	s_and_b32 s19, s19, exec_lo
	s_and_b32 s18, s18, exec_lo
	s_and_not1_b32 s15, s15, exec_lo
	s_and_b32 s48, s17, exec_lo
	s_or_b32 s1, s1, s19
.LBB81_205:
	s_or_b32 exec_lo, exec_lo, s16
	s_delay_alu instid0(SALU_CYCLE_1)
	s_and_not1_b32 s16, s44, exec_lo
	s_and_b32 s17, s15, exec_lo
	s_and_b32 s13, s13, exec_lo
	s_or_b32 s44, s16, s17
	s_and_not1_b32 s16, s45, exec_lo
	s_and_not1_b32 s17, s46, exec_lo
	s_and_b32 s14, s14, exec_lo
	s_or_b32 s45, s16, s13
	s_and_not1_b32 s13, s43, exec_lo
	s_and_b32 s1, s1, exec_lo
	s_and_b32 s15, s18, exec_lo
	s_or_b32 s46, s17, s14
	s_and_b32 s48, s48, exec_lo
	s_or_b32 s43, s13, s1
.LBB81_206:
	s_or_b32 exec_lo, exec_lo, s47
	s_delay_alu instid0(SALU_CYCLE_1)
	s_and_not1_b32 s1, s35, exec_lo
	s_and_b32 s13, s44, exec_lo
	s_and_b32 s44, s15, exec_lo
	s_or_b32 s35, s1, s13
	s_and_not1_b32 s1, s38, exec_lo
	s_and_b32 s13, s45, exec_lo
	s_and_not1_b32 s14, s39, exec_lo
	s_and_b32 s15, s46, exec_lo
	s_or_b32 s38, s1, s13
	s_and_not1_b32 s1, s41, exec_lo
	s_and_b32 s13, s43, exec_lo
	s_or_b32 s39, s14, s15
	s_and_b32 s43, s48, exec_lo
	s_or_b32 s41, s1, s13
	s_or_b32 exec_lo, exec_lo, s42
	s_and_saveexec_b32 s1, s41
	s_cbranch_execz .LBB81_144
.LBB81_207:
	s_or_b32 s3, s3, exec_lo
	s_and_not1_b32 s43, s43, exec_lo
	s_trap 2
	s_branch .LBB81_144
.LBB81_208:
	s_mov_b32 s3, exec_lo
	s_and_not1_b32 s31, s31, exec_lo
	s_trap 2
	s_branch .LBB81_65
.LBB81_209:
	s_or_b32 s3, s3, exec_lo
	s_and_not1_b32 s34, s34, exec_lo
	s_trap 2
	s_branch .LBB81_68
.LBB81_210:
	s_or_b32 s3, s3, exec_lo
	s_and_not1_b32 s1, s1, exec_lo
	s_trap 2
	s_branch .LBB81_147
	.section	.rodata,"a",@progbits
	.p2align	6, 0x0
	.amdhsa_kernel _ZN2at6native29vectorized_elementwise_kernelILi8EZZZNS0_12_GLOBAL__N_142_validate_compressed_sparse_indices_kernelILNS2_8CDimNameE1ENS2_18CUDAKernelLauncherENS2_14EmptyVecKernelENS2_8DummyVecELm8EEEvRKNS_6TensorESA_lllENKUlvE1_clEvENKUlvE_clEvEUliiiiiE_St5arrayIPcLm6EEEEviT0_T1_
		.amdhsa_group_segment_fixed_size 0
		.amdhsa_private_segment_fixed_size 0
		.amdhsa_kernarg_size 224
		.amdhsa_user_sgpr_count 2
		.amdhsa_user_sgpr_dispatch_ptr 0
		.amdhsa_user_sgpr_queue_ptr 0
		.amdhsa_user_sgpr_kernarg_segment_ptr 1
		.amdhsa_user_sgpr_dispatch_id 0
		.amdhsa_user_sgpr_kernarg_preload_length 0
		.amdhsa_user_sgpr_kernarg_preload_offset 0
		.amdhsa_user_sgpr_private_segment_size 0
		.amdhsa_wavefront_size32 1
		.amdhsa_uses_dynamic_stack 0
		.amdhsa_enable_private_segment 0
		.amdhsa_system_sgpr_workgroup_id_x 1
		.amdhsa_system_sgpr_workgroup_id_y 0
		.amdhsa_system_sgpr_workgroup_id_z 0
		.amdhsa_system_sgpr_workgroup_info 0
		.amdhsa_system_vgpr_workitem_id 0
		.amdhsa_next_free_vgpr 44
		.amdhsa_next_free_sgpr 69
		.amdhsa_named_barrier_count 0
		.amdhsa_reserve_vcc 1
		.amdhsa_float_round_mode_32 0
		.amdhsa_float_round_mode_16_64 0
		.amdhsa_float_denorm_mode_32 3
		.amdhsa_float_denorm_mode_16_64 3
		.amdhsa_fp16_overflow 0
		.amdhsa_memory_ordered 1
		.amdhsa_forward_progress 1
		.amdhsa_inst_pref_size 103
		.amdhsa_round_robin_scheduling 0
		.amdhsa_exception_fp_ieee_invalid_op 0
		.amdhsa_exception_fp_denorm_src 0
		.amdhsa_exception_fp_ieee_div_zero 0
		.amdhsa_exception_fp_ieee_overflow 0
		.amdhsa_exception_fp_ieee_underflow 0
		.amdhsa_exception_fp_ieee_inexact 0
		.amdhsa_exception_int_div_zero 0
	.end_amdhsa_kernel
	.section	.text._ZN2at6native29vectorized_elementwise_kernelILi8EZZZNS0_12_GLOBAL__N_142_validate_compressed_sparse_indices_kernelILNS2_8CDimNameE1ENS2_18CUDAKernelLauncherENS2_14EmptyVecKernelENS2_8DummyVecELm8EEEvRKNS_6TensorESA_lllENKUlvE1_clEvENKUlvE_clEvEUliiiiiE_St5arrayIPcLm6EEEEviT0_T1_,"axG",@progbits,_ZN2at6native29vectorized_elementwise_kernelILi8EZZZNS0_12_GLOBAL__N_142_validate_compressed_sparse_indices_kernelILNS2_8CDimNameE1ENS2_18CUDAKernelLauncherENS2_14EmptyVecKernelENS2_8DummyVecELm8EEEvRKNS_6TensorESA_lllENKUlvE1_clEvENKUlvE_clEvEUliiiiiE_St5arrayIPcLm6EEEEviT0_T1_,comdat
.Lfunc_end81:
	.size	_ZN2at6native29vectorized_elementwise_kernelILi8EZZZNS0_12_GLOBAL__N_142_validate_compressed_sparse_indices_kernelILNS2_8CDimNameE1ENS2_18CUDAKernelLauncherENS2_14EmptyVecKernelENS2_8DummyVecELm8EEEvRKNS_6TensorESA_lllENKUlvE1_clEvENKUlvE_clEvEUliiiiiE_St5arrayIPcLm6EEEEviT0_T1_, .Lfunc_end81-_ZN2at6native29vectorized_elementwise_kernelILi8EZZZNS0_12_GLOBAL__N_142_validate_compressed_sparse_indices_kernelILNS2_8CDimNameE1ENS2_18CUDAKernelLauncherENS2_14EmptyVecKernelENS2_8DummyVecELm8EEEvRKNS_6TensorESA_lllENKUlvE1_clEvENKUlvE_clEvEUliiiiiE_St5arrayIPcLm6EEEEviT0_T1_
                                        ; -- End function
	.set _ZN2at6native29vectorized_elementwise_kernelILi8EZZZNS0_12_GLOBAL__N_142_validate_compressed_sparse_indices_kernelILNS2_8CDimNameE1ENS2_18CUDAKernelLauncherENS2_14EmptyVecKernelENS2_8DummyVecELm8EEEvRKNS_6TensorESA_lllENKUlvE1_clEvENKUlvE_clEvEUliiiiiE_St5arrayIPcLm6EEEEviT0_T1_.num_vgpr, 44
	.set _ZN2at6native29vectorized_elementwise_kernelILi8EZZZNS0_12_GLOBAL__N_142_validate_compressed_sparse_indices_kernelILNS2_8CDimNameE1ENS2_18CUDAKernelLauncherENS2_14EmptyVecKernelENS2_8DummyVecELm8EEEvRKNS_6TensorESA_lllENKUlvE1_clEvENKUlvE_clEvEUliiiiiE_St5arrayIPcLm6EEEEviT0_T1_.num_agpr, 0
	.set _ZN2at6native29vectorized_elementwise_kernelILi8EZZZNS0_12_GLOBAL__N_142_validate_compressed_sparse_indices_kernelILNS2_8CDimNameE1ENS2_18CUDAKernelLauncherENS2_14EmptyVecKernelENS2_8DummyVecELm8EEEvRKNS_6TensorESA_lllENKUlvE1_clEvENKUlvE_clEvEUliiiiiE_St5arrayIPcLm6EEEEviT0_T1_.numbered_sgpr, 69
	.set _ZN2at6native29vectorized_elementwise_kernelILi8EZZZNS0_12_GLOBAL__N_142_validate_compressed_sparse_indices_kernelILNS2_8CDimNameE1ENS2_18CUDAKernelLauncherENS2_14EmptyVecKernelENS2_8DummyVecELm8EEEvRKNS_6TensorESA_lllENKUlvE1_clEvENKUlvE_clEvEUliiiiiE_St5arrayIPcLm6EEEEviT0_T1_.num_named_barrier, 0
	.set _ZN2at6native29vectorized_elementwise_kernelILi8EZZZNS0_12_GLOBAL__N_142_validate_compressed_sparse_indices_kernelILNS2_8CDimNameE1ENS2_18CUDAKernelLauncherENS2_14EmptyVecKernelENS2_8DummyVecELm8EEEvRKNS_6TensorESA_lllENKUlvE1_clEvENKUlvE_clEvEUliiiiiE_St5arrayIPcLm6EEEEviT0_T1_.private_seg_size, 0
	.set _ZN2at6native29vectorized_elementwise_kernelILi8EZZZNS0_12_GLOBAL__N_142_validate_compressed_sparse_indices_kernelILNS2_8CDimNameE1ENS2_18CUDAKernelLauncherENS2_14EmptyVecKernelENS2_8DummyVecELm8EEEvRKNS_6TensorESA_lllENKUlvE1_clEvENKUlvE_clEvEUliiiiiE_St5arrayIPcLm6EEEEviT0_T1_.uses_vcc, 1
	.set _ZN2at6native29vectorized_elementwise_kernelILi8EZZZNS0_12_GLOBAL__N_142_validate_compressed_sparse_indices_kernelILNS2_8CDimNameE1ENS2_18CUDAKernelLauncherENS2_14EmptyVecKernelENS2_8DummyVecELm8EEEvRKNS_6TensorESA_lllENKUlvE1_clEvENKUlvE_clEvEUliiiiiE_St5arrayIPcLm6EEEEviT0_T1_.uses_flat_scratch, 0
	.set _ZN2at6native29vectorized_elementwise_kernelILi8EZZZNS0_12_GLOBAL__N_142_validate_compressed_sparse_indices_kernelILNS2_8CDimNameE1ENS2_18CUDAKernelLauncherENS2_14EmptyVecKernelENS2_8DummyVecELm8EEEvRKNS_6TensorESA_lllENKUlvE1_clEvENKUlvE_clEvEUliiiiiE_St5arrayIPcLm6EEEEviT0_T1_.has_dyn_sized_stack, 0
	.set _ZN2at6native29vectorized_elementwise_kernelILi8EZZZNS0_12_GLOBAL__N_142_validate_compressed_sparse_indices_kernelILNS2_8CDimNameE1ENS2_18CUDAKernelLauncherENS2_14EmptyVecKernelENS2_8DummyVecELm8EEEvRKNS_6TensorESA_lllENKUlvE1_clEvENKUlvE_clEvEUliiiiiE_St5arrayIPcLm6EEEEviT0_T1_.has_recursion, 0
	.set _ZN2at6native29vectorized_elementwise_kernelILi8EZZZNS0_12_GLOBAL__N_142_validate_compressed_sparse_indices_kernelILNS2_8CDimNameE1ENS2_18CUDAKernelLauncherENS2_14EmptyVecKernelENS2_8DummyVecELm8EEEvRKNS_6TensorESA_lllENKUlvE1_clEvENKUlvE_clEvEUliiiiiE_St5arrayIPcLm6EEEEviT0_T1_.has_indirect_call, 0
	.section	.AMDGPU.csdata,"",@progbits
; Kernel info:
; codeLenInByte = 13072
; TotalNumSgprs: 71
; NumVgprs: 44
; ScratchSize: 0
; MemoryBound: 0
; FloatMode: 240
; IeeeMode: 1
; LDSByteSize: 0 bytes/workgroup (compile time only)
; SGPRBlocks: 0
; VGPRBlocks: 2
; NumSGPRsForWavesPerEU: 71
; NumVGPRsForWavesPerEU: 44
; NamedBarCnt: 0
; Occupancy: 16
; WaveLimiterHint : 1
; COMPUTE_PGM_RSRC2:SCRATCH_EN: 0
; COMPUTE_PGM_RSRC2:USER_SGPR: 2
; COMPUTE_PGM_RSRC2:TRAP_HANDLER: 0
; COMPUTE_PGM_RSRC2:TGID_X_EN: 1
; COMPUTE_PGM_RSRC2:TGID_Y_EN: 0
; COMPUTE_PGM_RSRC2:TGID_Z_EN: 0
; COMPUTE_PGM_RSRC2:TIDIG_COMP_CNT: 0
	.section	.text._ZN2at6native29vectorized_elementwise_kernelILi4EZZZNS0_12_GLOBAL__N_142_validate_compressed_sparse_indices_kernelILNS2_8CDimNameE1ENS2_18CUDAKernelLauncherENS2_14EmptyVecKernelENS2_8DummyVecELm8EEEvRKNS_6TensorESA_lllENKUlvE1_clEvENKUlvE_clEvEUliiiiiE_St5arrayIPcLm6EEEEviT0_T1_,"axG",@progbits,_ZN2at6native29vectorized_elementwise_kernelILi4EZZZNS0_12_GLOBAL__N_142_validate_compressed_sparse_indices_kernelILNS2_8CDimNameE1ENS2_18CUDAKernelLauncherENS2_14EmptyVecKernelENS2_8DummyVecELm8EEEvRKNS_6TensorESA_lllENKUlvE1_clEvENKUlvE_clEvEUliiiiiE_St5arrayIPcLm6EEEEviT0_T1_,comdat
	.globl	_ZN2at6native29vectorized_elementwise_kernelILi4EZZZNS0_12_GLOBAL__N_142_validate_compressed_sparse_indices_kernelILNS2_8CDimNameE1ENS2_18CUDAKernelLauncherENS2_14EmptyVecKernelENS2_8DummyVecELm8EEEvRKNS_6TensorESA_lllENKUlvE1_clEvENKUlvE_clEvEUliiiiiE_St5arrayIPcLm6EEEEviT0_T1_ ; -- Begin function _ZN2at6native29vectorized_elementwise_kernelILi4EZZZNS0_12_GLOBAL__N_142_validate_compressed_sparse_indices_kernelILNS2_8CDimNameE1ENS2_18CUDAKernelLauncherENS2_14EmptyVecKernelENS2_8DummyVecELm8EEEvRKNS_6TensorESA_lllENKUlvE1_clEvENKUlvE_clEvEUliiiiiE_St5arrayIPcLm6EEEEviT0_T1_
	.p2align	8
	.type	_ZN2at6native29vectorized_elementwise_kernelILi4EZZZNS0_12_GLOBAL__N_142_validate_compressed_sparse_indices_kernelILNS2_8CDimNameE1ENS2_18CUDAKernelLauncherENS2_14EmptyVecKernelENS2_8DummyVecELm8EEEvRKNS_6TensorESA_lllENKUlvE1_clEvENKUlvE_clEvEUliiiiiE_St5arrayIPcLm6EEEEviT0_T1_,@function
_ZN2at6native29vectorized_elementwise_kernelILi4EZZZNS0_12_GLOBAL__N_142_validate_compressed_sparse_indices_kernelILNS2_8CDimNameE1ENS2_18CUDAKernelLauncherENS2_14EmptyVecKernelENS2_8DummyVecELm8EEEvRKNS_6TensorESA_lllENKUlvE1_clEvENKUlvE_clEvEUliiiiiE_St5arrayIPcLm6EEEEviT0_T1_: ; @_ZN2at6native29vectorized_elementwise_kernelILi4EZZZNS0_12_GLOBAL__N_142_validate_compressed_sparse_indices_kernelILNS2_8CDimNameE1ENS2_18CUDAKernelLauncherENS2_14EmptyVecKernelENS2_8DummyVecELm8EEEvRKNS_6TensorESA_lllENKUlvE1_clEvENKUlvE_clEvEUliiiiiE_St5arrayIPcLm6EEEEviT0_T1_
; %bb.0:
	s_clause 0x2
	s_load_b32 s3, s[0:1], 0x0
	s_load_b128 s[12:15], s[0:1], 0xd0
	s_load_b256 s[4:11], s[0:1], 0xb0
	s_bfe_u32 s2, ttmp6, 0x4000c
	s_and_b32 s16, ttmp6, 15
	s_add_co_i32 s2, s2, 1
	s_getreg_b32 s17, hwreg(HW_REG_IB_STS2, 6, 4)
	s_mul_i32 s2, ttmp9, s2
	s_or_b64 s[20:21], s[0:1], 8
	s_add_co_i32 s16, s16, s2
	s_cmp_eq_u32 s17, 0
	s_mov_b32 s44, 0
	s_wait_xcnt 0x0
	s_cselect_b32 s0, ttmp9, s16
	s_get_pc_i64 s[22:23]
	s_add_nc_u64 s[22:23], s[22:23], .str.6@rel64+4
	s_lshl_b32 s2, s0, 10
	s_mov_b32 s0, -1
	s_wait_kmcnt 0x0
	s_sub_co_i32 s33, s3, s2
	s_mov_b32 s3, 0
	s_cmp_gt_i32 s33, 0x3ff
	s_cbranch_scc0 .LBB82_75
; %bb.1:
	s_ashr_i32 s3, s2, 31
	s_mov_b32 s34, -1
	s_lshl_b64 s[24:25], s[2:3], 2
	s_cmp_lg_u64 s[22:23], 0
	s_add_nc_u64 s[0:1], s[6:7], s[24:25]
	s_cselect_b32 s16, -1, 0
	global_load_b128 v[10:13], v0, s[0:1] scale_offset
	s_wait_xcnt 0x0
	s_load_b32 s0, s[20:21], 0x0
	s_mov_b32 s3, 0
	s_mov_b32 s31, 0
	;; [unrolled: 1-line block ×4, first 2 shown]
                                        ; implicit-def: $sgpr27
                                        ; implicit-def: $sgpr17
                                        ; implicit-def: $sgpr30
                                        ; implicit-def: $sgpr26
                                        ; implicit-def: $sgpr28_sgpr29
                                        ; implicit-def: $vgpr14_vgpr15_vgpr16_vgpr17
                                        ; implicit-def: $vgpr2_vgpr3_vgpr4_vgpr5
                                        ; implicit-def: $vgpr6_vgpr7_vgpr8_vgpr9
                                        ; implicit-def: $vgpr18
	s_wait_loadcnt 0x0
	s_wait_kmcnt 0x0
	v_cmp_eq_u32_e32 vcc_lo, s0, v10
	s_mov_b32 s0, 0
	s_and_b32 s18, s16, vcc_lo
                                        ; implicit-def: $sgpr16
	s_delay_alu instid0(SALU_CYCLE_1)
	s_and_saveexec_b32 s45, s18
	s_cbranch_execz .LBB82_64
; %bb.2:
	s_add_nc_u64 s[0:1], s[8:9], s[24:25]
	s_load_b128 s[16:19], s[20:21], 0x8
	global_load_b128 v[18:21], v0, s[0:1] scale_offset
	s_get_pc_i64 s[26:27]
	s_add_nc_u64 s[26:27], s[26:27], .str.7@rel64+4
	s_wait_xcnt 0x0
	s_mov_b32 s0, -1
	s_cmp_lg_u64 s[26:27], 0
	s_mov_b32 s34, 0
	s_wait_kmcnt 0x0
	s_cselect_b32 s17, -1, 0
	s_mov_b32 s1, 0
	s_mov_b32 s35, 0
                                        ; implicit-def: $sgpr27
                                        ; implicit-def: $sgpr30
                                        ; implicit-def: $sgpr26
                                        ; implicit-def: $sgpr28_sgpr29
                                        ; implicit-def: $vgpr14_vgpr15_vgpr16_vgpr17
                                        ; implicit-def: $vgpr2_vgpr3_vgpr4_vgpr5
                                        ; implicit-def: $vgpr6_vgpr7_vgpr8_vgpr9
	s_wait_loadcnt 0x0
	v_cmp_eq_u32_e32 vcc_lo, s18, v18
	s_and_b32 s36, s17, vcc_lo
                                        ; implicit-def: $sgpr17
	s_delay_alu instid0(SALU_CYCLE_1)
	s_and_saveexec_b32 s46, s36
	s_cbranch_execz .LBB82_63
; %bb.3:
	s_add_nc_u64 s[0:1], s[10:11], s[24:25]
	s_add_nc_u64 s[26:27], s[12:13], s[24:25]
	s_clause 0x1
	global_load_b128 v[6:9], v0, s[0:1] scale_offset
	global_load_b128 v[2:5], v0, s[26:27] scale_offset
	s_wait_xcnt 0x0
	s_load_b64 s[26:27], s[20:21], 0x18
	s_get_pc_i64 s[28:29]
	s_add_nc_u64 s[28:29], s[28:29], .str.8@rel64+4
	s_mov_b32 s1, -1
	s_cmp_lg_u64 s[28:29], 0
	s_mov_b32 s36, 0
	s_cselect_b32 s17, -1, 0
                                        ; implicit-def: $sgpr27
                                        ; implicit-def: $sgpr30
                                        ; implicit-def: $sgpr28_sgpr29
                                        ; implicit-def: $vgpr14_vgpr15_vgpr16_vgpr17
	s_wait_loadcnt 0x0
	v_sub_nc_u32_e32 v1, v2, v6
	s_delay_alu instid0(VALU_DEP_1) | instskip(SKIP_2) | instid1(SALU_CYCLE_1)
	v_cmp_le_i32_e32 vcc_lo, v10, v1
	v_cmp_ge_i32_e64 s0, s16, v1
	s_and_b32 s0, vcc_lo, s0
	s_and_b32 s0, s17, s0
                                        ; implicit-def: $sgpr17
	s_delay_alu instid0(SALU_CYCLE_1)
	s_and_saveexec_b32 s47, s0
	s_cbranch_execz .LBB82_62
; %bb.4:
	s_add_nc_u64 s[0:1], s[14:15], s[24:25]
	s_load_b64 s[28:29], s[20:21], 0xa0
	global_load_b128 v[14:17], v0, s[0:1] scale_offset
	s_wait_xcnt 0x0
	v_cmp_gt_i64_e64 s0, s[18:19], 0
	s_wait_kmcnt 0x0
	s_add_co_i32 s30, s26, -1
	v_mov_b64_e32 v[22:23], 0
	s_cmp_gt_i32 s30, -1
	s_cselect_b32 s1, -1, 0
	s_delay_alu instid0(SALU_CYCLE_1) | instskip(NEXT) | instid1(SALU_CYCLE_1)
	s_and_b32 s17, s0, s1
	s_and_not1_b32 vcc_lo, exec_lo, s17
	s_cbranch_vccnz .LBB82_11
; %bb.5:
	s_wait_loadcnt 0x0
	v_dual_mov_b32 v22, v14 :: v_dual_ashrrev_i32 v23, 31, v14
	s_ashr_i32 s31, s30, 31
	v_mov_b32_e32 v24, 0
	s_lshl_b64 s[0:1], s[30:31], 3
	s_mov_b64 s[34:35], 0xffffffff
	v_mul_u64_e32 v[26:27], s[18:19], v[22:23]
	v_mov_b64_e32 v[22:23], 0
	s_add_nc_u64 s[0:1], s[20:21], s[0:1]
	s_mov_b32 s27, s26
	s_add_nc_u64 s[36:37], s[0:1], 32
	s_mov_b32 s1, 0
	s_branch .LBB82_7
.LBB82_6:                               ;   in Loop: Header=BB82_7 Depth=1
	s_or_b32 exec_lo, exec_lo, s0
	s_delay_alu instid0(VALU_DEP_1)
	v_mul_u64_e32 v[30:31], s[38:39], v[28:29]
	s_load_b64 s[38:39], s[36:37], 0x40
	s_add_co_i32 s27, s27, -1
	s_wait_xcnt 0x0
	s_add_nc_u64 s[36:37], s[36:37], -8
	s_cmp_eq_u32 s27, 0
	s_delay_alu instid0(VALU_DEP_1) | instskip(SKIP_1) | instid1(VALU_DEP_1)
	v_sub_nc_u64_e32 v[26:27], v[26:27], v[30:31]
	s_wait_kmcnt 0x0
	v_mad_nc_u64_u32 v[22:23], v26, s38, v[22:23]
	s_delay_alu instid0(VALU_DEP_1) | instskip(NEXT) | instid1(VALU_DEP_1)
	v_mad_u32 v1, v27, s38, v23
	v_mad_u32 v23, v26, s39, v1
	v_mov_b64_e32 v[26:27], v[28:29]
	s_cbranch_scc1 .LBB82_11
.LBB82_7:                               ; =>This Inner Loop Header: Depth=1
	s_load_b64 s[38:39], s[36:37], 0x0
                                        ; implicit-def: $vgpr28_vgpr29
	s_mov_b32 s0, exec_lo
	s_wait_kmcnt 0x0
	s_delay_alu instid0(VALU_DEP_1) | instskip(NEXT) | instid1(VALU_DEP_1)
	v_or_b32_e32 v25, s39, v27
	v_cmpx_ne_u64_e32 0, v[24:25]
	s_xor_b32 s31, exec_lo, s0
	s_cbranch_execz .LBB82_9
; %bb.8:                                ;   in Loop: Header=BB82_7 Depth=1
	s_ashr_i32 s40, s39, 31
	v_dual_mov_b32 v33, v24 :: v_dual_ashrrev_i32 v28, 31, v27
	s_mov_b32 s41, s40
	v_mov_b32_e32 v41, v24
	s_add_nc_u64 s[42:43], s[38:39], s[40:41]
	s_delay_alu instid0(VALU_DEP_2) | instskip(SKIP_1) | instid1(SALU_CYCLE_1)
	v_mov_b32_e32 v29, v28
	s_xor_b64 s[42:43], s[42:43], s[40:41]
	s_cvt_f32_u32 s0, s42
	s_cvt_f32_u32 s41, s43
	s_sub_nc_u64 s[50:51], 0, s[42:43]
	v_add_nc_u64_e32 v[30:31], v[26:27], v[28:29]
	v_mov_b32_e32 v37, v24
	s_fmamk_f32 s0, s41, 0x4f800000, s0
	s_delay_alu instid0(SALU_CYCLE_3) | instskip(NEXT) | instid1(VALU_DEP_2)
	v_s_rcp_f32 s0, s0
	v_xor_b32_e32 v32, v30, v28
	s_delay_alu instid0(VALU_DEP_3) | instskip(NEXT) | instid1(TRANS32_DEP_1)
	v_xor_b32_e32 v36, v31, v28
	s_mul_f32 s0, s0, 0x5f7ffffc
	s_delay_alu instid0(SALU_CYCLE_3) | instskip(NEXT) | instid1(SALU_CYCLE_3)
	s_mul_f32 s41, s0, 0x2f800000
	s_trunc_f32 s41, s41
	s_delay_alu instid0(SALU_CYCLE_3) | instskip(SKIP_1) | instid1(SALU_CYCLE_2)
	s_fmamk_f32 s0, s41, 0xcf800000, s0
	s_cvt_u32_f32 s49, s41
	s_cvt_u32_f32 s48, s0
	s_delay_alu instid0(SALU_CYCLE_3) | instskip(NEXT) | instid1(SALU_CYCLE_1)
	s_mul_u64 s[52:53], s[50:51], s[48:49]
	s_mul_hi_u32 s55, s48, s53
	s_mul_i32 s54, s48, s53
	s_mul_hi_u32 s0, s48, s52
	s_mul_i32 s56, s49, s52
	s_add_nc_u64 s[54:55], s[0:1], s[54:55]
	s_mul_hi_u32 s41, s49, s52
	s_mul_hi_u32 s57, s49, s53
	s_add_co_u32 s0, s54, s56
	s_add_co_ci_u32 s0, s55, s41
	s_mul_i32 s52, s49, s53
	s_add_co_ci_u32 s53, s57, 0
	s_delay_alu instid0(SALU_CYCLE_1) | instskip(NEXT) | instid1(SALU_CYCLE_1)
	s_add_nc_u64 s[52:53], s[0:1], s[52:53]
	s_add_co_u32 s48, s48, s52
	s_cselect_b32 s0, -1, 0
	s_delay_alu instid0(SALU_CYCLE_1) | instskip(SKIP_1) | instid1(SALU_CYCLE_1)
	s_cmp_lg_u32 s0, 0
	s_add_co_ci_u32 s49, s49, s53
	s_mul_u64 s[50:51], s[50:51], s[48:49]
	s_delay_alu instid0(SALU_CYCLE_1)
	s_mul_hi_u32 s53, s48, s51
	s_mul_i32 s52, s48, s51
	s_mul_hi_u32 s0, s48, s50
	s_mul_i32 s54, s49, s50
	s_add_nc_u64 s[52:53], s[0:1], s[52:53]
	s_mul_hi_u32 s41, s49, s50
	s_mul_hi_u32 s55, s49, s51
	s_add_co_u32 s0, s52, s54
	s_add_co_ci_u32 s0, s53, s41
	s_mul_i32 s50, s49, s51
	s_add_co_ci_u32 s51, s55, 0
	s_delay_alu instid0(SALU_CYCLE_1) | instskip(NEXT) | instid1(SALU_CYCLE_1)
	s_add_nc_u64 s[50:51], s[0:1], s[50:51]
	s_add_co_u32 s48, s48, s50
	s_cselect_b32 s0, -1, 0
	v_mul_hi_u32 v40, v32, s48
	s_cmp_lg_u32 s0, 0
	s_add_co_ci_u32 s0, s49, s51
	s_and_b64 s[50:51], s[48:49], s[34:35]
	v_mul_u64_e32 v[34:35], s[0:1], v[32:33]
	v_mul_u64_e32 v[30:31], s[50:51], v[36:37]
	;; [unrolled: 1-line block ×3, first 2 shown]
	s_delay_alu instid0(VALU_DEP_3) | instskip(NEXT) | instid1(VALU_DEP_1)
	v_add_nc_u64_e32 v[34:35], v[40:41], v[34:35]
	v_add_co_u32 v1, vcc_lo, v34, v30
	s_delay_alu instid0(VALU_DEP_2) | instskip(NEXT) | instid1(VALU_DEP_4)
	v_add_co_ci_u32_e32 v40, vcc_lo, v35, v31, vcc_lo
	v_add_co_ci_u32_e32 v39, vcc_lo, 0, v39, vcc_lo
	s_delay_alu instid0(VALU_DEP_1) | instskip(NEXT) | instid1(VALU_DEP_1)
	v_add_nc_u64_e32 v[30:31], v[40:41], v[38:39]
	v_mul_u64_e32 v[34:35], s[42:43], v[30:31]
	s_delay_alu instid0(VALU_DEP_1) | instskip(NEXT) | instid1(VALU_DEP_2)
	v_sub_nc_u32_e32 v1, v36, v35
	v_sub_co_u32 v14, vcc_lo, v32, v34
	s_delay_alu instid0(VALU_DEP_1) | instskip(NEXT) | instid1(VALU_DEP_3)
	v_sub_co_ci_u32_e64 v29, null, v36, v35, vcc_lo
	v_subrev_co_ci_u32_e64 v1, null, s43, v1, vcc_lo
	s_delay_alu instid0(VALU_DEP_3) | instskip(SKIP_1) | instid1(VALU_DEP_3)
	v_sub_co_u32 v25, s0, v14, s42
	v_add_nc_u64_e32 v[34:35], 1, v[30:31]
	v_subrev_co_ci_u32_e64 v1, null, 0, v1, s0
	s_delay_alu instid0(VALU_DEP_3) | instskip(SKIP_1) | instid1(VALU_DEP_3)
	v_cmp_le_u32_e32 vcc_lo, s42, v25
	v_cndmask_b32_e64 v25, 0, -1, vcc_lo
	v_cmp_le_u32_e32 vcc_lo, s43, v1
	v_cndmask_b32_e64 v32, 0, -1, vcc_lo
	;; [unrolled: 2-line block ×4, first 2 shown]
	v_cmp_eq_u32_e32 vcc_lo, s43, v1
	v_cndmask_b32_e32 v1, v32, v25, vcc_lo
	v_cmp_eq_u32_e32 vcc_lo, s43, v29
	v_add_nc_u64_e32 v[32:33], 2, v[30:31]
	v_cndmask_b32_e32 v14, v36, v14, vcc_lo
	s_delay_alu instid0(VALU_DEP_4) | instskip(NEXT) | instid1(VALU_DEP_2)
	v_cmp_ne_u32_e32 vcc_lo, 0, v1
	v_cmp_ne_u32_e64 s0, 0, v14
	s_delay_alu instid0(VALU_DEP_4) | instskip(NEXT) | instid1(VALU_DEP_1)
	v_dual_cndmask_b32 v1, v35, v33 :: v_dual_cndmask_b32 v14, v34, v32
	v_dual_cndmask_b32 v1, v31, v1, s0 :: v_dual_bitop2_b32 v28, s40, v28 bitop3:0x14
	s_delay_alu instid0(VALU_DEP_1) | instskip(NEXT) | instid1(VALU_DEP_2)
	v_dual_cndmask_b32 v14, v30, v14, s0 :: v_dual_mov_b32 v29, v28
	v_xor_b32_e32 v31, v1, v28
	s_delay_alu instid0(VALU_DEP_2) | instskip(NEXT) | instid1(VALU_DEP_1)
	v_xor_b32_e32 v30, v14, v28
	v_sub_nc_u64_e32 v[28:29], v[30:31], v[28:29]
.LBB82_9:                               ;   in Loop: Header=BB82_7 Depth=1
	s_and_not1_saveexec_b32 s0, s31
	s_cbranch_execz .LBB82_6
; %bb.10:                               ;   in Loop: Header=BB82_7 Depth=1
	v_cvt_f32_u32_e32 v1, s38
	s_sub_co_i32 s31, 0, s38
	v_mov_b32_e32 v29, v24
	s_delay_alu instid0(VALU_DEP_2) | instskip(SKIP_1) | instid1(TRANS32_DEP_1)
	v_rcp_iflag_f32_e32 v1, v1
	v_nop
	v_mul_f32_e32 v1, 0x4f7ffffe, v1
	s_delay_alu instid0(VALU_DEP_1) | instskip(NEXT) | instid1(VALU_DEP_1)
	v_cvt_u32_f32_e32 v1, v1
	v_mul_lo_u32 v14, s31, v1
	s_delay_alu instid0(VALU_DEP_1) | instskip(NEXT) | instid1(VALU_DEP_1)
	v_mul_hi_u32 v14, v1, v14
	v_add_nc_u32_e32 v1, v1, v14
	s_delay_alu instid0(VALU_DEP_1) | instskip(NEXT) | instid1(VALU_DEP_1)
	v_mul_hi_u32 v1, v26, v1
	v_mul_lo_u32 v14, v1, s38
	s_delay_alu instid0(VALU_DEP_1) | instskip(NEXT) | instid1(VALU_DEP_1)
	v_dual_add_nc_u32 v25, 1, v1 :: v_dual_sub_nc_u32 v14, v26, v14
	v_subrev_nc_u32_e32 v28, s38, v14
	v_cmp_le_u32_e32 vcc_lo, s38, v14
	s_delay_alu instid0(VALU_DEP_2) | instskip(NEXT) | instid1(VALU_DEP_1)
	v_dual_cndmask_b32 v14, v14, v28 :: v_dual_cndmask_b32 v1, v1, v25
	v_cmp_le_u32_e32 vcc_lo, s38, v14
	s_delay_alu instid0(VALU_DEP_2) | instskip(NEXT) | instid1(VALU_DEP_1)
	v_add_nc_u32_e32 v25, 1, v1
	v_cndmask_b32_e32 v28, v1, v25, vcc_lo
	s_branch .LBB82_6
.LBB82_11:
	s_get_pc_i64 s[0:1]
	s_add_nc_u64 s[0:1], s[0:1], .str.9@rel64+4
	s_mov_b32 s35, -1
	s_cmp_lg_u64 s[0:1], 0
	s_mov_b32 s0, 0
	s_cselect_b32 s27, -1, 0
	s_mov_b32 s48, 0
	s_mov_b32 s1, exec_lo
	v_cmpx_gt_i32_e64 v2, v6
	s_cbranch_execz .LBB82_17
; %bb.12:
	v_lshlrev_b64_e32 v[22:23], 2, v[22:23]
	v_dual_mov_b32 v24, v6 :: v_dual_ashrrev_i32 v25, 31, v6
	v_dual_mov_b32 v28, v2 :: v_dual_ashrrev_i32 v29, 31, v2
	s_mov_b32 s31, 0
	s_xor_b32 s35, s27, -1
	s_delay_alu instid0(VALU_DEP_2) | instskip(SKIP_1) | instid1(VALU_DEP_2)
	v_lshl_add_u64 v[24:25], v[24:25], 2, v[22:23]
	v_add_nc_u64_e32 v[26:27], s[28:29], v[22:23]
                                        ; implicit-def: $sgpr34
                                        ; implicit-def: $sgpr37
                                        ; implicit-def: $sgpr36
	v_add_nc_u64_e32 v[24:25], s[28:29], v[24:25]
	s_delay_alu instid0(VALU_DEP_1) | instskip(NEXT) | instid1(VALU_DEP_3)
	v_add_nc_u64_e32 v[22:23], 4, v[24:25]
	v_lshl_add_u64 v[24:25], v[28:29], 2, v[26:27]
	s_branch .LBB82_14
.LBB82_13:                              ;   in Loop: Header=BB82_14 Depth=1
	s_or_b32 exec_lo, exec_lo, s38
	s_delay_alu instid0(SALU_CYCLE_1) | instskip(NEXT) | instid1(SALU_CYCLE_1)
	s_and_b32 s38, exec_lo, s37
	s_or_b32 s31, s38, s31
	s_and_not1_b32 s34, s34, exec_lo
	s_and_b32 s38, s36, exec_lo
	s_delay_alu instid0(SALU_CYCLE_1)
	s_or_b32 s34, s34, s38
	s_and_not1_b32 exec_lo, exec_lo, s31
	s_cbranch_execz .LBB82_16
.LBB82_14:                              ; =>This Inner Loop Header: Depth=1
	s_or_b32 s36, s36, exec_lo
	s_or_b32 s37, s37, exec_lo
	s_mov_b32 s38, exec_lo
	s_delay_alu instid0(VALU_DEP_2)
	v_cmpx_lt_u64_e64 v[22:23], v[24:25]
	s_cbranch_execz .LBB82_13
; %bb.15:                               ;   in Loop: Header=BB82_14 Depth=1
	global_load_b64 v[26:27], v[22:23], off offset:-4
	s_wait_xcnt 0x0
	v_add_nc_u64_e32 v[22:23], 4, v[22:23]
	s_and_not1_b32 s37, s37, exec_lo
	s_and_not1_b32 s36, s36, exec_lo
	s_wait_loadcnt 0x0
	v_cmp_ge_i32_e32 vcc_lo, v26, v27
	s_or_b32 s39, s35, vcc_lo
	s_delay_alu instid0(SALU_CYCLE_1) | instskip(NEXT) | instid1(SALU_CYCLE_1)
	s_and_b32 s39, s39, exec_lo
	s_or_b32 s37, s37, s39
	s_branch .LBB82_13
.LBB82_16:
	s_or_b32 exec_lo, exec_lo, s31
	s_delay_alu instid0(SALU_CYCLE_1)
	s_mov_b32 s48, exec_lo
	s_or_not1_b32 s35, s34, exec_lo
.LBB82_17:
	s_or_b32 exec_lo, exec_lo, s1
	s_mov_b32 s31, 0
	s_mov_b32 s34, 0
	s_mov_b32 s36, 0
	s_and_saveexec_b32 s49, s35
	s_cbranch_execz .LBB82_61
; %bb.18:
	s_mov_b32 s0, -1
	s_mov_b32 s1, 0
	s_mov_b32 s35, 0
	s_mov_b32 s50, exec_lo
	v_cmpx_eq_u32_e64 v11, v10
	s_cbranch_execz .LBB82_60
; %bb.19:
	s_mov_b32 s1, -1
	s_mov_b32 s0, 0
	s_mov_b32 s37, 0
	s_mov_b32 s51, exec_lo
	v_cmpx_eq_u32_e64 v19, v18
	s_cbranch_execz .LBB82_59
; %bb.20:
	v_sub_nc_u32_e32 v1, v3, v7
	s_delay_alu instid0(VALU_DEP_1) | instskip(SKIP_2) | instid1(SALU_CYCLE_1)
	v_cmp_le_i32_e32 vcc_lo, v10, v1
	v_cmp_ge_i32_e64 s0, s16, v1
	s_and_b32 s0, vcc_lo, s0
	s_and_saveexec_b32 s52, s0
	s_cbranch_execz .LBB82_58
; %bb.21:
	v_mov_b64_e32 v[22:23], 0
	s_and_not1_b32 vcc_lo, exec_lo, s17
	s_cbranch_vccnz .LBB82_28
; %bb.22:
	s_wait_loadcnt 0x0
	v_dual_mov_b32 v22, v15 :: v_dual_ashrrev_i32 v23, 31, v15
	s_ashr_i32 s31, s30, 31
	v_mov_b32_e32 v14, 0
	s_lshl_b64 s[0:1], s[30:31], 3
	s_mov_b64 s[34:35], 0xffffffff
	v_mul_u64_e32 v[24:25], s[18:19], v[22:23]
	v_mov_b64_e32 v[22:23], 0
	s_add_nc_u64 s[0:1], s[20:21], s[0:1]
	s_mov_b32 s31, s26
	s_add_nc_u64 s[36:37], s[0:1], 32
	s_mov_b32 s1, 0
	s_branch .LBB82_24
.LBB82_23:                              ;   in Loop: Header=BB82_24 Depth=1
	s_or_b32 exec_lo, exec_lo, s0
	s_delay_alu instid0(VALU_DEP_1)
	v_mul_u64_e32 v[28:29], s[38:39], v[26:27]
	s_load_b64 s[38:39], s[36:37], 0x40
	s_add_co_i32 s31, s31, -1
	s_wait_xcnt 0x0
	s_add_nc_u64 s[36:37], s[36:37], -8
	s_cmp_lg_u32 s31, 0
	s_delay_alu instid0(VALU_DEP_1) | instskip(SKIP_1) | instid1(VALU_DEP_1)
	v_sub_nc_u64_e32 v[24:25], v[24:25], v[28:29]
	s_wait_kmcnt 0x0
	v_mad_nc_u64_u32 v[22:23], v24, s38, v[22:23]
	s_delay_alu instid0(VALU_DEP_1) | instskip(NEXT) | instid1(VALU_DEP_1)
	v_mad_u32 v1, v25, s38, v23
	v_mad_u32 v23, v24, s39, v1
	v_mov_b64_e32 v[24:25], v[26:27]
	s_cbranch_scc0 .LBB82_28
.LBB82_24:                              ; =>This Inner Loop Header: Depth=1
	s_load_b64 s[38:39], s[36:37], 0x0
                                        ; implicit-def: $vgpr26_vgpr27
	s_mov_b32 s0, exec_lo
	s_wait_kmcnt 0x0
	s_delay_alu instid0(VALU_DEP_1) | instskip(NEXT) | instid1(VALU_DEP_1)
	v_or_b32_e32 v15, s39, v25
	v_cmpx_ne_u64_e32 0, v[14:15]
	s_xor_b32 s53, exec_lo, s0
	s_cbranch_execz .LBB82_26
; %bb.25:                               ;   in Loop: Header=BB82_24 Depth=1
	s_ashr_i32 s40, s39, 31
	v_dual_mov_b32 v31, v14 :: v_dual_ashrrev_i32 v26, 31, v25
	s_mov_b32 s41, s40
	v_mov_b32_e32 v39, v14
	s_add_nc_u64 s[42:43], s[38:39], s[40:41]
	s_delay_alu instid0(VALU_DEP_2) | instskip(SKIP_1) | instid1(SALU_CYCLE_1)
	v_mov_b32_e32 v27, v26
	s_xor_b64 s[42:43], s[42:43], s[40:41]
	s_cvt_f32_u32 s0, s42
	s_cvt_f32_u32 s41, s43
	s_sub_nc_u64 s[56:57], 0, s[42:43]
	v_add_nc_u64_e32 v[28:29], v[24:25], v[26:27]
	v_mov_b32_e32 v35, v14
	s_fmamk_f32 s0, s41, 0x4f800000, s0
	s_delay_alu instid0(SALU_CYCLE_3) | instskip(NEXT) | instid1(VALU_DEP_2)
	v_s_rcp_f32 s0, s0
	v_xor_b32_e32 v30, v28, v26
	s_delay_alu instid0(VALU_DEP_3) | instskip(NEXT) | instid1(TRANS32_DEP_1)
	v_xor_b32_e32 v34, v29, v26
	s_mul_f32 s0, s0, 0x5f7ffffc
	s_delay_alu instid0(SALU_CYCLE_3) | instskip(NEXT) | instid1(SALU_CYCLE_3)
	s_mul_f32 s41, s0, 0x2f800000
	s_trunc_f32 s41, s41
	s_delay_alu instid0(SALU_CYCLE_3) | instskip(SKIP_1) | instid1(SALU_CYCLE_2)
	s_fmamk_f32 s0, s41, 0xcf800000, s0
	s_cvt_u32_f32 s55, s41
	s_cvt_u32_f32 s54, s0
	s_delay_alu instid0(SALU_CYCLE_3) | instskip(NEXT) | instid1(SALU_CYCLE_1)
	s_mul_u64 s[58:59], s[56:57], s[54:55]
	s_mul_hi_u32 s61, s54, s59
	s_mul_i32 s60, s54, s59
	s_mul_hi_u32 s0, s54, s58
	s_mul_i32 s62, s55, s58
	s_add_nc_u64 s[60:61], s[0:1], s[60:61]
	s_mul_hi_u32 s41, s55, s58
	s_mul_hi_u32 s63, s55, s59
	s_add_co_u32 s0, s60, s62
	s_add_co_ci_u32 s0, s61, s41
	s_mul_i32 s58, s55, s59
	s_add_co_ci_u32 s59, s63, 0
	s_delay_alu instid0(SALU_CYCLE_1) | instskip(NEXT) | instid1(SALU_CYCLE_1)
	s_add_nc_u64 s[58:59], s[0:1], s[58:59]
	s_add_co_u32 s54, s54, s58
	s_cselect_b32 s0, -1, 0
	s_delay_alu instid0(SALU_CYCLE_1) | instskip(SKIP_1) | instid1(SALU_CYCLE_1)
	s_cmp_lg_u32 s0, 0
	s_add_co_ci_u32 s55, s55, s59
	s_mul_u64 s[56:57], s[56:57], s[54:55]
	s_delay_alu instid0(SALU_CYCLE_1)
	s_mul_hi_u32 s59, s54, s57
	s_mul_i32 s58, s54, s57
	s_mul_hi_u32 s0, s54, s56
	s_mul_i32 s60, s55, s56
	s_add_nc_u64 s[58:59], s[0:1], s[58:59]
	s_mul_hi_u32 s41, s55, s56
	s_mul_hi_u32 s61, s55, s57
	s_add_co_u32 s0, s58, s60
	s_add_co_ci_u32 s0, s59, s41
	s_mul_i32 s56, s55, s57
	s_add_co_ci_u32 s57, s61, 0
	s_delay_alu instid0(SALU_CYCLE_1) | instskip(NEXT) | instid1(SALU_CYCLE_1)
	s_add_nc_u64 s[56:57], s[0:1], s[56:57]
	s_add_co_u32 s54, s54, s56
	s_cselect_b32 s0, -1, 0
	v_mul_hi_u32 v38, v30, s54
	s_cmp_lg_u32 s0, 0
	s_add_co_ci_u32 s0, s55, s57
	s_and_b64 s[56:57], s[54:55], s[34:35]
	v_mul_u64_e32 v[32:33], s[0:1], v[30:31]
	v_mul_u64_e32 v[28:29], s[56:57], v[34:35]
	v_mul_u64_e32 v[36:37], s[0:1], v[34:35]
	s_delay_alu instid0(VALU_DEP_3) | instskip(NEXT) | instid1(VALU_DEP_1)
	v_add_nc_u64_e32 v[32:33], v[38:39], v[32:33]
	v_add_co_u32 v1, vcc_lo, v32, v28
	s_delay_alu instid0(VALU_DEP_2) | instskip(NEXT) | instid1(VALU_DEP_4)
	v_add_co_ci_u32_e32 v38, vcc_lo, v33, v29, vcc_lo
	v_add_co_ci_u32_e32 v37, vcc_lo, 0, v37, vcc_lo
	s_delay_alu instid0(VALU_DEP_1) | instskip(NEXT) | instid1(VALU_DEP_1)
	v_add_nc_u64_e32 v[28:29], v[38:39], v[36:37]
	v_mul_u64_e32 v[32:33], s[42:43], v[28:29]
	s_delay_alu instid0(VALU_DEP_1) | instskip(NEXT) | instid1(VALU_DEP_2)
	v_sub_nc_u32_e32 v1, v34, v33
	v_sub_co_u32 v2, vcc_lo, v30, v32
	s_delay_alu instid0(VALU_DEP_1) | instskip(NEXT) | instid1(VALU_DEP_3)
	v_sub_co_ci_u32_e64 v11, null, v34, v33, vcc_lo
	v_subrev_co_ci_u32_e64 v1, null, s43, v1, vcc_lo
	s_delay_alu instid0(VALU_DEP_3) | instskip(SKIP_1) | instid1(VALU_DEP_3)
	v_sub_co_u32 v6, s0, v2, s42
	v_add_nc_u64_e32 v[30:31], 2, v[28:29]
	v_subrev_co_ci_u32_e64 v1, null, 0, v1, s0
	s_delay_alu instid0(VALU_DEP_3) | instskip(SKIP_2) | instid1(VALU_DEP_4)
	v_cmp_le_u32_e32 vcc_lo, s42, v6
	v_add_nc_u64_e32 v[32:33], 1, v[28:29]
	v_cndmask_b32_e64 v6, 0, -1, vcc_lo
	v_cmp_le_u32_e32 vcc_lo, s43, v1
	v_cndmask_b32_e64 v15, 0, -1, vcc_lo
	v_cmp_le_u32_e32 vcc_lo, s42, v2
	;; [unrolled: 2-line block ×3, first 2 shown]
	v_cndmask_b32_e64 v19, 0, -1, vcc_lo
	v_cmp_eq_u32_e32 vcc_lo, s43, v1
	v_cndmask_b32_e32 v1, v15, v6, vcc_lo
	v_cmp_eq_u32_e32 vcc_lo, s43, v11
	s_delay_alu instid0(VALU_DEP_4) | instskip(NEXT) | instid1(VALU_DEP_3)
	v_cndmask_b32_e32 v2, v19, v2, vcc_lo
	v_cmp_ne_u32_e32 vcc_lo, 0, v1
	s_delay_alu instid0(VALU_DEP_2) | instskip(SKIP_1) | instid1(VALU_DEP_1)
	v_cmp_ne_u32_e64 s0, 0, v2
	v_dual_cndmask_b32 v1, v33, v31 :: v_dual_cndmask_b32 v2, v32, v30
	v_dual_cndmask_b32 v1, v29, v1, s0 :: v_dual_bitop2_b32 v26, s40, v26 bitop3:0x14
	s_delay_alu instid0(VALU_DEP_1) | instskip(NEXT) | instid1(VALU_DEP_2)
	v_dual_cndmask_b32 v2, v28, v2, s0 :: v_dual_mov_b32 v27, v26
	v_xor_b32_e32 v29, v1, v26
	s_delay_alu instid0(VALU_DEP_2) | instskip(NEXT) | instid1(VALU_DEP_1)
	v_xor_b32_e32 v28, v2, v26
	v_sub_nc_u64_e32 v[26:27], v[28:29], v[26:27]
.LBB82_26:                              ;   in Loop: Header=BB82_24 Depth=1
	s_and_not1_saveexec_b32 s0, s53
	s_cbranch_execz .LBB82_23
; %bb.27:                               ;   in Loop: Header=BB82_24 Depth=1
	v_cvt_f32_u32_e32 v1, s38
	s_sub_co_i32 s40, 0, s38
	v_mov_b32_e32 v27, v14
	s_delay_alu instid0(VALU_DEP_2) | instskip(SKIP_1) | instid1(TRANS32_DEP_1)
	v_rcp_iflag_f32_e32 v1, v1
	v_nop
	v_mul_f32_e32 v1, 0x4f7ffffe, v1
	s_delay_alu instid0(VALU_DEP_1) | instskip(NEXT) | instid1(VALU_DEP_1)
	v_cvt_u32_f32_e32 v1, v1
	v_mul_lo_u32 v2, s40, v1
	s_delay_alu instid0(VALU_DEP_1) | instskip(NEXT) | instid1(VALU_DEP_1)
	v_mul_hi_u32 v2, v1, v2
	v_add_nc_u32_e32 v1, v1, v2
	s_delay_alu instid0(VALU_DEP_1) | instskip(NEXT) | instid1(VALU_DEP_1)
	v_mul_hi_u32 v1, v24, v1
	v_mul_lo_u32 v2, v1, s38
	s_delay_alu instid0(VALU_DEP_1) | instskip(NEXT) | instid1(VALU_DEP_1)
	v_dual_add_nc_u32 v6, 1, v1 :: v_dual_sub_nc_u32 v2, v24, v2
	v_subrev_nc_u32_e32 v11, s38, v2
	v_cmp_le_u32_e32 vcc_lo, s38, v2
	s_delay_alu instid0(VALU_DEP_2) | instskip(NEXT) | instid1(VALU_DEP_1)
	v_dual_cndmask_b32 v2, v2, v11 :: v_dual_cndmask_b32 v1, v1, v6
	v_cmp_le_u32_e32 vcc_lo, s38, v2
	s_delay_alu instid0(VALU_DEP_2) | instskip(NEXT) | instid1(VALU_DEP_1)
	v_add_nc_u32_e32 v6, 1, v1
	v_cndmask_b32_e32 v26, v1, v6, vcc_lo
	s_branch .LBB82_23
.LBB82_28:
	s_mov_b32 s36, -1
	s_mov_b32 s0, 0
	s_mov_b32 s53, 0
	s_mov_b32 s1, exec_lo
	v_cmpx_gt_i32_e64 v3, v7
	s_cbranch_execz .LBB82_34
; %bb.29:
	s_wait_loadcnt 0x0
	s_delay_alu instid0(VALU_DEP_2) | instskip(SKIP_3) | instid1(VALU_DEP_1)
	v_lshlrev_b64_e32 v[14:15], 2, v[22:23]
	v_dual_mov_b32 v22, v7 :: v_dual_ashrrev_i32 v23, 31, v7
	s_mov_b32 s31, 0
	s_xor_b32 s35, s27, -1
                                        ; implicit-def: $sgpr34
                                        ; implicit-def: $sgpr37
                                        ; implicit-def: $sgpr36
	v_lshl_add_u64 v[6:7], v[22:23], 2, v[14:15]
	v_add_nc_u64_e32 v[14:15], s[28:29], v[14:15]
	v_dual_mov_b32 v22, v3 :: v_dual_ashrrev_i32 v23, 31, v3
	s_delay_alu instid0(VALU_DEP_3) | instskip(NEXT) | instid1(VALU_DEP_1)
	v_add_nc_u64_e32 v[6:7], s[28:29], v[6:7]
	v_add_nc_u64_e32 v[2:3], 4, v[6:7]
	s_delay_alu instid0(VALU_DEP_3)
	v_lshl_add_u64 v[6:7], v[22:23], 2, v[14:15]
	s_branch .LBB82_31
.LBB82_30:                              ;   in Loop: Header=BB82_31 Depth=1
	s_or_b32 exec_lo, exec_lo, s38
	s_delay_alu instid0(SALU_CYCLE_1) | instskip(NEXT) | instid1(SALU_CYCLE_1)
	s_and_b32 s38, exec_lo, s37
	s_or_b32 s31, s38, s31
	s_and_not1_b32 s34, s34, exec_lo
	s_and_b32 s38, s36, exec_lo
	s_delay_alu instid0(SALU_CYCLE_1)
	s_or_b32 s34, s34, s38
	s_and_not1_b32 exec_lo, exec_lo, s31
	s_cbranch_execz .LBB82_33
.LBB82_31:                              ; =>This Inner Loop Header: Depth=1
	s_or_b32 s36, s36, exec_lo
	s_or_b32 s37, s37, exec_lo
	s_mov_b32 s38, exec_lo
	s_delay_alu instid0(VALU_DEP_2)
	v_cmpx_lt_u64_e64 v[2:3], v[6:7]
	s_cbranch_execz .LBB82_30
; %bb.32:                               ;   in Loop: Header=BB82_31 Depth=1
	global_load_b64 v[14:15], v[2:3], off offset:-4
	s_and_not1_b32 s37, s37, exec_lo
	s_wait_xcnt 0x0
	v_add_nc_u64_e32 v[2:3], 4, v[2:3]
	s_and_not1_b32 s36, s36, exec_lo
	s_wait_loadcnt 0x0
	v_cmp_ge_i32_e32 vcc_lo, v14, v15
	s_or_b32 s39, s35, vcc_lo
	s_delay_alu instid0(SALU_CYCLE_1) | instskip(NEXT) | instid1(SALU_CYCLE_1)
	s_and_b32 s39, s39, exec_lo
	s_or_b32 s37, s37, s39
	s_branch .LBB82_30
.LBB82_33:
	s_or_b32 exec_lo, exec_lo, s31
	s_delay_alu instid0(SALU_CYCLE_1)
	s_mov_b32 s53, exec_lo
	s_or_not1_b32 s36, s34, exec_lo
.LBB82_34:
	s_or_b32 exec_lo, exec_lo, s1
	s_mov_b32 s31, 0
	s_mov_b32 s34, 0
	;; [unrolled: 1-line block ×3, first 2 shown]
	s_and_saveexec_b32 s54, s36
	s_cbranch_execz .LBB82_57
; %bb.35:
	s_mov_b32 s0, -1
	s_mov_b32 s1, 0
	s_mov_b32 s36, 0
	s_mov_b32 s55, exec_lo
	v_cmpx_eq_u32_e64 v12, v10
	s_cbranch_execz .LBB82_56
; %bb.36:
	s_mov_b32 s1, -1
	s_mov_b32 s0, 0
	s_mov_b32 s56, exec_lo
	v_cmpx_eq_u32_e64 v20, v18
	s_cbranch_execz .LBB82_55
; %bb.37:
	v_sub_nc_u32_e32 v1, v4, v8
	s_delay_alu instid0(VALU_DEP_1) | instskip(SKIP_2) | instid1(SALU_CYCLE_1)
	v_cmp_le_i32_e32 vcc_lo, v10, v1
	v_cmp_ge_i32_e64 s0, s16, v1
	s_and_b32 s0, vcc_lo, s0
	s_and_saveexec_b32 s57, s0
	s_cbranch_execz .LBB82_54
; %bb.38:
	v_mov_b64_e32 v[2:3], 0
	s_and_not1_b32 vcc_lo, exec_lo, s17
	s_cbranch_vccnz .LBB82_45
; %bb.39:
	s_wait_loadcnt 0x0
	v_dual_mov_b32 v2, v16 :: v_dual_ashrrev_i32 v3, 31, v16
	s_ashr_i32 s31, s30, 31
	v_mov_b32_e32 v6, 0
	s_lshl_b64 s[0:1], s[30:31], 3
	s_mov_b64 s[34:35], 0xffffffff
	v_mul_u64_e32 v[14:15], s[18:19], v[2:3]
	v_mov_b64_e32 v[2:3], 0
	s_add_nc_u64 s[0:1], s[20:21], s[0:1]
	s_mov_b32 s31, s26
	s_add_nc_u64 s[36:37], s[0:1], 32
	s_mov_b32 s1, 0
	s_branch .LBB82_41
.LBB82_40:                              ;   in Loop: Header=BB82_41 Depth=1
	s_or_b32 exec_lo, exec_lo, s0
	s_delay_alu instid0(VALU_DEP_1)
	v_mul_u64_e32 v[24:25], s[38:39], v[22:23]
	s_load_b64 s[38:39], s[36:37], 0x40
	s_add_co_i32 s31, s31, -1
	s_wait_xcnt 0x0
	s_add_nc_u64 s[36:37], s[36:37], -8
	s_cmp_lg_u32 s31, 0
	s_delay_alu instid0(VALU_DEP_1) | instskip(SKIP_1) | instid1(VALU_DEP_1)
	v_sub_nc_u64_e32 v[14:15], v[14:15], v[24:25]
	s_wait_kmcnt 0x0
	v_mad_nc_u64_u32 v[2:3], v14, s38, v[2:3]
	s_delay_alu instid0(VALU_DEP_1) | instskip(NEXT) | instid1(VALU_DEP_1)
	v_mad_u32 v1, v15, s38, v3
	v_mad_u32 v3, v14, s39, v1
	v_mov_b64_e32 v[14:15], v[22:23]
	s_cbranch_scc0 .LBB82_45
.LBB82_41:                              ; =>This Inner Loop Header: Depth=1
	s_load_b64 s[38:39], s[36:37], 0x0
                                        ; implicit-def: $vgpr22_vgpr23
	s_mov_b32 s0, exec_lo
	s_wait_kmcnt 0x0
	s_delay_alu instid0(VALU_DEP_1) | instskip(NEXT) | instid1(VALU_DEP_1)
	v_or_b32_e32 v7, s39, v15
	v_cmpx_ne_u64_e32 0, v[6:7]
	s_xor_b32 s58, exec_lo, s0
	s_cbranch_execz .LBB82_43
; %bb.42:                               ;   in Loop: Header=BB82_41 Depth=1
	s_ashr_i32 s40, s39, 31
	v_dual_mov_b32 v27, v6 :: v_dual_ashrrev_i32 v22, 31, v15
	s_mov_b32 s41, s40
	v_mov_b32_e32 v35, v6
	s_add_nc_u64 s[42:43], s[38:39], s[40:41]
	s_delay_alu instid0(VALU_DEP_2) | instskip(SKIP_1) | instid1(SALU_CYCLE_1)
	v_mov_b32_e32 v23, v22
	s_xor_b64 s[42:43], s[42:43], s[40:41]
	s_cvt_f32_u32 s0, s42
	s_cvt_f32_u32 s41, s43
	s_sub_nc_u64 s[62:63], 0, s[42:43]
	v_add_nc_u64_e32 v[24:25], v[14:15], v[22:23]
	v_mov_b32_e32 v31, v6
	s_fmamk_f32 s0, s41, 0x4f800000, s0
	s_delay_alu instid0(SALU_CYCLE_3) | instskip(NEXT) | instid1(VALU_DEP_2)
	v_s_rcp_f32 s0, s0
	v_xor_b32_e32 v26, v24, v22
	s_delay_alu instid0(VALU_DEP_3) | instskip(NEXT) | instid1(TRANS32_DEP_1)
	v_xor_b32_e32 v30, v25, v22
	s_mul_f32 s0, s0, 0x5f7ffffc
	s_delay_alu instid0(SALU_CYCLE_3) | instskip(NEXT) | instid1(SALU_CYCLE_3)
	s_mul_f32 s41, s0, 0x2f800000
	s_trunc_f32 s41, s41
	s_delay_alu instid0(SALU_CYCLE_3) | instskip(SKIP_1) | instid1(SALU_CYCLE_2)
	s_fmamk_f32 s0, s41, 0xcf800000, s0
	s_cvt_u32_f32 s61, s41
	s_cvt_u32_f32 s60, s0
	s_delay_alu instid0(SALU_CYCLE_3) | instskip(NEXT) | instid1(SALU_CYCLE_1)
	s_mul_u64 s[64:65], s[62:63], s[60:61]
	s_mul_hi_u32 s67, s60, s65
	s_mul_i32 s66, s60, s65
	s_mul_hi_u32 s0, s60, s64
	s_mul_i32 s59, s61, s64
	s_add_nc_u64 s[66:67], s[0:1], s[66:67]
	s_mul_hi_u32 s41, s61, s64
	s_mul_hi_u32 s68, s61, s65
	s_add_co_u32 s0, s66, s59
	s_add_co_ci_u32 s0, s67, s41
	s_mul_i32 s64, s61, s65
	s_add_co_ci_u32 s65, s68, 0
	s_delay_alu instid0(SALU_CYCLE_1) | instskip(NEXT) | instid1(SALU_CYCLE_1)
	s_add_nc_u64 s[64:65], s[0:1], s[64:65]
	s_add_co_u32 s60, s60, s64
	s_cselect_b32 s0, -1, 0
	s_delay_alu instid0(SALU_CYCLE_1) | instskip(SKIP_1) | instid1(SALU_CYCLE_1)
	s_cmp_lg_u32 s0, 0
	s_add_co_ci_u32 s61, s61, s65
	s_mul_u64 s[62:63], s[62:63], s[60:61]
	s_delay_alu instid0(SALU_CYCLE_1)
	s_mul_hi_u32 s65, s60, s63
	s_mul_i32 s64, s60, s63
	s_mul_hi_u32 s0, s60, s62
	s_mul_i32 s59, s61, s62
	s_add_nc_u64 s[64:65], s[0:1], s[64:65]
	s_mul_hi_u32 s41, s61, s62
	s_mul_hi_u32 s66, s61, s63
	s_add_co_u32 s0, s64, s59
	s_add_co_ci_u32 s0, s65, s41
	s_mul_i32 s62, s61, s63
	s_add_co_ci_u32 s63, s66, 0
	s_delay_alu instid0(SALU_CYCLE_1) | instskip(NEXT) | instid1(SALU_CYCLE_1)
	s_add_nc_u64 s[62:63], s[0:1], s[62:63]
	s_add_co_u32 s60, s60, s62
	s_cselect_b32 s0, -1, 0
	v_mul_hi_u32 v34, v26, s60
	s_cmp_lg_u32 s0, 0
	s_add_co_ci_u32 s0, s61, s63
	s_and_b64 s[62:63], s[60:61], s[34:35]
	v_mul_u64_e32 v[28:29], s[0:1], v[26:27]
	v_mul_u64_e32 v[24:25], s[62:63], v[30:31]
	;; [unrolled: 1-line block ×3, first 2 shown]
	s_delay_alu instid0(VALU_DEP_3) | instskip(NEXT) | instid1(VALU_DEP_1)
	v_add_nc_u64_e32 v[28:29], v[34:35], v[28:29]
	v_add_co_u32 v1, vcc_lo, v28, v24
	s_delay_alu instid0(VALU_DEP_2) | instskip(NEXT) | instid1(VALU_DEP_4)
	v_add_co_ci_u32_e32 v34, vcc_lo, v29, v25, vcc_lo
	v_add_co_ci_u32_e32 v33, vcc_lo, 0, v33, vcc_lo
	s_delay_alu instid0(VALU_DEP_1) | instskip(NEXT) | instid1(VALU_DEP_1)
	v_add_nc_u64_e32 v[24:25], v[34:35], v[32:33]
	v_mul_u64_e32 v[28:29], s[42:43], v[24:25]
	s_delay_alu instid0(VALU_DEP_1) | instskip(NEXT) | instid1(VALU_DEP_2)
	v_sub_nc_u32_e32 v1, v30, v29
	v_sub_co_u32 v7, vcc_lo, v26, v28
	s_delay_alu instid0(VALU_DEP_1) | instskip(NEXT) | instid1(VALU_DEP_3)
	v_sub_co_ci_u32_e64 v12, null, v30, v29, vcc_lo
	v_subrev_co_ci_u32_e64 v1, null, s43, v1, vcc_lo
	s_delay_alu instid0(VALU_DEP_3) | instskip(SKIP_1) | instid1(VALU_DEP_3)
	v_sub_co_u32 v11, s0, v7, s42
	v_add_nc_u64_e32 v[26:27], 2, v[24:25]
	v_subrev_co_ci_u32_e64 v1, null, 0, v1, s0
	s_delay_alu instid0(VALU_DEP_3) | instskip(SKIP_2) | instid1(VALU_DEP_4)
	v_cmp_le_u32_e32 vcc_lo, s42, v11
	v_add_nc_u64_e32 v[28:29], 1, v[24:25]
	v_cndmask_b32_e64 v11, 0, -1, vcc_lo
	v_cmp_le_u32_e32 vcc_lo, s43, v1
	v_cndmask_b32_e64 v16, 0, -1, vcc_lo
	v_cmp_le_u32_e32 vcc_lo, s42, v7
	;; [unrolled: 2-line block ×3, first 2 shown]
	v_cndmask_b32_e64 v19, 0, -1, vcc_lo
	v_cmp_eq_u32_e32 vcc_lo, s43, v1
	v_cndmask_b32_e32 v1, v16, v11, vcc_lo
	v_cmp_eq_u32_e32 vcc_lo, s43, v12
	s_delay_alu instid0(VALU_DEP_4) | instskip(NEXT) | instid1(VALU_DEP_3)
	v_cndmask_b32_e32 v7, v19, v7, vcc_lo
	v_cmp_ne_u32_e32 vcc_lo, 0, v1
	s_delay_alu instid0(VALU_DEP_2) | instskip(SKIP_1) | instid1(VALU_DEP_1)
	v_cmp_ne_u32_e64 s0, 0, v7
	v_dual_cndmask_b32 v1, v29, v27, vcc_lo :: v_dual_cndmask_b32 v7, v28, v26, vcc_lo
	v_dual_cndmask_b32 v1, v25, v1, s0 :: v_dual_bitop2_b32 v22, s40, v22 bitop3:0x14
	s_delay_alu instid0(VALU_DEP_1) | instskip(NEXT) | instid1(VALU_DEP_2)
	v_dual_cndmask_b32 v7, v24, v7, s0 :: v_dual_mov_b32 v23, v22
	v_xor_b32_e32 v25, v1, v22
	s_delay_alu instid0(VALU_DEP_2) | instskip(NEXT) | instid1(VALU_DEP_1)
	v_xor_b32_e32 v24, v7, v22
	v_sub_nc_u64_e32 v[22:23], v[24:25], v[22:23]
.LBB82_43:                              ;   in Loop: Header=BB82_41 Depth=1
	s_and_not1_saveexec_b32 s0, s58
	s_cbranch_execz .LBB82_40
; %bb.44:                               ;   in Loop: Header=BB82_41 Depth=1
	v_cvt_f32_u32_e32 v1, s38
	s_sub_co_i32 s40, 0, s38
	v_mov_b32_e32 v23, v6
	s_delay_alu instid0(VALU_DEP_2) | instskip(SKIP_1) | instid1(TRANS32_DEP_1)
	v_rcp_iflag_f32_e32 v1, v1
	v_nop
	v_mul_f32_e32 v1, 0x4f7ffffe, v1
	s_delay_alu instid0(VALU_DEP_1) | instskip(NEXT) | instid1(VALU_DEP_1)
	v_cvt_u32_f32_e32 v1, v1
	v_mul_lo_u32 v7, s40, v1
	s_delay_alu instid0(VALU_DEP_1) | instskip(NEXT) | instid1(VALU_DEP_1)
	v_mul_hi_u32 v7, v1, v7
	v_add_nc_u32_e32 v1, v1, v7
	s_delay_alu instid0(VALU_DEP_1) | instskip(NEXT) | instid1(VALU_DEP_1)
	v_mul_hi_u32 v1, v14, v1
	v_mul_lo_u32 v7, v1, s38
	s_delay_alu instid0(VALU_DEP_1) | instskip(NEXT) | instid1(VALU_DEP_1)
	v_sub_nc_u32_e32 v7, v14, v7
	v_subrev_nc_u32_e32 v12, s38, v7
	v_cmp_le_u32_e32 vcc_lo, s38, v7
	s_delay_alu instid0(VALU_DEP_2) | instskip(NEXT) | instid1(VALU_DEP_1)
	v_dual_add_nc_u32 v11, 1, v1 :: v_dual_cndmask_b32 v7, v7, v12, vcc_lo
	v_cndmask_b32_e32 v1, v1, v11, vcc_lo
	s_delay_alu instid0(VALU_DEP_2) | instskip(NEXT) | instid1(VALU_DEP_2)
	v_cmp_le_u32_e32 vcc_lo, s38, v7
	v_add_nc_u32_e32 v11, 1, v1
	s_delay_alu instid0(VALU_DEP_1)
	v_cndmask_b32_e32 v22, v1, v11, vcc_lo
	s_branch .LBB82_40
.LBB82_45:
	s_mov_b32 s35, -1
	s_mov_b32 s0, 0
	s_mov_b32 s31, 0
	s_mov_b32 s1, exec_lo
	v_cmpx_gt_i32_e64 v4, v8
	s_cbranch_execz .LBB82_51
; %bb.46:
	s_delay_alu instid0(VALU_DEP_2) | instskip(SKIP_3) | instid1(VALU_DEP_2)
	v_lshlrev_b64_e32 v[2:3], 2, v[2:3]
	v_dual_mov_b32 v6, v8 :: v_dual_ashrrev_i32 v7, 31, v8
	v_dual_mov_b32 v22, v4 :: v_dual_ashrrev_i32 v23, 31, v4
	s_xor_b32 s35, s27, -1
                                        ; implicit-def: $sgpr34
                                        ; implicit-def: $sgpr37
                                        ; implicit-def: $sgpr36
	v_lshl_add_u64 v[6:7], v[6:7], 2, v[2:3]
	s_wait_loadcnt 0x0
	v_add_nc_u64_e32 v[14:15], s[28:29], v[2:3]
	s_delay_alu instid0(VALU_DEP_2) | instskip(NEXT) | instid1(VALU_DEP_1)
	v_add_nc_u64_e32 v[6:7], s[28:29], v[6:7]
	v_add_nc_u64_e32 v[2:3], 4, v[6:7]
	s_delay_alu instid0(VALU_DEP_3)
	v_lshl_add_u64 v[6:7], v[22:23], 2, v[14:15]
	s_branch .LBB82_48
.LBB82_47:                              ;   in Loop: Header=BB82_48 Depth=1
	s_or_b32 exec_lo, exec_lo, s38
	s_delay_alu instid0(SALU_CYCLE_1) | instskip(NEXT) | instid1(SALU_CYCLE_1)
	s_and_b32 s38, exec_lo, s37
	s_or_b32 s31, s38, s31
	s_and_not1_b32 s34, s34, exec_lo
	s_and_b32 s38, s36, exec_lo
	s_delay_alu instid0(SALU_CYCLE_1)
	s_or_b32 s34, s34, s38
	s_and_not1_b32 exec_lo, exec_lo, s31
	s_cbranch_execz .LBB82_50
.LBB82_48:                              ; =>This Inner Loop Header: Depth=1
	s_or_b32 s36, s36, exec_lo
	s_or_b32 s37, s37, exec_lo
	s_mov_b32 s38, exec_lo
	s_delay_alu instid0(VALU_DEP_2)
	v_cmpx_lt_u64_e64 v[2:3], v[6:7]
	s_cbranch_execz .LBB82_47
; %bb.49:                               ;   in Loop: Header=BB82_48 Depth=1
	global_load_b64 v[14:15], v[2:3], off offset:-4
	s_and_not1_b32 s37, s37, exec_lo
	s_wait_xcnt 0x0
	v_add_nc_u64_e32 v[2:3], 4, v[2:3]
	s_and_not1_b32 s36, s36, exec_lo
	s_wait_loadcnt 0x0
	v_cmp_ge_i32_e32 vcc_lo, v14, v15
	s_or_b32 s39, s35, vcc_lo
	s_delay_alu instid0(SALU_CYCLE_1) | instskip(NEXT) | instid1(SALU_CYCLE_1)
	s_and_b32 s39, s39, exec_lo
	s_or_b32 s37, s37, s39
	s_branch .LBB82_47
.LBB82_50:
	s_or_b32 exec_lo, exec_lo, s31
	s_delay_alu instid0(SALU_CYCLE_1)
	s_mov_b32 s31, exec_lo
	s_or_not1_b32 s35, s34, exec_lo
.LBB82_51:
	s_or_b32 exec_lo, exec_lo, s1
	s_mov_b32 s34, 0
	s_and_saveexec_b32 s1, s35
	s_delay_alu instid0(SALU_CYCLE_1)
	s_xor_b32 s1, exec_lo, s1
; %bb.52:
	v_cmp_ne_u32_e32 vcc_lo, v13, v10
	s_mov_b32 s34, exec_lo
	s_and_not1_b32 s31, s31, exec_lo
	s_and_b32 s0, vcc_lo, exec_lo
; %bb.53:
	s_or_b32 exec_lo, exec_lo, s1
	s_delay_alu instid0(SALU_CYCLE_1)
	s_and_b32 s35, s31, exec_lo
	s_xor_b32 s1, exec_lo, -1
	s_and_b32 s31, s34, exec_lo
	s_and_b32 s34, s0, exec_lo
.LBB82_54:
	s_or_b32 exec_lo, exec_lo, s57
	s_delay_alu instid0(SALU_CYCLE_1)
	s_and_b32 s36, s35, exec_lo
	s_and_b32 s35, s1, exec_lo
	s_xor_b32 s1, exec_lo, -1
	s_and_b32 s31, s31, exec_lo
	s_and_b32 s0, s34, exec_lo
.LBB82_55:
	s_or_b32 exec_lo, exec_lo, s56
	s_delay_alu instid0(SALU_CYCLE_1)
	s_and_b32 s36, s36, exec_lo
	s_and_b32 s35, s35, exec_lo
	;; [unrolled: 1-line block ×4, first 2 shown]
	s_or_not1_b32 s0, s0, exec_lo
.LBB82_56:
	s_or_b32 exec_lo, exec_lo, s55
	s_delay_alu instid0(SALU_CYCLE_1)
	s_and_not1_b32 s31, s53, exec_lo
	s_and_b32 s36, s36, exec_lo
	s_and_b32 s35, s35, exec_lo
	s_or_b32 s53, s31, s36
	s_and_b32 s34, s34, exec_lo
	s_and_b32 s31, s1, exec_lo
	;; [unrolled: 1-line block ×3, first 2 shown]
.LBB82_57:
	s_or_b32 exec_lo, exec_lo, s54
	s_delay_alu instid0(SALU_CYCLE_1)
	s_and_b32 s36, s53, exec_lo
	s_or_not1_b32 s1, s35, exec_lo
	s_and_b32 s35, s34, exec_lo
	s_and_b32 s34, s31, exec_lo
	;; [unrolled: 1-line block ×3, first 2 shown]
.LBB82_58:
	s_or_b32 exec_lo, exec_lo, s52
	s_delay_alu instid0(SALU_CYCLE_1)
	s_and_b32 s36, s36, exec_lo
	s_and_b32 s37, s1, exec_lo
	s_or_not1_b32 s1, s35, exec_lo
	s_and_b32 s34, s34, exec_lo
	s_and_b32 s0, s31, exec_lo
.LBB82_59:
	s_or_b32 exec_lo, exec_lo, s51
	s_delay_alu instid0(SALU_CYCLE_1)
	s_and_b32 s36, s36, exec_lo
	s_and_b32 s35, s37, exec_lo
	;; [unrolled: 1-line block ×4, first 2 shown]
	s_or_not1_b32 s0, s0, exec_lo
.LBB82_60:
	s_or_b32 exec_lo, exec_lo, s50
	s_delay_alu instid0(SALU_CYCLE_1)
	s_and_not1_b32 s34, s48, exec_lo
	s_and_b32 s36, s36, exec_lo
	s_and_b32 s0, s0, exec_lo
	s_or_b32 s48, s34, s36
	s_and_b32 s36, s35, exec_lo
	s_and_b32 s34, s31, exec_lo
	;; [unrolled: 1-line block ×3, first 2 shown]
.LBB82_61:
	s_or_b32 exec_lo, exec_lo, s49
	s_delay_alu instid0(SALU_CYCLE_1)
	s_and_b32 s35, s48, exec_lo
	s_or_not1_b32 s1, s36, exec_lo
	s_and_b32 s36, s34, exec_lo
	s_and_b32 s31, s31, exec_lo
	;; [unrolled: 1-line block ×3, first 2 shown]
.LBB82_62:
	s_or_b32 exec_lo, exec_lo, s47
	s_delay_alu instid0(SALU_CYCLE_1)
	s_and_b32 s35, s35, exec_lo
	s_and_b32 s1, s1, exec_lo
	s_or_not1_b32 s0, s36, exec_lo
	s_and_b32 s31, s31, exec_lo
	s_and_b32 s34, s34, exec_lo
.LBB82_63:
	s_or_b32 exec_lo, exec_lo, s46
	s_delay_alu instid0(SALU_CYCLE_1)
	s_and_b32 s38, s35, exec_lo
	s_and_b32 s1, s1, exec_lo
	;; [unrolled: 1-line block ×4, first 2 shown]
	s_or_not1_b32 s34, s34, exec_lo
.LBB82_64:
	s_or_b32 exec_lo, exec_lo, s45
	s_and_saveexec_b32 s35, s34
	s_cbranch_execnz .LBB82_208
.LBB82_65:
	s_or_b32 exec_lo, exec_lo, s35
	s_mov_b32 s34, 0
	s_and_saveexec_b32 s35, s31
	s_delay_alu instid0(SALU_CYCLE_1)
	s_xor_b32 s31, exec_lo, s35
; %bb.66:
	v_cmp_ne_u32_e32 vcc_lo, v21, v18
	s_and_not1_b32 s0, s0, exec_lo
	s_mov_b32 s34, exec_lo
	s_and_b32 s35, vcc_lo, exec_lo
	s_delay_alu instid0(SALU_CYCLE_1)
	s_or_b32 s0, s0, s35
; %bb.67:
	s_or_b32 exec_lo, exec_lo, s31
	s_and_saveexec_b32 s31, s0
	s_cbranch_execnz .LBB82_209
.LBB82_68:
	s_or_b32 exec_lo, exec_lo, s31
	s_mov_b32 s31, 0
	s_and_saveexec_b32 s0, s34
	s_delay_alu instid0(SALU_CYCLE_1)
	s_xor_b32 s34, exec_lo, s0
	s_cbranch_execz .LBB82_95
; %bb.69:
	v_sub_nc_u32_e32 v1, v5, v9
	s_and_not1_b32 s1, s1, exec_lo
	s_mov_b32 s31, exec_lo
	s_delay_alu instid0(VALU_DEP_1) | instskip(SKIP_2) | instid1(SALU_CYCLE_1)
	v_cmp_gt_i32_e32 vcc_lo, v10, v1
	v_cmp_lt_i32_e64 s0, s16, v1
	s_or_b32 s0, vcc_lo, s0
	s_and_b32 s0, s0, exec_lo
	s_delay_alu instid0(SALU_CYCLE_1)
	s_or_b32 s1, s1, s0
	s_or_b32 exec_lo, exec_lo, s34
	s_and_saveexec_b32 s0, s1
	s_cbranch_execz .LBB82_96
.LBB82_70:
	s_or_b32 s3, s3, exec_lo
	s_and_not1_b32 s31, s31, exec_lo
	s_trap 2
	s_or_b32 exec_lo, exec_lo, s0
	s_mov_b32 s0, 0
	s_and_saveexec_b32 s39, s31
	s_cbranch_execnz .LBB82_97
.LBB82_71:
	s_or_b32 exec_lo, exec_lo, s39
	s_and_saveexec_b32 s1, s38
	s_cbranch_execnz .LBB82_125
.LBB82_72:
	s_or_b32 exec_lo, exec_lo, s1
	s_and_saveexec_b32 s1, s0
	s_delay_alu instid0(SALU_CYCLE_1)
	s_xor_b32 s0, exec_lo, s1
	s_cbranch_execz .LBB82_74
.LBB82_73:
	v_mov_b32_e32 v2, 0
	s_add_nc_u64 s[16:17], s[4:5], s[24:25]
	s_delay_alu instid0(VALU_DEP_1)
	v_dual_mov_b32 v3, v2 :: v_dual_mov_b32 v4, v2
	v_mov_b32_e32 v5, v2
	global_store_b128 v0, v[2:5], s[16:17] scale_offset
.LBB82_74:
	s_wait_xcnt 0x0
	s_or_b32 exec_lo, exec_lo, s0
	s_mov_b32 s0, 0
.LBB82_75:
	s_delay_alu instid0(SALU_CYCLE_1)
	s_and_b32 vcc_lo, exec_lo, s0
	s_cbranch_vccz .LBB82_104
; %bb.76:
	v_mov_b64_e32 v[6:7], 0
	v_cmp_gt_i32_e64 s0, s33, v0
	v_dual_mov_b32 v1, 0 :: v_dual_mov_b32 v3, 0
	s_wait_loadcnt 0x0
	v_or_b32_e32 v17, 0x100, v0
	v_dual_mov_b32 v2, 0 :: v_dual_mov_b32 v4, 0
	v_dual_mov_b32 v9, 0 :: v_dual_mov_b32 v11, 0
	;; [unrolled: 1-line block ×8, first 2 shown]
	v_mov_b32_e32 v24, 0
	s_and_saveexec_b32 s1, s0
	s_cbranch_execz .LBB82_84
; %bb.77:
	v_dual_mov_b32 v18, 0 :: v_dual_bitop2_b32 v1, s2, v0 bitop3:0x54
	v_mov_b64_e32 v[6:7], 0
	v_dual_mov_b32 v14, 0 :: v_dual_mov_b32 v16, 0
	s_clause 0x4
	global_load_b32 v21, v1, s[6:7] scale_offset
	global_load_b32 v23, v1, s[8:9] scale_offset
	;; [unrolled: 1-line block ×5, first 2 shown]
	v_dual_mov_b32 v19, 0 :: v_dual_mov_b32 v15, 0
	v_dual_mov_b32 v13, 0 :: v_dual_mov_b32 v8, 0
	;; [unrolled: 1-line block ×5, first 2 shown]
	s_wait_xcnt 0x0
	v_mov_b32_e32 v1, 0
	s_mov_b32 s16, exec_lo
	v_cmpx_gt_u32_e64 s33, v17
	s_cbranch_execz .LBB82_83
; %bb.78:
	v_dual_mov_b32 v13, 0 :: v_dual_add_nc_u32 v12, s2, v0
	v_or_b32_e32 v1, 0x200, v0
	v_mov_b64_e32 v[6:7], 0
	v_dual_mov_b32 v8, 0 :: v_dual_mov_b32 v10, 0
	s_clause 0x4
	global_load_b32 v15, v12, s[6:7] offset:1024 scale_offset
	global_load_b32 v19, v12, s[8:9] offset:1024 scale_offset
	global_load_b32 v16, v12, s[10:11] offset:1024 scale_offset
	global_load_b32 v14, v12, s[12:13] offset:1024 scale_offset
	global_load_b32 v18, v12, s[14:15] offset:1024 scale_offset
	v_cmp_gt_u32_e32 vcc_lo, s33, v1
	v_dual_mov_b32 v11, 0 :: v_dual_mov_b32 v9, 0
	v_dual_mov_b32 v4, 0 :: v_dual_mov_b32 v2, 0
	;; [unrolled: 1-line block ×3, first 2 shown]
	s_wait_xcnt 0x0
	s_and_saveexec_b32 s17, vcc_lo
	s_cbranch_execz .LBB82_82
; %bb.79:
	v_lshlrev_b64_e32 v[2:3], 2, v[12:13]
	v_or_b32_e32 v1, 0x300, v0
	v_mov_b64_e32 v[6:7], 0
	s_delay_alu instid0(VALU_DEP_2) | instskip(NEXT) | instid1(VALU_DEP_4)
	v_cmp_gt_u32_e32 vcc_lo, s33, v1
	v_add_nc_u64_e32 v[4:5], s[6:7], v[2:3]
	v_add_nc_u64_e32 v[26:27], s[8:9], v[2:3]
	;; [unrolled: 1-line block ×5, first 2 shown]
	v_dual_mov_b32 v2, 0 :: v_dual_mov_b32 v3, 0
	global_load_b32 v9, v[4:5], off offset:2048
	global_load_b32 v11, v[26:27], off offset:2048
	;; [unrolled: 1-line block ×5, first 2 shown]
	v_mov_b32_e32 v1, 0
	s_wait_xcnt 0x0
	s_and_saveexec_b32 s6, vcc_lo
	s_cbranch_execz .LBB82_81
; %bb.80:
	global_load_b32 v6, v[28:29], off offset:3072
	global_load_b32 v1, v[4:5], off offset:3072
	;; [unrolled: 1-line block ×5, first 2 shown]
	s_wait_loadcnt 0x4
	v_ashrrev_i32_e32 v7, 31, v6
.LBB82_81:
	s_wait_xcnt 0x0
	s_or_b32 exec_lo, exec_lo, s6
	s_wait_loadcnt 0x0
	v_dual_mov_b32 v4, v13 :: v_dual_mov_b32 v13, v12
.LBB82_82:
	s_or_b32 exec_lo, exec_lo, s17
.LBB82_83:
	s_delay_alu instid0(SALU_CYCLE_1)
	s_or_b32 exec_lo, exec_lo, s16
.LBB82_84:
	s_delay_alu instid0(SALU_CYCLE_1)
	s_or_b32 exec_lo, exec_lo, s1
	s_clause 0x3
	s_load_b128 s[8:11], s[20:21], 0x8
	s_load_b32 s28, s[20:21], 0x18
	s_load_b32 s36, s[20:21], 0x0
	s_load_b64 s[6:7], s[20:21], 0xa0
	s_cmp_lg_u64 s[22:23], 0
	s_get_pc_i64 s[12:13]
	s_add_nc_u64 s[12:13], s[12:13], .str.7@rel64+4
	s_get_pc_i64 s[14:15]
	s_add_nc_u64 s[14:15], s[14:15], .str.8@rel64+4
	s_cselect_b32 s37, -1, 0
	s_cmp_lg_u64 s[12:13], 0
	s_mov_b32 s1, -1
	s_cselect_b32 s34, -1, 0
	s_cmp_lg_u64 s[14:15], 0
	s_get_pc_i64 s[14:15]
	s_add_nc_u64 s[14:15], s[14:15], .str.9@rel64+4
	s_cselect_b32 s30, -1, 0
	s_mov_b32 s43, 0
	s_mov_b32 s41, 0
	s_mov_b32 s39, 0
	s_mov_b32 s38, 0
	s_mov_b32 s35, 0
	s_wait_kmcnt 0x0
	v_cmp_gt_i64_e64 s9, s[10:11], 0
	s_add_co_i32 s12, s28, -1
	s_delay_alu instid0(SALU_CYCLE_1) | instskip(SKIP_1) | instid1(SALU_CYCLE_1)
	s_cmp_gt_i32 s12, -1
	s_cselect_b32 s13, -1, 0
	s_and_b32 s9, s9, s13
	s_cmp_lg_u64 s[14:15], 0
	s_cselect_b32 s29, -1, 0
	s_and_saveexec_b32 s31, s0
	s_cbranch_execz .LBB82_131
; %bb.85:
	s_wait_loadcnt 0x4
	v_cmp_eq_u32_e32 vcc_lo, s36, v21
	s_mov_b32 s13, -1
	s_mov_b32 s1, 0
	s_mov_b32 s14, 0
	;; [unrolled: 1-line block ×3, first 2 shown]
	s_and_b32 s17, s37, vcc_lo
	s_mov_b32 s16, 0
	s_and_saveexec_b32 s35, s17
	s_cbranch_execz .LBB82_130
; %bb.86:
	s_wait_loadcnt 0x3
	v_cmp_eq_u32_e32 vcc_lo, s10, v23
	s_and_b32 s16, s34, vcc_lo
	s_delay_alu instid0(SALU_CYCLE_1)
	s_and_saveexec_b32 s38, s16
	s_cbranch_execz .LBB82_129
; %bb.87:
	s_wait_loadcnt 0x1
	v_sub_nc_u32_e32 v5, v20, v22
	s_delay_alu instid0(VALU_DEP_1)
	v_cmp_le_i32_e32 vcc_lo, v21, v5
	v_cmp_ge_i32_e64 s1, s8, v5
	s_and_b32 s14, vcc_lo, s1
	s_mov_b32 s1, 0
	s_and_b32 s15, s30, s14
	s_mov_b32 s14, 0
	s_and_saveexec_b32 s39, s15
	s_cbranch_execz .LBB82_128
; %bb.88:
	v_mov_b64_e32 v[26:27], 0
	s_and_not1_b32 vcc_lo, exec_lo, s9
	s_cbranch_vccnz .LBB82_118
; %bb.89:
	s_wait_loadcnt 0x0
	v_ashrrev_i32_e32 v25, 31, v24
	s_ashr_i32 s13, s12, 31
	v_mov_b64_e32 v[26:27], 0
	s_lshl_b64 s[16:17], s[12:13], 3
	s_mov_b64 s[14:15], 0xffffffff
	v_mul_u64_e32 v[28:29], s[10:11], v[24:25]
	v_mov_b32_e32 v24, 0
	s_add_nc_u64 s[16:17], s[20:21], s[16:17]
	s_mov_b32 s19, 0
	s_add_nc_u64 s[16:17], s[16:17], 32
	s_mov_b32 s13, s28
	s_branch .LBB82_91
.LBB82_90:                              ;   in Loop: Header=BB82_91 Depth=1
	s_or_b32 exec_lo, exec_lo, s1
	s_delay_alu instid0(VALU_DEP_1)
	v_mul_u64_e32 v[32:33], s[22:23], v[30:31]
	s_load_b64 s[22:23], s[16:17], 0x40
	s_add_co_i32 s13, s13, -1
	s_wait_xcnt 0x0
	s_add_nc_u64 s[16:17], s[16:17], -8
	s_cmp_eq_u32 s13, 0
	s_delay_alu instid0(VALU_DEP_1) | instskip(SKIP_1) | instid1(VALU_DEP_1)
	v_sub_nc_u64_e32 v[28:29], v[28:29], v[32:33]
	s_wait_kmcnt 0x0
	v_mad_nc_u64_u32 v[26:27], v28, s22, v[26:27]
	s_delay_alu instid0(VALU_DEP_1) | instskip(NEXT) | instid1(VALU_DEP_1)
	v_mad_u32 v5, v29, s22, v27
	v_mad_u32 v27, v28, s23, v5
	v_mov_b64_e32 v[28:29], v[30:31]
	s_cbranch_scc1 .LBB82_118
.LBB82_91:                              ; =>This Inner Loop Header: Depth=1
	s_load_b64 s[22:23], s[16:17], 0x0
                                        ; implicit-def: $vgpr30_vgpr31
	s_mov_b32 s1, exec_lo
	s_wait_kmcnt 0x0
	s_delay_alu instid0(VALU_DEP_1) | instskip(NEXT) | instid1(VALU_DEP_1)
	v_or_b32_e32 v25, s23, v29
	v_cmpx_ne_u64_e32 0, v[24:25]
	s_xor_b32 s40, exec_lo, s1
	s_cbranch_execz .LBB82_93
; %bb.92:                               ;   in Loop: Header=BB82_91 Depth=1
	s_ashr_i32 s24, s23, 31
	v_dual_mov_b32 v35, v24 :: v_dual_ashrrev_i32 v30, 31, v29
	s_mov_b32 s25, s24
	s_delay_alu instid0(SALU_CYCLE_1) | instskip(NEXT) | instid1(VALU_DEP_1)
	s_add_nc_u64 s[26:27], s[22:23], s[24:25]
	v_mov_b32_e32 v31, v30
	s_xor_b64 s[26:27], s[26:27], s[24:25]
	s_delay_alu instid0(SALU_CYCLE_1)
	s_cvt_f32_u32 s1, s26
	s_cvt_f32_u32 s18, s27
	s_sub_nc_u64 s[46:47], 0, s[26:27]
	v_add_nc_u64_e32 v[32:33], v[28:29], v[30:31]
	v_mov_b32_e32 v39, v24
	s_fmamk_f32 s1, s18, 0x4f800000, s1
	s_delay_alu instid0(SALU_CYCLE_3) | instskip(NEXT) | instid1(VALU_DEP_2)
	v_s_rcp_f32 s1, s1
	v_xor_b32_e32 v34, v32, v30
	s_delay_alu instid0(VALU_DEP_3) | instskip(NEXT) | instid1(TRANS32_DEP_1)
	v_dual_mov_b32 v43, v24 :: v_dual_bitop2_b32 v38, v33, v30 bitop3:0x14
	s_mul_f32 s1, s1, 0x5f7ffffc
	s_delay_alu instid0(SALU_CYCLE_3) | instskip(NEXT) | instid1(SALU_CYCLE_3)
	s_mul_f32 s18, s1, 0x2f800000
	s_trunc_f32 s18, s18
	s_delay_alu instid0(SALU_CYCLE_3) | instskip(SKIP_1) | instid1(SALU_CYCLE_2)
	s_fmamk_f32 s1, s18, 0xcf800000, s1
	s_cvt_u32_f32 s45, s18
	s_cvt_u32_f32 s44, s1
	s_delay_alu instid0(SALU_CYCLE_3) | instskip(NEXT) | instid1(SALU_CYCLE_1)
	s_mul_u64 s[48:49], s[46:47], s[44:45]
	s_mul_hi_u32 s51, s44, s49
	s_mul_i32 s50, s44, s49
	s_mul_hi_u32 s18, s44, s48
	s_mul_i32 s25, s45, s48
	s_add_nc_u64 s[50:51], s[18:19], s[50:51]
	s_mul_hi_u32 s1, s45, s48
	s_mul_hi_u32 s41, s45, s49
	s_add_co_u32 s18, s50, s25
	s_add_co_ci_u32 s18, s51, s1
	s_mul_i32 s48, s45, s49
	s_add_co_ci_u32 s49, s41, 0
	s_delay_alu instid0(SALU_CYCLE_1) | instskip(NEXT) | instid1(SALU_CYCLE_1)
	s_add_nc_u64 s[48:49], s[18:19], s[48:49]
	s_add_co_u32 s44, s44, s48
	s_cselect_b32 s1, -1, 0
	s_delay_alu instid0(SALU_CYCLE_1) | instskip(SKIP_1) | instid1(SALU_CYCLE_1)
	s_cmp_lg_u32 s1, 0
	s_add_co_ci_u32 s45, s45, s49
	s_mul_u64 s[46:47], s[46:47], s[44:45]
	s_delay_alu instid0(SALU_CYCLE_1)
	s_mul_hi_u32 s49, s44, s47
	s_mul_i32 s48, s44, s47
	s_mul_hi_u32 s18, s44, s46
	s_mul_i32 s25, s45, s46
	s_add_nc_u64 s[48:49], s[18:19], s[48:49]
	s_mul_hi_u32 s1, s45, s46
	s_mul_hi_u32 s41, s45, s47
	s_add_co_u32 s18, s48, s25
	s_add_co_ci_u32 s18, s49, s1
	s_mul_i32 s46, s45, s47
	s_add_co_ci_u32 s47, s41, 0
	s_delay_alu instid0(SALU_CYCLE_1) | instskip(NEXT) | instid1(SALU_CYCLE_1)
	s_add_nc_u64 s[46:47], s[18:19], s[46:47]
	s_add_co_u32 s42, s44, s46
	s_cselect_b32 s1, -1, 0
	v_mul_hi_u32 v42, v34, s42
	s_cmp_lg_u32 s1, 0
	s_add_co_ci_u32 s18, s45, s47
	s_and_b64 s[44:45], s[42:43], s[14:15]
	v_mul_u64_e32 v[36:37], s[18:19], v[34:35]
	v_mul_u64_e32 v[32:33], s[44:45], v[38:39]
	;; [unrolled: 1-line block ×3, first 2 shown]
	s_delay_alu instid0(VALU_DEP_3) | instskip(NEXT) | instid1(VALU_DEP_1)
	v_add_nc_u64_e32 v[36:37], v[42:43], v[36:37]
	v_add_co_u32 v5, vcc_lo, v36, v32
	s_delay_alu instid0(VALU_DEP_2) | instskip(NEXT) | instid1(VALU_DEP_4)
	v_add_co_ci_u32_e32 v42, vcc_lo, v37, v33, vcc_lo
	v_add_co_ci_u32_e32 v41, vcc_lo, 0, v41, vcc_lo
	s_delay_alu instid0(VALU_DEP_1) | instskip(NEXT) | instid1(VALU_DEP_1)
	v_add_nc_u64_e32 v[32:33], v[42:43], v[40:41]
	v_mul_u64_e32 v[36:37], s[26:27], v[32:33]
	s_delay_alu instid0(VALU_DEP_1) | instskip(NEXT) | instid1(VALU_DEP_2)
	v_sub_nc_u32_e32 v5, v38, v37
	v_sub_co_u32 v12, vcc_lo, v34, v36
	s_delay_alu instid0(VALU_DEP_1) | instskip(NEXT) | instid1(VALU_DEP_3)
	v_sub_co_ci_u32_e64 v23, null, v38, v37, vcc_lo
	v_subrev_co_ci_u32_e64 v5, null, s27, v5, vcc_lo
	s_delay_alu instid0(VALU_DEP_3) | instskip(SKIP_1) | instid1(VALU_DEP_3)
	v_sub_co_u32 v21, s1, v12, s26
	v_add_nc_u64_e32 v[34:35], 2, v[32:33]
	v_subrev_co_ci_u32_e64 v5, null, 0, v5, s1
	s_delay_alu instid0(VALU_DEP_3) | instskip(SKIP_2) | instid1(VALU_DEP_4)
	v_cmp_le_u32_e32 vcc_lo, s26, v21
	v_add_nc_u64_e32 v[36:37], 1, v[32:33]
	v_cndmask_b32_e64 v21, 0, -1, vcc_lo
	v_cmp_le_u32_e32 vcc_lo, s27, v5
	v_cndmask_b32_e64 v25, 0, -1, vcc_lo
	v_cmp_le_u32_e32 vcc_lo, s26, v12
	;; [unrolled: 2-line block ×3, first 2 shown]
	v_cndmask_b32_e64 v31, 0, -1, vcc_lo
	v_cmp_eq_u32_e32 vcc_lo, s27, v5
	v_cndmask_b32_e32 v5, v25, v21, vcc_lo
	v_cmp_eq_u32_e32 vcc_lo, s27, v23
	s_delay_alu instid0(VALU_DEP_4) | instskip(NEXT) | instid1(VALU_DEP_3)
	v_cndmask_b32_e32 v12, v31, v12, vcc_lo
	v_cmp_ne_u32_e32 vcc_lo, 0, v5
	s_delay_alu instid0(VALU_DEP_2) | instskip(SKIP_1) | instid1(VALU_DEP_1)
	v_cmp_ne_u32_e64 s1, 0, v12
	v_dual_cndmask_b32 v5, v37, v35 :: v_dual_cndmask_b32 v12, v36, v34
	v_dual_cndmask_b32 v5, v33, v5, s1 :: v_dual_bitop2_b32 v30, s24, v30 bitop3:0x14
	s_delay_alu instid0(VALU_DEP_1) | instskip(NEXT) | instid1(VALU_DEP_2)
	v_dual_cndmask_b32 v12, v32, v12, s1 :: v_dual_mov_b32 v31, v30
	v_xor_b32_e32 v33, v5, v30
	s_delay_alu instid0(VALU_DEP_2) | instskip(NEXT) | instid1(VALU_DEP_1)
	v_xor_b32_e32 v32, v12, v30
	v_sub_nc_u64_e32 v[30:31], v[32:33], v[30:31]
.LBB82_93:                              ;   in Loop: Header=BB82_91 Depth=1
	s_and_not1_saveexec_b32 s1, s40
	s_cbranch_execz .LBB82_90
; %bb.94:                               ;   in Loop: Header=BB82_91 Depth=1
	v_cvt_f32_u32_e32 v5, s22
	s_sub_co_i32 s18, 0, s22
	v_mov_b32_e32 v31, v24
	s_delay_alu instid0(VALU_DEP_2) | instskip(SKIP_1) | instid1(TRANS32_DEP_1)
	v_rcp_iflag_f32_e32 v5, v5
	v_nop
	v_mul_f32_e32 v5, 0x4f7ffffe, v5
	s_delay_alu instid0(VALU_DEP_1) | instskip(NEXT) | instid1(VALU_DEP_1)
	v_cvt_u32_f32_e32 v5, v5
	v_mul_lo_u32 v12, s18, v5
	s_delay_alu instid0(VALU_DEP_1) | instskip(NEXT) | instid1(VALU_DEP_1)
	v_mul_hi_u32 v12, v5, v12
	v_add_nc_u32_e32 v5, v5, v12
	s_delay_alu instid0(VALU_DEP_1) | instskip(NEXT) | instid1(VALU_DEP_1)
	v_mul_hi_u32 v5, v28, v5
	v_mul_lo_u32 v12, v5, s22
	s_delay_alu instid0(VALU_DEP_1) | instskip(NEXT) | instid1(VALU_DEP_1)
	v_dual_add_nc_u32 v21, 1, v5 :: v_dual_sub_nc_u32 v12, v28, v12
	v_subrev_nc_u32_e32 v23, s22, v12
	v_cmp_le_u32_e32 vcc_lo, s22, v12
	s_delay_alu instid0(VALU_DEP_2) | instskip(NEXT) | instid1(VALU_DEP_1)
	v_dual_cndmask_b32 v12, v12, v23 :: v_dual_cndmask_b32 v5, v5, v21
	v_cmp_le_u32_e32 vcc_lo, s22, v12
	s_delay_alu instid0(VALU_DEP_2) | instskip(NEXT) | instid1(VALU_DEP_1)
	v_add_nc_u32_e32 v21, 1, v5
	v_cndmask_b32_e32 v30, v5, v21, vcc_lo
	s_branch .LBB82_90
.LBB82_95:
	s_or_b32 exec_lo, exec_lo, s34
	s_and_saveexec_b32 s0, s1
	s_cbranch_execnz .LBB82_70
.LBB82_96:
	s_or_b32 exec_lo, exec_lo, s0
	s_mov_b32 s0, 0
	s_and_saveexec_b32 s39, s31
	s_cbranch_execz .LBB82_71
.LBB82_97:
	v_mov_b64_e32 v[2:3], 0
	s_and_not1_b32 vcc_lo, exec_lo, s17
	s_cbranch_vccnz .LBB82_113
; %bb.98:
	s_wait_loadcnt 0x0
	v_dual_mov_b32 v2, v17 :: v_dual_ashrrev_i32 v3, 31, v17
	s_ashr_i32 s31, s30, 31
	v_mov_b32_e32 v6, 0
	s_lshl_b64 s[0:1], s[30:31], 3
	s_mov_b64 s[16:17], 0xffffffff
	v_mul_u64_e32 v[10:11], s[18:19], v[2:3]
	v_mov_b64_e32 v[2:3], 0
	s_add_nc_u64 s[0:1], s[20:21], s[0:1]
	s_delay_alu instid0(SALU_CYCLE_1)
	s_add_nc_u64 s[18:19], s[0:1], 32
	s_mov_b32 s1, 0
	s_branch .LBB82_100
.LBB82_99:                              ;   in Loop: Header=BB82_100 Depth=1
	s_or_b32 exec_lo, exec_lo, s0
	s_delay_alu instid0(VALU_DEP_1)
	v_mul_u64_e32 v[14:15], s[30:31], v[12:13]
	s_load_b64 s[30:31], s[18:19], 0x40
	s_add_co_i32 s26, s26, -1
	s_wait_xcnt 0x0
	s_add_nc_u64 s[18:19], s[18:19], -8
	s_cmp_lg_u32 s26, 0
	s_delay_alu instid0(VALU_DEP_1) | instskip(SKIP_1) | instid1(VALU_DEP_1)
	v_sub_nc_u64_e32 v[10:11], v[10:11], v[14:15]
	s_wait_kmcnt 0x0
	v_mad_nc_u64_u32 v[2:3], v10, s30, v[2:3]
	s_delay_alu instid0(VALU_DEP_1) | instskip(NEXT) | instid1(VALU_DEP_1)
	v_mad_u32 v1, v11, s30, v3
	v_mad_u32 v3, v10, s31, v1
	v_mov_b64_e32 v[10:11], v[12:13]
	s_cbranch_scc0 .LBB82_113
.LBB82_100:                             ; =>This Inner Loop Header: Depth=1
	s_load_b64 s[30:31], s[18:19], 0x0
                                        ; implicit-def: $vgpr12_vgpr13
	s_mov_b32 s0, exec_lo
	s_wait_kmcnt 0x0
	s_delay_alu instid0(VALU_DEP_1) | instskip(NEXT) | instid1(VALU_DEP_1)
	v_or_b32_e32 v7, s31, v11
	v_cmpx_ne_u64_e32 0, v[6:7]
	s_xor_b32 s40, exec_lo, s0
	s_cbranch_execz .LBB82_102
; %bb.101:                              ;   in Loop: Header=BB82_100 Depth=1
	s_ashr_i32 s34, s31, 31
	v_dual_mov_b32 v17, v6 :: v_dual_ashrrev_i32 v12, 31, v11
	s_mov_b32 s35, s34
	s_delay_alu instid0(SALU_CYCLE_1) | instskip(NEXT) | instid1(VALU_DEP_1)
	s_add_nc_u64 s[36:37], s[30:31], s[34:35]
	v_mov_b32_e32 v13, v12
	s_xor_b64 s[36:37], s[36:37], s[34:35]
	s_delay_alu instid0(SALU_CYCLE_1)
	s_cvt_f32_u32 s0, s36
	s_cvt_f32_u32 s35, s37
	s_sub_nc_u64 s[46:47], 0, s[36:37]
	v_add_nc_u64_e32 v[14:15], v[10:11], v[12:13]
	v_mov_b32_e32 v21, v6
	s_fmamk_f32 s0, s35, 0x4f800000, s0
	s_delay_alu instid0(SALU_CYCLE_3) | instskip(NEXT) | instid1(VALU_DEP_2)
	v_s_rcp_f32 s0, s0
	v_xor_b32_e32 v16, v14, v12
	s_delay_alu instid0(VALU_DEP_3) | instskip(NEXT) | instid1(TRANS32_DEP_1)
	v_dual_mov_b32 v25, v6 :: v_dual_bitop2_b32 v20, v15, v12 bitop3:0x14
	s_mul_f32 s0, s0, 0x5f7ffffc
	s_delay_alu instid0(SALU_CYCLE_3) | instskip(NEXT) | instid1(SALU_CYCLE_3)
	s_mul_f32 s35, s0, 0x2f800000
	s_trunc_f32 s35, s35
	s_delay_alu instid0(SALU_CYCLE_3) | instskip(SKIP_1) | instid1(SALU_CYCLE_2)
	s_fmamk_f32 s0, s35, 0xcf800000, s0
	s_cvt_u32_f32 s43, s35
	s_cvt_u32_f32 s42, s0
	s_delay_alu instid0(SALU_CYCLE_3) | instskip(NEXT) | instid1(SALU_CYCLE_1)
	s_mul_u64 s[48:49], s[46:47], s[42:43]
	s_mul_hi_u32 s51, s42, s49
	s_mul_i32 s50, s42, s49
	s_mul_hi_u32 s0, s42, s48
	s_mul_i32 s41, s43, s48
	s_add_nc_u64 s[50:51], s[0:1], s[50:51]
	s_mul_hi_u32 s35, s43, s48
	s_mul_hi_u32 s45, s43, s49
	s_add_co_u32 s0, s50, s41
	s_add_co_ci_u32 s0, s51, s35
	s_mul_i32 s48, s43, s49
	s_add_co_ci_u32 s49, s45, 0
	s_delay_alu instid0(SALU_CYCLE_1) | instskip(NEXT) | instid1(SALU_CYCLE_1)
	s_add_nc_u64 s[48:49], s[0:1], s[48:49]
	s_add_co_u32 s42, s42, s48
	s_cselect_b32 s0, -1, 0
	s_delay_alu instid0(SALU_CYCLE_1) | instskip(SKIP_1) | instid1(SALU_CYCLE_1)
	s_cmp_lg_u32 s0, 0
	s_add_co_ci_u32 s43, s43, s49
	s_mul_u64 s[46:47], s[46:47], s[42:43]
	s_delay_alu instid0(SALU_CYCLE_1)
	s_mul_hi_u32 s49, s42, s47
	s_mul_i32 s48, s42, s47
	s_mul_hi_u32 s0, s42, s46
	s_mul_i32 s41, s43, s46
	s_add_nc_u64 s[48:49], s[0:1], s[48:49]
	s_mul_hi_u32 s35, s43, s46
	s_mul_hi_u32 s45, s43, s47
	s_add_co_u32 s0, s48, s41
	s_add_co_ci_u32 s0, s49, s35
	s_mul_i32 s46, s43, s47
	s_add_co_ci_u32 s47, s45, 0
	s_delay_alu instid0(SALU_CYCLE_1) | instskip(NEXT) | instid1(SALU_CYCLE_1)
	s_add_nc_u64 s[46:47], s[0:1], s[46:47]
	s_add_co_u32 s42, s42, s46
	s_cselect_b32 s0, -1, 0
	v_mul_hi_u32 v24, v16, s42
	s_cmp_lg_u32 s0, 0
	s_add_co_ci_u32 s0, s43, s47
	s_and_b64 s[46:47], s[42:43], s[16:17]
	v_mul_u64_e32 v[18:19], s[0:1], v[16:17]
	v_mul_u64_e32 v[14:15], s[46:47], v[20:21]
	;; [unrolled: 1-line block ×3, first 2 shown]
	s_delay_alu instid0(VALU_DEP_3) | instskip(NEXT) | instid1(VALU_DEP_1)
	v_add_nc_u64_e32 v[18:19], v[24:25], v[18:19]
	v_add_co_u32 v1, vcc_lo, v18, v14
	s_delay_alu instid0(VALU_DEP_2) | instskip(NEXT) | instid1(VALU_DEP_4)
	v_add_co_ci_u32_e32 v24, vcc_lo, v19, v15, vcc_lo
	v_add_co_ci_u32_e32 v23, vcc_lo, 0, v23, vcc_lo
	s_delay_alu instid0(VALU_DEP_1) | instskip(NEXT) | instid1(VALU_DEP_1)
	v_add_nc_u64_e32 v[14:15], v[24:25], v[22:23]
	v_mul_u64_e32 v[18:19], s[36:37], v[14:15]
	s_delay_alu instid0(VALU_DEP_1) | instskip(NEXT) | instid1(VALU_DEP_2)
	v_sub_nc_u32_e32 v1, v20, v19
	v_sub_co_u32 v4, vcc_lo, v16, v18
	s_delay_alu instid0(VALU_DEP_1) | instskip(NEXT) | instid1(VALU_DEP_3)
	v_sub_co_ci_u32_e64 v8, null, v20, v19, vcc_lo
	v_subrev_co_ci_u32_e64 v1, null, s37, v1, vcc_lo
	s_delay_alu instid0(VALU_DEP_3) | instskip(SKIP_1) | instid1(VALU_DEP_3)
	v_sub_co_u32 v7, s0, v4, s36
	v_add_nc_u64_e32 v[16:17], 2, v[14:15]
	v_subrev_co_ci_u32_e64 v1, null, 0, v1, s0
	s_delay_alu instid0(VALU_DEP_3) | instskip(SKIP_2) | instid1(VALU_DEP_4)
	v_cmp_le_u32_e32 vcc_lo, s36, v7
	v_add_nc_u64_e32 v[18:19], 1, v[14:15]
	v_cndmask_b32_e64 v7, 0, -1, vcc_lo
	v_cmp_le_u32_e32 vcc_lo, s37, v1
	v_cndmask_b32_e64 v13, 0, -1, vcc_lo
	v_cmp_le_u32_e32 vcc_lo, s36, v4
	;; [unrolled: 2-line block ×3, first 2 shown]
	v_cndmask_b32_e64 v20, 0, -1, vcc_lo
	v_cmp_eq_u32_e32 vcc_lo, s37, v1
	v_cndmask_b32_e32 v1, v13, v7, vcc_lo
	v_cmp_eq_u32_e32 vcc_lo, s37, v8
	s_delay_alu instid0(VALU_DEP_4) | instskip(NEXT) | instid1(VALU_DEP_3)
	v_cndmask_b32_e32 v4, v20, v4, vcc_lo
	v_cmp_ne_u32_e32 vcc_lo, 0, v1
	s_delay_alu instid0(VALU_DEP_2) | instskip(SKIP_1) | instid1(VALU_DEP_1)
	v_cmp_ne_u32_e64 s0, 0, v4
	v_dual_cndmask_b32 v1, v19, v17 :: v_dual_cndmask_b32 v4, v18, v16
	v_dual_cndmask_b32 v1, v15, v1, s0 :: v_dual_bitop2_b32 v12, s34, v12 bitop3:0x14
	s_delay_alu instid0(VALU_DEP_1) | instskip(NEXT) | instid1(VALU_DEP_2)
	v_dual_cndmask_b32 v4, v14, v4, s0 :: v_dual_mov_b32 v13, v12
	v_xor_b32_e32 v15, v1, v12
	s_delay_alu instid0(VALU_DEP_2) | instskip(NEXT) | instid1(VALU_DEP_1)
	v_xor_b32_e32 v14, v4, v12
	v_sub_nc_u64_e32 v[12:13], v[14:15], v[12:13]
.LBB82_102:                             ;   in Loop: Header=BB82_100 Depth=1
	s_and_not1_saveexec_b32 s0, s40
	s_cbranch_execz .LBB82_99
; %bb.103:                              ;   in Loop: Header=BB82_100 Depth=1
	v_cvt_f32_u32_e32 v1, s30
	s_sub_co_i32 s34, 0, s30
	v_mov_b32_e32 v13, v6
	s_delay_alu instid0(VALU_DEP_2) | instskip(SKIP_1) | instid1(TRANS32_DEP_1)
	v_rcp_iflag_f32_e32 v1, v1
	v_nop
	v_mul_f32_e32 v1, 0x4f7ffffe, v1
	s_delay_alu instid0(VALU_DEP_1) | instskip(NEXT) | instid1(VALU_DEP_1)
	v_cvt_u32_f32_e32 v1, v1
	v_mul_lo_u32 v4, s34, v1
	s_delay_alu instid0(VALU_DEP_1) | instskip(NEXT) | instid1(VALU_DEP_1)
	v_mul_hi_u32 v4, v1, v4
	v_add_nc_u32_e32 v1, v1, v4
	s_delay_alu instid0(VALU_DEP_1) | instskip(NEXT) | instid1(VALU_DEP_1)
	v_mul_hi_u32 v1, v10, v1
	v_mul_lo_u32 v4, v1, s30
	s_delay_alu instid0(VALU_DEP_1) | instskip(NEXT) | instid1(VALU_DEP_1)
	v_sub_nc_u32_e32 v4, v10, v4
	v_subrev_nc_u32_e32 v8, s30, v4
	v_cmp_le_u32_e32 vcc_lo, s30, v4
	s_delay_alu instid0(VALU_DEP_2) | instskip(NEXT) | instid1(VALU_DEP_1)
	v_dual_cndmask_b32 v4, v4, v8 :: v_dual_add_nc_u32 v7, 1, v1
	v_cndmask_b32_e32 v1, v1, v7, vcc_lo
	s_delay_alu instid0(VALU_DEP_2) | instskip(NEXT) | instid1(VALU_DEP_2)
	v_cmp_le_u32_e32 vcc_lo, s30, v4
	v_add_nc_u32_e32 v7, 1, v1
	s_delay_alu instid0(VALU_DEP_1)
	v_cndmask_b32_e32 v12, v1, v7, vcc_lo
	s_branch .LBB82_99
.LBB82_104:
                                        ; implicit-def: $sgpr0
                                        ; implicit-def: $sgpr31
                                        ; implicit-def: $sgpr40
                                        ; implicit-def: $sgpr22
                                        ; implicit-def: $vgpr0
	s_and_saveexec_b32 s1, s3
.LBB82_105:
	; divergent unreachable
.LBB82_106:
	s_delay_alu instid0(SALU_CYCLE_1)
	s_or_b32 exec_lo, exec_lo, s1
	s_and_saveexec_b32 s1, s44
	s_cbranch_execz .LBB82_112
; %bb.107:
	s_and_b32 exec_lo, exec_lo, s0
	s_cbranch_execz .LBB82_112
; %bb.108:
	v_dual_mov_b32 v1, 0 :: v_dual_bitop2_b32 v2, s2, v0 bitop3:0x54
	global_store_b32 v2, v1, s[4:5] scale_offset
	s_wait_xcnt 0x0
	s_and_b32 exec_lo, exec_lo, s31
	s_cbranch_execz .LBB82_112
; %bb.109:
	v_add_nc_u32_e32 v0, s2, v0
	global_store_b32 v0, v1, s[4:5] offset:1024 scale_offset
	s_wait_xcnt 0x0
	s_and_b32 exec_lo, exec_lo, s40
	s_cbranch_execz .LBB82_112
; %bb.110:
	v_lshl_add_u64 v[0:1], v[0:1], 2, s[4:5]
	v_mov_b32_e32 v2, 0
	global_store_b32 v[0:1], v2, off offset:2048
	s_wait_xcnt 0x0
	s_and_b32 exec_lo, exec_lo, s22
	s_cbranch_execz .LBB82_112
; %bb.111:
	global_store_b32 v[0:1], v2, off offset:3072
.LBB82_112:
	s_endpgm
.LBB82_113:
	s_mov_b32 s1, s38
	s_mov_b32 s0, exec_lo
	v_cmpx_gt_i32_e64 v5, v9
	s_cbranch_execz .LBB82_124
; %bb.114:
	s_delay_alu instid0(VALU_DEP_2)
	v_lshlrev_b64_e32 v[2:3], 2, v[2:3]
	v_dual_mov_b32 v6, v9 :: v_dual_ashrrev_i32 v7, 31, v9
	v_dual_mov_b32 v10, v5 :: v_dual_ashrrev_i32 v11, 31, v5
	s_mov_b32 s1, 0
	s_wait_kmcnt 0x0
	s_xor_b32 s17, s27, -1
	s_delay_alu instid0(VALU_DEP_3) | instskip(SKIP_1) | instid1(VALU_DEP_2)
	v_lshl_add_u64 v[6:7], v[6:7], 2, v[2:3]
	v_add_nc_u64_e32 v[8:9], s[28:29], v[2:3]
                                        ; implicit-def: $sgpr16
                                        ; implicit-def: $sgpr19
                                        ; implicit-def: $sgpr18
	v_add_nc_u64_e32 v[6:7], s[28:29], v[6:7]
	s_delay_alu instid0(VALU_DEP_2) | instskip(NEXT) | instid1(VALU_DEP_2)
	v_lshl_add_u64 v[4:5], v[10:11], 2, v[8:9]
	v_add_nc_u64_e32 v[2:3], 4, v[6:7]
	s_branch .LBB82_116
.LBB82_115:                             ;   in Loop: Header=BB82_116 Depth=1
	s_or_b32 exec_lo, exec_lo, s26
	s_xor_b32 s26, s18, -1
	s_and_b32 s27, exec_lo, s19
	s_delay_alu instid0(SALU_CYCLE_1) | instskip(SKIP_2) | instid1(SALU_CYCLE_1)
	s_or_b32 s1, s27, s1
	s_and_not1_b32 s16, s16, exec_lo
	s_and_b32 s26, s26, exec_lo
	s_or_b32 s16, s16, s26
	s_and_not1_b32 exec_lo, exec_lo, s1
	s_cbranch_execz .LBB82_123
.LBB82_116:                             ; =>This Inner Loop Header: Depth=1
	s_or_b32 s18, s18, exec_lo
	s_or_b32 s19, s19, exec_lo
	s_mov_b32 s26, exec_lo
	s_delay_alu instid0(VALU_DEP_1)
	v_cmpx_lt_u64_e64 v[2:3], v[4:5]
	s_cbranch_execz .LBB82_115
; %bb.117:                              ;   in Loop: Header=BB82_116 Depth=1
	global_load_b64 v[6:7], v[2:3], off offset:-4
	s_wait_xcnt 0x0
	v_add_nc_u64_e32 v[2:3], 4, v[2:3]
	s_and_not1_b32 s19, s19, exec_lo
	s_and_not1_b32 s18, s18, exec_lo
	s_wait_loadcnt 0x0
	v_cmp_ge_i32_e32 vcc_lo, v6, v7
	s_or_b32 s27, s17, vcc_lo
	s_delay_alu instid0(SALU_CYCLE_1) | instskip(NEXT) | instid1(SALU_CYCLE_1)
	s_and_b32 s27, s27, exec_lo
	s_or_b32 s19, s19, s27
	s_branch .LBB82_115
.LBB82_118:
	s_mov_b32 s15, -1
	s_mov_b32 s13, 0
	s_mov_b32 s1, exec_lo
	v_cmpx_gt_i32_e64 v20, v22
	s_cbranch_execz .LBB82_127
; %bb.119:
	s_wait_loadcnt 0x0
	s_delay_alu instid0(VALU_DEP_2) | instskip(SKIP_2) | instid1(VALU_DEP_1)
	v_lshlrev_b64_e32 v[24:25], 2, v[26:27]
	v_dual_ashrrev_i32 v23, 31, v22 :: v_dual_ashrrev_i32 v21, 31, v20
	s_xor_b32 s15, s29, -1
                                        ; implicit-def: $sgpr14
                                        ; implicit-def: $sgpr17
                                        ; implicit-def: $sgpr16
	v_lshl_add_u64 v[22:23], v[22:23], 2, v[24:25]
	v_add_nc_u64_e32 v[24:25], s[6:7], v[24:25]
	s_delay_alu instid0(VALU_DEP_2) | instskip(NEXT) | instid1(VALU_DEP_2)
	v_add_nc_u64_e32 v[22:23], s[6:7], v[22:23]
	v_lshl_add_u64 v[20:21], v[20:21], 2, v[24:25]
	s_delay_alu instid0(VALU_DEP_2)
	v_add_nc_u64_e32 v[22:23], 4, v[22:23]
	s_branch .LBB82_121
.LBB82_120:                             ;   in Loop: Header=BB82_121 Depth=1
	s_or_b32 exec_lo, exec_lo, s18
	s_delay_alu instid0(SALU_CYCLE_1) | instskip(NEXT) | instid1(SALU_CYCLE_1)
	s_and_b32 s18, exec_lo, s17
	s_or_b32 s13, s18, s13
	s_and_not1_b32 s14, s14, exec_lo
	s_and_b32 s18, s16, exec_lo
	s_delay_alu instid0(SALU_CYCLE_1)
	s_or_b32 s14, s14, s18
	s_and_not1_b32 exec_lo, exec_lo, s13
	s_cbranch_execz .LBB82_126
.LBB82_121:                             ; =>This Inner Loop Header: Depth=1
	s_or_b32 s16, s16, exec_lo
	s_or_b32 s17, s17, exec_lo
	s_mov_b32 s18, exec_lo
	s_delay_alu instid0(VALU_DEP_1)
	v_cmpx_lt_u64_e64 v[22:23], v[20:21]
	s_cbranch_execz .LBB82_120
; %bb.122:                              ;   in Loop: Header=BB82_121 Depth=1
	global_load_b64 v[24:25], v[22:23], off offset:-4
	s_wait_xcnt 0x0
	v_add_nc_u64_e32 v[22:23], 4, v[22:23]
	s_and_not1_b32 s17, s17, exec_lo
	s_and_not1_b32 s16, s16, exec_lo
	s_wait_loadcnt 0x0
	v_cmp_ge_i32_e32 vcc_lo, v24, v25
	s_or_b32 s19, s15, vcc_lo
	s_delay_alu instid0(SALU_CYCLE_1) | instskip(NEXT) | instid1(SALU_CYCLE_1)
	s_and_b32 s19, s19, exec_lo
	s_or_b32 s17, s17, s19
	s_branch .LBB82_120
.LBB82_123:
	s_or_b32 exec_lo, exec_lo, s1
	s_delay_alu instid0(SALU_CYCLE_1) | instskip(SKIP_1) | instid1(SALU_CYCLE_1)
	s_and_not1_b32 s1, s38, exec_lo
	s_and_b32 s16, s16, exec_lo
	s_or_b32 s1, s1, s16
.LBB82_124:
	s_or_b32 exec_lo, exec_lo, s0
	s_delay_alu instid0(SALU_CYCLE_1)
	s_and_not1_b32 s16, s38, exec_lo
	s_and_b32 s1, s1, exec_lo
	s_mov_b32 s0, exec_lo
	s_or_b32 s38, s16, s1
	s_or_b32 exec_lo, exec_lo, s39
	s_and_saveexec_b32 s1, s38
	s_cbranch_execz .LBB82_72
.LBB82_125:
	s_or_b32 s3, s3, exec_lo
	s_and_not1_b32 s0, s0, exec_lo
	s_trap 2
	s_or_b32 exec_lo, exec_lo, s1
	s_and_saveexec_b32 s1, s0
	s_delay_alu instid0(SALU_CYCLE_1)
	s_xor_b32 s0, exec_lo, s1
	s_cbranch_execnz .LBB82_73
	s_branch .LBB82_74
.LBB82_126:
	s_or_b32 exec_lo, exec_lo, s13
	s_delay_alu instid0(SALU_CYCLE_1)
	s_mov_b32 s13, exec_lo
	s_or_not1_b32 s15, s14, exec_lo
.LBB82_127:
	s_or_b32 exec_lo, exec_lo, s1
	s_delay_alu instid0(SALU_CYCLE_1)
	s_and_b32 s14, s13, exec_lo
	s_xor_b32 s13, exec_lo, -1
	s_and_b32 s1, s15, exec_lo
.LBB82_128:
	s_or_b32 exec_lo, exec_lo, s39
	s_delay_alu instid0(SALU_CYCLE_1)
	s_and_b32 s15, s14, exec_lo
	s_and_b32 s14, s13, exec_lo
	s_xor_b32 s13, exec_lo, -1
	s_and_b32 s1, s1, exec_lo
.LBB82_129:
	s_or_b32 exec_lo, exec_lo, s38
	s_delay_alu instid0(SALU_CYCLE_1)
	s_and_b32 s16, s15, exec_lo
	s_and_b32 s15, s14, exec_lo
	;; [unrolled: 1-line block ×3, first 2 shown]
	s_xor_b32 s13, exec_lo, -1
	s_and_b32 s1, s1, exec_lo
.LBB82_130:
	s_or_b32 exec_lo, exec_lo, s35
	s_delay_alu instid0(SALU_CYCLE_1)
	s_and_b32 s35, s16, exec_lo
	s_and_b32 s38, s15, exec_lo
	;; [unrolled: 1-line block ×4, first 2 shown]
	s_or_not1_b32 s1, s1, exec_lo
.LBB82_131:
	s_or_b32 exec_lo, exec_lo, s31
	s_mov_b32 s44, 0
                                        ; implicit-def: $sgpr31
                                        ; implicit-def: $sgpr40
                                        ; implicit-def: $sgpr22
	s_and_saveexec_b32 s42, s1
	s_cbranch_execz .LBB82_143
; %bb.132:
	v_cmp_gt_i32_e64 s31, s33, v17
	s_mov_b32 s1, -1
	s_mov_b32 s48, 0
	s_mov_b32 s43, s41
	;; [unrolled: 1-line block ×4, first 2 shown]
	s_and_saveexec_b32 s40, s31
	s_cbranch_execz .LBB82_179
; %bb.133:
	s_wait_loadcnt 0x4
	v_cmp_eq_u32_e32 vcc_lo, s36, v15
	s_mov_b32 s13, -1
	s_mov_b32 s1, 0
	s_mov_b32 s15, s39
	;; [unrolled: 1-line block ×3, first 2 shown]
	s_and_b32 s17, s37, vcc_lo
	s_mov_b32 s14, 0
	s_and_saveexec_b32 s43, s17
	s_cbranch_execz .LBB82_178
; %bb.134:
	s_wait_loadcnt 0x3
	v_cmp_eq_u32_e32 vcc_lo, s10, v19
	s_mov_b32 s15, s38
	s_and_b32 s16, s34, vcc_lo
	s_delay_alu instid0(SALU_CYCLE_1)
	s_and_saveexec_b32 s44, s16
	s_cbranch_execz .LBB82_177
; %bb.135:
	s_wait_loadcnt 0x1
	v_sub_nc_u32_e32 v5, v14, v16
	s_delay_alu instid0(VALU_DEP_1)
	v_cmp_le_i32_e32 vcc_lo, v15, v5
	v_cmp_ge_i32_e64 s1, s8, v5
	s_and_b32 s14, vcc_lo, s1
	s_mov_b32 s1, 0
	s_and_b32 s15, s30, s14
	s_mov_b32 s14, 0
	s_and_saveexec_b32 s45, s15
	s_cbranch_execz .LBB82_176
; %bb.136:
	v_mov_b64_e32 v[20:21], 0
	s_and_not1_b32 vcc_lo, exec_lo, s9
	s_cbranch_vccnz .LBB82_169
; %bb.137:
	s_wait_loadcnt 0x0
	v_ashrrev_i32_e32 v19, 31, v18
	s_ashr_i32 s13, s12, 31
	v_mov_b64_e32 v[20:21], 0
	s_lshl_b64 s[16:17], s[12:13], 3
	s_mov_b64 s[14:15], 0xffffffff
	v_mul_u64_e32 v[22:23], s[10:11], v[18:19]
	v_mov_b32_e32 v18, 0
	s_add_nc_u64 s[16:17], s[20:21], s[16:17]
	s_mov_b32 s19, 0
	s_add_nc_u64 s[16:17], s[16:17], 32
	s_mov_b32 s13, s28
	s_branch .LBB82_139
.LBB82_138:                             ;   in Loop: Header=BB82_139 Depth=1
	s_or_b32 exec_lo, exec_lo, s1
	s_delay_alu instid0(VALU_DEP_1)
	v_mul_u64_e32 v[26:27], s[22:23], v[24:25]
	s_load_b64 s[22:23], s[16:17], 0x40
	s_add_co_i32 s13, s13, -1
	s_wait_xcnt 0x0
	s_add_nc_u64 s[16:17], s[16:17], -8
	s_cmp_lg_u32 s13, 0
	s_delay_alu instid0(VALU_DEP_1) | instskip(SKIP_1) | instid1(VALU_DEP_1)
	v_sub_nc_u64_e32 v[22:23], v[22:23], v[26:27]
	s_wait_kmcnt 0x0
	v_mad_nc_u64_u32 v[20:21], v22, s22, v[20:21]
	s_delay_alu instid0(VALU_DEP_1) | instskip(NEXT) | instid1(VALU_DEP_1)
	v_mad_u32 v5, v23, s22, v21
	v_mad_u32 v21, v22, s23, v5
	v_mov_b64_e32 v[22:23], v[24:25]
	s_cbranch_scc0 .LBB82_169
.LBB82_139:                             ; =>This Inner Loop Header: Depth=1
	s_load_b64 s[22:23], s[16:17], 0x0
                                        ; implicit-def: $vgpr24_vgpr25
	s_mov_b32 s1, exec_lo
	s_wait_kmcnt 0x0
	s_delay_alu instid0(VALU_DEP_1) | instskip(NEXT) | instid1(VALU_DEP_1)
	v_or_b32_e32 v19, s23, v23
	v_cmpx_ne_u64_e32 0, v[18:19]
	s_xor_b32 s46, exec_lo, s1
	s_cbranch_execz .LBB82_141
; %bb.140:                              ;   in Loop: Header=BB82_139 Depth=1
	s_ashr_i32 s24, s23, 31
	v_dual_mov_b32 v29, v18 :: v_dual_ashrrev_i32 v24, 31, v23
	s_mov_b32 s25, s24
	s_delay_alu instid0(SALU_CYCLE_1) | instskip(NEXT) | instid1(VALU_DEP_1)
	s_add_nc_u64 s[26:27], s[22:23], s[24:25]
	v_mov_b32_e32 v25, v24
	s_xor_b64 s[26:27], s[26:27], s[24:25]
	s_delay_alu instid0(SALU_CYCLE_1)
	s_cvt_f32_u32 s1, s26
	s_cvt_f32_u32 s18, s27
	s_sub_nc_u64 s[52:53], 0, s[26:27]
	v_add_nc_u64_e32 v[26:27], v[22:23], v[24:25]
	v_mov_b32_e32 v33, v18
	s_fmamk_f32 s1, s18, 0x4f800000, s1
	s_delay_alu instid0(SALU_CYCLE_3) | instskip(NEXT) | instid1(VALU_DEP_2)
	v_s_rcp_f32 s1, s1
	v_xor_b32_e32 v28, v26, v24
	s_delay_alu instid0(VALU_DEP_3) | instskip(NEXT) | instid1(TRANS32_DEP_1)
	v_dual_mov_b32 v37, v18 :: v_dual_bitop2_b32 v32, v27, v24 bitop3:0x14
	s_mul_f32 s1, s1, 0x5f7ffffc
	s_delay_alu instid0(SALU_CYCLE_3) | instskip(NEXT) | instid1(SALU_CYCLE_3)
	s_mul_f32 s18, s1, 0x2f800000
	s_trunc_f32 s18, s18
	s_delay_alu instid0(SALU_CYCLE_3) | instskip(SKIP_1) | instid1(SALU_CYCLE_2)
	s_fmamk_f32 s1, s18, 0xcf800000, s1
	s_cvt_u32_f32 s51, s18
	s_cvt_u32_f32 s50, s1
	s_delay_alu instid0(SALU_CYCLE_3) | instskip(NEXT) | instid1(SALU_CYCLE_1)
	s_mul_u64 s[54:55], s[52:53], s[50:51]
	s_mul_hi_u32 s57, s50, s55
	s_mul_i32 s56, s50, s55
	s_mul_hi_u32 s18, s50, s54
	s_mul_i32 s25, s51, s54
	s_add_nc_u64 s[56:57], s[18:19], s[56:57]
	s_mul_hi_u32 s1, s51, s54
	s_mul_hi_u32 s47, s51, s55
	s_add_co_u32 s18, s56, s25
	s_add_co_ci_u32 s18, s57, s1
	s_mul_i32 s54, s51, s55
	s_add_co_ci_u32 s55, s47, 0
	s_delay_alu instid0(SALU_CYCLE_1) | instskip(NEXT) | instid1(SALU_CYCLE_1)
	s_add_nc_u64 s[54:55], s[18:19], s[54:55]
	s_add_co_u32 s50, s50, s54
	s_cselect_b32 s1, -1, 0
	s_delay_alu instid0(SALU_CYCLE_1) | instskip(SKIP_1) | instid1(SALU_CYCLE_1)
	s_cmp_lg_u32 s1, 0
	s_add_co_ci_u32 s51, s51, s55
	s_mul_u64 s[52:53], s[52:53], s[50:51]
	s_delay_alu instid0(SALU_CYCLE_1)
	s_mul_hi_u32 s55, s50, s53
	s_mul_i32 s54, s50, s53
	s_mul_hi_u32 s18, s50, s52
	s_mul_i32 s25, s51, s52
	s_add_nc_u64 s[54:55], s[18:19], s[54:55]
	s_mul_hi_u32 s1, s51, s52
	s_mul_hi_u32 s47, s51, s53
	s_add_co_u32 s18, s54, s25
	s_add_co_ci_u32 s18, s55, s1
	s_mul_i32 s52, s51, s53
	s_add_co_ci_u32 s53, s47, 0
	s_delay_alu instid0(SALU_CYCLE_1) | instskip(NEXT) | instid1(SALU_CYCLE_1)
	s_add_nc_u64 s[52:53], s[18:19], s[52:53]
	s_add_co_u32 s50, s50, s52
	s_cselect_b32 s1, -1, 0
	v_mul_hi_u32 v36, v28, s50
	s_cmp_lg_u32 s1, 0
	s_add_co_ci_u32 s18, s51, s53
	s_and_b64 s[52:53], s[50:51], s[14:15]
	v_mul_u64_e32 v[30:31], s[18:19], v[28:29]
	v_mul_u64_e32 v[26:27], s[52:53], v[32:33]
	;; [unrolled: 1-line block ×3, first 2 shown]
	s_delay_alu instid0(VALU_DEP_3) | instskip(NEXT) | instid1(VALU_DEP_1)
	v_add_nc_u64_e32 v[30:31], v[36:37], v[30:31]
	v_add_co_u32 v5, vcc_lo, v30, v26
	s_delay_alu instid0(VALU_DEP_2) | instskip(NEXT) | instid1(VALU_DEP_4)
	v_add_co_ci_u32_e32 v36, vcc_lo, v31, v27, vcc_lo
	v_add_co_ci_u32_e32 v35, vcc_lo, 0, v35, vcc_lo
	s_delay_alu instid0(VALU_DEP_1) | instskip(NEXT) | instid1(VALU_DEP_1)
	v_add_nc_u64_e32 v[26:27], v[36:37], v[34:35]
	v_mul_u64_e32 v[30:31], s[26:27], v[26:27]
	s_delay_alu instid0(VALU_DEP_1) | instskip(NEXT) | instid1(VALU_DEP_2)
	v_sub_nc_u32_e32 v5, v32, v31
	v_sub_co_u32 v12, vcc_lo, v28, v30
	s_delay_alu instid0(VALU_DEP_1) | instskip(NEXT) | instid1(VALU_DEP_3)
	v_sub_co_ci_u32_e64 v17, null, v32, v31, vcc_lo
	v_subrev_co_ci_u32_e64 v5, null, s27, v5, vcc_lo
	s_delay_alu instid0(VALU_DEP_3) | instskip(SKIP_1) | instid1(VALU_DEP_3)
	v_sub_co_u32 v15, s1, v12, s26
	v_add_nc_u64_e32 v[28:29], 2, v[26:27]
	v_subrev_co_ci_u32_e64 v5, null, 0, v5, s1
	s_delay_alu instid0(VALU_DEP_3) | instskip(SKIP_2) | instid1(VALU_DEP_4)
	v_cmp_le_u32_e32 vcc_lo, s26, v15
	v_add_nc_u64_e32 v[30:31], 1, v[26:27]
	v_cndmask_b32_e64 v15, 0, -1, vcc_lo
	v_cmp_le_u32_e32 vcc_lo, s27, v5
	v_cndmask_b32_e64 v19, 0, -1, vcc_lo
	v_cmp_le_u32_e32 vcc_lo, s26, v12
	;; [unrolled: 2-line block ×3, first 2 shown]
	v_cndmask_b32_e64 v25, 0, -1, vcc_lo
	v_cmp_eq_u32_e32 vcc_lo, s27, v5
	v_cndmask_b32_e32 v5, v19, v15, vcc_lo
	v_cmp_eq_u32_e32 vcc_lo, s27, v17
	s_delay_alu instid0(VALU_DEP_4) | instskip(NEXT) | instid1(VALU_DEP_3)
	v_cndmask_b32_e32 v12, v25, v12, vcc_lo
	v_cmp_ne_u32_e32 vcc_lo, 0, v5
	s_delay_alu instid0(VALU_DEP_2) | instskip(SKIP_1) | instid1(VALU_DEP_1)
	v_cmp_ne_u32_e64 s1, 0, v12
	v_dual_cndmask_b32 v5, v31, v29 :: v_dual_cndmask_b32 v12, v30, v28
	v_dual_cndmask_b32 v5, v27, v5, s1 :: v_dual_bitop2_b32 v24, s24, v24 bitop3:0x14
	s_delay_alu instid0(VALU_DEP_1) | instskip(NEXT) | instid1(VALU_DEP_2)
	v_dual_cndmask_b32 v12, v26, v12, s1 :: v_dual_mov_b32 v25, v24
	v_xor_b32_e32 v27, v5, v24
	s_delay_alu instid0(VALU_DEP_2) | instskip(NEXT) | instid1(VALU_DEP_1)
	v_xor_b32_e32 v26, v12, v24
	v_sub_nc_u64_e32 v[24:25], v[26:27], v[24:25]
.LBB82_141:                             ;   in Loop: Header=BB82_139 Depth=1
	s_and_not1_saveexec_b32 s1, s46
	s_cbranch_execz .LBB82_138
; %bb.142:                              ;   in Loop: Header=BB82_139 Depth=1
	v_cvt_f32_u32_e32 v5, s22
	s_sub_co_i32 s18, 0, s22
	v_mov_b32_e32 v25, v18
	s_delay_alu instid0(VALU_DEP_2) | instskip(SKIP_1) | instid1(TRANS32_DEP_1)
	v_rcp_iflag_f32_e32 v5, v5
	v_nop
	v_mul_f32_e32 v5, 0x4f7ffffe, v5
	s_delay_alu instid0(VALU_DEP_1) | instskip(NEXT) | instid1(VALU_DEP_1)
	v_cvt_u32_f32_e32 v5, v5
	v_mul_lo_u32 v12, s18, v5
	s_delay_alu instid0(VALU_DEP_1) | instskip(NEXT) | instid1(VALU_DEP_1)
	v_mul_hi_u32 v12, v5, v12
	v_add_nc_u32_e32 v5, v5, v12
	s_delay_alu instid0(VALU_DEP_1) | instskip(NEXT) | instid1(VALU_DEP_1)
	v_mul_hi_u32 v5, v22, v5
	v_mul_lo_u32 v12, v5, s22
	s_delay_alu instid0(VALU_DEP_1) | instskip(NEXT) | instid1(VALU_DEP_1)
	v_dual_add_nc_u32 v15, 1, v5 :: v_dual_sub_nc_u32 v12, v22, v12
	v_subrev_nc_u32_e32 v17, s22, v12
	v_cmp_le_u32_e32 vcc_lo, s22, v12
	s_delay_alu instid0(VALU_DEP_2) | instskip(NEXT) | instid1(VALU_DEP_1)
	v_dual_cndmask_b32 v12, v12, v17 :: v_dual_cndmask_b32 v5, v5, v15
	v_cmp_le_u32_e32 vcc_lo, s22, v12
	s_delay_alu instid0(VALU_DEP_2) | instskip(NEXT) | instid1(VALU_DEP_1)
	v_add_nc_u32_e32 v15, 1, v5
	v_cndmask_b32_e32 v24, v5, v15, vcc_lo
	s_branch .LBB82_138
.LBB82_143:
	s_or_b32 exec_lo, exec_lo, s42
	s_and_saveexec_b32 s1, s41
	s_cbranch_execnz .LBB82_207
.LBB82_144:
	s_or_b32 exec_lo, exec_lo, s1
	s_mov_b32 s1, 0
	s_and_saveexec_b32 s13, s43
	s_delay_alu instid0(SALU_CYCLE_1)
	s_xor_b32 s13, exec_lo, s13
; %bb.145:
	v_cmp_ne_u32_e32 vcc_lo, s10, v3
	s_xor_b32 s14, s34, -1
	s_and_not1_b32 s15, s39, exec_lo
	s_mov_b32 s1, exec_lo
	s_or_b32 s14, s14, vcc_lo
	s_delay_alu instid0(SALU_CYCLE_1) | instskip(NEXT) | instid1(SALU_CYCLE_1)
	s_and_b32 s14, s14, exec_lo
	s_or_b32 s39, s15, s14
; %bb.146:
	s_or_b32 exec_lo, exec_lo, s13
	s_and_saveexec_b32 s13, s39
	s_cbranch_execnz .LBB82_210
.LBB82_147:
	s_or_b32 exec_lo, exec_lo, s13
	s_mov_b32 s13, 0
	s_and_saveexec_b32 s14, s1
	s_delay_alu instid0(SALU_CYCLE_1)
	s_xor_b32 s14, exec_lo, s14
	s_cbranch_execz .LBB82_152
; %bb.148:
	v_sub_nc_u32_e32 v3, v4, v2
	s_mov_b32 s13, exec_lo
	s_delay_alu instid0(VALU_DEP_1) | instskip(SKIP_3) | instid1(SALU_CYCLE_1)
	v_cmp_le_i32_e32 vcc_lo, v1, v3
	v_cmp_ge_i32_e64 s1, s8, v3
	s_and_not1_b32 s8, s38, exec_lo
	s_and_b32 s1, vcc_lo, s1
	s_and_b32 s1, s30, s1
	s_delay_alu instid0(SALU_CYCLE_1) | instskip(NEXT) | instid1(SALU_CYCLE_1)
	s_xor_b32 s1, s1, -1
	s_and_b32 s1, s1, exec_lo
	s_delay_alu instid0(SALU_CYCLE_1)
	s_or_b32 s38, s8, s1
	s_or_b32 exec_lo, exec_lo, s14
	s_and_saveexec_b32 s1, s38
	s_cbranch_execz .LBB82_153
.LBB82_149:
	s_or_b32 s3, s3, exec_lo
	s_and_not1_b32 s13, s13, exec_lo
	s_trap 2
	s_or_b32 exec_lo, exec_lo, s1
	s_and_saveexec_b32 s23, s13
	s_cbranch_execnz .LBB82_154
.LBB82_150:
	s_or_b32 exec_lo, exec_lo, s23
	s_and_saveexec_b32 s1, s35
	s_cbranch_execnz .LBB82_168
.LBB82_151:
	s_or_b32 exec_lo, exec_lo, s1
	s_and_saveexec_b32 s1, s3
	s_cbranch_execnz .LBB82_105
	s_branch .LBB82_106
.LBB82_152:
	s_or_b32 exec_lo, exec_lo, s14
	s_and_saveexec_b32 s1, s38
	s_cbranch_execnz .LBB82_149
.LBB82_153:
	s_or_b32 exec_lo, exec_lo, s1
	s_and_saveexec_b32 s23, s13
	s_cbranch_execz .LBB82_150
.LBB82_154:
	v_mov_b64_e32 v[8:9], 0
	s_and_not1_b32 vcc_lo, exec_lo, s9
	s_cbranch_vccnz .LBB82_161
; %bb.155:
	v_mul_u64_e32 v[10:11], s[10:11], v[6:7]
	s_ashr_i32 s13, s12, 31
	v_mov_b64_e32 v[8:9], 0
	s_lshl_b64 s[10:11], s[12:13], 3
	v_mov_b32_e32 v6, 0
	s_add_nc_u64 s[10:11], s[20:21], s[10:11]
	s_mov_b64 s[8:9], 0xffffffff
	s_add_nc_u64 s[10:11], s[10:11], 32
	s_mov_b32 s13, 0
	s_branch .LBB82_157
.LBB82_156:                             ;   in Loop: Header=BB82_157 Depth=1
	s_or_b32 exec_lo, exec_lo, s1
	s_wait_loadcnt 0x1
	s_delay_alu instid0(VALU_DEP_1)
	v_mul_u64_e32 v[14:15], s[14:15], v[12:13]
	s_load_b64 s[14:15], s[10:11], 0x40
	s_add_co_i32 s28, s28, -1
	s_wait_xcnt 0x0
	s_add_nc_u64 s[10:11], s[10:11], -8
	s_cmp_lg_u32 s28, 0
	s_delay_alu instid0(VALU_DEP_1) | instskip(SKIP_1) | instid1(VALU_DEP_1)
	v_sub_nc_u64_e32 v[10:11], v[10:11], v[14:15]
	s_wait_kmcnt 0x0
	v_mad_nc_u64_u32 v[8:9], v10, s14, v[8:9]
	s_delay_alu instid0(VALU_DEP_1) | instskip(NEXT) | instid1(VALU_DEP_1)
	v_mad_u32 v1, v11, s14, v9
	v_mad_u32 v9, v10, s15, v1
	v_mov_b64_e32 v[10:11], v[12:13]
	s_cbranch_scc0 .LBB82_161
.LBB82_157:                             ; =>This Inner Loop Header: Depth=1
	s_load_b64 s[14:15], s[10:11], 0x0
                                        ; implicit-def: $vgpr12_vgpr13
	s_mov_b32 s1, exec_lo
	s_wait_kmcnt 0x0
	s_delay_alu instid0(VALU_DEP_1) | instskip(NEXT) | instid1(VALU_DEP_1)
	v_or_b32_e32 v7, s15, v11
	v_cmpx_ne_u64_e32 0, v[6:7]
	s_xor_b32 s20, exec_lo, s1
	s_cbranch_execz .LBB82_159
; %bb.158:                              ;   in Loop: Header=BB82_157 Depth=1
	s_ashr_i32 s16, s15, 31
	v_dual_mov_b32 v17, v6 :: v_dual_ashrrev_i32 v12, 31, v11
	s_mov_b32 s17, s16
	s_delay_alu instid0(SALU_CYCLE_1) | instskip(NEXT) | instid1(VALU_DEP_1)
	s_add_nc_u64 s[18:19], s[14:15], s[16:17]
	v_mov_b32_e32 v13, v12
	s_xor_b64 s[18:19], s[18:19], s[16:17]
	s_delay_alu instid0(SALU_CYCLE_1)
	s_cvt_f32_u32 s1, s18
	s_cvt_f32_u32 s12, s19
	s_sub_nc_u64 s[26:27], 0, s[18:19]
	s_wait_loadcnt 0x1
	v_add_nc_u64_e32 v[14:15], v[10:11], v[12:13]
	v_mov_b32_e32 v21, v6
	s_fmamk_f32 s1, s12, 0x4f800000, s1
	s_delay_alu instid0(SALU_CYCLE_3) | instskip(NEXT) | instid1(VALU_DEP_2)
	v_s_rcp_f32 s1, s1
	v_xor_b32_e32 v16, v14, v12
	s_delay_alu instid0(VALU_DEP_3) | instskip(NEXT) | instid1(TRANS32_DEP_1)
	v_dual_mov_b32 v25, v6 :: v_dual_bitop2_b32 v20, v15, v12 bitop3:0x14
	s_mul_f32 s1, s1, 0x5f7ffffc
	s_delay_alu instid0(SALU_CYCLE_3) | instskip(NEXT) | instid1(SALU_CYCLE_3)
	s_mul_f32 s12, s1, 0x2f800000
	s_trunc_f32 s12, s12
	s_delay_alu instid0(SALU_CYCLE_3) | instskip(SKIP_1) | instid1(SALU_CYCLE_2)
	s_fmamk_f32 s1, s12, 0xcf800000, s1
	s_cvt_u32_f32 s25, s12
	s_cvt_u32_f32 s24, s1
	s_delay_alu instid0(SALU_CYCLE_3) | instskip(NEXT) | instid1(SALU_CYCLE_1)
	s_mul_u64 s[36:37], s[26:27], s[24:25]
	s_mul_hi_u32 s39, s24, s37
	s_mul_i32 s38, s24, s37
	s_mul_hi_u32 s12, s24, s36
	s_mul_i32 s17, s25, s36
	s_add_nc_u64 s[38:39], s[12:13], s[38:39]
	s_mul_hi_u32 s1, s25, s36
	s_mul_hi_u32 s21, s25, s37
	s_add_co_u32 s12, s38, s17
	s_add_co_ci_u32 s12, s39, s1
	s_mul_i32 s36, s25, s37
	s_add_co_ci_u32 s37, s21, 0
	s_delay_alu instid0(SALU_CYCLE_1) | instskip(NEXT) | instid1(SALU_CYCLE_1)
	s_add_nc_u64 s[36:37], s[12:13], s[36:37]
	s_add_co_u32 s24, s24, s36
	s_cselect_b32 s1, -1, 0
	s_delay_alu instid0(SALU_CYCLE_1) | instskip(SKIP_1) | instid1(SALU_CYCLE_1)
	s_cmp_lg_u32 s1, 0
	s_add_co_ci_u32 s25, s25, s37
	s_mul_u64 s[26:27], s[26:27], s[24:25]
	s_delay_alu instid0(SALU_CYCLE_1)
	s_mul_hi_u32 s37, s24, s27
	s_mul_i32 s36, s24, s27
	s_mul_hi_u32 s12, s24, s26
	s_mul_i32 s17, s25, s26
	s_add_nc_u64 s[36:37], s[12:13], s[36:37]
	s_mul_hi_u32 s1, s25, s26
	s_mul_hi_u32 s21, s25, s27
	s_add_co_u32 s12, s36, s17
	s_add_co_ci_u32 s12, s37, s1
	s_mul_i32 s26, s25, s27
	s_add_co_ci_u32 s27, s21, 0
	s_delay_alu instid0(SALU_CYCLE_1) | instskip(NEXT) | instid1(SALU_CYCLE_1)
	s_add_nc_u64 s[26:27], s[12:13], s[26:27]
	s_add_co_u32 s24, s24, s26
	s_cselect_b32 s1, -1, 0
	s_wait_loadcnt 0x0
	v_mul_hi_u32 v24, v16, s24
	s_cmp_lg_u32 s1, 0
	s_add_co_ci_u32 s12, s25, s27
	s_and_b64 s[26:27], s[24:25], s[8:9]
	v_mul_u64_e32 v[18:19], s[12:13], v[16:17]
	v_mul_u64_e32 v[14:15], s[26:27], v[20:21]
	;; [unrolled: 1-line block ×3, first 2 shown]
	s_delay_alu instid0(VALU_DEP_3) | instskip(NEXT) | instid1(VALU_DEP_1)
	v_add_nc_u64_e32 v[18:19], v[24:25], v[18:19]
	v_add_co_u32 v1, vcc_lo, v18, v14
	s_delay_alu instid0(VALU_DEP_2) | instskip(NEXT) | instid1(VALU_DEP_4)
	v_add_co_ci_u32_e32 v24, vcc_lo, v19, v15, vcc_lo
	v_add_co_ci_u32_e32 v23, vcc_lo, 0, v23, vcc_lo
	s_delay_alu instid0(VALU_DEP_1) | instskip(NEXT) | instid1(VALU_DEP_1)
	v_add_nc_u64_e32 v[14:15], v[24:25], v[22:23]
	v_mul_u64_e32 v[18:19], s[18:19], v[14:15]
	s_delay_alu instid0(VALU_DEP_1) | instskip(NEXT) | instid1(VALU_DEP_2)
	v_sub_nc_u32_e32 v1, v20, v19
	v_sub_co_u32 v3, vcc_lo, v16, v18
	s_delay_alu instid0(VALU_DEP_1) | instskip(NEXT) | instid1(VALU_DEP_3)
	v_sub_co_ci_u32_e64 v7, null, v20, v19, vcc_lo
	v_subrev_co_ci_u32_e64 v1, null, s19, v1, vcc_lo
	s_delay_alu instid0(VALU_DEP_3) | instskip(SKIP_1) | instid1(VALU_DEP_3)
	v_sub_co_u32 v5, s1, v3, s18
	v_add_nc_u64_e32 v[16:17], 2, v[14:15]
	v_subrev_co_ci_u32_e64 v1, null, 0, v1, s1
	s_delay_alu instid0(VALU_DEP_3) | instskip(SKIP_2) | instid1(VALU_DEP_4)
	v_cmp_le_u32_e32 vcc_lo, s18, v5
	v_add_nc_u64_e32 v[18:19], 1, v[14:15]
	v_cndmask_b32_e64 v5, 0, -1, vcc_lo
	v_cmp_le_u32_e32 vcc_lo, s19, v1
	v_cndmask_b32_e64 v13, 0, -1, vcc_lo
	v_cmp_le_u32_e32 vcc_lo, s18, v3
	;; [unrolled: 2-line block ×3, first 2 shown]
	v_cndmask_b32_e64 v20, 0, -1, vcc_lo
	v_cmp_eq_u32_e32 vcc_lo, s19, v1
	v_cndmask_b32_e32 v1, v13, v5, vcc_lo
	v_cmp_eq_u32_e32 vcc_lo, s19, v7
	s_delay_alu instid0(VALU_DEP_4) | instskip(NEXT) | instid1(VALU_DEP_3)
	v_cndmask_b32_e32 v3, v20, v3, vcc_lo
	v_cmp_ne_u32_e32 vcc_lo, 0, v1
	s_delay_alu instid0(VALU_DEP_2) | instskip(SKIP_1) | instid1(VALU_DEP_1)
	v_cmp_ne_u32_e64 s1, 0, v3
	v_dual_cndmask_b32 v1, v19, v17, vcc_lo :: v_dual_cndmask_b32 v3, v18, v16, vcc_lo
	v_dual_cndmask_b32 v1, v15, v1, s1 :: v_dual_bitop2_b32 v12, s16, v12 bitop3:0x14
	s_delay_alu instid0(VALU_DEP_1) | instskip(NEXT) | instid1(VALU_DEP_2)
	v_dual_cndmask_b32 v3, v14, v3, s1 :: v_dual_mov_b32 v13, v12
	v_xor_b32_e32 v15, v1, v12
	s_delay_alu instid0(VALU_DEP_2) | instskip(NEXT) | instid1(VALU_DEP_1)
	v_xor_b32_e32 v14, v3, v12
	v_sub_nc_u64_e32 v[12:13], v[14:15], v[12:13]
.LBB82_159:                             ;   in Loop: Header=BB82_157 Depth=1
	s_and_not1_saveexec_b32 s1, s20
	s_cbranch_execz .LBB82_156
; %bb.160:                              ;   in Loop: Header=BB82_157 Depth=1
	v_cvt_f32_u32_e32 v1, s14
	s_sub_co_i32 s12, 0, s14
	v_mov_b32_e32 v13, v6
	s_delay_alu instid0(VALU_DEP_2) | instskip(SKIP_1) | instid1(TRANS32_DEP_1)
	v_rcp_iflag_f32_e32 v1, v1
	v_nop
	v_mul_f32_e32 v1, 0x4f7ffffe, v1
	s_delay_alu instid0(VALU_DEP_1) | instskip(NEXT) | instid1(VALU_DEP_1)
	v_cvt_u32_f32_e32 v1, v1
	v_mul_lo_u32 v3, s12, v1
	s_delay_alu instid0(VALU_DEP_1) | instskip(NEXT) | instid1(VALU_DEP_1)
	v_mul_hi_u32 v3, v1, v3
	v_add_nc_u32_e32 v1, v1, v3
	s_delay_alu instid0(VALU_DEP_1) | instskip(NEXT) | instid1(VALU_DEP_1)
	v_mul_hi_u32 v1, v10, v1
	v_mul_lo_u32 v3, v1, s14
	s_delay_alu instid0(VALU_DEP_1) | instskip(NEXT) | instid1(VALU_DEP_1)
	v_sub_nc_u32_e32 v3, v10, v3
	v_subrev_nc_u32_e32 v7, s14, v3
	v_cmp_le_u32_e32 vcc_lo, s14, v3
	s_delay_alu instid0(VALU_DEP_2) | instskip(NEXT) | instid1(VALU_DEP_1)
	v_dual_add_nc_u32 v5, 1, v1 :: v_dual_cndmask_b32 v3, v3, v7, vcc_lo
	v_cndmask_b32_e32 v1, v1, v5, vcc_lo
	s_delay_alu instid0(VALU_DEP_2) | instskip(NEXT) | instid1(VALU_DEP_2)
	v_cmp_le_u32_e32 vcc_lo, s14, v3
	v_add_nc_u32_e32 v5, 1, v1
	s_delay_alu instid0(VALU_DEP_1)
	v_cndmask_b32_e32 v12, v1, v5, vcc_lo
	s_branch .LBB82_156
.LBB82_161:
	s_mov_b32 s8, s35
	s_mov_b32 s1, exec_lo
	v_cmpx_gt_i32_e64 v4, v2
	s_cbranch_execz .LBB82_167
; %bb.162:
	s_delay_alu instid0(VALU_DEP_2) | instskip(SKIP_2) | instid1(VALU_DEP_1)
	v_lshlrev_b64_e32 v[6:7], 2, v[8:9]
	v_dual_ashrrev_i32 v3, 31, v2 :: v_dual_ashrrev_i32 v5, 31, v4
	s_xor_b32 s8, s29, -1
                                        ; implicit-def: $sgpr10
                                        ; implicit-def: $sgpr9
	v_lshl_add_u64 v[2:3], v[2:3], 2, v[6:7]
	v_add_nc_u64_e32 v[6:7], s[6:7], v[6:7]
	s_delay_alu instid0(VALU_DEP_2) | instskip(SKIP_1) | instid1(VALU_DEP_2)
	v_add_nc_u64_e32 v[2:3], s[6:7], v[2:3]
	s_mov_b32 s6, 0
                                        ; implicit-def: $sgpr7
	v_lshl_add_u64 v[4:5], v[4:5], 2, v[6:7]
	s_delay_alu instid0(VALU_DEP_2)
	v_add_nc_u64_e32 v[2:3], 4, v[2:3]
	s_branch .LBB82_164
.LBB82_163:                             ;   in Loop: Header=BB82_164 Depth=1
	s_or_b32 exec_lo, exec_lo, s11
	s_xor_b32 s11, s9, -1
	s_and_b32 s12, exec_lo, s10
	s_delay_alu instid0(SALU_CYCLE_1) | instskip(SKIP_2) | instid1(SALU_CYCLE_1)
	s_or_b32 s6, s12, s6
	s_and_not1_b32 s7, s7, exec_lo
	s_and_b32 s11, s11, exec_lo
	s_or_b32 s7, s7, s11
	s_and_not1_b32 exec_lo, exec_lo, s6
	s_cbranch_execz .LBB82_166
.LBB82_164:                             ; =>This Inner Loop Header: Depth=1
	s_or_b32 s9, s9, exec_lo
	s_or_b32 s10, s10, exec_lo
	s_mov_b32 s11, exec_lo
	s_delay_alu instid0(VALU_DEP_1)
	v_cmpx_lt_u64_e64 v[2:3], v[4:5]
	s_cbranch_execz .LBB82_163
; %bb.165:                              ;   in Loop: Header=BB82_164 Depth=1
	global_load_b64 v[6:7], v[2:3], off offset:-4
	s_wait_xcnt 0x0
	v_add_nc_u64_e32 v[2:3], 4, v[2:3]
	s_and_not1_b32 s10, s10, exec_lo
	s_and_not1_b32 s9, s9, exec_lo
	s_wait_loadcnt 0x0
	v_cmp_ge_i32_e32 vcc_lo, v6, v7
	s_or_b32 s12, s8, vcc_lo
	s_delay_alu instid0(SALU_CYCLE_1) | instskip(NEXT) | instid1(SALU_CYCLE_1)
	s_and_b32 s12, s12, exec_lo
	s_or_b32 s10, s10, s12
	s_branch .LBB82_163
.LBB82_166:
	s_or_b32 exec_lo, exec_lo, s6
	s_delay_alu instid0(SALU_CYCLE_1) | instskip(SKIP_1) | instid1(SALU_CYCLE_1)
	s_and_not1_b32 s6, s35, exec_lo
	s_and_b32 s7, s7, exec_lo
	s_or_b32 s8, s6, s7
.LBB82_167:
	s_or_b32 exec_lo, exec_lo, s1
	s_delay_alu instid0(SALU_CYCLE_1)
	s_and_not1_b32 s1, s35, exec_lo
	s_and_b32 s6, s8, exec_lo
	s_or_b32 s44, s44, exec_lo
	s_or_b32 s35, s1, s6
	s_or_b32 exec_lo, exec_lo, s23
	s_and_saveexec_b32 s1, s35
	s_cbranch_execz .LBB82_151
.LBB82_168:
	s_and_not1_b32 s44, s44, exec_lo
	s_or_b32 s3, s3, exec_lo
	s_trap 2
	s_or_b32 exec_lo, exec_lo, s1
	s_and_saveexec_b32 s1, s3
	s_cbranch_execnz .LBB82_105
	s_branch .LBB82_106
.LBB82_169:
	s_mov_b32 s15, -1
	s_mov_b32 s13, 0
	s_mov_b32 s1, exec_lo
	v_cmpx_gt_i32_e64 v14, v16
	s_cbranch_execz .LBB82_175
; %bb.170:
	s_wait_loadcnt 0x0
	s_delay_alu instid0(VALU_DEP_2) | instskip(SKIP_2) | instid1(VALU_DEP_1)
	v_lshlrev_b64_e32 v[18:19], 2, v[20:21]
	v_dual_ashrrev_i32 v17, 31, v16 :: v_dual_ashrrev_i32 v15, 31, v14
	s_xor_b32 s15, s29, -1
                                        ; implicit-def: $sgpr14
                                        ; implicit-def: $sgpr17
                                        ; implicit-def: $sgpr16
	v_lshl_add_u64 v[16:17], v[16:17], 2, v[18:19]
	v_add_nc_u64_e32 v[18:19], s[6:7], v[18:19]
	s_delay_alu instid0(VALU_DEP_2) | instskip(NEXT) | instid1(VALU_DEP_2)
	v_add_nc_u64_e32 v[16:17], s[6:7], v[16:17]
	v_lshl_add_u64 v[14:15], v[14:15], 2, v[18:19]
	s_delay_alu instid0(VALU_DEP_2)
	v_add_nc_u64_e32 v[16:17], 4, v[16:17]
	s_branch .LBB82_172
.LBB82_171:                             ;   in Loop: Header=BB82_172 Depth=1
	s_or_b32 exec_lo, exec_lo, s18
	s_delay_alu instid0(SALU_CYCLE_1) | instskip(NEXT) | instid1(SALU_CYCLE_1)
	s_and_b32 s18, exec_lo, s17
	s_or_b32 s13, s18, s13
	s_and_not1_b32 s14, s14, exec_lo
	s_and_b32 s18, s16, exec_lo
	s_delay_alu instid0(SALU_CYCLE_1)
	s_or_b32 s14, s14, s18
	s_and_not1_b32 exec_lo, exec_lo, s13
	s_cbranch_execz .LBB82_174
.LBB82_172:                             ; =>This Inner Loop Header: Depth=1
	s_or_b32 s16, s16, exec_lo
	s_or_b32 s17, s17, exec_lo
	s_mov_b32 s18, exec_lo
	s_delay_alu instid0(VALU_DEP_1)
	v_cmpx_lt_u64_e64 v[16:17], v[14:15]
	s_cbranch_execz .LBB82_171
; %bb.173:                              ;   in Loop: Header=BB82_172 Depth=1
	global_load_b64 v[18:19], v[16:17], off offset:-4
	s_wait_xcnt 0x0
	v_add_nc_u64_e32 v[16:17], 4, v[16:17]
	s_and_not1_b32 s17, s17, exec_lo
	s_and_not1_b32 s16, s16, exec_lo
	s_wait_loadcnt 0x0
	v_cmp_ge_i32_e32 vcc_lo, v18, v19
	s_or_b32 s19, s15, vcc_lo
	s_delay_alu instid0(SALU_CYCLE_1) | instskip(NEXT) | instid1(SALU_CYCLE_1)
	s_and_b32 s19, s19, exec_lo
	s_or_b32 s17, s17, s19
	s_branch .LBB82_171
.LBB82_174:
	s_or_b32 exec_lo, exec_lo, s13
	s_delay_alu instid0(SALU_CYCLE_1)
	s_mov_b32 s13, exec_lo
	s_or_not1_b32 s15, s14, exec_lo
.LBB82_175:
	s_or_b32 exec_lo, exec_lo, s1
	s_delay_alu instid0(SALU_CYCLE_1)
	s_and_b32 s14, s13, exec_lo
	s_xor_b32 s13, exec_lo, -1
	s_and_b32 s1, s15, exec_lo
.LBB82_176:
	s_or_b32 exec_lo, exec_lo, s45
	s_delay_alu instid0(SALU_CYCLE_1)
	s_and_not1_b32 s15, s38, exec_lo
	s_and_b32 s13, s13, exec_lo
	s_and_b32 s14, s14, exec_lo
	s_or_b32 s15, s15, s13
	s_xor_b32 s13, exec_lo, -1
	s_and_b32 s1, s1, exec_lo
.LBB82_177:
	s_or_b32 exec_lo, exec_lo, s44
	s_delay_alu instid0(SALU_CYCLE_1)
	s_and_not1_b32 s16, s38, exec_lo
	s_and_b32 s15, s15, exec_lo
	s_and_not1_b32 s17, s39, exec_lo
	s_and_b32 s13, s13, exec_lo
	s_and_b32 s14, s14, exec_lo
	s_or_b32 s16, s16, s15
	s_or_b32 s15, s17, s13
	s_xor_b32 s13, exec_lo, -1
	s_and_b32 s1, s1, exec_lo
.LBB82_178:
	s_or_b32 exec_lo, exec_lo, s43
	s_delay_alu instid0(SALU_CYCLE_1)
	s_and_not1_b32 s17, s38, exec_lo
	s_and_b32 s16, s16, exec_lo
	s_and_b32 s44, s14, exec_lo
	s_or_b32 s45, s17, s16
	s_and_not1_b32 s14, s39, exec_lo
	s_and_b32 s15, s15, exec_lo
	s_and_not1_b32 s16, s41, exec_lo
	s_and_b32 s13, s13, exec_lo
	s_or_b32 s46, s14, s15
	s_or_b32 s43, s16, s13
	s_or_not1_b32 s1, s1, exec_lo
.LBB82_179:
	s_or_b32 exec_lo, exec_lo, s40
	s_mov_b32 s15, 0
                                        ; implicit-def: $sgpr40
                                        ; implicit-def: $sgpr22
	s_and_saveexec_b32 s47, s1
	s_cbranch_execz .LBB82_206
; %bb.180:
	v_or_b32_e32 v5, 0x200, v0
	s_mov_b32 s17, -1
	s_mov_b32 s48, 0
	s_mov_b32 s1, s43
	;; [unrolled: 1-line block ×3, first 2 shown]
	v_cmp_gt_i32_e64 s40, s33, v5
	s_mov_b32 s13, s45
	s_and_saveexec_b32 s49, s40
	s_cbranch_execz .LBB82_201
; %bb.181:
	v_cmp_eq_u32_e32 vcc_lo, s36, v9
	s_mov_b32 s1, -1
	s_mov_b32 s16, 0
	s_mov_b32 s17, s46
	;; [unrolled: 1-line block ×3, first 2 shown]
	s_and_b32 s14, s37, vcc_lo
	s_mov_b32 s13, 0
	s_and_saveexec_b32 s50, s14
	s_cbranch_execz .LBB82_200
; %bb.182:
	v_cmp_eq_u32_e32 vcc_lo, s10, v11
	s_mov_b32 s14, 0
	s_mov_b32 s15, s45
	s_and_b32 s13, s34, vcc_lo
	s_delay_alu instid0(SALU_CYCLE_1)
	s_and_saveexec_b32 s51, s13
	s_cbranch_execz .LBB82_199
; %bb.183:
	v_sub_nc_u32_e32 v5, v8, v10
	s_mov_b32 s14, -1
	s_mov_b32 s13, 0
	s_delay_alu instid0(VALU_DEP_1) | instskip(SKIP_2) | instid1(SALU_CYCLE_1)
	v_cmp_le_i32_e32 vcc_lo, v9, v5
	v_cmp_ge_i32_e64 s1, s8, v5
	s_and_b32 s1, vcc_lo, s1
	s_and_b32 s15, s30, s1
	s_mov_b32 s1, 0
	s_and_saveexec_b32 s52, s15
	s_cbranch_execz .LBB82_198
; %bb.184:
	s_wait_loadcnt 0x1
	v_mov_b64_e32 v[14:15], 0
	s_and_not1_b32 vcc_lo, exec_lo, s9
	s_cbranch_vccnz .LBB82_191
; %bb.185:
	v_dual_mov_b32 v14, v13 :: v_dual_ashrrev_i32 v15, 31, v13
	s_ashr_i32 s13, s12, 31
	v_mov_b32_e32 v12, 0
	s_lshl_b64 s[16:17], s[12:13], 3
	s_mov_b64 s[14:15], 0xffffffff
	v_mul_u64_e32 v[16:17], s[10:11], v[14:15]
	v_mov_b64_e32 v[14:15], 0
	s_add_nc_u64 s[16:17], s[20:21], s[16:17]
	s_mov_b32 s19, 0
	s_add_nc_u64 s[16:17], s[16:17], 32
	s_mov_b32 s13, s28
	s_branch .LBB82_187
.LBB82_186:                             ;   in Loop: Header=BB82_187 Depth=1
	s_or_b32 exec_lo, exec_lo, s1
	s_wait_loadcnt 0x0
	s_delay_alu instid0(VALU_DEP_1)
	v_mul_u64_e32 v[20:21], s[22:23], v[18:19]
	s_load_b64 s[22:23], s[16:17], 0x40
	s_add_co_i32 s13, s13, -1
	s_wait_xcnt 0x0
	s_add_nc_u64 s[16:17], s[16:17], -8
	s_cmp_lg_u32 s13, 0
	s_delay_alu instid0(VALU_DEP_1) | instskip(SKIP_1) | instid1(VALU_DEP_1)
	v_sub_nc_u64_e32 v[16:17], v[16:17], v[20:21]
	s_wait_kmcnt 0x0
	v_mad_nc_u64_u32 v[14:15], v16, s22, v[14:15]
	s_delay_alu instid0(VALU_DEP_1) | instskip(NEXT) | instid1(VALU_DEP_1)
	v_mad_u32 v5, v17, s22, v15
	v_mad_u32 v15, v16, s23, v5
	v_mov_b64_e32 v[16:17], v[18:19]
	s_cbranch_scc0 .LBB82_191
.LBB82_187:                             ; =>This Inner Loop Header: Depth=1
	s_load_b64 s[22:23], s[16:17], 0x0
                                        ; implicit-def: $vgpr18_vgpr19
	s_mov_b32 s1, exec_lo
	s_wait_kmcnt 0x0
	s_delay_alu instid0(VALU_DEP_1) | instskip(NEXT) | instid1(VALU_DEP_1)
	v_or_b32_e32 v13, s23, v17
	v_cmpx_ne_u64_e32 0, v[12:13]
	s_xor_b32 s53, exec_lo, s1
	s_cbranch_execz .LBB82_189
; %bb.188:                              ;   in Loop: Header=BB82_187 Depth=1
	s_ashr_i32 s24, s23, 31
	s_wait_loadcnt 0x0
	v_dual_mov_b32 v23, v12 :: v_dual_ashrrev_i32 v18, 31, v17
	s_mov_b32 s25, s24
	s_delay_alu instid0(SALU_CYCLE_1) | instskip(NEXT) | instid1(VALU_DEP_1)
	s_add_nc_u64 s[26:27], s[22:23], s[24:25]
	v_mov_b32_e32 v19, v18
	s_xor_b64 s[26:27], s[26:27], s[24:25]
	s_delay_alu instid0(SALU_CYCLE_1)
	s_cvt_f32_u32 s1, s26
	s_cvt_f32_u32 s18, s27
	s_sub_nc_u64 s[56:57], 0, s[26:27]
	v_add_nc_u64_e32 v[20:21], v[16:17], v[18:19]
	v_mov_b32_e32 v27, v12
	s_fmamk_f32 s1, s18, 0x4f800000, s1
	s_delay_alu instid0(SALU_CYCLE_3) | instskip(NEXT) | instid1(VALU_DEP_2)
	v_s_rcp_f32 s1, s1
	v_xor_b32_e32 v22, v20, v18
	s_delay_alu instid0(VALU_DEP_3) | instskip(NEXT) | instid1(TRANS32_DEP_1)
	v_dual_mov_b32 v31, v12 :: v_dual_bitop2_b32 v26, v21, v18 bitop3:0x14
	s_mul_f32 s1, s1, 0x5f7ffffc
	s_delay_alu instid0(SALU_CYCLE_3) | instskip(NEXT) | instid1(SALU_CYCLE_3)
	s_mul_f32 s18, s1, 0x2f800000
	s_trunc_f32 s18, s18
	s_delay_alu instid0(SALU_CYCLE_3) | instskip(SKIP_1) | instid1(SALU_CYCLE_2)
	s_fmamk_f32 s1, s18, 0xcf800000, s1
	s_cvt_u32_f32 s55, s18
	s_cvt_u32_f32 s54, s1
	s_delay_alu instid0(SALU_CYCLE_3) | instskip(NEXT) | instid1(SALU_CYCLE_1)
	s_mul_u64 s[58:59], s[56:57], s[54:55]
	s_mul_hi_u32 s61, s54, s59
	s_mul_i32 s60, s54, s59
	s_mul_hi_u32 s18, s54, s58
	s_mul_i32 s25, s55, s58
	s_add_nc_u64 s[60:61], s[18:19], s[60:61]
	s_mul_hi_u32 s1, s55, s58
	s_mul_hi_u32 s62, s55, s59
	s_add_co_u32 s18, s60, s25
	s_add_co_ci_u32 s18, s61, s1
	s_mul_i32 s58, s55, s59
	s_add_co_ci_u32 s59, s62, 0
	s_delay_alu instid0(SALU_CYCLE_1) | instskip(NEXT) | instid1(SALU_CYCLE_1)
	s_add_nc_u64 s[58:59], s[18:19], s[58:59]
	s_add_co_u32 s54, s54, s58
	s_cselect_b32 s1, -1, 0
	s_delay_alu instid0(SALU_CYCLE_1) | instskip(SKIP_1) | instid1(SALU_CYCLE_1)
	s_cmp_lg_u32 s1, 0
	s_add_co_ci_u32 s55, s55, s59
	s_mul_u64 s[56:57], s[56:57], s[54:55]
	s_delay_alu instid0(SALU_CYCLE_1)
	s_mul_hi_u32 s59, s54, s57
	s_mul_i32 s58, s54, s57
	s_mul_hi_u32 s18, s54, s56
	s_mul_i32 s25, s55, s56
	s_add_nc_u64 s[58:59], s[18:19], s[58:59]
	s_mul_hi_u32 s1, s55, s56
	s_mul_hi_u32 s60, s55, s57
	s_add_co_u32 s18, s58, s25
	s_add_co_ci_u32 s18, s59, s1
	s_mul_i32 s56, s55, s57
	s_add_co_ci_u32 s57, s60, 0
	s_delay_alu instid0(SALU_CYCLE_1) | instskip(NEXT) | instid1(SALU_CYCLE_1)
	s_add_nc_u64 s[56:57], s[18:19], s[56:57]
	s_add_co_u32 s54, s54, s56
	s_cselect_b32 s1, -1, 0
	v_mul_hi_u32 v30, v22, s54
	s_cmp_lg_u32 s1, 0
	s_add_co_ci_u32 s18, s55, s57
	s_and_b64 s[56:57], s[54:55], s[14:15]
	v_mul_u64_e32 v[24:25], s[18:19], v[22:23]
	v_mul_u64_e32 v[20:21], s[56:57], v[26:27]
	;; [unrolled: 1-line block ×3, first 2 shown]
	s_delay_alu instid0(VALU_DEP_3) | instskip(NEXT) | instid1(VALU_DEP_1)
	v_add_nc_u64_e32 v[24:25], v[30:31], v[24:25]
	v_add_co_u32 v5, vcc_lo, v24, v20
	s_delay_alu instid0(VALU_DEP_2) | instskip(NEXT) | instid1(VALU_DEP_4)
	v_add_co_ci_u32_e32 v30, vcc_lo, v25, v21, vcc_lo
	v_add_co_ci_u32_e32 v29, vcc_lo, 0, v29, vcc_lo
	s_delay_alu instid0(VALU_DEP_1) | instskip(NEXT) | instid1(VALU_DEP_1)
	v_add_nc_u64_e32 v[20:21], v[30:31], v[28:29]
	v_mul_u64_e32 v[24:25], s[26:27], v[20:21]
	s_delay_alu instid0(VALU_DEP_1) | instskip(NEXT) | instid1(VALU_DEP_2)
	v_sub_nc_u32_e32 v5, v26, v25
	v_sub_co_u32 v9, vcc_lo, v22, v24
	s_delay_alu instid0(VALU_DEP_1) | instskip(NEXT) | instid1(VALU_DEP_3)
	v_sub_co_ci_u32_e64 v13, null, v26, v25, vcc_lo
	v_subrev_co_ci_u32_e64 v5, null, s27, v5, vcc_lo
	s_delay_alu instid0(VALU_DEP_3) | instskip(SKIP_1) | instid1(VALU_DEP_3)
	v_sub_co_u32 v11, s1, v9, s26
	v_add_nc_u64_e32 v[22:23], 2, v[20:21]
	v_subrev_co_ci_u32_e64 v5, null, 0, v5, s1
	s_delay_alu instid0(VALU_DEP_3) | instskip(SKIP_2) | instid1(VALU_DEP_4)
	v_cmp_le_u32_e32 vcc_lo, s26, v11
	v_add_nc_u64_e32 v[24:25], 1, v[20:21]
	v_cndmask_b32_e64 v11, 0, -1, vcc_lo
	v_cmp_le_u32_e32 vcc_lo, s27, v5
	v_cndmask_b32_e64 v19, 0, -1, vcc_lo
	v_cmp_le_u32_e32 vcc_lo, s26, v9
	;; [unrolled: 2-line block ×3, first 2 shown]
	v_cndmask_b32_e64 v26, 0, -1, vcc_lo
	v_cmp_eq_u32_e32 vcc_lo, s27, v5
	v_cndmask_b32_e32 v5, v19, v11, vcc_lo
	v_cmp_eq_u32_e32 vcc_lo, s27, v13
	s_delay_alu instid0(VALU_DEP_4) | instskip(NEXT) | instid1(VALU_DEP_3)
	v_cndmask_b32_e32 v9, v26, v9, vcc_lo
	v_cmp_ne_u32_e32 vcc_lo, 0, v5
	s_delay_alu instid0(VALU_DEP_2) | instskip(SKIP_1) | instid1(VALU_DEP_1)
	v_cmp_ne_u32_e64 s1, 0, v9
	v_dual_cndmask_b32 v5, v25, v23, vcc_lo :: v_dual_cndmask_b32 v9, v24, v22, vcc_lo
	v_dual_cndmask_b32 v5, v21, v5, s1 :: v_dual_bitop2_b32 v18, s24, v18 bitop3:0x14
	s_delay_alu instid0(VALU_DEP_1) | instskip(NEXT) | instid1(VALU_DEP_2)
	v_dual_cndmask_b32 v9, v20, v9, s1 :: v_dual_mov_b32 v19, v18
	v_xor_b32_e32 v21, v5, v18
	s_delay_alu instid0(VALU_DEP_2) | instskip(NEXT) | instid1(VALU_DEP_1)
	v_xor_b32_e32 v20, v9, v18
	v_sub_nc_u64_e32 v[18:19], v[20:21], v[18:19]
.LBB82_189:                             ;   in Loop: Header=BB82_187 Depth=1
	s_and_not1_saveexec_b32 s1, s53
	s_cbranch_execz .LBB82_186
; %bb.190:                              ;   in Loop: Header=BB82_187 Depth=1
	v_cvt_f32_u32_e32 v5, s22
	s_sub_co_i32 s18, 0, s22
	v_mov_b32_e32 v19, v12
	s_delay_alu instid0(VALU_DEP_2) | instskip(SKIP_1) | instid1(TRANS32_DEP_1)
	v_rcp_iflag_f32_e32 v5, v5
	v_nop
	v_mul_f32_e32 v5, 0x4f7ffffe, v5
	s_delay_alu instid0(VALU_DEP_1) | instskip(NEXT) | instid1(VALU_DEP_1)
	v_cvt_u32_f32_e32 v5, v5
	v_mul_lo_u32 v9, s18, v5
	s_delay_alu instid0(VALU_DEP_1) | instskip(NEXT) | instid1(VALU_DEP_1)
	v_mul_hi_u32 v9, v5, v9
	v_add_nc_u32_e32 v5, v5, v9
	s_delay_alu instid0(VALU_DEP_1) | instskip(NEXT) | instid1(VALU_DEP_1)
	v_mul_hi_u32 v5, v16, v5
	v_mul_lo_u32 v9, v5, s22
	v_add_nc_u32_e32 v11, 1, v5
	s_delay_alu instid0(VALU_DEP_2) | instskip(NEXT) | instid1(VALU_DEP_1)
	v_sub_nc_u32_e32 v9, v16, v9
	v_subrev_nc_u32_e32 v13, s22, v9
	v_cmp_le_u32_e32 vcc_lo, s22, v9
	s_delay_alu instid0(VALU_DEP_2) | instskip(SKIP_1) | instid1(VALU_DEP_2)
	v_cndmask_b32_e32 v9, v9, v13, vcc_lo
	v_cndmask_b32_e32 v5, v5, v11, vcc_lo
	v_cmp_le_u32_e32 vcc_lo, s22, v9
	s_delay_alu instid0(VALU_DEP_2) | instskip(SKIP_1) | instid1(VALU_DEP_1)
	v_add_nc_u32_e32 v11, 1, v5
	s_wait_loadcnt 0x0
	v_cndmask_b32_e32 v18, v5, v11, vcc_lo
	s_branch .LBB82_186
.LBB82_191:
	s_mov_b32 s13, -1
	s_mov_b32 s15, 0
	s_mov_b32 s1, exec_lo
	v_cmpx_gt_i32_e64 v8, v10
	s_cbranch_execz .LBB82_197
; %bb.192:
	s_delay_alu instid0(VALU_DEP_2) | instskip(SKIP_3) | instid1(VALU_DEP_1)
	v_lshlrev_b64_e32 v[12:13], 2, v[14:15]
	v_dual_ashrrev_i32 v11, 31, v10 :: v_dual_ashrrev_i32 v9, 31, v8
	s_mov_b32 s13, 0
	s_xor_b32 s15, s29, -1
                                        ; implicit-def: $sgpr14
                                        ; implicit-def: $sgpr17
                                        ; implicit-def: $sgpr16
	v_lshl_add_u64 v[10:11], v[10:11], 2, v[12:13]
	v_add_nc_u64_e32 v[12:13], s[6:7], v[12:13]
	s_delay_alu instid0(VALU_DEP_2) | instskip(NEXT) | instid1(VALU_DEP_2)
	v_add_nc_u64_e32 v[10:11], s[6:7], v[10:11]
	v_lshl_add_u64 v[8:9], v[8:9], 2, v[12:13]
	s_delay_alu instid0(VALU_DEP_2)
	v_add_nc_u64_e32 v[10:11], 4, v[10:11]
	s_branch .LBB82_194
.LBB82_193:                             ;   in Loop: Header=BB82_194 Depth=1
	s_or_b32 exec_lo, exec_lo, s18
	s_delay_alu instid0(SALU_CYCLE_1) | instskip(NEXT) | instid1(SALU_CYCLE_1)
	s_and_b32 s18, exec_lo, s17
	s_or_b32 s13, s18, s13
	s_and_not1_b32 s14, s14, exec_lo
	s_and_b32 s18, s16, exec_lo
	s_delay_alu instid0(SALU_CYCLE_1)
	s_or_b32 s14, s14, s18
	s_and_not1_b32 exec_lo, exec_lo, s13
	s_cbranch_execz .LBB82_196
.LBB82_194:                             ; =>This Inner Loop Header: Depth=1
	s_or_b32 s16, s16, exec_lo
	s_or_b32 s17, s17, exec_lo
	s_mov_b32 s18, exec_lo
	s_delay_alu instid0(VALU_DEP_1)
	v_cmpx_lt_u64_e64 v[10:11], v[8:9]
	s_cbranch_execz .LBB82_193
; %bb.195:                              ;   in Loop: Header=BB82_194 Depth=1
	global_load_b64 v[12:13], v[10:11], off offset:-4
	s_wait_xcnt 0x0
	v_add_nc_u64_e32 v[10:11], 4, v[10:11]
	s_and_not1_b32 s17, s17, exec_lo
	s_and_not1_b32 s16, s16, exec_lo
	s_wait_loadcnt 0x0
	v_cmp_ge_i32_e32 vcc_lo, v12, v13
	s_or_b32 s19, s15, vcc_lo
	s_delay_alu instid0(SALU_CYCLE_1) | instskip(NEXT) | instid1(SALU_CYCLE_1)
	s_and_b32 s19, s19, exec_lo
	s_or_b32 s17, s17, s19
	s_branch .LBB82_193
.LBB82_196:
	s_or_b32 exec_lo, exec_lo, s13
	s_delay_alu instid0(SALU_CYCLE_1)
	s_mov_b32 s15, exec_lo
	s_or_not1_b32 s13, s14, exec_lo
.LBB82_197:
	s_or_b32 exec_lo, exec_lo, s1
	s_delay_alu instid0(SALU_CYCLE_1)
	s_and_b32 s1, s15, exec_lo
	s_xor_b32 s14, exec_lo, -1
	s_and_b32 s13, s13, exec_lo
.LBB82_198:
	s_or_b32 exec_lo, exec_lo, s52
	s_delay_alu instid0(SALU_CYCLE_1)
	s_and_not1_b32 s15, s45, exec_lo
	s_and_b32 s14, s14, exec_lo
	s_and_b32 s16, s1, exec_lo
	s_or_b32 s15, s15, s14
	s_xor_b32 s1, exec_lo, -1
	s_and_b32 s14, s13, exec_lo
.LBB82_199:
	s_or_b32 exec_lo, exec_lo, s51
	s_delay_alu instid0(SALU_CYCLE_1)
	s_and_b32 s13, s16, exec_lo
	s_and_not1_b32 s16, s45, exec_lo
	s_and_b32 s15, s15, exec_lo
	s_and_not1_b32 s17, s46, exec_lo
	s_and_b32 s1, s1, exec_lo
	s_or_b32 s15, s16, s15
	s_or_b32 s17, s17, s1
	s_xor_b32 s1, exec_lo, -1
	s_and_b32 s16, s14, exec_lo
.LBB82_200:
	s_or_b32 exec_lo, exec_lo, s50
	s_delay_alu instid0(SALU_CYCLE_1)
	s_and_not1_b32 s14, s45, exec_lo
	s_and_b32 s18, s15, exec_lo
	s_and_b32 s15, s13, exec_lo
	s_or_b32 s13, s14, s18
	s_and_not1_b32 s14, s46, exec_lo
	s_and_b32 s17, s17, exec_lo
	s_and_not1_b32 s18, s43, exec_lo
	s_and_b32 s1, s1, exec_lo
	s_or_b32 s14, s14, s17
	s_or_b32 s1, s18, s1
	s_or_not1_b32 s17, s16, exec_lo
.LBB82_201:
	s_or_b32 exec_lo, exec_lo, s49
	s_mov_b32 s18, 0
                                        ; implicit-def: $sgpr22
	s_and_saveexec_b32 s16, s17
	s_cbranch_execz .LBB82_205
; %bb.202:
	v_or_b32_e32 v5, 0x300, v0
	s_mov_b32 s17, 0
	s_mov_b32 s18, -1
	s_mov_b32 s19, s1
	s_delay_alu instid0(VALU_DEP_1) | instskip(SKIP_1) | instid1(SALU_CYCLE_1)
	v_cmp_gt_i32_e64 s22, s33, v5
	s_and_saveexec_b32 s23, s22
	s_xor_b32 s23, exec_lo, s23
; %bb.203:
	v_cmp_ne_u32_e32 vcc_lo, s36, v1
	s_xor_b32 s18, s37, -1
	s_and_not1_b32 s19, s1, exec_lo
	s_mov_b32 s17, exec_lo
	s_or_b32 s18, s18, vcc_lo
	s_delay_alu instid0(SALU_CYCLE_1)
	s_and_b32 s24, s18, exec_lo
	s_xor_b32 s18, exec_lo, -1
	s_or_b32 s19, s19, s24
; %bb.204:
	s_or_b32 exec_lo, exec_lo, s23
	s_delay_alu instid0(SALU_CYCLE_1)
	s_and_not1_b32 s1, s1, exec_lo
	s_and_b32 s19, s19, exec_lo
	s_and_b32 s18, s18, exec_lo
	s_and_not1_b32 s15, s15, exec_lo
	s_and_b32 s48, s17, exec_lo
	s_or_b32 s1, s1, s19
.LBB82_205:
	s_or_b32 exec_lo, exec_lo, s16
	s_delay_alu instid0(SALU_CYCLE_1)
	s_and_not1_b32 s16, s44, exec_lo
	s_and_b32 s17, s15, exec_lo
	s_and_b32 s13, s13, exec_lo
	s_or_b32 s44, s16, s17
	s_and_not1_b32 s16, s45, exec_lo
	s_and_not1_b32 s17, s46, exec_lo
	s_and_b32 s14, s14, exec_lo
	s_or_b32 s45, s16, s13
	s_and_not1_b32 s13, s43, exec_lo
	s_and_b32 s1, s1, exec_lo
	s_and_b32 s15, s18, exec_lo
	s_or_b32 s46, s17, s14
	s_and_b32 s48, s48, exec_lo
	s_or_b32 s43, s13, s1
.LBB82_206:
	s_or_b32 exec_lo, exec_lo, s47
	s_delay_alu instid0(SALU_CYCLE_1)
	s_and_not1_b32 s1, s35, exec_lo
	s_and_b32 s13, s44, exec_lo
	s_and_b32 s44, s15, exec_lo
	s_or_b32 s35, s1, s13
	s_and_not1_b32 s1, s38, exec_lo
	s_and_b32 s13, s45, exec_lo
	s_and_not1_b32 s14, s39, exec_lo
	s_and_b32 s15, s46, exec_lo
	s_or_b32 s38, s1, s13
	s_and_not1_b32 s1, s41, exec_lo
	s_and_b32 s13, s43, exec_lo
	s_or_b32 s39, s14, s15
	s_and_b32 s43, s48, exec_lo
	s_or_b32 s41, s1, s13
	s_or_b32 exec_lo, exec_lo, s42
	s_and_saveexec_b32 s1, s41
	s_cbranch_execz .LBB82_144
.LBB82_207:
	s_or_b32 s3, s3, exec_lo
	s_and_not1_b32 s43, s43, exec_lo
	s_trap 2
	s_branch .LBB82_144
.LBB82_208:
	s_mov_b32 s3, exec_lo
	s_and_not1_b32 s31, s31, exec_lo
	s_trap 2
	s_branch .LBB82_65
.LBB82_209:
	s_or_b32 s3, s3, exec_lo
	s_and_not1_b32 s34, s34, exec_lo
	s_trap 2
	s_branch .LBB82_68
.LBB82_210:
	s_or_b32 s3, s3, exec_lo
	s_and_not1_b32 s1, s1, exec_lo
	s_trap 2
	s_branch .LBB82_147
	.section	.rodata,"a",@progbits
	.p2align	6, 0x0
	.amdhsa_kernel _ZN2at6native29vectorized_elementwise_kernelILi4EZZZNS0_12_GLOBAL__N_142_validate_compressed_sparse_indices_kernelILNS2_8CDimNameE1ENS2_18CUDAKernelLauncherENS2_14EmptyVecKernelENS2_8DummyVecELm8EEEvRKNS_6TensorESA_lllENKUlvE1_clEvENKUlvE_clEvEUliiiiiE_St5arrayIPcLm6EEEEviT0_T1_
		.amdhsa_group_segment_fixed_size 0
		.amdhsa_private_segment_fixed_size 0
		.amdhsa_kernarg_size 224
		.amdhsa_user_sgpr_count 2
		.amdhsa_user_sgpr_dispatch_ptr 0
		.amdhsa_user_sgpr_queue_ptr 0
		.amdhsa_user_sgpr_kernarg_segment_ptr 1
		.amdhsa_user_sgpr_dispatch_id 0
		.amdhsa_user_sgpr_kernarg_preload_length 0
		.amdhsa_user_sgpr_kernarg_preload_offset 0
		.amdhsa_user_sgpr_private_segment_size 0
		.amdhsa_wavefront_size32 1
		.amdhsa_uses_dynamic_stack 0
		.amdhsa_enable_private_segment 0
		.amdhsa_system_sgpr_workgroup_id_x 1
		.amdhsa_system_sgpr_workgroup_id_y 0
		.amdhsa_system_sgpr_workgroup_id_z 0
		.amdhsa_system_sgpr_workgroup_info 0
		.amdhsa_system_vgpr_workitem_id 0
		.amdhsa_next_free_vgpr 44
		.amdhsa_next_free_sgpr 69
		.amdhsa_named_barrier_count 0
		.amdhsa_reserve_vcc 1
		.amdhsa_float_round_mode_32 0
		.amdhsa_float_round_mode_16_64 0
		.amdhsa_float_denorm_mode_32 3
		.amdhsa_float_denorm_mode_16_64 3
		.amdhsa_fp16_overflow 0
		.amdhsa_memory_ordered 1
		.amdhsa_forward_progress 1
		.amdhsa_inst_pref_size 103
		.amdhsa_round_robin_scheduling 0
		.amdhsa_exception_fp_ieee_invalid_op 0
		.amdhsa_exception_fp_denorm_src 0
		.amdhsa_exception_fp_ieee_div_zero 0
		.amdhsa_exception_fp_ieee_overflow 0
		.amdhsa_exception_fp_ieee_underflow 0
		.amdhsa_exception_fp_ieee_inexact 0
		.amdhsa_exception_int_div_zero 0
	.end_amdhsa_kernel
	.section	.text._ZN2at6native29vectorized_elementwise_kernelILi4EZZZNS0_12_GLOBAL__N_142_validate_compressed_sparse_indices_kernelILNS2_8CDimNameE1ENS2_18CUDAKernelLauncherENS2_14EmptyVecKernelENS2_8DummyVecELm8EEEvRKNS_6TensorESA_lllENKUlvE1_clEvENKUlvE_clEvEUliiiiiE_St5arrayIPcLm6EEEEviT0_T1_,"axG",@progbits,_ZN2at6native29vectorized_elementwise_kernelILi4EZZZNS0_12_GLOBAL__N_142_validate_compressed_sparse_indices_kernelILNS2_8CDimNameE1ENS2_18CUDAKernelLauncherENS2_14EmptyVecKernelENS2_8DummyVecELm8EEEvRKNS_6TensorESA_lllENKUlvE1_clEvENKUlvE_clEvEUliiiiiE_St5arrayIPcLm6EEEEviT0_T1_,comdat
.Lfunc_end82:
	.size	_ZN2at6native29vectorized_elementwise_kernelILi4EZZZNS0_12_GLOBAL__N_142_validate_compressed_sparse_indices_kernelILNS2_8CDimNameE1ENS2_18CUDAKernelLauncherENS2_14EmptyVecKernelENS2_8DummyVecELm8EEEvRKNS_6TensorESA_lllENKUlvE1_clEvENKUlvE_clEvEUliiiiiE_St5arrayIPcLm6EEEEviT0_T1_, .Lfunc_end82-_ZN2at6native29vectorized_elementwise_kernelILi4EZZZNS0_12_GLOBAL__N_142_validate_compressed_sparse_indices_kernelILNS2_8CDimNameE1ENS2_18CUDAKernelLauncherENS2_14EmptyVecKernelENS2_8DummyVecELm8EEEvRKNS_6TensorESA_lllENKUlvE1_clEvENKUlvE_clEvEUliiiiiE_St5arrayIPcLm6EEEEviT0_T1_
                                        ; -- End function
	.set _ZN2at6native29vectorized_elementwise_kernelILi4EZZZNS0_12_GLOBAL__N_142_validate_compressed_sparse_indices_kernelILNS2_8CDimNameE1ENS2_18CUDAKernelLauncherENS2_14EmptyVecKernelENS2_8DummyVecELm8EEEvRKNS_6TensorESA_lllENKUlvE1_clEvENKUlvE_clEvEUliiiiiE_St5arrayIPcLm6EEEEviT0_T1_.num_vgpr, 44
	.set _ZN2at6native29vectorized_elementwise_kernelILi4EZZZNS0_12_GLOBAL__N_142_validate_compressed_sparse_indices_kernelILNS2_8CDimNameE1ENS2_18CUDAKernelLauncherENS2_14EmptyVecKernelENS2_8DummyVecELm8EEEvRKNS_6TensorESA_lllENKUlvE1_clEvENKUlvE_clEvEUliiiiiE_St5arrayIPcLm6EEEEviT0_T1_.num_agpr, 0
	.set _ZN2at6native29vectorized_elementwise_kernelILi4EZZZNS0_12_GLOBAL__N_142_validate_compressed_sparse_indices_kernelILNS2_8CDimNameE1ENS2_18CUDAKernelLauncherENS2_14EmptyVecKernelENS2_8DummyVecELm8EEEvRKNS_6TensorESA_lllENKUlvE1_clEvENKUlvE_clEvEUliiiiiE_St5arrayIPcLm6EEEEviT0_T1_.numbered_sgpr, 69
	.set _ZN2at6native29vectorized_elementwise_kernelILi4EZZZNS0_12_GLOBAL__N_142_validate_compressed_sparse_indices_kernelILNS2_8CDimNameE1ENS2_18CUDAKernelLauncherENS2_14EmptyVecKernelENS2_8DummyVecELm8EEEvRKNS_6TensorESA_lllENKUlvE1_clEvENKUlvE_clEvEUliiiiiE_St5arrayIPcLm6EEEEviT0_T1_.num_named_barrier, 0
	.set _ZN2at6native29vectorized_elementwise_kernelILi4EZZZNS0_12_GLOBAL__N_142_validate_compressed_sparse_indices_kernelILNS2_8CDimNameE1ENS2_18CUDAKernelLauncherENS2_14EmptyVecKernelENS2_8DummyVecELm8EEEvRKNS_6TensorESA_lllENKUlvE1_clEvENKUlvE_clEvEUliiiiiE_St5arrayIPcLm6EEEEviT0_T1_.private_seg_size, 0
	.set _ZN2at6native29vectorized_elementwise_kernelILi4EZZZNS0_12_GLOBAL__N_142_validate_compressed_sparse_indices_kernelILNS2_8CDimNameE1ENS2_18CUDAKernelLauncherENS2_14EmptyVecKernelENS2_8DummyVecELm8EEEvRKNS_6TensorESA_lllENKUlvE1_clEvENKUlvE_clEvEUliiiiiE_St5arrayIPcLm6EEEEviT0_T1_.uses_vcc, 1
	.set _ZN2at6native29vectorized_elementwise_kernelILi4EZZZNS0_12_GLOBAL__N_142_validate_compressed_sparse_indices_kernelILNS2_8CDimNameE1ENS2_18CUDAKernelLauncherENS2_14EmptyVecKernelENS2_8DummyVecELm8EEEvRKNS_6TensorESA_lllENKUlvE1_clEvENKUlvE_clEvEUliiiiiE_St5arrayIPcLm6EEEEviT0_T1_.uses_flat_scratch, 0
	.set _ZN2at6native29vectorized_elementwise_kernelILi4EZZZNS0_12_GLOBAL__N_142_validate_compressed_sparse_indices_kernelILNS2_8CDimNameE1ENS2_18CUDAKernelLauncherENS2_14EmptyVecKernelENS2_8DummyVecELm8EEEvRKNS_6TensorESA_lllENKUlvE1_clEvENKUlvE_clEvEUliiiiiE_St5arrayIPcLm6EEEEviT0_T1_.has_dyn_sized_stack, 0
	.set _ZN2at6native29vectorized_elementwise_kernelILi4EZZZNS0_12_GLOBAL__N_142_validate_compressed_sparse_indices_kernelILNS2_8CDimNameE1ENS2_18CUDAKernelLauncherENS2_14EmptyVecKernelENS2_8DummyVecELm8EEEvRKNS_6TensorESA_lllENKUlvE1_clEvENKUlvE_clEvEUliiiiiE_St5arrayIPcLm6EEEEviT0_T1_.has_recursion, 0
	.set _ZN2at6native29vectorized_elementwise_kernelILi4EZZZNS0_12_GLOBAL__N_142_validate_compressed_sparse_indices_kernelILNS2_8CDimNameE1ENS2_18CUDAKernelLauncherENS2_14EmptyVecKernelENS2_8DummyVecELm8EEEvRKNS_6TensorESA_lllENKUlvE1_clEvENKUlvE_clEvEUliiiiiE_St5arrayIPcLm6EEEEviT0_T1_.has_indirect_call, 0
	.section	.AMDGPU.csdata,"",@progbits
; Kernel info:
; codeLenInByte = 13072
; TotalNumSgprs: 71
; NumVgprs: 44
; ScratchSize: 0
; MemoryBound: 0
; FloatMode: 240
; IeeeMode: 1
; LDSByteSize: 0 bytes/workgroup (compile time only)
; SGPRBlocks: 0
; VGPRBlocks: 2
; NumSGPRsForWavesPerEU: 71
; NumVGPRsForWavesPerEU: 44
; NamedBarCnt: 0
; Occupancy: 16
; WaveLimiterHint : 1
; COMPUTE_PGM_RSRC2:SCRATCH_EN: 0
; COMPUTE_PGM_RSRC2:USER_SGPR: 2
; COMPUTE_PGM_RSRC2:TRAP_HANDLER: 0
; COMPUTE_PGM_RSRC2:TGID_X_EN: 1
; COMPUTE_PGM_RSRC2:TGID_Y_EN: 0
; COMPUTE_PGM_RSRC2:TGID_Z_EN: 0
; COMPUTE_PGM_RSRC2:TIDIG_COMP_CNT: 0
	.section	.text._ZN2at6native29vectorized_elementwise_kernelILi2EZZZNS0_12_GLOBAL__N_142_validate_compressed_sparse_indices_kernelILNS2_8CDimNameE1ENS2_18CUDAKernelLauncherENS2_14EmptyVecKernelENS2_8DummyVecELm8EEEvRKNS_6TensorESA_lllENKUlvE1_clEvENKUlvE_clEvEUliiiiiE_St5arrayIPcLm6EEEEviT0_T1_,"axG",@progbits,_ZN2at6native29vectorized_elementwise_kernelILi2EZZZNS0_12_GLOBAL__N_142_validate_compressed_sparse_indices_kernelILNS2_8CDimNameE1ENS2_18CUDAKernelLauncherENS2_14EmptyVecKernelENS2_8DummyVecELm8EEEvRKNS_6TensorESA_lllENKUlvE1_clEvENKUlvE_clEvEUliiiiiE_St5arrayIPcLm6EEEEviT0_T1_,comdat
	.globl	_ZN2at6native29vectorized_elementwise_kernelILi2EZZZNS0_12_GLOBAL__N_142_validate_compressed_sparse_indices_kernelILNS2_8CDimNameE1ENS2_18CUDAKernelLauncherENS2_14EmptyVecKernelENS2_8DummyVecELm8EEEvRKNS_6TensorESA_lllENKUlvE1_clEvENKUlvE_clEvEUliiiiiE_St5arrayIPcLm6EEEEviT0_T1_ ; -- Begin function _ZN2at6native29vectorized_elementwise_kernelILi2EZZZNS0_12_GLOBAL__N_142_validate_compressed_sparse_indices_kernelILNS2_8CDimNameE1ENS2_18CUDAKernelLauncherENS2_14EmptyVecKernelENS2_8DummyVecELm8EEEvRKNS_6TensorESA_lllENKUlvE1_clEvENKUlvE_clEvEUliiiiiE_St5arrayIPcLm6EEEEviT0_T1_
	.p2align	8
	.type	_ZN2at6native29vectorized_elementwise_kernelILi2EZZZNS0_12_GLOBAL__N_142_validate_compressed_sparse_indices_kernelILNS2_8CDimNameE1ENS2_18CUDAKernelLauncherENS2_14EmptyVecKernelENS2_8DummyVecELm8EEEvRKNS_6TensorESA_lllENKUlvE1_clEvENKUlvE_clEvEUliiiiiE_St5arrayIPcLm6EEEEviT0_T1_,@function
_ZN2at6native29vectorized_elementwise_kernelILi2EZZZNS0_12_GLOBAL__N_142_validate_compressed_sparse_indices_kernelILNS2_8CDimNameE1ENS2_18CUDAKernelLauncherENS2_14EmptyVecKernelENS2_8DummyVecELm8EEEvRKNS_6TensorESA_lllENKUlvE1_clEvENKUlvE_clEvEUliiiiiE_St5arrayIPcLm6EEEEviT0_T1_: ; @_ZN2at6native29vectorized_elementwise_kernelILi2EZZZNS0_12_GLOBAL__N_142_validate_compressed_sparse_indices_kernelILNS2_8CDimNameE1ENS2_18CUDAKernelLauncherENS2_14EmptyVecKernelENS2_8DummyVecELm8EEEvRKNS_6TensorESA_lllENKUlvE1_clEvENKUlvE_clEvEUliiiiiE_St5arrayIPcLm6EEEEviT0_T1_
; %bb.0:
	s_clause 0x2
	s_load_b32 s3, s[0:1], 0x0
	s_load_b128 s[12:15], s[0:1], 0xd0
	s_load_b256 s[4:11], s[0:1], 0xb0
	s_bfe_u32 s2, ttmp6, 0x4000c
	s_and_b32 s16, ttmp6, 15
	s_add_co_i32 s2, s2, 1
	s_getreg_b32 s17, hwreg(HW_REG_IB_STS2, 6, 4)
	s_mul_i32 s2, ttmp9, s2
	s_or_b64 s[20:21], s[0:1], 8
	s_add_co_i32 s16, s16, s2
	s_cmp_eq_u32 s17, 0
	s_mov_b32 s44, 0
	s_wait_xcnt 0x0
	s_cselect_b32 s0, ttmp9, s16
	s_get_pc_i64 s[22:23]
	s_add_nc_u64 s[22:23], s[22:23], .str.6@rel64+4
	s_lshl_b32 s2, s0, 10
	s_mov_b32 s0, -1
	s_wait_kmcnt 0x0
	s_sub_co_i32 s33, s3, s2
	s_mov_b32 s3, 0
	s_cmp_gt_i32 s33, 0x3ff
	s_cbranch_scc0 .LBB83_75
; %bb.1:
	s_ashr_i32 s3, s2, 31
	s_load_b32 s0, s[20:21], 0x0
	s_lshl_b64 s[24:25], s[2:3], 2
	s_cmp_lg_u64 s[22:23], 0
	s_add_nc_u64 s[34:35], s[6:7], s[24:25]
	v_mov_b32_e32 v15, 0
	global_load_b64 v[6:7], v0, s[34:35] scale_offset
	s_cselect_b32 s16, -1, 0
	s_mov_b32 s36, -1
	s_mov_b32 s3, 0
	s_mov_b32 s31, 0
	;; [unrolled: 1-line block ×4, first 2 shown]
                                        ; implicit-def: $sgpr27
                                        ; implicit-def: $sgpr17
                                        ; implicit-def: $sgpr30
                                        ; implicit-def: $sgpr26
                                        ; implicit-def: $sgpr28_sgpr29
                                        ; implicit-def: $vgpr8_vgpr9
                                        ; implicit-def: $vgpr2_vgpr3
                                        ; implicit-def: $vgpr4_vgpr5
                                        ; implicit-def: $vgpr12_vgpr13
                                        ; implicit-def: $vgpr10
	s_wait_loadcnt 0x0
	s_wait_kmcnt 0x0
	v_cmp_eq_u32_e32 vcc_lo, s0, v6
	s_mov_b32 s0, 0
	s_and_b32 s18, s16, vcc_lo
                                        ; implicit-def: $sgpr16
	s_delay_alu instid0(SALU_CYCLE_1)
	s_and_saveexec_b32 s45, s18
	s_cbranch_execz .LBB83_64
; %bb.2:
	s_add_nc_u64 s[36:37], s[8:9], s[24:25]
	s_load_b128 s[16:19], s[20:21], 0x8
	global_load_b64 v[10:11], v0, s[36:37] scale_offset
	s_get_pc_i64 s[26:27]
	s_add_nc_u64 s[26:27], s[26:27], .str.7@rel64+4
	s_mov_b32 s0, -1
	s_cmp_lg_u64 s[26:27], 0
	s_mov_b32 s39, 0
	s_wait_kmcnt 0x0
	s_cselect_b32 s17, -1, 0
                                        ; implicit-def: $sgpr27
                                        ; implicit-def: $sgpr30
                                        ; implicit-def: $sgpr26
                                        ; implicit-def: $sgpr28_sgpr29
                                        ; implicit-def: $vgpr8_vgpr9
                                        ; implicit-def: $vgpr2_vgpr3
                                        ; implicit-def: $vgpr4_vgpr5
                                        ; implicit-def: $vgpr12_vgpr13
	s_wait_loadcnt 0x0
	v_cmp_eq_u32_e32 vcc_lo, s18, v10
	s_and_b32 s40, s17, vcc_lo
                                        ; implicit-def: $sgpr17
	s_delay_alu instid0(SALU_CYCLE_1)
	s_and_saveexec_b32 s46, s40
	s_cbranch_execz .LBB83_63
; %bb.3:
	s_add_nc_u64 s[38:39], s[10:11], s[24:25]
	s_add_nc_u64 s[40:41], s[12:13], s[24:25]
	s_clause 0x1
	global_load_b64 v[18:19], v0, s[38:39] scale_offset
	global_load_b64 v[16:17], v0, s[40:41] scale_offset
	s_load_b64 s[26:27], s[20:21], 0x18
	s_get_pc_i64 s[28:29]
	s_add_nc_u64 s[28:29], s[28:29], .str.8@rel64+4
	s_mov_b32 s1, -1
	s_cmp_lg_u64 s[28:29], 0
	s_mov_b32 s42, 0
	s_cselect_b32 s17, -1, 0
	s_mov_b32 s43, 0
	s_mov_b32 s48, 0
                                        ; implicit-def: $sgpr27
                                        ; implicit-def: $sgpr30
                                        ; implicit-def: $sgpr28_sgpr29
                                        ; implicit-def: $vgpr8_vgpr9
                                        ; implicit-def: $vgpr2_vgpr3
                                        ; implicit-def: $vgpr4_vgpr5
                                        ; implicit-def: $vgpr12_vgpr13
	s_wait_loadcnt 0x0
	v_sub_nc_u32_e32 v1, v16, v18
	s_delay_alu instid0(VALU_DEP_1) | instskip(SKIP_2) | instid1(SALU_CYCLE_1)
	v_cmp_le_i32_e32 vcc_lo, v6, v1
	v_cmp_ge_i32_e64 s0, s16, v1
	s_and_b32 s0, vcc_lo, s0
	s_and_b32 s0, s17, s0
                                        ; implicit-def: $sgpr17
	s_delay_alu instid0(SALU_CYCLE_1)
	s_and_saveexec_b32 s47, s0
	s_cbranch_execz .LBB83_62
; %bb.4:
	v_dual_lshlrev_b32 v14, 3, v0 :: v_dual_mov_b32 v22, 0
	s_add_nc_u64 s[0:1], s[14:15], s[24:25]
	s_load_b64 s[28:29], s[20:21], 0xa0
	s_wait_kmcnt 0x0
	s_add_co_i32 s30, s26, -1
	v_add_nc_u64_e32 v[24:25], s[34:35], v[14:15]
	v_add_nc_u64_e32 v[26:27], s[36:37], v[14:15]
	v_mov_b32_e32 v15, v22
	s_cmp_gt_i32 s30, -1
	s_delay_alu instid0(VALU_DEP_1)
	v_add_nc_u64_e32 v[28:29], s[38:39], v[14:15]
	v_add_nc_u64_e32 v[30:31], s[40:41], v[14:15]
	global_load_b64 v[14:15], v[24:25], off offset:2048
	global_load_b64 v[12:13], v[26:27], off offset:2048
	;; [unrolled: 1-line block ×4, first 2 shown]
	s_clause 0x1
	global_load_b64 v[20:21], v0, s[0:1] scale_offset
	global_load_b64 v[8:9], v0, s[0:1] offset:2048 scale_offset
	s_wait_xcnt 0x0
	v_cmp_gt_i64_e64 s0, s[18:19], 0
	v_mov_b64_e32 v[24:25], 0
	s_cselect_b32 s1, -1, 0
	s_delay_alu instid0(SALU_CYCLE_1) | instskip(NEXT) | instid1(SALU_CYCLE_1)
	s_and_b32 s17, s0, s1
	s_and_not1_b32 vcc_lo, exec_lo, s17
	s_cbranch_vccnz .LBB83_11
; %bb.5:
	s_wait_loadcnt 0x1
	v_dual_mov_b32 v24, v20 :: v_dual_ashrrev_i32 v25, 31, v20
	s_ashr_i32 s31, s30, 31
	s_mov_b64 s[34:35], 0xffffffff
	s_lshl_b64 s[0:1], s[30:31], 3
	s_mov_b32 s27, s26
	v_mul_u64_e32 v[26:27], s[18:19], v[24:25]
	v_mov_b64_e32 v[24:25], 0
	s_add_nc_u64 s[0:1], s[20:21], s[0:1]
	s_delay_alu instid0(SALU_CYCLE_1)
	s_add_nc_u64 s[36:37], s[0:1], 32
	s_mov_b32 s1, 0
	s_branch .LBB83_7
.LBB83_6:                               ;   in Loop: Header=BB83_7 Depth=1
	s_or_b32 exec_lo, exec_lo, s0
	s_delay_alu instid0(VALU_DEP_1)
	v_mul_u64_e32 v[30:31], s[38:39], v[28:29]
	s_load_b64 s[38:39], s[36:37], 0x40
	s_add_co_i32 s27, s27, -1
	s_wait_xcnt 0x0
	s_add_nc_u64 s[36:37], s[36:37], -8
	s_cmp_eq_u32 s27, 0
	s_delay_alu instid0(VALU_DEP_1) | instskip(SKIP_1) | instid1(VALU_DEP_1)
	v_sub_nc_u64_e32 v[26:27], v[26:27], v[30:31]
	s_wait_kmcnt 0x0
	v_mad_nc_u64_u32 v[24:25], v26, s38, v[24:25]
	s_delay_alu instid0(VALU_DEP_1) | instskip(NEXT) | instid1(VALU_DEP_1)
	v_mad_u32 v1, v27, s38, v25
	v_mad_u32 v25, v26, s39, v1
	v_mov_b64_e32 v[26:27], v[28:29]
	s_cbranch_scc1 .LBB83_11
.LBB83_7:                               ; =>This Inner Loop Header: Depth=1
	s_load_b64 s[38:39], s[36:37], 0x0
                                        ; implicit-def: $vgpr28_vgpr29
	s_mov_b32 s0, exec_lo
	s_wait_kmcnt 0x0
	s_delay_alu instid0(VALU_DEP_1) | instskip(NEXT) | instid1(VALU_DEP_1)
	v_or_b32_e32 v23, s39, v27
	v_cmpx_ne_u64_e32 0, v[22:23]
	s_xor_b32 s31, exec_lo, s0
	s_cbranch_execz .LBB83_9
; %bb.8:                                ;   in Loop: Header=BB83_7 Depth=1
	s_ashr_i32 s40, s39, 31
	v_dual_mov_b32 v33, v22 :: v_dual_ashrrev_i32 v28, 31, v27
	s_mov_b32 s41, s40
	s_delay_alu instid0(SALU_CYCLE_1) | instskip(NEXT) | instid1(VALU_DEP_1)
	s_add_nc_u64 s[42:43], s[38:39], s[40:41]
	v_mov_b32_e32 v29, v28
	s_xor_b64 s[42:43], s[42:43], s[40:41]
	s_delay_alu instid0(SALU_CYCLE_1)
	s_cvt_f32_u32 s0, s42
	s_cvt_f32_u32 s41, s43
	s_sub_nc_u64 s[50:51], 0, s[42:43]
	v_add_nc_u64_e32 v[30:31], v[26:27], v[28:29]
	v_mov_b32_e32 v37, v22
	s_fmamk_f32 s0, s41, 0x4f800000, s0
	s_delay_alu instid0(SALU_CYCLE_3) | instskip(NEXT) | instid1(VALU_DEP_2)
	v_s_rcp_f32 s0, s0
	v_xor_b32_e32 v32, v30, v28
	s_delay_alu instid0(VALU_DEP_3) | instskip(NEXT) | instid1(TRANS32_DEP_1)
	v_dual_mov_b32 v41, v22 :: v_dual_bitop2_b32 v36, v31, v28 bitop3:0x14
	s_mul_f32 s0, s0, 0x5f7ffffc
	s_delay_alu instid0(SALU_CYCLE_3) | instskip(NEXT) | instid1(SALU_CYCLE_3)
	s_mul_f32 s41, s0, 0x2f800000
	s_trunc_f32 s41, s41
	s_delay_alu instid0(SALU_CYCLE_3) | instskip(SKIP_1) | instid1(SALU_CYCLE_2)
	s_fmamk_f32 s0, s41, 0xcf800000, s0
	s_cvt_u32_f32 s49, s41
	s_cvt_u32_f32 s48, s0
	s_delay_alu instid0(SALU_CYCLE_3) | instskip(NEXT) | instid1(SALU_CYCLE_1)
	s_mul_u64 s[52:53], s[50:51], s[48:49]
	s_mul_hi_u32 s55, s48, s53
	s_mul_i32 s54, s48, s53
	s_mul_hi_u32 s0, s48, s52
	s_mul_i32 s56, s49, s52
	s_add_nc_u64 s[54:55], s[0:1], s[54:55]
	s_mul_hi_u32 s41, s49, s52
	s_mul_hi_u32 s57, s49, s53
	s_add_co_u32 s0, s54, s56
	s_add_co_ci_u32 s0, s55, s41
	s_mul_i32 s52, s49, s53
	s_add_co_ci_u32 s53, s57, 0
	s_delay_alu instid0(SALU_CYCLE_1) | instskip(NEXT) | instid1(SALU_CYCLE_1)
	s_add_nc_u64 s[52:53], s[0:1], s[52:53]
	s_add_co_u32 s48, s48, s52
	s_cselect_b32 s0, -1, 0
	s_delay_alu instid0(SALU_CYCLE_1) | instskip(SKIP_1) | instid1(SALU_CYCLE_1)
	s_cmp_lg_u32 s0, 0
	s_add_co_ci_u32 s49, s49, s53
	s_mul_u64 s[50:51], s[50:51], s[48:49]
	s_delay_alu instid0(SALU_CYCLE_1)
	s_mul_hi_u32 s53, s48, s51
	s_mul_i32 s52, s48, s51
	s_mul_hi_u32 s0, s48, s50
	s_mul_i32 s54, s49, s50
	s_add_nc_u64 s[52:53], s[0:1], s[52:53]
	s_mul_hi_u32 s41, s49, s50
	s_mul_hi_u32 s55, s49, s51
	s_add_co_u32 s0, s52, s54
	s_add_co_ci_u32 s0, s53, s41
	s_mul_i32 s50, s49, s51
	s_add_co_ci_u32 s51, s55, 0
	s_delay_alu instid0(SALU_CYCLE_1) | instskip(NEXT) | instid1(SALU_CYCLE_1)
	s_add_nc_u64 s[50:51], s[0:1], s[50:51]
	s_add_co_u32 s48, s48, s50
	s_cselect_b32 s0, -1, 0
	v_mul_hi_u32 v40, v32, s48
	s_cmp_lg_u32 s0, 0
	s_add_co_ci_u32 s0, s49, s51
	s_and_b64 s[50:51], s[48:49], s[34:35]
	v_mul_u64_e32 v[34:35], s[0:1], v[32:33]
	v_mul_u64_e32 v[30:31], s[50:51], v[36:37]
	;; [unrolled: 1-line block ×3, first 2 shown]
	s_delay_alu instid0(VALU_DEP_3) | instskip(NEXT) | instid1(VALU_DEP_1)
	v_add_nc_u64_e32 v[34:35], v[40:41], v[34:35]
	v_add_co_u32 v1, vcc_lo, v34, v30
	s_delay_alu instid0(VALU_DEP_2) | instskip(NEXT) | instid1(VALU_DEP_4)
	v_add_co_ci_u32_e32 v40, vcc_lo, v35, v31, vcc_lo
	v_add_co_ci_u32_e32 v39, vcc_lo, 0, v39, vcc_lo
	s_delay_alu instid0(VALU_DEP_1) | instskip(NEXT) | instid1(VALU_DEP_1)
	v_add_nc_u64_e32 v[30:31], v[40:41], v[38:39]
	v_mul_u64_e32 v[34:35], s[42:43], v[30:31]
	s_delay_alu instid0(VALU_DEP_1) | instskip(NEXT) | instid1(VALU_DEP_2)
	v_sub_nc_u32_e32 v1, v36, v35
	v_sub_co_u32 v20, vcc_lo, v32, v34
	s_delay_alu instid0(VALU_DEP_1) | instskip(NEXT) | instid1(VALU_DEP_3)
	v_sub_co_ci_u32_e64 v29, null, v36, v35, vcc_lo
	v_subrev_co_ci_u32_e64 v1, null, s43, v1, vcc_lo
	s_delay_alu instid0(VALU_DEP_3) | instskip(SKIP_1) | instid1(VALU_DEP_3)
	v_sub_co_u32 v23, s0, v20, s42
	v_add_nc_u64_e32 v[34:35], 1, v[30:31]
	v_subrev_co_ci_u32_e64 v1, null, 0, v1, s0
	s_delay_alu instid0(VALU_DEP_3) | instskip(SKIP_1) | instid1(VALU_DEP_3)
	v_cmp_le_u32_e32 vcc_lo, s42, v23
	v_cndmask_b32_e64 v23, 0, -1, vcc_lo
	v_cmp_le_u32_e32 vcc_lo, s43, v1
	v_cndmask_b32_e64 v32, 0, -1, vcc_lo
	;; [unrolled: 2-line block ×4, first 2 shown]
	v_cmp_eq_u32_e32 vcc_lo, s43, v1
	v_cndmask_b32_e32 v1, v32, v23, vcc_lo
	v_cmp_eq_u32_e32 vcc_lo, s43, v29
	v_add_nc_u64_e32 v[32:33], 2, v[30:31]
	v_cndmask_b32_e32 v20, v36, v20, vcc_lo
	s_delay_alu instid0(VALU_DEP_4) | instskip(NEXT) | instid1(VALU_DEP_3)
	v_cmp_ne_u32_e32 vcc_lo, 0, v1
	v_cndmask_b32_e32 v1, v35, v33, vcc_lo
	s_delay_alu instid0(VALU_DEP_3) | instskip(SKIP_1) | instid1(VALU_DEP_2)
	v_cmp_ne_u32_e64 s0, 0, v20
	v_cndmask_b32_e32 v20, v34, v32, vcc_lo
	v_dual_cndmask_b32 v1, v31, v1, s0 :: v_dual_bitop2_b32 v28, s40, v28 bitop3:0x14
	s_delay_alu instid0(VALU_DEP_1) | instskip(NEXT) | instid1(VALU_DEP_2)
	v_dual_cndmask_b32 v20, v30, v20, s0 :: v_dual_mov_b32 v29, v28
	v_xor_b32_e32 v31, v1, v28
	s_delay_alu instid0(VALU_DEP_2) | instskip(NEXT) | instid1(VALU_DEP_1)
	v_xor_b32_e32 v30, v20, v28
	v_sub_nc_u64_e32 v[28:29], v[30:31], v[28:29]
.LBB83_9:                               ;   in Loop: Header=BB83_7 Depth=1
	s_and_not1_saveexec_b32 s0, s31
	s_cbranch_execz .LBB83_6
; %bb.10:                               ;   in Loop: Header=BB83_7 Depth=1
	v_cvt_f32_u32_e32 v1, s38
	s_sub_co_i32 s31, 0, s38
	v_mov_b32_e32 v29, v22
	s_delay_alu instid0(VALU_DEP_2) | instskip(SKIP_1) | instid1(TRANS32_DEP_1)
	v_rcp_iflag_f32_e32 v1, v1
	v_nop
	v_mul_f32_e32 v1, 0x4f7ffffe, v1
	s_delay_alu instid0(VALU_DEP_1) | instskip(NEXT) | instid1(VALU_DEP_1)
	v_cvt_u32_f32_e32 v1, v1
	v_mul_lo_u32 v20, s31, v1
	s_delay_alu instid0(VALU_DEP_1) | instskip(NEXT) | instid1(VALU_DEP_1)
	v_mul_hi_u32 v20, v1, v20
	v_add_nc_u32_e32 v1, v1, v20
	s_delay_alu instid0(VALU_DEP_1) | instskip(NEXT) | instid1(VALU_DEP_1)
	v_mul_hi_u32 v1, v26, v1
	v_mul_lo_u32 v20, v1, s38
	s_delay_alu instid0(VALU_DEP_1) | instskip(NEXT) | instid1(VALU_DEP_1)
	v_sub_nc_u32_e32 v20, v26, v20
	v_subrev_nc_u32_e32 v28, s38, v20
	v_cmp_le_u32_e32 vcc_lo, s38, v20
	s_delay_alu instid0(VALU_DEP_2) | instskip(NEXT) | instid1(VALU_DEP_1)
	v_dual_cndmask_b32 v20, v20, v28 :: v_dual_add_nc_u32 v23, 1, v1
	v_cndmask_b32_e32 v1, v1, v23, vcc_lo
	s_delay_alu instid0(VALU_DEP_2) | instskip(NEXT) | instid1(VALU_DEP_2)
	v_cmp_le_u32_e32 vcc_lo, s38, v20
	v_add_nc_u32_e32 v23, 1, v1
	s_delay_alu instid0(VALU_DEP_1)
	v_cndmask_b32_e32 v28, v1, v23, vcc_lo
	s_branch .LBB83_6
.LBB83_11:
	s_get_pc_i64 s[0:1]
	s_add_nc_u64 s[0:1], s[0:1], .str.9@rel64+4
	s_mov_b32 s36, -1
	s_cmp_lg_u64 s[0:1], 0
	s_mov_b32 s0, 0
	s_cselect_b32 s27, -1, 0
	s_mov_b32 s48, 0
	s_mov_b32 s1, exec_lo
	v_cmpx_gt_i32_e64 v16, v18
	s_cbranch_execz .LBB83_17
; %bb.12:
	v_lshlrev_b64_e32 v[22:23], 2, v[24:25]
	v_dual_mov_b32 v24, v18 :: v_dual_ashrrev_i32 v25, 31, v18
	v_dual_mov_b32 v28, v16 :: v_dual_ashrrev_i32 v29, 31, v16
	s_mov_b32 s31, 0
	s_xor_b32 s35, s27, -1
	s_delay_alu instid0(VALU_DEP_2) | instskip(SKIP_1) | instid1(VALU_DEP_2)
	v_lshl_add_u64 v[24:25], v[24:25], 2, v[22:23]
	v_add_nc_u64_e32 v[26:27], s[28:29], v[22:23]
                                        ; implicit-def: $sgpr34
                                        ; implicit-def: $sgpr37
                                        ; implicit-def: $sgpr36
	v_add_nc_u64_e32 v[24:25], s[28:29], v[24:25]
	s_delay_alu instid0(VALU_DEP_1) | instskip(NEXT) | instid1(VALU_DEP_3)
	v_add_nc_u64_e32 v[22:23], 4, v[24:25]
	v_lshl_add_u64 v[24:25], v[28:29], 2, v[26:27]
	s_branch .LBB83_14
.LBB83_13:                              ;   in Loop: Header=BB83_14 Depth=1
	s_or_b32 exec_lo, exec_lo, s38
	s_delay_alu instid0(SALU_CYCLE_1) | instskip(NEXT) | instid1(SALU_CYCLE_1)
	s_and_b32 s38, exec_lo, s37
	s_or_b32 s31, s38, s31
	s_and_not1_b32 s34, s34, exec_lo
	s_and_b32 s38, s36, exec_lo
	s_delay_alu instid0(SALU_CYCLE_1)
	s_or_b32 s34, s34, s38
	s_and_not1_b32 exec_lo, exec_lo, s31
	s_cbranch_execz .LBB83_16
.LBB83_14:                              ; =>This Inner Loop Header: Depth=1
	s_or_b32 s36, s36, exec_lo
	s_or_b32 s37, s37, exec_lo
	s_mov_b32 s38, exec_lo
	s_delay_alu instid0(VALU_DEP_2)
	v_cmpx_lt_u64_e64 v[22:23], v[24:25]
	s_cbranch_execz .LBB83_13
; %bb.15:                               ;   in Loop: Header=BB83_14 Depth=1
	global_load_b64 v[26:27], v[22:23], off offset:-4
	s_wait_xcnt 0x0
	v_add_nc_u64_e32 v[22:23], 4, v[22:23]
	s_and_not1_b32 s37, s37, exec_lo
	s_and_not1_b32 s36, s36, exec_lo
	s_wait_loadcnt 0x0
	v_cmp_ge_i32_e32 vcc_lo, v26, v27
	s_or_b32 s39, s35, vcc_lo
	s_delay_alu instid0(SALU_CYCLE_1) | instskip(NEXT) | instid1(SALU_CYCLE_1)
	s_and_b32 s39, s39, exec_lo
	s_or_b32 s37, s37, s39
	s_branch .LBB83_13
.LBB83_16:
	s_or_b32 exec_lo, exec_lo, s31
	s_delay_alu instid0(SALU_CYCLE_1)
	s_mov_b32 s48, exec_lo
	s_or_not1_b32 s36, s34, exec_lo
.LBB83_17:
	s_or_b32 exec_lo, exec_lo, s1
	s_mov_b32 s31, 0
	s_mov_b32 s34, 0
	;; [unrolled: 1-line block ×3, first 2 shown]
	s_and_saveexec_b32 s49, s36
	s_cbranch_execz .LBB83_61
; %bb.18:
	s_mov_b32 s0, -1
	s_mov_b32 s1, 0
	s_mov_b32 s36, 0
	s_mov_b32 s50, exec_lo
	v_cmpx_eq_u32_e64 v7, v6
	s_cbranch_execz .LBB83_60
; %bb.19:
	s_mov_b32 s1, -1
	s_mov_b32 s0, 0
	s_mov_b32 s37, 0
	s_mov_b32 s51, exec_lo
	v_cmpx_eq_u32_e64 v11, v10
	s_cbranch_execz .LBB83_59
; %bb.20:
	v_sub_nc_u32_e32 v1, v17, v19
	s_delay_alu instid0(VALU_DEP_1) | instskip(SKIP_2) | instid1(SALU_CYCLE_1)
	v_cmp_le_i32_e32 vcc_lo, v6, v1
	v_cmp_ge_i32_e64 s0, s16, v1
	s_and_b32 s0, vcc_lo, s0
	s_and_saveexec_b32 s52, s0
	s_cbranch_execz .LBB83_58
; %bb.21:
	v_mov_b64_e32 v[22:23], 0
	s_and_not1_b32 vcc_lo, exec_lo, s17
	s_cbranch_vccnz .LBB83_28
; %bb.22:
	s_wait_loadcnt 0x1
	v_dual_mov_b32 v22, v21 :: v_dual_ashrrev_i32 v23, 31, v21
	s_ashr_i32 s31, s30, 31
	v_mov_b32_e32 v20, 0
	s_lshl_b64 s[0:1], s[30:31], 3
	s_mov_b64 s[34:35], 0xffffffff
	v_mul_u64_e32 v[24:25], s[18:19], v[22:23]
	v_mov_b64_e32 v[22:23], 0
	s_add_nc_u64 s[0:1], s[20:21], s[0:1]
	s_mov_b32 s31, s26
	s_add_nc_u64 s[36:37], s[0:1], 32
	s_mov_b32 s1, 0
	s_branch .LBB83_24
.LBB83_23:                              ;   in Loop: Header=BB83_24 Depth=1
	s_or_b32 exec_lo, exec_lo, s0
	s_delay_alu instid0(VALU_DEP_1)
	v_mul_u64_e32 v[28:29], s[38:39], v[26:27]
	s_load_b64 s[38:39], s[36:37], 0x40
	s_add_co_i32 s31, s31, -1
	s_wait_xcnt 0x0
	s_add_nc_u64 s[36:37], s[36:37], -8
	s_cmp_lg_u32 s31, 0
	s_delay_alu instid0(VALU_DEP_1) | instskip(SKIP_1) | instid1(VALU_DEP_1)
	v_sub_nc_u64_e32 v[24:25], v[24:25], v[28:29]
	s_wait_kmcnt 0x0
	v_mad_nc_u64_u32 v[22:23], v24, s38, v[22:23]
	s_delay_alu instid0(VALU_DEP_1) | instskip(NEXT) | instid1(VALU_DEP_1)
	v_mad_u32 v1, v25, s38, v23
	v_mad_u32 v23, v24, s39, v1
	v_mov_b64_e32 v[24:25], v[26:27]
	s_cbranch_scc0 .LBB83_28
.LBB83_24:                              ; =>This Inner Loop Header: Depth=1
	s_load_b64 s[38:39], s[36:37], 0x0
                                        ; implicit-def: $vgpr26_vgpr27
	s_mov_b32 s0, exec_lo
	s_wait_kmcnt 0x0
	s_delay_alu instid0(VALU_DEP_1) | instskip(NEXT) | instid1(VALU_DEP_1)
	v_or_b32_e32 v21, s39, v25
	v_cmpx_ne_u64_e32 0, v[20:21]
	s_xor_b32 s53, exec_lo, s0
	s_cbranch_execz .LBB83_26
; %bb.25:                               ;   in Loop: Header=BB83_24 Depth=1
	s_ashr_i32 s40, s39, 31
	v_dual_mov_b32 v31, v20 :: v_dual_ashrrev_i32 v26, 31, v25
	s_mov_b32 s41, s40
	s_delay_alu instid0(SALU_CYCLE_1) | instskip(NEXT) | instid1(VALU_DEP_1)
	s_add_nc_u64 s[42:43], s[38:39], s[40:41]
	v_mov_b32_e32 v27, v26
	s_xor_b64 s[42:43], s[42:43], s[40:41]
	s_delay_alu instid0(SALU_CYCLE_1)
	s_cvt_f32_u32 s0, s42
	s_cvt_f32_u32 s41, s43
	s_sub_nc_u64 s[56:57], 0, s[42:43]
	v_add_nc_u64_e32 v[28:29], v[24:25], v[26:27]
	v_mov_b32_e32 v35, v20
	s_fmamk_f32 s0, s41, 0x4f800000, s0
	s_delay_alu instid0(SALU_CYCLE_3) | instskip(NEXT) | instid1(VALU_DEP_2)
	v_s_rcp_f32 s0, s0
	v_xor_b32_e32 v30, v28, v26
	s_delay_alu instid0(VALU_DEP_3) | instskip(SKIP_1) | instid1(TRANS32_DEP_1)
	v_dual_mov_b32 v39, v20 :: v_dual_bitop2_b32 v34, v29, v26 bitop3:0x14
	v_xor_b32_e32 v26, s40, v26
	s_mul_f32 s0, s0, 0x5f7ffffc
	s_delay_alu instid0(VALU_DEP_1) | instskip(NEXT) | instid1(SALU_CYCLE_2)
	v_mov_b32_e32 v27, v26
	s_mul_f32 s41, s0, 0x2f800000
	s_delay_alu instid0(SALU_CYCLE_3) | instskip(NEXT) | instid1(SALU_CYCLE_3)
	s_trunc_f32 s41, s41
	s_fmamk_f32 s0, s41, 0xcf800000, s0
	s_cvt_u32_f32 s55, s41
	s_delay_alu instid0(SALU_CYCLE_2) | instskip(NEXT) | instid1(SALU_CYCLE_3)
	s_cvt_u32_f32 s54, s0
	s_mul_u64 s[58:59], s[56:57], s[54:55]
	s_delay_alu instid0(SALU_CYCLE_1)
	s_mul_hi_u32 s61, s54, s59
	s_mul_i32 s60, s54, s59
	s_mul_hi_u32 s0, s54, s58
	s_mul_i32 s62, s55, s58
	s_add_nc_u64 s[60:61], s[0:1], s[60:61]
	s_mul_hi_u32 s41, s55, s58
	s_mul_hi_u32 s63, s55, s59
	s_add_co_u32 s0, s60, s62
	s_add_co_ci_u32 s0, s61, s41
	s_mul_i32 s58, s55, s59
	s_add_co_ci_u32 s59, s63, 0
	s_delay_alu instid0(SALU_CYCLE_1) | instskip(NEXT) | instid1(SALU_CYCLE_1)
	s_add_nc_u64 s[58:59], s[0:1], s[58:59]
	s_add_co_u32 s54, s54, s58
	s_cselect_b32 s0, -1, 0
	s_delay_alu instid0(SALU_CYCLE_1) | instskip(SKIP_1) | instid1(SALU_CYCLE_1)
	s_cmp_lg_u32 s0, 0
	s_add_co_ci_u32 s55, s55, s59
	s_mul_u64 s[56:57], s[56:57], s[54:55]
	s_delay_alu instid0(SALU_CYCLE_1)
	s_mul_hi_u32 s59, s54, s57
	s_mul_i32 s58, s54, s57
	s_mul_hi_u32 s0, s54, s56
	s_mul_i32 s60, s55, s56
	s_add_nc_u64 s[58:59], s[0:1], s[58:59]
	s_mul_hi_u32 s41, s55, s56
	s_mul_hi_u32 s61, s55, s57
	s_add_co_u32 s0, s58, s60
	s_add_co_ci_u32 s0, s59, s41
	s_mul_i32 s56, s55, s57
	s_add_co_ci_u32 s57, s61, 0
	s_delay_alu instid0(SALU_CYCLE_1) | instskip(NEXT) | instid1(SALU_CYCLE_1)
	s_add_nc_u64 s[56:57], s[0:1], s[56:57]
	s_add_co_u32 s54, s54, s56
	s_cselect_b32 s0, -1, 0
	v_mul_hi_u32 v38, v30, s54
	s_cmp_lg_u32 s0, 0
	s_add_co_ci_u32 s0, s55, s57
	s_and_b64 s[56:57], s[54:55], s[34:35]
	v_mul_u64_e32 v[32:33], s[0:1], v[30:31]
	v_mul_u64_e32 v[28:29], s[56:57], v[34:35]
	;; [unrolled: 1-line block ×3, first 2 shown]
	s_delay_alu instid0(VALU_DEP_3) | instskip(NEXT) | instid1(VALU_DEP_1)
	v_add_nc_u64_e32 v[32:33], v[38:39], v[32:33]
	v_add_co_u32 v1, vcc_lo, v32, v28
	s_delay_alu instid0(VALU_DEP_2) | instskip(NEXT) | instid1(VALU_DEP_4)
	v_add_co_ci_u32_e32 v38, vcc_lo, v33, v29, vcc_lo
	v_add_co_ci_u32_e32 v37, vcc_lo, 0, v37, vcc_lo
	s_delay_alu instid0(VALU_DEP_1) | instskip(NEXT) | instid1(VALU_DEP_1)
	v_add_nc_u64_e32 v[28:29], v[38:39], v[36:37]
	v_mul_u64_e32 v[32:33], s[42:43], v[28:29]
	s_delay_alu instid0(VALU_DEP_1) | instskip(NEXT) | instid1(VALU_DEP_2)
	v_sub_nc_u32_e32 v1, v34, v33
	v_sub_co_u32 v7, vcc_lo, v30, v32
	s_delay_alu instid0(VALU_DEP_1) | instskip(NEXT) | instid1(VALU_DEP_3)
	v_sub_co_ci_u32_e64 v16, null, v34, v33, vcc_lo
	v_subrev_co_ci_u32_e64 v1, null, s43, v1, vcc_lo
	s_delay_alu instid0(VALU_DEP_3) | instskip(SKIP_1) | instid1(VALU_DEP_3)
	v_sub_co_u32 v11, s0, v7, s42
	v_add_nc_u64_e32 v[30:31], 2, v[28:29]
	v_subrev_co_ci_u32_e64 v1, null, 0, v1, s0
	s_delay_alu instid0(VALU_DEP_3) | instskip(SKIP_2) | instid1(VALU_DEP_4)
	v_cmp_le_u32_e32 vcc_lo, s42, v11
	v_add_nc_u64_e32 v[32:33], 1, v[28:29]
	v_cndmask_b32_e64 v11, 0, -1, vcc_lo
	v_cmp_le_u32_e32 vcc_lo, s43, v1
	v_cndmask_b32_e64 v18, 0, -1, vcc_lo
	v_cmp_le_u32_e32 vcc_lo, s42, v7
	;; [unrolled: 2-line block ×3, first 2 shown]
	v_cndmask_b32_e64 v21, 0, -1, vcc_lo
	v_cmp_eq_u32_e32 vcc_lo, s43, v1
	v_cndmask_b32_e32 v1, v18, v11, vcc_lo
	v_cmp_eq_u32_e32 vcc_lo, s43, v16
	s_delay_alu instid0(VALU_DEP_4) | instskip(NEXT) | instid1(VALU_DEP_3)
	v_cndmask_b32_e32 v7, v21, v7, vcc_lo
	v_cmp_ne_u32_e32 vcc_lo, 0, v1
	s_delay_alu instid0(VALU_DEP_2) | instskip(SKIP_1) | instid1(VALU_DEP_1)
	v_cmp_ne_u32_e64 s0, 0, v7
	v_dual_cndmask_b32 v1, v33, v31, vcc_lo :: v_dual_cndmask_b32 v7, v32, v30, vcc_lo
	v_dual_cndmask_b32 v1, v29, v1, s0 :: v_dual_cndmask_b32 v7, v28, v7, s0
	s_delay_alu instid0(VALU_DEP_1) | instskip(NEXT) | instid1(VALU_DEP_2)
	v_xor_b32_e32 v29, v1, v26
	v_xor_b32_e32 v28, v7, v26
	s_delay_alu instid0(VALU_DEP_1)
	v_sub_nc_u64_e32 v[26:27], v[28:29], v[26:27]
.LBB83_26:                              ;   in Loop: Header=BB83_24 Depth=1
	s_and_not1_saveexec_b32 s0, s53
	s_cbranch_execz .LBB83_23
; %bb.27:                               ;   in Loop: Header=BB83_24 Depth=1
	v_cvt_f32_u32_e32 v1, s38
	s_sub_co_i32 s40, 0, s38
	v_mov_b32_e32 v27, v20
	s_delay_alu instid0(VALU_DEP_2) | instskip(SKIP_1) | instid1(TRANS32_DEP_1)
	v_rcp_iflag_f32_e32 v1, v1
	v_nop
	v_mul_f32_e32 v1, 0x4f7ffffe, v1
	s_delay_alu instid0(VALU_DEP_1) | instskip(NEXT) | instid1(VALU_DEP_1)
	v_cvt_u32_f32_e32 v1, v1
	v_mul_lo_u32 v7, s40, v1
	s_delay_alu instid0(VALU_DEP_1) | instskip(NEXT) | instid1(VALU_DEP_1)
	v_mul_hi_u32 v7, v1, v7
	v_add_nc_u32_e32 v1, v1, v7
	s_delay_alu instid0(VALU_DEP_1) | instskip(NEXT) | instid1(VALU_DEP_1)
	v_mul_hi_u32 v1, v24, v1
	v_mul_lo_u32 v7, v1, s38
	s_delay_alu instid0(VALU_DEP_1) | instskip(NEXT) | instid1(VALU_DEP_1)
	v_sub_nc_u32_e32 v7, v24, v7
	v_subrev_nc_u32_e32 v16, s38, v7
	v_cmp_le_u32_e32 vcc_lo, s38, v7
	s_delay_alu instid0(VALU_DEP_2) | instskip(NEXT) | instid1(VALU_DEP_1)
	v_dual_add_nc_u32 v11, 1, v1 :: v_dual_cndmask_b32 v7, v7, v16, vcc_lo
	v_cndmask_b32_e32 v1, v1, v11, vcc_lo
	s_delay_alu instid0(VALU_DEP_2) | instskip(NEXT) | instid1(VALU_DEP_2)
	v_cmp_le_u32_e32 vcc_lo, s38, v7
	v_add_nc_u32_e32 v11, 1, v1
	s_delay_alu instid0(VALU_DEP_1)
	v_cndmask_b32_e32 v26, v1, v11, vcc_lo
	s_branch .LBB83_23
.LBB83_28:
	s_mov_b32 s36, -1
	s_mov_b32 s0, 0
	s_mov_b32 s53, 0
	s_mov_b32 s1, exec_lo
	v_cmpx_gt_i32_e64 v17, v19
	s_cbranch_execz .LBB83_34
; %bb.29:
	s_wait_loadcnt 0x1
	s_delay_alu instid0(VALU_DEP_2) | instskip(SKIP_3) | instid1(VALU_DEP_1)
	v_lshlrev_b64_e32 v[20:21], 2, v[22:23]
	v_dual_mov_b32 v22, v19 :: v_dual_ashrrev_i32 v23, 31, v19
	s_mov_b32 s31, 0
	s_xor_b32 s35, s27, -1
                                        ; implicit-def: $sgpr34
                                        ; implicit-def: $sgpr37
                                        ; implicit-def: $sgpr36
	v_lshl_add_u64 v[18:19], v[22:23], 2, v[20:21]
	v_add_nc_u64_e32 v[20:21], s[28:29], v[20:21]
	v_dual_mov_b32 v22, v17 :: v_dual_ashrrev_i32 v23, 31, v17
	s_delay_alu instid0(VALU_DEP_3) | instskip(NEXT) | instid1(VALU_DEP_1)
	v_add_nc_u64_e32 v[18:19], s[28:29], v[18:19]
	v_add_nc_u64_e32 v[16:17], 4, v[18:19]
	s_delay_alu instid0(VALU_DEP_3)
	v_lshl_add_u64 v[18:19], v[22:23], 2, v[20:21]
	s_branch .LBB83_31
.LBB83_30:                              ;   in Loop: Header=BB83_31 Depth=1
	s_or_b32 exec_lo, exec_lo, s38
	s_delay_alu instid0(SALU_CYCLE_1) | instskip(NEXT) | instid1(SALU_CYCLE_1)
	s_and_b32 s38, exec_lo, s37
	s_or_b32 s31, s38, s31
	s_and_not1_b32 s34, s34, exec_lo
	s_and_b32 s38, s36, exec_lo
	s_delay_alu instid0(SALU_CYCLE_1)
	s_or_b32 s34, s34, s38
	s_and_not1_b32 exec_lo, exec_lo, s31
	s_cbranch_execz .LBB83_33
.LBB83_31:                              ; =>This Inner Loop Header: Depth=1
	s_or_b32 s36, s36, exec_lo
	s_or_b32 s37, s37, exec_lo
	s_mov_b32 s38, exec_lo
	s_delay_alu instid0(VALU_DEP_2)
	v_cmpx_lt_u64_e64 v[16:17], v[18:19]
	s_cbranch_execz .LBB83_30
; %bb.32:                               ;   in Loop: Header=BB83_31 Depth=1
	global_load_b64 v[20:21], v[16:17], off offset:-4
	s_and_not1_b32 s37, s37, exec_lo
	s_wait_xcnt 0x0
	v_add_nc_u64_e32 v[16:17], 4, v[16:17]
	s_and_not1_b32 s36, s36, exec_lo
	s_wait_loadcnt 0x0
	v_cmp_ge_i32_e32 vcc_lo, v20, v21
	s_or_b32 s39, s35, vcc_lo
	s_delay_alu instid0(SALU_CYCLE_1) | instskip(NEXT) | instid1(SALU_CYCLE_1)
	s_and_b32 s39, s39, exec_lo
	s_or_b32 s37, s37, s39
	s_branch .LBB83_30
.LBB83_33:
	s_or_b32 exec_lo, exec_lo, s31
	s_delay_alu instid0(SALU_CYCLE_1)
	s_mov_b32 s53, exec_lo
	s_or_not1_b32 s36, s34, exec_lo
.LBB83_34:
	s_or_b32 exec_lo, exec_lo, s1
	s_mov_b32 s31, 0
	s_mov_b32 s34, 0
	;; [unrolled: 1-line block ×3, first 2 shown]
	s_and_saveexec_b32 s54, s36
	s_cbranch_execz .LBB83_57
; %bb.35:
	s_mov_b32 s0, -1
	s_mov_b32 s1, 0
	s_mov_b32 s36, 0
	s_mov_b32 s55, exec_lo
	s_wait_loadcnt 0x5
	v_cmpx_eq_u32_e64 v14, v6
	s_cbranch_execz .LBB83_56
; %bb.36:
	s_mov_b32 s1, -1
	s_mov_b32 s0, 0
	s_mov_b32 s56, exec_lo
	s_wait_loadcnt 0x4
	v_cmpx_eq_u32_e64 v12, v10
	s_cbranch_execz .LBB83_55
; %bb.37:
	s_wait_loadcnt 0x2
	v_sub_nc_u32_e32 v1, v2, v4
	s_delay_alu instid0(VALU_DEP_1) | instskip(SKIP_2) | instid1(SALU_CYCLE_1)
	v_cmp_le_i32_e32 vcc_lo, v6, v1
	v_cmp_ge_i32_e64 s0, s16, v1
	s_and_b32 s0, vcc_lo, s0
	s_and_saveexec_b32 s57, s0
	s_cbranch_execz .LBB83_54
; %bb.38:
	v_mov_b64_e32 v[16:17], 0
	s_and_not1_b32 vcc_lo, exec_lo, s17
	s_cbranch_vccnz .LBB83_45
; %bb.39:
	s_wait_loadcnt 0x0
	v_dual_mov_b32 v16, v8 :: v_dual_ashrrev_i32 v17, 31, v8
	s_ashr_i32 s31, s30, 31
	v_mov_b32_e32 v18, 0
	s_lshl_b64 s[0:1], s[30:31], 3
	s_mov_b64 s[34:35], 0xffffffff
	v_mul_u64_e32 v[20:21], s[18:19], v[16:17]
	v_mov_b64_e32 v[16:17], 0
	s_add_nc_u64 s[0:1], s[20:21], s[0:1]
	s_mov_b32 s31, s26
	s_add_nc_u64 s[36:37], s[0:1], 32
	s_mov_b32 s1, 0
	s_branch .LBB83_41
.LBB83_40:                              ;   in Loop: Header=BB83_41 Depth=1
	s_or_b32 exec_lo, exec_lo, s0
	s_delay_alu instid0(VALU_DEP_1)
	v_mul_u64_e32 v[24:25], s[38:39], v[22:23]
	s_load_b64 s[38:39], s[36:37], 0x40
	s_add_co_i32 s31, s31, -1
	s_wait_xcnt 0x0
	s_add_nc_u64 s[36:37], s[36:37], -8
	s_cmp_lg_u32 s31, 0
	s_delay_alu instid0(VALU_DEP_1) | instskip(SKIP_1) | instid1(VALU_DEP_1)
	v_sub_nc_u64_e32 v[20:21], v[20:21], v[24:25]
	s_wait_kmcnt 0x0
	v_mad_nc_u64_u32 v[16:17], v20, s38, v[16:17]
	s_delay_alu instid0(VALU_DEP_1) | instskip(NEXT) | instid1(VALU_DEP_1)
	v_mad_u32 v1, v21, s38, v17
	v_mad_u32 v17, v20, s39, v1
	v_mov_b64_e32 v[20:21], v[22:23]
	s_cbranch_scc0 .LBB83_45
.LBB83_41:                              ; =>This Inner Loop Header: Depth=1
	s_load_b64 s[38:39], s[36:37], 0x0
                                        ; implicit-def: $vgpr22_vgpr23
	s_mov_b32 s0, exec_lo
	s_wait_kmcnt 0x0
	s_delay_alu instid0(VALU_DEP_1) | instskip(NEXT) | instid1(VALU_DEP_1)
	v_or_b32_e32 v19, s39, v21
	v_cmpx_ne_u64_e32 0, v[18:19]
	s_xor_b32 s58, exec_lo, s0
	s_cbranch_execz .LBB83_43
; %bb.42:                               ;   in Loop: Header=BB83_41 Depth=1
	s_ashr_i32 s40, s39, 31
	v_dual_mov_b32 v27, v18 :: v_dual_ashrrev_i32 v22, 31, v21
	s_mov_b32 s41, s40
	v_mov_b32_e32 v35, v18
	s_add_nc_u64 s[42:43], s[38:39], s[40:41]
	s_delay_alu instid0(VALU_DEP_2) | instskip(SKIP_1) | instid1(SALU_CYCLE_1)
	v_mov_b32_e32 v23, v22
	s_xor_b64 s[42:43], s[42:43], s[40:41]
	s_cvt_f32_u32 s0, s42
	s_cvt_f32_u32 s41, s43
	s_sub_nc_u64 s[62:63], 0, s[42:43]
	v_add_nc_u64_e32 v[24:25], v[20:21], v[22:23]
	v_mov_b32_e32 v31, v18
	s_fmamk_f32 s0, s41, 0x4f800000, s0
	s_delay_alu instid0(SALU_CYCLE_3) | instskip(NEXT) | instid1(VALU_DEP_2)
	v_s_rcp_f32 s0, s0
	v_xor_b32_e32 v26, v24, v22
	s_delay_alu instid0(VALU_DEP_3) | instskip(SKIP_1) | instid1(TRANS32_DEP_1)
	v_xor_b32_e32 v30, v25, v22
	v_xor_b32_e32 v22, s40, v22
	s_mul_f32 s0, s0, 0x5f7ffffc
	s_delay_alu instid0(VALU_DEP_1) | instskip(NEXT) | instid1(SALU_CYCLE_2)
	v_mov_b32_e32 v23, v22
	s_mul_f32 s41, s0, 0x2f800000
	s_delay_alu instid0(SALU_CYCLE_3) | instskip(NEXT) | instid1(SALU_CYCLE_3)
	s_trunc_f32 s41, s41
	s_fmamk_f32 s0, s41, 0xcf800000, s0
	s_cvt_u32_f32 s61, s41
	s_delay_alu instid0(SALU_CYCLE_2) | instskip(NEXT) | instid1(SALU_CYCLE_3)
	s_cvt_u32_f32 s60, s0
	s_mul_u64 s[64:65], s[62:63], s[60:61]
	s_delay_alu instid0(SALU_CYCLE_1)
	s_mul_hi_u32 s67, s60, s65
	s_mul_i32 s66, s60, s65
	s_mul_hi_u32 s0, s60, s64
	s_mul_i32 s59, s61, s64
	s_add_nc_u64 s[66:67], s[0:1], s[66:67]
	s_mul_hi_u32 s41, s61, s64
	s_mul_hi_u32 s68, s61, s65
	s_add_co_u32 s0, s66, s59
	s_add_co_ci_u32 s0, s67, s41
	s_mul_i32 s64, s61, s65
	s_add_co_ci_u32 s65, s68, 0
	s_delay_alu instid0(SALU_CYCLE_1) | instskip(NEXT) | instid1(SALU_CYCLE_1)
	s_add_nc_u64 s[64:65], s[0:1], s[64:65]
	s_add_co_u32 s60, s60, s64
	s_cselect_b32 s0, -1, 0
	s_delay_alu instid0(SALU_CYCLE_1) | instskip(SKIP_1) | instid1(SALU_CYCLE_1)
	s_cmp_lg_u32 s0, 0
	s_add_co_ci_u32 s61, s61, s65
	s_mul_u64 s[62:63], s[62:63], s[60:61]
	s_delay_alu instid0(SALU_CYCLE_1)
	s_mul_hi_u32 s65, s60, s63
	s_mul_i32 s64, s60, s63
	s_mul_hi_u32 s0, s60, s62
	s_mul_i32 s59, s61, s62
	s_add_nc_u64 s[64:65], s[0:1], s[64:65]
	s_mul_hi_u32 s41, s61, s62
	s_mul_hi_u32 s66, s61, s63
	s_add_co_u32 s0, s64, s59
	s_add_co_ci_u32 s0, s65, s41
	s_mul_i32 s62, s61, s63
	s_add_co_ci_u32 s63, s66, 0
	s_delay_alu instid0(SALU_CYCLE_1) | instskip(NEXT) | instid1(SALU_CYCLE_1)
	s_add_nc_u64 s[62:63], s[0:1], s[62:63]
	s_add_co_u32 s60, s60, s62
	s_cselect_b32 s0, -1, 0
	v_mul_hi_u32 v34, v26, s60
	s_cmp_lg_u32 s0, 0
	s_add_co_ci_u32 s0, s61, s63
	s_and_b64 s[62:63], s[60:61], s[34:35]
	v_mul_u64_e32 v[28:29], s[0:1], v[26:27]
	v_mul_u64_e32 v[24:25], s[62:63], v[30:31]
	;; [unrolled: 1-line block ×3, first 2 shown]
	s_delay_alu instid0(VALU_DEP_3) | instskip(NEXT) | instid1(VALU_DEP_1)
	v_add_nc_u64_e32 v[28:29], v[34:35], v[28:29]
	v_add_co_u32 v1, vcc_lo, v28, v24
	s_delay_alu instid0(VALU_DEP_2) | instskip(NEXT) | instid1(VALU_DEP_4)
	v_add_co_ci_u32_e32 v34, vcc_lo, v29, v25, vcc_lo
	v_add_co_ci_u32_e32 v33, vcc_lo, 0, v33, vcc_lo
	s_delay_alu instid0(VALU_DEP_1) | instskip(NEXT) | instid1(VALU_DEP_1)
	v_add_nc_u64_e32 v[24:25], v[34:35], v[32:33]
	v_mul_u64_e32 v[28:29], s[42:43], v[24:25]
	s_delay_alu instid0(VALU_DEP_1) | instskip(SKIP_1) | instid1(VALU_DEP_3)
	v_sub_co_u32 v7, vcc_lo, v26, v28
	v_add_nc_u64_e32 v[26:27], 2, v[24:25]
	v_sub_nc_u32_e32 v1, v30, v29
	v_sub_co_ci_u32_e64 v11, null, v30, v29, vcc_lo
	s_delay_alu instid0(VALU_DEP_4) | instskip(NEXT) | instid1(VALU_DEP_3)
	v_sub_co_u32 v8, s0, v7, s42
	v_subrev_co_ci_u32_e64 v1, null, s43, v1, vcc_lo
	v_add_nc_u64_e32 v[28:29], 1, v[24:25]
	s_delay_alu instid0(VALU_DEP_3) | instskip(NEXT) | instid1(VALU_DEP_3)
	v_cmp_le_u32_e32 vcc_lo, s42, v8
	v_subrev_co_ci_u32_e64 v1, null, 0, v1, s0
	v_cndmask_b32_e64 v8, 0, -1, vcc_lo
	s_delay_alu instid0(VALU_DEP_2)
	v_cmp_le_u32_e32 vcc_lo, s43, v1
	v_cndmask_b32_e64 v12, 0, -1, vcc_lo
	v_cmp_le_u32_e32 vcc_lo, s42, v7
	v_cndmask_b32_e64 v7, 0, -1, vcc_lo
	;; [unrolled: 2-line block ×3, first 2 shown]
	v_cmp_eq_u32_e32 vcc_lo, s43, v1
	v_cndmask_b32_e32 v1, v12, v8, vcc_lo
	v_cmp_eq_u32_e32 vcc_lo, s43, v11
	s_delay_alu instid0(VALU_DEP_4) | instskip(NEXT) | instid1(VALU_DEP_3)
	v_cndmask_b32_e32 v7, v14, v7, vcc_lo
	v_cmp_ne_u32_e32 vcc_lo, 0, v1
	s_delay_alu instid0(VALU_DEP_2) | instskip(SKIP_1) | instid1(VALU_DEP_1)
	v_cmp_ne_u32_e64 s0, 0, v7
	v_dual_cndmask_b32 v1, v29, v27, vcc_lo :: v_dual_cndmask_b32 v7, v28, v26, vcc_lo
	v_dual_cndmask_b32 v1, v25, v1, s0 :: v_dual_cndmask_b32 v7, v24, v7, s0
	s_delay_alu instid0(VALU_DEP_1) | instskip(NEXT) | instid1(VALU_DEP_2)
	v_xor_b32_e32 v25, v1, v22
	v_xor_b32_e32 v24, v7, v22
	s_delay_alu instid0(VALU_DEP_1)
	v_sub_nc_u64_e32 v[22:23], v[24:25], v[22:23]
.LBB83_43:                              ;   in Loop: Header=BB83_41 Depth=1
	s_and_not1_saveexec_b32 s0, s58
	s_cbranch_execz .LBB83_40
; %bb.44:                               ;   in Loop: Header=BB83_41 Depth=1
	v_cvt_f32_u32_e32 v1, s38
	s_sub_co_i32 s40, 0, s38
	v_mov_b32_e32 v23, v18
	s_delay_alu instid0(VALU_DEP_2) | instskip(SKIP_1) | instid1(TRANS32_DEP_1)
	v_rcp_iflag_f32_e32 v1, v1
	v_nop
	v_mul_f32_e32 v1, 0x4f7ffffe, v1
	s_delay_alu instid0(VALU_DEP_1) | instskip(NEXT) | instid1(VALU_DEP_1)
	v_cvt_u32_f32_e32 v1, v1
	v_mul_lo_u32 v7, s40, v1
	s_delay_alu instid0(VALU_DEP_1) | instskip(NEXT) | instid1(VALU_DEP_1)
	v_mul_hi_u32 v7, v1, v7
	v_add_nc_u32_e32 v1, v1, v7
	s_delay_alu instid0(VALU_DEP_1) | instskip(NEXT) | instid1(VALU_DEP_1)
	v_mul_hi_u32 v1, v20, v1
	v_mul_lo_u32 v7, v1, s38
	s_delay_alu instid0(VALU_DEP_1) | instskip(NEXT) | instid1(VALU_DEP_1)
	v_sub_nc_u32_e32 v7, v20, v7
	v_subrev_nc_u32_e32 v11, s38, v7
	v_cmp_le_u32_e32 vcc_lo, s38, v7
	s_delay_alu instid0(VALU_DEP_2) | instskip(NEXT) | instid1(VALU_DEP_1)
	v_dual_cndmask_b32 v7, v7, v11 :: v_dual_add_nc_u32 v8, 1, v1
	v_cndmask_b32_e32 v1, v1, v8, vcc_lo
	s_delay_alu instid0(VALU_DEP_2) | instskip(NEXT) | instid1(VALU_DEP_2)
	v_cmp_le_u32_e32 vcc_lo, s38, v7
	v_add_nc_u32_e32 v8, 1, v1
	s_delay_alu instid0(VALU_DEP_1)
	v_cndmask_b32_e32 v22, v1, v8, vcc_lo
	s_branch .LBB83_40
.LBB83_45:
	s_mov_b32 s35, -1
	s_mov_b32 s0, 0
	s_mov_b32 s31, 0
	s_mov_b32 s1, exec_lo
	v_cmpx_gt_i32_e64 v2, v4
	s_cbranch_execz .LBB83_51
; %bb.46:
	s_delay_alu instid0(VALU_DEP_2) | instskip(SKIP_3) | instid1(VALU_DEP_2)
	v_lshlrev_b64_e32 v[16:17], 2, v[16:17]
	v_dual_mov_b32 v18, v4 :: v_dual_ashrrev_i32 v19, 31, v4
	v_dual_mov_b32 v22, v2 :: v_dual_ashrrev_i32 v23, 31, v2
	s_xor_b32 s35, s27, -1
                                        ; implicit-def: $sgpr34
                                        ; implicit-def: $sgpr37
                                        ; implicit-def: $sgpr36
	v_lshl_add_u64 v[18:19], v[18:19], 2, v[16:17]
	s_wait_loadcnt 0x1
	v_add_nc_u64_e32 v[20:21], s[28:29], v[16:17]
	s_delay_alu instid0(VALU_DEP_2) | instskip(NEXT) | instid1(VALU_DEP_1)
	v_add_nc_u64_e32 v[18:19], s[28:29], v[18:19]
	v_add_nc_u64_e32 v[16:17], 4, v[18:19]
	s_delay_alu instid0(VALU_DEP_3)
	v_lshl_add_u64 v[18:19], v[22:23], 2, v[20:21]
	s_branch .LBB83_48
.LBB83_47:                              ;   in Loop: Header=BB83_48 Depth=1
	s_or_b32 exec_lo, exec_lo, s38
	s_delay_alu instid0(SALU_CYCLE_1) | instskip(NEXT) | instid1(SALU_CYCLE_1)
	s_and_b32 s38, exec_lo, s37
	s_or_b32 s31, s38, s31
	s_and_not1_b32 s34, s34, exec_lo
	s_and_b32 s38, s36, exec_lo
	s_delay_alu instid0(SALU_CYCLE_1)
	s_or_b32 s34, s34, s38
	s_and_not1_b32 exec_lo, exec_lo, s31
	s_cbranch_execz .LBB83_50
.LBB83_48:                              ; =>This Inner Loop Header: Depth=1
	s_or_b32 s36, s36, exec_lo
	s_or_b32 s37, s37, exec_lo
	s_mov_b32 s38, exec_lo
	s_delay_alu instid0(VALU_DEP_2)
	v_cmpx_lt_u64_e64 v[16:17], v[18:19]
	s_cbranch_execz .LBB83_47
; %bb.49:                               ;   in Loop: Header=BB83_48 Depth=1
	global_load_b64 v[20:21], v[16:17], off offset:-4
	s_and_not1_b32 s37, s37, exec_lo
	s_wait_xcnt 0x0
	v_add_nc_u64_e32 v[16:17], 4, v[16:17]
	s_and_not1_b32 s36, s36, exec_lo
	s_wait_loadcnt 0x0
	v_cmp_ge_i32_e32 vcc_lo, v20, v21
	s_or_b32 s39, s35, vcc_lo
	s_delay_alu instid0(SALU_CYCLE_1) | instskip(NEXT) | instid1(SALU_CYCLE_1)
	s_and_b32 s39, s39, exec_lo
	s_or_b32 s37, s37, s39
	s_branch .LBB83_47
.LBB83_50:
	s_or_b32 exec_lo, exec_lo, s31
	s_delay_alu instid0(SALU_CYCLE_1)
	s_mov_b32 s31, exec_lo
	s_or_not1_b32 s35, s34, exec_lo
.LBB83_51:
	s_or_b32 exec_lo, exec_lo, s1
	s_mov_b32 s34, 0
	s_and_saveexec_b32 s1, s35
	s_delay_alu instid0(SALU_CYCLE_1)
	s_xor_b32 s1, exec_lo, s1
; %bb.52:
	v_cmp_ne_u32_e32 vcc_lo, v15, v6
	s_mov_b32 s34, exec_lo
	s_and_not1_b32 s31, s31, exec_lo
	s_and_b32 s0, vcc_lo, exec_lo
; %bb.53:
	s_or_b32 exec_lo, exec_lo, s1
	s_delay_alu instid0(SALU_CYCLE_1)
	s_and_b32 s35, s31, exec_lo
	s_xor_b32 s1, exec_lo, -1
	s_and_b32 s31, s34, exec_lo
	s_and_b32 s34, s0, exec_lo
.LBB83_54:
	s_or_b32 exec_lo, exec_lo, s57
	s_delay_alu instid0(SALU_CYCLE_1)
	s_and_b32 s36, s35, exec_lo
	s_and_b32 s35, s1, exec_lo
	s_xor_b32 s1, exec_lo, -1
	s_and_b32 s31, s31, exec_lo
	s_and_b32 s0, s34, exec_lo
.LBB83_55:
	s_or_b32 exec_lo, exec_lo, s56
	s_delay_alu instid0(SALU_CYCLE_1)
	s_and_b32 s36, s36, exec_lo
	s_and_b32 s35, s35, exec_lo
	;; [unrolled: 1-line block ×4, first 2 shown]
	s_or_not1_b32 s0, s0, exec_lo
.LBB83_56:
	s_or_b32 exec_lo, exec_lo, s55
	s_delay_alu instid0(SALU_CYCLE_1)
	s_and_not1_b32 s31, s53, exec_lo
	s_and_b32 s36, s36, exec_lo
	s_and_b32 s35, s35, exec_lo
	s_or_b32 s53, s31, s36
	s_and_b32 s34, s34, exec_lo
	s_and_b32 s31, s1, exec_lo
	;; [unrolled: 1-line block ×3, first 2 shown]
.LBB83_57:
	s_or_b32 exec_lo, exec_lo, s54
	s_delay_alu instid0(SALU_CYCLE_1)
	s_and_b32 s36, s53, exec_lo
	s_or_not1_b32 s1, s35, exec_lo
	s_and_b32 s35, s34, exec_lo
	s_and_b32 s34, s31, exec_lo
	;; [unrolled: 1-line block ×3, first 2 shown]
.LBB83_58:
	s_or_b32 exec_lo, exec_lo, s52
	s_delay_alu instid0(SALU_CYCLE_1)
	s_and_b32 s36, s36, exec_lo
	s_and_b32 s37, s1, exec_lo
	s_or_not1_b32 s1, s35, exec_lo
	s_and_b32 s34, s34, exec_lo
	s_and_b32 s0, s31, exec_lo
.LBB83_59:
	s_or_b32 exec_lo, exec_lo, s51
	s_delay_alu instid0(SALU_CYCLE_1)
	s_and_b32 s36, s36, exec_lo
	s_and_b32 s35, s37, exec_lo
	;; [unrolled: 1-line block ×4, first 2 shown]
	s_or_not1_b32 s0, s0, exec_lo
.LBB83_60:
	s_or_b32 exec_lo, exec_lo, s50
	s_delay_alu instid0(SALU_CYCLE_1)
	s_and_not1_b32 s34, s48, exec_lo
	s_and_b32 s36, s36, exec_lo
	s_and_b32 s35, s35, exec_lo
	s_or_b32 s48, s34, s36
	s_and_b32 s34, s31, exec_lo
	s_and_b32 s31, s1, exec_lo
	s_and_b32 s0, s0, exec_lo
.LBB83_61:
	s_or_b32 exec_lo, exec_lo, s49
	s_delay_alu instid0(SALU_CYCLE_1)
	s_and_b32 s48, s48, exec_lo
	s_or_not1_b32 s1, s35, exec_lo
	s_and_b32 s43, s34, exec_lo
	s_and_b32 s31, s31, exec_lo
	;; [unrolled: 1-line block ×3, first 2 shown]
.LBB83_62:
	s_or_b32 exec_lo, exec_lo, s47
	s_delay_alu instid0(SALU_CYCLE_1)
	s_and_b32 s38, s48, exec_lo
	s_and_b32 s1, s1, exec_lo
	s_or_not1_b32 s0, s43, exec_lo
	s_and_b32 s31, s31, exec_lo
	s_and_b32 s39, s42, exec_lo
.LBB83_63:
	s_or_b32 exec_lo, exec_lo, s46
	s_delay_alu instid0(SALU_CYCLE_1)
	s_and_b32 s38, s38, exec_lo
	s_and_b32 s1, s1, exec_lo
	;; [unrolled: 1-line block ×4, first 2 shown]
	s_or_not1_b32 s36, s39, exec_lo
.LBB83_64:
	s_or_b32 exec_lo, exec_lo, s45
	s_and_saveexec_b32 s34, s36
	s_cbranch_execnz .LBB83_208
.LBB83_65:
	s_or_b32 exec_lo, exec_lo, s34
	s_mov_b32 s34, 0
	s_and_saveexec_b32 s35, s31
	s_delay_alu instid0(SALU_CYCLE_1)
	s_xor_b32 s31, exec_lo, s35
	s_cbranch_execz .LBB83_67
; %bb.66:
	s_wait_loadcnt 0x4
	v_cmp_ne_u32_e32 vcc_lo, v13, v10
	s_and_not1_b32 s0, s0, exec_lo
	s_mov_b32 s34, exec_lo
	s_and_b32 s35, vcc_lo, exec_lo
	s_delay_alu instid0(SALU_CYCLE_1)
	s_or_b32 s0, s0, s35
.LBB83_67:
	s_or_b32 exec_lo, exec_lo, s31
	s_and_saveexec_b32 s31, s0
	s_cbranch_execnz .LBB83_209
.LBB83_68:
	s_or_b32 exec_lo, exec_lo, s31
	s_mov_b32 s31, 0
	s_and_saveexec_b32 s0, s34
	s_delay_alu instid0(SALU_CYCLE_1)
	s_xor_b32 s34, exec_lo, s0
	s_cbranch_execz .LBB83_95
; %bb.69:
	s_wait_loadcnt 0x2
	v_sub_nc_u32_e32 v1, v3, v5
	s_and_not1_b32 s1, s1, exec_lo
	s_mov_b32 s31, exec_lo
	s_delay_alu instid0(VALU_DEP_1) | instskip(SKIP_2) | instid1(SALU_CYCLE_1)
	v_cmp_gt_i32_e32 vcc_lo, v6, v1
	v_cmp_lt_i32_e64 s0, s16, v1
	s_or_b32 s0, vcc_lo, s0
	s_and_b32 s0, s0, exec_lo
	s_delay_alu instid0(SALU_CYCLE_1)
	s_or_b32 s1, s1, s0
	s_or_b32 exec_lo, exec_lo, s34
	s_and_saveexec_b32 s0, s1
	s_cbranch_execz .LBB83_96
.LBB83_70:
	s_or_b32 s3, s3, exec_lo
	s_and_not1_b32 s31, s31, exec_lo
	s_trap 2
	s_or_b32 exec_lo, exec_lo, s0
	s_mov_b32 s0, 0
	s_and_saveexec_b32 s39, s31
	s_cbranch_execnz .LBB83_97
.LBB83_71:
	s_or_b32 exec_lo, exec_lo, s39
	s_and_saveexec_b32 s1, s38
	s_cbranch_execnz .LBB83_125
.LBB83_72:
	s_or_b32 exec_lo, exec_lo, s1
	s_and_saveexec_b32 s1, s0
	s_delay_alu instid0(SALU_CYCLE_1)
	s_xor_b32 s0, exec_lo, s1
	s_cbranch_execz .LBB83_74
.LBB83_73:
	s_wait_loadcnt 0x2
	v_mov_b64_e32 v[2:3], 0
	s_add_nc_u64 s[16:17], s[4:5], s[24:25]
	s_clause 0x1
	global_store_b64 v0, v[2:3], s[16:17] scale_offset
	global_store_b64 v0, v[2:3], s[16:17] offset:2048 scale_offset
.LBB83_74:
	s_wait_xcnt 0x0
	s_or_b32 exec_lo, exec_lo, s0
	s_mov_b32 s0, 0
.LBB83_75:
	s_delay_alu instid0(SALU_CYCLE_1)
	s_and_b32 vcc_lo, exec_lo, s0
	s_cbranch_vccz .LBB83_104
; %bb.76:
	v_mov_b64_e32 v[6:7], 0
	v_cmp_gt_i32_e64 s0, s33, v0
	s_wait_loadcnt 0x2
	v_dual_mov_b32 v1, 0 :: v_dual_mov_b32 v3, 0
	v_or_b32_e32 v17, 0x100, v0
	v_dual_mov_b32 v2, 0 :: v_dual_mov_b32 v4, 0
	s_wait_loadcnt 0x0
	v_dual_mov_b32 v9, 0 :: v_dual_mov_b32 v11, 0
	v_dual_mov_b32 v10, 0 :: v_dual_mov_b32 v8, 0
	;; [unrolled: 1-line block ×7, first 2 shown]
	v_mov_b32_e32 v24, 0
	s_and_saveexec_b32 s1, s0
	s_cbranch_execz .LBB83_84
; %bb.77:
	v_dual_mov_b32 v18, 0 :: v_dual_bitop2_b32 v1, s2, v0 bitop3:0x54
	v_mov_b64_e32 v[6:7], 0
	v_dual_mov_b32 v14, 0 :: v_dual_mov_b32 v16, 0
	s_clause 0x4
	global_load_b32 v21, v1, s[6:7] scale_offset
	global_load_b32 v23, v1, s[8:9] scale_offset
	;; [unrolled: 1-line block ×5, first 2 shown]
	v_dual_mov_b32 v19, 0 :: v_dual_mov_b32 v15, 0
	v_dual_mov_b32 v13, 0 :: v_dual_mov_b32 v8, 0
	;; [unrolled: 1-line block ×5, first 2 shown]
	s_wait_xcnt 0x0
	v_mov_b32_e32 v1, 0
	s_mov_b32 s16, exec_lo
	v_cmpx_gt_u32_e64 s33, v17
	s_cbranch_execz .LBB83_83
; %bb.78:
	v_dual_mov_b32 v13, 0 :: v_dual_add_nc_u32 v12, s2, v0
	v_or_b32_e32 v1, 0x200, v0
	v_mov_b64_e32 v[6:7], 0
	v_dual_mov_b32 v8, 0 :: v_dual_mov_b32 v10, 0
	s_clause 0x4
	global_load_b32 v15, v12, s[6:7] offset:1024 scale_offset
	global_load_b32 v19, v12, s[8:9] offset:1024 scale_offset
	;; [unrolled: 1-line block ×5, first 2 shown]
	v_cmp_gt_u32_e32 vcc_lo, s33, v1
	v_dual_mov_b32 v11, 0 :: v_dual_mov_b32 v9, 0
	v_dual_mov_b32 v4, 0 :: v_dual_mov_b32 v2, 0
	;; [unrolled: 1-line block ×3, first 2 shown]
	s_wait_xcnt 0x0
	s_and_saveexec_b32 s17, vcc_lo
	s_cbranch_execz .LBB83_82
; %bb.79:
	v_lshlrev_b64_e32 v[2:3], 2, v[12:13]
	v_or_b32_e32 v1, 0x300, v0
	v_mov_b64_e32 v[6:7], 0
	s_delay_alu instid0(VALU_DEP_2) | instskip(NEXT) | instid1(VALU_DEP_4)
	v_cmp_gt_u32_e32 vcc_lo, s33, v1
	v_add_nc_u64_e32 v[4:5], s[6:7], v[2:3]
	v_add_nc_u64_e32 v[26:27], s[8:9], v[2:3]
	;; [unrolled: 1-line block ×5, first 2 shown]
	v_dual_mov_b32 v2, 0 :: v_dual_mov_b32 v3, 0
	global_load_b32 v9, v[4:5], off offset:2048
	global_load_b32 v11, v[26:27], off offset:2048
	;; [unrolled: 1-line block ×5, first 2 shown]
	v_mov_b32_e32 v1, 0
	s_wait_xcnt 0x0
	s_and_saveexec_b32 s6, vcc_lo
	s_cbranch_execz .LBB83_81
; %bb.80:
	global_load_b32 v6, v[28:29], off offset:3072
	global_load_b32 v1, v[4:5], off offset:3072
	global_load_b32 v3, v[26:27], off offset:3072
	global_load_b32 v2, v[30:31], off offset:3072
	global_load_b32 v13, v[32:33], off offset:3072
	s_wait_loadcnt 0x4
	v_ashrrev_i32_e32 v7, 31, v6
.LBB83_81:
	s_wait_xcnt 0x0
	s_or_b32 exec_lo, exec_lo, s6
	s_wait_loadcnt 0x0
	v_dual_mov_b32 v4, v13 :: v_dual_mov_b32 v13, v12
.LBB83_82:
	s_or_b32 exec_lo, exec_lo, s17
.LBB83_83:
	s_delay_alu instid0(SALU_CYCLE_1)
	s_or_b32 exec_lo, exec_lo, s16
.LBB83_84:
	s_delay_alu instid0(SALU_CYCLE_1)
	s_or_b32 exec_lo, exec_lo, s1
	s_clause 0x3
	s_load_b128 s[8:11], s[20:21], 0x8
	s_load_b32 s28, s[20:21], 0x18
	s_load_b32 s36, s[20:21], 0x0
	s_load_b64 s[6:7], s[20:21], 0xa0
	s_cmp_lg_u64 s[22:23], 0
	s_get_pc_i64 s[12:13]
	s_add_nc_u64 s[12:13], s[12:13], .str.7@rel64+4
	s_get_pc_i64 s[14:15]
	s_add_nc_u64 s[14:15], s[14:15], .str.8@rel64+4
	s_cselect_b32 s37, -1, 0
	s_cmp_lg_u64 s[12:13], 0
	s_mov_b32 s1, -1
	s_cselect_b32 s34, -1, 0
	s_cmp_lg_u64 s[14:15], 0
	s_get_pc_i64 s[14:15]
	s_add_nc_u64 s[14:15], s[14:15], .str.9@rel64+4
	s_cselect_b32 s30, -1, 0
	s_mov_b32 s43, 0
	s_mov_b32 s41, 0
	;; [unrolled: 1-line block ×5, first 2 shown]
	s_wait_kmcnt 0x0
	v_cmp_gt_i64_e64 s9, s[10:11], 0
	s_add_co_i32 s12, s28, -1
	s_delay_alu instid0(SALU_CYCLE_1) | instskip(SKIP_1) | instid1(SALU_CYCLE_1)
	s_cmp_gt_i32 s12, -1
	s_cselect_b32 s13, -1, 0
	s_and_b32 s9, s9, s13
	s_cmp_lg_u64 s[14:15], 0
	s_cselect_b32 s29, -1, 0
	s_and_saveexec_b32 s31, s0
	s_cbranch_execz .LBB83_131
; %bb.85:
	s_wait_loadcnt 0x4
	v_cmp_eq_u32_e32 vcc_lo, s36, v21
	s_mov_b32 s13, -1
	s_mov_b32 s1, 0
	s_mov_b32 s14, 0
	;; [unrolled: 1-line block ×3, first 2 shown]
	s_and_b32 s17, s37, vcc_lo
	s_mov_b32 s16, 0
	s_and_saveexec_b32 s35, s17
	s_cbranch_execz .LBB83_130
; %bb.86:
	s_wait_loadcnt 0x3
	v_cmp_eq_u32_e32 vcc_lo, s10, v23
	s_and_b32 s16, s34, vcc_lo
	s_delay_alu instid0(SALU_CYCLE_1)
	s_and_saveexec_b32 s38, s16
	s_cbranch_execz .LBB83_129
; %bb.87:
	s_wait_loadcnt 0x1
	v_sub_nc_u32_e32 v5, v20, v22
	s_delay_alu instid0(VALU_DEP_1)
	v_cmp_le_i32_e32 vcc_lo, v21, v5
	v_cmp_ge_i32_e64 s1, s8, v5
	s_and_b32 s14, vcc_lo, s1
	s_mov_b32 s1, 0
	s_and_b32 s15, s30, s14
	s_mov_b32 s14, 0
	s_and_saveexec_b32 s39, s15
	s_cbranch_execz .LBB83_128
; %bb.88:
	v_mov_b64_e32 v[26:27], 0
	s_and_not1_b32 vcc_lo, exec_lo, s9
	s_cbranch_vccnz .LBB83_118
; %bb.89:
	s_wait_loadcnt 0x0
	v_ashrrev_i32_e32 v25, 31, v24
	s_ashr_i32 s13, s12, 31
	v_mov_b64_e32 v[26:27], 0
	s_lshl_b64 s[16:17], s[12:13], 3
	s_mov_b64 s[14:15], 0xffffffff
	v_mul_u64_e32 v[28:29], s[10:11], v[24:25]
	v_mov_b32_e32 v24, 0
	s_add_nc_u64 s[16:17], s[20:21], s[16:17]
	s_mov_b32 s19, 0
	s_add_nc_u64 s[16:17], s[16:17], 32
	s_mov_b32 s13, s28
	s_branch .LBB83_91
.LBB83_90:                              ;   in Loop: Header=BB83_91 Depth=1
	s_or_b32 exec_lo, exec_lo, s1
	s_delay_alu instid0(VALU_DEP_1)
	v_mul_u64_e32 v[32:33], s[22:23], v[30:31]
	s_load_b64 s[22:23], s[16:17], 0x40
	s_add_co_i32 s13, s13, -1
	s_wait_xcnt 0x0
	s_add_nc_u64 s[16:17], s[16:17], -8
	s_cmp_eq_u32 s13, 0
	s_delay_alu instid0(VALU_DEP_1) | instskip(SKIP_1) | instid1(VALU_DEP_1)
	v_sub_nc_u64_e32 v[28:29], v[28:29], v[32:33]
	s_wait_kmcnt 0x0
	v_mad_nc_u64_u32 v[26:27], v28, s22, v[26:27]
	s_delay_alu instid0(VALU_DEP_1) | instskip(NEXT) | instid1(VALU_DEP_1)
	v_mad_u32 v5, v29, s22, v27
	v_mad_u32 v27, v28, s23, v5
	v_mov_b64_e32 v[28:29], v[30:31]
	s_cbranch_scc1 .LBB83_118
.LBB83_91:                              ; =>This Inner Loop Header: Depth=1
	s_load_b64 s[22:23], s[16:17], 0x0
                                        ; implicit-def: $vgpr30_vgpr31
	s_mov_b32 s1, exec_lo
	s_wait_kmcnt 0x0
	s_delay_alu instid0(VALU_DEP_1) | instskip(NEXT) | instid1(VALU_DEP_1)
	v_or_b32_e32 v25, s23, v29
	v_cmpx_ne_u64_e32 0, v[24:25]
	s_xor_b32 s40, exec_lo, s1
	s_cbranch_execz .LBB83_93
; %bb.92:                               ;   in Loop: Header=BB83_91 Depth=1
	s_ashr_i32 s24, s23, 31
	v_dual_mov_b32 v35, v24 :: v_dual_ashrrev_i32 v30, 31, v29
	s_mov_b32 s25, s24
	s_delay_alu instid0(SALU_CYCLE_1) | instskip(NEXT) | instid1(VALU_DEP_1)
	s_add_nc_u64 s[26:27], s[22:23], s[24:25]
	v_mov_b32_e32 v31, v30
	s_xor_b64 s[26:27], s[26:27], s[24:25]
	s_delay_alu instid0(SALU_CYCLE_1)
	s_cvt_f32_u32 s1, s26
	s_cvt_f32_u32 s18, s27
	s_sub_nc_u64 s[46:47], 0, s[26:27]
	v_add_nc_u64_e32 v[32:33], v[28:29], v[30:31]
	v_mov_b32_e32 v39, v24
	s_fmamk_f32 s1, s18, 0x4f800000, s1
	s_delay_alu instid0(SALU_CYCLE_3) | instskip(NEXT) | instid1(VALU_DEP_2)
	v_s_rcp_f32 s1, s1
	v_xor_b32_e32 v34, v32, v30
	s_delay_alu instid0(VALU_DEP_3) | instskip(NEXT) | instid1(TRANS32_DEP_1)
	v_dual_mov_b32 v43, v24 :: v_dual_bitop2_b32 v38, v33, v30 bitop3:0x14
	s_mul_f32 s1, s1, 0x5f7ffffc
	s_delay_alu instid0(SALU_CYCLE_3) | instskip(NEXT) | instid1(SALU_CYCLE_3)
	s_mul_f32 s18, s1, 0x2f800000
	s_trunc_f32 s18, s18
	s_delay_alu instid0(SALU_CYCLE_3) | instskip(SKIP_1) | instid1(SALU_CYCLE_2)
	s_fmamk_f32 s1, s18, 0xcf800000, s1
	s_cvt_u32_f32 s45, s18
	s_cvt_u32_f32 s44, s1
	s_delay_alu instid0(SALU_CYCLE_3) | instskip(NEXT) | instid1(SALU_CYCLE_1)
	s_mul_u64 s[48:49], s[46:47], s[44:45]
	s_mul_hi_u32 s51, s44, s49
	s_mul_i32 s50, s44, s49
	s_mul_hi_u32 s18, s44, s48
	s_mul_i32 s25, s45, s48
	s_add_nc_u64 s[50:51], s[18:19], s[50:51]
	s_mul_hi_u32 s1, s45, s48
	s_mul_hi_u32 s41, s45, s49
	s_add_co_u32 s18, s50, s25
	s_add_co_ci_u32 s18, s51, s1
	s_mul_i32 s48, s45, s49
	s_add_co_ci_u32 s49, s41, 0
	s_delay_alu instid0(SALU_CYCLE_1) | instskip(NEXT) | instid1(SALU_CYCLE_1)
	s_add_nc_u64 s[48:49], s[18:19], s[48:49]
	s_add_co_u32 s44, s44, s48
	s_cselect_b32 s1, -1, 0
	s_delay_alu instid0(SALU_CYCLE_1) | instskip(SKIP_1) | instid1(SALU_CYCLE_1)
	s_cmp_lg_u32 s1, 0
	s_add_co_ci_u32 s45, s45, s49
	s_mul_u64 s[46:47], s[46:47], s[44:45]
	s_delay_alu instid0(SALU_CYCLE_1)
	s_mul_hi_u32 s49, s44, s47
	s_mul_i32 s48, s44, s47
	s_mul_hi_u32 s18, s44, s46
	s_mul_i32 s25, s45, s46
	s_add_nc_u64 s[48:49], s[18:19], s[48:49]
	s_mul_hi_u32 s1, s45, s46
	s_mul_hi_u32 s41, s45, s47
	s_add_co_u32 s18, s48, s25
	s_add_co_ci_u32 s18, s49, s1
	s_mul_i32 s46, s45, s47
	s_add_co_ci_u32 s47, s41, 0
	s_delay_alu instid0(SALU_CYCLE_1) | instskip(NEXT) | instid1(SALU_CYCLE_1)
	s_add_nc_u64 s[46:47], s[18:19], s[46:47]
	s_add_co_u32 s42, s44, s46
	s_cselect_b32 s1, -1, 0
	v_mul_hi_u32 v42, v34, s42
	s_cmp_lg_u32 s1, 0
	s_add_co_ci_u32 s18, s45, s47
	s_and_b64 s[44:45], s[42:43], s[14:15]
	v_mul_u64_e32 v[36:37], s[18:19], v[34:35]
	v_mul_u64_e32 v[32:33], s[44:45], v[38:39]
	;; [unrolled: 1-line block ×3, first 2 shown]
	s_delay_alu instid0(VALU_DEP_3) | instskip(NEXT) | instid1(VALU_DEP_1)
	v_add_nc_u64_e32 v[36:37], v[42:43], v[36:37]
	v_add_co_u32 v5, vcc_lo, v36, v32
	s_delay_alu instid0(VALU_DEP_2) | instskip(NEXT) | instid1(VALU_DEP_4)
	v_add_co_ci_u32_e32 v42, vcc_lo, v37, v33, vcc_lo
	v_add_co_ci_u32_e32 v41, vcc_lo, 0, v41, vcc_lo
	s_delay_alu instid0(VALU_DEP_1) | instskip(NEXT) | instid1(VALU_DEP_1)
	v_add_nc_u64_e32 v[32:33], v[42:43], v[40:41]
	v_mul_u64_e32 v[36:37], s[26:27], v[32:33]
	s_delay_alu instid0(VALU_DEP_1) | instskip(NEXT) | instid1(VALU_DEP_2)
	v_sub_nc_u32_e32 v5, v38, v37
	v_sub_co_u32 v12, vcc_lo, v34, v36
	s_delay_alu instid0(VALU_DEP_1) | instskip(NEXT) | instid1(VALU_DEP_3)
	v_sub_co_ci_u32_e64 v23, null, v38, v37, vcc_lo
	v_subrev_co_ci_u32_e64 v5, null, s27, v5, vcc_lo
	s_delay_alu instid0(VALU_DEP_3) | instskip(SKIP_1) | instid1(VALU_DEP_3)
	v_sub_co_u32 v21, s1, v12, s26
	v_add_nc_u64_e32 v[34:35], 2, v[32:33]
	v_subrev_co_ci_u32_e64 v5, null, 0, v5, s1
	s_delay_alu instid0(VALU_DEP_3) | instskip(SKIP_2) | instid1(VALU_DEP_4)
	v_cmp_le_u32_e32 vcc_lo, s26, v21
	v_add_nc_u64_e32 v[36:37], 1, v[32:33]
	v_cndmask_b32_e64 v21, 0, -1, vcc_lo
	v_cmp_le_u32_e32 vcc_lo, s27, v5
	v_cndmask_b32_e64 v25, 0, -1, vcc_lo
	v_cmp_le_u32_e32 vcc_lo, s26, v12
	;; [unrolled: 2-line block ×3, first 2 shown]
	v_cndmask_b32_e64 v31, 0, -1, vcc_lo
	v_cmp_eq_u32_e32 vcc_lo, s27, v5
	v_cndmask_b32_e32 v5, v25, v21, vcc_lo
	v_cmp_eq_u32_e32 vcc_lo, s27, v23
	s_delay_alu instid0(VALU_DEP_4) | instskip(NEXT) | instid1(VALU_DEP_3)
	v_cndmask_b32_e32 v12, v31, v12, vcc_lo
	v_cmp_ne_u32_e32 vcc_lo, 0, v5
	s_delay_alu instid0(VALU_DEP_2) | instskip(SKIP_1) | instid1(VALU_DEP_1)
	v_cmp_ne_u32_e64 s1, 0, v12
	v_dual_cndmask_b32 v5, v37, v35 :: v_dual_cndmask_b32 v12, v36, v34
	v_dual_cndmask_b32 v5, v33, v5, s1 :: v_dual_bitop2_b32 v30, s24, v30 bitop3:0x14
	s_delay_alu instid0(VALU_DEP_1) | instskip(NEXT) | instid1(VALU_DEP_2)
	v_dual_cndmask_b32 v12, v32, v12, s1 :: v_dual_mov_b32 v31, v30
	v_xor_b32_e32 v33, v5, v30
	s_delay_alu instid0(VALU_DEP_2) | instskip(NEXT) | instid1(VALU_DEP_1)
	v_xor_b32_e32 v32, v12, v30
	v_sub_nc_u64_e32 v[30:31], v[32:33], v[30:31]
.LBB83_93:                              ;   in Loop: Header=BB83_91 Depth=1
	s_and_not1_saveexec_b32 s1, s40
	s_cbranch_execz .LBB83_90
; %bb.94:                               ;   in Loop: Header=BB83_91 Depth=1
	v_cvt_f32_u32_e32 v5, s22
	s_sub_co_i32 s18, 0, s22
	v_mov_b32_e32 v31, v24
	s_delay_alu instid0(VALU_DEP_2) | instskip(SKIP_1) | instid1(TRANS32_DEP_1)
	v_rcp_iflag_f32_e32 v5, v5
	v_nop
	v_mul_f32_e32 v5, 0x4f7ffffe, v5
	s_delay_alu instid0(VALU_DEP_1) | instskip(NEXT) | instid1(VALU_DEP_1)
	v_cvt_u32_f32_e32 v5, v5
	v_mul_lo_u32 v12, s18, v5
	s_delay_alu instid0(VALU_DEP_1) | instskip(NEXT) | instid1(VALU_DEP_1)
	v_mul_hi_u32 v12, v5, v12
	v_add_nc_u32_e32 v5, v5, v12
	s_delay_alu instid0(VALU_DEP_1) | instskip(NEXT) | instid1(VALU_DEP_1)
	v_mul_hi_u32 v5, v28, v5
	v_mul_lo_u32 v12, v5, s22
	s_delay_alu instid0(VALU_DEP_1) | instskip(NEXT) | instid1(VALU_DEP_1)
	v_dual_add_nc_u32 v21, 1, v5 :: v_dual_sub_nc_u32 v12, v28, v12
	v_subrev_nc_u32_e32 v23, s22, v12
	v_cmp_le_u32_e32 vcc_lo, s22, v12
	s_delay_alu instid0(VALU_DEP_2) | instskip(NEXT) | instid1(VALU_DEP_1)
	v_dual_cndmask_b32 v12, v12, v23 :: v_dual_cndmask_b32 v5, v5, v21
	v_cmp_le_u32_e32 vcc_lo, s22, v12
	s_delay_alu instid0(VALU_DEP_2) | instskip(NEXT) | instid1(VALU_DEP_1)
	v_add_nc_u32_e32 v21, 1, v5
	v_cndmask_b32_e32 v30, v5, v21, vcc_lo
	s_branch .LBB83_90
.LBB83_95:
	s_or_b32 exec_lo, exec_lo, s34
	s_and_saveexec_b32 s0, s1
	s_cbranch_execnz .LBB83_70
.LBB83_96:
	s_or_b32 exec_lo, exec_lo, s0
	s_mov_b32 s0, 0
	s_and_saveexec_b32 s39, s31
	s_cbranch_execz .LBB83_71
.LBB83_97:
	v_mov_b64_e32 v[6:7], 0
	s_and_not1_b32 vcc_lo, exec_lo, s17
	s_cbranch_vccnz .LBB83_113
; %bb.98:
	s_wait_loadcnt 0x0
	v_dual_mov_b32 v6, v9 :: v_dual_ashrrev_i32 v7, 31, v9
	s_ashr_i32 s31, s30, 31
	v_mov_b32_e32 v8, 0
	s_lshl_b64 s[0:1], s[30:31], 3
	s_mov_b64 s[16:17], 0xffffffff
	v_mul_u64_e32 v[10:11], s[18:19], v[6:7]
	v_mov_b64_e32 v[6:7], 0
	s_add_nc_u64 s[0:1], s[20:21], s[0:1]
	s_delay_alu instid0(SALU_CYCLE_1)
	s_add_nc_u64 s[18:19], s[0:1], 32
	s_mov_b32 s1, 0
	s_branch .LBB83_100
.LBB83_99:                              ;   in Loop: Header=BB83_100 Depth=1
	s_or_b32 exec_lo, exec_lo, s0
	s_delay_alu instid0(VALU_DEP_1)
	v_mul_u64_e32 v[14:15], s[30:31], v[12:13]
	s_load_b64 s[30:31], s[18:19], 0x40
	s_add_co_i32 s26, s26, -1
	s_wait_xcnt 0x0
	s_add_nc_u64 s[18:19], s[18:19], -8
	s_cmp_lg_u32 s26, 0
	s_delay_alu instid0(VALU_DEP_1) | instskip(SKIP_1) | instid1(VALU_DEP_1)
	v_sub_nc_u64_e32 v[10:11], v[10:11], v[14:15]
	s_wait_kmcnt 0x0
	v_mad_nc_u64_u32 v[6:7], v10, s30, v[6:7]
	s_delay_alu instid0(VALU_DEP_1) | instskip(NEXT) | instid1(VALU_DEP_1)
	v_mad_u32 v1, v11, s30, v7
	v_mad_u32 v7, v10, s31, v1
	v_mov_b64_e32 v[10:11], v[12:13]
	s_cbranch_scc0 .LBB83_113
.LBB83_100:                             ; =>This Inner Loop Header: Depth=1
	s_load_b64 s[30:31], s[18:19], 0x0
                                        ; implicit-def: $vgpr12_vgpr13
	s_mov_b32 s0, exec_lo
	s_wait_kmcnt 0x0
	s_delay_alu instid0(VALU_DEP_1) | instskip(NEXT) | instid1(VALU_DEP_1)
	v_or_b32_e32 v9, s31, v11
	v_cmpx_ne_u64_e32 0, v[8:9]
	s_xor_b32 s40, exec_lo, s0
	s_cbranch_execz .LBB83_102
; %bb.101:                              ;   in Loop: Header=BB83_100 Depth=1
	s_ashr_i32 s34, s31, 31
	v_dual_mov_b32 v17, v8 :: v_dual_ashrrev_i32 v12, 31, v11
	s_mov_b32 s35, s34
	v_mov_b32_e32 v25, v8
	s_add_nc_u64 s[36:37], s[30:31], s[34:35]
	s_delay_alu instid0(VALU_DEP_2) | instskip(SKIP_1) | instid1(SALU_CYCLE_1)
	v_mov_b32_e32 v13, v12
	s_xor_b64 s[36:37], s[36:37], s[34:35]
	s_cvt_f32_u32 s0, s36
	s_cvt_f32_u32 s35, s37
	s_sub_nc_u64 s[46:47], 0, s[36:37]
	v_add_nc_u64_e32 v[14:15], v[10:11], v[12:13]
	v_mov_b32_e32 v21, v8
	s_fmamk_f32 s0, s35, 0x4f800000, s0
	s_delay_alu instid0(SALU_CYCLE_3) | instskip(NEXT) | instid1(VALU_DEP_2)
	v_s_rcp_f32 s0, s0
	v_xor_b32_e32 v16, v14, v12
	s_delay_alu instid0(VALU_DEP_3) | instskip(NEXT) | instid1(TRANS32_DEP_1)
	v_xor_b32_e32 v20, v15, v12
	s_mul_f32 s0, s0, 0x5f7ffffc
	s_delay_alu instid0(SALU_CYCLE_3) | instskip(NEXT) | instid1(SALU_CYCLE_3)
	s_mul_f32 s35, s0, 0x2f800000
	s_trunc_f32 s35, s35
	s_delay_alu instid0(SALU_CYCLE_3) | instskip(SKIP_1) | instid1(SALU_CYCLE_2)
	s_fmamk_f32 s0, s35, 0xcf800000, s0
	s_cvt_u32_f32 s43, s35
	s_cvt_u32_f32 s42, s0
	s_delay_alu instid0(SALU_CYCLE_3) | instskip(NEXT) | instid1(SALU_CYCLE_1)
	s_mul_u64 s[48:49], s[46:47], s[42:43]
	s_mul_hi_u32 s51, s42, s49
	s_mul_i32 s50, s42, s49
	s_mul_hi_u32 s0, s42, s48
	s_mul_i32 s41, s43, s48
	s_add_nc_u64 s[50:51], s[0:1], s[50:51]
	s_mul_hi_u32 s35, s43, s48
	s_mul_hi_u32 s45, s43, s49
	s_add_co_u32 s0, s50, s41
	s_add_co_ci_u32 s0, s51, s35
	s_mul_i32 s48, s43, s49
	s_add_co_ci_u32 s49, s45, 0
	s_delay_alu instid0(SALU_CYCLE_1) | instskip(NEXT) | instid1(SALU_CYCLE_1)
	s_add_nc_u64 s[48:49], s[0:1], s[48:49]
	s_add_co_u32 s42, s42, s48
	s_cselect_b32 s0, -1, 0
	s_delay_alu instid0(SALU_CYCLE_1) | instskip(SKIP_1) | instid1(SALU_CYCLE_1)
	s_cmp_lg_u32 s0, 0
	s_add_co_ci_u32 s43, s43, s49
	s_mul_u64 s[46:47], s[46:47], s[42:43]
	s_delay_alu instid0(SALU_CYCLE_1)
	s_mul_hi_u32 s49, s42, s47
	s_mul_i32 s48, s42, s47
	s_mul_hi_u32 s0, s42, s46
	s_mul_i32 s41, s43, s46
	s_add_nc_u64 s[48:49], s[0:1], s[48:49]
	s_mul_hi_u32 s35, s43, s46
	s_mul_hi_u32 s45, s43, s47
	s_add_co_u32 s0, s48, s41
	s_add_co_ci_u32 s0, s49, s35
	s_mul_i32 s46, s43, s47
	s_add_co_ci_u32 s47, s45, 0
	s_delay_alu instid0(SALU_CYCLE_1) | instskip(NEXT) | instid1(SALU_CYCLE_1)
	s_add_nc_u64 s[46:47], s[0:1], s[46:47]
	s_add_co_u32 s42, s42, s46
	s_cselect_b32 s0, -1, 0
	v_mul_hi_u32 v24, v16, s42
	s_cmp_lg_u32 s0, 0
	s_add_co_ci_u32 s0, s43, s47
	s_and_b64 s[46:47], s[42:43], s[16:17]
	v_mul_u64_e32 v[18:19], s[0:1], v[16:17]
	v_mul_u64_e32 v[14:15], s[46:47], v[20:21]
	;; [unrolled: 1-line block ×3, first 2 shown]
	s_delay_alu instid0(VALU_DEP_3) | instskip(NEXT) | instid1(VALU_DEP_1)
	v_add_nc_u64_e32 v[18:19], v[24:25], v[18:19]
	v_add_co_u32 v1, vcc_lo, v18, v14
	s_delay_alu instid0(VALU_DEP_2) | instskip(NEXT) | instid1(VALU_DEP_4)
	v_add_co_ci_u32_e32 v24, vcc_lo, v19, v15, vcc_lo
	v_add_co_ci_u32_e32 v23, vcc_lo, 0, v23, vcc_lo
	s_delay_alu instid0(VALU_DEP_1) | instskip(NEXT) | instid1(VALU_DEP_1)
	v_add_nc_u64_e32 v[14:15], v[24:25], v[22:23]
	v_mul_u64_e32 v[18:19], s[36:37], v[14:15]
	s_delay_alu instid0(VALU_DEP_1) | instskip(NEXT) | instid1(VALU_DEP_2)
	v_sub_nc_u32_e32 v1, v20, v19
	v_sub_co_u32 v2, vcc_lo, v16, v18
	s_delay_alu instid0(VALU_DEP_1) | instskip(NEXT) | instid1(VALU_DEP_3)
	v_sub_co_ci_u32_e64 v9, null, v20, v19, vcc_lo
	v_subrev_co_ci_u32_e64 v1, null, s37, v1, vcc_lo
	s_delay_alu instid0(VALU_DEP_3) | instskip(SKIP_1) | instid1(VALU_DEP_3)
	v_sub_co_u32 v4, s0, v2, s36
	v_add_nc_u64_e32 v[16:17], 2, v[14:15]
	v_subrev_co_ci_u32_e64 v1, null, 0, v1, s0
	s_delay_alu instid0(VALU_DEP_3) | instskip(SKIP_2) | instid1(VALU_DEP_4)
	v_cmp_le_u32_e32 vcc_lo, s36, v4
	v_add_nc_u64_e32 v[18:19], 1, v[14:15]
	v_cndmask_b32_e64 v4, 0, -1, vcc_lo
	v_cmp_le_u32_e32 vcc_lo, s37, v1
	v_cndmask_b32_e64 v13, 0, -1, vcc_lo
	v_cmp_le_u32_e32 vcc_lo, s36, v2
	;; [unrolled: 2-line block ×3, first 2 shown]
	v_cndmask_b32_e64 v20, 0, -1, vcc_lo
	v_cmp_eq_u32_e32 vcc_lo, s37, v1
	v_cndmask_b32_e32 v1, v13, v4, vcc_lo
	v_cmp_eq_u32_e32 vcc_lo, s37, v9
	s_delay_alu instid0(VALU_DEP_4) | instskip(NEXT) | instid1(VALU_DEP_3)
	v_cndmask_b32_e32 v2, v20, v2, vcc_lo
	v_cmp_ne_u32_e32 vcc_lo, 0, v1
	s_delay_alu instid0(VALU_DEP_2) | instskip(SKIP_1) | instid1(VALU_DEP_1)
	v_cmp_ne_u32_e64 s0, 0, v2
	v_dual_cndmask_b32 v1, v19, v17 :: v_dual_cndmask_b32 v2, v18, v16
	v_dual_cndmask_b32 v1, v15, v1, s0 :: v_dual_bitop2_b32 v12, s34, v12 bitop3:0x14
	s_delay_alu instid0(VALU_DEP_1) | instskip(NEXT) | instid1(VALU_DEP_2)
	v_dual_cndmask_b32 v2, v14, v2, s0 :: v_dual_mov_b32 v13, v12
	v_xor_b32_e32 v15, v1, v12
	s_delay_alu instid0(VALU_DEP_2) | instskip(NEXT) | instid1(VALU_DEP_1)
	v_xor_b32_e32 v14, v2, v12
	v_sub_nc_u64_e32 v[12:13], v[14:15], v[12:13]
.LBB83_102:                             ;   in Loop: Header=BB83_100 Depth=1
	s_and_not1_saveexec_b32 s0, s40
	s_cbranch_execz .LBB83_99
; %bb.103:                              ;   in Loop: Header=BB83_100 Depth=1
	v_cvt_f32_u32_e32 v1, s30
	s_sub_co_i32 s34, 0, s30
	v_mov_b32_e32 v13, v8
	s_delay_alu instid0(VALU_DEP_2) | instskip(SKIP_1) | instid1(TRANS32_DEP_1)
	v_rcp_iflag_f32_e32 v1, v1
	v_nop
	v_mul_f32_e32 v1, 0x4f7ffffe, v1
	s_delay_alu instid0(VALU_DEP_1) | instskip(NEXT) | instid1(VALU_DEP_1)
	v_cvt_u32_f32_e32 v1, v1
	v_mul_lo_u32 v2, s34, v1
	s_delay_alu instid0(VALU_DEP_1) | instskip(NEXT) | instid1(VALU_DEP_1)
	v_mul_hi_u32 v2, v1, v2
	v_add_nc_u32_e32 v1, v1, v2
	s_delay_alu instid0(VALU_DEP_1) | instskip(NEXT) | instid1(VALU_DEP_1)
	v_mul_hi_u32 v1, v10, v1
	v_mul_lo_u32 v2, v1, s30
	s_delay_alu instid0(VALU_DEP_1) | instskip(NEXT) | instid1(VALU_DEP_1)
	v_dual_add_nc_u32 v4, 1, v1 :: v_dual_sub_nc_u32 v2, v10, v2
	v_subrev_nc_u32_e32 v9, s30, v2
	v_cmp_le_u32_e32 vcc_lo, s30, v2
	s_delay_alu instid0(VALU_DEP_2) | instskip(NEXT) | instid1(VALU_DEP_1)
	v_dual_cndmask_b32 v2, v2, v9 :: v_dual_cndmask_b32 v1, v1, v4
	v_cmp_le_u32_e32 vcc_lo, s30, v2
	s_delay_alu instid0(VALU_DEP_2) | instskip(NEXT) | instid1(VALU_DEP_1)
	v_add_nc_u32_e32 v4, 1, v1
	v_cndmask_b32_e32 v12, v1, v4, vcc_lo
	s_branch .LBB83_99
.LBB83_104:
                                        ; implicit-def: $sgpr0
                                        ; implicit-def: $sgpr31
                                        ; implicit-def: $sgpr40
                                        ; implicit-def: $sgpr22
                                        ; implicit-def: $vgpr0
	s_and_saveexec_b32 s1, s3
.LBB83_105:
	; divergent unreachable
.LBB83_106:
	s_delay_alu instid0(SALU_CYCLE_1)
	s_or_b32 exec_lo, exec_lo, s1
	s_and_saveexec_b32 s1, s44
	s_cbranch_execz .LBB83_112
; %bb.107:
	s_and_b32 exec_lo, exec_lo, s0
	s_cbranch_execz .LBB83_112
; %bb.108:
	s_wait_loadcnt 0x2
	v_dual_mov_b32 v1, 0 :: v_dual_bitop2_b32 v2, s2, v0 bitop3:0x54
	global_store_b32 v2, v1, s[4:5] scale_offset
	s_wait_xcnt 0x0
	s_and_b32 exec_lo, exec_lo, s31
	s_cbranch_execz .LBB83_112
; %bb.109:
	v_add_nc_u32_e32 v0, s2, v0
	global_store_b32 v0, v1, s[4:5] offset:1024 scale_offset
	s_wait_xcnt 0x0
	s_and_b32 exec_lo, exec_lo, s40
	s_cbranch_execz .LBB83_112
; %bb.110:
	v_lshl_add_u64 v[0:1], v[0:1], 2, s[4:5]
	v_mov_b32_e32 v2, 0
	global_store_b32 v[0:1], v2, off offset:2048
	s_wait_xcnt 0x0
	s_and_b32 exec_lo, exec_lo, s22
	s_cbranch_execz .LBB83_112
; %bb.111:
	global_store_b32 v[0:1], v2, off offset:3072
.LBB83_112:
	s_endpgm
.LBB83_113:
	s_mov_b32 s1, s38
	s_mov_b32 s0, exec_lo
	s_wait_loadcnt 0x2
	v_cmpx_gt_i32_e64 v3, v5
	s_cbranch_execz .LBB83_124
; %bb.114:
	s_delay_alu instid0(VALU_DEP_2)
	v_lshlrev_b64_e32 v[6:7], 2, v[6:7]
	s_wait_loadcnt 0x0
	v_dual_mov_b32 v8, v5 :: v_dual_ashrrev_i32 v9, 31, v5
	s_mov_b32 s1, 0
	s_wait_kmcnt 0x0
	s_xor_b32 s17, s27, -1
                                        ; implicit-def: $sgpr16
                                        ; implicit-def: $sgpr19
                                        ; implicit-def: $sgpr18
	s_delay_alu instid0(VALU_DEP_1) | instskip(SKIP_2) | instid1(VALU_DEP_3)
	v_lshl_add_u64 v[4:5], v[8:9], 2, v[6:7]
	v_add_nc_u64_e32 v[6:7], s[28:29], v[6:7]
	v_dual_mov_b32 v8, v3 :: v_dual_ashrrev_i32 v9, 31, v3
	v_add_nc_u64_e32 v[4:5], s[28:29], v[4:5]
	s_delay_alu instid0(VALU_DEP_1) | instskip(NEXT) | instid1(VALU_DEP_3)
	v_add_nc_u64_e32 v[2:3], 4, v[4:5]
	v_lshl_add_u64 v[4:5], v[8:9], 2, v[6:7]
	s_branch .LBB83_116
.LBB83_115:                             ;   in Loop: Header=BB83_116 Depth=1
	s_or_b32 exec_lo, exec_lo, s26
	s_xor_b32 s26, s18, -1
	s_and_b32 s27, exec_lo, s19
	s_delay_alu instid0(SALU_CYCLE_1) | instskip(SKIP_2) | instid1(SALU_CYCLE_1)
	s_or_b32 s1, s27, s1
	s_and_not1_b32 s16, s16, exec_lo
	s_and_b32 s26, s26, exec_lo
	s_or_b32 s16, s16, s26
	s_and_not1_b32 exec_lo, exec_lo, s1
	s_cbranch_execz .LBB83_123
.LBB83_116:                             ; =>This Inner Loop Header: Depth=1
	s_or_b32 s18, s18, exec_lo
	s_or_b32 s19, s19, exec_lo
	s_mov_b32 s26, exec_lo
	s_delay_alu instid0(VALU_DEP_2)
	v_cmpx_lt_u64_e64 v[2:3], v[4:5]
	s_cbranch_execz .LBB83_115
; %bb.117:                              ;   in Loop: Header=BB83_116 Depth=1
	global_load_b64 v[6:7], v[2:3], off offset:-4
	s_wait_xcnt 0x0
	v_add_nc_u64_e32 v[2:3], 4, v[2:3]
	s_and_not1_b32 s19, s19, exec_lo
	s_and_not1_b32 s18, s18, exec_lo
	s_wait_loadcnt 0x0
	v_cmp_ge_i32_e32 vcc_lo, v6, v7
	s_or_b32 s27, s17, vcc_lo
	s_delay_alu instid0(SALU_CYCLE_1) | instskip(NEXT) | instid1(SALU_CYCLE_1)
	s_and_b32 s27, s27, exec_lo
	s_or_b32 s19, s19, s27
	s_branch .LBB83_115
.LBB83_118:
	s_mov_b32 s15, -1
	s_mov_b32 s13, 0
	s_mov_b32 s1, exec_lo
	v_cmpx_gt_i32_e64 v20, v22
	s_cbranch_execz .LBB83_127
; %bb.119:
	s_wait_loadcnt 0x0
	s_delay_alu instid0(VALU_DEP_2) | instskip(SKIP_2) | instid1(VALU_DEP_1)
	v_lshlrev_b64_e32 v[24:25], 2, v[26:27]
	v_dual_ashrrev_i32 v23, 31, v22 :: v_dual_ashrrev_i32 v21, 31, v20
	s_xor_b32 s15, s29, -1
                                        ; implicit-def: $sgpr14
                                        ; implicit-def: $sgpr17
                                        ; implicit-def: $sgpr16
	v_lshl_add_u64 v[22:23], v[22:23], 2, v[24:25]
	v_add_nc_u64_e32 v[24:25], s[6:7], v[24:25]
	s_delay_alu instid0(VALU_DEP_2) | instskip(NEXT) | instid1(VALU_DEP_2)
	v_add_nc_u64_e32 v[22:23], s[6:7], v[22:23]
	v_lshl_add_u64 v[20:21], v[20:21], 2, v[24:25]
	s_delay_alu instid0(VALU_DEP_2)
	v_add_nc_u64_e32 v[22:23], 4, v[22:23]
	s_branch .LBB83_121
.LBB83_120:                             ;   in Loop: Header=BB83_121 Depth=1
	s_or_b32 exec_lo, exec_lo, s18
	s_delay_alu instid0(SALU_CYCLE_1) | instskip(NEXT) | instid1(SALU_CYCLE_1)
	s_and_b32 s18, exec_lo, s17
	s_or_b32 s13, s18, s13
	s_and_not1_b32 s14, s14, exec_lo
	s_and_b32 s18, s16, exec_lo
	s_delay_alu instid0(SALU_CYCLE_1)
	s_or_b32 s14, s14, s18
	s_and_not1_b32 exec_lo, exec_lo, s13
	s_cbranch_execz .LBB83_126
.LBB83_121:                             ; =>This Inner Loop Header: Depth=1
	s_or_b32 s16, s16, exec_lo
	s_or_b32 s17, s17, exec_lo
	s_mov_b32 s18, exec_lo
	s_delay_alu instid0(VALU_DEP_1)
	v_cmpx_lt_u64_e64 v[22:23], v[20:21]
	s_cbranch_execz .LBB83_120
; %bb.122:                              ;   in Loop: Header=BB83_121 Depth=1
	global_load_b64 v[24:25], v[22:23], off offset:-4
	s_wait_xcnt 0x0
	v_add_nc_u64_e32 v[22:23], 4, v[22:23]
	s_and_not1_b32 s17, s17, exec_lo
	s_and_not1_b32 s16, s16, exec_lo
	s_wait_loadcnt 0x0
	v_cmp_ge_i32_e32 vcc_lo, v24, v25
	s_or_b32 s19, s15, vcc_lo
	s_delay_alu instid0(SALU_CYCLE_1) | instskip(NEXT) | instid1(SALU_CYCLE_1)
	s_and_b32 s19, s19, exec_lo
	s_or_b32 s17, s17, s19
	s_branch .LBB83_120
.LBB83_123:
	s_or_b32 exec_lo, exec_lo, s1
	s_delay_alu instid0(SALU_CYCLE_1) | instskip(SKIP_1) | instid1(SALU_CYCLE_1)
	s_and_not1_b32 s1, s38, exec_lo
	s_and_b32 s16, s16, exec_lo
	s_or_b32 s1, s1, s16
.LBB83_124:
	s_or_b32 exec_lo, exec_lo, s0
	s_delay_alu instid0(SALU_CYCLE_1)
	s_and_not1_b32 s16, s38, exec_lo
	s_and_b32 s1, s1, exec_lo
	s_mov_b32 s0, exec_lo
	s_or_b32 s38, s16, s1
	s_or_b32 exec_lo, exec_lo, s39
	s_and_saveexec_b32 s1, s38
	s_cbranch_execz .LBB83_72
.LBB83_125:
	s_or_b32 s3, s3, exec_lo
	s_and_not1_b32 s0, s0, exec_lo
	s_trap 2
	s_or_b32 exec_lo, exec_lo, s1
	s_and_saveexec_b32 s1, s0
	s_delay_alu instid0(SALU_CYCLE_1)
	s_xor_b32 s0, exec_lo, s1
	s_cbranch_execnz .LBB83_73
	s_branch .LBB83_74
.LBB83_126:
	s_or_b32 exec_lo, exec_lo, s13
	s_delay_alu instid0(SALU_CYCLE_1)
	s_mov_b32 s13, exec_lo
	s_or_not1_b32 s15, s14, exec_lo
.LBB83_127:
	s_or_b32 exec_lo, exec_lo, s1
	s_delay_alu instid0(SALU_CYCLE_1)
	s_and_b32 s14, s13, exec_lo
	s_xor_b32 s13, exec_lo, -1
	s_and_b32 s1, s15, exec_lo
.LBB83_128:
	s_or_b32 exec_lo, exec_lo, s39
	s_delay_alu instid0(SALU_CYCLE_1)
	s_and_b32 s15, s14, exec_lo
	s_and_b32 s14, s13, exec_lo
	s_xor_b32 s13, exec_lo, -1
	s_and_b32 s1, s1, exec_lo
.LBB83_129:
	s_or_b32 exec_lo, exec_lo, s38
	s_delay_alu instid0(SALU_CYCLE_1)
	s_and_b32 s16, s15, exec_lo
	s_and_b32 s15, s14, exec_lo
	;; [unrolled: 1-line block ×3, first 2 shown]
	s_xor_b32 s13, exec_lo, -1
	s_and_b32 s1, s1, exec_lo
.LBB83_130:
	s_or_b32 exec_lo, exec_lo, s35
	s_delay_alu instid0(SALU_CYCLE_1)
	s_and_b32 s35, s16, exec_lo
	s_and_b32 s38, s15, exec_lo
	;; [unrolled: 1-line block ×4, first 2 shown]
	s_or_not1_b32 s1, s1, exec_lo
.LBB83_131:
	s_or_b32 exec_lo, exec_lo, s31
	s_mov_b32 s44, 0
                                        ; implicit-def: $sgpr31
                                        ; implicit-def: $sgpr40
                                        ; implicit-def: $sgpr22
	s_and_saveexec_b32 s42, s1
	s_cbranch_execz .LBB83_143
; %bb.132:
	v_cmp_gt_i32_e64 s31, s33, v17
	s_mov_b32 s1, -1
	s_mov_b32 s48, 0
	s_mov_b32 s43, s41
	;; [unrolled: 1-line block ×4, first 2 shown]
	s_and_saveexec_b32 s40, s31
	s_cbranch_execz .LBB83_179
; %bb.133:
	s_wait_loadcnt 0x4
	v_cmp_eq_u32_e32 vcc_lo, s36, v15
	s_mov_b32 s13, -1
	s_mov_b32 s1, 0
	s_mov_b32 s15, s39
	;; [unrolled: 1-line block ×3, first 2 shown]
	s_and_b32 s17, s37, vcc_lo
	s_mov_b32 s14, 0
	s_and_saveexec_b32 s43, s17
	s_cbranch_execz .LBB83_178
; %bb.134:
	s_wait_loadcnt 0x3
	v_cmp_eq_u32_e32 vcc_lo, s10, v19
	s_mov_b32 s15, s38
	s_and_b32 s16, s34, vcc_lo
	s_delay_alu instid0(SALU_CYCLE_1)
	s_and_saveexec_b32 s44, s16
	s_cbranch_execz .LBB83_177
; %bb.135:
	s_wait_loadcnt 0x1
	v_sub_nc_u32_e32 v5, v14, v16
	s_delay_alu instid0(VALU_DEP_1)
	v_cmp_le_i32_e32 vcc_lo, v15, v5
	v_cmp_ge_i32_e64 s1, s8, v5
	s_and_b32 s14, vcc_lo, s1
	s_mov_b32 s1, 0
	s_and_b32 s15, s30, s14
	s_mov_b32 s14, 0
	s_and_saveexec_b32 s45, s15
	s_cbranch_execz .LBB83_176
; %bb.136:
	v_mov_b64_e32 v[20:21], 0
	s_and_not1_b32 vcc_lo, exec_lo, s9
	s_cbranch_vccnz .LBB83_169
; %bb.137:
	s_wait_loadcnt 0x0
	v_ashrrev_i32_e32 v19, 31, v18
	s_ashr_i32 s13, s12, 31
	v_mov_b64_e32 v[20:21], 0
	s_lshl_b64 s[16:17], s[12:13], 3
	s_mov_b64 s[14:15], 0xffffffff
	v_mul_u64_e32 v[22:23], s[10:11], v[18:19]
	v_mov_b32_e32 v18, 0
	s_add_nc_u64 s[16:17], s[20:21], s[16:17]
	s_mov_b32 s19, 0
	s_add_nc_u64 s[16:17], s[16:17], 32
	s_mov_b32 s13, s28
	s_branch .LBB83_139
.LBB83_138:                             ;   in Loop: Header=BB83_139 Depth=1
	s_or_b32 exec_lo, exec_lo, s1
	s_delay_alu instid0(VALU_DEP_1)
	v_mul_u64_e32 v[26:27], s[22:23], v[24:25]
	s_load_b64 s[22:23], s[16:17], 0x40
	s_add_co_i32 s13, s13, -1
	s_wait_xcnt 0x0
	s_add_nc_u64 s[16:17], s[16:17], -8
	s_cmp_lg_u32 s13, 0
	s_delay_alu instid0(VALU_DEP_1) | instskip(SKIP_1) | instid1(VALU_DEP_1)
	v_sub_nc_u64_e32 v[22:23], v[22:23], v[26:27]
	s_wait_kmcnt 0x0
	v_mad_nc_u64_u32 v[20:21], v22, s22, v[20:21]
	s_delay_alu instid0(VALU_DEP_1) | instskip(NEXT) | instid1(VALU_DEP_1)
	v_mad_u32 v5, v23, s22, v21
	v_mad_u32 v21, v22, s23, v5
	v_mov_b64_e32 v[22:23], v[24:25]
	s_cbranch_scc0 .LBB83_169
.LBB83_139:                             ; =>This Inner Loop Header: Depth=1
	s_load_b64 s[22:23], s[16:17], 0x0
                                        ; implicit-def: $vgpr24_vgpr25
	s_mov_b32 s1, exec_lo
	s_wait_kmcnt 0x0
	s_delay_alu instid0(VALU_DEP_1) | instskip(NEXT) | instid1(VALU_DEP_1)
	v_or_b32_e32 v19, s23, v23
	v_cmpx_ne_u64_e32 0, v[18:19]
	s_xor_b32 s46, exec_lo, s1
	s_cbranch_execz .LBB83_141
; %bb.140:                              ;   in Loop: Header=BB83_139 Depth=1
	s_ashr_i32 s24, s23, 31
	v_dual_mov_b32 v29, v18 :: v_dual_ashrrev_i32 v24, 31, v23
	s_mov_b32 s25, s24
	s_delay_alu instid0(SALU_CYCLE_1) | instskip(NEXT) | instid1(VALU_DEP_1)
	s_add_nc_u64 s[26:27], s[22:23], s[24:25]
	v_mov_b32_e32 v25, v24
	s_xor_b64 s[26:27], s[26:27], s[24:25]
	s_delay_alu instid0(SALU_CYCLE_1)
	s_cvt_f32_u32 s1, s26
	s_cvt_f32_u32 s18, s27
	s_sub_nc_u64 s[52:53], 0, s[26:27]
	v_add_nc_u64_e32 v[26:27], v[22:23], v[24:25]
	v_mov_b32_e32 v33, v18
	s_fmamk_f32 s1, s18, 0x4f800000, s1
	s_delay_alu instid0(SALU_CYCLE_3) | instskip(NEXT) | instid1(VALU_DEP_2)
	v_s_rcp_f32 s1, s1
	v_xor_b32_e32 v28, v26, v24
	s_delay_alu instid0(VALU_DEP_3) | instskip(NEXT) | instid1(TRANS32_DEP_1)
	v_dual_mov_b32 v37, v18 :: v_dual_bitop2_b32 v32, v27, v24 bitop3:0x14
	s_mul_f32 s1, s1, 0x5f7ffffc
	s_delay_alu instid0(SALU_CYCLE_3) | instskip(NEXT) | instid1(SALU_CYCLE_3)
	s_mul_f32 s18, s1, 0x2f800000
	s_trunc_f32 s18, s18
	s_delay_alu instid0(SALU_CYCLE_3) | instskip(SKIP_1) | instid1(SALU_CYCLE_2)
	s_fmamk_f32 s1, s18, 0xcf800000, s1
	s_cvt_u32_f32 s51, s18
	s_cvt_u32_f32 s50, s1
	s_delay_alu instid0(SALU_CYCLE_3) | instskip(NEXT) | instid1(SALU_CYCLE_1)
	s_mul_u64 s[54:55], s[52:53], s[50:51]
	s_mul_hi_u32 s57, s50, s55
	s_mul_i32 s56, s50, s55
	s_mul_hi_u32 s18, s50, s54
	s_mul_i32 s25, s51, s54
	s_add_nc_u64 s[56:57], s[18:19], s[56:57]
	s_mul_hi_u32 s1, s51, s54
	s_mul_hi_u32 s47, s51, s55
	s_add_co_u32 s18, s56, s25
	s_add_co_ci_u32 s18, s57, s1
	s_mul_i32 s54, s51, s55
	s_add_co_ci_u32 s55, s47, 0
	s_delay_alu instid0(SALU_CYCLE_1) | instskip(NEXT) | instid1(SALU_CYCLE_1)
	s_add_nc_u64 s[54:55], s[18:19], s[54:55]
	s_add_co_u32 s50, s50, s54
	s_cselect_b32 s1, -1, 0
	s_delay_alu instid0(SALU_CYCLE_1) | instskip(SKIP_1) | instid1(SALU_CYCLE_1)
	s_cmp_lg_u32 s1, 0
	s_add_co_ci_u32 s51, s51, s55
	s_mul_u64 s[52:53], s[52:53], s[50:51]
	s_delay_alu instid0(SALU_CYCLE_1)
	s_mul_hi_u32 s55, s50, s53
	s_mul_i32 s54, s50, s53
	s_mul_hi_u32 s18, s50, s52
	s_mul_i32 s25, s51, s52
	s_add_nc_u64 s[54:55], s[18:19], s[54:55]
	s_mul_hi_u32 s1, s51, s52
	s_mul_hi_u32 s47, s51, s53
	s_add_co_u32 s18, s54, s25
	s_add_co_ci_u32 s18, s55, s1
	s_mul_i32 s52, s51, s53
	s_add_co_ci_u32 s53, s47, 0
	s_delay_alu instid0(SALU_CYCLE_1) | instskip(NEXT) | instid1(SALU_CYCLE_1)
	s_add_nc_u64 s[52:53], s[18:19], s[52:53]
	s_add_co_u32 s50, s50, s52
	s_cselect_b32 s1, -1, 0
	v_mul_hi_u32 v36, v28, s50
	s_cmp_lg_u32 s1, 0
	s_add_co_ci_u32 s18, s51, s53
	s_and_b64 s[52:53], s[50:51], s[14:15]
	v_mul_u64_e32 v[30:31], s[18:19], v[28:29]
	v_mul_u64_e32 v[26:27], s[52:53], v[32:33]
	;; [unrolled: 1-line block ×3, first 2 shown]
	s_delay_alu instid0(VALU_DEP_3) | instskip(NEXT) | instid1(VALU_DEP_1)
	v_add_nc_u64_e32 v[30:31], v[36:37], v[30:31]
	v_add_co_u32 v5, vcc_lo, v30, v26
	s_delay_alu instid0(VALU_DEP_2) | instskip(NEXT) | instid1(VALU_DEP_4)
	v_add_co_ci_u32_e32 v36, vcc_lo, v31, v27, vcc_lo
	v_add_co_ci_u32_e32 v35, vcc_lo, 0, v35, vcc_lo
	s_delay_alu instid0(VALU_DEP_1) | instskip(NEXT) | instid1(VALU_DEP_1)
	v_add_nc_u64_e32 v[26:27], v[36:37], v[34:35]
	v_mul_u64_e32 v[30:31], s[26:27], v[26:27]
	s_delay_alu instid0(VALU_DEP_1) | instskip(NEXT) | instid1(VALU_DEP_2)
	v_sub_nc_u32_e32 v5, v32, v31
	v_sub_co_u32 v12, vcc_lo, v28, v30
	s_delay_alu instid0(VALU_DEP_1) | instskip(NEXT) | instid1(VALU_DEP_3)
	v_sub_co_ci_u32_e64 v17, null, v32, v31, vcc_lo
	v_subrev_co_ci_u32_e64 v5, null, s27, v5, vcc_lo
	s_delay_alu instid0(VALU_DEP_3) | instskip(SKIP_1) | instid1(VALU_DEP_3)
	v_sub_co_u32 v15, s1, v12, s26
	v_add_nc_u64_e32 v[28:29], 2, v[26:27]
	v_subrev_co_ci_u32_e64 v5, null, 0, v5, s1
	s_delay_alu instid0(VALU_DEP_3) | instskip(SKIP_2) | instid1(VALU_DEP_4)
	v_cmp_le_u32_e32 vcc_lo, s26, v15
	v_add_nc_u64_e32 v[30:31], 1, v[26:27]
	v_cndmask_b32_e64 v15, 0, -1, vcc_lo
	v_cmp_le_u32_e32 vcc_lo, s27, v5
	v_cndmask_b32_e64 v19, 0, -1, vcc_lo
	v_cmp_le_u32_e32 vcc_lo, s26, v12
	;; [unrolled: 2-line block ×3, first 2 shown]
	v_cndmask_b32_e64 v25, 0, -1, vcc_lo
	v_cmp_eq_u32_e32 vcc_lo, s27, v5
	v_cndmask_b32_e32 v5, v19, v15, vcc_lo
	v_cmp_eq_u32_e32 vcc_lo, s27, v17
	s_delay_alu instid0(VALU_DEP_4) | instskip(NEXT) | instid1(VALU_DEP_3)
	v_cndmask_b32_e32 v12, v25, v12, vcc_lo
	v_cmp_ne_u32_e32 vcc_lo, 0, v5
	s_delay_alu instid0(VALU_DEP_2) | instskip(SKIP_1) | instid1(VALU_DEP_1)
	v_cmp_ne_u32_e64 s1, 0, v12
	v_dual_cndmask_b32 v5, v31, v29 :: v_dual_cndmask_b32 v12, v30, v28
	v_dual_cndmask_b32 v5, v27, v5, s1 :: v_dual_bitop2_b32 v24, s24, v24 bitop3:0x14
	s_delay_alu instid0(VALU_DEP_1) | instskip(NEXT) | instid1(VALU_DEP_2)
	v_dual_cndmask_b32 v12, v26, v12, s1 :: v_dual_mov_b32 v25, v24
	v_xor_b32_e32 v27, v5, v24
	s_delay_alu instid0(VALU_DEP_2) | instskip(NEXT) | instid1(VALU_DEP_1)
	v_xor_b32_e32 v26, v12, v24
	v_sub_nc_u64_e32 v[24:25], v[26:27], v[24:25]
.LBB83_141:                             ;   in Loop: Header=BB83_139 Depth=1
	s_and_not1_saveexec_b32 s1, s46
	s_cbranch_execz .LBB83_138
; %bb.142:                              ;   in Loop: Header=BB83_139 Depth=1
	v_cvt_f32_u32_e32 v5, s22
	s_sub_co_i32 s18, 0, s22
	v_mov_b32_e32 v25, v18
	s_delay_alu instid0(VALU_DEP_2) | instskip(SKIP_1) | instid1(TRANS32_DEP_1)
	v_rcp_iflag_f32_e32 v5, v5
	v_nop
	v_mul_f32_e32 v5, 0x4f7ffffe, v5
	s_delay_alu instid0(VALU_DEP_1) | instskip(NEXT) | instid1(VALU_DEP_1)
	v_cvt_u32_f32_e32 v5, v5
	v_mul_lo_u32 v12, s18, v5
	s_delay_alu instid0(VALU_DEP_1) | instskip(NEXT) | instid1(VALU_DEP_1)
	v_mul_hi_u32 v12, v5, v12
	v_add_nc_u32_e32 v5, v5, v12
	s_delay_alu instid0(VALU_DEP_1) | instskip(NEXT) | instid1(VALU_DEP_1)
	v_mul_hi_u32 v5, v22, v5
	v_mul_lo_u32 v12, v5, s22
	s_delay_alu instid0(VALU_DEP_1) | instskip(NEXT) | instid1(VALU_DEP_1)
	v_dual_add_nc_u32 v15, 1, v5 :: v_dual_sub_nc_u32 v12, v22, v12
	v_subrev_nc_u32_e32 v17, s22, v12
	v_cmp_le_u32_e32 vcc_lo, s22, v12
	s_delay_alu instid0(VALU_DEP_2) | instskip(NEXT) | instid1(VALU_DEP_1)
	v_dual_cndmask_b32 v12, v12, v17 :: v_dual_cndmask_b32 v5, v5, v15
	v_cmp_le_u32_e32 vcc_lo, s22, v12
	s_delay_alu instid0(VALU_DEP_2) | instskip(NEXT) | instid1(VALU_DEP_1)
	v_add_nc_u32_e32 v15, 1, v5
	v_cndmask_b32_e32 v24, v5, v15, vcc_lo
	s_branch .LBB83_138
.LBB83_143:
	s_or_b32 exec_lo, exec_lo, s42
	s_and_saveexec_b32 s1, s41
	s_cbranch_execnz .LBB83_207
.LBB83_144:
	s_or_b32 exec_lo, exec_lo, s1
	s_mov_b32 s1, 0
	s_and_saveexec_b32 s13, s43
	s_delay_alu instid0(SALU_CYCLE_1)
	s_xor_b32 s13, exec_lo, s13
; %bb.145:
	v_cmp_ne_u32_e32 vcc_lo, s10, v3
	s_xor_b32 s14, s34, -1
	s_and_not1_b32 s15, s39, exec_lo
	s_mov_b32 s1, exec_lo
	s_or_b32 s14, s14, vcc_lo
	s_delay_alu instid0(SALU_CYCLE_1) | instskip(NEXT) | instid1(SALU_CYCLE_1)
	s_and_b32 s14, s14, exec_lo
	s_or_b32 s39, s15, s14
; %bb.146:
	s_or_b32 exec_lo, exec_lo, s13
	s_and_saveexec_b32 s13, s39
	s_cbranch_execnz .LBB83_210
.LBB83_147:
	s_or_b32 exec_lo, exec_lo, s13
	s_mov_b32 s13, 0
	s_and_saveexec_b32 s14, s1
	s_delay_alu instid0(SALU_CYCLE_1)
	s_xor_b32 s14, exec_lo, s14
	s_cbranch_execz .LBB83_152
; %bb.148:
	v_sub_nc_u32_e32 v3, v4, v2
	s_mov_b32 s13, exec_lo
	s_delay_alu instid0(VALU_DEP_1) | instskip(SKIP_3) | instid1(SALU_CYCLE_1)
	v_cmp_le_i32_e32 vcc_lo, v1, v3
	v_cmp_ge_i32_e64 s1, s8, v3
	s_and_not1_b32 s8, s38, exec_lo
	s_and_b32 s1, vcc_lo, s1
	s_and_b32 s1, s30, s1
	s_delay_alu instid0(SALU_CYCLE_1) | instskip(NEXT) | instid1(SALU_CYCLE_1)
	s_xor_b32 s1, s1, -1
	s_and_b32 s1, s1, exec_lo
	s_delay_alu instid0(SALU_CYCLE_1)
	s_or_b32 s38, s8, s1
	s_or_b32 exec_lo, exec_lo, s14
	s_and_saveexec_b32 s1, s38
	s_cbranch_execz .LBB83_153
.LBB83_149:
	s_or_b32 s3, s3, exec_lo
	s_and_not1_b32 s13, s13, exec_lo
	s_trap 2
	s_or_b32 exec_lo, exec_lo, s1
	s_and_saveexec_b32 s23, s13
	s_cbranch_execnz .LBB83_154
.LBB83_150:
	s_or_b32 exec_lo, exec_lo, s23
	s_and_saveexec_b32 s1, s35
	s_cbranch_execnz .LBB83_168
.LBB83_151:
	s_or_b32 exec_lo, exec_lo, s1
	s_and_saveexec_b32 s1, s3
	s_cbranch_execnz .LBB83_105
	s_branch .LBB83_106
.LBB83_152:
	s_or_b32 exec_lo, exec_lo, s14
	s_and_saveexec_b32 s1, s38
	s_cbranch_execnz .LBB83_149
.LBB83_153:
	s_or_b32 exec_lo, exec_lo, s1
	s_and_saveexec_b32 s23, s13
	s_cbranch_execz .LBB83_150
.LBB83_154:
	v_mov_b64_e32 v[8:9], 0
	s_and_not1_b32 vcc_lo, exec_lo, s9
	s_cbranch_vccnz .LBB83_161
; %bb.155:
	v_mul_u64_e32 v[10:11], s[10:11], v[6:7]
	s_ashr_i32 s13, s12, 31
	v_mov_b64_e32 v[8:9], 0
	s_lshl_b64 s[10:11], s[12:13], 3
	v_mov_b32_e32 v6, 0
	s_add_nc_u64 s[10:11], s[20:21], s[10:11]
	s_mov_b64 s[8:9], 0xffffffff
	s_add_nc_u64 s[10:11], s[10:11], 32
	s_mov_b32 s13, 0
	s_branch .LBB83_157
.LBB83_156:                             ;   in Loop: Header=BB83_157 Depth=1
	s_or_b32 exec_lo, exec_lo, s1
	s_wait_loadcnt 0x1
	s_delay_alu instid0(VALU_DEP_1)
	v_mul_u64_e32 v[14:15], s[14:15], v[12:13]
	s_load_b64 s[14:15], s[10:11], 0x40
	s_add_co_i32 s28, s28, -1
	s_wait_xcnt 0x0
	s_add_nc_u64 s[10:11], s[10:11], -8
	s_cmp_lg_u32 s28, 0
	s_delay_alu instid0(VALU_DEP_1) | instskip(SKIP_1) | instid1(VALU_DEP_1)
	v_sub_nc_u64_e32 v[10:11], v[10:11], v[14:15]
	s_wait_kmcnt 0x0
	v_mad_nc_u64_u32 v[8:9], v10, s14, v[8:9]
	s_delay_alu instid0(VALU_DEP_1) | instskip(NEXT) | instid1(VALU_DEP_1)
	v_mad_u32 v1, v11, s14, v9
	v_mad_u32 v9, v10, s15, v1
	v_mov_b64_e32 v[10:11], v[12:13]
	s_cbranch_scc0 .LBB83_161
.LBB83_157:                             ; =>This Inner Loop Header: Depth=1
	s_load_b64 s[14:15], s[10:11], 0x0
                                        ; implicit-def: $vgpr12_vgpr13
	s_mov_b32 s1, exec_lo
	s_wait_kmcnt 0x0
	s_delay_alu instid0(VALU_DEP_1) | instskip(NEXT) | instid1(VALU_DEP_1)
	v_or_b32_e32 v7, s15, v11
	v_cmpx_ne_u64_e32 0, v[6:7]
	s_xor_b32 s20, exec_lo, s1
	s_cbranch_execz .LBB83_159
; %bb.158:                              ;   in Loop: Header=BB83_157 Depth=1
	s_ashr_i32 s16, s15, 31
	v_dual_mov_b32 v17, v6 :: v_dual_ashrrev_i32 v12, 31, v11
	s_mov_b32 s17, s16
	s_delay_alu instid0(SALU_CYCLE_1) | instskip(NEXT) | instid1(VALU_DEP_1)
	s_add_nc_u64 s[18:19], s[14:15], s[16:17]
	v_mov_b32_e32 v13, v12
	s_xor_b64 s[18:19], s[18:19], s[16:17]
	s_delay_alu instid0(SALU_CYCLE_1)
	s_cvt_f32_u32 s1, s18
	s_cvt_f32_u32 s12, s19
	s_sub_nc_u64 s[26:27], 0, s[18:19]
	s_wait_loadcnt 0x1
	v_add_nc_u64_e32 v[14:15], v[10:11], v[12:13]
	v_mov_b32_e32 v21, v6
	s_fmamk_f32 s1, s12, 0x4f800000, s1
	s_delay_alu instid0(SALU_CYCLE_3) | instskip(NEXT) | instid1(VALU_DEP_2)
	v_s_rcp_f32 s1, s1
	v_xor_b32_e32 v16, v14, v12
	s_delay_alu instid0(VALU_DEP_3) | instskip(NEXT) | instid1(TRANS32_DEP_1)
	v_dual_mov_b32 v25, v6 :: v_dual_bitop2_b32 v20, v15, v12 bitop3:0x14
	s_mul_f32 s1, s1, 0x5f7ffffc
	s_delay_alu instid0(SALU_CYCLE_3) | instskip(NEXT) | instid1(SALU_CYCLE_3)
	s_mul_f32 s12, s1, 0x2f800000
	s_trunc_f32 s12, s12
	s_delay_alu instid0(SALU_CYCLE_3) | instskip(SKIP_1) | instid1(SALU_CYCLE_2)
	s_fmamk_f32 s1, s12, 0xcf800000, s1
	s_cvt_u32_f32 s25, s12
	s_cvt_u32_f32 s24, s1
	s_delay_alu instid0(SALU_CYCLE_3) | instskip(NEXT) | instid1(SALU_CYCLE_1)
	s_mul_u64 s[36:37], s[26:27], s[24:25]
	s_mul_hi_u32 s39, s24, s37
	s_mul_i32 s38, s24, s37
	s_mul_hi_u32 s12, s24, s36
	s_mul_i32 s17, s25, s36
	s_add_nc_u64 s[38:39], s[12:13], s[38:39]
	s_mul_hi_u32 s1, s25, s36
	s_mul_hi_u32 s21, s25, s37
	s_add_co_u32 s12, s38, s17
	s_add_co_ci_u32 s12, s39, s1
	s_mul_i32 s36, s25, s37
	s_add_co_ci_u32 s37, s21, 0
	s_delay_alu instid0(SALU_CYCLE_1) | instskip(NEXT) | instid1(SALU_CYCLE_1)
	s_add_nc_u64 s[36:37], s[12:13], s[36:37]
	s_add_co_u32 s24, s24, s36
	s_cselect_b32 s1, -1, 0
	s_delay_alu instid0(SALU_CYCLE_1) | instskip(SKIP_1) | instid1(SALU_CYCLE_1)
	s_cmp_lg_u32 s1, 0
	s_add_co_ci_u32 s25, s25, s37
	s_mul_u64 s[26:27], s[26:27], s[24:25]
	s_delay_alu instid0(SALU_CYCLE_1)
	s_mul_hi_u32 s37, s24, s27
	s_mul_i32 s36, s24, s27
	s_mul_hi_u32 s12, s24, s26
	s_mul_i32 s17, s25, s26
	s_add_nc_u64 s[36:37], s[12:13], s[36:37]
	s_mul_hi_u32 s1, s25, s26
	s_mul_hi_u32 s21, s25, s27
	s_add_co_u32 s12, s36, s17
	s_add_co_ci_u32 s12, s37, s1
	s_mul_i32 s26, s25, s27
	s_add_co_ci_u32 s27, s21, 0
	s_delay_alu instid0(SALU_CYCLE_1) | instskip(NEXT) | instid1(SALU_CYCLE_1)
	s_add_nc_u64 s[26:27], s[12:13], s[26:27]
	s_add_co_u32 s24, s24, s26
	s_cselect_b32 s1, -1, 0
	s_wait_loadcnt 0x0
	v_mul_hi_u32 v24, v16, s24
	s_cmp_lg_u32 s1, 0
	s_add_co_ci_u32 s12, s25, s27
	s_and_b64 s[26:27], s[24:25], s[8:9]
	v_mul_u64_e32 v[18:19], s[12:13], v[16:17]
	v_mul_u64_e32 v[14:15], s[26:27], v[20:21]
	;; [unrolled: 1-line block ×3, first 2 shown]
	s_delay_alu instid0(VALU_DEP_3) | instskip(NEXT) | instid1(VALU_DEP_1)
	v_add_nc_u64_e32 v[18:19], v[24:25], v[18:19]
	v_add_co_u32 v1, vcc_lo, v18, v14
	s_delay_alu instid0(VALU_DEP_2) | instskip(NEXT) | instid1(VALU_DEP_4)
	v_add_co_ci_u32_e32 v24, vcc_lo, v19, v15, vcc_lo
	v_add_co_ci_u32_e32 v23, vcc_lo, 0, v23, vcc_lo
	s_delay_alu instid0(VALU_DEP_1) | instskip(NEXT) | instid1(VALU_DEP_1)
	v_add_nc_u64_e32 v[14:15], v[24:25], v[22:23]
	v_mul_u64_e32 v[18:19], s[18:19], v[14:15]
	s_delay_alu instid0(VALU_DEP_1) | instskip(NEXT) | instid1(VALU_DEP_2)
	v_sub_nc_u32_e32 v1, v20, v19
	v_sub_co_u32 v3, vcc_lo, v16, v18
	s_delay_alu instid0(VALU_DEP_1) | instskip(NEXT) | instid1(VALU_DEP_3)
	v_sub_co_ci_u32_e64 v7, null, v20, v19, vcc_lo
	v_subrev_co_ci_u32_e64 v1, null, s19, v1, vcc_lo
	s_delay_alu instid0(VALU_DEP_3) | instskip(SKIP_1) | instid1(VALU_DEP_3)
	v_sub_co_u32 v5, s1, v3, s18
	v_add_nc_u64_e32 v[16:17], 2, v[14:15]
	v_subrev_co_ci_u32_e64 v1, null, 0, v1, s1
	s_delay_alu instid0(VALU_DEP_3) | instskip(SKIP_2) | instid1(VALU_DEP_4)
	v_cmp_le_u32_e32 vcc_lo, s18, v5
	v_add_nc_u64_e32 v[18:19], 1, v[14:15]
	v_cndmask_b32_e64 v5, 0, -1, vcc_lo
	v_cmp_le_u32_e32 vcc_lo, s19, v1
	v_cndmask_b32_e64 v13, 0, -1, vcc_lo
	v_cmp_le_u32_e32 vcc_lo, s18, v3
	;; [unrolled: 2-line block ×3, first 2 shown]
	v_cndmask_b32_e64 v20, 0, -1, vcc_lo
	v_cmp_eq_u32_e32 vcc_lo, s19, v1
	v_cndmask_b32_e32 v1, v13, v5, vcc_lo
	v_cmp_eq_u32_e32 vcc_lo, s19, v7
	s_delay_alu instid0(VALU_DEP_4) | instskip(NEXT) | instid1(VALU_DEP_3)
	v_cndmask_b32_e32 v3, v20, v3, vcc_lo
	v_cmp_ne_u32_e32 vcc_lo, 0, v1
	s_delay_alu instid0(VALU_DEP_2) | instskip(SKIP_1) | instid1(VALU_DEP_1)
	v_cmp_ne_u32_e64 s1, 0, v3
	v_dual_cndmask_b32 v1, v19, v17, vcc_lo :: v_dual_cndmask_b32 v3, v18, v16, vcc_lo
	v_dual_cndmask_b32 v1, v15, v1, s1 :: v_dual_bitop2_b32 v12, s16, v12 bitop3:0x14
	s_delay_alu instid0(VALU_DEP_1) | instskip(NEXT) | instid1(VALU_DEP_2)
	v_dual_cndmask_b32 v3, v14, v3, s1 :: v_dual_mov_b32 v13, v12
	v_xor_b32_e32 v15, v1, v12
	s_delay_alu instid0(VALU_DEP_2) | instskip(NEXT) | instid1(VALU_DEP_1)
	v_xor_b32_e32 v14, v3, v12
	v_sub_nc_u64_e32 v[12:13], v[14:15], v[12:13]
.LBB83_159:                             ;   in Loop: Header=BB83_157 Depth=1
	s_and_not1_saveexec_b32 s1, s20
	s_cbranch_execz .LBB83_156
; %bb.160:                              ;   in Loop: Header=BB83_157 Depth=1
	v_cvt_f32_u32_e32 v1, s14
	s_sub_co_i32 s12, 0, s14
	v_mov_b32_e32 v13, v6
	s_delay_alu instid0(VALU_DEP_2) | instskip(SKIP_1) | instid1(TRANS32_DEP_1)
	v_rcp_iflag_f32_e32 v1, v1
	v_nop
	v_mul_f32_e32 v1, 0x4f7ffffe, v1
	s_delay_alu instid0(VALU_DEP_1) | instskip(NEXT) | instid1(VALU_DEP_1)
	v_cvt_u32_f32_e32 v1, v1
	v_mul_lo_u32 v3, s12, v1
	s_delay_alu instid0(VALU_DEP_1) | instskip(NEXT) | instid1(VALU_DEP_1)
	v_mul_hi_u32 v3, v1, v3
	v_add_nc_u32_e32 v1, v1, v3
	s_delay_alu instid0(VALU_DEP_1) | instskip(NEXT) | instid1(VALU_DEP_1)
	v_mul_hi_u32 v1, v10, v1
	v_mul_lo_u32 v3, v1, s14
	s_delay_alu instid0(VALU_DEP_1) | instskip(NEXT) | instid1(VALU_DEP_1)
	v_sub_nc_u32_e32 v3, v10, v3
	v_subrev_nc_u32_e32 v7, s14, v3
	v_cmp_le_u32_e32 vcc_lo, s14, v3
	s_delay_alu instid0(VALU_DEP_2) | instskip(NEXT) | instid1(VALU_DEP_1)
	v_dual_add_nc_u32 v5, 1, v1 :: v_dual_cndmask_b32 v3, v3, v7, vcc_lo
	v_cndmask_b32_e32 v1, v1, v5, vcc_lo
	s_delay_alu instid0(VALU_DEP_2) | instskip(NEXT) | instid1(VALU_DEP_2)
	v_cmp_le_u32_e32 vcc_lo, s14, v3
	v_add_nc_u32_e32 v5, 1, v1
	s_delay_alu instid0(VALU_DEP_1)
	v_cndmask_b32_e32 v12, v1, v5, vcc_lo
	s_branch .LBB83_156
.LBB83_161:
	s_mov_b32 s8, s35
	s_mov_b32 s1, exec_lo
	v_cmpx_gt_i32_e64 v4, v2
	s_cbranch_execz .LBB83_167
; %bb.162:
	s_delay_alu instid0(VALU_DEP_2) | instskip(SKIP_2) | instid1(VALU_DEP_1)
	v_lshlrev_b64_e32 v[6:7], 2, v[8:9]
	v_dual_ashrrev_i32 v3, 31, v2 :: v_dual_ashrrev_i32 v5, 31, v4
	s_xor_b32 s8, s29, -1
                                        ; implicit-def: $sgpr10
                                        ; implicit-def: $sgpr9
	v_lshl_add_u64 v[2:3], v[2:3], 2, v[6:7]
	v_add_nc_u64_e32 v[6:7], s[6:7], v[6:7]
	s_delay_alu instid0(VALU_DEP_2) | instskip(SKIP_1) | instid1(VALU_DEP_2)
	v_add_nc_u64_e32 v[2:3], s[6:7], v[2:3]
	s_mov_b32 s6, 0
                                        ; implicit-def: $sgpr7
	v_lshl_add_u64 v[4:5], v[4:5], 2, v[6:7]
	s_delay_alu instid0(VALU_DEP_2)
	v_add_nc_u64_e32 v[2:3], 4, v[2:3]
	s_branch .LBB83_164
.LBB83_163:                             ;   in Loop: Header=BB83_164 Depth=1
	s_or_b32 exec_lo, exec_lo, s11
	s_xor_b32 s11, s9, -1
	s_and_b32 s12, exec_lo, s10
	s_delay_alu instid0(SALU_CYCLE_1) | instskip(SKIP_2) | instid1(SALU_CYCLE_1)
	s_or_b32 s6, s12, s6
	s_and_not1_b32 s7, s7, exec_lo
	s_and_b32 s11, s11, exec_lo
	s_or_b32 s7, s7, s11
	s_and_not1_b32 exec_lo, exec_lo, s6
	s_cbranch_execz .LBB83_166
.LBB83_164:                             ; =>This Inner Loop Header: Depth=1
	s_or_b32 s9, s9, exec_lo
	s_or_b32 s10, s10, exec_lo
	s_mov_b32 s11, exec_lo
	s_delay_alu instid0(VALU_DEP_1)
	v_cmpx_lt_u64_e64 v[2:3], v[4:5]
	s_cbranch_execz .LBB83_163
; %bb.165:                              ;   in Loop: Header=BB83_164 Depth=1
	global_load_b64 v[6:7], v[2:3], off offset:-4
	s_wait_xcnt 0x0
	v_add_nc_u64_e32 v[2:3], 4, v[2:3]
	s_and_not1_b32 s10, s10, exec_lo
	s_and_not1_b32 s9, s9, exec_lo
	s_wait_loadcnt 0x0
	v_cmp_ge_i32_e32 vcc_lo, v6, v7
	s_or_b32 s12, s8, vcc_lo
	s_delay_alu instid0(SALU_CYCLE_1) | instskip(NEXT) | instid1(SALU_CYCLE_1)
	s_and_b32 s12, s12, exec_lo
	s_or_b32 s10, s10, s12
	s_branch .LBB83_163
.LBB83_166:
	s_or_b32 exec_lo, exec_lo, s6
	s_delay_alu instid0(SALU_CYCLE_1) | instskip(SKIP_1) | instid1(SALU_CYCLE_1)
	s_and_not1_b32 s6, s35, exec_lo
	s_and_b32 s7, s7, exec_lo
	s_or_b32 s8, s6, s7
.LBB83_167:
	s_or_b32 exec_lo, exec_lo, s1
	s_delay_alu instid0(SALU_CYCLE_1)
	s_and_not1_b32 s1, s35, exec_lo
	s_and_b32 s6, s8, exec_lo
	s_or_b32 s44, s44, exec_lo
	s_or_b32 s35, s1, s6
	s_or_b32 exec_lo, exec_lo, s23
	s_and_saveexec_b32 s1, s35
	s_cbranch_execz .LBB83_151
.LBB83_168:
	s_and_not1_b32 s44, s44, exec_lo
	s_or_b32 s3, s3, exec_lo
	s_trap 2
	s_or_b32 exec_lo, exec_lo, s1
	s_and_saveexec_b32 s1, s3
	s_cbranch_execnz .LBB83_105
	s_branch .LBB83_106
.LBB83_169:
	s_mov_b32 s15, -1
	s_mov_b32 s13, 0
	s_mov_b32 s1, exec_lo
	v_cmpx_gt_i32_e64 v14, v16
	s_cbranch_execz .LBB83_175
; %bb.170:
	s_wait_loadcnt 0x0
	s_delay_alu instid0(VALU_DEP_2) | instskip(SKIP_2) | instid1(VALU_DEP_1)
	v_lshlrev_b64_e32 v[18:19], 2, v[20:21]
	v_dual_ashrrev_i32 v17, 31, v16 :: v_dual_ashrrev_i32 v15, 31, v14
	s_xor_b32 s15, s29, -1
                                        ; implicit-def: $sgpr14
                                        ; implicit-def: $sgpr17
                                        ; implicit-def: $sgpr16
	v_lshl_add_u64 v[16:17], v[16:17], 2, v[18:19]
	v_add_nc_u64_e32 v[18:19], s[6:7], v[18:19]
	s_delay_alu instid0(VALU_DEP_2) | instskip(NEXT) | instid1(VALU_DEP_2)
	v_add_nc_u64_e32 v[16:17], s[6:7], v[16:17]
	v_lshl_add_u64 v[14:15], v[14:15], 2, v[18:19]
	s_delay_alu instid0(VALU_DEP_2)
	v_add_nc_u64_e32 v[16:17], 4, v[16:17]
	s_branch .LBB83_172
.LBB83_171:                             ;   in Loop: Header=BB83_172 Depth=1
	s_or_b32 exec_lo, exec_lo, s18
	s_delay_alu instid0(SALU_CYCLE_1) | instskip(NEXT) | instid1(SALU_CYCLE_1)
	s_and_b32 s18, exec_lo, s17
	s_or_b32 s13, s18, s13
	s_and_not1_b32 s14, s14, exec_lo
	s_and_b32 s18, s16, exec_lo
	s_delay_alu instid0(SALU_CYCLE_1)
	s_or_b32 s14, s14, s18
	s_and_not1_b32 exec_lo, exec_lo, s13
	s_cbranch_execz .LBB83_174
.LBB83_172:                             ; =>This Inner Loop Header: Depth=1
	s_or_b32 s16, s16, exec_lo
	s_or_b32 s17, s17, exec_lo
	s_mov_b32 s18, exec_lo
	s_delay_alu instid0(VALU_DEP_1)
	v_cmpx_lt_u64_e64 v[16:17], v[14:15]
	s_cbranch_execz .LBB83_171
; %bb.173:                              ;   in Loop: Header=BB83_172 Depth=1
	global_load_b64 v[18:19], v[16:17], off offset:-4
	s_wait_xcnt 0x0
	v_add_nc_u64_e32 v[16:17], 4, v[16:17]
	s_and_not1_b32 s17, s17, exec_lo
	s_and_not1_b32 s16, s16, exec_lo
	s_wait_loadcnt 0x0
	v_cmp_ge_i32_e32 vcc_lo, v18, v19
	s_or_b32 s19, s15, vcc_lo
	s_delay_alu instid0(SALU_CYCLE_1) | instskip(NEXT) | instid1(SALU_CYCLE_1)
	s_and_b32 s19, s19, exec_lo
	s_or_b32 s17, s17, s19
	s_branch .LBB83_171
.LBB83_174:
	s_or_b32 exec_lo, exec_lo, s13
	s_delay_alu instid0(SALU_CYCLE_1)
	s_mov_b32 s13, exec_lo
	s_or_not1_b32 s15, s14, exec_lo
.LBB83_175:
	s_or_b32 exec_lo, exec_lo, s1
	s_delay_alu instid0(SALU_CYCLE_1)
	s_and_b32 s14, s13, exec_lo
	s_xor_b32 s13, exec_lo, -1
	s_and_b32 s1, s15, exec_lo
.LBB83_176:
	s_or_b32 exec_lo, exec_lo, s45
	s_delay_alu instid0(SALU_CYCLE_1)
	s_and_not1_b32 s15, s38, exec_lo
	s_and_b32 s13, s13, exec_lo
	s_and_b32 s14, s14, exec_lo
	s_or_b32 s15, s15, s13
	s_xor_b32 s13, exec_lo, -1
	s_and_b32 s1, s1, exec_lo
.LBB83_177:
	s_or_b32 exec_lo, exec_lo, s44
	s_delay_alu instid0(SALU_CYCLE_1)
	s_and_not1_b32 s16, s38, exec_lo
	s_and_b32 s15, s15, exec_lo
	s_and_not1_b32 s17, s39, exec_lo
	s_and_b32 s13, s13, exec_lo
	s_and_b32 s14, s14, exec_lo
	s_or_b32 s16, s16, s15
	s_or_b32 s15, s17, s13
	s_xor_b32 s13, exec_lo, -1
	s_and_b32 s1, s1, exec_lo
.LBB83_178:
	s_or_b32 exec_lo, exec_lo, s43
	s_delay_alu instid0(SALU_CYCLE_1)
	s_and_not1_b32 s17, s38, exec_lo
	s_and_b32 s16, s16, exec_lo
	s_and_b32 s44, s14, exec_lo
	s_or_b32 s45, s17, s16
	s_and_not1_b32 s14, s39, exec_lo
	s_and_b32 s15, s15, exec_lo
	s_and_not1_b32 s16, s41, exec_lo
	s_and_b32 s13, s13, exec_lo
	s_or_b32 s46, s14, s15
	s_or_b32 s43, s16, s13
	s_or_not1_b32 s1, s1, exec_lo
.LBB83_179:
	s_or_b32 exec_lo, exec_lo, s40
	s_mov_b32 s15, 0
                                        ; implicit-def: $sgpr40
                                        ; implicit-def: $sgpr22
	s_and_saveexec_b32 s47, s1
	s_cbranch_execz .LBB83_206
; %bb.180:
	v_or_b32_e32 v5, 0x200, v0
	s_mov_b32 s17, -1
	s_mov_b32 s48, 0
	s_mov_b32 s1, s43
	s_mov_b32 s14, s46
	v_cmp_gt_i32_e64 s40, s33, v5
	s_mov_b32 s13, s45
	s_and_saveexec_b32 s49, s40
	s_cbranch_execz .LBB83_201
; %bb.181:
	v_cmp_eq_u32_e32 vcc_lo, s36, v9
	s_mov_b32 s1, -1
	s_mov_b32 s16, 0
	s_mov_b32 s17, s46
	;; [unrolled: 1-line block ×3, first 2 shown]
	s_and_b32 s14, s37, vcc_lo
	s_mov_b32 s13, 0
	s_and_saveexec_b32 s50, s14
	s_cbranch_execz .LBB83_200
; %bb.182:
	v_cmp_eq_u32_e32 vcc_lo, s10, v11
	s_mov_b32 s14, 0
	s_mov_b32 s15, s45
	s_and_b32 s13, s34, vcc_lo
	s_delay_alu instid0(SALU_CYCLE_1)
	s_and_saveexec_b32 s51, s13
	s_cbranch_execz .LBB83_199
; %bb.183:
	v_sub_nc_u32_e32 v5, v8, v10
	s_mov_b32 s14, -1
	s_mov_b32 s13, 0
	s_delay_alu instid0(VALU_DEP_1) | instskip(SKIP_2) | instid1(SALU_CYCLE_1)
	v_cmp_le_i32_e32 vcc_lo, v9, v5
	v_cmp_ge_i32_e64 s1, s8, v5
	s_and_b32 s1, vcc_lo, s1
	s_and_b32 s15, s30, s1
	s_mov_b32 s1, 0
	s_and_saveexec_b32 s52, s15
	s_cbranch_execz .LBB83_198
; %bb.184:
	s_wait_loadcnt 0x1
	v_mov_b64_e32 v[14:15], 0
	s_and_not1_b32 vcc_lo, exec_lo, s9
	s_cbranch_vccnz .LBB83_191
; %bb.185:
	v_dual_mov_b32 v14, v13 :: v_dual_ashrrev_i32 v15, 31, v13
	s_ashr_i32 s13, s12, 31
	v_mov_b32_e32 v12, 0
	s_lshl_b64 s[16:17], s[12:13], 3
	s_mov_b64 s[14:15], 0xffffffff
	v_mul_u64_e32 v[16:17], s[10:11], v[14:15]
	v_mov_b64_e32 v[14:15], 0
	s_add_nc_u64 s[16:17], s[20:21], s[16:17]
	s_mov_b32 s19, 0
	s_add_nc_u64 s[16:17], s[16:17], 32
	s_mov_b32 s13, s28
	s_branch .LBB83_187
.LBB83_186:                             ;   in Loop: Header=BB83_187 Depth=1
	s_or_b32 exec_lo, exec_lo, s1
	s_wait_loadcnt 0x0
	s_delay_alu instid0(VALU_DEP_1)
	v_mul_u64_e32 v[20:21], s[22:23], v[18:19]
	s_load_b64 s[22:23], s[16:17], 0x40
	s_add_co_i32 s13, s13, -1
	s_wait_xcnt 0x0
	s_add_nc_u64 s[16:17], s[16:17], -8
	s_cmp_lg_u32 s13, 0
	s_delay_alu instid0(VALU_DEP_1) | instskip(SKIP_1) | instid1(VALU_DEP_1)
	v_sub_nc_u64_e32 v[16:17], v[16:17], v[20:21]
	s_wait_kmcnt 0x0
	v_mad_nc_u64_u32 v[14:15], v16, s22, v[14:15]
	s_delay_alu instid0(VALU_DEP_1) | instskip(NEXT) | instid1(VALU_DEP_1)
	v_mad_u32 v5, v17, s22, v15
	v_mad_u32 v15, v16, s23, v5
	v_mov_b64_e32 v[16:17], v[18:19]
	s_cbranch_scc0 .LBB83_191
.LBB83_187:                             ; =>This Inner Loop Header: Depth=1
	s_load_b64 s[22:23], s[16:17], 0x0
                                        ; implicit-def: $vgpr18_vgpr19
	s_mov_b32 s1, exec_lo
	s_wait_kmcnt 0x0
	s_delay_alu instid0(VALU_DEP_1) | instskip(NEXT) | instid1(VALU_DEP_1)
	v_or_b32_e32 v13, s23, v17
	v_cmpx_ne_u64_e32 0, v[12:13]
	s_xor_b32 s53, exec_lo, s1
	s_cbranch_execz .LBB83_189
; %bb.188:                              ;   in Loop: Header=BB83_187 Depth=1
	s_ashr_i32 s24, s23, 31
	s_wait_loadcnt 0x0
	v_dual_mov_b32 v23, v12 :: v_dual_ashrrev_i32 v18, 31, v17
	s_mov_b32 s25, s24
	s_delay_alu instid0(SALU_CYCLE_1) | instskip(NEXT) | instid1(VALU_DEP_1)
	s_add_nc_u64 s[26:27], s[22:23], s[24:25]
	v_mov_b32_e32 v19, v18
	s_xor_b64 s[26:27], s[26:27], s[24:25]
	s_delay_alu instid0(SALU_CYCLE_1)
	s_cvt_f32_u32 s1, s26
	s_cvt_f32_u32 s18, s27
	s_sub_nc_u64 s[56:57], 0, s[26:27]
	v_add_nc_u64_e32 v[20:21], v[16:17], v[18:19]
	v_mov_b32_e32 v27, v12
	s_fmamk_f32 s1, s18, 0x4f800000, s1
	s_delay_alu instid0(SALU_CYCLE_3) | instskip(NEXT) | instid1(VALU_DEP_2)
	v_s_rcp_f32 s1, s1
	v_xor_b32_e32 v22, v20, v18
	s_delay_alu instid0(VALU_DEP_3) | instskip(NEXT) | instid1(TRANS32_DEP_1)
	v_dual_mov_b32 v31, v12 :: v_dual_bitop2_b32 v26, v21, v18 bitop3:0x14
	s_mul_f32 s1, s1, 0x5f7ffffc
	s_delay_alu instid0(SALU_CYCLE_3) | instskip(NEXT) | instid1(SALU_CYCLE_3)
	s_mul_f32 s18, s1, 0x2f800000
	s_trunc_f32 s18, s18
	s_delay_alu instid0(SALU_CYCLE_3) | instskip(SKIP_1) | instid1(SALU_CYCLE_2)
	s_fmamk_f32 s1, s18, 0xcf800000, s1
	s_cvt_u32_f32 s55, s18
	s_cvt_u32_f32 s54, s1
	s_delay_alu instid0(SALU_CYCLE_3) | instskip(NEXT) | instid1(SALU_CYCLE_1)
	s_mul_u64 s[58:59], s[56:57], s[54:55]
	s_mul_hi_u32 s61, s54, s59
	s_mul_i32 s60, s54, s59
	s_mul_hi_u32 s18, s54, s58
	s_mul_i32 s25, s55, s58
	s_add_nc_u64 s[60:61], s[18:19], s[60:61]
	s_mul_hi_u32 s1, s55, s58
	s_mul_hi_u32 s62, s55, s59
	s_add_co_u32 s18, s60, s25
	s_add_co_ci_u32 s18, s61, s1
	s_mul_i32 s58, s55, s59
	s_add_co_ci_u32 s59, s62, 0
	s_delay_alu instid0(SALU_CYCLE_1) | instskip(NEXT) | instid1(SALU_CYCLE_1)
	s_add_nc_u64 s[58:59], s[18:19], s[58:59]
	s_add_co_u32 s54, s54, s58
	s_cselect_b32 s1, -1, 0
	s_delay_alu instid0(SALU_CYCLE_1) | instskip(SKIP_1) | instid1(SALU_CYCLE_1)
	s_cmp_lg_u32 s1, 0
	s_add_co_ci_u32 s55, s55, s59
	s_mul_u64 s[56:57], s[56:57], s[54:55]
	s_delay_alu instid0(SALU_CYCLE_1)
	s_mul_hi_u32 s59, s54, s57
	s_mul_i32 s58, s54, s57
	s_mul_hi_u32 s18, s54, s56
	s_mul_i32 s25, s55, s56
	s_add_nc_u64 s[58:59], s[18:19], s[58:59]
	s_mul_hi_u32 s1, s55, s56
	s_mul_hi_u32 s60, s55, s57
	s_add_co_u32 s18, s58, s25
	s_add_co_ci_u32 s18, s59, s1
	s_mul_i32 s56, s55, s57
	s_add_co_ci_u32 s57, s60, 0
	s_delay_alu instid0(SALU_CYCLE_1) | instskip(NEXT) | instid1(SALU_CYCLE_1)
	s_add_nc_u64 s[56:57], s[18:19], s[56:57]
	s_add_co_u32 s54, s54, s56
	s_cselect_b32 s1, -1, 0
	v_mul_hi_u32 v30, v22, s54
	s_cmp_lg_u32 s1, 0
	s_add_co_ci_u32 s18, s55, s57
	s_and_b64 s[56:57], s[54:55], s[14:15]
	v_mul_u64_e32 v[24:25], s[18:19], v[22:23]
	v_mul_u64_e32 v[20:21], s[56:57], v[26:27]
	;; [unrolled: 1-line block ×3, first 2 shown]
	s_delay_alu instid0(VALU_DEP_3) | instskip(NEXT) | instid1(VALU_DEP_1)
	v_add_nc_u64_e32 v[24:25], v[30:31], v[24:25]
	v_add_co_u32 v5, vcc_lo, v24, v20
	s_delay_alu instid0(VALU_DEP_2) | instskip(NEXT) | instid1(VALU_DEP_4)
	v_add_co_ci_u32_e32 v30, vcc_lo, v25, v21, vcc_lo
	v_add_co_ci_u32_e32 v29, vcc_lo, 0, v29, vcc_lo
	s_delay_alu instid0(VALU_DEP_1) | instskip(NEXT) | instid1(VALU_DEP_1)
	v_add_nc_u64_e32 v[20:21], v[30:31], v[28:29]
	v_mul_u64_e32 v[24:25], s[26:27], v[20:21]
	s_delay_alu instid0(VALU_DEP_1) | instskip(NEXT) | instid1(VALU_DEP_2)
	v_sub_nc_u32_e32 v5, v26, v25
	v_sub_co_u32 v9, vcc_lo, v22, v24
	s_delay_alu instid0(VALU_DEP_1) | instskip(NEXT) | instid1(VALU_DEP_3)
	v_sub_co_ci_u32_e64 v13, null, v26, v25, vcc_lo
	v_subrev_co_ci_u32_e64 v5, null, s27, v5, vcc_lo
	s_delay_alu instid0(VALU_DEP_3) | instskip(SKIP_1) | instid1(VALU_DEP_3)
	v_sub_co_u32 v11, s1, v9, s26
	v_add_nc_u64_e32 v[22:23], 2, v[20:21]
	v_subrev_co_ci_u32_e64 v5, null, 0, v5, s1
	s_delay_alu instid0(VALU_DEP_3) | instskip(SKIP_2) | instid1(VALU_DEP_4)
	v_cmp_le_u32_e32 vcc_lo, s26, v11
	v_add_nc_u64_e32 v[24:25], 1, v[20:21]
	v_cndmask_b32_e64 v11, 0, -1, vcc_lo
	v_cmp_le_u32_e32 vcc_lo, s27, v5
	v_cndmask_b32_e64 v19, 0, -1, vcc_lo
	v_cmp_le_u32_e32 vcc_lo, s26, v9
	;; [unrolled: 2-line block ×3, first 2 shown]
	v_cndmask_b32_e64 v26, 0, -1, vcc_lo
	v_cmp_eq_u32_e32 vcc_lo, s27, v5
	v_cndmask_b32_e32 v5, v19, v11, vcc_lo
	v_cmp_eq_u32_e32 vcc_lo, s27, v13
	s_delay_alu instid0(VALU_DEP_4) | instskip(NEXT) | instid1(VALU_DEP_3)
	v_cndmask_b32_e32 v9, v26, v9, vcc_lo
	v_cmp_ne_u32_e32 vcc_lo, 0, v5
	s_delay_alu instid0(VALU_DEP_2) | instskip(SKIP_1) | instid1(VALU_DEP_1)
	v_cmp_ne_u32_e64 s1, 0, v9
	v_dual_cndmask_b32 v5, v25, v23, vcc_lo :: v_dual_cndmask_b32 v9, v24, v22, vcc_lo
	v_dual_cndmask_b32 v5, v21, v5, s1 :: v_dual_bitop2_b32 v18, s24, v18 bitop3:0x14
	s_delay_alu instid0(VALU_DEP_1) | instskip(NEXT) | instid1(VALU_DEP_2)
	v_dual_cndmask_b32 v9, v20, v9, s1 :: v_dual_mov_b32 v19, v18
	v_xor_b32_e32 v21, v5, v18
	s_delay_alu instid0(VALU_DEP_2) | instskip(NEXT) | instid1(VALU_DEP_1)
	v_xor_b32_e32 v20, v9, v18
	v_sub_nc_u64_e32 v[18:19], v[20:21], v[18:19]
.LBB83_189:                             ;   in Loop: Header=BB83_187 Depth=1
	s_and_not1_saveexec_b32 s1, s53
	s_cbranch_execz .LBB83_186
; %bb.190:                              ;   in Loop: Header=BB83_187 Depth=1
	v_cvt_f32_u32_e32 v5, s22
	s_sub_co_i32 s18, 0, s22
	v_mov_b32_e32 v19, v12
	s_delay_alu instid0(VALU_DEP_2) | instskip(SKIP_1) | instid1(TRANS32_DEP_1)
	v_rcp_iflag_f32_e32 v5, v5
	v_nop
	v_mul_f32_e32 v5, 0x4f7ffffe, v5
	s_delay_alu instid0(VALU_DEP_1) | instskip(NEXT) | instid1(VALU_DEP_1)
	v_cvt_u32_f32_e32 v5, v5
	v_mul_lo_u32 v9, s18, v5
	s_delay_alu instid0(VALU_DEP_1) | instskip(NEXT) | instid1(VALU_DEP_1)
	v_mul_hi_u32 v9, v5, v9
	v_add_nc_u32_e32 v5, v5, v9
	s_delay_alu instid0(VALU_DEP_1) | instskip(NEXT) | instid1(VALU_DEP_1)
	v_mul_hi_u32 v5, v16, v5
	v_mul_lo_u32 v9, v5, s22
	v_add_nc_u32_e32 v11, 1, v5
	s_delay_alu instid0(VALU_DEP_2) | instskip(NEXT) | instid1(VALU_DEP_1)
	v_sub_nc_u32_e32 v9, v16, v9
	v_subrev_nc_u32_e32 v13, s22, v9
	v_cmp_le_u32_e32 vcc_lo, s22, v9
	s_delay_alu instid0(VALU_DEP_2) | instskip(SKIP_1) | instid1(VALU_DEP_2)
	v_cndmask_b32_e32 v9, v9, v13, vcc_lo
	v_cndmask_b32_e32 v5, v5, v11, vcc_lo
	v_cmp_le_u32_e32 vcc_lo, s22, v9
	s_delay_alu instid0(VALU_DEP_2) | instskip(SKIP_1) | instid1(VALU_DEP_1)
	v_add_nc_u32_e32 v11, 1, v5
	s_wait_loadcnt 0x0
	v_cndmask_b32_e32 v18, v5, v11, vcc_lo
	s_branch .LBB83_186
.LBB83_191:
	s_mov_b32 s13, -1
	s_mov_b32 s15, 0
	s_mov_b32 s1, exec_lo
	v_cmpx_gt_i32_e64 v8, v10
	s_cbranch_execz .LBB83_197
; %bb.192:
	s_delay_alu instid0(VALU_DEP_2) | instskip(SKIP_3) | instid1(VALU_DEP_1)
	v_lshlrev_b64_e32 v[12:13], 2, v[14:15]
	v_dual_ashrrev_i32 v11, 31, v10 :: v_dual_ashrrev_i32 v9, 31, v8
	s_mov_b32 s13, 0
	s_xor_b32 s15, s29, -1
                                        ; implicit-def: $sgpr14
                                        ; implicit-def: $sgpr17
                                        ; implicit-def: $sgpr16
	v_lshl_add_u64 v[10:11], v[10:11], 2, v[12:13]
	v_add_nc_u64_e32 v[12:13], s[6:7], v[12:13]
	s_delay_alu instid0(VALU_DEP_2) | instskip(NEXT) | instid1(VALU_DEP_2)
	v_add_nc_u64_e32 v[10:11], s[6:7], v[10:11]
	v_lshl_add_u64 v[8:9], v[8:9], 2, v[12:13]
	s_delay_alu instid0(VALU_DEP_2)
	v_add_nc_u64_e32 v[10:11], 4, v[10:11]
	s_branch .LBB83_194
.LBB83_193:                             ;   in Loop: Header=BB83_194 Depth=1
	s_or_b32 exec_lo, exec_lo, s18
	s_delay_alu instid0(SALU_CYCLE_1) | instskip(NEXT) | instid1(SALU_CYCLE_1)
	s_and_b32 s18, exec_lo, s17
	s_or_b32 s13, s18, s13
	s_and_not1_b32 s14, s14, exec_lo
	s_and_b32 s18, s16, exec_lo
	s_delay_alu instid0(SALU_CYCLE_1)
	s_or_b32 s14, s14, s18
	s_and_not1_b32 exec_lo, exec_lo, s13
	s_cbranch_execz .LBB83_196
.LBB83_194:                             ; =>This Inner Loop Header: Depth=1
	s_or_b32 s16, s16, exec_lo
	s_or_b32 s17, s17, exec_lo
	s_mov_b32 s18, exec_lo
	s_delay_alu instid0(VALU_DEP_1)
	v_cmpx_lt_u64_e64 v[10:11], v[8:9]
	s_cbranch_execz .LBB83_193
; %bb.195:                              ;   in Loop: Header=BB83_194 Depth=1
	global_load_b64 v[12:13], v[10:11], off offset:-4
	s_wait_xcnt 0x0
	v_add_nc_u64_e32 v[10:11], 4, v[10:11]
	s_and_not1_b32 s17, s17, exec_lo
	s_and_not1_b32 s16, s16, exec_lo
	s_wait_loadcnt 0x0
	v_cmp_ge_i32_e32 vcc_lo, v12, v13
	s_or_b32 s19, s15, vcc_lo
	s_delay_alu instid0(SALU_CYCLE_1) | instskip(NEXT) | instid1(SALU_CYCLE_1)
	s_and_b32 s19, s19, exec_lo
	s_or_b32 s17, s17, s19
	s_branch .LBB83_193
.LBB83_196:
	s_or_b32 exec_lo, exec_lo, s13
	s_delay_alu instid0(SALU_CYCLE_1)
	s_mov_b32 s15, exec_lo
	s_or_not1_b32 s13, s14, exec_lo
.LBB83_197:
	s_or_b32 exec_lo, exec_lo, s1
	s_delay_alu instid0(SALU_CYCLE_1)
	s_and_b32 s1, s15, exec_lo
	s_xor_b32 s14, exec_lo, -1
	s_and_b32 s13, s13, exec_lo
.LBB83_198:
	s_or_b32 exec_lo, exec_lo, s52
	s_delay_alu instid0(SALU_CYCLE_1)
	s_and_not1_b32 s15, s45, exec_lo
	s_and_b32 s14, s14, exec_lo
	s_and_b32 s16, s1, exec_lo
	s_or_b32 s15, s15, s14
	s_xor_b32 s1, exec_lo, -1
	s_and_b32 s14, s13, exec_lo
.LBB83_199:
	s_or_b32 exec_lo, exec_lo, s51
	s_delay_alu instid0(SALU_CYCLE_1)
	s_and_b32 s13, s16, exec_lo
	s_and_not1_b32 s16, s45, exec_lo
	s_and_b32 s15, s15, exec_lo
	s_and_not1_b32 s17, s46, exec_lo
	s_and_b32 s1, s1, exec_lo
	s_or_b32 s15, s16, s15
	s_or_b32 s17, s17, s1
	s_xor_b32 s1, exec_lo, -1
	s_and_b32 s16, s14, exec_lo
.LBB83_200:
	s_or_b32 exec_lo, exec_lo, s50
	s_delay_alu instid0(SALU_CYCLE_1)
	s_and_not1_b32 s14, s45, exec_lo
	s_and_b32 s18, s15, exec_lo
	s_and_b32 s15, s13, exec_lo
	s_or_b32 s13, s14, s18
	s_and_not1_b32 s14, s46, exec_lo
	s_and_b32 s17, s17, exec_lo
	s_and_not1_b32 s18, s43, exec_lo
	s_and_b32 s1, s1, exec_lo
	s_or_b32 s14, s14, s17
	s_or_b32 s1, s18, s1
	s_or_not1_b32 s17, s16, exec_lo
.LBB83_201:
	s_or_b32 exec_lo, exec_lo, s49
	s_mov_b32 s18, 0
                                        ; implicit-def: $sgpr22
	s_and_saveexec_b32 s16, s17
	s_cbranch_execz .LBB83_205
; %bb.202:
	v_or_b32_e32 v5, 0x300, v0
	s_mov_b32 s17, 0
	s_mov_b32 s18, -1
	s_mov_b32 s19, s1
	s_delay_alu instid0(VALU_DEP_1) | instskip(SKIP_1) | instid1(SALU_CYCLE_1)
	v_cmp_gt_i32_e64 s22, s33, v5
	s_and_saveexec_b32 s23, s22
	s_xor_b32 s23, exec_lo, s23
; %bb.203:
	v_cmp_ne_u32_e32 vcc_lo, s36, v1
	s_xor_b32 s18, s37, -1
	s_and_not1_b32 s19, s1, exec_lo
	s_mov_b32 s17, exec_lo
	s_or_b32 s18, s18, vcc_lo
	s_delay_alu instid0(SALU_CYCLE_1)
	s_and_b32 s24, s18, exec_lo
	s_xor_b32 s18, exec_lo, -1
	s_or_b32 s19, s19, s24
; %bb.204:
	s_or_b32 exec_lo, exec_lo, s23
	s_delay_alu instid0(SALU_CYCLE_1)
	s_and_not1_b32 s1, s1, exec_lo
	s_and_b32 s19, s19, exec_lo
	s_and_b32 s18, s18, exec_lo
	s_and_not1_b32 s15, s15, exec_lo
	s_and_b32 s48, s17, exec_lo
	s_or_b32 s1, s1, s19
.LBB83_205:
	s_or_b32 exec_lo, exec_lo, s16
	s_delay_alu instid0(SALU_CYCLE_1)
	s_and_not1_b32 s16, s44, exec_lo
	s_and_b32 s17, s15, exec_lo
	s_and_b32 s13, s13, exec_lo
	s_or_b32 s44, s16, s17
	s_and_not1_b32 s16, s45, exec_lo
	s_and_not1_b32 s17, s46, exec_lo
	s_and_b32 s14, s14, exec_lo
	s_or_b32 s45, s16, s13
	s_and_not1_b32 s13, s43, exec_lo
	s_and_b32 s1, s1, exec_lo
	s_and_b32 s15, s18, exec_lo
	s_or_b32 s46, s17, s14
	s_and_b32 s48, s48, exec_lo
	s_or_b32 s43, s13, s1
.LBB83_206:
	s_or_b32 exec_lo, exec_lo, s47
	s_delay_alu instid0(SALU_CYCLE_1)
	s_and_not1_b32 s1, s35, exec_lo
	s_and_b32 s13, s44, exec_lo
	s_and_b32 s44, s15, exec_lo
	s_or_b32 s35, s1, s13
	s_and_not1_b32 s1, s38, exec_lo
	s_and_b32 s13, s45, exec_lo
	s_and_not1_b32 s14, s39, exec_lo
	s_and_b32 s15, s46, exec_lo
	s_or_b32 s38, s1, s13
	s_and_not1_b32 s1, s41, exec_lo
	s_and_b32 s13, s43, exec_lo
	s_or_b32 s39, s14, s15
	s_and_b32 s43, s48, exec_lo
	s_or_b32 s41, s1, s13
	s_or_b32 exec_lo, exec_lo, s42
	s_and_saveexec_b32 s1, s41
	s_cbranch_execz .LBB83_144
.LBB83_207:
	s_or_b32 s3, s3, exec_lo
	s_and_not1_b32 s43, s43, exec_lo
	s_trap 2
	s_branch .LBB83_144
.LBB83_208:
	s_mov_b32 s3, exec_lo
	s_and_not1_b32 s31, s31, exec_lo
	s_trap 2
	s_branch .LBB83_65
.LBB83_209:
	s_or_b32 s3, s3, exec_lo
	s_and_not1_b32 s34, s34, exec_lo
	s_trap 2
	s_branch .LBB83_68
.LBB83_210:
	s_or_b32 s3, s3, exec_lo
	s_and_not1_b32 s1, s1, exec_lo
	s_trap 2
	s_branch .LBB83_147
	.section	.rodata,"a",@progbits
	.p2align	6, 0x0
	.amdhsa_kernel _ZN2at6native29vectorized_elementwise_kernelILi2EZZZNS0_12_GLOBAL__N_142_validate_compressed_sparse_indices_kernelILNS2_8CDimNameE1ENS2_18CUDAKernelLauncherENS2_14EmptyVecKernelENS2_8DummyVecELm8EEEvRKNS_6TensorESA_lllENKUlvE1_clEvENKUlvE_clEvEUliiiiiE_St5arrayIPcLm6EEEEviT0_T1_
		.amdhsa_group_segment_fixed_size 0
		.amdhsa_private_segment_fixed_size 0
		.amdhsa_kernarg_size 224
		.amdhsa_user_sgpr_count 2
		.amdhsa_user_sgpr_dispatch_ptr 0
		.amdhsa_user_sgpr_queue_ptr 0
		.amdhsa_user_sgpr_kernarg_segment_ptr 1
		.amdhsa_user_sgpr_dispatch_id 0
		.amdhsa_user_sgpr_kernarg_preload_length 0
		.amdhsa_user_sgpr_kernarg_preload_offset 0
		.amdhsa_user_sgpr_private_segment_size 0
		.amdhsa_wavefront_size32 1
		.amdhsa_uses_dynamic_stack 0
		.amdhsa_enable_private_segment 0
		.amdhsa_system_sgpr_workgroup_id_x 1
		.amdhsa_system_sgpr_workgroup_id_y 0
		.amdhsa_system_sgpr_workgroup_id_z 0
		.amdhsa_system_sgpr_workgroup_info 0
		.amdhsa_system_vgpr_workitem_id 0
		.amdhsa_next_free_vgpr 44
		.amdhsa_next_free_sgpr 69
		.amdhsa_named_barrier_count 0
		.amdhsa_reserve_vcc 1
		.amdhsa_float_round_mode_32 0
		.amdhsa_float_round_mode_16_64 0
		.amdhsa_float_denorm_mode_32 3
		.amdhsa_float_denorm_mode_16_64 3
		.amdhsa_fp16_overflow 0
		.amdhsa_memory_ordered 1
		.amdhsa_forward_progress 1
		.amdhsa_inst_pref_size 104
		.amdhsa_round_robin_scheduling 0
		.amdhsa_exception_fp_ieee_invalid_op 0
		.amdhsa_exception_fp_denorm_src 0
		.amdhsa_exception_fp_ieee_div_zero 0
		.amdhsa_exception_fp_ieee_overflow 0
		.amdhsa_exception_fp_ieee_underflow 0
		.amdhsa_exception_fp_ieee_inexact 0
		.amdhsa_exception_int_div_zero 0
	.end_amdhsa_kernel
	.section	.text._ZN2at6native29vectorized_elementwise_kernelILi2EZZZNS0_12_GLOBAL__N_142_validate_compressed_sparse_indices_kernelILNS2_8CDimNameE1ENS2_18CUDAKernelLauncherENS2_14EmptyVecKernelENS2_8DummyVecELm8EEEvRKNS_6TensorESA_lllENKUlvE1_clEvENKUlvE_clEvEUliiiiiE_St5arrayIPcLm6EEEEviT0_T1_,"axG",@progbits,_ZN2at6native29vectorized_elementwise_kernelILi2EZZZNS0_12_GLOBAL__N_142_validate_compressed_sparse_indices_kernelILNS2_8CDimNameE1ENS2_18CUDAKernelLauncherENS2_14EmptyVecKernelENS2_8DummyVecELm8EEEvRKNS_6TensorESA_lllENKUlvE1_clEvENKUlvE_clEvEUliiiiiE_St5arrayIPcLm6EEEEviT0_T1_,comdat
.Lfunc_end83:
	.size	_ZN2at6native29vectorized_elementwise_kernelILi2EZZZNS0_12_GLOBAL__N_142_validate_compressed_sparse_indices_kernelILNS2_8CDimNameE1ENS2_18CUDAKernelLauncherENS2_14EmptyVecKernelENS2_8DummyVecELm8EEEvRKNS_6TensorESA_lllENKUlvE1_clEvENKUlvE_clEvEUliiiiiE_St5arrayIPcLm6EEEEviT0_T1_, .Lfunc_end83-_ZN2at6native29vectorized_elementwise_kernelILi2EZZZNS0_12_GLOBAL__N_142_validate_compressed_sparse_indices_kernelILNS2_8CDimNameE1ENS2_18CUDAKernelLauncherENS2_14EmptyVecKernelENS2_8DummyVecELm8EEEvRKNS_6TensorESA_lllENKUlvE1_clEvENKUlvE_clEvEUliiiiiE_St5arrayIPcLm6EEEEviT0_T1_
                                        ; -- End function
	.set _ZN2at6native29vectorized_elementwise_kernelILi2EZZZNS0_12_GLOBAL__N_142_validate_compressed_sparse_indices_kernelILNS2_8CDimNameE1ENS2_18CUDAKernelLauncherENS2_14EmptyVecKernelENS2_8DummyVecELm8EEEvRKNS_6TensorESA_lllENKUlvE1_clEvENKUlvE_clEvEUliiiiiE_St5arrayIPcLm6EEEEviT0_T1_.num_vgpr, 44
	.set _ZN2at6native29vectorized_elementwise_kernelILi2EZZZNS0_12_GLOBAL__N_142_validate_compressed_sparse_indices_kernelILNS2_8CDimNameE1ENS2_18CUDAKernelLauncherENS2_14EmptyVecKernelENS2_8DummyVecELm8EEEvRKNS_6TensorESA_lllENKUlvE1_clEvENKUlvE_clEvEUliiiiiE_St5arrayIPcLm6EEEEviT0_T1_.num_agpr, 0
	.set _ZN2at6native29vectorized_elementwise_kernelILi2EZZZNS0_12_GLOBAL__N_142_validate_compressed_sparse_indices_kernelILNS2_8CDimNameE1ENS2_18CUDAKernelLauncherENS2_14EmptyVecKernelENS2_8DummyVecELm8EEEvRKNS_6TensorESA_lllENKUlvE1_clEvENKUlvE_clEvEUliiiiiE_St5arrayIPcLm6EEEEviT0_T1_.numbered_sgpr, 69
	.set _ZN2at6native29vectorized_elementwise_kernelILi2EZZZNS0_12_GLOBAL__N_142_validate_compressed_sparse_indices_kernelILNS2_8CDimNameE1ENS2_18CUDAKernelLauncherENS2_14EmptyVecKernelENS2_8DummyVecELm8EEEvRKNS_6TensorESA_lllENKUlvE1_clEvENKUlvE_clEvEUliiiiiE_St5arrayIPcLm6EEEEviT0_T1_.num_named_barrier, 0
	.set _ZN2at6native29vectorized_elementwise_kernelILi2EZZZNS0_12_GLOBAL__N_142_validate_compressed_sparse_indices_kernelILNS2_8CDimNameE1ENS2_18CUDAKernelLauncherENS2_14EmptyVecKernelENS2_8DummyVecELm8EEEvRKNS_6TensorESA_lllENKUlvE1_clEvENKUlvE_clEvEUliiiiiE_St5arrayIPcLm6EEEEviT0_T1_.private_seg_size, 0
	.set _ZN2at6native29vectorized_elementwise_kernelILi2EZZZNS0_12_GLOBAL__N_142_validate_compressed_sparse_indices_kernelILNS2_8CDimNameE1ENS2_18CUDAKernelLauncherENS2_14EmptyVecKernelENS2_8DummyVecELm8EEEvRKNS_6TensorESA_lllENKUlvE1_clEvENKUlvE_clEvEUliiiiiE_St5arrayIPcLm6EEEEviT0_T1_.uses_vcc, 1
	.set _ZN2at6native29vectorized_elementwise_kernelILi2EZZZNS0_12_GLOBAL__N_142_validate_compressed_sparse_indices_kernelILNS2_8CDimNameE1ENS2_18CUDAKernelLauncherENS2_14EmptyVecKernelENS2_8DummyVecELm8EEEvRKNS_6TensorESA_lllENKUlvE1_clEvENKUlvE_clEvEUliiiiiE_St5arrayIPcLm6EEEEviT0_T1_.uses_flat_scratch, 0
	.set _ZN2at6native29vectorized_elementwise_kernelILi2EZZZNS0_12_GLOBAL__N_142_validate_compressed_sparse_indices_kernelILNS2_8CDimNameE1ENS2_18CUDAKernelLauncherENS2_14EmptyVecKernelENS2_8DummyVecELm8EEEvRKNS_6TensorESA_lllENKUlvE1_clEvENKUlvE_clEvEUliiiiiE_St5arrayIPcLm6EEEEviT0_T1_.has_dyn_sized_stack, 0
	.set _ZN2at6native29vectorized_elementwise_kernelILi2EZZZNS0_12_GLOBAL__N_142_validate_compressed_sparse_indices_kernelILNS2_8CDimNameE1ENS2_18CUDAKernelLauncherENS2_14EmptyVecKernelENS2_8DummyVecELm8EEEvRKNS_6TensorESA_lllENKUlvE1_clEvENKUlvE_clEvEUliiiiiE_St5arrayIPcLm6EEEEviT0_T1_.has_recursion, 0
	.set _ZN2at6native29vectorized_elementwise_kernelILi2EZZZNS0_12_GLOBAL__N_142_validate_compressed_sparse_indices_kernelILNS2_8CDimNameE1ENS2_18CUDAKernelLauncherENS2_14EmptyVecKernelENS2_8DummyVecELm8EEEvRKNS_6TensorESA_lllENKUlvE1_clEvENKUlvE_clEvEUliiiiiE_St5arrayIPcLm6EEEEviT0_T1_.has_indirect_call, 0
	.section	.AMDGPU.csdata,"",@progbits
; Kernel info:
; codeLenInByte = 13220
; TotalNumSgprs: 71
; NumVgprs: 44
; ScratchSize: 0
; MemoryBound: 0
; FloatMode: 240
; IeeeMode: 1
; LDSByteSize: 0 bytes/workgroup (compile time only)
; SGPRBlocks: 0
; VGPRBlocks: 2
; NumSGPRsForWavesPerEU: 71
; NumVGPRsForWavesPerEU: 44
; NamedBarCnt: 0
; Occupancy: 16
; WaveLimiterHint : 1
; COMPUTE_PGM_RSRC2:SCRATCH_EN: 0
; COMPUTE_PGM_RSRC2:USER_SGPR: 2
; COMPUTE_PGM_RSRC2:TRAP_HANDLER: 0
; COMPUTE_PGM_RSRC2:TGID_X_EN: 1
; COMPUTE_PGM_RSRC2:TGID_Y_EN: 0
; COMPUTE_PGM_RSRC2:TGID_Z_EN: 0
; COMPUTE_PGM_RSRC2:TIDIG_COMP_CNT: 0
	.section	.text._ZN2at6native27unrolled_elementwise_kernelIZZZNS0_12_GLOBAL__N_142_validate_compressed_sparse_indices_kernelILNS2_8CDimNameE1ENS2_18CUDAKernelLauncherENS2_14EmptyVecKernelENS2_8DummyVecELm8EEEvRKNS_6TensorESA_lllENKUlvE1_clEvENKUlvE_clEvEUliiiiiE_St5arrayIPcLm6EELi4E23TrivialOffsetCalculatorILi5EjESH_ILi1EjENS0_6memory15LoadWithoutCastENSK_16StoreWithoutCastEEEviT_T0_T2_T3_T4_T5_,"axG",@progbits,_ZN2at6native27unrolled_elementwise_kernelIZZZNS0_12_GLOBAL__N_142_validate_compressed_sparse_indices_kernelILNS2_8CDimNameE1ENS2_18CUDAKernelLauncherENS2_14EmptyVecKernelENS2_8DummyVecELm8EEEvRKNS_6TensorESA_lllENKUlvE1_clEvENKUlvE_clEvEUliiiiiE_St5arrayIPcLm6EELi4E23TrivialOffsetCalculatorILi5EjESH_ILi1EjENS0_6memory15LoadWithoutCastENSK_16StoreWithoutCastEEEviT_T0_T2_T3_T4_T5_,comdat
	.globl	_ZN2at6native27unrolled_elementwise_kernelIZZZNS0_12_GLOBAL__N_142_validate_compressed_sparse_indices_kernelILNS2_8CDimNameE1ENS2_18CUDAKernelLauncherENS2_14EmptyVecKernelENS2_8DummyVecELm8EEEvRKNS_6TensorESA_lllENKUlvE1_clEvENKUlvE_clEvEUliiiiiE_St5arrayIPcLm6EELi4E23TrivialOffsetCalculatorILi5EjESH_ILi1EjENS0_6memory15LoadWithoutCastENSK_16StoreWithoutCastEEEviT_T0_T2_T3_T4_T5_ ; -- Begin function _ZN2at6native27unrolled_elementwise_kernelIZZZNS0_12_GLOBAL__N_142_validate_compressed_sparse_indices_kernelILNS2_8CDimNameE1ENS2_18CUDAKernelLauncherENS2_14EmptyVecKernelENS2_8DummyVecELm8EEEvRKNS_6TensorESA_lllENKUlvE1_clEvENKUlvE_clEvEUliiiiiE_St5arrayIPcLm6EELi4E23TrivialOffsetCalculatorILi5EjESH_ILi1EjENS0_6memory15LoadWithoutCastENSK_16StoreWithoutCastEEEviT_T0_T2_T3_T4_T5_
	.p2align	8
	.type	_ZN2at6native27unrolled_elementwise_kernelIZZZNS0_12_GLOBAL__N_142_validate_compressed_sparse_indices_kernelILNS2_8CDimNameE1ENS2_18CUDAKernelLauncherENS2_14EmptyVecKernelENS2_8DummyVecELm8EEEvRKNS_6TensorESA_lllENKUlvE1_clEvENKUlvE_clEvEUliiiiiE_St5arrayIPcLm6EELi4E23TrivialOffsetCalculatorILi5EjESH_ILi1EjENS0_6memory15LoadWithoutCastENSK_16StoreWithoutCastEEEviT_T0_T2_T3_T4_T5_,@function
_ZN2at6native27unrolled_elementwise_kernelIZZZNS0_12_GLOBAL__N_142_validate_compressed_sparse_indices_kernelILNS2_8CDimNameE1ENS2_18CUDAKernelLauncherENS2_14EmptyVecKernelENS2_8DummyVecELm8EEEvRKNS_6TensorESA_lllENKUlvE1_clEvENKUlvE_clEvEUliiiiiE_St5arrayIPcLm6EELi4E23TrivialOffsetCalculatorILi5EjESH_ILi1EjENS0_6memory15LoadWithoutCastENSK_16StoreWithoutCastEEEviT_T0_T2_T3_T4_T5_: ; @_ZN2at6native27unrolled_elementwise_kernelIZZZNS0_12_GLOBAL__N_142_validate_compressed_sparse_indices_kernelILNS2_8CDimNameE1ENS2_18CUDAKernelLauncherENS2_14EmptyVecKernelENS2_8DummyVecELm8EEEvRKNS_6TensorESA_lllENKUlvE1_clEvENKUlvE_clEvEUliiiiiE_St5arrayIPcLm6EELi4E23TrivialOffsetCalculatorILi5EjESH_ILi1EjENS0_6memory15LoadWithoutCastENSK_16StoreWithoutCastEEEviT_T0_T2_T3_T4_T5_
; %bb.0:
	s_load_b32 s2, s[0:1], 0x0
	s_bfe_u32 s4, ttmp6, 0x4000c
	s_and_b32 s3, ttmp6, 15
	s_add_co_i32 s4, s4, 1
	s_getreg_b32 s5, hwreg(HW_REG_IB_STS2, 6, 4)
	s_mul_i32 s4, ttmp9, s4
	s_load_b128 s[12:15], s[0:1], 0xd0
	s_add_co_i32 s3, s3, s4
	s_cmp_eq_u32 s5, 0
	s_load_b256 s[4:11], s[0:1], 0xb0
	s_cselect_b32 s3, ttmp9, s3
	v_mov_b64_e32 v[6:7], 0
	s_lshl_b32 s3, s3, 10
	v_dual_mov_b32 v3, 0 :: v_dual_mov_b32 v5, 0
	v_dual_mov_b32 v4, 0 :: v_dual_mov_b32 v2, 0
	;; [unrolled: 1-line block ×4, first 2 shown]
	s_wait_kmcnt 0x0
	s_sub_co_i32 s28, s2, s3
	v_or_b32_e32 v1, 0x100, v0
	v_cmp_gt_i32_e64 s2, s28, v0
	v_dual_mov_b32 v12, 0 :: v_dual_mov_b32 v13, 0
	v_dual_mov_b32 v15, 0 :: v_dual_mov_b32 v16, 0
	;; [unrolled: 1-line block ×5, first 2 shown]
	v_mov_b32_e32 v24, 0
	s_mov_b32 s37, 0
	s_and_saveexec_b32 s16, s2
	s_cbranch_execz .LBB84_8
; %bb.1:
	v_dual_mov_b32 v18, 0 :: v_dual_bitop2_b32 v2, s3, v0 bitop3:0x54
	v_mov_b64_e32 v[6:7], 0
	v_or_b32_e32 v21, 0x100, v0
	v_dual_mov_b32 v14, 0 :: v_dual_mov_b32 v16, 0
	s_clause 0x4
	global_load_b32 v17, v2, s[6:7] scale_offset
	global_load_b32 v19, v2, s[8:9] scale_offset
	global_load_b32 v22, v2, s[10:11] scale_offset
	global_load_b32 v20, v2, s[12:13] scale_offset
	global_load_b32 v24, v2, s[14:15] scale_offset
	v_dual_mov_b32 v15, 0 :: v_dual_mov_b32 v13, 0
	v_dual_mov_b32 v12, 0 :: v_dual_mov_b32 v10, 0
	;; [unrolled: 1-line block ×3, first 2 shown]
	s_wait_xcnt 0x0
	v_dual_mov_b32 v9, 0 :: v_dual_mov_b32 v2, 0
	v_dual_mov_b32 v4, 0 :: v_dual_mov_b32 v5, 0
	v_mov_b32_e32 v3, 0
	s_mov_b32 s17, exec_lo
	v_cmpx_gt_u32_e64 s28, v21
	s_cbranch_execz .LBB84_7
; %bb.2:
	v_dual_add_nc_u32 v2, s3, v21 :: v_dual_mov_b32 v12, 0
	v_mov_b64_e32 v[6:7], 0
	v_or_b32_e32 v21, 0x200, v0
	v_dual_mov_b32 v10, 0 :: v_dual_mov_b32 v8, 0
	s_clause 0x4
	global_load_b32 v13, v2, s[6:7] scale_offset
	global_load_b32 v15, v2, s[8:9] scale_offset
	;; [unrolled: 1-line block ×5, first 2 shown]
	v_dual_mov_b32 v11, 0 :: v_dual_mov_b32 v9, 0
	s_wait_xcnt 0x0
	v_dual_mov_b32 v2, 0 :: v_dual_mov_b32 v4, 0
	v_dual_mov_b32 v5, 0 :: v_dual_mov_b32 v3, 0
	s_mov_b32 s18, exec_lo
	v_cmpx_gt_u32_e64 s28, v21
	s_cbranch_execz .LBB84_6
; %bb.3:
	v_dual_add_nc_u32 v2, s3, v21 :: v_dual_mov_b32 v4, 0
	v_mov_b64_e32 v[6:7], 0
	v_or_b32_e32 v21, 0x300, v0
	v_mov_b32_e32 v3, 0
	s_clause 0x4
	global_load_b32 v9, v2, s[6:7] scale_offset
	global_load_b32 v11, v2, s[8:9] scale_offset
	;; [unrolled: 1-line block ×5, first 2 shown]
	s_wait_xcnt 0x0
	v_dual_mov_b32 v2, 0 :: v_dual_mov_b32 v5, 0
	s_mov_b32 s19, exec_lo
	v_cmpx_gt_u32_e64 s28, v21
	s_cbranch_execz .LBB84_5
; %bb.4:
	v_add_nc_u32_e32 v7, s3, v21
	s_clause 0x4
	global_load_b32 v5, v7, s[8:9] scale_offset
	global_load_b32 v4, v7, s[10:11] scale_offset
	;; [unrolled: 1-line block ×5, first 2 shown]
	s_wait_loadcnt 0x2
	s_wait_xcnt 0x0
	v_ashrrev_i32_e32 v7, 31, v6
.LBB84_5:
	s_or_b32 exec_lo, exec_lo, s19
.LBB84_6:
	s_delay_alu instid0(SALU_CYCLE_1)
	s_or_b32 exec_lo, exec_lo, s18
.LBB84_7:
	s_delay_alu instid0(SALU_CYCLE_1)
	s_or_b32 exec_lo, exec_lo, s17
.LBB84_8:
	s_delay_alu instid0(SALU_CYCLE_1)
	s_or_b32 exec_lo, exec_lo, s16
	s_clause 0x1
	s_load_b128 s[8:11], s[0:1], 0x10
	s_load_b32 s26, s[0:1], 0x20
	s_get_pc_i64 s[6:7]
	s_add_nc_u64 s[6:7], s[6:7], .str.6@rel64+4
	s_get_pc_i64 s[12:13]
	s_add_nc_u64 s[12:13], s[12:13], .str.7@rel64+4
	s_cmp_lg_u64 s[6:7], 0
	s_clause 0x1
	s_load_b32 s35, s[0:1], 0x8
	s_load_b64 s[6:7], s[0:1], 0xa8
	s_get_pc_i64 s[14:15]
	s_add_nc_u64 s[14:15], s[14:15], .str.8@rel64+4
	s_cselect_b32 s36, -1, 0
	s_cmp_lg_u64 s[12:13], 0
	s_add_nc_u64 s[12:13], s[0:1], 8
	s_cselect_b32 s30, -1, 0
	s_cmp_lg_u64 s[14:15], 0
	s_get_pc_i64 s[16:17]
	s_add_nc_u64 s[16:17], s[16:17], .str.9@rel64+4
	s_cselect_b32 s29, -1, 0
	s_wait_xcnt 0x0
	s_mov_b32 s1, -1
	s_mov_b32 s39, 0
	s_mov_b32 s38, 0
	;; [unrolled: 1-line block ×3, first 2 shown]
	s_wait_kmcnt 0x0
	v_cmp_gt_i64_e64 s0, s[10:11], 0
	s_add_co_i32 s14, s26, -1
	s_delay_alu instid0(SALU_CYCLE_1) | instskip(SKIP_1) | instid1(SALU_CYCLE_1)
	s_cmp_gt_i32 s14, -1
	s_cselect_b32 s9, -1, 0
	s_and_b32 s9, s0, s9
	s_cmp_lg_u64 s[16:17], 0
	s_cselect_b32 s27, -1, 0
	s_and_saveexec_b32 s31, s2
	s_cbranch_execz .LBB84_29
; %bb.9:
	s_wait_loadcnt 0x4
	v_cmp_eq_u32_e32 vcc_lo, s35, v17
	s_mov_b32 s0, 0
	s_mov_b32 s15, 0
	;; [unrolled: 1-line block ×4, first 2 shown]
	s_and_b32 s18, s36, vcc_lo
	s_delay_alu instid0(SALU_CYCLE_1)
	s_and_saveexec_b32 s33, s18
	s_cbranch_execz .LBB84_28
; %bb.10:
	s_wait_loadcnt 0x3
	v_cmp_eq_u32_e32 vcc_lo, s10, v19
	s_and_b32 s17, s30, vcc_lo
	s_delay_alu instid0(SALU_CYCLE_1)
	s_and_saveexec_b32 s34, s17
	s_cbranch_execz .LBB84_27
; %bb.11:
	s_wait_loadcnt 0x1
	v_sub_nc_u32_e32 v19, v20, v22
	s_delay_alu instid0(VALU_DEP_1)
	v_cmp_le_i32_e32 vcc_lo, v17, v19
	v_cmp_ge_i32_e64 s0, s8, v19
	s_and_b32 s15, vcc_lo, s0
	s_mov_b32 s0, 0
	s_and_b32 s16, s29, s15
	s_mov_b32 s15, 0
	s_and_saveexec_b32 s37, s16
	s_cbranch_execz .LBB84_26
; %bb.12:
	v_mov_b64_e32 v[26:27], 0
	s_and_not1_b32 vcc_lo, exec_lo, s9
	s_cbranch_vccnz .LBB84_19
; %bb.13:
	s_wait_loadcnt 0x0
	v_ashrrev_i32_e32 v25, 31, v24
	s_ashr_i32 s15, s14, 31
	v_mov_b64_e32 v[26:27], 0
	s_lshl_b64 s[0:1], s[14:15], 3
	s_mov_b64 s[16:17], 0xffffffff
	v_mul_u64_e32 v[28:29], s[10:11], v[24:25]
	v_mov_b32_e32 v24, 0
	s_add_nc_u64 s[0:1], s[12:13], s[0:1]
	s_mov_b32 s15, s26
	s_add_nc_u64 s[18:19], s[0:1], 32
	s_mov_b32 s1, 0
	s_branch .LBB84_15
.LBB84_14:                              ;   in Loop: Header=BB84_15 Depth=1
	s_or_b32 exec_lo, exec_lo, s0
	s_delay_alu instid0(VALU_DEP_1)
	v_mul_u64_e32 v[32:33], s[20:21], v[30:31]
	s_load_b64 s[20:21], s[18:19], 0x40
	s_add_co_i32 s15, s15, -1
	s_wait_xcnt 0x0
	s_add_nc_u64 s[18:19], s[18:19], -8
	s_cmp_eq_u32 s15, 0
	s_delay_alu instid0(VALU_DEP_1) | instskip(SKIP_1) | instid1(VALU_DEP_1)
	v_sub_nc_u64_e32 v[28:29], v[28:29], v[32:33]
	s_wait_kmcnt 0x0
	v_mad_nc_u64_u32 v[26:27], v28, s20, v[26:27]
	s_delay_alu instid0(VALU_DEP_1) | instskip(NEXT) | instid1(VALU_DEP_1)
	v_mad_u32 v17, v29, s20, v27
	v_mad_u32 v27, v28, s21, v17
	v_mov_b64_e32 v[28:29], v[30:31]
	s_cbranch_scc1 .LBB84_19
.LBB84_15:                              ; =>This Inner Loop Header: Depth=1
	s_load_b64 s[20:21], s[18:19], 0x0
                                        ; implicit-def: $vgpr30_vgpr31
	s_mov_b32 s0, exec_lo
	s_wait_kmcnt 0x0
	s_delay_alu instid0(VALU_DEP_1) | instskip(NEXT) | instid1(VALU_DEP_1)
	v_or_b32_e32 v25, s21, v29
	v_cmpx_ne_u64_e32 0, v[24:25]
	s_xor_b32 s38, exec_lo, s0
	s_cbranch_execz .LBB84_17
; %bb.16:                               ;   in Loop: Header=BB84_15 Depth=1
	s_ashr_i32 s22, s21, 31
	v_dual_mov_b32 v35, v24 :: v_dual_ashrrev_i32 v30, 31, v29
	s_mov_b32 s23, s22
	s_delay_alu instid0(SALU_CYCLE_1) | instskip(NEXT) | instid1(VALU_DEP_1)
	s_add_nc_u64 s[24:25], s[20:21], s[22:23]
	v_mov_b32_e32 v31, v30
	s_xor_b64 s[24:25], s[24:25], s[22:23]
	s_delay_alu instid0(SALU_CYCLE_1)
	s_cvt_f32_u32 s0, s24
	s_cvt_f32_u32 s23, s25
	s_sub_nc_u64 s[42:43], 0, s[24:25]
	v_add_nc_u64_e32 v[32:33], v[28:29], v[30:31]
	v_mov_b32_e32 v39, v24
	s_fmamk_f32 s0, s23, 0x4f800000, s0
	s_delay_alu instid0(SALU_CYCLE_3) | instskip(NEXT) | instid1(VALU_DEP_2)
	v_s_rcp_f32 s0, s0
	v_xor_b32_e32 v34, v32, v30
	s_delay_alu instid0(VALU_DEP_3) | instskip(NEXT) | instid1(TRANS32_DEP_1)
	v_dual_mov_b32 v43, v24 :: v_dual_bitop2_b32 v38, v33, v30 bitop3:0x14
	s_mul_f32 s0, s0, 0x5f7ffffc
	s_delay_alu instid0(SALU_CYCLE_3) | instskip(NEXT) | instid1(SALU_CYCLE_3)
	s_mul_f32 s23, s0, 0x2f800000
	s_trunc_f32 s23, s23
	s_delay_alu instid0(SALU_CYCLE_3) | instskip(SKIP_1) | instid1(SALU_CYCLE_2)
	s_fmamk_f32 s0, s23, 0xcf800000, s0
	s_cvt_u32_f32 s41, s23
	s_cvt_u32_f32 s40, s0
	s_delay_alu instid0(SALU_CYCLE_3) | instskip(NEXT) | instid1(SALU_CYCLE_1)
	s_mul_u64 s[44:45], s[42:43], s[40:41]
	s_mul_hi_u32 s47, s40, s45
	s_mul_i32 s46, s40, s45
	s_mul_hi_u32 s0, s40, s44
	s_mul_i32 s39, s41, s44
	s_add_nc_u64 s[46:47], s[0:1], s[46:47]
	s_mul_hi_u32 s23, s41, s44
	s_mul_hi_u32 s48, s41, s45
	s_add_co_u32 s0, s46, s39
	s_add_co_ci_u32 s0, s47, s23
	s_mul_i32 s44, s41, s45
	s_add_co_ci_u32 s45, s48, 0
	s_delay_alu instid0(SALU_CYCLE_1) | instskip(NEXT) | instid1(SALU_CYCLE_1)
	s_add_nc_u64 s[44:45], s[0:1], s[44:45]
	s_add_co_u32 s40, s40, s44
	s_cselect_b32 s0, -1, 0
	s_delay_alu instid0(SALU_CYCLE_1) | instskip(SKIP_1) | instid1(SALU_CYCLE_1)
	s_cmp_lg_u32 s0, 0
	s_add_co_ci_u32 s41, s41, s45
	s_mul_u64 s[42:43], s[42:43], s[40:41]
	s_delay_alu instid0(SALU_CYCLE_1)
	s_mul_hi_u32 s45, s40, s43
	s_mul_i32 s44, s40, s43
	s_mul_hi_u32 s0, s40, s42
	s_mul_i32 s39, s41, s42
	s_add_nc_u64 s[44:45], s[0:1], s[44:45]
	s_mul_hi_u32 s23, s41, s42
	s_mul_hi_u32 s46, s41, s43
	s_add_co_u32 s0, s44, s39
	s_add_co_ci_u32 s0, s45, s23
	s_mul_i32 s42, s41, s43
	s_add_co_ci_u32 s43, s46, 0
	s_delay_alu instid0(SALU_CYCLE_1) | instskip(NEXT) | instid1(SALU_CYCLE_1)
	s_add_nc_u64 s[42:43], s[0:1], s[42:43]
	s_add_co_u32 s40, s40, s42
	s_cselect_b32 s0, -1, 0
	v_mul_hi_u32 v42, v34, s40
	s_cmp_lg_u32 s0, 0
	s_add_co_ci_u32 s0, s41, s43
	s_and_b64 s[42:43], s[40:41], s[16:17]
	v_mul_u64_e32 v[36:37], s[0:1], v[34:35]
	v_mul_u64_e32 v[32:33], s[42:43], v[38:39]
	;; [unrolled: 1-line block ×3, first 2 shown]
	s_delay_alu instid0(VALU_DEP_3) | instskip(NEXT) | instid1(VALU_DEP_1)
	v_add_nc_u64_e32 v[36:37], v[42:43], v[36:37]
	v_add_co_u32 v17, vcc_lo, v36, v32
	s_delay_alu instid0(VALU_DEP_2) | instskip(NEXT) | instid1(VALU_DEP_4)
	v_add_co_ci_u32_e32 v42, vcc_lo, v37, v33, vcc_lo
	v_add_co_ci_u32_e32 v41, vcc_lo, 0, v41, vcc_lo
	s_delay_alu instid0(VALU_DEP_1) | instskip(NEXT) | instid1(VALU_DEP_1)
	v_add_nc_u64_e32 v[32:33], v[42:43], v[40:41]
	v_mul_u64_e32 v[36:37], s[24:25], v[32:33]
	s_delay_alu instid0(VALU_DEP_1) | instskip(NEXT) | instid1(VALU_DEP_2)
	v_sub_nc_u32_e32 v17, v38, v37
	v_sub_co_u32 v19, vcc_lo, v34, v36
	s_delay_alu instid0(VALU_DEP_1) | instskip(NEXT) | instid1(VALU_DEP_3)
	v_sub_co_ci_u32_e64 v23, null, v38, v37, vcc_lo
	v_subrev_co_ci_u32_e64 v17, null, s25, v17, vcc_lo
	s_delay_alu instid0(VALU_DEP_3) | instskip(SKIP_1) | instid1(VALU_DEP_3)
	v_sub_co_u32 v21, s0, v19, s24
	v_add_nc_u64_e32 v[34:35], 2, v[32:33]
	v_subrev_co_ci_u32_e64 v17, null, 0, v17, s0
	s_delay_alu instid0(VALU_DEP_3) | instskip(SKIP_2) | instid1(VALU_DEP_4)
	v_cmp_le_u32_e32 vcc_lo, s24, v21
	v_add_nc_u64_e32 v[36:37], 1, v[32:33]
	v_cndmask_b32_e64 v21, 0, -1, vcc_lo
	v_cmp_le_u32_e32 vcc_lo, s25, v17
	v_cndmask_b32_e64 v25, 0, -1, vcc_lo
	v_cmp_le_u32_e32 vcc_lo, s24, v19
	;; [unrolled: 2-line block ×3, first 2 shown]
	v_cndmask_b32_e64 v31, 0, -1, vcc_lo
	v_cmp_eq_u32_e32 vcc_lo, s25, v17
	v_cndmask_b32_e32 v17, v25, v21, vcc_lo
	v_cmp_eq_u32_e32 vcc_lo, s25, v23
	s_delay_alu instid0(VALU_DEP_4) | instskip(NEXT) | instid1(VALU_DEP_3)
	v_cndmask_b32_e32 v19, v31, v19, vcc_lo
	v_cmp_ne_u32_e32 vcc_lo, 0, v17
	s_delay_alu instid0(VALU_DEP_2) | instskip(SKIP_1) | instid1(VALU_DEP_1)
	v_cmp_ne_u32_e64 s0, 0, v19
	v_dual_cndmask_b32 v17, v37, v35, vcc_lo :: v_dual_cndmask_b32 v19, v36, v34, vcc_lo
	v_dual_cndmask_b32 v17, v33, v17, s0 :: v_dual_bitop2_b32 v30, s22, v30 bitop3:0x14
	s_delay_alu instid0(VALU_DEP_1) | instskip(NEXT) | instid1(VALU_DEP_2)
	v_dual_cndmask_b32 v19, v32, v19, s0 :: v_dual_mov_b32 v31, v30
	v_xor_b32_e32 v33, v17, v30
	s_delay_alu instid0(VALU_DEP_2) | instskip(NEXT) | instid1(VALU_DEP_1)
	v_xor_b32_e32 v32, v19, v30
	v_sub_nc_u64_e32 v[30:31], v[32:33], v[30:31]
.LBB84_17:                              ;   in Loop: Header=BB84_15 Depth=1
	s_and_not1_saveexec_b32 s0, s38
	s_cbranch_execz .LBB84_14
; %bb.18:                               ;   in Loop: Header=BB84_15 Depth=1
	v_cvt_f32_u32_e32 v17, s20
	s_sub_co_i32 s22, 0, s20
	v_mov_b32_e32 v31, v24
	s_delay_alu instid0(VALU_DEP_2) | instskip(SKIP_1) | instid1(TRANS32_DEP_1)
	v_rcp_iflag_f32_e32 v17, v17
	v_nop
	v_mul_f32_e32 v17, 0x4f7ffffe, v17
	s_delay_alu instid0(VALU_DEP_1) | instskip(NEXT) | instid1(VALU_DEP_1)
	v_cvt_u32_f32_e32 v17, v17
	v_mul_lo_u32 v19, s22, v17
	s_delay_alu instid0(VALU_DEP_1) | instskip(NEXT) | instid1(VALU_DEP_1)
	v_mul_hi_u32 v19, v17, v19
	v_add_nc_u32_e32 v17, v17, v19
	s_delay_alu instid0(VALU_DEP_1) | instskip(NEXT) | instid1(VALU_DEP_1)
	v_mul_hi_u32 v17, v28, v17
	v_mul_lo_u32 v19, v17, s20
	s_delay_alu instid0(VALU_DEP_1) | instskip(NEXT) | instid1(VALU_DEP_1)
	v_sub_nc_u32_e32 v19, v28, v19
	v_subrev_nc_u32_e32 v23, s20, v19
	v_cmp_le_u32_e32 vcc_lo, s20, v19
	s_delay_alu instid0(VALU_DEP_2) | instskip(NEXT) | instid1(VALU_DEP_1)
	v_dual_add_nc_u32 v21, 1, v17 :: v_dual_cndmask_b32 v19, v19, v23, vcc_lo
	v_cndmask_b32_e32 v17, v17, v21, vcc_lo
	s_delay_alu instid0(VALU_DEP_2) | instskip(NEXT) | instid1(VALU_DEP_2)
	v_cmp_le_u32_e32 vcc_lo, s20, v19
	v_add_nc_u32_e32 v21, 1, v17
	s_delay_alu instid0(VALU_DEP_1)
	v_cndmask_b32_e32 v30, v17, v21, vcc_lo
	s_branch .LBB84_14
.LBB84_19:
	s_mov_b32 s16, -1
	s_mov_b32 s1, 0
	s_mov_b32 s0, exec_lo
	v_cmpx_gt_i32_e64 v20, v22
	s_cbranch_execz .LBB84_25
; %bb.20:
	s_wait_loadcnt 0x0
	s_delay_alu instid0(VALU_DEP_2) | instskip(SKIP_2) | instid1(VALU_DEP_1)
	v_lshlrev_b64_e32 v[24:25], 2, v[26:27]
	v_dual_ashrrev_i32 v23, 31, v22 :: v_dual_ashrrev_i32 v21, 31, v20
	s_xor_b32 s16, s27, -1
                                        ; implicit-def: $sgpr15
                                        ; implicit-def: $sgpr18
                                        ; implicit-def: $sgpr17
	v_lshl_add_u64 v[22:23], v[22:23], 2, v[24:25]
	v_add_nc_u64_e32 v[24:25], s[6:7], v[24:25]
	s_delay_alu instid0(VALU_DEP_2) | instskip(NEXT) | instid1(VALU_DEP_2)
	v_add_nc_u64_e32 v[22:23], s[6:7], v[22:23]
	v_lshl_add_u64 v[20:21], v[20:21], 2, v[24:25]
	s_delay_alu instid0(VALU_DEP_2)
	v_add_nc_u64_e32 v[22:23], 4, v[22:23]
	s_branch .LBB84_22
.LBB84_21:                              ;   in Loop: Header=BB84_22 Depth=1
	s_or_b32 exec_lo, exec_lo, s19
	s_delay_alu instid0(SALU_CYCLE_1) | instskip(NEXT) | instid1(SALU_CYCLE_1)
	s_and_b32 s19, exec_lo, s18
	s_or_b32 s1, s19, s1
	s_and_not1_b32 s15, s15, exec_lo
	s_and_b32 s19, s17, exec_lo
	s_delay_alu instid0(SALU_CYCLE_1)
	s_or_b32 s15, s15, s19
	s_and_not1_b32 exec_lo, exec_lo, s1
	s_cbranch_execz .LBB84_24
.LBB84_22:                              ; =>This Inner Loop Header: Depth=1
	s_or_b32 s17, s17, exec_lo
	s_or_b32 s18, s18, exec_lo
	s_mov_b32 s19, exec_lo
	s_delay_alu instid0(VALU_DEP_1)
	v_cmpx_lt_u64_e64 v[22:23], v[20:21]
	s_cbranch_execz .LBB84_21
; %bb.23:                               ;   in Loop: Header=BB84_22 Depth=1
	global_load_b64 v[24:25], v[22:23], off offset:-4
	s_wait_xcnt 0x0
	v_add_nc_u64_e32 v[22:23], 4, v[22:23]
	s_and_not1_b32 s18, s18, exec_lo
	s_and_not1_b32 s17, s17, exec_lo
	s_wait_loadcnt 0x0
	v_cmp_ge_i32_e32 vcc_lo, v24, v25
	s_or_b32 s20, s16, vcc_lo
	s_delay_alu instid0(SALU_CYCLE_1) | instskip(NEXT) | instid1(SALU_CYCLE_1)
	s_and_b32 s20, s20, exec_lo
	s_or_b32 s18, s18, s20
	s_branch .LBB84_21
.LBB84_24:
	s_or_b32 exec_lo, exec_lo, s1
	s_delay_alu instid0(SALU_CYCLE_1)
	s_mov_b32 s1, exec_lo
	s_or_not1_b32 s16, s15, exec_lo
.LBB84_25:
	s_or_b32 exec_lo, exec_lo, s0
	s_delay_alu instid0(SALU_CYCLE_1)
	s_and_b32 s15, s1, exec_lo
	s_xor_b32 s1, exec_lo, -1
	s_and_b32 s0, s16, exec_lo
.LBB84_26:
	s_or_b32 exec_lo, exec_lo, s37
	s_delay_alu instid0(SALU_CYCLE_1)
	s_and_b32 s16, s15, exec_lo
	s_and_b32 s15, s1, exec_lo
	s_xor_b32 s1, exec_lo, -1
	s_and_b32 s0, s0, exec_lo
.LBB84_27:
	s_or_b32 exec_lo, exec_lo, s34
	s_delay_alu instid0(SALU_CYCLE_1)
	s_and_b32 s17, s16, exec_lo
	s_and_b32 s16, s15, exec_lo
	s_and_b32 s15, s1, exec_lo
	s_xor_b32 s1, exec_lo, -1
	s_and_b32 s0, s0, exec_lo
.LBB84_28:
	s_or_b32 exec_lo, exec_lo, s33
	s_delay_alu instid0(SALU_CYCLE_1)
	s_and_b32 s33, s17, exec_lo
	s_and_b32 s38, s16, exec_lo
	;; [unrolled: 1-line block ×4, first 2 shown]
	s_or_not1_b32 s1, s0, exec_lo
.LBB84_29:
	s_or_b32 exec_lo, exec_lo, s31
	s_mov_b32 s34, 0
	s_mov_b32 s0, 0
	;; [unrolled: 1-line block ×3, first 2 shown]
                                        ; implicit-def: $sgpr31
                                        ; implicit-def: $sgpr40
                                        ; implicit-def: $sgpr18
                                        ; implicit-def: $vgpr17
                                        ; implicit-def: $vgpr20
	s_and_saveexec_b32 s41, s1
	s_cbranch_execz .LBB84_79
; %bb.30:
	v_cmp_gt_i32_e64 s31, s28, v1
	s_mov_b32 s0, -1
	s_mov_b32 s47, 0
	s_mov_b32 s42, s37
	;; [unrolled: 1-line block ×5, first 2 shown]
	s_and_saveexec_b32 s40, s31
	s_cbranch_execz .LBB84_51
; %bb.31:
	s_wait_loadcnt 0x4
	v_cmp_eq_u32_e32 vcc_lo, s35, v13
	s_mov_b32 s1, -1
	s_mov_b32 s0, 0
	s_mov_b32 s16, s39
	;; [unrolled: 1-line block ×3, first 2 shown]
	s_and_b32 s18, s36, vcc_lo
	s_mov_b32 s15, 0
	s_and_saveexec_b32 s42, s18
	s_cbranch_execz .LBB84_50
; %bb.32:
	s_wait_loadcnt 0x3
	v_cmp_eq_u32_e32 vcc_lo, s10, v15
	s_mov_b32 s16, s38
	s_and_b32 s17, s30, vcc_lo
	s_delay_alu instid0(SALU_CYCLE_1)
	s_and_saveexec_b32 s43, s17
	s_cbranch_execz .LBB84_49
; %bb.33:
	s_wait_loadcnt 0x1
	v_sub_nc_u32_e32 v15, v14, v16
	s_delay_alu instid0(VALU_DEP_1)
	v_cmp_le_i32_e32 vcc_lo, v13, v15
	v_cmp_ge_i32_e64 s0, s8, v15
	s_and_b32 s15, vcc_lo, s0
	s_mov_b32 s0, 0
	s_and_b32 s16, s29, s15
	s_mov_b32 s15, 0
	s_and_saveexec_b32 s44, s16
	s_cbranch_execz .LBB84_48
; %bb.34:
	v_mov_b64_e32 v[20:21], 0
	s_and_not1_b32 vcc_lo, exec_lo, s9
	s_cbranch_vccnz .LBB84_41
; %bb.35:
	s_wait_loadcnt 0x0
	v_ashrrev_i32_e32 v19, 31, v18
	s_ashr_i32 s15, s14, 31
	v_mov_b64_e32 v[20:21], 0
	s_lshl_b64 s[0:1], s[14:15], 3
	s_mov_b64 s[16:17], 0xffffffff
	v_mul_u64_e32 v[22:23], s[10:11], v[18:19]
	v_mov_b32_e32 v18, 0
	s_add_nc_u64 s[0:1], s[12:13], s[0:1]
	s_mov_b32 s15, s26
	s_add_nc_u64 s[18:19], s[0:1], 32
	s_mov_b32 s1, 0
	s_branch .LBB84_37
.LBB84_36:                              ;   in Loop: Header=BB84_37 Depth=1
	s_or_b32 exec_lo, exec_lo, s0
	s_delay_alu instid0(VALU_DEP_1)
	v_mul_u64_e32 v[26:27], s[20:21], v[24:25]
	s_load_b64 s[20:21], s[18:19], 0x40
	s_add_co_i32 s15, s15, -1
	s_wait_xcnt 0x0
	s_add_nc_u64 s[18:19], s[18:19], -8
	s_cmp_lg_u32 s15, 0
	s_delay_alu instid0(VALU_DEP_1) | instskip(SKIP_1) | instid1(VALU_DEP_1)
	v_sub_nc_u64_e32 v[22:23], v[22:23], v[26:27]
	s_wait_kmcnt 0x0
	v_mad_nc_u64_u32 v[20:21], v22, s20, v[20:21]
	s_delay_alu instid0(VALU_DEP_1) | instskip(NEXT) | instid1(VALU_DEP_1)
	v_mad_u32 v13, v23, s20, v21
	v_mad_u32 v21, v22, s21, v13
	v_mov_b64_e32 v[22:23], v[24:25]
	s_cbranch_scc0 .LBB84_41
.LBB84_37:                              ; =>This Inner Loop Header: Depth=1
	s_load_b64 s[20:21], s[18:19], 0x0
                                        ; implicit-def: $vgpr24_vgpr25
	s_mov_b32 s0, exec_lo
	s_wait_kmcnt 0x0
	s_delay_alu instid0(VALU_DEP_1) | instskip(NEXT) | instid1(VALU_DEP_1)
	v_or_b32_e32 v19, s21, v23
	v_cmpx_ne_u64_e32 0, v[18:19]
	s_xor_b32 s45, exec_lo, s0
	s_cbranch_execz .LBB84_39
; %bb.38:                               ;   in Loop: Header=BB84_37 Depth=1
	s_ashr_i32 s22, s21, 31
	v_dual_mov_b32 v29, v18 :: v_dual_ashrrev_i32 v24, 31, v23
	s_mov_b32 s23, s22
	s_delay_alu instid0(SALU_CYCLE_1) | instskip(NEXT) | instid1(VALU_DEP_1)
	s_add_nc_u64 s[24:25], s[20:21], s[22:23]
	v_mov_b32_e32 v25, v24
	s_xor_b64 s[24:25], s[24:25], s[22:23]
	s_delay_alu instid0(SALU_CYCLE_1)
	s_cvt_f32_u32 s0, s24
	s_cvt_f32_u32 s23, s25
	s_sub_nc_u64 s[50:51], 0, s[24:25]
	v_add_nc_u64_e32 v[26:27], v[22:23], v[24:25]
	v_mov_b32_e32 v33, v18
	s_fmamk_f32 s0, s23, 0x4f800000, s0
	s_delay_alu instid0(SALU_CYCLE_3) | instskip(NEXT) | instid1(VALU_DEP_2)
	v_s_rcp_f32 s0, s0
	v_xor_b32_e32 v28, v26, v24
	s_delay_alu instid0(VALU_DEP_3) | instskip(NEXT) | instid1(TRANS32_DEP_1)
	v_dual_mov_b32 v37, v18 :: v_dual_bitop2_b32 v32, v27, v24 bitop3:0x14
	s_mul_f32 s0, s0, 0x5f7ffffc
	s_delay_alu instid0(SALU_CYCLE_3) | instskip(NEXT) | instid1(SALU_CYCLE_3)
	s_mul_f32 s23, s0, 0x2f800000
	s_trunc_f32 s23, s23
	s_delay_alu instid0(SALU_CYCLE_3) | instskip(SKIP_1) | instid1(SALU_CYCLE_2)
	s_fmamk_f32 s0, s23, 0xcf800000, s0
	s_cvt_u32_f32 s49, s23
	s_cvt_u32_f32 s48, s0
	s_delay_alu instid0(SALU_CYCLE_3) | instskip(NEXT) | instid1(SALU_CYCLE_1)
	s_mul_u64 s[52:53], s[50:51], s[48:49]
	s_mul_hi_u32 s55, s48, s53
	s_mul_i32 s54, s48, s53
	s_mul_hi_u32 s0, s48, s52
	s_mul_i32 s46, s49, s52
	s_add_nc_u64 s[54:55], s[0:1], s[54:55]
	s_mul_hi_u32 s23, s49, s52
	s_mul_hi_u32 s56, s49, s53
	s_add_co_u32 s0, s54, s46
	s_add_co_ci_u32 s0, s55, s23
	s_mul_i32 s52, s49, s53
	s_add_co_ci_u32 s53, s56, 0
	s_delay_alu instid0(SALU_CYCLE_1) | instskip(NEXT) | instid1(SALU_CYCLE_1)
	s_add_nc_u64 s[52:53], s[0:1], s[52:53]
	s_add_co_u32 s48, s48, s52
	s_cselect_b32 s0, -1, 0
	s_delay_alu instid0(SALU_CYCLE_1) | instskip(SKIP_1) | instid1(SALU_CYCLE_1)
	s_cmp_lg_u32 s0, 0
	s_add_co_ci_u32 s49, s49, s53
	s_mul_u64 s[50:51], s[50:51], s[48:49]
	s_delay_alu instid0(SALU_CYCLE_1)
	s_mul_hi_u32 s53, s48, s51
	s_mul_i32 s52, s48, s51
	s_mul_hi_u32 s0, s48, s50
	s_mul_i32 s46, s49, s50
	s_add_nc_u64 s[52:53], s[0:1], s[52:53]
	s_mul_hi_u32 s23, s49, s50
	s_mul_hi_u32 s54, s49, s51
	s_add_co_u32 s0, s52, s46
	s_add_co_ci_u32 s0, s53, s23
	s_mul_i32 s50, s49, s51
	s_add_co_ci_u32 s51, s54, 0
	s_delay_alu instid0(SALU_CYCLE_1) | instskip(NEXT) | instid1(SALU_CYCLE_1)
	s_add_nc_u64 s[50:51], s[0:1], s[50:51]
	s_add_co_u32 s46, s48, s50
	s_cselect_b32 s0, -1, 0
	v_mul_hi_u32 v36, v28, s46
	s_cmp_lg_u32 s0, 0
	s_add_co_ci_u32 s0, s49, s51
	s_and_b64 s[48:49], s[46:47], s[16:17]
	v_mul_u64_e32 v[30:31], s[0:1], v[28:29]
	v_mul_u64_e32 v[26:27], s[48:49], v[32:33]
	;; [unrolled: 1-line block ×3, first 2 shown]
	s_delay_alu instid0(VALU_DEP_3) | instskip(NEXT) | instid1(VALU_DEP_1)
	v_add_nc_u64_e32 v[30:31], v[36:37], v[30:31]
	v_add_co_u32 v13, vcc_lo, v30, v26
	s_delay_alu instid0(VALU_DEP_2) | instskip(NEXT) | instid1(VALU_DEP_4)
	v_add_co_ci_u32_e32 v36, vcc_lo, v31, v27, vcc_lo
	v_add_co_ci_u32_e32 v35, vcc_lo, 0, v35, vcc_lo
	s_delay_alu instid0(VALU_DEP_1) | instskip(NEXT) | instid1(VALU_DEP_1)
	v_add_nc_u64_e32 v[26:27], v[36:37], v[34:35]
	v_mul_u64_e32 v[30:31], s[24:25], v[26:27]
	s_delay_alu instid0(VALU_DEP_1) | instskip(NEXT) | instid1(VALU_DEP_2)
	v_sub_nc_u32_e32 v13, v32, v31
	v_sub_co_u32 v15, vcc_lo, v28, v30
	s_delay_alu instid0(VALU_DEP_1) | instskip(NEXT) | instid1(VALU_DEP_3)
	v_sub_co_ci_u32_e64 v19, null, v32, v31, vcc_lo
	v_subrev_co_ci_u32_e64 v13, null, s25, v13, vcc_lo
	s_delay_alu instid0(VALU_DEP_3) | instskip(SKIP_1) | instid1(VALU_DEP_3)
	v_sub_co_u32 v17, s0, v15, s24
	v_add_nc_u64_e32 v[28:29], 2, v[26:27]
	v_subrev_co_ci_u32_e64 v13, null, 0, v13, s0
	s_delay_alu instid0(VALU_DEP_3) | instskip(SKIP_2) | instid1(VALU_DEP_4)
	v_cmp_le_u32_e32 vcc_lo, s24, v17
	v_add_nc_u64_e32 v[30:31], 1, v[26:27]
	v_cndmask_b32_e64 v17, 0, -1, vcc_lo
	v_cmp_le_u32_e32 vcc_lo, s25, v13
	v_cndmask_b32_e64 v25, 0, -1, vcc_lo
	v_cmp_le_u32_e32 vcc_lo, s24, v15
	;; [unrolled: 2-line block ×3, first 2 shown]
	v_cndmask_b32_e64 v32, 0, -1, vcc_lo
	v_cmp_eq_u32_e32 vcc_lo, s25, v13
	v_cndmask_b32_e32 v13, v25, v17, vcc_lo
	v_cmp_eq_u32_e32 vcc_lo, s25, v19
	s_delay_alu instid0(VALU_DEP_4) | instskip(NEXT) | instid1(VALU_DEP_3)
	v_cndmask_b32_e32 v15, v32, v15, vcc_lo
	v_cmp_ne_u32_e32 vcc_lo, 0, v13
	s_delay_alu instid0(VALU_DEP_2) | instskip(SKIP_1) | instid1(VALU_DEP_1)
	v_cmp_ne_u32_e64 s0, 0, v15
	v_dual_cndmask_b32 v13, v31, v29, vcc_lo :: v_dual_cndmask_b32 v15, v30, v28, vcc_lo
	v_dual_cndmask_b32 v13, v27, v13, s0 :: v_dual_bitop2_b32 v24, s22, v24 bitop3:0x14
	s_delay_alu instid0(VALU_DEP_1) | instskip(NEXT) | instid1(VALU_DEP_2)
	v_dual_cndmask_b32 v15, v26, v15, s0 :: v_dual_mov_b32 v25, v24
	v_xor_b32_e32 v27, v13, v24
	s_delay_alu instid0(VALU_DEP_2) | instskip(NEXT) | instid1(VALU_DEP_1)
	v_xor_b32_e32 v26, v15, v24
	v_sub_nc_u64_e32 v[24:25], v[26:27], v[24:25]
.LBB84_39:                              ;   in Loop: Header=BB84_37 Depth=1
	s_and_not1_saveexec_b32 s0, s45
	s_cbranch_execz .LBB84_36
; %bb.40:                               ;   in Loop: Header=BB84_37 Depth=1
	v_cvt_f32_u32_e32 v13, s20
	s_sub_co_i32 s22, 0, s20
	v_mov_b32_e32 v25, v18
	s_delay_alu instid0(VALU_DEP_2) | instskip(SKIP_1) | instid1(TRANS32_DEP_1)
	v_rcp_iflag_f32_e32 v13, v13
	v_nop
	v_mul_f32_e32 v13, 0x4f7ffffe, v13
	s_delay_alu instid0(VALU_DEP_1) | instskip(NEXT) | instid1(VALU_DEP_1)
	v_cvt_u32_f32_e32 v13, v13
	v_mul_lo_u32 v15, s22, v13
	s_delay_alu instid0(VALU_DEP_1) | instskip(NEXT) | instid1(VALU_DEP_1)
	v_mul_hi_u32 v15, v13, v15
	v_add_nc_u32_e32 v13, v13, v15
	s_delay_alu instid0(VALU_DEP_1) | instskip(NEXT) | instid1(VALU_DEP_1)
	v_mul_hi_u32 v13, v22, v13
	v_mul_lo_u32 v15, v13, s20
	s_delay_alu instid0(VALU_DEP_1) | instskip(NEXT) | instid1(VALU_DEP_1)
	v_sub_nc_u32_e32 v15, v22, v15
	v_subrev_nc_u32_e32 v19, s20, v15
	v_cmp_le_u32_e32 vcc_lo, s20, v15
	s_delay_alu instid0(VALU_DEP_2) | instskip(NEXT) | instid1(VALU_DEP_1)
	v_dual_add_nc_u32 v17, 1, v13 :: v_dual_cndmask_b32 v15, v15, v19, vcc_lo
	v_cndmask_b32_e32 v13, v13, v17, vcc_lo
	s_delay_alu instid0(VALU_DEP_2) | instskip(NEXT) | instid1(VALU_DEP_2)
	v_cmp_le_u32_e32 vcc_lo, s20, v15
	v_add_nc_u32_e32 v17, 1, v13
	s_delay_alu instid0(VALU_DEP_1)
	v_cndmask_b32_e32 v24, v13, v17, vcc_lo
	s_branch .LBB84_36
.LBB84_41:
	s_mov_b32 s16, -1
	s_mov_b32 s1, 0
	s_mov_b32 s0, exec_lo
	v_cmpx_gt_i32_e64 v14, v16
	s_cbranch_execz .LBB84_47
; %bb.42:
	s_wait_loadcnt 0x0
	s_delay_alu instid0(VALU_DEP_2) | instskip(SKIP_2) | instid1(VALU_DEP_1)
	v_lshlrev_b64_e32 v[18:19], 2, v[20:21]
	v_dual_ashrrev_i32 v17, 31, v16 :: v_dual_ashrrev_i32 v15, 31, v14
	s_xor_b32 s16, s27, -1
                                        ; implicit-def: $sgpr15
                                        ; implicit-def: $sgpr18
                                        ; implicit-def: $sgpr17
	v_lshl_add_u64 v[16:17], v[16:17], 2, v[18:19]
	v_add_nc_u64_e32 v[18:19], s[6:7], v[18:19]
	s_delay_alu instid0(VALU_DEP_2) | instskip(NEXT) | instid1(VALU_DEP_2)
	v_add_nc_u64_e32 v[16:17], s[6:7], v[16:17]
	v_lshl_add_u64 v[14:15], v[14:15], 2, v[18:19]
	s_delay_alu instid0(VALU_DEP_2)
	v_add_nc_u64_e32 v[16:17], 4, v[16:17]
	s_branch .LBB84_44
.LBB84_43:                              ;   in Loop: Header=BB84_44 Depth=1
	s_or_b32 exec_lo, exec_lo, s19
	s_delay_alu instid0(SALU_CYCLE_1) | instskip(NEXT) | instid1(SALU_CYCLE_1)
	s_and_b32 s19, exec_lo, s18
	s_or_b32 s1, s19, s1
	s_and_not1_b32 s15, s15, exec_lo
	s_and_b32 s19, s17, exec_lo
	s_delay_alu instid0(SALU_CYCLE_1)
	s_or_b32 s15, s15, s19
	s_and_not1_b32 exec_lo, exec_lo, s1
	s_cbranch_execz .LBB84_46
.LBB84_44:                              ; =>This Inner Loop Header: Depth=1
	s_or_b32 s17, s17, exec_lo
	s_or_b32 s18, s18, exec_lo
	s_mov_b32 s19, exec_lo
	s_delay_alu instid0(VALU_DEP_1)
	v_cmpx_lt_u64_e64 v[16:17], v[14:15]
	s_cbranch_execz .LBB84_43
; %bb.45:                               ;   in Loop: Header=BB84_44 Depth=1
	global_load_b64 v[18:19], v[16:17], off offset:-4
	s_wait_xcnt 0x0
	v_add_nc_u64_e32 v[16:17], 4, v[16:17]
	s_and_not1_b32 s18, s18, exec_lo
	s_and_not1_b32 s17, s17, exec_lo
	s_wait_loadcnt 0x0
	v_cmp_ge_i32_e32 vcc_lo, v18, v19
	s_or_b32 s20, s16, vcc_lo
	s_delay_alu instid0(SALU_CYCLE_1) | instskip(NEXT) | instid1(SALU_CYCLE_1)
	s_and_b32 s20, s20, exec_lo
	s_or_b32 s18, s18, s20
	s_branch .LBB84_43
.LBB84_46:
	s_or_b32 exec_lo, exec_lo, s1
	s_delay_alu instid0(SALU_CYCLE_1)
	s_mov_b32 s1, exec_lo
	s_or_not1_b32 s16, s15, exec_lo
.LBB84_47:
	s_or_b32 exec_lo, exec_lo, s0
	s_delay_alu instid0(SALU_CYCLE_1)
	s_and_b32 s15, s1, exec_lo
	s_xor_b32 s1, exec_lo, -1
	s_and_b32 s0, s16, exec_lo
.LBB84_48:
	s_or_b32 exec_lo, exec_lo, s44
	s_delay_alu instid0(SALU_CYCLE_1)
	s_and_not1_b32 s16, s38, exec_lo
	s_and_b32 s1, s1, exec_lo
	s_and_b32 s15, s15, exec_lo
	s_or_b32 s16, s16, s1
	s_xor_b32 s1, exec_lo, -1
	s_and_b32 s0, s0, exec_lo
.LBB84_49:
	s_or_b32 exec_lo, exec_lo, s43
	s_delay_alu instid0(SALU_CYCLE_1)
	s_and_not1_b32 s17, s38, exec_lo
	s_and_b32 s16, s16, exec_lo
	s_and_not1_b32 s18, s39, exec_lo
	s_and_b32 s1, s1, exec_lo
	s_and_b32 s15, s15, exec_lo
	s_or_b32 s17, s17, s16
	s_or_b32 s16, s18, s1
	s_xor_b32 s1, exec_lo, -1
	s_and_b32 s0, s0, exec_lo
.LBB84_50:
	s_or_b32 exec_lo, exec_lo, s42
	s_delay_alu instid0(SALU_CYCLE_1)
	s_and_not1_b32 s18, s38, exec_lo
	s_and_b32 s17, s17, exec_lo
	s_and_b32 s45, s15, exec_lo
	s_or_b32 s43, s18, s17
	s_and_not1_b32 s15, s39, exec_lo
	s_and_b32 s16, s16, exec_lo
	s_and_not1_b32 s17, s37, exec_lo
	s_and_b32 s1, s1, exec_lo
	s_or_b32 s44, s15, s16
	s_or_b32 s42, s17, s1
	s_or_not1_b32 s0, s0, exec_lo
.LBB84_51:
	s_or_b32 exec_lo, exec_lo, s40
	s_mov_b32 s16, 0
                                        ; implicit-def: $sgpr40
                                        ; implicit-def: $sgpr18
                                        ; implicit-def: $vgpr17
                                        ; implicit-def: $vgpr20
	s_and_saveexec_b32 s46, s0
	s_cbranch_execz .LBB84_78
; %bb.52:
	s_wait_loadcnt 0x1
	v_or_b32_e32 v20, 0x200, v0
	s_mov_b32 s19, -1
	s_mov_b32 s47, 0
	s_mov_b32 s0, s42
	;; [unrolled: 1-line block ×3, first 2 shown]
	v_cmp_gt_i32_e64 s40, s28, v20
	s_mov_b32 s1, s43
	s_and_saveexec_b32 s48, s40
	s_cbranch_execz .LBB84_73
; %bb.53:
	v_cmp_eq_u32_e32 vcc_lo, s35, v9
	s_mov_b32 s0, -1
	s_mov_b32 s17, 0
	s_mov_b32 s18, s44
	;; [unrolled: 1-line block ×3, first 2 shown]
	s_and_b32 s15, s36, vcc_lo
	s_mov_b32 s1, 0
	s_and_saveexec_b32 s49, s15
	s_cbranch_execz .LBB84_72
; %bb.54:
	v_cmp_eq_u32_e32 vcc_lo, s10, v11
	s_mov_b32 s15, 0
	s_mov_b32 s16, s43
	s_and_b32 s1, s30, vcc_lo
	s_delay_alu instid0(SALU_CYCLE_1)
	s_and_saveexec_b32 s50, s1
	s_cbranch_execz .LBB84_71
; %bb.55:
	v_sub_nc_u32_e32 v11, v10, v8
	s_mov_b32 s15, -1
	s_mov_b32 s1, 0
	s_delay_alu instid0(VALU_DEP_1) | instskip(SKIP_2) | instid1(SALU_CYCLE_1)
	v_cmp_le_i32_e32 vcc_lo, v9, v11
	v_cmp_ge_i32_e64 s0, s8, v11
	s_and_b32 s0, vcc_lo, s0
	s_and_b32 s16, s29, s0
	s_mov_b32 s0, 0
	s_and_saveexec_b32 s51, s16
	s_cbranch_execz .LBB84_70
; %bb.56:
	v_mov_b64_e32 v[14:15], 0
	s_and_not1_b32 vcc_lo, exec_lo, s9
	s_cbranch_vccnz .LBB84_63
; %bb.57:
	s_wait_loadcnt 0x0
	v_ashrrev_i32_e32 v13, 31, v12
	s_ashr_i32 s15, s14, 31
	v_mov_b64_e32 v[14:15], 0
	s_lshl_b64 s[0:1], s[14:15], 3
	s_mov_b64 s[16:17], 0xffffffff
	v_mul_u64_e32 v[16:17], s[10:11], v[12:13]
	v_mov_b32_e32 v12, 0
	s_add_nc_u64 s[0:1], s[12:13], s[0:1]
	s_mov_b32 s15, s26
	s_add_nc_u64 s[18:19], s[0:1], 32
	s_mov_b32 s1, 0
	s_branch .LBB84_59
.LBB84_58:                              ;   in Loop: Header=BB84_59 Depth=1
	s_or_b32 exec_lo, exec_lo, s0
	s_delay_alu instid0(VALU_DEP_1)
	v_mul_u64_e32 v[22:23], s[20:21], v[18:19]
	s_load_b64 s[20:21], s[18:19], 0x40
	s_add_co_i32 s15, s15, -1
	s_wait_xcnt 0x0
	s_add_nc_u64 s[18:19], s[18:19], -8
	s_cmp_lg_u32 s15, 0
	s_delay_alu instid0(VALU_DEP_1) | instskip(SKIP_1) | instid1(VALU_DEP_1)
	v_sub_nc_u64_e32 v[16:17], v[16:17], v[22:23]
	s_wait_kmcnt 0x0
	v_mad_nc_u64_u32 v[14:15], v16, s20, v[14:15]
	s_delay_alu instid0(VALU_DEP_1) | instskip(NEXT) | instid1(VALU_DEP_1)
	v_mad_u32 v9, v17, s20, v15
	v_mad_u32 v15, v16, s21, v9
	v_mov_b64_e32 v[16:17], v[18:19]
	s_cbranch_scc0 .LBB84_63
.LBB84_59:                              ; =>This Inner Loop Header: Depth=1
	s_load_b64 s[20:21], s[18:19], 0x0
                                        ; implicit-def: $vgpr18_vgpr19
	s_mov_b32 s0, exec_lo
	s_wait_kmcnt 0x0
	s_delay_alu instid0(VALU_DEP_1) | instskip(NEXT) | instid1(VALU_DEP_1)
	v_or_b32_e32 v13, s21, v17
	v_cmpx_ne_u64_e32 0, v[12:13]
	s_xor_b32 s52, exec_lo, s0
	s_cbranch_execz .LBB84_61
; %bb.60:                               ;   in Loop: Header=BB84_59 Depth=1
	s_ashr_i32 s22, s21, 31
	v_dual_mov_b32 v25, v12 :: v_dual_ashrrev_i32 v18, 31, v17
	s_mov_b32 s23, s22
	v_mov_b32_e32 v29, v12
	s_add_nc_u64 s[24:25], s[20:21], s[22:23]
	s_delay_alu instid0(VALU_DEP_2)
	v_mov_b32_e32 v19, v18
	s_xor_b64 s[24:25], s[24:25], s[22:23]
	v_mov_b32_e32 v33, v12
	s_cvt_f32_u32 s0, s24
	s_cvt_f32_u32 s23, s25
	s_sub_nc_u64 s[56:57], 0, s[24:25]
	v_add_nc_u64_e32 v[22:23], v[16:17], v[18:19]
	s_delay_alu instid0(SALU_CYCLE_1) | instskip(NEXT) | instid1(SALU_CYCLE_3)
	s_fmamk_f32 s0, s23, 0x4f800000, s0
	v_s_rcp_f32 s0, s0
	s_delay_alu instid0(VALU_DEP_1) | instskip(NEXT) | instid1(VALU_DEP_2)
	v_xor_b32_e32 v24, v22, v18
	v_xor_b32_e32 v28, v23, v18
	s_delay_alu instid0(TRANS32_DEP_1) | instskip(NEXT) | instid1(SALU_CYCLE_3)
	s_mul_f32 s0, s0, 0x5f7ffffc
	s_mul_f32 s23, s0, 0x2f800000
	s_delay_alu instid0(SALU_CYCLE_3) | instskip(NEXT) | instid1(SALU_CYCLE_3)
	s_trunc_f32 s23, s23
	s_fmamk_f32 s0, s23, 0xcf800000, s0
	s_cvt_u32_f32 s55, s23
	s_delay_alu instid0(SALU_CYCLE_2) | instskip(NEXT) | instid1(SALU_CYCLE_3)
	s_cvt_u32_f32 s54, s0
	s_mul_u64 s[58:59], s[56:57], s[54:55]
	s_delay_alu instid0(SALU_CYCLE_1)
	s_mul_hi_u32 s61, s54, s59
	s_mul_i32 s60, s54, s59
	s_mul_hi_u32 s0, s54, s58
	s_mul_i32 s53, s55, s58
	s_add_nc_u64 s[60:61], s[0:1], s[60:61]
	s_mul_hi_u32 s23, s55, s58
	s_mul_hi_u32 s62, s55, s59
	s_add_co_u32 s0, s60, s53
	s_add_co_ci_u32 s0, s61, s23
	s_mul_i32 s58, s55, s59
	s_add_co_ci_u32 s59, s62, 0
	s_delay_alu instid0(SALU_CYCLE_1) | instskip(NEXT) | instid1(SALU_CYCLE_1)
	s_add_nc_u64 s[58:59], s[0:1], s[58:59]
	s_add_co_u32 s54, s54, s58
	s_cselect_b32 s0, -1, 0
	s_delay_alu instid0(SALU_CYCLE_1) | instskip(SKIP_1) | instid1(SALU_CYCLE_1)
	s_cmp_lg_u32 s0, 0
	s_add_co_ci_u32 s55, s55, s59
	s_mul_u64 s[56:57], s[56:57], s[54:55]
	s_delay_alu instid0(SALU_CYCLE_1)
	s_mul_hi_u32 s59, s54, s57
	s_mul_i32 s58, s54, s57
	s_mul_hi_u32 s0, s54, s56
	s_mul_i32 s53, s55, s56
	s_add_nc_u64 s[58:59], s[0:1], s[58:59]
	s_mul_hi_u32 s23, s55, s56
	s_mul_hi_u32 s60, s55, s57
	s_add_co_u32 s0, s58, s53
	s_add_co_ci_u32 s0, s59, s23
	s_mul_i32 s56, s55, s57
	s_add_co_ci_u32 s57, s60, 0
	s_delay_alu instid0(SALU_CYCLE_1) | instskip(NEXT) | instid1(SALU_CYCLE_1)
	s_add_nc_u64 s[56:57], s[0:1], s[56:57]
	s_add_co_u32 s54, s54, s56
	s_cselect_b32 s0, -1, 0
	v_mul_hi_u32 v32, v24, s54
	s_cmp_lg_u32 s0, 0
	s_add_co_ci_u32 s0, s55, s57
	s_and_b64 s[56:57], s[54:55], s[16:17]
	v_mul_u64_e32 v[26:27], s[0:1], v[24:25]
	v_mul_u64_e32 v[22:23], s[56:57], v[28:29]
	;; [unrolled: 1-line block ×3, first 2 shown]
	s_delay_alu instid0(VALU_DEP_3) | instskip(NEXT) | instid1(VALU_DEP_1)
	v_add_nc_u64_e32 v[26:27], v[32:33], v[26:27]
	v_add_co_u32 v9, vcc_lo, v26, v22
	s_delay_alu instid0(VALU_DEP_2) | instskip(NEXT) | instid1(VALU_DEP_4)
	v_add_co_ci_u32_e32 v32, vcc_lo, v27, v23, vcc_lo
	v_add_co_ci_u32_e32 v31, vcc_lo, 0, v31, vcc_lo
	s_delay_alu instid0(VALU_DEP_1) | instskip(NEXT) | instid1(VALU_DEP_1)
	v_add_nc_u64_e32 v[22:23], v[32:33], v[30:31]
	v_mul_u64_e32 v[26:27], s[24:25], v[22:23]
	s_delay_alu instid0(VALU_DEP_1) | instskip(SKIP_1) | instid1(VALU_DEP_3)
	v_sub_co_u32 v11, vcc_lo, v24, v26
	v_add_nc_u64_e32 v[24:25], 2, v[22:23]
	v_sub_nc_u32_e32 v9, v28, v27
	v_sub_co_ci_u32_e64 v19, null, v28, v27, vcc_lo
	s_delay_alu instid0(VALU_DEP_4) | instskip(NEXT) | instid1(VALU_DEP_3)
	v_sub_co_u32 v13, s0, v11, s24
	v_subrev_co_ci_u32_e64 v9, null, s25, v9, vcc_lo
	v_add_nc_u64_e32 v[26:27], 1, v[22:23]
	s_delay_alu instid0(VALU_DEP_3) | instskip(NEXT) | instid1(VALU_DEP_3)
	v_cmp_le_u32_e32 vcc_lo, s24, v13
	v_subrev_co_ci_u32_e64 v9, null, 0, v9, s0
	v_cndmask_b32_e64 v13, 0, -1, vcc_lo
	s_delay_alu instid0(VALU_DEP_2)
	v_cmp_le_u32_e32 vcc_lo, s25, v9
	v_cndmask_b32_e64 v21, 0, -1, vcc_lo
	v_cmp_le_u32_e32 vcc_lo, s24, v11
	v_cndmask_b32_e64 v11, 0, -1, vcc_lo
	;; [unrolled: 2-line block ×3, first 2 shown]
	v_cmp_eq_u32_e32 vcc_lo, s25, v9
	v_cndmask_b32_e32 v9, v21, v13, vcc_lo
	v_cmp_eq_u32_e32 vcc_lo, s25, v19
	s_delay_alu instid0(VALU_DEP_4) | instskip(NEXT) | instid1(VALU_DEP_3)
	v_cndmask_b32_e32 v11, v28, v11, vcc_lo
	v_cmp_ne_u32_e32 vcc_lo, 0, v9
	v_cndmask_b32_e32 v9, v27, v25, vcc_lo
	s_delay_alu instid0(VALU_DEP_3) | instskip(SKIP_1) | instid1(VALU_DEP_1)
	v_cmp_ne_u32_e64 s0, 0, v11
	v_dual_cndmask_b32 v11, v26, v24, vcc_lo :: v_dual_bitop2_b32 v18, s22, v18 bitop3:0x14
	v_dual_cndmask_b32 v9, v23, v9, s0 :: v_dual_cndmask_b32 v11, v22, v11, s0
	s_delay_alu instid0(VALU_DEP_1) | instskip(NEXT) | instid1(VALU_DEP_2)
	v_dual_mov_b32 v19, v18 :: v_dual_bitop2_b32 v23, v9, v18 bitop3:0x14
	v_xor_b32_e32 v22, v11, v18
	s_delay_alu instid0(VALU_DEP_1)
	v_sub_nc_u64_e32 v[18:19], v[22:23], v[18:19]
.LBB84_61:                              ;   in Loop: Header=BB84_59 Depth=1
	s_and_not1_saveexec_b32 s0, s52
	s_cbranch_execz .LBB84_58
; %bb.62:                               ;   in Loop: Header=BB84_59 Depth=1
	v_cvt_f32_u32_e32 v9, s20
	s_sub_co_i32 s22, 0, s20
	v_mov_b32_e32 v19, v12
	s_delay_alu instid0(VALU_DEP_2) | instskip(SKIP_1) | instid1(TRANS32_DEP_1)
	v_rcp_iflag_f32_e32 v9, v9
	v_nop
	v_mul_f32_e32 v9, 0x4f7ffffe, v9
	s_delay_alu instid0(VALU_DEP_1) | instskip(NEXT) | instid1(VALU_DEP_1)
	v_cvt_u32_f32_e32 v9, v9
	v_mul_lo_u32 v11, s22, v9
	s_delay_alu instid0(VALU_DEP_1) | instskip(NEXT) | instid1(VALU_DEP_1)
	v_mul_hi_u32 v11, v9, v11
	v_add_nc_u32_e32 v9, v9, v11
	s_delay_alu instid0(VALU_DEP_1) | instskip(NEXT) | instid1(VALU_DEP_1)
	v_mul_hi_u32 v9, v16, v9
	v_mul_lo_u32 v11, v9, s20
	s_delay_alu instid0(VALU_DEP_1) | instskip(NEXT) | instid1(VALU_DEP_1)
	v_sub_nc_u32_e32 v11, v16, v11
	v_subrev_nc_u32_e32 v18, s20, v11
	v_cmp_le_u32_e32 vcc_lo, s20, v11
	s_delay_alu instid0(VALU_DEP_2) | instskip(NEXT) | instid1(VALU_DEP_1)
	v_dual_add_nc_u32 v13, 1, v9 :: v_dual_cndmask_b32 v11, v11, v18, vcc_lo
	v_cndmask_b32_e32 v9, v9, v13, vcc_lo
	s_delay_alu instid0(VALU_DEP_2) | instskip(NEXT) | instid1(VALU_DEP_2)
	v_cmp_le_u32_e32 vcc_lo, s20, v11
	v_add_nc_u32_e32 v13, 1, v9
	s_delay_alu instid0(VALU_DEP_1)
	v_cndmask_b32_e32 v18, v9, v13, vcc_lo
	s_branch .LBB84_58
.LBB84_63:
	s_mov_b32 s1, -1
	s_mov_b32 s16, 0
	s_mov_b32 s0, exec_lo
	v_cmpx_gt_i32_e64 v10, v8
	s_cbranch_execz .LBB84_69
; %bb.64:
	s_wait_loadcnt 0x0
	s_delay_alu instid0(VALU_DEP_2) | instskip(SKIP_3) | instid1(VALU_DEP_1)
	v_lshlrev_b64_e32 v[12:13], 2, v[14:15]
	v_dual_ashrrev_i32 v9, 31, v8 :: v_dual_ashrrev_i32 v11, 31, v10
	s_mov_b32 s1, 0
	s_xor_b32 s16, s27, -1
                                        ; implicit-def: $sgpr15
                                        ; implicit-def: $sgpr18
                                        ; implicit-def: $sgpr17
	v_lshl_add_u64 v[8:9], v[8:9], 2, v[12:13]
	v_add_nc_u64_e32 v[12:13], s[6:7], v[12:13]
	s_delay_alu instid0(VALU_DEP_2) | instskip(NEXT) | instid1(VALU_DEP_2)
	v_add_nc_u64_e32 v[8:9], s[6:7], v[8:9]
	v_lshl_add_u64 v[10:11], v[10:11], 2, v[12:13]
	s_delay_alu instid0(VALU_DEP_2)
	v_add_nc_u64_e32 v[8:9], 4, v[8:9]
	s_branch .LBB84_66
.LBB84_65:                              ;   in Loop: Header=BB84_66 Depth=1
	s_or_b32 exec_lo, exec_lo, s19
	s_delay_alu instid0(SALU_CYCLE_1) | instskip(NEXT) | instid1(SALU_CYCLE_1)
	s_and_b32 s19, exec_lo, s18
	s_or_b32 s1, s19, s1
	s_and_not1_b32 s15, s15, exec_lo
	s_and_b32 s19, s17, exec_lo
	s_delay_alu instid0(SALU_CYCLE_1)
	s_or_b32 s15, s15, s19
	s_and_not1_b32 exec_lo, exec_lo, s1
	s_cbranch_execz .LBB84_68
.LBB84_66:                              ; =>This Inner Loop Header: Depth=1
	s_or_b32 s17, s17, exec_lo
	s_or_b32 s18, s18, exec_lo
	s_mov_b32 s19, exec_lo
	s_delay_alu instid0(VALU_DEP_1)
	v_cmpx_lt_u64_e64 v[8:9], v[10:11]
	s_cbranch_execz .LBB84_65
; %bb.67:                               ;   in Loop: Header=BB84_66 Depth=1
	global_load_b64 v[12:13], v[8:9], off offset:-4
	s_wait_xcnt 0x0
	v_add_nc_u64_e32 v[8:9], 4, v[8:9]
	s_and_not1_b32 s18, s18, exec_lo
	s_and_not1_b32 s17, s17, exec_lo
	s_wait_loadcnt 0x0
	v_cmp_ge_i32_e32 vcc_lo, v12, v13
	s_or_b32 s20, s16, vcc_lo
	s_delay_alu instid0(SALU_CYCLE_1) | instskip(NEXT) | instid1(SALU_CYCLE_1)
	s_and_b32 s20, s20, exec_lo
	s_or_b32 s18, s18, s20
	s_branch .LBB84_65
.LBB84_68:
	s_or_b32 exec_lo, exec_lo, s1
	s_delay_alu instid0(SALU_CYCLE_1)
	s_mov_b32 s16, exec_lo
	s_or_not1_b32 s1, s15, exec_lo
.LBB84_69:
	s_or_b32 exec_lo, exec_lo, s0
	s_delay_alu instid0(SALU_CYCLE_1)
	s_and_b32 s0, s16, exec_lo
	s_xor_b32 s15, exec_lo, -1
	s_and_b32 s1, s1, exec_lo
.LBB84_70:
	s_or_b32 exec_lo, exec_lo, s51
	s_delay_alu instid0(SALU_CYCLE_1)
	s_and_not1_b32 s16, s43, exec_lo
	s_and_b32 s15, s15, exec_lo
	s_and_b32 s17, s0, exec_lo
	s_or_b32 s16, s16, s15
	s_xor_b32 s0, exec_lo, -1
	s_and_b32 s15, s1, exec_lo
.LBB84_71:
	s_or_b32 exec_lo, exec_lo, s50
	s_delay_alu instid0(SALU_CYCLE_1)
	s_and_b32 s1, s17, exec_lo
	s_and_not1_b32 s17, s43, exec_lo
	s_and_b32 s16, s16, exec_lo
	s_and_not1_b32 s18, s44, exec_lo
	s_and_b32 s0, s0, exec_lo
	s_or_b32 s16, s17, s16
	s_or_b32 s18, s18, s0
	s_xor_b32 s0, exec_lo, -1
	s_and_b32 s17, s15, exec_lo
.LBB84_72:
	s_or_b32 exec_lo, exec_lo, s49
	s_delay_alu instid0(SALU_CYCLE_1)
	s_and_not1_b32 s15, s43, exec_lo
	s_and_b32 s19, s16, exec_lo
	s_and_b32 s16, s1, exec_lo
	s_or_b32 s1, s15, s19
	s_and_not1_b32 s15, s44, exec_lo
	s_and_b32 s18, s18, exec_lo
	s_and_not1_b32 s19, s42, exec_lo
	s_and_b32 s0, s0, exec_lo
	s_or_b32 s15, s15, s18
	s_or_b32 s0, s19, s0
	s_or_not1_b32 s19, s17, exec_lo
.LBB84_73:
	s_or_b32 exec_lo, exec_lo, s48
	s_mov_b32 s20, 0
                                        ; implicit-def: $sgpr18
                                        ; implicit-def: $vgpr17
	s_and_saveexec_b32 s17, s19
	s_cbranch_execz .LBB84_77
; %bb.74:
	v_or_b32_e32 v17, 0x300, v0
	s_mov_b32 s19, 0
	s_mov_b32 s20, -1
	s_mov_b32 s21, s0
	s_delay_alu instid0(VALU_DEP_1) | instskip(SKIP_1) | instid1(SALU_CYCLE_1)
	v_cmp_gt_i32_e64 s18, s28, v17
	s_and_saveexec_b32 s22, s18
	s_xor_b32 s22, exec_lo, s22
; %bb.75:
	v_cmp_ne_u32_e32 vcc_lo, s35, v3
	s_xor_b32 s20, s36, -1
	s_and_not1_b32 s21, s0, exec_lo
	s_mov_b32 s19, exec_lo
	s_or_b32 s20, s20, vcc_lo
	s_delay_alu instid0(SALU_CYCLE_1)
	s_and_b32 s23, s20, exec_lo
	s_xor_b32 s20, exec_lo, -1
	s_or_b32 s21, s21, s23
; %bb.76:
	s_or_b32 exec_lo, exec_lo, s22
	s_delay_alu instid0(SALU_CYCLE_1)
	s_and_not1_b32 s0, s0, exec_lo
	s_and_b32 s21, s21, exec_lo
	s_and_b32 s20, s20, exec_lo
	s_and_not1_b32 s16, s16, exec_lo
	s_and_b32 s47, s19, exec_lo
	s_or_b32 s0, s0, s21
.LBB84_77:
	s_or_b32 exec_lo, exec_lo, s17
	s_delay_alu instid0(SALU_CYCLE_1)
	s_and_not1_b32 s17, s45, exec_lo
	s_and_b32 s19, s16, exec_lo
	s_and_b32 s1, s1, exec_lo
	s_or_b32 s45, s17, s19
	s_and_not1_b32 s17, s43, exec_lo
	s_and_not1_b32 s19, s44, exec_lo
	s_and_b32 s15, s15, exec_lo
	s_or_b32 s43, s17, s1
	s_and_not1_b32 s1, s42, exec_lo
	s_and_b32 s0, s0, exec_lo
	s_and_b32 s16, s20, exec_lo
	s_or_b32 s44, s19, s15
	s_and_b32 s47, s47, exec_lo
	s_or_b32 s42, s1, s0
.LBB84_78:
	s_or_b32 exec_lo, exec_lo, s46
	s_delay_alu instid0(SALU_CYCLE_1)
	s_and_not1_b32 s0, s33, exec_lo
	s_and_b32 s1, s45, exec_lo
	s_and_b32 s19, s16, exec_lo
	s_or_b32 s33, s0, s1
	s_and_not1_b32 s0, s38, exec_lo
	s_and_b32 s1, s43, exec_lo
	s_and_not1_b32 s15, s39, exec_lo
	s_and_b32 s16, s44, exec_lo
	s_or_b32 s38, s0, s1
	s_or_b32 s39, s15, s16
	s_and_not1_b32 s1, s37, exec_lo
	s_and_b32 s15, s42, exec_lo
	s_and_b32 s0, s47, exec_lo
	s_or_b32 s37, s1, s15
.LBB84_79:
	s_or_b32 exec_lo, exec_lo, s41
	s_and_saveexec_b32 s1, s37
	s_cbranch_execnz .LBB84_113
.LBB84_80:
	s_or_b32 exec_lo, exec_lo, s1
	s_mov_b32 s15, 0
	s_and_saveexec_b32 s1, s0
	s_delay_alu instid0(SALU_CYCLE_1)
	s_xor_b32 s0, exec_lo, s1
; %bb.81:
	v_cmp_ne_u32_e32 vcc_lo, s10, v5
	s_xor_b32 s1, s30, -1
	s_and_not1_b32 s16, s39, exec_lo
	s_mov_b32 s15, exec_lo
	s_or_b32 s1, s1, vcc_lo
	s_delay_alu instid0(SALU_CYCLE_1) | instskip(NEXT) | instid1(SALU_CYCLE_1)
	s_and_b32 s1, s1, exec_lo
	s_or_b32 s39, s16, s1
; %bb.82:
	s_or_b32 exec_lo, exec_lo, s0
	s_and_saveexec_b32 s0, s39
	s_cbranch_execnz .LBB84_114
.LBB84_83:
	s_or_b32 exec_lo, exec_lo, s0
	s_mov_b32 s1, 0
	s_and_saveexec_b32 s0, s15
	s_delay_alu instid0(SALU_CYCLE_1)
	s_xor_b32 s15, exec_lo, s0
	s_cbranch_execnz .LBB84_90
; %bb.84:
	s_or_b32 exec_lo, exec_lo, s15
	s_and_saveexec_b32 s0, s38
	s_cbranch_execnz .LBB84_91
.LBB84_85:
	s_or_b32 exec_lo, exec_lo, s0
	s_and_saveexec_b32 s20, s1
	s_cbranch_execnz .LBB84_92
.LBB84_86:
	s_or_b32 exec_lo, exec_lo, s20
	s_and_saveexec_b32 s0, s33
	s_cbranch_execnz .LBB84_106
.LBB84_87:
	s_or_b32 exec_lo, exec_lo, s0
	s_and_saveexec_b32 s0, s34
	s_delay_alu instid0(SALU_CYCLE_1)
	s_xor_b32 s0, exec_lo, s0
	s_cbranch_execnz .LBB84_107
.LBB84_88:
	s_or_b32 exec_lo, exec_lo, s0
	s_and_saveexec_b32 s0, s19
	s_cbranch_execnz .LBB84_108
.LBB84_89:
	s_endpgm
.LBB84_90:
	s_wait_loadcnt 0x0
	v_sub_nc_u32_e32 v5, v2, v4
	s_mov_b32 s1, exec_lo
	s_delay_alu instid0(VALU_DEP_1) | instskip(SKIP_3) | instid1(SALU_CYCLE_1)
	v_cmp_le_i32_e32 vcc_lo, v3, v5
	v_cmp_ge_i32_e64 s0, s8, v5
	s_and_not1_b32 s8, s38, exec_lo
	s_and_b32 s0, vcc_lo, s0
	s_and_b32 s0, s29, s0
	s_delay_alu instid0(SALU_CYCLE_1) | instskip(NEXT) | instid1(SALU_CYCLE_1)
	s_xor_b32 s0, s0, -1
	s_and_b32 s0, s0, exec_lo
	s_delay_alu instid0(SALU_CYCLE_1)
	s_or_b32 s38, s8, s0
	s_or_b32 exec_lo, exec_lo, s15
	s_and_saveexec_b32 s0, s38
	s_cbranch_execz .LBB84_85
.LBB84_91:
	s_or_b32 s34, s34, exec_lo
	s_and_not1_b32 s1, s1, exec_lo
	s_trap 2
	s_or_b32 exec_lo, exec_lo, s0
	s_and_saveexec_b32 s20, s1
	s_cbranch_execz .LBB84_86
.LBB84_92:
	s_wait_loadcnt 0x2
	v_mov_b64_e32 v[8:9], 0
	s_and_not1_b32 vcc_lo, exec_lo, s9
	s_cbranch_vccnz .LBB84_99
; %bb.93:
	s_wait_loadcnt 0x1
	v_mul_u64_e32 v[10:11], s[10:11], v[6:7]
	s_ashr_i32 s15, s14, 31
	v_mov_b64_e32 v[8:9], 0
	s_lshl_b64 s[0:1], s[14:15], 3
	v_mov_b32_e32 v6, 0
	s_add_nc_u64 s[0:1], s[12:13], s[0:1]
	s_mov_b64 s[8:9], 0xffffffff
	s_add_nc_u64 s[10:11], s[0:1], 32
	s_mov_b32 s1, 0
	s_branch .LBB84_95
.LBB84_94:                              ;   in Loop: Header=BB84_95 Depth=1
	s_or_b32 exec_lo, exec_lo, s0
	s_wait_loadcnt 0x0
	s_delay_alu instid0(VALU_DEP_1)
	v_mul_u64_e32 v[14:15], s[12:13], v[12:13]
	s_load_b64 s[12:13], s[10:11], 0x40
	s_add_co_i32 s26, s26, -1
	s_wait_xcnt 0x0
	s_add_nc_u64 s[10:11], s[10:11], -8
	s_cmp_lg_u32 s26, 0
	s_delay_alu instid0(VALU_DEP_1) | instskip(SKIP_1) | instid1(VALU_DEP_1)
	v_sub_nc_u64_e32 v[10:11], v[10:11], v[14:15]
	s_wait_kmcnt 0x0
	v_mad_nc_u64_u32 v[8:9], v10, s12, v[8:9]
	s_delay_alu instid0(VALU_DEP_1) | instskip(NEXT) | instid1(VALU_DEP_1)
	v_mad_u32 v3, v11, s12, v9
	v_mad_u32 v9, v10, s13, v3
	v_mov_b64_e32 v[10:11], v[12:13]
	s_cbranch_scc0 .LBB84_99
.LBB84_95:                              ; =>This Inner Loop Header: Depth=1
	s_load_b64 s[12:13], s[10:11], 0x0
                                        ; implicit-def: $vgpr12_vgpr13
	s_mov_b32 s0, exec_lo
	s_wait_kmcnt 0x0
	s_delay_alu instid0(VALU_DEP_1) | instskip(NEXT) | instid1(VALU_DEP_1)
	v_or_b32_e32 v7, s13, v11
	v_cmpx_ne_u64_e32 0, v[6:7]
	s_xor_b32 s21, exec_lo, s0
	s_cbranch_execz .LBB84_97
; %bb.96:                               ;   in Loop: Header=BB84_95 Depth=1
	s_ashr_i32 s14, s13, 31
	s_wait_loadcnt 0x0
	v_dual_mov_b32 v19, v6 :: v_dual_ashrrev_i32 v12, 31, v11
	s_mov_b32 s15, s14
	s_delay_alu instid0(SALU_CYCLE_1) | instskip(NEXT) | instid1(VALU_DEP_1)
	s_add_nc_u64 s[16:17], s[12:13], s[14:15]
	v_mov_b32_e32 v13, v12
	s_xor_b64 s[16:17], s[16:17], s[14:15]
	s_delay_alu instid0(SALU_CYCLE_1)
	s_cvt_f32_u32 s0, s16
	s_cvt_f32_u32 s15, s17
	s_sub_nc_u64 s[24:25], 0, s[16:17]
	v_add_nc_u64_e32 v[14:15], v[10:11], v[12:13]
	v_mov_b32_e32 v25, v6
	s_fmamk_f32 s0, s15, 0x4f800000, s0
	s_delay_alu instid0(SALU_CYCLE_3) | instskip(NEXT) | instid1(VALU_DEP_2)
	v_s_rcp_f32 s0, s0
	v_xor_b32_e32 v18, v14, v12
	s_delay_alu instid0(VALU_DEP_3) | instskip(NEXT) | instid1(TRANS32_DEP_1)
	v_dual_mov_b32 v29, v6 :: v_dual_bitop2_b32 v24, v15, v12 bitop3:0x14
	s_mul_f32 s0, s0, 0x5f7ffffc
	s_delay_alu instid0(SALU_CYCLE_3) | instskip(NEXT) | instid1(SALU_CYCLE_3)
	s_mul_f32 s15, s0, 0x2f800000
	s_trunc_f32 s15, s15
	s_delay_alu instid0(SALU_CYCLE_3) | instskip(SKIP_1) | instid1(SALU_CYCLE_2)
	s_fmamk_f32 s0, s15, 0xcf800000, s0
	s_cvt_u32_f32 s23, s15
	s_cvt_u32_f32 s22, s0
	s_delay_alu instid0(SALU_CYCLE_3) | instskip(NEXT) | instid1(SALU_CYCLE_1)
	s_mul_u64 s[28:29], s[24:25], s[22:23]
	s_mul_hi_u32 s37, s22, s29
	s_mul_i32 s36, s22, s29
	s_mul_hi_u32 s0, s22, s28
	s_mul_i32 s30, s23, s28
	s_add_nc_u64 s[36:37], s[0:1], s[36:37]
	s_mul_hi_u32 s15, s23, s28
	s_mul_hi_u32 s35, s23, s29
	s_add_co_u32 s0, s36, s30
	s_add_co_ci_u32 s0, s37, s15
	s_mul_i32 s28, s23, s29
	s_add_co_ci_u32 s29, s35, 0
	s_delay_alu instid0(SALU_CYCLE_1) | instskip(NEXT) | instid1(SALU_CYCLE_1)
	s_add_nc_u64 s[28:29], s[0:1], s[28:29]
	s_add_co_u32 s22, s22, s28
	s_cselect_b32 s0, -1, 0
	s_delay_alu instid0(SALU_CYCLE_1) | instskip(SKIP_1) | instid1(SALU_CYCLE_1)
	s_cmp_lg_u32 s0, 0
	s_add_co_ci_u32 s23, s23, s29
	s_mul_u64 s[24:25], s[24:25], s[22:23]
	s_delay_alu instid0(SALU_CYCLE_1)
	s_mul_hi_u32 s29, s22, s25
	s_mul_i32 s28, s22, s25
	s_mul_hi_u32 s0, s22, s24
	s_mul_i32 s30, s23, s24
	s_add_nc_u64 s[28:29], s[0:1], s[28:29]
	s_mul_hi_u32 s15, s23, s24
	s_mul_hi_u32 s35, s23, s25
	s_add_co_u32 s0, s28, s30
	s_add_co_ci_u32 s0, s29, s15
	s_mul_i32 s24, s23, s25
	s_add_co_ci_u32 s25, s35, 0
	s_delay_alu instid0(SALU_CYCLE_1) | instskip(NEXT) | instid1(SALU_CYCLE_1)
	s_add_nc_u64 s[24:25], s[0:1], s[24:25]
	s_add_co_u32 s22, s22, s24
	s_cselect_b32 s0, -1, 0
	v_mul_hi_u32 v28, v18, s22
	s_cmp_lg_u32 s0, 0
	s_add_co_ci_u32 s0, s23, s25
	s_and_b64 s[24:25], s[22:23], s[8:9]
	v_mul_u64_e32 v[22:23], s[0:1], v[18:19]
	v_mul_u64_e32 v[14:15], s[24:25], v[24:25]
	;; [unrolled: 1-line block ×3, first 2 shown]
	s_delay_alu instid0(VALU_DEP_3) | instskip(NEXT) | instid1(VALU_DEP_1)
	v_add_nc_u64_e32 v[22:23], v[28:29], v[22:23]
	v_add_co_u32 v3, vcc_lo, v22, v14
	s_delay_alu instid0(VALU_DEP_2) | instskip(NEXT) | instid1(VALU_DEP_4)
	v_add_co_ci_u32_e32 v28, vcc_lo, v23, v15, vcc_lo
	v_add_co_ci_u32_e32 v27, vcc_lo, 0, v27, vcc_lo
	s_delay_alu instid0(VALU_DEP_1) | instskip(NEXT) | instid1(VALU_DEP_1)
	v_add_nc_u64_e32 v[14:15], v[28:29], v[26:27]
	v_mul_u64_e32 v[22:23], s[16:17], v[14:15]
	s_delay_alu instid0(VALU_DEP_1) | instskip(NEXT) | instid1(VALU_DEP_2)
	v_sub_nc_u32_e32 v3, v24, v23
	v_sub_co_u32 v5, vcc_lo, v18, v22
	s_delay_alu instid0(VALU_DEP_1) | instskip(NEXT) | instid1(VALU_DEP_3)
	v_sub_co_ci_u32_e64 v13, null, v24, v23, vcc_lo
	v_subrev_co_ci_u32_e64 v3, null, s17, v3, vcc_lo
	s_delay_alu instid0(VALU_DEP_3) | instskip(SKIP_1) | instid1(VALU_DEP_3)
	v_sub_co_u32 v7, s0, v5, s16
	v_add_nc_u64_e32 v[18:19], 2, v[14:15]
	v_subrev_co_ci_u32_e64 v3, null, 0, v3, s0
	s_delay_alu instid0(VALU_DEP_3) | instskip(SKIP_2) | instid1(VALU_DEP_4)
	v_cmp_le_u32_e32 vcc_lo, s16, v7
	v_add_nc_u64_e32 v[22:23], 1, v[14:15]
	v_cndmask_b32_e64 v7, 0, -1, vcc_lo
	v_cmp_le_u32_e32 vcc_lo, s17, v3
	v_cndmask_b32_e64 v16, 0, -1, vcc_lo
	v_cmp_le_u32_e32 vcc_lo, s16, v5
	;; [unrolled: 2-line block ×3, first 2 shown]
	v_cndmask_b32_e64 v21, 0, -1, vcc_lo
	v_cmp_eq_u32_e32 vcc_lo, s17, v3
	v_cndmask_b32_e32 v3, v16, v7, vcc_lo
	v_cmp_eq_u32_e32 vcc_lo, s17, v13
	s_delay_alu instid0(VALU_DEP_4) | instskip(NEXT) | instid1(VALU_DEP_3)
	v_cndmask_b32_e32 v5, v21, v5, vcc_lo
	v_cmp_ne_u32_e32 vcc_lo, 0, v3
	s_delay_alu instid0(VALU_DEP_2) | instskip(SKIP_1) | instid1(VALU_DEP_1)
	v_cmp_ne_u32_e64 s0, 0, v5
	v_dual_cndmask_b32 v3, v23, v19, vcc_lo :: v_dual_cndmask_b32 v5, v22, v18, vcc_lo
	v_dual_cndmask_b32 v3, v15, v3, s0 :: v_dual_bitop2_b32 v12, s14, v12 bitop3:0x14
	s_delay_alu instid0(VALU_DEP_1) | instskip(NEXT) | instid1(VALU_DEP_2)
	v_dual_cndmask_b32 v5, v14, v5, s0 :: v_dual_mov_b32 v13, v12
	v_xor_b32_e32 v15, v3, v12
	s_delay_alu instid0(VALU_DEP_2) | instskip(NEXT) | instid1(VALU_DEP_1)
	v_xor_b32_e32 v14, v5, v12
	v_sub_nc_u64_e32 v[12:13], v[14:15], v[12:13]
.LBB84_97:                              ;   in Loop: Header=BB84_95 Depth=1
	s_and_not1_saveexec_b32 s0, s21
	s_cbranch_execz .LBB84_94
; %bb.98:                               ;   in Loop: Header=BB84_95 Depth=1
	v_cvt_f32_u32_e32 v3, s12
	s_sub_co_i32 s14, 0, s12
	v_mov_b32_e32 v13, v6
	s_delay_alu instid0(VALU_DEP_2) | instskip(SKIP_1) | instid1(TRANS32_DEP_1)
	v_rcp_iflag_f32_e32 v3, v3
	v_nop
	v_mul_f32_e32 v3, 0x4f7ffffe, v3
	s_delay_alu instid0(VALU_DEP_1) | instskip(NEXT) | instid1(VALU_DEP_1)
	v_cvt_u32_f32_e32 v3, v3
	v_mul_lo_u32 v5, s14, v3
	s_delay_alu instid0(VALU_DEP_1) | instskip(NEXT) | instid1(VALU_DEP_1)
	v_mul_hi_u32 v5, v3, v5
	v_add_nc_u32_e32 v3, v3, v5
	s_delay_alu instid0(VALU_DEP_1) | instskip(NEXT) | instid1(VALU_DEP_1)
	v_mul_hi_u32 v3, v10, v3
	v_mul_lo_u32 v5, v3, s12
	s_delay_alu instid0(VALU_DEP_1) | instskip(SKIP_1) | instid1(VALU_DEP_1)
	v_sub_nc_u32_e32 v5, v10, v5
	s_wait_loadcnt 0x0
	v_subrev_nc_u32_e32 v12, s12, v5
	v_cmp_le_u32_e32 vcc_lo, s12, v5
	s_delay_alu instid0(VALU_DEP_2) | instskip(NEXT) | instid1(VALU_DEP_1)
	v_dual_add_nc_u32 v7, 1, v3 :: v_dual_cndmask_b32 v5, v5, v12, vcc_lo
	v_cndmask_b32_e32 v3, v3, v7, vcc_lo
	s_delay_alu instid0(VALU_DEP_2) | instskip(NEXT) | instid1(VALU_DEP_2)
	v_cmp_le_u32_e32 vcc_lo, s12, v5
	v_add_nc_u32_e32 v7, 1, v3
	s_delay_alu instid0(VALU_DEP_1)
	v_cndmask_b32_e32 v12, v3, v7, vcc_lo
	s_branch .LBB84_94
.LBB84_99:
	s_mov_b32 s1, s33
	s_mov_b32 s0, exec_lo
	s_wait_loadcnt 0x0
	v_cmpx_gt_i32_e64 v2, v4
	s_cbranch_execz .LBB84_105
; %bb.100:
	s_delay_alu instid0(VALU_DEP_2) | instskip(SKIP_2) | instid1(VALU_DEP_1)
	v_lshlrev_b64_e32 v[6:7], 2, v[8:9]
	v_dual_ashrrev_i32 v5, 31, v4 :: v_dual_ashrrev_i32 v3, 31, v2
	s_mov_b32 s1, 0
                                        ; implicit-def: $sgpr9
                                        ; implicit-def: $sgpr8
	v_lshl_add_u64 v[4:5], v[4:5], 2, v[6:7]
	v_add_nc_u64_e32 v[6:7], s[6:7], v[6:7]
	s_delay_alu instid0(VALU_DEP_2) | instskip(SKIP_1) | instid1(VALU_DEP_2)
	v_add_nc_u64_e32 v[4:5], s[6:7], v[4:5]
	s_xor_b32 s7, s27, -1
                                        ; implicit-def: $sgpr6
	v_lshl_add_u64 v[2:3], v[2:3], 2, v[6:7]
	s_delay_alu instid0(VALU_DEP_2)
	v_add_nc_u64_e32 v[4:5], 4, v[4:5]
	s_branch .LBB84_102
.LBB84_101:                             ;   in Loop: Header=BB84_102 Depth=1
	s_or_b32 exec_lo, exec_lo, s10
	s_xor_b32 s10, s8, -1
	s_and_b32 s11, exec_lo, s9
	s_delay_alu instid0(SALU_CYCLE_1) | instskip(SKIP_2) | instid1(SALU_CYCLE_1)
	s_or_b32 s1, s11, s1
	s_and_not1_b32 s6, s6, exec_lo
	s_and_b32 s10, s10, exec_lo
	s_or_b32 s6, s6, s10
	s_and_not1_b32 exec_lo, exec_lo, s1
	s_cbranch_execz .LBB84_104
.LBB84_102:                             ; =>This Inner Loop Header: Depth=1
	s_or_b32 s8, s8, exec_lo
	s_or_b32 s9, s9, exec_lo
	s_mov_b32 s10, exec_lo
	s_delay_alu instid0(VALU_DEP_1)
	v_cmpx_lt_u64_e64 v[4:5], v[2:3]
	s_cbranch_execz .LBB84_101
; %bb.103:                              ;   in Loop: Header=BB84_102 Depth=1
	global_load_b64 v[6:7], v[4:5], off offset:-4
	s_wait_xcnt 0x0
	v_add_nc_u64_e32 v[4:5], 4, v[4:5]
	s_and_not1_b32 s9, s9, exec_lo
	s_and_not1_b32 s8, s8, exec_lo
	s_wait_loadcnt 0x0
	v_cmp_ge_i32_e32 vcc_lo, v6, v7
	s_or_b32 s11, s7, vcc_lo
	s_delay_alu instid0(SALU_CYCLE_1) | instskip(NEXT) | instid1(SALU_CYCLE_1)
	s_and_b32 s11, s11, exec_lo
	s_or_b32 s9, s9, s11
	s_branch .LBB84_101
.LBB84_104:
	s_or_b32 exec_lo, exec_lo, s1
	s_delay_alu instid0(SALU_CYCLE_1) | instskip(SKIP_1) | instid1(SALU_CYCLE_1)
	s_and_not1_b32 s1, s33, exec_lo
	s_and_b32 s6, s6, exec_lo
	s_or_b32 s1, s1, s6
.LBB84_105:
	s_or_b32 exec_lo, exec_lo, s0
	s_delay_alu instid0(SALU_CYCLE_1)
	s_and_not1_b32 s0, s33, exec_lo
	s_and_b32 s1, s1, exec_lo
	s_or_b32 s19, s19, exec_lo
	s_or_b32 s33, s0, s1
	s_or_b32 exec_lo, exec_lo, s20
	s_and_saveexec_b32 s0, s33
	s_cbranch_execz .LBB84_87
.LBB84_106:
	s_and_not1_b32 s19, s19, exec_lo
	s_or_b32 s34, s34, exec_lo
	s_trap 2
	s_or_b32 exec_lo, exec_lo, s0
	s_and_saveexec_b32 s0, s34
	s_delay_alu instid0(SALU_CYCLE_1)
	s_xor_b32 s0, exec_lo, s0
	s_cbranch_execz .LBB84_88
.LBB84_107:
	; divergent unreachable
	s_or_b32 exec_lo, exec_lo, s0
	s_and_saveexec_b32 s0, s19
	s_cbranch_execz .LBB84_89
.LBB84_108:
	s_and_b32 exec_lo, exec_lo, s2
	s_cbranch_execz .LBB84_89
; %bb.109:
	s_wait_loadcnt 0x0
	v_dual_mov_b32 v0, 0 :: v_dual_bitop2_b32 v2, s3, v0 bitop3:0x54
	global_store_b32 v2, v0, s[4:5] scale_offset
	s_wait_xcnt 0x0
	s_and_b32 exec_lo, exec_lo, s31
	s_cbranch_execz .LBB84_89
; %bb.110:
	v_add_nc_u32_e32 v1, s3, v1
	global_store_b32 v1, v0, s[4:5] scale_offset
	s_wait_xcnt 0x0
	s_and_b32 exec_lo, exec_lo, s40
	s_cbranch_execz .LBB84_89
; %bb.111:
	v_dual_mov_b32 v0, 0 :: v_dual_add_nc_u32 v1, s3, v20
	global_store_b32 v1, v0, s[4:5] scale_offset
	s_wait_xcnt 0x0
	s_and_b32 exec_lo, exec_lo, s18
	s_cbranch_execz .LBB84_89
; %bb.112:
	v_add_nc_u32_e32 v1, s3, v17
	global_store_b32 v1, v0, s[4:5] scale_offset
	s_endpgm
.LBB84_113:
	s_mov_b32 s34, exec_lo
	s_and_not1_b32 s0, s0, exec_lo
	s_trap 2
	s_branch .LBB84_80
.LBB84_114:
	s_or_b32 s34, s34, exec_lo
	s_and_not1_b32 s15, s15, exec_lo
	s_trap 2
	s_branch .LBB84_83
	.section	.rodata,"a",@progbits
	.p2align	6, 0x0
	.amdhsa_kernel _ZN2at6native27unrolled_elementwise_kernelIZZZNS0_12_GLOBAL__N_142_validate_compressed_sparse_indices_kernelILNS2_8CDimNameE1ENS2_18CUDAKernelLauncherENS2_14EmptyVecKernelENS2_8DummyVecELm8EEEvRKNS_6TensorESA_lllENKUlvE1_clEvENKUlvE_clEvEUliiiiiE_St5arrayIPcLm6EELi4E23TrivialOffsetCalculatorILi5EjESH_ILi1EjENS0_6memory15LoadWithoutCastENSK_16StoreWithoutCastEEEviT_T0_T2_T3_T4_T5_
		.amdhsa_group_segment_fixed_size 0
		.amdhsa_private_segment_fixed_size 0
		.amdhsa_kernarg_size 228
		.amdhsa_user_sgpr_count 2
		.amdhsa_user_sgpr_dispatch_ptr 0
		.amdhsa_user_sgpr_queue_ptr 0
		.amdhsa_user_sgpr_kernarg_segment_ptr 1
		.amdhsa_user_sgpr_dispatch_id 0
		.amdhsa_user_sgpr_kernarg_preload_length 0
		.amdhsa_user_sgpr_kernarg_preload_offset 0
		.amdhsa_user_sgpr_private_segment_size 0
		.amdhsa_wavefront_size32 1
		.amdhsa_uses_dynamic_stack 0
		.amdhsa_enable_private_segment 0
		.amdhsa_system_sgpr_workgroup_id_x 1
		.amdhsa_system_sgpr_workgroup_id_y 0
		.amdhsa_system_sgpr_workgroup_id_z 0
		.amdhsa_system_sgpr_workgroup_info 0
		.amdhsa_system_vgpr_workitem_id 0
		.amdhsa_next_free_vgpr 44
		.amdhsa_next_free_sgpr 63
		.amdhsa_named_barrier_count 0
		.amdhsa_reserve_vcc 1
		.amdhsa_float_round_mode_32 0
		.amdhsa_float_round_mode_16_64 0
		.amdhsa_float_denorm_mode_32 3
		.amdhsa_float_denorm_mode_16_64 3
		.amdhsa_fp16_overflow 0
		.amdhsa_memory_ordered 1
		.amdhsa_forward_progress 1
		.amdhsa_inst_pref_size 56
		.amdhsa_round_robin_scheduling 0
		.amdhsa_exception_fp_ieee_invalid_op 0
		.amdhsa_exception_fp_denorm_src 0
		.amdhsa_exception_fp_ieee_div_zero 0
		.amdhsa_exception_fp_ieee_overflow 0
		.amdhsa_exception_fp_ieee_underflow 0
		.amdhsa_exception_fp_ieee_inexact 0
		.amdhsa_exception_int_div_zero 0
	.end_amdhsa_kernel
	.section	.text._ZN2at6native27unrolled_elementwise_kernelIZZZNS0_12_GLOBAL__N_142_validate_compressed_sparse_indices_kernelILNS2_8CDimNameE1ENS2_18CUDAKernelLauncherENS2_14EmptyVecKernelENS2_8DummyVecELm8EEEvRKNS_6TensorESA_lllENKUlvE1_clEvENKUlvE_clEvEUliiiiiE_St5arrayIPcLm6EELi4E23TrivialOffsetCalculatorILi5EjESH_ILi1EjENS0_6memory15LoadWithoutCastENSK_16StoreWithoutCastEEEviT_T0_T2_T3_T4_T5_,"axG",@progbits,_ZN2at6native27unrolled_elementwise_kernelIZZZNS0_12_GLOBAL__N_142_validate_compressed_sparse_indices_kernelILNS2_8CDimNameE1ENS2_18CUDAKernelLauncherENS2_14EmptyVecKernelENS2_8DummyVecELm8EEEvRKNS_6TensorESA_lllENKUlvE1_clEvENKUlvE_clEvEUliiiiiE_St5arrayIPcLm6EELi4E23TrivialOffsetCalculatorILi5EjESH_ILi1EjENS0_6memory15LoadWithoutCastENSK_16StoreWithoutCastEEEviT_T0_T2_T3_T4_T5_,comdat
.Lfunc_end84:
	.size	_ZN2at6native27unrolled_elementwise_kernelIZZZNS0_12_GLOBAL__N_142_validate_compressed_sparse_indices_kernelILNS2_8CDimNameE1ENS2_18CUDAKernelLauncherENS2_14EmptyVecKernelENS2_8DummyVecELm8EEEvRKNS_6TensorESA_lllENKUlvE1_clEvENKUlvE_clEvEUliiiiiE_St5arrayIPcLm6EELi4E23TrivialOffsetCalculatorILi5EjESH_ILi1EjENS0_6memory15LoadWithoutCastENSK_16StoreWithoutCastEEEviT_T0_T2_T3_T4_T5_, .Lfunc_end84-_ZN2at6native27unrolled_elementwise_kernelIZZZNS0_12_GLOBAL__N_142_validate_compressed_sparse_indices_kernelILNS2_8CDimNameE1ENS2_18CUDAKernelLauncherENS2_14EmptyVecKernelENS2_8DummyVecELm8EEEvRKNS_6TensorESA_lllENKUlvE1_clEvENKUlvE_clEvEUliiiiiE_St5arrayIPcLm6EELi4E23TrivialOffsetCalculatorILi5EjESH_ILi1EjENS0_6memory15LoadWithoutCastENSK_16StoreWithoutCastEEEviT_T0_T2_T3_T4_T5_
                                        ; -- End function
	.set _ZN2at6native27unrolled_elementwise_kernelIZZZNS0_12_GLOBAL__N_142_validate_compressed_sparse_indices_kernelILNS2_8CDimNameE1ENS2_18CUDAKernelLauncherENS2_14EmptyVecKernelENS2_8DummyVecELm8EEEvRKNS_6TensorESA_lllENKUlvE1_clEvENKUlvE_clEvEUliiiiiE_St5arrayIPcLm6EELi4E23TrivialOffsetCalculatorILi5EjESH_ILi1EjENS0_6memory15LoadWithoutCastENSK_16StoreWithoutCastEEEviT_T0_T2_T3_T4_T5_.num_vgpr, 44
	.set _ZN2at6native27unrolled_elementwise_kernelIZZZNS0_12_GLOBAL__N_142_validate_compressed_sparse_indices_kernelILNS2_8CDimNameE1ENS2_18CUDAKernelLauncherENS2_14EmptyVecKernelENS2_8DummyVecELm8EEEvRKNS_6TensorESA_lllENKUlvE1_clEvENKUlvE_clEvEUliiiiiE_St5arrayIPcLm6EELi4E23TrivialOffsetCalculatorILi5EjESH_ILi1EjENS0_6memory15LoadWithoutCastENSK_16StoreWithoutCastEEEviT_T0_T2_T3_T4_T5_.num_agpr, 0
	.set _ZN2at6native27unrolled_elementwise_kernelIZZZNS0_12_GLOBAL__N_142_validate_compressed_sparse_indices_kernelILNS2_8CDimNameE1ENS2_18CUDAKernelLauncherENS2_14EmptyVecKernelENS2_8DummyVecELm8EEEvRKNS_6TensorESA_lllENKUlvE1_clEvENKUlvE_clEvEUliiiiiE_St5arrayIPcLm6EELi4E23TrivialOffsetCalculatorILi5EjESH_ILi1EjENS0_6memory15LoadWithoutCastENSK_16StoreWithoutCastEEEviT_T0_T2_T3_T4_T5_.numbered_sgpr, 63
	.set _ZN2at6native27unrolled_elementwise_kernelIZZZNS0_12_GLOBAL__N_142_validate_compressed_sparse_indices_kernelILNS2_8CDimNameE1ENS2_18CUDAKernelLauncherENS2_14EmptyVecKernelENS2_8DummyVecELm8EEEvRKNS_6TensorESA_lllENKUlvE1_clEvENKUlvE_clEvEUliiiiiE_St5arrayIPcLm6EELi4E23TrivialOffsetCalculatorILi5EjESH_ILi1EjENS0_6memory15LoadWithoutCastENSK_16StoreWithoutCastEEEviT_T0_T2_T3_T4_T5_.num_named_barrier, 0
	.set _ZN2at6native27unrolled_elementwise_kernelIZZZNS0_12_GLOBAL__N_142_validate_compressed_sparse_indices_kernelILNS2_8CDimNameE1ENS2_18CUDAKernelLauncherENS2_14EmptyVecKernelENS2_8DummyVecELm8EEEvRKNS_6TensorESA_lllENKUlvE1_clEvENKUlvE_clEvEUliiiiiE_St5arrayIPcLm6EELi4E23TrivialOffsetCalculatorILi5EjESH_ILi1EjENS0_6memory15LoadWithoutCastENSK_16StoreWithoutCastEEEviT_T0_T2_T3_T4_T5_.private_seg_size, 0
	.set _ZN2at6native27unrolled_elementwise_kernelIZZZNS0_12_GLOBAL__N_142_validate_compressed_sparse_indices_kernelILNS2_8CDimNameE1ENS2_18CUDAKernelLauncherENS2_14EmptyVecKernelENS2_8DummyVecELm8EEEvRKNS_6TensorESA_lllENKUlvE1_clEvENKUlvE_clEvEUliiiiiE_St5arrayIPcLm6EELi4E23TrivialOffsetCalculatorILi5EjESH_ILi1EjENS0_6memory15LoadWithoutCastENSK_16StoreWithoutCastEEEviT_T0_T2_T3_T4_T5_.uses_vcc, 1
	.set _ZN2at6native27unrolled_elementwise_kernelIZZZNS0_12_GLOBAL__N_142_validate_compressed_sparse_indices_kernelILNS2_8CDimNameE1ENS2_18CUDAKernelLauncherENS2_14EmptyVecKernelENS2_8DummyVecELm8EEEvRKNS_6TensorESA_lllENKUlvE1_clEvENKUlvE_clEvEUliiiiiE_St5arrayIPcLm6EELi4E23TrivialOffsetCalculatorILi5EjESH_ILi1EjENS0_6memory15LoadWithoutCastENSK_16StoreWithoutCastEEEviT_T0_T2_T3_T4_T5_.uses_flat_scratch, 0
	.set _ZN2at6native27unrolled_elementwise_kernelIZZZNS0_12_GLOBAL__N_142_validate_compressed_sparse_indices_kernelILNS2_8CDimNameE1ENS2_18CUDAKernelLauncherENS2_14EmptyVecKernelENS2_8DummyVecELm8EEEvRKNS_6TensorESA_lllENKUlvE1_clEvENKUlvE_clEvEUliiiiiE_St5arrayIPcLm6EELi4E23TrivialOffsetCalculatorILi5EjESH_ILi1EjENS0_6memory15LoadWithoutCastENSK_16StoreWithoutCastEEEviT_T0_T2_T3_T4_T5_.has_dyn_sized_stack, 0
	.set _ZN2at6native27unrolled_elementwise_kernelIZZZNS0_12_GLOBAL__N_142_validate_compressed_sparse_indices_kernelILNS2_8CDimNameE1ENS2_18CUDAKernelLauncherENS2_14EmptyVecKernelENS2_8DummyVecELm8EEEvRKNS_6TensorESA_lllENKUlvE1_clEvENKUlvE_clEvEUliiiiiE_St5arrayIPcLm6EELi4E23TrivialOffsetCalculatorILi5EjESH_ILi1EjENS0_6memory15LoadWithoutCastENSK_16StoreWithoutCastEEEviT_T0_T2_T3_T4_T5_.has_recursion, 0
	.set _ZN2at6native27unrolled_elementwise_kernelIZZZNS0_12_GLOBAL__N_142_validate_compressed_sparse_indices_kernelILNS2_8CDimNameE1ENS2_18CUDAKernelLauncherENS2_14EmptyVecKernelENS2_8DummyVecELm8EEEvRKNS_6TensorESA_lllENKUlvE1_clEvENKUlvE_clEvEUliiiiiE_St5arrayIPcLm6EELi4E23TrivialOffsetCalculatorILi5EjESH_ILi1EjENS0_6memory15LoadWithoutCastENSK_16StoreWithoutCastEEEviT_T0_T2_T3_T4_T5_.has_indirect_call, 0
	.section	.AMDGPU.csdata,"",@progbits
; Kernel info:
; codeLenInByte = 7160
; TotalNumSgprs: 65
; NumVgprs: 44
; ScratchSize: 0
; MemoryBound: 0
; FloatMode: 240
; IeeeMode: 1
; LDSByteSize: 0 bytes/workgroup (compile time only)
; SGPRBlocks: 0
; VGPRBlocks: 2
; NumSGPRsForWavesPerEU: 65
; NumVGPRsForWavesPerEU: 44
; NamedBarCnt: 0
; Occupancy: 16
; WaveLimiterHint : 1
; COMPUTE_PGM_RSRC2:SCRATCH_EN: 0
; COMPUTE_PGM_RSRC2:USER_SGPR: 2
; COMPUTE_PGM_RSRC2:TRAP_HANDLER: 0
; COMPUTE_PGM_RSRC2:TGID_X_EN: 1
; COMPUTE_PGM_RSRC2:TGID_Y_EN: 0
; COMPUTE_PGM_RSRC2:TGID_Z_EN: 0
; COMPUTE_PGM_RSRC2:TIDIG_COMP_CNT: 0
	.section	.text._ZN2at6native32elementwise_kernel_manual_unrollILi128ELi4EZNS0_22gpu_kernel_impl_nocastIZZZNS0_12_GLOBAL__N_142_validate_compressed_sparse_indices_kernelILNS3_8CDimNameE1ENS3_18CUDAKernelLauncherENS3_14EmptyVecKernelENS3_8DummyVecELm8EEEvRKNS_6TensorESB_lllENKUlvE1_clEvENKUlvE_clEvEUliiiiiE_EEvRNS_18TensorIteratorBaseERKT_EUlibE_EEviT1_,"axG",@progbits,_ZN2at6native32elementwise_kernel_manual_unrollILi128ELi4EZNS0_22gpu_kernel_impl_nocastIZZZNS0_12_GLOBAL__N_142_validate_compressed_sparse_indices_kernelILNS3_8CDimNameE1ENS3_18CUDAKernelLauncherENS3_14EmptyVecKernelENS3_8DummyVecELm8EEEvRKNS_6TensorESB_lllENKUlvE1_clEvENKUlvE_clEvEUliiiiiE_EEvRNS_18TensorIteratorBaseERKT_EUlibE_EEviT1_,comdat
	.globl	_ZN2at6native32elementwise_kernel_manual_unrollILi128ELi4EZNS0_22gpu_kernel_impl_nocastIZZZNS0_12_GLOBAL__N_142_validate_compressed_sparse_indices_kernelILNS3_8CDimNameE1ENS3_18CUDAKernelLauncherENS3_14EmptyVecKernelENS3_8DummyVecELm8EEEvRKNS_6TensorESB_lllENKUlvE1_clEvENKUlvE_clEvEUliiiiiE_EEvRNS_18TensorIteratorBaseERKT_EUlibE_EEviT1_ ; -- Begin function _ZN2at6native32elementwise_kernel_manual_unrollILi128ELi4EZNS0_22gpu_kernel_impl_nocastIZZZNS0_12_GLOBAL__N_142_validate_compressed_sparse_indices_kernelILNS3_8CDimNameE1ENS3_18CUDAKernelLauncherENS3_14EmptyVecKernelENS3_8DummyVecELm8EEEvRKNS_6TensorESB_lllENKUlvE1_clEvENKUlvE_clEvEUliiiiiE_EEvRNS_18TensorIteratorBaseERKT_EUlibE_EEviT1_
	.p2align	8
	.type	_ZN2at6native32elementwise_kernel_manual_unrollILi128ELi4EZNS0_22gpu_kernel_impl_nocastIZZZNS0_12_GLOBAL__N_142_validate_compressed_sparse_indices_kernelILNS3_8CDimNameE1ENS3_18CUDAKernelLauncherENS3_14EmptyVecKernelENS3_8DummyVecELm8EEEvRKNS_6TensorESB_lllENKUlvE1_clEvENKUlvE_clEvEUliiiiiE_EEvRNS_18TensorIteratorBaseERKT_EUlibE_EEviT1_,@function
_ZN2at6native32elementwise_kernel_manual_unrollILi128ELi4EZNS0_22gpu_kernel_impl_nocastIZZZNS0_12_GLOBAL__N_142_validate_compressed_sparse_indices_kernelILNS3_8CDimNameE1ENS3_18CUDAKernelLauncherENS3_14EmptyVecKernelENS3_8DummyVecELm8EEEvRKNS_6TensorESB_lllENKUlvE1_clEvENKUlvE_clEvEUliiiiiE_EEvRNS_18TensorIteratorBaseERKT_EUlibE_EEviT1_: ; @_ZN2at6native32elementwise_kernel_manual_unrollILi128ELi4EZNS0_22gpu_kernel_impl_nocastIZZZNS0_12_GLOBAL__N_142_validate_compressed_sparse_indices_kernelILNS3_8CDimNameE1ENS3_18CUDAKernelLauncherENS3_14EmptyVecKernelENS3_8DummyVecELm8EEEvRKNS_6TensorESB_lllENKUlvE1_clEvENKUlvE_clEvEUliiiiiE_EEvRNS_18TensorIteratorBaseERKT_EUlibE_EEviT1_
; %bb.0:
	s_clause 0x1
	s_load_b32 s33, s[0:1], 0x8
	s_load_b32 s72, s[0:1], 0x0
	s_bfe_u32 s2, ttmp6, 0x4000c
	s_and_b32 s3, ttmp6, 15
	s_add_co_i32 s2, s2, 1
	s_getreg_b32 s4, hwreg(HW_REG_IB_STS2, 6, 4)
	s_mul_i32 s2, ttmp9, s2
	s_mov_b32 s61, 0
	s_add_co_i32 s3, s3, s2
	s_cmp_eq_u32 s4, 0
	s_mov_b32 s43, -1
	s_cselect_b32 s2, ttmp9, s3
	s_mov_b32 s36, 0
	v_lshl_or_b32 v0, s2, 9, v0
	s_add_nc_u64 s[2:3], s[0:1], 8
	s_get_pc_i64 s[34:35]
	s_add_nc_u64 s[34:35], s[34:35], .str.6@rel64+4
	s_wait_xcnt 0x0
	s_mov_b32 s0, exec_lo
	v_or_b32_e32 v5, 0x180, v0
	s_wait_kmcnt 0x0
	s_add_co_i32 s60, s33, -1
	s_delay_alu instid0(SALU_CYCLE_1)
	s_cmp_gt_u32 s60, 1
	s_cselect_b32 s62, -1, 0
	v_cmpx_le_i32_e64 s72, v5
	s_xor_b32 s63, exec_lo, s0
	s_cbranch_execz .LBB85_137
; %bb.1:
	s_cmp_lg_u32 s33, 0
	s_get_pc_i64 s[24:25]
	s_add_nc_u64 s[24:25], s[24:25], .str.7@rel64+4
	s_cselect_b32 s73, -1, 0
	s_min_u32 s70, s60, 15
	s_cmp_gt_u32 s33, 1
	s_get_pc_i64 s[40:41]
	s_add_nc_u64 s[40:41], s[40:41], .str.8@rel64+4
	s_cselect_b32 s69, -1, 0
	s_cmp_lg_u64 s[34:35], 0
	s_load_b128 s[20:23], s[2:3], 0x280
	s_cselect_b32 s68, -1, 0
	s_cmp_lg_u64 s[24:25], 0
	s_clause 0x1
	s_load_b128 s[36:39], s[2:3], 0x4
	s_load_b64 s[0:1], s[2:3], 0x14
	s_cselect_b32 s67, -1, 0
	s_cmp_lg_u64 s[40:41], 0
	s_load_b64 s[40:41], s[2:3], 0x318
	s_wait_kmcnt 0x0
	s_clause 0x5
	s_load_b32 s21, s[2:3], 0x290
	s_load_b128 s[28:31], s[2:3], 0xe4
	s_load_b256 s[12:19], s[2:3], 0xc4
	s_load_b256 s[4:11], s[2:3], 0x248
	s_load_b128 s[24:27], s[2:3], 0x268
	s_load_b32 s65, s[2:3], 0x278
	s_cselect_b32 s66, -1, 0
	s_get_pc_i64 s[48:49]
	s_add_nc_u64 s[48:49], s[48:49], .str.9@rel64+4
	s_mov_b32 s45, 0
	s_mov_b32 s77, exec_lo
	s_mov_b32 s76, s45
	s_mov_b32 s75, s45
	;; [unrolled: 1-line block ×4, first 2 shown]
	v_cmp_gt_i64_e64 s47, s[22:23], 0
	s_mov_b32 s44, s37
	s_mov_b32 s46, s0
	s_wait_kmcnt 0x0
	s_add_co_i32 s42, s21, -1
	s_delay_alu instid0(SALU_CYCLE_1) | instskip(SKIP_1) | instid1(SALU_CYCLE_1)
	s_cmp_gt_i32 s42, -1
	s_cselect_b32 s37, -1, 0
	s_and_b32 s64, s47, s37
	s_cmp_lg_u64 s[48:49], 0
	s_mov_b32 s47, s45
	s_cselect_b32 s37, -1, 0
	v_cmpx_gt_i32_e64 s72, v0
	s_cbranch_execz .LBB85_35
; %bb.2:
	s_and_not1_b32 vcc_lo, exec_lo, s62
	s_cbranch_vccnz .LBB85_8
; %bb.3:
	s_and_not1_b32 vcc_lo, exec_lo, s73
	s_cbranch_vccnz .LBB85_9
; %bb.4:
	v_dual_mov_b32 v6, 0 :: v_dual_mov_b32 v1, v0
	v_dual_mov_b32 v5, 0 :: v_dual_mov_b32 v7, 0
	;; [unrolled: 1-line block ×3, first 2 shown]
	v_mov_b32_e32 v8, 0
	s_add_co_i32 s0, s70, 1
	s_mov_b64 s[48:49], 0xffffffffffffffd0
	s_and_b32 s0, s0, 30
	s_add_nc_u64 s[48:49], s[2:3], s[48:49]
	s_mov_b64 s[50:51], s[2:3]
.LBB85_5:                               ; =>This Inner Loop Header: Depth=1
	s_clause 0x1
	s_load_b128 s[80:83], s[50:51], 0x4
	s_load_b64 s[74:75], s[50:51], 0x14
	s_clause 0x1
	s_load_b256 s[52:59], s[48:49], 0xf4
	s_load_b128 s[84:87], s[48:49], 0x114
	s_add_co_i32 s0, s0, -2
	s_wait_xcnt 0x0
	s_add_nc_u64 s[50:51], s[50:51], 24
	s_cmp_lg_u32 s0, 0
	s_add_nc_u64 s[48:49], s[48:49], 48
	s_wait_kmcnt 0x0
	v_mul_hi_u32 v2, s81, v1
	s_delay_alu instid0(VALU_DEP_1) | instskip(NEXT) | instid1(VALU_DEP_1)
	v_add_nc_u32_e32 v2, v1, v2
	v_lshrrev_b32_e32 v2, s82, v2
	s_delay_alu instid0(VALU_DEP_1) | instskip(SKIP_1) | instid1(VALU_DEP_1)
	v_mul_hi_u32 v3, s74, v2
	v_mul_lo_u32 v9, v2, s80
	v_dual_add_nc_u32 v3, v2, v3 :: v_dual_sub_nc_u32 v9, v1, v9
	s_delay_alu instid0(VALU_DEP_1) | instskip(NEXT) | instid1(VALU_DEP_2)
	v_lshrrev_b32_e32 v1, s75, v3
	v_mad_u32 v3, v9, s53, v8
	v_mad_u32 v10, v9, s52, v14
	;; [unrolled: 1-line block ×4, first 2 shown]
	v_mul_lo_u32 v8, v1, s83
	v_mad_u32 v5, s57, v9, v5
	v_mad_u32 v6, s56, v9, v6
	s_delay_alu instid0(VALU_DEP_3) | instskip(NEXT) | instid1(VALU_DEP_1)
	v_sub_nc_u32_e32 v2, v2, v8
	v_mad_u32 v8, v2, s59, v3
	v_mad_u32 v14, v2, s58, v10
	;; [unrolled: 1-line block ×6, first 2 shown]
	s_cbranch_scc1 .LBB85_5
; %bb.6:
	s_bitcmp1_b32 s70, 0
	s_cselect_b32 s0, -1, 0
	s_delay_alu instid0(SALU_CYCLE_1)
	s_and_b32 vcc_lo, exec_lo, s0
	s_cbranch_vccnz .LBB85_10
; %bb.7:
	s_load_b96 s[56:58], s[50:51], 0x4
	s_load_b128 s[52:55], s[48:49], 0xf4
	s_wait_xcnt 0x0
	s_load_b64 s[50:51], s[48:49], 0x104
	s_wait_kmcnt 0x0
	v_mul_hi_u32 v2, s57, v1
	s_delay_alu instid0(VALU_DEP_1) | instskip(NEXT) | instid1(VALU_DEP_1)
	v_add_nc_u32_e32 v2, v1, v2
	v_lshrrev_b32_e32 v2, s58, v2
	s_delay_alu instid0(VALU_DEP_1) | instskip(NEXT) | instid1(VALU_DEP_1)
	v_mul_lo_u32 v2, v2, s56
	v_sub_nc_u32_e32 v1, v1, v2
	s_delay_alu instid0(VALU_DEP_1)
	v_mad_u32 v14, v1, s52, v14
	v_mad_u32 v8, v1, s53, v8
	;; [unrolled: 1-line block ×6, first 2 shown]
	s_cbranch_execz .LBB85_11
	s_branch .LBB85_13
.LBB85_8:
                                        ; implicit-def: $vgpr8
                                        ; implicit-def: $vgpr14
                                        ; implicit-def: $vgpr4
                                        ; implicit-def: $vgpr7
                                        ; implicit-def: $vgpr5
                                        ; implicit-def: $vgpr6
	s_branch .LBB85_11
.LBB85_9:
	v_dual_mov_b32 v8, 0 :: v_dual_mov_b32 v14, 0
	v_dual_mov_b32 v4, 0 :: v_dual_mov_b32 v7, 0
	;; [unrolled: 1-line block ×3, first 2 shown]
.LBB85_10:
	s_cbranch_execnz .LBB85_13
.LBB85_11:
	v_mov_b32_e32 v1, 0
	s_and_not1_b32 vcc_lo, exec_lo, s69
	s_delay_alu instid0(VALU_DEP_1) | instskip(NEXT) | instid1(VALU_DEP_1)
	v_mul_u64_e32 v[2:3], s[44:45], v[0:1]
	v_add_nc_u32_e32 v2, v0, v3
	s_delay_alu instid0(VALU_DEP_1) | instskip(NEXT) | instid1(VALU_DEP_1)
	v_lshrrev_b32_e32 v2, s38, v2
	v_mul_lo_u32 v3, v2, s36
	s_delay_alu instid0(VALU_DEP_1) | instskip(NEXT) | instid1(VALU_DEP_1)
	v_sub_nc_u32_e32 v3, v0, v3
	v_mul_lo_u32 v8, v3, s13
	v_mul_lo_u32 v14, v3, s12
	;; [unrolled: 1-line block ×6, first 2 shown]
	s_cbranch_vccnz .LBB85_13
; %bb.12:
	v_mov_b32_e32 v3, v1
	s_delay_alu instid0(VALU_DEP_1) | instskip(NEXT) | instid1(VALU_DEP_1)
	v_mul_u64_e32 v[10:11], s[46:47], v[2:3]
	v_add_nc_u32_e32 v1, v2, v11
	s_delay_alu instid0(VALU_DEP_1) | instskip(NEXT) | instid1(VALU_DEP_1)
	v_lshrrev_b32_e32 v1, s1, v1
	v_mul_lo_u32 v1, v1, s39
	s_delay_alu instid0(VALU_DEP_1) | instskip(NEXT) | instid1(VALU_DEP_1)
	v_sub_nc_u32_e32 v1, v2, v1
	v_mad_u32 v14, v1, s18, v14
	v_mad_u32 v8, v1, s19, v8
	;; [unrolled: 1-line block ×6, first 2 shown]
.LBB85_13:
	global_load_b32 v1, v8, s[6:7]
	s_mov_b32 s43, -1
	s_mov_b32 s0, 0
	s_mov_b32 s48, 0
	;; [unrolled: 1-line block ×4, first 2 shown]
	s_wait_loadcnt 0x0
	v_cmp_eq_u32_e32 vcc_lo, s65, v1
	s_and_b32 s51, s68, vcc_lo
	s_delay_alu instid0(SALU_CYCLE_1)
	s_and_saveexec_b32 s71, s51
	s_cbranch_execz .LBB85_34
; %bb.14:
	global_load_b32 v1, v7, s[8:9]
	s_wait_loadcnt 0x0
	v_cmp_eq_u32_e32 vcc_lo, s22, v1
	s_and_b32 s50, s67, vcc_lo
	s_delay_alu instid0(SALU_CYCLE_1)
	s_and_saveexec_b32 s74, s50
	s_cbranch_execz .LBB85_33
; %bb.15:
	global_load_b32 v4, v4, s[10:11]
	global_load_b32 v2, v6, s[24:25]
	s_wait_loadcnt 0x0
	v_sub_nc_u32_e32 v1, v2, v4
	s_delay_alu instid0(VALU_DEP_1)
	v_cmp_le_i32_e32 vcc_lo, s65, v1
	v_cmp_ge_i32_e64 s0, s20, v1
	s_and_b32 s48, vcc_lo, s0
	s_mov_b32 s0, 0
	s_and_b32 s49, s66, s48
	s_mov_b32 s48, 0
	s_and_saveexec_b32 s75, s49
	s_cbranch_execz .LBB85_32
; %bb.16:
	v_mov_b64_e32 v[6:7], 0
	s_and_not1_b32 vcc_lo, exec_lo, s64
	s_cbranch_vccnz .LBB85_23
; %bb.17:
	global_load_b32 v6, v5, s[26:27]
	s_mov_b32 s49, 0
	s_mov_b64 s[50:51], 0xffffffff
	s_mov_b32 s43, s49
	v_mov_b32_e32 v8, 0
	s_lshl_b64 s[52:53], s[42:43], 3
	s_mov_b32 s43, s21
	s_add_nc_u64 s[52:53], s[2:3], s[52:53]
	s_delay_alu instid0(SALU_CYCLE_1) | instskip(SKIP_2) | instid1(VALU_DEP_1)
	s_add_nc_u64 s[52:53], s[52:53], 0x298
	s_wait_loadcnt 0x0
	v_ashrrev_i32_e32 v7, 31, v6
	v_mul_u64_e32 v[10:11], s[22:23], v[6:7]
	v_mov_b64_e32 v[6:7], 0
	s_branch .LBB85_19
.LBB85_18:                              ;   in Loop: Header=BB85_19 Depth=1
	s_or_b32 exec_lo, exec_lo, s0
	s_delay_alu instid0(VALU_DEP_1)
	v_mul_u64_e32 v[16:17], s[54:55], v[12:13]
	s_load_b64 s[54:55], s[52:53], 0x40
	s_add_co_i32 s43, s43, -1
	s_wait_xcnt 0x0
	s_add_nc_u64 s[52:53], s[52:53], -8
	s_cmp_eq_u32 s43, 0
	s_delay_alu instid0(VALU_DEP_1) | instskip(SKIP_1) | instid1(VALU_DEP_1)
	v_sub_nc_u64_e32 v[10:11], v[10:11], v[16:17]
	s_wait_kmcnt 0x0
	v_mad_nc_u64_u32 v[6:7], v10, s54, v[6:7]
	s_delay_alu instid0(VALU_DEP_1) | instskip(NEXT) | instid1(VALU_DEP_1)
	v_mad_u32 v1, v11, s54, v7
	v_mad_u32 v7, v10, s55, v1
	v_mov_b64_e32 v[10:11], v[12:13]
	s_cbranch_scc1 .LBB85_23
.LBB85_19:                              ; =>This Inner Loop Header: Depth=1
	s_load_b64 s[54:55], s[52:53], 0x0
                                        ; implicit-def: $vgpr12_vgpr13
	s_mov_b32 s0, exec_lo
	s_wait_kmcnt 0x0
	s_delay_alu instid0(VALU_DEP_1) | instskip(NEXT) | instid1(VALU_DEP_1)
	v_or_b32_e32 v9, s55, v11
	v_cmpx_ne_u64_e32 0, v[8:9]
	s_xor_b32 s76, exec_lo, s0
	s_cbranch_execz .LBB85_21
; %bb.20:                               ;   in Loop: Header=BB85_19 Depth=1
	s_ashr_i32 s56, s55, 31
	v_dual_mov_b32 v19, v8 :: v_dual_ashrrev_i32 v12, 31, v11
	s_mov_b32 s57, s56
	v_mov_b32_e32 v23, v8
	s_add_nc_u64 s[58:59], s[54:55], s[56:57]
	s_delay_alu instid0(VALU_DEP_2)
	v_mov_b32_e32 v13, v12
	s_xor_b64 s[58:59], s[58:59], s[56:57]
	v_mov_b32_e32 v27, v8
	s_cvt_f32_u32 s0, s58
	s_cvt_f32_u32 s48, s59
	s_sub_nc_u64 s[80:81], 0, s[58:59]
	v_add_nc_u64_e32 v[16:17], v[10:11], v[12:13]
	s_delay_alu instid0(SALU_CYCLE_1) | instskip(NEXT) | instid1(SALU_CYCLE_3)
	s_fmamk_f32 s0, s48, 0x4f800000, s0
	v_s_rcp_f32 s0, s0
	s_delay_alu instid0(VALU_DEP_1) | instskip(NEXT) | instid1(VALU_DEP_2)
	v_xor_b32_e32 v22, v17, v12
	v_xor_b32_e32 v18, v16, v12
	s_delay_alu instid0(TRANS32_DEP_1) | instskip(NEXT) | instid1(SALU_CYCLE_3)
	s_mul_f32 s0, s0, 0x5f7ffffc
	s_mul_f32 s48, s0, 0x2f800000
	s_delay_alu instid0(SALU_CYCLE_3) | instskip(NEXT) | instid1(SALU_CYCLE_3)
	s_trunc_f32 s48, s48
	s_fmamk_f32 s0, s48, 0xcf800000, s0
	s_cvt_u32_f32 s79, s48
	s_delay_alu instid0(SALU_CYCLE_2) | instskip(NEXT) | instid1(SALU_CYCLE_3)
	s_cvt_u32_f32 s78, s0
	s_mul_u64 s[82:83], s[80:81], s[78:79]
	s_delay_alu instid0(SALU_CYCLE_1)
	s_mul_hi_u32 s85, s78, s83
	s_mul_i32 s84, s78, s83
	s_mul_hi_u32 s48, s78, s82
	s_mul_i32 s57, s79, s82
	s_add_nc_u64 s[84:85], s[48:49], s[84:85]
	s_mul_hi_u32 s0, s79, s82
	s_mul_hi_u32 s86, s79, s83
	s_add_co_u32 s48, s84, s57
	s_add_co_ci_u32 s48, s85, s0
	s_mul_i32 s82, s79, s83
	s_add_co_ci_u32 s83, s86, 0
	s_delay_alu instid0(SALU_CYCLE_1) | instskip(NEXT) | instid1(SALU_CYCLE_1)
	s_add_nc_u64 s[82:83], s[48:49], s[82:83]
	s_add_co_u32 s78, s78, s82
	s_cselect_b32 s0, -1, 0
	s_delay_alu instid0(SALU_CYCLE_1) | instskip(SKIP_1) | instid1(SALU_CYCLE_1)
	s_cmp_lg_u32 s0, 0
	s_add_co_ci_u32 s79, s79, s83
	s_mul_u64 s[80:81], s[80:81], s[78:79]
	s_delay_alu instid0(SALU_CYCLE_1)
	s_mul_hi_u32 s83, s78, s81
	s_mul_i32 s82, s78, s81
	s_mul_hi_u32 s48, s78, s80
	s_mul_i32 s57, s79, s80
	s_add_nc_u64 s[82:83], s[48:49], s[82:83]
	s_mul_hi_u32 s0, s79, s80
	s_mul_hi_u32 s84, s79, s81
	s_add_co_u32 s48, s82, s57
	s_add_co_ci_u32 s48, s83, s0
	s_mul_i32 s80, s79, s81
	s_add_co_ci_u32 s81, s84, 0
	s_delay_alu instid0(SALU_CYCLE_1) | instskip(NEXT) | instid1(SALU_CYCLE_1)
	s_add_nc_u64 s[80:81], s[48:49], s[80:81]
	s_add_co_u32 s0, s78, s80
	s_cselect_b32 s48, -1, 0
	v_mul_hi_u32 v26, v18, s0
	s_cmp_lg_u32 s48, 0
	s_add_co_ci_u32 s48, s79, s81
	s_and_b64 s[78:79], s[0:1], s[50:51]
	v_mul_u64_e32 v[20:21], s[48:49], v[18:19]
	v_mul_u64_e32 v[16:17], s[78:79], v[22:23]
	;; [unrolled: 1-line block ×3, first 2 shown]
	s_delay_alu instid0(VALU_DEP_3) | instskip(NEXT) | instid1(VALU_DEP_1)
	v_add_nc_u64_e32 v[20:21], v[26:27], v[20:21]
	v_add_co_u32 v1, vcc_lo, v20, v16
	s_delay_alu instid0(VALU_DEP_2) | instskip(NEXT) | instid1(VALU_DEP_4)
	v_add_co_ci_u32_e32 v26, vcc_lo, v21, v17, vcc_lo
	v_add_co_ci_u32_e32 v25, vcc_lo, 0, v25, vcc_lo
	s_delay_alu instid0(VALU_DEP_1) | instskip(NEXT) | instid1(VALU_DEP_1)
	v_add_nc_u64_e32 v[16:17], v[26:27], v[24:25]
	v_mul_u64_e32 v[20:21], s[58:59], v[16:17]
	s_delay_alu instid0(VALU_DEP_1) | instskip(NEXT) | instid1(VALU_DEP_2)
	v_sub_nc_u32_e32 v1, v22, v21
	v_sub_co_u32 v3, vcc_lo, v18, v20
	s_delay_alu instid0(VALU_DEP_1) | instskip(NEXT) | instid1(VALU_DEP_3)
	v_sub_co_ci_u32_e64 v9, null, v22, v21, vcc_lo
	v_subrev_co_ci_u32_e64 v1, null, s59, v1, vcc_lo
	s_delay_alu instid0(VALU_DEP_3) | instskip(SKIP_1) | instid1(VALU_DEP_3)
	v_sub_co_u32 v5, s0, v3, s58
	v_add_nc_u64_e32 v[18:19], 2, v[16:17]
	v_subrev_co_ci_u32_e64 v1, null, 0, v1, s0
	s_delay_alu instid0(VALU_DEP_3) | instskip(SKIP_2) | instid1(VALU_DEP_4)
	v_cmp_le_u32_e32 vcc_lo, s58, v5
	v_add_nc_u64_e32 v[20:21], 1, v[16:17]
	v_cndmask_b32_e64 v5, 0, -1, vcc_lo
	v_cmp_le_u32_e32 vcc_lo, s59, v1
	v_cndmask_b32_e64 v13, 0, -1, vcc_lo
	v_cmp_le_u32_e32 vcc_lo, s58, v3
	;; [unrolled: 2-line block ×3, first 2 shown]
	v_cndmask_b32_e64 v15, 0, -1, vcc_lo
	v_cmp_eq_u32_e32 vcc_lo, s59, v1
	v_cndmask_b32_e32 v1, v13, v5, vcc_lo
	v_cmp_eq_u32_e32 vcc_lo, s59, v9
	s_delay_alu instid0(VALU_DEP_4) | instskip(NEXT) | instid1(VALU_DEP_3)
	v_cndmask_b32_e32 v3, v15, v3, vcc_lo
	v_cmp_ne_u32_e32 vcc_lo, 0, v1
	s_delay_alu instid0(VALU_DEP_2) | instskip(SKIP_1) | instid1(VALU_DEP_1)
	v_cmp_ne_u32_e64 s0, 0, v3
	v_dual_cndmask_b32 v1, v21, v19, vcc_lo :: v_dual_cndmask_b32 v3, v20, v18, vcc_lo
	v_dual_cndmask_b32 v1, v17, v1, s0 :: v_dual_bitop2_b32 v12, s56, v12 bitop3:0x14
	s_delay_alu instid0(VALU_DEP_1) | instskip(NEXT) | instid1(VALU_DEP_1)
	v_dual_cndmask_b32 v3, v16, v3, s0 :: v_dual_bitop2_b32 v17, v1, v12 bitop3:0x14
	v_dual_mov_b32 v13, v12 :: v_dual_bitop2_b32 v16, v3, v12 bitop3:0x14
	s_delay_alu instid0(VALU_DEP_1)
	v_sub_nc_u64_e32 v[12:13], v[16:17], v[12:13]
.LBB85_21:                              ;   in Loop: Header=BB85_19 Depth=1
	s_and_not1_saveexec_b32 s0, s76
	s_cbranch_execz .LBB85_18
; %bb.22:                               ;   in Loop: Header=BB85_19 Depth=1
	v_cvt_f32_u32_e32 v1, s54
	s_sub_co_i32 s48, 0, s54
	v_mov_b32_e32 v13, v8
	s_delay_alu instid0(VALU_DEP_2) | instskip(SKIP_1) | instid1(TRANS32_DEP_1)
	v_rcp_iflag_f32_e32 v1, v1
	v_nop
	v_mul_f32_e32 v1, 0x4f7ffffe, v1
	s_delay_alu instid0(VALU_DEP_1) | instskip(NEXT) | instid1(VALU_DEP_1)
	v_cvt_u32_f32_e32 v1, v1
	v_mul_lo_u32 v3, s48, v1
	s_delay_alu instid0(VALU_DEP_1) | instskip(NEXT) | instid1(VALU_DEP_1)
	v_mul_hi_u32 v3, v1, v3
	v_add_nc_u32_e32 v1, v1, v3
	s_delay_alu instid0(VALU_DEP_1) | instskip(NEXT) | instid1(VALU_DEP_1)
	v_mul_hi_u32 v1, v10, v1
	v_mul_lo_u32 v3, v1, s54
	s_delay_alu instid0(VALU_DEP_1) | instskip(NEXT) | instid1(VALU_DEP_1)
	v_dual_add_nc_u32 v5, 1, v1 :: v_dual_sub_nc_u32 v3, v10, v3
	v_subrev_nc_u32_e32 v9, s54, v3
	v_cmp_le_u32_e32 vcc_lo, s54, v3
	s_delay_alu instid0(VALU_DEP_2) | instskip(NEXT) | instid1(VALU_DEP_4)
	v_cndmask_b32_e32 v3, v3, v9, vcc_lo
	v_cndmask_b32_e32 v1, v1, v5, vcc_lo
	s_delay_alu instid0(VALU_DEP_2) | instskip(NEXT) | instid1(VALU_DEP_2)
	v_cmp_le_u32_e32 vcc_lo, s54, v3
	v_add_nc_u32_e32 v5, 1, v1
	s_delay_alu instid0(VALU_DEP_1)
	v_cndmask_b32_e32 v12, v1, v5, vcc_lo
	s_branch .LBB85_18
.LBB85_23:
	s_mov_b32 s49, -1
	s_mov_b32 s0, 0
	s_mov_b32 s48, 0
	s_mov_b32 s43, exec_lo
	v_cmpx_gt_i32_e64 v2, v4
	s_cbranch_execz .LBB85_29
; %bb.24:
	s_delay_alu instid0(VALU_DEP_2) | instskip(SKIP_2) | instid1(VALU_DEP_1)
	v_lshlrev_b64_e32 v[6:7], 2, v[6:7]
	v_dual_ashrrev_i32 v5, 31, v4 :: v_dual_ashrrev_i32 v3, 31, v2
	s_xor_b32 s50, s37, -1
                                        ; implicit-def: $sgpr49
                                        ; implicit-def: $sgpr52
                                        ; implicit-def: $sgpr51
	v_lshl_add_u64 v[4:5], v[4:5], 2, v[6:7]
	v_add_nc_u64_e32 v[6:7], s[40:41], v[6:7]
	s_delay_alu instid0(VALU_DEP_2) | instskip(NEXT) | instid1(VALU_DEP_2)
	v_add_nc_u64_e32 v[4:5], s[40:41], v[4:5]
	v_lshl_add_u64 v[2:3], v[2:3], 2, v[6:7]
	s_delay_alu instid0(VALU_DEP_2)
	v_add_nc_u64_e32 v[4:5], 4, v[4:5]
	s_branch .LBB85_26
.LBB85_25:                              ;   in Loop: Header=BB85_26 Depth=1
	s_or_b32 exec_lo, exec_lo, s53
	s_delay_alu instid0(SALU_CYCLE_1) | instskip(NEXT) | instid1(SALU_CYCLE_1)
	s_and_b32 s53, exec_lo, s52
	s_or_b32 s48, s53, s48
	s_and_not1_b32 s49, s49, exec_lo
	s_and_b32 s53, s51, exec_lo
	s_delay_alu instid0(SALU_CYCLE_1)
	s_or_b32 s49, s49, s53
	s_and_not1_b32 exec_lo, exec_lo, s48
	s_cbranch_execz .LBB85_28
.LBB85_26:                              ; =>This Inner Loop Header: Depth=1
	s_or_b32 s51, s51, exec_lo
	s_or_b32 s52, s52, exec_lo
	s_mov_b32 s53, exec_lo
	s_delay_alu instid0(VALU_DEP_1)
	v_cmpx_lt_u64_e64 v[4:5], v[2:3]
	s_cbranch_execz .LBB85_25
; %bb.27:                               ;   in Loop: Header=BB85_26 Depth=1
	global_load_b64 v[6:7], v[4:5], off offset:-4
	s_wait_xcnt 0x0
	v_add_nc_u64_e32 v[4:5], 4, v[4:5]
	s_and_not1_b32 s52, s52, exec_lo
	s_and_not1_b32 s51, s51, exec_lo
	s_wait_loadcnt 0x0
	v_cmp_ge_i32_e32 vcc_lo, v6, v7
	s_or_b32 s54, s50, vcc_lo
	s_delay_alu instid0(SALU_CYCLE_1) | instskip(NEXT) | instid1(SALU_CYCLE_1)
	s_and_b32 s54, s54, exec_lo
	s_or_b32 s52, s52, s54
	s_branch .LBB85_25
.LBB85_28:
	s_or_b32 exec_lo, exec_lo, s48
	s_delay_alu instid0(SALU_CYCLE_1)
	s_mov_b32 s48, exec_lo
	s_or_not1_b32 s49, s49, exec_lo
.LBB85_29:
	s_or_b32 exec_lo, exec_lo, s43
	s_and_saveexec_b32 s43, s49
	s_cbranch_execz .LBB85_31
; %bb.30:
	v_dual_mov_b32 v1, 0 :: v_dual_add_nc_u32 v0, 0x80, v0
	s_mov_b32 s0, exec_lo
	s_and_not1_b32 s48, s48, exec_lo
	global_store_b32 v14, v1, s[4:5]
.LBB85_31:
	s_wait_xcnt 0x0
	s_or_b32 exec_lo, exec_lo, s43
	s_delay_alu instid0(SALU_CYCLE_1)
	s_and_b32 s48, s48, exec_lo
	s_xor_b32 s43, exec_lo, -1
	s_and_b32 s0, s0, exec_lo
.LBB85_32:
	s_or_b32 exec_lo, exec_lo, s75
	s_delay_alu instid0(SALU_CYCLE_1)
	s_and_b32 s49, s48, exec_lo
	s_and_b32 s48, s43, exec_lo
	s_xor_b32 s43, exec_lo, -1
	s_and_b32 s0, s0, exec_lo
.LBB85_33:
	s_or_b32 exec_lo, exec_lo, s74
	s_delay_alu instid0(SALU_CYCLE_1)
	s_and_b32 s50, s49, exec_lo
	s_and_b32 s49, s48, exec_lo
	;; [unrolled: 1-line block ×3, first 2 shown]
	s_xor_b32 s43, exec_lo, -1
	s_and_b32 s0, s0, exec_lo
.LBB85_34:
	s_or_b32 exec_lo, exec_lo, s71
	s_delay_alu instid0(SALU_CYCLE_1)
	s_and_b32 s71, s50, exec_lo
	s_and_b32 s74, s49, exec_lo
	;; [unrolled: 1-line block ×4, first 2 shown]
	s_or_not1_b32 s43, s0, exec_lo
.LBB85_35:
	s_or_b32 exec_lo, exec_lo, s77
                                        ; implicit-def: $vgpr12
                                        ; implicit-def: $vgpr4
                                        ; implicit-def: $vgpr7
                                        ; implicit-def: $vgpr6
                                        ; implicit-def: $vgpr5
	s_and_saveexec_b32 s77, s43
	s_cbranch_execz .LBB85_124
; %bb.36:
	s_mov_b32 s43, -1
	s_mov_b32 s78, s76
	s_mov_b32 s81, s75
	;; [unrolled: 1-line block ×4, first 2 shown]
	s_mov_b32 s82, exec_lo
	v_cmpx_gt_i32_e64 s72, v0
	s_cbranch_execz .LBB85_70
; %bb.37:
	s_and_not1_b32 vcc_lo, exec_lo, s62
	s_cbranch_vccnz .LBB85_43
; %bb.38:
	s_and_not1_b32 vcc_lo, exec_lo, s73
	s_cbranch_vccnz .LBB85_44
; %bb.39:
	v_dual_mov_b32 v6, 0 :: v_dual_mov_b32 v1, v0
	v_dual_mov_b32 v5, 0 :: v_dual_mov_b32 v7, 0
	;; [unrolled: 1-line block ×3, first 2 shown]
	v_mov_b32_e32 v8, 0
	s_add_co_i32 s0, s70, 1
	s_mov_b64 s[48:49], 0xffffffffffffffd0
	s_and_b32 s0, s0, 30
	s_add_nc_u64 s[48:49], s[2:3], s[48:49]
	s_mov_b64 s[50:51], s[2:3]
.LBB85_40:                              ; =>This Inner Loop Header: Depth=1
	s_clause 0x1
	s_load_b128 s[84:87], s[50:51], 0x4
	s_load_b64 s[78:79], s[50:51], 0x14
	s_clause 0x1
	s_load_b256 s[52:59], s[48:49], 0xf4
	s_load_b128 s[88:91], s[48:49], 0x114
	s_add_co_i32 s0, s0, -2
	s_wait_xcnt 0x0
	s_add_nc_u64 s[50:51], s[50:51], 24
	s_cmp_eq_u32 s0, 0
	s_add_nc_u64 s[48:49], s[48:49], 48
	s_wait_kmcnt 0x0
	v_mul_hi_u32 v2, s85, v1
	s_delay_alu instid0(VALU_DEP_1) | instskip(NEXT) | instid1(VALU_DEP_1)
	v_add_nc_u32_e32 v2, v1, v2
	v_lshrrev_b32_e32 v2, s86, v2
	s_delay_alu instid0(VALU_DEP_1) | instskip(SKIP_1) | instid1(VALU_DEP_1)
	v_mul_hi_u32 v3, s78, v2
	v_mul_lo_u32 v9, v2, s84
	v_dual_add_nc_u32 v3, v2, v3 :: v_dual_sub_nc_u32 v9, v1, v9
	s_delay_alu instid0(VALU_DEP_1) | instskip(NEXT) | instid1(VALU_DEP_2)
	v_lshrrev_b32_e32 v1, s79, v3
	v_mad_u32 v3, v9, s53, v8
	v_mad_u32 v10, v9, s52, v14
	;; [unrolled: 1-line block ×4, first 2 shown]
	v_mul_lo_u32 v8, v1, s87
	v_mad_u32 v5, s57, v9, v5
	v_mad_u32 v6, s56, v9, v6
	s_delay_alu instid0(VALU_DEP_3) | instskip(NEXT) | instid1(VALU_DEP_1)
	v_sub_nc_u32_e32 v2, v2, v8
	v_mad_u32 v8, v2, s59, v3
	v_mad_u32 v14, v2, s58, v10
	;; [unrolled: 1-line block ×6, first 2 shown]
	s_cbranch_scc0 .LBB85_40
; %bb.41:
	s_bitcmp1_b32 s70, 0
	s_cselect_b32 s0, -1, 0
	s_delay_alu instid0(SALU_CYCLE_1)
	s_and_b32 vcc_lo, exec_lo, s0
	s_cbranch_vccnz .LBB85_45
; %bb.42:
	s_load_b96 s[56:58], s[50:51], 0x4
	s_load_b128 s[52:55], s[48:49], 0xf4
	s_wait_xcnt 0x0
	s_load_b64 s[50:51], s[48:49], 0x104
	s_wait_kmcnt 0x0
	v_mul_hi_u32 v2, s57, v1
	s_delay_alu instid0(VALU_DEP_1) | instskip(NEXT) | instid1(VALU_DEP_1)
	v_add_nc_u32_e32 v2, v1, v2
	v_lshrrev_b32_e32 v2, s58, v2
	s_delay_alu instid0(VALU_DEP_1) | instskip(NEXT) | instid1(VALU_DEP_1)
	v_mul_lo_u32 v2, v2, s56
	v_sub_nc_u32_e32 v1, v1, v2
	s_delay_alu instid0(VALU_DEP_1)
	v_mad_u32 v14, v1, s52, v14
	v_mad_u32 v8, v1, s53, v8
	;; [unrolled: 1-line block ×6, first 2 shown]
	s_branch .LBB85_45
.LBB85_43:
                                        ; implicit-def: $vgpr8
                                        ; implicit-def: $vgpr14
                                        ; implicit-def: $vgpr4
                                        ; implicit-def: $vgpr7
                                        ; implicit-def: $vgpr5
                                        ; implicit-def: $vgpr6
	s_branch .LBB85_46
.LBB85_44:
	v_dual_mov_b32 v8, 0 :: v_dual_mov_b32 v14, 0
	v_dual_mov_b32 v4, 0 :: v_dual_mov_b32 v7, 0
	;; [unrolled: 1-line block ×3, first 2 shown]
.LBB85_45:
	s_cbranch_execnz .LBB85_48
.LBB85_46:
	v_mov_b32_e32 v1, 0
	s_and_not1_b32 vcc_lo, exec_lo, s69
	s_delay_alu instid0(VALU_DEP_1) | instskip(NEXT) | instid1(VALU_DEP_1)
	v_mul_u64_e32 v[2:3], s[44:45], v[0:1]
	v_add_nc_u32_e32 v2, v0, v3
	s_delay_alu instid0(VALU_DEP_1) | instskip(NEXT) | instid1(VALU_DEP_1)
	v_lshrrev_b32_e32 v2, s38, v2
	v_mul_lo_u32 v3, v2, s36
	s_delay_alu instid0(VALU_DEP_1) | instskip(NEXT) | instid1(VALU_DEP_1)
	v_sub_nc_u32_e32 v3, v0, v3
	v_mul_lo_u32 v8, v3, s13
	v_mul_lo_u32 v14, v3, s12
	;; [unrolled: 1-line block ×6, first 2 shown]
	s_cbranch_vccnz .LBB85_48
; %bb.47:
	v_mov_b32_e32 v3, v1
	s_delay_alu instid0(VALU_DEP_1) | instskip(NEXT) | instid1(VALU_DEP_1)
	v_mul_u64_e32 v[10:11], s[46:47], v[2:3]
	v_add_nc_u32_e32 v1, v2, v11
	s_delay_alu instid0(VALU_DEP_1) | instskip(NEXT) | instid1(VALU_DEP_1)
	v_lshrrev_b32_e32 v1, s1, v1
	v_mul_lo_u32 v1, v1, s39
	s_delay_alu instid0(VALU_DEP_1) | instskip(NEXT) | instid1(VALU_DEP_1)
	v_sub_nc_u32_e32 v1, v2, v1
	v_mad_u32 v14, v1, s18, v14
	v_mad_u32 v8, v1, s19, v8
	;; [unrolled: 1-line block ×6, first 2 shown]
.LBB85_48:
	global_load_b32 v1, v8, s[6:7]
	s_mov_b32 s0, 0
	s_mov_b32 s43, -1
	s_mov_b32 s48, s75
	s_mov_b32 s50, s74
	;; [unrolled: 1-line block ×3, first 2 shown]
	s_wait_loadcnt 0x0
	v_cmp_eq_u32_e32 vcc_lo, s65, v1
	s_and_b32 s51, s68, vcc_lo
	s_wait_xcnt 0x0
	s_and_saveexec_b32 s78, s51
	s_cbranch_execz .LBB85_69
; %bb.49:
	global_load_b32 v1, v7, s[8:9]
	s_mov_b32 s50, s74
	s_mov_b32 s49, s71
	s_wait_loadcnt 0x0
	v_cmp_eq_u32_e32 vcc_lo, s22, v1
	s_and_b32 s48, s67, vcc_lo
	s_wait_xcnt 0x0
	s_and_saveexec_b32 s79, s48
	s_cbranch_execz .LBB85_68
; %bb.50:
	global_load_b32 v4, v4, s[10:11]
	global_load_b32 v2, v6, s[24:25]
	s_mov_b32 s48, 0
	s_wait_loadcnt 0x0
	v_sub_nc_u32_e32 v1, v2, v4
	s_delay_alu instid0(VALU_DEP_1)
	v_cmp_le_i32_e32 vcc_lo, s65, v1
	v_cmp_ge_i32_e64 s0, s20, v1
	s_and_b32 s43, vcc_lo, s0
	s_mov_b32 s0, -1
	s_and_b32 s49, s66, s43
	s_mov_b32 s43, s71
	s_wait_xcnt 0x0
	s_and_saveexec_b32 s80, s49
	s_cbranch_execz .LBB85_67
; %bb.51:
	v_mov_b64_e32 v[6:7], 0
	s_and_not1_b32 vcc_lo, exec_lo, s64
	s_cbranch_vccnz .LBB85_58
; %bb.52:
	global_load_b32 v6, v5, s[26:27]
	s_mov_b32 s49, 0
	s_mov_b64 s[50:51], 0xffffffff
	s_mov_b32 s43, s49
	v_mov_b32_e32 v8, 0
	s_lshl_b64 s[52:53], s[42:43], 3
	s_mov_b32 s43, s21
	s_add_nc_u64 s[52:53], s[2:3], s[52:53]
	s_delay_alu instid0(SALU_CYCLE_1) | instskip(SKIP_2) | instid1(VALU_DEP_1)
	s_add_nc_u64 s[52:53], s[52:53], 0x298
	s_wait_loadcnt 0x0
	v_ashrrev_i32_e32 v7, 31, v6
	v_mul_u64_e32 v[10:11], s[22:23], v[6:7]
	v_mov_b64_e32 v[6:7], 0
	s_branch .LBB85_54
.LBB85_53:                              ;   in Loop: Header=BB85_54 Depth=1
	s_or_b32 exec_lo, exec_lo, s0
	s_delay_alu instid0(VALU_DEP_1)
	v_mul_u64_e32 v[16:17], s[54:55], v[12:13]
	s_load_b64 s[54:55], s[52:53], 0x40
	s_add_co_i32 s43, s43, -1
	s_wait_xcnt 0x0
	s_add_nc_u64 s[52:53], s[52:53], -8
	s_cmp_lg_u32 s43, 0
	s_delay_alu instid0(VALU_DEP_1) | instskip(SKIP_1) | instid1(VALU_DEP_1)
	v_sub_nc_u64_e32 v[10:11], v[10:11], v[16:17]
	s_wait_kmcnt 0x0
	v_mad_nc_u64_u32 v[6:7], v10, s54, v[6:7]
	s_delay_alu instid0(VALU_DEP_1) | instskip(NEXT) | instid1(VALU_DEP_1)
	v_mad_u32 v1, v11, s54, v7
	v_mad_u32 v7, v10, s55, v1
	v_mov_b64_e32 v[10:11], v[12:13]
	s_cbranch_scc0 .LBB85_58
.LBB85_54:                              ; =>This Inner Loop Header: Depth=1
	s_load_b64 s[54:55], s[52:53], 0x0
                                        ; implicit-def: $vgpr12_vgpr13
	s_mov_b32 s0, exec_lo
	s_wait_kmcnt 0x0
	s_delay_alu instid0(VALU_DEP_1) | instskip(NEXT) | instid1(VALU_DEP_1)
	v_or_b32_e32 v9, s55, v11
	v_cmpx_ne_u64_e32 0, v[8:9]
	s_xor_b32 s81, exec_lo, s0
	s_cbranch_execz .LBB85_56
; %bb.55:                               ;   in Loop: Header=BB85_54 Depth=1
	s_ashr_i32 s56, s55, 31
	v_dual_mov_b32 v19, v8 :: v_dual_ashrrev_i32 v12, 31, v11
	s_mov_b32 s57, s56
	v_mov_b32_e32 v23, v8
	s_add_nc_u64 s[58:59], s[54:55], s[56:57]
	s_delay_alu instid0(VALU_DEP_2)
	v_mov_b32_e32 v13, v12
	s_xor_b64 s[58:59], s[58:59], s[56:57]
	v_mov_b32_e32 v27, v8
	s_cvt_f32_u32 s0, s58
	s_cvt_f32_u32 s48, s59
	s_sub_nc_u64 s[86:87], 0, s[58:59]
	v_add_nc_u64_e32 v[16:17], v[10:11], v[12:13]
	s_delay_alu instid0(SALU_CYCLE_1) | instskip(NEXT) | instid1(SALU_CYCLE_3)
	s_fmamk_f32 s0, s48, 0x4f800000, s0
	v_s_rcp_f32 s0, s0
	s_delay_alu instid0(VALU_DEP_1) | instskip(NEXT) | instid1(VALU_DEP_2)
	v_xor_b32_e32 v22, v17, v12
	v_xor_b32_e32 v18, v16, v12
	s_delay_alu instid0(TRANS32_DEP_1) | instskip(NEXT) | instid1(SALU_CYCLE_3)
	s_mul_f32 s0, s0, 0x5f7ffffc
	s_mul_f32 s48, s0, 0x2f800000
	s_delay_alu instid0(SALU_CYCLE_3) | instskip(NEXT) | instid1(SALU_CYCLE_3)
	s_trunc_f32 s48, s48
	s_fmamk_f32 s0, s48, 0xcf800000, s0
	s_cvt_u32_f32 s85, s48
	s_delay_alu instid0(SALU_CYCLE_2) | instskip(NEXT) | instid1(SALU_CYCLE_3)
	s_cvt_u32_f32 s84, s0
	s_mul_u64 s[88:89], s[86:87], s[84:85]
	s_delay_alu instid0(SALU_CYCLE_1)
	s_mul_hi_u32 s91, s84, s89
	s_mul_i32 s90, s84, s89
	s_mul_hi_u32 s48, s84, s88
	s_mul_i32 s57, s85, s88
	s_add_nc_u64 s[90:91], s[48:49], s[90:91]
	s_mul_hi_u32 s0, s85, s88
	s_mul_hi_u32 s83, s85, s89
	s_add_co_u32 s48, s90, s57
	s_add_co_ci_u32 s48, s91, s0
	s_mul_i32 s88, s85, s89
	s_add_co_ci_u32 s89, s83, 0
	s_delay_alu instid0(SALU_CYCLE_1) | instskip(NEXT) | instid1(SALU_CYCLE_1)
	s_add_nc_u64 s[88:89], s[48:49], s[88:89]
	s_add_co_u32 s84, s84, s88
	s_cselect_b32 s0, -1, 0
	s_delay_alu instid0(SALU_CYCLE_1) | instskip(SKIP_1) | instid1(SALU_CYCLE_1)
	s_cmp_lg_u32 s0, 0
	s_add_co_ci_u32 s85, s85, s89
	s_mul_u64 s[86:87], s[86:87], s[84:85]
	s_delay_alu instid0(SALU_CYCLE_1)
	s_mul_hi_u32 s89, s84, s87
	s_mul_i32 s88, s84, s87
	s_mul_hi_u32 s48, s84, s86
	s_mul_i32 s57, s85, s86
	s_add_nc_u64 s[88:89], s[48:49], s[88:89]
	s_mul_hi_u32 s0, s85, s86
	s_mul_hi_u32 s83, s85, s87
	s_add_co_u32 s48, s88, s57
	s_add_co_ci_u32 s48, s89, s0
	s_mul_i32 s86, s85, s87
	s_add_co_ci_u32 s87, s83, 0
	s_delay_alu instid0(SALU_CYCLE_1) | instskip(NEXT) | instid1(SALU_CYCLE_1)
	s_add_nc_u64 s[86:87], s[48:49], s[86:87]
	s_add_co_u32 s0, s84, s86
	s_cselect_b32 s48, -1, 0
	v_mul_hi_u32 v26, v18, s0
	s_cmp_lg_u32 s48, 0
	s_add_co_ci_u32 s48, s85, s87
	s_and_b64 s[84:85], s[0:1], s[50:51]
	v_mul_u64_e32 v[20:21], s[48:49], v[18:19]
	v_mul_u64_e32 v[16:17], s[84:85], v[22:23]
	;; [unrolled: 1-line block ×3, first 2 shown]
	s_delay_alu instid0(VALU_DEP_3) | instskip(NEXT) | instid1(VALU_DEP_1)
	v_add_nc_u64_e32 v[20:21], v[26:27], v[20:21]
	v_add_co_u32 v1, vcc_lo, v20, v16
	s_delay_alu instid0(VALU_DEP_2) | instskip(NEXT) | instid1(VALU_DEP_4)
	v_add_co_ci_u32_e32 v26, vcc_lo, v21, v17, vcc_lo
	v_add_co_ci_u32_e32 v25, vcc_lo, 0, v25, vcc_lo
	s_delay_alu instid0(VALU_DEP_1) | instskip(NEXT) | instid1(VALU_DEP_1)
	v_add_nc_u64_e32 v[16:17], v[26:27], v[24:25]
	v_mul_u64_e32 v[20:21], s[58:59], v[16:17]
	s_delay_alu instid0(VALU_DEP_1) | instskip(NEXT) | instid1(VALU_DEP_2)
	v_sub_nc_u32_e32 v1, v22, v21
	v_sub_co_u32 v3, vcc_lo, v18, v20
	s_delay_alu instid0(VALU_DEP_1) | instskip(NEXT) | instid1(VALU_DEP_3)
	v_sub_co_ci_u32_e64 v9, null, v22, v21, vcc_lo
	v_subrev_co_ci_u32_e64 v1, null, s59, v1, vcc_lo
	s_delay_alu instid0(VALU_DEP_3) | instskip(SKIP_1) | instid1(VALU_DEP_3)
	v_sub_co_u32 v5, s0, v3, s58
	v_add_nc_u64_e32 v[18:19], 2, v[16:17]
	v_subrev_co_ci_u32_e64 v1, null, 0, v1, s0
	s_delay_alu instid0(VALU_DEP_3) | instskip(SKIP_2) | instid1(VALU_DEP_4)
	v_cmp_le_u32_e32 vcc_lo, s58, v5
	v_add_nc_u64_e32 v[20:21], 1, v[16:17]
	v_cndmask_b32_e64 v5, 0, -1, vcc_lo
	v_cmp_le_u32_e32 vcc_lo, s59, v1
	v_cndmask_b32_e64 v13, 0, -1, vcc_lo
	v_cmp_le_u32_e32 vcc_lo, s58, v3
	;; [unrolled: 2-line block ×3, first 2 shown]
	v_cndmask_b32_e64 v15, 0, -1, vcc_lo
	v_cmp_eq_u32_e32 vcc_lo, s59, v1
	v_cndmask_b32_e32 v1, v13, v5, vcc_lo
	v_cmp_eq_u32_e32 vcc_lo, s59, v9
	s_delay_alu instid0(VALU_DEP_4) | instskip(NEXT) | instid1(VALU_DEP_3)
	v_cndmask_b32_e32 v3, v15, v3, vcc_lo
	v_cmp_ne_u32_e32 vcc_lo, 0, v1
	s_delay_alu instid0(VALU_DEP_2) | instskip(SKIP_1) | instid1(VALU_DEP_1)
	v_cmp_ne_u32_e64 s0, 0, v3
	v_dual_cndmask_b32 v1, v21, v19, vcc_lo :: v_dual_cndmask_b32 v3, v20, v18, vcc_lo
	v_dual_cndmask_b32 v1, v17, v1, s0 :: v_dual_bitop2_b32 v12, s56, v12 bitop3:0x14
	s_delay_alu instid0(VALU_DEP_1) | instskip(NEXT) | instid1(VALU_DEP_1)
	v_dual_cndmask_b32 v3, v16, v3, s0 :: v_dual_bitop2_b32 v17, v1, v12 bitop3:0x14
	v_dual_mov_b32 v13, v12 :: v_dual_bitop2_b32 v16, v3, v12 bitop3:0x14
	s_delay_alu instid0(VALU_DEP_1)
	v_sub_nc_u64_e32 v[12:13], v[16:17], v[12:13]
.LBB85_56:                              ;   in Loop: Header=BB85_54 Depth=1
	s_and_not1_saveexec_b32 s0, s81
	s_cbranch_execz .LBB85_53
; %bb.57:                               ;   in Loop: Header=BB85_54 Depth=1
	v_cvt_f32_u32_e32 v1, s54
	s_sub_co_i32 s48, 0, s54
	v_mov_b32_e32 v13, v8
	s_delay_alu instid0(VALU_DEP_2) | instskip(SKIP_1) | instid1(TRANS32_DEP_1)
	v_rcp_iflag_f32_e32 v1, v1
	v_nop
	v_mul_f32_e32 v1, 0x4f7ffffe, v1
	s_delay_alu instid0(VALU_DEP_1) | instskip(NEXT) | instid1(VALU_DEP_1)
	v_cvt_u32_f32_e32 v1, v1
	v_mul_lo_u32 v3, s48, v1
	s_delay_alu instid0(VALU_DEP_1) | instskip(NEXT) | instid1(VALU_DEP_1)
	v_mul_hi_u32 v3, v1, v3
	v_add_nc_u32_e32 v1, v1, v3
	s_delay_alu instid0(VALU_DEP_1) | instskip(NEXT) | instid1(VALU_DEP_1)
	v_mul_hi_u32 v1, v10, v1
	v_mul_lo_u32 v3, v1, s54
	s_delay_alu instid0(VALU_DEP_1) | instskip(NEXT) | instid1(VALU_DEP_1)
	v_dual_add_nc_u32 v5, 1, v1 :: v_dual_sub_nc_u32 v3, v10, v3
	v_subrev_nc_u32_e32 v9, s54, v3
	v_cmp_le_u32_e32 vcc_lo, s54, v3
	s_delay_alu instid0(VALU_DEP_2) | instskip(NEXT) | instid1(VALU_DEP_4)
	v_cndmask_b32_e32 v3, v3, v9, vcc_lo
	v_cndmask_b32_e32 v1, v1, v5, vcc_lo
	s_delay_alu instid0(VALU_DEP_2) | instskip(NEXT) | instid1(VALU_DEP_2)
	v_cmp_le_u32_e32 vcc_lo, s54, v3
	v_add_nc_u32_e32 v5, 1, v1
	s_delay_alu instid0(VALU_DEP_1)
	v_cndmask_b32_e32 v12, v1, v5, vcc_lo
	s_branch .LBB85_53
.LBB85_58:
	s_mov_b32 s49, -1
	s_mov_b32 s43, s71
	s_mov_b32 s0, exec_lo
	v_cmpx_gt_i32_e64 v2, v4
	s_cbranch_execz .LBB85_64
; %bb.59:
	s_delay_alu instid0(VALU_DEP_2) | instskip(SKIP_3) | instid1(VALU_DEP_1)
	v_lshlrev_b64_e32 v[6:7], 2, v[6:7]
	v_dual_ashrrev_i32 v5, 31, v4 :: v_dual_ashrrev_i32 v3, 31, v2
	s_mov_b32 s43, 0
	s_xor_b32 s49, s37, -1
                                        ; implicit-def: $sgpr48
                                        ; implicit-def: $sgpr51
                                        ; implicit-def: $sgpr50
	v_lshl_add_u64 v[4:5], v[4:5], 2, v[6:7]
	v_add_nc_u64_e32 v[6:7], s[40:41], v[6:7]
	s_delay_alu instid0(VALU_DEP_2) | instskip(NEXT) | instid1(VALU_DEP_2)
	v_add_nc_u64_e32 v[4:5], s[40:41], v[4:5]
	v_lshl_add_u64 v[2:3], v[2:3], 2, v[6:7]
	s_delay_alu instid0(VALU_DEP_2)
	v_add_nc_u64_e32 v[4:5], 4, v[4:5]
	s_branch .LBB85_61
.LBB85_60:                              ;   in Loop: Header=BB85_61 Depth=1
	s_or_b32 exec_lo, exec_lo, s52
	s_delay_alu instid0(SALU_CYCLE_1) | instskip(NEXT) | instid1(SALU_CYCLE_1)
	s_and_b32 s52, exec_lo, s51
	s_or_b32 s43, s52, s43
	s_and_not1_b32 s48, s48, exec_lo
	s_and_b32 s52, s50, exec_lo
	s_delay_alu instid0(SALU_CYCLE_1)
	s_or_b32 s48, s48, s52
	s_and_not1_b32 exec_lo, exec_lo, s43
	s_cbranch_execz .LBB85_63
.LBB85_61:                              ; =>This Inner Loop Header: Depth=1
	s_or_b32 s50, s50, exec_lo
	s_or_b32 s51, s51, exec_lo
	s_mov_b32 s52, exec_lo
	s_delay_alu instid0(VALU_DEP_1)
	v_cmpx_lt_u64_e64 v[4:5], v[2:3]
	s_cbranch_execz .LBB85_60
; %bb.62:                               ;   in Loop: Header=BB85_61 Depth=1
	global_load_b64 v[6:7], v[4:5], off offset:-4
	s_wait_xcnt 0x0
	v_add_nc_u64_e32 v[4:5], 4, v[4:5]
	s_and_not1_b32 s51, s51, exec_lo
	s_and_not1_b32 s50, s50, exec_lo
	s_wait_loadcnt 0x0
	v_cmp_ge_i32_e32 vcc_lo, v6, v7
	s_or_b32 s53, s49, vcc_lo
	s_delay_alu instid0(SALU_CYCLE_1) | instskip(NEXT) | instid1(SALU_CYCLE_1)
	s_and_b32 s53, s53, exec_lo
	s_or_b32 s51, s51, s53
	s_branch .LBB85_60
.LBB85_63:
	s_or_b32 exec_lo, exec_lo, s43
	s_delay_alu instid0(SALU_CYCLE_1)
	s_or_b32 s43, s71, exec_lo
	s_or_not1_b32 s49, s48, exec_lo
.LBB85_64:
	s_or_b32 exec_lo, exec_lo, s0
	s_mov_b32 s48, 0
	s_and_saveexec_b32 s0, s49
	s_cbranch_execz .LBB85_66
; %bb.65:
	v_dual_mov_b32 v1, 0 :: v_dual_add_nc_u32 v0, 0x80, v0
	s_mov_b32 s48, exec_lo
	s_and_not1_b32 s43, s43, exec_lo
	global_store_b32 v14, v1, s[4:5]
.LBB85_66:
	s_wait_xcnt 0x0
	s_or_b32 exec_lo, exec_lo, s0
	s_delay_alu instid0(SALU_CYCLE_1)
	s_and_not1_b32 s0, s71, exec_lo
	s_and_b32 s43, s43, exec_lo
	s_and_b32 s48, s48, exec_lo
	s_or_b32 s43, s0, s43
	s_xor_b32 s0, exec_lo, -1
.LBB85_67:
	s_or_b32 exec_lo, exec_lo, s80
	s_delay_alu instid0(SALU_CYCLE_1)
	s_and_not1_b32 s49, s71, exec_lo
	s_and_b32 s43, s43, exec_lo
	s_and_not1_b32 s50, s74, exec_lo
	s_and_b32 s0, s0, exec_lo
	s_or_b32 s49, s49, s43
	s_or_b32 s50, s50, s0
	s_xor_b32 s43, exec_lo, -1
	s_and_b32 s0, s48, exec_lo
.LBB85_68:
	s_or_b32 exec_lo, exec_lo, s79
	s_delay_alu instid0(SALU_CYCLE_1)
	s_and_not1_b32 s48, s71, exec_lo
	s_and_b32 s49, s49, exec_lo
	s_and_b32 s50, s50, exec_lo
	s_or_b32 s49, s48, s49
	s_and_not1_b32 s48, s74, exec_lo
	s_and_not1_b32 s51, s75, exec_lo
	s_and_b32 s43, s43, exec_lo
	s_or_b32 s50, s48, s50
	s_or_b32 s48, s51, s43
	s_xor_b32 s43, exec_lo, -1
	s_and_b32 s0, s0, exec_lo
.LBB85_69:
	s_or_b32 exec_lo, exec_lo, s78
	s_delay_alu instid0(SALU_CYCLE_1)
	s_and_not1_b32 s51, s71, exec_lo
	s_and_b32 s49, s49, exec_lo
	s_and_not1_b32 s52, s74, exec_lo
	s_and_b32 s50, s50, exec_lo
	s_or_b32 s79, s51, s49
	s_or_b32 s80, s52, s50
	s_and_not1_b32 s49, s75, exec_lo
	s_and_b32 s48, s48, exec_lo
	s_and_not1_b32 s50, s76, exec_lo
	s_and_b32 s43, s43, exec_lo
	s_or_b32 s81, s49, s48
	s_or_b32 s78, s50, s43
	s_or_not1_b32 s43, s0, exec_lo
.LBB85_70:
	s_or_b32 exec_lo, exec_lo, s82
	s_mov_b32 s0, 0
                                        ; implicit-def: $vgpr12
                                        ; implicit-def: $vgpr4
                                        ; implicit-def: $vgpr7
                                        ; implicit-def: $vgpr6
                                        ; implicit-def: $vgpr5
	s_and_saveexec_b32 s82, s43
	s_cbranch_execz .LBB85_123
; %bb.71:
	s_mov_b32 s49, -1
	s_mov_b32 s0, s78
	s_mov_b32 s52, s81
	;; [unrolled: 1-line block ×4, first 2 shown]
	s_mov_b32 s83, exec_lo
	v_cmpx_gt_i32_e64 s72, v0
	s_cbranch_execz .LBB85_106
; %bb.72:
	s_and_not1_b32 vcc_lo, exec_lo, s62
	s_cbranch_vccnz .LBB85_78
; %bb.73:
	s_and_not1_b32 vcc_lo, exec_lo, s73
	s_cbranch_vccnz .LBB85_79
; %bb.74:
	v_dual_mov_b32 v6, 0 :: v_dual_mov_b32 v1, v0
	v_dual_mov_b32 v5, 0 :: v_dual_mov_b32 v7, 0
	;; [unrolled: 1-line block ×3, first 2 shown]
	v_mov_b32_e32 v8, 0
	s_add_co_i32 s0, s70, 1
	s_mov_b64 s[48:49], 0xffffffffffffffd0
	s_and_b32 s0, s0, 30
	s_add_nc_u64 s[48:49], s[2:3], s[48:49]
	s_mov_b64 s[50:51], s[2:3]
.LBB85_75:                              ; =>This Inner Loop Header: Depth=1
	s_clause 0x1
	s_load_b128 s[84:87], s[50:51], 0x4
	s_load_b64 s[92:93], s[50:51], 0x14
	s_clause 0x1
	s_load_b256 s[52:59], s[48:49], 0xf4
	s_load_b128 s[88:91], s[48:49], 0x114
	s_add_co_i32 s0, s0, -2
	s_wait_xcnt 0x0
	s_add_nc_u64 s[50:51], s[50:51], 24
	s_cmp_eq_u32 s0, 0
	s_add_nc_u64 s[48:49], s[48:49], 48
	s_wait_kmcnt 0x0
	v_mul_hi_u32 v2, s85, v1
	s_delay_alu instid0(VALU_DEP_1) | instskip(NEXT) | instid1(VALU_DEP_1)
	v_add_nc_u32_e32 v2, v1, v2
	v_lshrrev_b32_e32 v2, s86, v2
	s_delay_alu instid0(VALU_DEP_1) | instskip(SKIP_1) | instid1(VALU_DEP_1)
	v_mul_hi_u32 v3, s92, v2
	v_mul_lo_u32 v9, v2, s84
	v_dual_add_nc_u32 v3, v2, v3 :: v_dual_sub_nc_u32 v9, v1, v9
	s_delay_alu instid0(VALU_DEP_1) | instskip(NEXT) | instid1(VALU_DEP_2)
	v_lshrrev_b32_e32 v1, s93, v3
	v_mad_u32 v3, v9, s53, v8
	v_mad_u32 v10, v9, s52, v14
	;; [unrolled: 1-line block ×4, first 2 shown]
	v_mul_lo_u32 v8, v1, s87
	v_mad_u32 v5, s57, v9, v5
	v_mad_u32 v6, s56, v9, v6
	s_delay_alu instid0(VALU_DEP_3) | instskip(NEXT) | instid1(VALU_DEP_1)
	v_sub_nc_u32_e32 v2, v2, v8
	v_mad_u32 v8, v2, s59, v3
	v_mad_u32 v14, v2, s58, v10
	;; [unrolled: 1-line block ×6, first 2 shown]
	s_cbranch_scc0 .LBB85_75
; %bb.76:
	s_bitcmp1_b32 s70, 0
	s_cselect_b32 s0, -1, 0
	s_delay_alu instid0(SALU_CYCLE_1)
	s_and_b32 vcc_lo, exec_lo, s0
	s_cbranch_vccnz .LBB85_80
; %bb.77:
	s_load_b96 s[56:58], s[50:51], 0x4
	s_load_b128 s[52:55], s[48:49], 0xf4
	s_wait_xcnt 0x0
	s_load_b64 s[50:51], s[48:49], 0x104
	s_wait_kmcnt 0x0
	v_mul_hi_u32 v2, s57, v1
	s_delay_alu instid0(VALU_DEP_1) | instskip(NEXT) | instid1(VALU_DEP_1)
	v_add_nc_u32_e32 v2, v1, v2
	v_lshrrev_b32_e32 v2, s58, v2
	s_delay_alu instid0(VALU_DEP_1) | instskip(NEXT) | instid1(VALU_DEP_1)
	v_mul_lo_u32 v2, v2, s56
	v_sub_nc_u32_e32 v1, v1, v2
	s_delay_alu instid0(VALU_DEP_1)
	v_mad_u32 v14, v1, s52, v14
	v_mad_u32 v8, v1, s53, v8
	;; [unrolled: 1-line block ×6, first 2 shown]
	s_branch .LBB85_80
.LBB85_78:
	s_mov_b32 s0, -1
                                        ; implicit-def: $vgpr8
                                        ; implicit-def: $vgpr14
                                        ; implicit-def: $vgpr4
                                        ; implicit-def: $vgpr7
                                        ; implicit-def: $vgpr5
                                        ; implicit-def: $vgpr6
	s_branch .LBB85_81
.LBB85_79:
	v_dual_mov_b32 v8, 0 :: v_dual_mov_b32 v14, 0
	v_dual_mov_b32 v4, 0 :: v_dual_mov_b32 v7, 0
	;; [unrolled: 1-line block ×3, first 2 shown]
.LBB85_80:
	s_mov_b32 s0, 0
.LBB85_81:
	s_delay_alu instid0(SALU_CYCLE_1)
	s_and_not1_b32 vcc_lo, exec_lo, s0
	s_cbranch_vccnz .LBB85_84
; %bb.82:
	v_mov_b32_e32 v1, 0
	s_and_not1_b32 vcc_lo, exec_lo, s69
	s_delay_alu instid0(VALU_DEP_1) | instskip(NEXT) | instid1(VALU_DEP_1)
	v_mul_u64_e32 v[2:3], s[44:45], v[0:1]
	v_add_nc_u32_e32 v2, v0, v3
	s_delay_alu instid0(VALU_DEP_1) | instskip(NEXT) | instid1(VALU_DEP_1)
	v_lshrrev_b32_e32 v2, s38, v2
	v_mul_lo_u32 v3, v2, s36
	s_delay_alu instid0(VALU_DEP_1) | instskip(NEXT) | instid1(VALU_DEP_1)
	v_sub_nc_u32_e32 v3, v0, v3
	v_mul_lo_u32 v8, v3, s13
	v_mul_lo_u32 v14, v3, s12
	;; [unrolled: 1-line block ×6, first 2 shown]
	s_cbranch_vccnz .LBB85_84
; %bb.83:
	v_mov_b32_e32 v3, v1
	s_delay_alu instid0(VALU_DEP_1) | instskip(NEXT) | instid1(VALU_DEP_1)
	v_mul_u64_e32 v[10:11], s[46:47], v[2:3]
	v_add_nc_u32_e32 v1, v2, v11
	s_delay_alu instid0(VALU_DEP_1) | instskip(NEXT) | instid1(VALU_DEP_1)
	v_lshrrev_b32_e32 v1, s1, v1
	v_mul_lo_u32 v1, v1, s39
	s_delay_alu instid0(VALU_DEP_1) | instskip(NEXT) | instid1(VALU_DEP_1)
	v_sub_nc_u32_e32 v1, v2, v1
	v_mad_u32 v14, v1, s18, v14
	v_mad_u32 v8, v1, s19, v8
	;; [unrolled: 1-line block ×6, first 2 shown]
.LBB85_84:
	global_load_b32 v1, v8, s[6:7]
	s_mov_b32 s48, 0
	s_mov_b32 s0, -1
	s_mov_b32 s49, s81
	s_mov_b32 s51, s80
	;; [unrolled: 1-line block ×3, first 2 shown]
	s_wait_loadcnt 0x0
	v_cmp_eq_u32_e32 vcc_lo, s65, v1
	s_and_b32 s43, s68, vcc_lo
	s_wait_xcnt 0x0
	s_and_saveexec_b32 s84, s43
	s_cbranch_execz .LBB85_105
; %bb.85:
	global_load_b32 v1, v7, s[8:9]
	s_mov_b32 s43, 0
	s_mov_b32 s48, s80
	;; [unrolled: 1-line block ×3, first 2 shown]
	s_wait_loadcnt 0x0
	v_cmp_eq_u32_e32 vcc_lo, s22, v1
	s_and_b32 s50, s67, vcc_lo
	s_wait_xcnt 0x0
	s_and_saveexec_b32 s85, s50
	s_cbranch_execz .LBB85_104
; %bb.86:
	global_load_b32 v4, v4, s[10:11]
	global_load_b32 v2, v6, s[24:25]
	s_mov_b32 s49, s79
	s_wait_loadcnt 0x0
	v_sub_nc_u32_e32 v1, v2, v4
	s_delay_alu instid0(VALU_DEP_1)
	v_cmp_le_i32_e32 vcc_lo, s65, v1
	v_cmp_ge_i32_e64 s0, s20, v1
	s_and_b32 s48, vcc_lo, s0
	s_mov_b32 s0, -1
	s_and_b32 s48, s66, s48
	s_wait_xcnt 0x0
	s_and_saveexec_b32 s86, s48
	s_cbranch_execz .LBB85_103
; %bb.87:
	v_mov_b64_e32 v[6:7], 0
	s_and_not1_b32 vcc_lo, exec_lo, s64
	s_cbranch_vccnz .LBB85_94
; %bb.88:
	global_load_b32 v6, v5, s[26:27]
	s_mov_b32 s49, 0
	s_mov_b64 s[50:51], 0xffffffff
	s_mov_b32 s43, s49
	v_mov_b32_e32 v8, 0
	s_lshl_b64 s[52:53], s[42:43], 3
	s_mov_b32 s43, s21
	s_add_nc_u64 s[52:53], s[2:3], s[52:53]
	s_delay_alu instid0(SALU_CYCLE_1) | instskip(SKIP_2) | instid1(VALU_DEP_1)
	s_add_nc_u64 s[52:53], s[52:53], 0x298
	s_wait_loadcnt 0x0
	v_ashrrev_i32_e32 v7, 31, v6
	v_mul_u64_e32 v[10:11], s[22:23], v[6:7]
	v_mov_b64_e32 v[6:7], 0
	s_branch .LBB85_90
.LBB85_89:                              ;   in Loop: Header=BB85_90 Depth=1
	s_or_b32 exec_lo, exec_lo, s0
	s_delay_alu instid0(VALU_DEP_1)
	v_mul_u64_e32 v[16:17], s[54:55], v[12:13]
	s_load_b64 s[54:55], s[52:53], 0x40
	s_add_co_i32 s43, s43, -1
	s_wait_xcnt 0x0
	s_add_nc_u64 s[52:53], s[52:53], -8
	s_cmp_lg_u32 s43, 0
	s_delay_alu instid0(VALU_DEP_1) | instskip(SKIP_1) | instid1(VALU_DEP_1)
	v_sub_nc_u64_e32 v[10:11], v[10:11], v[16:17]
	s_wait_kmcnt 0x0
	v_mad_nc_u64_u32 v[6:7], v10, s54, v[6:7]
	s_delay_alu instid0(VALU_DEP_1) | instskip(NEXT) | instid1(VALU_DEP_1)
	v_mad_u32 v1, v11, s54, v7
	v_mad_u32 v7, v10, s55, v1
	v_mov_b64_e32 v[10:11], v[12:13]
	s_cbranch_scc0 .LBB85_94
.LBB85_90:                              ; =>This Inner Loop Header: Depth=1
	s_load_b64 s[54:55], s[52:53], 0x0
                                        ; implicit-def: $vgpr12_vgpr13
	s_mov_b32 s0, exec_lo
	s_wait_kmcnt 0x0
	s_delay_alu instid0(VALU_DEP_1) | instskip(NEXT) | instid1(VALU_DEP_1)
	v_or_b32_e32 v9, s55, v11
	v_cmpx_ne_u64_e32 0, v[8:9]
	s_xor_b32 s87, exec_lo, s0
	s_cbranch_execz .LBB85_92
; %bb.91:                               ;   in Loop: Header=BB85_90 Depth=1
	s_ashr_i32 s56, s55, 31
	v_dual_mov_b32 v19, v8 :: v_dual_ashrrev_i32 v12, 31, v11
	s_mov_b32 s57, s56
	v_mov_b32_e32 v23, v8
	s_add_nc_u64 s[58:59], s[54:55], s[56:57]
	s_delay_alu instid0(VALU_DEP_2)
	v_mov_b32_e32 v13, v12
	s_xor_b64 s[58:59], s[58:59], s[56:57]
	v_mov_b32_e32 v27, v8
	s_cvt_f32_u32 s0, s58
	s_cvt_f32_u32 s48, s59
	s_sub_nc_u64 s[90:91], 0, s[58:59]
	v_add_nc_u64_e32 v[16:17], v[10:11], v[12:13]
	s_delay_alu instid0(SALU_CYCLE_1) | instskip(NEXT) | instid1(SALU_CYCLE_3)
	s_fmamk_f32 s0, s48, 0x4f800000, s0
	v_s_rcp_f32 s0, s0
	s_delay_alu instid0(VALU_DEP_1) | instskip(NEXT) | instid1(VALU_DEP_2)
	v_xor_b32_e32 v22, v17, v12
	v_xor_b32_e32 v18, v16, v12
	s_delay_alu instid0(TRANS32_DEP_1) | instskip(NEXT) | instid1(SALU_CYCLE_3)
	s_mul_f32 s0, s0, 0x5f7ffffc
	s_mul_f32 s48, s0, 0x2f800000
	s_delay_alu instid0(SALU_CYCLE_3) | instskip(NEXT) | instid1(SALU_CYCLE_3)
	s_trunc_f32 s48, s48
	s_fmamk_f32 s0, s48, 0xcf800000, s0
	s_cvt_u32_f32 s89, s48
	s_delay_alu instid0(SALU_CYCLE_2) | instskip(NEXT) | instid1(SALU_CYCLE_3)
	s_cvt_u32_f32 s88, s0
	s_mul_u64 s[92:93], s[90:91], s[88:89]
	s_delay_alu instid0(SALU_CYCLE_1)
	s_mul_hi_u32 s95, s88, s93
	s_mul_i32 s94, s88, s93
	s_mul_hi_u32 s48, s88, s92
	s_mul_i32 s57, s89, s92
	s_add_nc_u64 s[94:95], s[48:49], s[94:95]
	s_mul_hi_u32 s0, s89, s92
	s_mul_hi_u32 s96, s89, s93
	s_add_co_u32 s48, s94, s57
	s_add_co_ci_u32 s48, s95, s0
	s_mul_i32 s92, s89, s93
	s_add_co_ci_u32 s93, s96, 0
	s_delay_alu instid0(SALU_CYCLE_1) | instskip(NEXT) | instid1(SALU_CYCLE_1)
	s_add_nc_u64 s[92:93], s[48:49], s[92:93]
	s_add_co_u32 s88, s88, s92
	s_cselect_b32 s0, -1, 0
	s_delay_alu instid0(SALU_CYCLE_1) | instskip(SKIP_1) | instid1(SALU_CYCLE_1)
	s_cmp_lg_u32 s0, 0
	s_add_co_ci_u32 s89, s89, s93
	s_mul_u64 s[90:91], s[90:91], s[88:89]
	s_delay_alu instid0(SALU_CYCLE_1)
	s_mul_hi_u32 s93, s88, s91
	s_mul_i32 s92, s88, s91
	s_mul_hi_u32 s48, s88, s90
	s_mul_i32 s57, s89, s90
	s_add_nc_u64 s[92:93], s[48:49], s[92:93]
	s_mul_hi_u32 s0, s89, s90
	s_mul_hi_u32 s94, s89, s91
	s_add_co_u32 s48, s92, s57
	s_add_co_ci_u32 s48, s93, s0
	s_mul_i32 s90, s89, s91
	s_add_co_ci_u32 s91, s94, 0
	s_delay_alu instid0(SALU_CYCLE_1) | instskip(NEXT) | instid1(SALU_CYCLE_1)
	s_add_nc_u64 s[90:91], s[48:49], s[90:91]
	s_add_co_u32 s0, s88, s90
	s_cselect_b32 s48, -1, 0
	v_mul_hi_u32 v26, v18, s0
	s_cmp_lg_u32 s48, 0
	s_add_co_ci_u32 s48, s89, s91
	s_and_b64 s[88:89], s[0:1], s[50:51]
	v_mul_u64_e32 v[20:21], s[48:49], v[18:19]
	v_mul_u64_e32 v[16:17], s[88:89], v[22:23]
	;; [unrolled: 1-line block ×3, first 2 shown]
	s_delay_alu instid0(VALU_DEP_3) | instskip(NEXT) | instid1(VALU_DEP_1)
	v_add_nc_u64_e32 v[20:21], v[26:27], v[20:21]
	v_add_co_u32 v1, vcc_lo, v20, v16
	s_delay_alu instid0(VALU_DEP_2) | instskip(NEXT) | instid1(VALU_DEP_4)
	v_add_co_ci_u32_e32 v26, vcc_lo, v21, v17, vcc_lo
	v_add_co_ci_u32_e32 v25, vcc_lo, 0, v25, vcc_lo
	s_delay_alu instid0(VALU_DEP_1) | instskip(NEXT) | instid1(VALU_DEP_1)
	v_add_nc_u64_e32 v[16:17], v[26:27], v[24:25]
	v_mul_u64_e32 v[20:21], s[58:59], v[16:17]
	s_delay_alu instid0(VALU_DEP_1) | instskip(NEXT) | instid1(VALU_DEP_2)
	v_sub_nc_u32_e32 v1, v22, v21
	v_sub_co_u32 v3, vcc_lo, v18, v20
	s_delay_alu instid0(VALU_DEP_1) | instskip(NEXT) | instid1(VALU_DEP_3)
	v_sub_co_ci_u32_e64 v9, null, v22, v21, vcc_lo
	v_subrev_co_ci_u32_e64 v1, null, s59, v1, vcc_lo
	s_delay_alu instid0(VALU_DEP_3) | instskip(SKIP_1) | instid1(VALU_DEP_3)
	v_sub_co_u32 v5, s0, v3, s58
	v_add_nc_u64_e32 v[18:19], 2, v[16:17]
	v_subrev_co_ci_u32_e64 v1, null, 0, v1, s0
	s_delay_alu instid0(VALU_DEP_3) | instskip(SKIP_2) | instid1(VALU_DEP_4)
	v_cmp_le_u32_e32 vcc_lo, s58, v5
	v_add_nc_u64_e32 v[20:21], 1, v[16:17]
	v_cndmask_b32_e64 v5, 0, -1, vcc_lo
	v_cmp_le_u32_e32 vcc_lo, s59, v1
	v_cndmask_b32_e64 v13, 0, -1, vcc_lo
	v_cmp_le_u32_e32 vcc_lo, s58, v3
	;; [unrolled: 2-line block ×3, first 2 shown]
	v_cndmask_b32_e64 v15, 0, -1, vcc_lo
	v_cmp_eq_u32_e32 vcc_lo, s59, v1
	v_cndmask_b32_e32 v1, v13, v5, vcc_lo
	v_cmp_eq_u32_e32 vcc_lo, s59, v9
	s_delay_alu instid0(VALU_DEP_4) | instskip(NEXT) | instid1(VALU_DEP_3)
	v_cndmask_b32_e32 v3, v15, v3, vcc_lo
	v_cmp_ne_u32_e32 vcc_lo, 0, v1
	s_delay_alu instid0(VALU_DEP_2) | instskip(SKIP_1) | instid1(VALU_DEP_1)
	v_cmp_ne_u32_e64 s0, 0, v3
	v_dual_cndmask_b32 v1, v21, v19, vcc_lo :: v_dual_cndmask_b32 v3, v20, v18, vcc_lo
	v_dual_cndmask_b32 v1, v17, v1, s0 :: v_dual_bitop2_b32 v12, s56, v12 bitop3:0x14
	s_delay_alu instid0(VALU_DEP_1) | instskip(NEXT) | instid1(VALU_DEP_1)
	v_dual_cndmask_b32 v3, v16, v3, s0 :: v_dual_bitop2_b32 v17, v1, v12 bitop3:0x14
	v_dual_mov_b32 v13, v12 :: v_dual_bitop2_b32 v16, v3, v12 bitop3:0x14
	s_delay_alu instid0(VALU_DEP_1)
	v_sub_nc_u64_e32 v[12:13], v[16:17], v[12:13]
.LBB85_92:                              ;   in Loop: Header=BB85_90 Depth=1
	s_and_not1_saveexec_b32 s0, s87
	s_cbranch_execz .LBB85_89
; %bb.93:                               ;   in Loop: Header=BB85_90 Depth=1
	v_cvt_f32_u32_e32 v1, s54
	s_sub_co_i32 s48, 0, s54
	v_mov_b32_e32 v13, v8
	s_delay_alu instid0(VALU_DEP_2) | instskip(SKIP_1) | instid1(TRANS32_DEP_1)
	v_rcp_iflag_f32_e32 v1, v1
	v_nop
	v_mul_f32_e32 v1, 0x4f7ffffe, v1
	s_delay_alu instid0(VALU_DEP_1) | instskip(NEXT) | instid1(VALU_DEP_1)
	v_cvt_u32_f32_e32 v1, v1
	v_mul_lo_u32 v3, s48, v1
	s_delay_alu instid0(VALU_DEP_1) | instskip(NEXT) | instid1(VALU_DEP_1)
	v_mul_hi_u32 v3, v1, v3
	v_add_nc_u32_e32 v1, v1, v3
	s_delay_alu instid0(VALU_DEP_1) | instskip(NEXT) | instid1(VALU_DEP_1)
	v_mul_hi_u32 v1, v10, v1
	v_mul_lo_u32 v3, v1, s54
	s_delay_alu instid0(VALU_DEP_1) | instskip(NEXT) | instid1(VALU_DEP_1)
	v_dual_add_nc_u32 v5, 1, v1 :: v_dual_sub_nc_u32 v3, v10, v3
	v_subrev_nc_u32_e32 v9, s54, v3
	v_cmp_le_u32_e32 vcc_lo, s54, v3
	s_delay_alu instid0(VALU_DEP_2) | instskip(NEXT) | instid1(VALU_DEP_4)
	v_cndmask_b32_e32 v3, v3, v9, vcc_lo
	v_cndmask_b32_e32 v1, v1, v5, vcc_lo
	s_delay_alu instid0(VALU_DEP_2) | instskip(NEXT) | instid1(VALU_DEP_2)
	v_cmp_le_u32_e32 vcc_lo, s54, v3
	v_add_nc_u32_e32 v5, 1, v1
	s_delay_alu instid0(VALU_DEP_1)
	v_cndmask_b32_e32 v12, v1, v5, vcc_lo
	s_branch .LBB85_89
.LBB85_94:
	s_mov_b32 s49, -1
	s_mov_b32 s43, s79
	s_mov_b32 s0, exec_lo
	v_cmpx_gt_i32_e64 v2, v4
	s_cbranch_execz .LBB85_100
; %bb.95:
	s_delay_alu instid0(VALU_DEP_2) | instskip(SKIP_3) | instid1(VALU_DEP_1)
	v_lshlrev_b64_e32 v[6:7], 2, v[6:7]
	v_dual_ashrrev_i32 v5, 31, v4 :: v_dual_ashrrev_i32 v3, 31, v2
	s_mov_b32 s43, 0
	s_xor_b32 s49, s37, -1
                                        ; implicit-def: $sgpr48
                                        ; implicit-def: $sgpr51
                                        ; implicit-def: $sgpr50
	v_lshl_add_u64 v[4:5], v[4:5], 2, v[6:7]
	v_add_nc_u64_e32 v[6:7], s[40:41], v[6:7]
	s_delay_alu instid0(VALU_DEP_2) | instskip(NEXT) | instid1(VALU_DEP_2)
	v_add_nc_u64_e32 v[4:5], s[40:41], v[4:5]
	v_lshl_add_u64 v[2:3], v[2:3], 2, v[6:7]
	s_delay_alu instid0(VALU_DEP_2)
	v_add_nc_u64_e32 v[4:5], 4, v[4:5]
	s_branch .LBB85_97
.LBB85_96:                              ;   in Loop: Header=BB85_97 Depth=1
	s_or_b32 exec_lo, exec_lo, s52
	s_delay_alu instid0(SALU_CYCLE_1) | instskip(NEXT) | instid1(SALU_CYCLE_1)
	s_and_b32 s52, exec_lo, s51
	s_or_b32 s43, s52, s43
	s_and_not1_b32 s48, s48, exec_lo
	s_and_b32 s52, s50, exec_lo
	s_delay_alu instid0(SALU_CYCLE_1)
	s_or_b32 s48, s48, s52
	s_and_not1_b32 exec_lo, exec_lo, s43
	s_cbranch_execz .LBB85_99
.LBB85_97:                              ; =>This Inner Loop Header: Depth=1
	s_or_b32 s50, s50, exec_lo
	s_or_b32 s51, s51, exec_lo
	s_mov_b32 s52, exec_lo
	s_delay_alu instid0(VALU_DEP_1)
	v_cmpx_lt_u64_e64 v[4:5], v[2:3]
	s_cbranch_execz .LBB85_96
; %bb.98:                               ;   in Loop: Header=BB85_97 Depth=1
	global_load_b64 v[6:7], v[4:5], off offset:-4
	s_wait_xcnt 0x0
	v_add_nc_u64_e32 v[4:5], 4, v[4:5]
	s_and_not1_b32 s51, s51, exec_lo
	s_and_not1_b32 s50, s50, exec_lo
	s_wait_loadcnt 0x0
	v_cmp_ge_i32_e32 vcc_lo, v6, v7
	s_or_b32 s53, s49, vcc_lo
	s_delay_alu instid0(SALU_CYCLE_1) | instskip(NEXT) | instid1(SALU_CYCLE_1)
	s_and_b32 s53, s53, exec_lo
	s_or_b32 s51, s51, s53
	s_branch .LBB85_96
.LBB85_99:
	s_or_b32 exec_lo, exec_lo, s43
	s_delay_alu instid0(SALU_CYCLE_1)
	s_or_b32 s43, s79, exec_lo
	s_or_not1_b32 s49, s48, exec_lo
.LBB85_100:
	s_or_b32 exec_lo, exec_lo, s0
	s_mov_b32 s48, 0
	s_and_saveexec_b32 s0, s49
	s_cbranch_execz .LBB85_102
; %bb.101:
	v_dual_mov_b32 v1, 0 :: v_dual_add_nc_u32 v0, 0x80, v0
	s_mov_b32 s48, exec_lo
	s_and_not1_b32 s43, s43, exec_lo
	global_store_b32 v14, v1, s[4:5]
.LBB85_102:
	s_wait_xcnt 0x0
	s_or_b32 exec_lo, exec_lo, s0
	s_delay_alu instid0(SALU_CYCLE_1) | instskip(SKIP_1) | instid1(SALU_CYCLE_1)
	s_and_not1_b32 s0, s79, exec_lo
	s_and_b32 s43, s43, exec_lo
	s_or_b32 s49, s0, s43
	s_xor_b32 s0, exec_lo, -1
	s_and_b32 s43, s48, exec_lo
.LBB85_103:
	s_or_b32 exec_lo, exec_lo, s86
	s_delay_alu instid0(SALU_CYCLE_1)
	s_and_not1_b32 s48, s79, exec_lo
	s_and_b32 s49, s49, exec_lo
	s_and_not1_b32 s50, s80, exec_lo
	s_and_b32 s0, s0, exec_lo
	s_or_b32 s49, s48, s49
	s_or_b32 s48, s50, s0
	s_xor_b32 s0, exec_lo, -1
	s_and_b32 s43, s43, exec_lo
.LBB85_104:
	s_or_b32 exec_lo, exec_lo, s85
	s_delay_alu instid0(SALU_CYCLE_1)
	s_and_not1_b32 s50, s79, exec_lo
	s_and_b32 s49, s49, exec_lo
	s_and_b32 s48, s48, exec_lo
	s_or_b32 s50, s50, s49
	s_and_not1_b32 s49, s80, exec_lo
	s_and_not1_b32 s52, s81, exec_lo
	s_and_b32 s0, s0, exec_lo
	s_or_b32 s51, s49, s48
	s_or_b32 s49, s52, s0
	s_xor_b32 s0, exec_lo, -1
	s_and_b32 s48, s43, exec_lo
.LBB85_105:
	s_or_b32 exec_lo, exec_lo, s84
	s_delay_alu instid0(SALU_CYCLE_1)
	s_and_not1_b32 s43, s79, exec_lo
	s_and_b32 s50, s50, exec_lo
	s_and_not1_b32 s52, s80, exec_lo
	s_and_b32 s51, s51, exec_lo
	s_or_b32 s53, s43, s50
	s_or_b32 s43, s52, s51
	s_and_not1_b32 s50, s81, exec_lo
	s_and_b32 s49, s49, exec_lo
	s_and_not1_b32 s51, s78, exec_lo
	s_and_b32 s0, s0, exec_lo
	s_or_b32 s52, s50, s49
	s_or_b32 s0, s51, s0
	s_or_not1_b32 s49, s48, exec_lo
.LBB85_106:
	s_or_b32 exec_lo, exec_lo, s83
	s_mov_b32 s48, 0
                                        ; implicit-def: $vgpr12
                                        ; implicit-def: $vgpr4
                                        ; implicit-def: $vgpr7
                                        ; implicit-def: $vgpr6
                                        ; implicit-def: $vgpr5
	s_and_saveexec_b32 s54, s49
	s_cbranch_execz .LBB85_122
; %bb.107:
	s_mov_b32 s49, s0
	s_mov_b32 s55, exec_lo
                                        ; implicit-def: $vgpr12
                                        ; implicit-def: $vgpr4
                                        ; implicit-def: $vgpr7
                                        ; implicit-def: $vgpr6
                                        ; implicit-def: $vgpr5
	v_cmpx_gt_i32_e64 s72, v0
	s_cbranch_execz .LBB85_121
; %bb.108:
	s_and_not1_b32 vcc_lo, exec_lo, s62
	s_cbranch_vccnz .LBB85_114
; %bb.109:
	s_and_not1_b32 vcc_lo, exec_lo, s73
	s_cbranch_vccnz .LBB85_115
; %bb.110:
	v_dual_mov_b32 v5, 0 :: v_dual_mov_b32 v1, v0
	v_dual_mov_b32 v6, 0 :: v_dual_mov_b32 v7, 0
	;; [unrolled: 1-line block ×3, first 2 shown]
	v_mov_b32_e32 v8, 0
	s_add_co_i32 s50, s70, 1
	s_mov_b64 s[48:49], 0xffffffffffffffd0
	s_and_b32 s56, s50, 30
	s_add_nc_u64 s[48:49], s[2:3], s[48:49]
	s_mov_b64 s[50:51], s[2:3]
.LBB85_111:                             ; =>This Inner Loop Header: Depth=1
	s_clause 0x1
	s_load_b128 s[92:95], s[50:51], 0x4
	s_load_b64 s[58:59], s[50:51], 0x14
	s_clause 0x1
	s_load_b256 s[84:91], s[48:49], 0xf4
	s_load_b128 s[96:99], s[48:49], 0x114
	s_add_co_i32 s56, s56, -2
	s_wait_xcnt 0x0
	s_add_nc_u64 s[50:51], s[50:51], 24
	s_cmp_eq_u32 s56, 0
	s_add_nc_u64 s[48:49], s[48:49], 48
	s_wait_kmcnt 0x0
	v_mul_hi_u32 v2, s93, v1
	s_delay_alu instid0(VALU_DEP_1) | instskip(NEXT) | instid1(VALU_DEP_1)
	v_add_nc_u32_e32 v2, v1, v2
	v_lshrrev_b32_e32 v2, s94, v2
	s_delay_alu instid0(VALU_DEP_1) | instskip(SKIP_1) | instid1(VALU_DEP_1)
	v_mul_hi_u32 v3, s58, v2
	v_mul_lo_u32 v9, v2, s92
	v_dual_add_nc_u32 v3, v2, v3 :: v_dual_sub_nc_u32 v9, v1, v9
	s_delay_alu instid0(VALU_DEP_1) | instskip(NEXT) | instid1(VALU_DEP_2)
	v_lshrrev_b32_e32 v1, s59, v3
	v_mad_u32 v3, v9, s85, v8
	v_mad_u32 v10, v9, s84, v12
	;; [unrolled: 1-line block ×4, first 2 shown]
	v_mul_lo_u32 v8, v1, s95
	v_mad_u32 v6, s89, v9, v6
	v_mad_u32 v5, s88, v9, v5
	s_delay_alu instid0(VALU_DEP_3) | instskip(NEXT) | instid1(VALU_DEP_1)
	v_sub_nc_u32_e32 v2, v2, v8
	v_mad_u32 v8, v2, s91, v3
	v_mad_u32 v12, v2, s90, v10
	;; [unrolled: 1-line block ×6, first 2 shown]
	s_cbranch_scc0 .LBB85_111
; %bb.112:
	s_bitcmp1_b32 s70, 0
	s_cselect_b32 s56, -1, 0
	s_delay_alu instid0(SALU_CYCLE_1)
	s_and_b32 vcc_lo, exec_lo, s56
	s_cbranch_vccnz .LBB85_116
; %bb.113:
	s_load_b96 s[84:86], s[50:51], 0x4
	s_load_b128 s[56:59], s[48:49], 0xf4
	s_wait_xcnt 0x0
	s_load_b64 s[50:51], s[48:49], 0x104
	s_wait_kmcnt 0x0
	v_mul_hi_u32 v2, s85, v1
	s_delay_alu instid0(VALU_DEP_1) | instskip(NEXT) | instid1(VALU_DEP_1)
	v_add_nc_u32_e32 v2, v1, v2
	v_lshrrev_b32_e32 v2, s86, v2
	s_delay_alu instid0(VALU_DEP_1) | instskip(NEXT) | instid1(VALU_DEP_1)
	v_mul_lo_u32 v2, v2, s84
	v_sub_nc_u32_e32 v1, v1, v2
	s_delay_alu instid0(VALU_DEP_1)
	v_mad_u32 v12, v1, s56, v12
	v_mad_u32 v8, v1, s57, v8
	;; [unrolled: 1-line block ×6, first 2 shown]
	s_branch .LBB85_116
.LBB85_114:
	s_mov_b32 s48, -1
                                        ; implicit-def: $vgpr8
                                        ; implicit-def: $vgpr12
                                        ; implicit-def: $vgpr4
                                        ; implicit-def: $vgpr7
                                        ; implicit-def: $vgpr6
                                        ; implicit-def: $vgpr5
	s_branch .LBB85_117
.LBB85_115:
	v_dual_mov_b32 v8, 0 :: v_dual_mov_b32 v12, 0
	v_dual_mov_b32 v4, 0 :: v_dual_mov_b32 v7, 0
	v_dual_mov_b32 v6, 0 :: v_dual_mov_b32 v5, 0
.LBB85_116:
	s_mov_b32 s48, 0
.LBB85_117:
	s_delay_alu instid0(SALU_CYCLE_1)
	s_and_not1_b32 vcc_lo, exec_lo, s48
	s_cbranch_vccnz .LBB85_120
; %bb.118:
	v_mov_b32_e32 v1, 0
	s_and_not1_b32 vcc_lo, exec_lo, s69
	s_delay_alu instid0(VALU_DEP_1) | instskip(NEXT) | instid1(VALU_DEP_1)
	v_mul_u64_e32 v[2:3], s[44:45], v[0:1]
	v_add_nc_u32_e32 v2, v0, v3
	s_delay_alu instid0(VALU_DEP_1) | instskip(NEXT) | instid1(VALU_DEP_1)
	v_lshrrev_b32_e32 v2, s38, v2
	v_mul_lo_u32 v3, v2, s36
	s_delay_alu instid0(VALU_DEP_1) | instskip(NEXT) | instid1(VALU_DEP_1)
	v_sub_nc_u32_e32 v0, v0, v3
	v_mul_lo_u32 v8, v0, s13
	v_mul_lo_u32 v12, v0, s12
	;; [unrolled: 1-line block ×6, first 2 shown]
	s_cbranch_vccnz .LBB85_120
; %bb.119:
	v_mov_b32_e32 v3, v1
	s_delay_alu instid0(VALU_DEP_1) | instskip(NEXT) | instid1(VALU_DEP_1)
	v_mul_u64_e32 v[0:1], s[46:47], v[2:3]
	v_add_nc_u32_e32 v0, v2, v1
	s_delay_alu instid0(VALU_DEP_1) | instskip(NEXT) | instid1(VALU_DEP_1)
	v_lshrrev_b32_e32 v0, s1, v0
	v_mul_lo_u32 v0, v0, s39
	s_delay_alu instid0(VALU_DEP_1) | instskip(NEXT) | instid1(VALU_DEP_1)
	v_sub_nc_u32_e32 v0, v2, v0
	v_mad_u32 v12, v0, s18, v12
	v_mad_u32 v8, v0, s19, v8
	;; [unrolled: 1-line block ×6, first 2 shown]
.LBB85_120:
	global_load_b32 v0, v8, s[6:7]
	s_xor_b32 s1, s68, -1
	s_wait_xcnt 0x0
	s_and_not1_b32 s6, s0, exec_lo
	s_mov_b32 s48, exec_lo
	s_wait_loadcnt 0x0
	v_cmp_ne_u32_e32 vcc_lo, s65, v0
	s_or_b32 s1, s1, vcc_lo
	s_delay_alu instid0(SALU_CYCLE_1) | instskip(NEXT) | instid1(SALU_CYCLE_1)
	s_and_b32 s1, s1, exec_lo
	s_or_b32 s49, s6, s1
.LBB85_121:
	s_or_b32 exec_lo, exec_lo, s55
	s_delay_alu instid0(SALU_CYCLE_1)
	s_and_not1_b32 s0, s0, exec_lo
	s_and_b32 s1, s49, exec_lo
	s_and_b32 s48, s48, exec_lo
	s_or_b32 s0, s0, s1
.LBB85_122:
	s_or_b32 exec_lo, exec_lo, s54
	s_delay_alu instid0(SALU_CYCLE_1)
	s_and_not1_b32 s1, s79, exec_lo
	s_and_b32 s6, s53, exec_lo
	s_and_not1_b32 s7, s81, exec_lo
	s_or_b32 s79, s1, s6
	s_and_not1_b32 s1, s80, exec_lo
	s_and_b32 s6, s43, exec_lo
	s_and_b32 s12, s52, exec_lo
	s_or_b32 s80, s1, s6
	s_and_not1_b32 s1, s78, exec_lo
	s_and_b32 s6, s0, exec_lo
	s_or_b32 s81, s7, s12
	s_and_b32 s0, s48, exec_lo
	s_or_b32 s78, s1, s6
.LBB85_123:
	s_or_b32 exec_lo, exec_lo, s82
	s_delay_alu instid0(SALU_CYCLE_1)
	s_and_not1_b32 s1, s71, exec_lo
	s_and_b32 s6, s79, exec_lo
	s_and_not1_b32 s7, s75, exec_lo
	s_or_b32 s71, s1, s6
	s_and_not1_b32 s1, s74, exec_lo
	s_and_b32 s6, s80, exec_lo
	s_and_b32 s12, s81, exec_lo
	s_or_b32 s74, s1, s6
	s_and_not1_b32 s1, s76, exec_lo
	s_and_b32 s6, s78, exec_lo
	s_or_b32 s75, s7, s12
	s_and_b32 s45, s0, exec_lo
	s_or_b32 s76, s1, s6
.LBB85_124:
	s_or_b32 exec_lo, exec_lo, s77
	s_mov_b32 s0, 0
	s_mov_b32 s1, 0
	s_and_saveexec_b32 s6, s76
	s_cbranch_execnz .LBB85_128
; %bb.125:
	s_or_b32 exec_lo, exec_lo, s6
	s_and_saveexec_b32 s6, s45
	s_delay_alu instid0(SALU_CYCLE_1)
	s_xor_b32 s6, exec_lo, s6
	s_cbranch_execz .LBB85_129
.LBB85_126:
	global_load_b32 v0, v7, s[8:9]
	s_xor_b32 s7, s67, -1
	s_wait_xcnt 0x0
	s_and_not1_b32 s8, s75, exec_lo
	s_mov_b32 s0, exec_lo
	s_wait_loadcnt 0x0
	v_cmp_ne_u32_e32 vcc_lo, s22, v0
	s_or_b32 s7, s7, vcc_lo
	s_delay_alu instid0(SALU_CYCLE_1) | instskip(NEXT) | instid1(SALU_CYCLE_1)
	s_and_b32 s7, s7, exec_lo
	s_or_b32 s75, s8, s7
	s_or_b32 exec_lo, exec_lo, s6
	s_and_saveexec_b32 s6, s75
	s_cbranch_execz .LBB85_130
.LBB85_127:
	s_or_b32 s1, s1, exec_lo
	s_and_not1_b32 s0, s0, exec_lo
	s_trap 2
	s_branch .LBB85_130
.LBB85_128:
	s_mov_b32 s1, exec_lo
	s_and_not1_b32 s45, s45, exec_lo
	s_trap 2
	s_or_b32 exec_lo, exec_lo, s6
	s_and_saveexec_b32 s6, s45
	s_delay_alu instid0(SALU_CYCLE_1)
	s_xor_b32 s6, exec_lo, s6
	s_cbranch_execnz .LBB85_126
.LBB85_129:
	s_or_b32 exec_lo, exec_lo, s6
	s_and_saveexec_b32 s6, s75
	s_cbranch_execnz .LBB85_127
.LBB85_130:
	s_or_b32 exec_lo, exec_lo, s6
	s_mov_b32 s6, 0
                                        ; implicit-def: $vgpr0
                                        ; implicit-def: $vgpr2
	s_and_saveexec_b32 s7, s0
	s_delay_alu instid0(SALU_CYCLE_1)
	s_xor_b32 s7, exec_lo, s7
	s_cbranch_execz .LBB85_147
; %bb.131:
	global_load_b32 v2, v4, s[10:11]
	global_load_b32 v0, v5, s[24:25]
	s_and_not1_b32 s8, s74, exec_lo
	s_mov_b32 s6, exec_lo
	s_wait_loadcnt 0x0
	v_sub_nc_u32_e32 v1, v0, v2
	s_delay_alu instid0(VALU_DEP_1) | instskip(SKIP_2) | instid1(SALU_CYCLE_1)
	v_cmp_le_i32_e32 vcc_lo, s65, v1
	v_cmp_ge_i32_e64 s0, s20, v1
	s_and_b32 s0, vcc_lo, s0
	s_and_b32 s0, s66, s0
	s_delay_alu instid0(SALU_CYCLE_1) | instskip(NEXT) | instid1(SALU_CYCLE_1)
	s_xor_b32 s0, s0, -1
	s_and_b32 s0, s0, exec_lo
	s_delay_alu instid0(SALU_CYCLE_1)
	s_or_b32 s74, s8, s0
	s_wait_xcnt 0x0
	s_or_b32 exec_lo, exec_lo, s7
	s_and_saveexec_b32 s0, s74
	s_cbranch_execz .LBB85_148
.LBB85_132:
	s_or_b32 s1, s1, exec_lo
	s_and_not1_b32 s6, s6, exec_lo
	s_trap 2
	s_or_b32 exec_lo, exec_lo, s0
	s_mov_b32 s0, 0
	s_and_saveexec_b32 s16, s6
	s_cbranch_execnz .LBB85_149
.LBB85_133:
	s_or_b32 exec_lo, exec_lo, s16
	s_and_saveexec_b32 s6, s71
	s_cbranch_execnz .LBB85_167
.LBB85_134:
	s_or_b32 exec_lo, exec_lo, s6
	s_and_saveexec_b32 s6, s0
	s_delay_alu instid0(SALU_CYCLE_1)
	s_xor_b32 s0, exec_lo, s6
	s_cbranch_execz .LBB85_136
.LBB85_135:
	v_mov_b32_e32 v0, 0
	global_store_b32 v12, v0, s[4:5]
.LBB85_136:
	s_wait_xcnt 0x0
	s_or_b32 exec_lo, exec_lo, s0
	s_delay_alu instid0(SALU_CYCLE_1)
	s_and_b32 s36, s1, exec_lo
                                        ; implicit-def: $vgpr5
                                        ; implicit-def: $vgpr0
.LBB85_137:
	s_or_saveexec_b32 s37, s63
                                        ; implicit-def: $sgpr4_sgpr5_sgpr6_sgpr7
                                        ; implicit-def: $vgpr15
                                        ; implicit-def: $vgpr14
                                        ; implicit-def: $vgpr13
                                        ; implicit-def: $vgpr12
	s_delay_alu instid0(SALU_CYCLE_1)
	s_xor_b32 exec_lo, exec_lo, s37
	s_cbranch_execz .LBB85_144
; %bb.138:
	v_cndmask_b32_e64 v7, 0, 1, s62
	s_and_not1_b32 vcc_lo, exec_lo, s62
	s_cbranch_vccnz .LBB85_156
; %bb.139:
	s_cmp_lg_u32 s33, 0
	s_mov_b32 s6, 0
	s_cbranch_scc0 .LBB85_168
; %bb.140:
	s_min_u32 s7, s60, 15
	v_dual_mov_b32 v3, 0 :: v_dual_mov_b32 v8, v0
	v_dual_mov_b32 v1, 0 :: v_dual_mov_b32 v2, 0
	;; [unrolled: 1-line block ×3, first 2 shown]
	v_mov_b32_e32 v6, 0
	s_add_co_i32 s4, s7, 1
	s_mov_b64 s[0:1], 0xffffffffffffffd0
	s_and_b32 s8, s4, 30
	s_add_nc_u64 s[0:1], s[2:3], s[0:1]
	s_mov_b64 s[4:5], s[2:3]
.LBB85_141:                             ; =>This Inner Loop Header: Depth=1
	s_clause 0x1
	s_load_b128 s[20:23], s[4:5], 0x4
	s_load_b64 s[10:11], s[4:5], 0x14
	s_clause 0x1
	s_load_b256 s[12:19], s[0:1], 0xf4
	s_load_b128 s[24:27], s[0:1], 0x114
	s_add_co_i32 s8, s8, -2
	s_wait_xcnt 0x0
	s_add_nc_u64 s[4:5], s[4:5], 24
	s_cmp_lg_u32 s8, 0
	s_add_nc_u64 s[0:1], s[0:1], 48
	s_wait_kmcnt 0x0
	v_mul_hi_u32 v9, s21, v8
	s_delay_alu instid0(VALU_DEP_1) | instskip(NEXT) | instid1(VALU_DEP_1)
	v_add_nc_u32_e32 v9, v8, v9
	v_lshrrev_b32_e32 v9, s22, v9
	s_delay_alu instid0(VALU_DEP_1) | instskip(SKIP_1) | instid1(VALU_DEP_1)
	v_mul_hi_u32 v10, s10, v9
	v_mul_lo_u32 v11, v9, s20
	v_dual_add_nc_u32 v10, v9, v10 :: v_dual_sub_nc_u32 v11, v8, v11
	s_delay_alu instid0(VALU_DEP_1) | instskip(NEXT) | instid1(VALU_DEP_2)
	v_lshrrev_b32_e32 v8, s11, v10
	v_mad_u32 v6, v11, s13, v6
	v_mad_u32 v12, v11, s12, v12
	;; [unrolled: 1-line block ×4, first 2 shown]
	v_mul_lo_u32 v10, v8, s23
	v_mad_u32 v1, s17, v11, v1
	v_mad_u32 v3, s16, v11, v3
	s_delay_alu instid0(VALU_DEP_3) | instskip(NEXT) | instid1(VALU_DEP_1)
	v_sub_nc_u32_e32 v9, v9, v10
	v_mad_u32 v6, v9, s19, v6
	v_mad_u32 v12, v9, s18, v12
	;; [unrolled: 1-line block ×6, first 2 shown]
	s_cbranch_scc1 .LBB85_141
; %bb.142:
	s_bitcmp1_b32 s7, 0
	s_cselect_b32 s7, -1, 0
	s_delay_alu instid0(SALU_CYCLE_1)
	s_and_b32 vcc_lo, exec_lo, s7
	s_cbranch_vccnz .LBB85_157
; %bb.143:
	s_load_b96 s[12:14], s[4:5], 0x4
	s_load_b128 s[8:11], s[0:1], 0xf4
	s_wait_xcnt 0x0
	s_load_b64 s[4:5], s[0:1], 0x104
	s_wait_kmcnt 0x0
	v_mul_hi_u32 v9, s13, v8
	s_delay_alu instid0(VALU_DEP_1) | instskip(NEXT) | instid1(VALU_DEP_1)
	v_add_nc_u32_e32 v9, v8, v9
	v_lshrrev_b32_e32 v9, s14, v9
	s_delay_alu instid0(VALU_DEP_1) | instskip(NEXT) | instid1(VALU_DEP_1)
	v_mul_lo_u32 v9, v9, s12
	v_sub_nc_u32_e32 v8, v8, v9
	s_delay_alu instid0(VALU_DEP_1)
	v_mad_u32 v12, v8, s8, v12
	v_mad_u32 v6, v8, s9, v6
	;; [unrolled: 1-line block ×6, first 2 shown]
	s_and_not1_b32 vcc_lo, exec_lo, s6
	s_cbranch_vccz .LBB85_158
	s_branch .LBB85_169
.LBB85_144:
	s_or_b32 exec_lo, exec_lo, s37
	s_and_saveexec_b32 s0, s36
	s_cbranch_execz .LBB85_308
.LBB85_145:
	; divergent unreachable
	s_or_b32 exec_lo, exec_lo, s0
	s_and_saveexec_b32 s0, s61
	s_cbranch_execnz .LBB85_309
.LBB85_146:
	s_endpgm
.LBB85_147:
	s_or_b32 exec_lo, exec_lo, s7
	s_and_saveexec_b32 s0, s74
	s_cbranch_execnz .LBB85_132
.LBB85_148:
	s_or_b32 exec_lo, exec_lo, s0
	s_mov_b32 s0, 0
	s_and_saveexec_b32 s16, s6
	s_cbranch_execz .LBB85_133
.LBB85_149:
	v_mov_b64_e32 v[4:5], 0
	s_and_not1_b32 vcc_lo, exec_lo, s64
	s_cbranch_vccnz .LBB85_160
; %bb.150:
	global_load_b32 v4, v6, s[26:27]
	s_mov_b32 s43, 0
	s_mov_b64 s[6:7], 0xffffffff
	s_lshl_b64 s[8:9], s[42:43], 3
	s_wait_xcnt 0x0
	v_mov_b32_e32 v6, 0
	s_add_nc_u64 s[8:9], s[2:3], s[8:9]
	s_delay_alu instid0(SALU_CYCLE_1) | instskip(SKIP_2) | instid1(VALU_DEP_1)
	s_add_nc_u64 s[8:9], s[8:9], 0x298
	s_wait_loadcnt 0x0
	v_ashrrev_i32_e32 v5, 31, v4
	v_mul_u64_e32 v[8:9], s[22:23], v[4:5]
	v_mov_b64_e32 v[4:5], 0
	s_branch .LBB85_152
.LBB85_151:                             ;   in Loop: Header=BB85_152 Depth=1
	s_or_b32 exec_lo, exec_lo, s0
	s_delay_alu instid0(VALU_DEP_1)
	v_mul_u64_e32 v[14:15], s[10:11], v[10:11]
	s_load_b64 s[10:11], s[8:9], 0x40
	s_add_co_i32 s21, s21, -1
	s_wait_xcnt 0x0
	s_add_nc_u64 s[8:9], s[8:9], -8
	s_cmp_lg_u32 s21, 0
	s_delay_alu instid0(VALU_DEP_1) | instskip(SKIP_1) | instid1(VALU_DEP_1)
	v_sub_nc_u64_e32 v[8:9], v[8:9], v[14:15]
	s_wait_kmcnt 0x0
	v_mad_nc_u64_u32 v[4:5], v8, s10, v[4:5]
	s_delay_alu instid0(VALU_DEP_1) | instskip(NEXT) | instid1(VALU_DEP_1)
	v_mad_u32 v1, v9, s10, v5
	v_mad_u32 v5, v8, s11, v1
	v_mov_b64_e32 v[8:9], v[10:11]
	s_cbranch_scc0 .LBB85_160
.LBB85_152:                             ; =>This Inner Loop Header: Depth=1
	s_load_b64 s[10:11], s[8:9], 0x0
                                        ; implicit-def: $vgpr10_vgpr11
	s_mov_b32 s0, exec_lo
	s_wait_kmcnt 0x0
	s_delay_alu instid0(VALU_DEP_1) | instskip(NEXT) | instid1(VALU_DEP_1)
	v_or_b32_e32 v7, s11, v9
	v_cmpx_ne_u64_e32 0, v[6:7]
	s_xor_b32 s17, exec_lo, s0
	s_cbranch_execz .LBB85_154
; %bb.153:                              ;   in Loop: Header=BB85_152 Depth=1
	s_ashr_i32 s12, s11, 31
	v_dual_mov_b32 v17, v6 :: v_dual_ashrrev_i32 v10, 31, v9
	s_mov_b32 s13, s12
	v_mov_b32_e32 v21, v6
	s_add_nc_u64 s[14:15], s[10:11], s[12:13]
	s_delay_alu instid0(VALU_DEP_2)
	v_mov_b32_e32 v11, v10
	s_xor_b64 s[14:15], s[14:15], s[12:13]
	v_mov_b32_e32 v25, v6
	s_cvt_f32_u32 s0, s14
	s_cvt_f32_u32 s13, s15
	s_sub_nc_u64 s[22:23], 0, s[14:15]
	v_add_nc_u64_e32 v[14:15], v[8:9], v[10:11]
	s_delay_alu instid0(SALU_CYCLE_1) | instskip(NEXT) | instid1(SALU_CYCLE_3)
	s_fmamk_f32 s0, s13, 0x4f800000, s0
	v_s_rcp_f32 s0, s0
	s_delay_alu instid0(VALU_DEP_1) | instskip(NEXT) | instid1(VALU_DEP_2)
	v_xor_b32_e32 v20, v15, v10
	v_xor_b32_e32 v16, v14, v10
	s_delay_alu instid0(TRANS32_DEP_1) | instskip(NEXT) | instid1(SALU_CYCLE_3)
	s_mul_f32 s0, s0, 0x5f7ffffc
	s_mul_f32 s13, s0, 0x2f800000
	s_delay_alu instid0(SALU_CYCLE_3) | instskip(NEXT) | instid1(SALU_CYCLE_3)
	s_trunc_f32 s13, s13
	s_fmamk_f32 s0, s13, 0xcf800000, s0
	s_cvt_u32_f32 s19, s13
	s_delay_alu instid0(SALU_CYCLE_2) | instskip(NEXT) | instid1(SALU_CYCLE_3)
	s_cvt_u32_f32 s18, s0
	s_mul_u64 s[24:25], s[22:23], s[18:19]
	s_delay_alu instid0(SALU_CYCLE_1)
	s_mul_hi_u32 s27, s18, s25
	s_mul_i32 s26, s18, s25
	s_mul_hi_u32 s42, s18, s24
	s_mul_i32 s13, s19, s24
	s_add_nc_u64 s[26:27], s[42:43], s[26:27]
	s_mul_hi_u32 s0, s19, s24
	s_mul_hi_u32 s20, s19, s25
	s_add_co_u32 s13, s26, s13
	s_add_co_ci_u32 s42, s27, s0
	s_mul_i32 s24, s19, s25
	s_add_co_ci_u32 s25, s20, 0
	s_delay_alu instid0(SALU_CYCLE_1) | instskip(NEXT) | instid1(SALU_CYCLE_1)
	s_add_nc_u64 s[24:25], s[42:43], s[24:25]
	s_add_co_u32 s18, s18, s24
	s_cselect_b32 s0, -1, 0
	s_delay_alu instid0(SALU_CYCLE_1) | instskip(SKIP_1) | instid1(SALU_CYCLE_1)
	s_cmp_lg_u32 s0, 0
	s_add_co_ci_u32 s19, s19, s25
	s_mul_u64 s[22:23], s[22:23], s[18:19]
	s_delay_alu instid0(SALU_CYCLE_1)
	s_mul_hi_u32 s25, s18, s23
	s_mul_i32 s24, s18, s23
	s_mul_hi_u32 s42, s18, s22
	s_mul_i32 s13, s19, s22
	s_add_nc_u64 s[24:25], s[42:43], s[24:25]
	s_mul_hi_u32 s0, s19, s22
	s_mul_hi_u32 s20, s19, s23
	s_add_co_u32 s13, s24, s13
	s_add_co_ci_u32 s42, s25, s0
	s_mul_i32 s22, s19, s23
	s_add_co_ci_u32 s23, s20, 0
	s_delay_alu instid0(SALU_CYCLE_1) | instskip(NEXT) | instid1(SALU_CYCLE_1)
	s_add_nc_u64 s[22:23], s[42:43], s[22:23]
	s_add_co_u32 s0, s18, s22
	s_cselect_b32 s13, -1, 0
	v_mul_hi_u32 v24, v16, s0
	s_cmp_lg_u32 s13, 0
	s_add_co_ci_u32 s42, s19, s23
	s_and_b64 s[18:19], s[0:1], s[6:7]
	v_mul_u64_e32 v[18:19], s[42:43], v[16:17]
	v_mul_u64_e32 v[14:15], s[18:19], v[20:21]
	;; [unrolled: 1-line block ×3, first 2 shown]
	s_delay_alu instid0(VALU_DEP_3) | instskip(NEXT) | instid1(VALU_DEP_1)
	v_add_nc_u64_e32 v[18:19], v[24:25], v[18:19]
	v_add_co_u32 v1, vcc_lo, v18, v14
	s_delay_alu instid0(VALU_DEP_2) | instskip(NEXT) | instid1(VALU_DEP_4)
	v_add_co_ci_u32_e32 v24, vcc_lo, v19, v15, vcc_lo
	v_add_co_ci_u32_e32 v23, vcc_lo, 0, v23, vcc_lo
	s_delay_alu instid0(VALU_DEP_1) | instskip(NEXT) | instid1(VALU_DEP_1)
	v_add_nc_u64_e32 v[14:15], v[24:25], v[22:23]
	v_mul_u64_e32 v[18:19], s[14:15], v[14:15]
	s_delay_alu instid0(VALU_DEP_1) | instskip(NEXT) | instid1(VALU_DEP_2)
	v_sub_nc_u32_e32 v1, v20, v19
	v_sub_co_u32 v3, vcc_lo, v16, v18
	s_delay_alu instid0(VALU_DEP_1) | instskip(NEXT) | instid1(VALU_DEP_3)
	v_sub_co_ci_u32_e64 v11, null, v20, v19, vcc_lo
	v_subrev_co_ci_u32_e64 v1, null, s15, v1, vcc_lo
	s_delay_alu instid0(VALU_DEP_3) | instskip(SKIP_1) | instid1(VALU_DEP_3)
	v_sub_co_u32 v7, s0, v3, s14
	v_add_nc_u64_e32 v[16:17], 2, v[14:15]
	v_subrev_co_ci_u32_e64 v1, null, 0, v1, s0
	s_delay_alu instid0(VALU_DEP_3) | instskip(SKIP_2) | instid1(VALU_DEP_4)
	v_cmp_le_u32_e32 vcc_lo, s14, v7
	v_add_nc_u64_e32 v[18:19], 1, v[14:15]
	v_cndmask_b32_e64 v7, 0, -1, vcc_lo
	v_cmp_le_u32_e32 vcc_lo, s15, v1
	v_cndmask_b32_e64 v13, 0, -1, vcc_lo
	v_cmp_le_u32_e32 vcc_lo, s14, v3
	;; [unrolled: 2-line block ×3, first 2 shown]
	v_cndmask_b32_e64 v20, 0, -1, vcc_lo
	v_cmp_eq_u32_e32 vcc_lo, s15, v1
	v_cndmask_b32_e32 v1, v13, v7, vcc_lo
	v_cmp_eq_u32_e32 vcc_lo, s15, v11
	s_delay_alu instid0(VALU_DEP_4) | instskip(NEXT) | instid1(VALU_DEP_3)
	v_cndmask_b32_e32 v3, v20, v3, vcc_lo
	v_cmp_ne_u32_e32 vcc_lo, 0, v1
	v_cndmask_b32_e32 v1, v19, v17, vcc_lo
	s_delay_alu instid0(VALU_DEP_3) | instskip(SKIP_1) | instid1(VALU_DEP_1)
	v_cmp_ne_u32_e64 s0, 0, v3
	v_dual_cndmask_b32 v3, v18, v16, vcc_lo :: v_dual_bitop2_b32 v10, s12, v10 bitop3:0x14
	v_dual_cndmask_b32 v1, v15, v1, s0 :: v_dual_cndmask_b32 v3, v14, v3, s0
	s_delay_alu instid0(VALU_DEP_1) | instskip(NEXT) | instid1(VALU_DEP_2)
	v_dual_mov_b32 v11, v10 :: v_dual_bitop2_b32 v15, v1, v10 bitop3:0x14
	v_xor_b32_e32 v14, v3, v10
	s_delay_alu instid0(VALU_DEP_1)
	v_sub_nc_u64_e32 v[10:11], v[14:15], v[10:11]
.LBB85_154:                             ;   in Loop: Header=BB85_152 Depth=1
	s_and_not1_saveexec_b32 s0, s17
	s_cbranch_execz .LBB85_151
; %bb.155:                              ;   in Loop: Header=BB85_152 Depth=1
	v_cvt_f32_u32_e32 v1, s10
	s_sub_co_i32 s12, 0, s10
	v_mov_b32_e32 v11, v6
	s_delay_alu instid0(VALU_DEP_2) | instskip(SKIP_1) | instid1(TRANS32_DEP_1)
	v_rcp_iflag_f32_e32 v1, v1
	v_nop
	v_mul_f32_e32 v1, 0x4f7ffffe, v1
	s_delay_alu instid0(VALU_DEP_1) | instskip(NEXT) | instid1(VALU_DEP_1)
	v_cvt_u32_f32_e32 v1, v1
	v_mul_lo_u32 v3, s12, v1
	s_delay_alu instid0(VALU_DEP_1) | instskip(NEXT) | instid1(VALU_DEP_1)
	v_mul_hi_u32 v3, v1, v3
	v_add_nc_u32_e32 v1, v1, v3
	s_delay_alu instid0(VALU_DEP_1) | instskip(NEXT) | instid1(VALU_DEP_1)
	v_mul_hi_u32 v1, v8, v1
	v_mul_lo_u32 v3, v1, s10
	s_delay_alu instid0(VALU_DEP_1) | instskip(NEXT) | instid1(VALU_DEP_1)
	v_sub_nc_u32_e32 v3, v8, v3
	v_subrev_nc_u32_e32 v10, s10, v3
	v_cmp_le_u32_e32 vcc_lo, s10, v3
	s_delay_alu instid0(VALU_DEP_2) | instskip(NEXT) | instid1(VALU_DEP_1)
	v_dual_add_nc_u32 v7, 1, v1 :: v_dual_cndmask_b32 v3, v3, v10, vcc_lo
	v_cndmask_b32_e32 v1, v1, v7, vcc_lo
	s_delay_alu instid0(VALU_DEP_2) | instskip(NEXT) | instid1(VALU_DEP_2)
	v_cmp_le_u32_e32 vcc_lo, s10, v3
	v_add_nc_u32_e32 v7, 1, v1
	s_delay_alu instid0(VALU_DEP_1)
	v_cndmask_b32_e32 v10, v1, v7, vcc_lo
	s_branch .LBB85_151
.LBB85_156:
	s_mov_b32 s6, -1
                                        ; implicit-def: $vgpr6
                                        ; implicit-def: $vgpr12
                                        ; implicit-def: $vgpr4
                                        ; implicit-def: $vgpr2
                                        ; implicit-def: $vgpr1
                                        ; implicit-def: $vgpr3
.LBB85_157:
	s_delay_alu instid0(SALU_CYCLE_1)
	s_and_not1_b32 vcc_lo, exec_lo, s6
	s_cbranch_vccnz .LBB85_169
.LBB85_158:
	s_clause 0x2
	s_load_b96 s[8:10], s[2:3], 0x4
	s_load_b128 s[4:7], s[2:3], 0xc4
	s_load_b64 s[0:1], s[2:3], 0xd4
	s_cmp_lt_u32 s33, 2
	s_wait_kmcnt 0x0
	v_mul_hi_u32 v1, s9, v0
	s_delay_alu instid0(VALU_DEP_1) | instskip(NEXT) | instid1(VALU_DEP_1)
	v_add_nc_u32_e32 v1, v0, v1
	v_lshrrev_b32_e32 v8, s10, v1
	s_delay_alu instid0(VALU_DEP_1) | instskip(NEXT) | instid1(VALU_DEP_1)
	v_mul_lo_u32 v1, v8, s8
	v_sub_nc_u32_e32 v3, v0, v1
	s_delay_alu instid0(VALU_DEP_1)
	v_mul_lo_u32 v6, v3, s5
	v_mul_lo_u32 v12, v3, s4
	;; [unrolled: 1-line block ×6, first 2 shown]
	s_cbranch_scc1 .LBB85_169
; %bb.159:
	s_clause 0x2
	s_load_b96 s[8:10], s[2:3], 0x10
	s_load_b128 s[4:7], s[2:3], 0xdc
	s_load_b64 s[0:1], s[2:3], 0xec
	s_wait_kmcnt 0x0
	v_mul_hi_u32 v9, s9, v8
	s_delay_alu instid0(VALU_DEP_1) | instskip(NEXT) | instid1(VALU_DEP_1)
	v_add_nc_u32_e32 v9, v8, v9
	v_lshrrev_b32_e32 v9, s10, v9
	s_delay_alu instid0(VALU_DEP_1) | instskip(NEXT) | instid1(VALU_DEP_1)
	v_mul_lo_u32 v9, v9, s8
	v_sub_nc_u32_e32 v8, v8, v9
	s_delay_alu instid0(VALU_DEP_1)
	v_mad_u32 v12, v8, s4, v12
	v_mad_u32 v6, v8, s5, v6
	;; [unrolled: 1-line block ×6, first 2 shown]
	s_branch .LBB85_169
.LBB85_160:
	s_mov_b32 s6, s71
	s_mov_b32 s0, exec_lo
	v_cmpx_gt_i32_e64 v0, v2
	s_cbranch_execz .LBB85_166
; %bb.161:
	s_delay_alu instid0(VALU_DEP_2) | instskip(SKIP_3) | instid1(VALU_DEP_1)
	v_lshlrev_b64_e32 v[4:5], 2, v[4:5]
	v_dual_ashrrev_i32 v3, 31, v2 :: v_dual_ashrrev_i32 v1, 31, v0
	s_mov_b32 s6, 0
	s_xor_b32 s8, s37, -1
                                        ; implicit-def: $sgpr7
                                        ; implicit-def: $sgpr10
                                        ; implicit-def: $sgpr9
	v_lshl_add_u64 v[2:3], v[2:3], 2, v[4:5]
	v_add_nc_u64_e32 v[4:5], s[40:41], v[4:5]
	s_delay_alu instid0(VALU_DEP_2) | instskip(NEXT) | instid1(VALU_DEP_2)
	v_add_nc_u64_e32 v[2:3], s[40:41], v[2:3]
	v_lshl_add_u64 v[0:1], v[0:1], 2, v[4:5]
	s_delay_alu instid0(VALU_DEP_2)
	v_add_nc_u64_e32 v[2:3], 4, v[2:3]
	s_branch .LBB85_163
.LBB85_162:                             ;   in Loop: Header=BB85_163 Depth=1
	s_or_b32 exec_lo, exec_lo, s11
	s_xor_b32 s11, s9, -1
	s_and_b32 s12, exec_lo, s10
	s_delay_alu instid0(SALU_CYCLE_1) | instskip(SKIP_2) | instid1(SALU_CYCLE_1)
	s_or_b32 s6, s12, s6
	s_and_not1_b32 s7, s7, exec_lo
	s_and_b32 s11, s11, exec_lo
	s_or_b32 s7, s7, s11
	s_and_not1_b32 exec_lo, exec_lo, s6
	s_cbranch_execz .LBB85_165
.LBB85_163:                             ; =>This Inner Loop Header: Depth=1
	s_or_b32 s9, s9, exec_lo
	s_or_b32 s10, s10, exec_lo
	s_mov_b32 s11, exec_lo
	s_delay_alu instid0(VALU_DEP_1)
	v_cmpx_lt_u64_e64 v[2:3], v[0:1]
	s_cbranch_execz .LBB85_162
; %bb.164:                              ;   in Loop: Header=BB85_163 Depth=1
	global_load_b64 v[4:5], v[2:3], off offset:-4
	s_wait_xcnt 0x0
	v_add_nc_u64_e32 v[2:3], 4, v[2:3]
	s_and_not1_b32 s10, s10, exec_lo
	s_and_not1_b32 s9, s9, exec_lo
	s_wait_loadcnt 0x0
	v_cmp_ge_i32_e32 vcc_lo, v4, v5
	s_or_b32 s12, s8, vcc_lo
	s_delay_alu instid0(SALU_CYCLE_1) | instskip(NEXT) | instid1(SALU_CYCLE_1)
	s_and_b32 s12, s12, exec_lo
	s_or_b32 s10, s10, s12
	s_branch .LBB85_162
.LBB85_165:
	s_or_b32 exec_lo, exec_lo, s6
	s_delay_alu instid0(SALU_CYCLE_1) | instskip(SKIP_1) | instid1(SALU_CYCLE_1)
	s_and_not1_b32 s6, s71, exec_lo
	s_and_b32 s7, s7, exec_lo
	s_or_b32 s6, s6, s7
.LBB85_166:
	s_or_b32 exec_lo, exec_lo, s0
	s_delay_alu instid0(SALU_CYCLE_1)
	s_and_not1_b32 s7, s71, exec_lo
	s_and_b32 s6, s6, exec_lo
	s_mov_b32 s0, exec_lo
	s_or_b32 s71, s7, s6
	s_or_b32 exec_lo, exec_lo, s16
	s_and_saveexec_b32 s6, s71
	s_cbranch_execz .LBB85_134
.LBB85_167:
	s_or_b32 s1, s1, exec_lo
	s_and_not1_b32 s0, s0, exec_lo
	s_trap 2
	s_or_b32 exec_lo, exec_lo, s6
	s_and_saveexec_b32 s6, s0
	s_delay_alu instid0(SALU_CYCLE_1)
	s_xor_b32 s0, exec_lo, s6
	s_cbranch_execnz .LBB85_135
	s_branch .LBB85_136
.LBB85_168:
	v_dual_mov_b32 v6, 0 :: v_dual_mov_b32 v12, 0
	v_dual_mov_b32 v4, 0 :: v_dual_mov_b32 v2, 0
	v_dual_mov_b32 v1, 0 :: v_dual_mov_b32 v3, 0
	s_and_not1_b32 vcc_lo, exec_lo, s6
	s_cbranch_vccz .LBB85_158
.LBB85_169:
	v_cmp_ne_u32_e32 vcc_lo, 1, v7
	v_add_nc_u32_e32 v8, 0x80, v0
	s_cbranch_vccnz .LBB85_175
; %bb.170:
	s_cmp_lg_u32 s33, 0
	s_mov_b32 s6, 0
	s_cbranch_scc0 .LBB85_179
; %bb.171:
	s_min_u32 s7, s60, 15
	v_dual_mov_b32 v30, 0 :: v_dual_mov_b32 v9, v8
	v_dual_mov_b32 v29, 0 :: v_dual_mov_b32 v32, 0
	;; [unrolled: 1-line block ×3, first 2 shown]
	v_mov_b32_e32 v33, 0
	s_add_co_i32 s4, s7, 1
	s_mov_b64 s[0:1], 0xffffffffffffffd0
	s_and_b32 s8, s4, 30
	s_add_nc_u64 s[0:1], s[2:3], s[0:1]
	s_mov_b64 s[4:5], s[2:3]
.LBB85_172:                             ; =>This Inner Loop Header: Depth=1
	s_clause 0x1
	s_load_b128 s[20:23], s[4:5], 0x4
	s_load_b64 s[10:11], s[4:5], 0x14
	s_clause 0x1
	s_load_b256 s[12:19], s[0:1], 0xf4
	s_load_b128 s[24:27], s[0:1], 0x114
	s_add_co_i32 s8, s8, -2
	s_wait_xcnt 0x0
	s_add_nc_u64 s[4:5], s[4:5], 24
	s_cmp_lg_u32 s8, 0
	s_add_nc_u64 s[0:1], s[0:1], 48
	s_wait_kmcnt 0x0
	v_mul_hi_u32 v10, s21, v9
	s_delay_alu instid0(VALU_DEP_1) | instskip(NEXT) | instid1(VALU_DEP_1)
	v_add_nc_u32_e32 v10, v9, v10
	v_lshrrev_b32_e32 v10, s22, v10
	s_delay_alu instid0(VALU_DEP_1) | instskip(SKIP_1) | instid1(VALU_DEP_1)
	v_mul_hi_u32 v11, s10, v10
	v_mul_lo_u32 v14, v10, s20
	v_dual_add_nc_u32 v11, v10, v11 :: v_dual_sub_nc_u32 v14, v9, v14
	s_delay_alu instid0(VALU_DEP_1) | instskip(NEXT) | instid1(VALU_DEP_2)
	v_lshrrev_b32_e32 v9, s11, v11
	v_mad_u32 v11, v14, s13, v33
	v_mad_u32 v13, v14, s12, v13
	;; [unrolled: 1-line block ×4, first 2 shown]
	v_mul_lo_u32 v15, v9, s23
	v_mad_u32 v18, s17, v14, v29
	v_mad_u32 v14, s16, v14, v30
	s_delay_alu instid0(VALU_DEP_3) | instskip(NEXT) | instid1(VALU_DEP_1)
	v_sub_nc_u32_e32 v10, v10, v15
	v_mad_u32 v33, v10, s19, v11
	v_mad_u32 v13, v10, s18, v13
	;; [unrolled: 1-line block ×6, first 2 shown]
	s_cbranch_scc1 .LBB85_172
; %bb.173:
	s_bitcmp1_b32 s7, 0
	s_cselect_b32 s7, -1, 0
	s_delay_alu instid0(SALU_CYCLE_1)
	s_and_b32 vcc_lo, exec_lo, s7
	s_cbranch_vccnz .LBB85_176
; %bb.174:
	s_load_b96 s[12:14], s[4:5], 0x4
	s_load_b128 s[8:11], s[0:1], 0xf4
	s_wait_xcnt 0x0
	s_load_b64 s[4:5], s[0:1], 0x104
	s_wait_kmcnt 0x0
	v_mul_hi_u32 v10, s13, v9
	s_delay_alu instid0(VALU_DEP_1) | instskip(NEXT) | instid1(VALU_DEP_1)
	v_add_nc_u32_e32 v10, v9, v10
	v_lshrrev_b32_e32 v10, s14, v10
	s_delay_alu instid0(VALU_DEP_1) | instskip(NEXT) | instid1(VALU_DEP_1)
	v_mul_lo_u32 v10, v10, s12
	v_sub_nc_u32_e32 v9, v9, v10
	s_delay_alu instid0(VALU_DEP_1)
	v_mad_u32 v13, v9, s8, v13
	v_mad_u32 v33, v9, s9, v33
	;; [unrolled: 1-line block ×6, first 2 shown]
	s_and_not1_b32 vcc_lo, exec_lo, s6
	s_cbranch_vccz .LBB85_177
	s_branch .LBB85_180
.LBB85_175:
	s_mov_b32 s6, -1
                                        ; implicit-def: $vgpr33
                                        ; implicit-def: $vgpr13
                                        ; implicit-def: $vgpr31
                                        ; implicit-def: $vgpr32
                                        ; implicit-def: $vgpr29
                                        ; implicit-def: $vgpr30
.LBB85_176:
	s_delay_alu instid0(SALU_CYCLE_1)
	s_and_not1_b32 vcc_lo, exec_lo, s6
	s_cbranch_vccnz .LBB85_180
.LBB85_177:
	s_clause 0x2
	s_load_b96 s[8:10], s[2:3], 0x4
	s_load_b128 s[4:7], s[2:3], 0xc4
	s_load_b64 s[0:1], s[2:3], 0xd4
	s_cmp_lt_u32 s33, 2
	s_wait_kmcnt 0x0
	v_mul_hi_u32 v9, s9, v8
	s_delay_alu instid0(VALU_DEP_1) | instskip(NEXT) | instid1(VALU_DEP_1)
	v_add_nc_u32_e32 v9, v8, v9
	v_lshrrev_b32_e32 v9, s10, v9
	s_delay_alu instid0(VALU_DEP_1) | instskip(NEXT) | instid1(VALU_DEP_1)
	v_mul_lo_u32 v10, v9, s8
	v_sub_nc_u32_e32 v8, v8, v10
	s_delay_alu instid0(VALU_DEP_1)
	v_mul_lo_u32 v33, v8, s5
	v_mul_lo_u32 v13, v8, s4
	;; [unrolled: 1-line block ×6, first 2 shown]
	s_cbranch_scc1 .LBB85_180
; %bb.178:
	s_clause 0x2
	s_load_b96 s[8:10], s[2:3], 0x10
	s_load_b128 s[4:7], s[2:3], 0xdc
	s_load_b64 s[0:1], s[2:3], 0xec
	s_wait_kmcnt 0x0
	v_mul_hi_u32 v8, s9, v9
	s_delay_alu instid0(VALU_DEP_1) | instskip(NEXT) | instid1(VALU_DEP_1)
	v_add_nc_u32_e32 v8, v9, v8
	v_lshrrev_b32_e32 v8, s10, v8
	s_delay_alu instid0(VALU_DEP_1) | instskip(NEXT) | instid1(VALU_DEP_1)
	v_mul_lo_u32 v8, v8, s8
	v_sub_nc_u32_e32 v8, v9, v8
	s_delay_alu instid0(VALU_DEP_1)
	v_mad_u32 v13, v8, s4, v13
	v_mad_u32 v33, v8, s5, v33
	;; [unrolled: 1-line block ×6, first 2 shown]
	s_branch .LBB85_180
.LBB85_179:
	v_dual_mov_b32 v33, 0 :: v_dual_mov_b32 v13, 0
	v_dual_mov_b32 v31, 0 :: v_dual_mov_b32 v32, 0
	;; [unrolled: 1-line block ×3, first 2 shown]
	s_and_not1_b32 vcc_lo, exec_lo, s6
	s_cbranch_vccz .LBB85_177
.LBB85_180:
	v_cmp_ne_u32_e32 vcc_lo, 1, v7
	v_add_nc_u32_e32 v0, 0x100, v0
	s_cbranch_vccnz .LBB85_186
; %bb.181:
	s_cmp_lg_u32 s33, 0
	s_mov_b32 s6, 0
	s_cbranch_scc0 .LBB85_190
; %bb.182:
	s_min_u32 s7, s60, 15
	v_dual_mov_b32 v22, 0 :: v_dual_mov_b32 v8, v0
	v_dual_mov_b32 v21, 0 :: v_dual_mov_b32 v26, 0
	;; [unrolled: 1-line block ×3, first 2 shown]
	v_mov_b32_e32 v27, 0
	s_add_co_i32 s4, s7, 1
	s_mov_b64 s[0:1], 0xffffffffffffffd0
	s_and_b32 s8, s4, 30
	s_add_nc_u64 s[0:1], s[2:3], s[0:1]
	s_mov_b64 s[4:5], s[2:3]
.LBB85_183:                             ; =>This Inner Loop Header: Depth=1
	s_clause 0x1
	s_load_b128 s[20:23], s[4:5], 0x4
	s_load_b64 s[10:11], s[4:5], 0x14
	s_clause 0x1
	s_load_b256 s[12:19], s[0:1], 0xf4
	s_load_b128 s[24:27], s[0:1], 0x114
	s_add_co_i32 s8, s8, -2
	s_wait_xcnt 0x0
	s_add_nc_u64 s[4:5], s[4:5], 24
	s_cmp_lg_u32 s8, 0
	s_add_nc_u64 s[0:1], s[0:1], 48
	s_wait_kmcnt 0x0
	v_mul_hi_u32 v9, s21, v8
	s_delay_alu instid0(VALU_DEP_1) | instskip(NEXT) | instid1(VALU_DEP_1)
	v_add_nc_u32_e32 v9, v8, v9
	v_lshrrev_b32_e32 v9, s22, v9
	s_delay_alu instid0(VALU_DEP_1) | instskip(SKIP_1) | instid1(VALU_DEP_1)
	v_mul_hi_u32 v10, s10, v9
	v_mul_lo_u32 v11, v9, s20
	v_dual_add_nc_u32 v10, v9, v10 :: v_dual_sub_nc_u32 v11, v8, v11
	s_delay_alu instid0(VALU_DEP_1) | instskip(NEXT) | instid1(VALU_DEP_2)
	v_lshrrev_b32_e32 v8, s11, v10
	v_mad_u32 v10, v11, s13, v27
	v_mad_u32 v14, v11, s12, v14
	;; [unrolled: 1-line block ×4, first 2 shown]
	v_mul_lo_u32 v15, v8, s23
	v_mad_u32 v18, s17, v11, v21
	v_mad_u32 v11, s16, v11, v22
	s_delay_alu instid0(VALU_DEP_3) | instskip(NEXT) | instid1(VALU_DEP_1)
	v_sub_nc_u32_e32 v9, v9, v15
	v_mad_u32 v27, v9, s19, v10
	v_mad_u32 v14, v9, s18, v14
	;; [unrolled: 1-line block ×6, first 2 shown]
	s_cbranch_scc1 .LBB85_183
; %bb.184:
	s_bitcmp1_b32 s7, 0
	s_cselect_b32 s7, -1, 0
	s_delay_alu instid0(SALU_CYCLE_1)
	s_and_b32 vcc_lo, exec_lo, s7
	s_cbranch_vccnz .LBB85_187
; %bb.185:
	s_load_b96 s[12:14], s[4:5], 0x4
	s_load_b128 s[8:11], s[0:1], 0xf4
	s_wait_xcnt 0x0
	s_load_b64 s[4:5], s[0:1], 0x104
	s_wait_kmcnt 0x0
	v_mul_hi_u32 v9, s13, v8
	s_delay_alu instid0(VALU_DEP_1) | instskip(NEXT) | instid1(VALU_DEP_1)
	v_add_nc_u32_e32 v9, v8, v9
	v_lshrrev_b32_e32 v9, s14, v9
	s_delay_alu instid0(VALU_DEP_1) | instskip(NEXT) | instid1(VALU_DEP_1)
	v_mul_lo_u32 v9, v9, s12
	v_sub_nc_u32_e32 v8, v8, v9
	s_delay_alu instid0(VALU_DEP_1)
	v_mad_u32 v14, v8, s8, v14
	v_mad_u32 v27, v8, s9, v27
	;; [unrolled: 1-line block ×6, first 2 shown]
	s_and_not1_b32 vcc_lo, exec_lo, s6
	s_cbranch_vccz .LBB85_188
	s_branch .LBB85_191
.LBB85_186:
	s_mov_b32 s6, -1
                                        ; implicit-def: $vgpr27
                                        ; implicit-def: $vgpr14
                                        ; implicit-def: $vgpr25
                                        ; implicit-def: $vgpr26
                                        ; implicit-def: $vgpr21
                                        ; implicit-def: $vgpr22
.LBB85_187:
	s_delay_alu instid0(SALU_CYCLE_1)
	s_and_not1_b32 vcc_lo, exec_lo, s6
	s_cbranch_vccnz .LBB85_191
.LBB85_188:
	s_clause 0x2
	s_load_b96 s[8:10], s[2:3], 0x4
	s_load_b128 s[4:7], s[2:3], 0xc4
	s_load_b64 s[0:1], s[2:3], 0xd4
	s_cmp_lt_u32 s33, 2
	s_wait_kmcnt 0x0
	v_mul_hi_u32 v8, s9, v0
	s_delay_alu instid0(VALU_DEP_1) | instskip(NEXT) | instid1(VALU_DEP_1)
	v_add_nc_u32_e32 v8, v0, v8
	v_lshrrev_b32_e32 v8, s10, v8
	s_delay_alu instid0(VALU_DEP_1) | instskip(NEXT) | instid1(VALU_DEP_1)
	v_mul_lo_u32 v9, v8, s8
	v_sub_nc_u32_e32 v0, v0, v9
	s_delay_alu instid0(VALU_DEP_1)
	v_mul_lo_u32 v27, v0, s5
	v_mul_lo_u32 v14, v0, s4
	;; [unrolled: 1-line block ×6, first 2 shown]
	s_cbranch_scc1 .LBB85_191
; %bb.189:
	s_clause 0x2
	s_load_b96 s[8:10], s[2:3], 0x10
	s_load_b128 s[4:7], s[2:3], 0xdc
	s_load_b64 s[0:1], s[2:3], 0xec
	s_wait_kmcnt 0x0
	v_mul_hi_u32 v0, s9, v8
	s_delay_alu instid0(VALU_DEP_1) | instskip(NEXT) | instid1(VALU_DEP_1)
	v_add_nc_u32_e32 v0, v8, v0
	v_lshrrev_b32_e32 v0, s10, v0
	s_delay_alu instid0(VALU_DEP_1) | instskip(NEXT) | instid1(VALU_DEP_1)
	v_mul_lo_u32 v0, v0, s8
	v_sub_nc_u32_e32 v0, v8, v0
	s_delay_alu instid0(VALU_DEP_1)
	v_mad_u32 v14, v0, s4, v14
	v_mad_u32 v27, v0, s5, v27
	;; [unrolled: 1-line block ×6, first 2 shown]
	s_branch .LBB85_191
.LBB85_190:
	v_dual_mov_b32 v27, 0 :: v_dual_mov_b32 v14, 0
	v_dual_mov_b32 v25, 0 :: v_dual_mov_b32 v26, 0
	;; [unrolled: 1-line block ×3, first 2 shown]
	s_and_not1_b32 vcc_lo, exec_lo, s6
	s_cbranch_vccz .LBB85_188
.LBB85_191:
	v_cmp_ne_u32_e32 vcc_lo, 1, v7
	s_cbranch_vccnz .LBB85_197
; %bb.192:
	s_cmp_lg_u32 s33, 0
	s_mov_b32 s6, 0
	s_cbranch_scc0 .LBB85_201
; %bb.193:
	s_min_u32 s7, s60, 15
	v_dual_mov_b32 v17, 0 :: v_dual_mov_b32 v0, v5
	v_dual_mov_b32 v16, 0 :: v_dual_mov_b32 v19, 0
	;; [unrolled: 1-line block ×3, first 2 shown]
	v_mov_b32_e32 v20, 0
	s_add_co_i32 s4, s7, 1
	s_mov_b64 s[0:1], 0xffffffffffffffd0
	s_and_b32 s8, s4, 30
	s_add_nc_u64 s[0:1], s[2:3], s[0:1]
	s_mov_b64 s[4:5], s[2:3]
.LBB85_194:                             ; =>This Inner Loop Header: Depth=1
	s_clause 0x1
	s_load_b128 s[20:23], s[4:5], 0x4
	s_load_b64 s[10:11], s[4:5], 0x14
	s_clause 0x1
	s_load_b256 s[12:19], s[0:1], 0xf4
	s_load_b128 s[24:27], s[0:1], 0x114
	s_add_co_i32 s8, s8, -2
	s_wait_xcnt 0x0
	s_add_nc_u64 s[4:5], s[4:5], 24
	s_cmp_lg_u32 s8, 0
	s_add_nc_u64 s[0:1], s[0:1], 48
	s_wait_kmcnt 0x0
	v_mul_hi_u32 v7, s21, v0
	s_delay_alu instid0(VALU_DEP_1) | instskip(NEXT) | instid1(VALU_DEP_1)
	v_add_nc_u32_e32 v7, v0, v7
	v_lshrrev_b32_e32 v7, s22, v7
	s_delay_alu instid0(VALU_DEP_1) | instskip(SKIP_1) | instid1(VALU_DEP_1)
	v_mul_hi_u32 v8, s10, v7
	v_mul_lo_u32 v9, v7, s20
	v_dual_add_nc_u32 v8, v7, v8 :: v_dual_sub_nc_u32 v9, v0, v9
	s_delay_alu instid0(VALU_DEP_1) | instskip(NEXT) | instid1(VALU_DEP_2)
	v_lshrrev_b32_e32 v0, s11, v8
	v_mad_u32 v8, v9, s13, v20
	v_mad_u32 v11, v9, s12, v15
	;; [unrolled: 1-line block ×4, first 2 shown]
	v_mul_lo_u32 v10, v0, s23
	v_mad_u32 v16, s17, v9, v16
	v_mad_u32 v9, s16, v9, v17
	s_delay_alu instid0(VALU_DEP_3) | instskip(NEXT) | instid1(VALU_DEP_1)
	v_sub_nc_u32_e32 v7, v7, v10
	v_mad_u32 v20, v7, s19, v8
	v_mad_u32 v15, v7, s18, v11
	;; [unrolled: 1-line block ×6, first 2 shown]
	s_cbranch_scc1 .LBB85_194
; %bb.195:
	s_bitcmp1_b32 s7, 0
	s_cselect_b32 s7, -1, 0
	s_delay_alu instid0(SALU_CYCLE_1)
	s_and_b32 vcc_lo, exec_lo, s7
	s_cbranch_vccnz .LBB85_198
; %bb.196:
	s_load_b96 s[12:14], s[4:5], 0x4
	s_load_b128 s[8:11], s[0:1], 0xf4
	s_wait_xcnt 0x0
	s_load_b64 s[4:5], s[0:1], 0x104
	s_wait_kmcnt 0x0
	v_mul_hi_u32 v7, s13, v0
	s_delay_alu instid0(VALU_DEP_1) | instskip(NEXT) | instid1(VALU_DEP_1)
	v_add_nc_u32_e32 v7, v0, v7
	v_lshrrev_b32_e32 v7, s14, v7
	s_delay_alu instid0(VALU_DEP_1) | instskip(NEXT) | instid1(VALU_DEP_1)
	v_mul_lo_u32 v7, v7, s12
	v_sub_nc_u32_e32 v0, v0, v7
	s_delay_alu instid0(VALU_DEP_1)
	v_mad_u32 v15, v0, s8, v15
	v_mad_u32 v20, v0, s9, v20
	v_mad_u32 v19, v0, s10, v19
	v_mad_u32 v18, v0, s11, v18
	v_mad_u32 v17, s4, v0, v17
	v_mad_u32 v16, s5, v0, v16
	s_and_not1_b32 vcc_lo, exec_lo, s6
	s_cbranch_vccz .LBB85_199
	s_branch .LBB85_202
.LBB85_197:
	s_mov_b32 s6, -1
                                        ; implicit-def: $vgpr20
                                        ; implicit-def: $vgpr15
                                        ; implicit-def: $vgpr18
                                        ; implicit-def: $vgpr19
                                        ; implicit-def: $vgpr16
                                        ; implicit-def: $vgpr17
.LBB85_198:
	s_delay_alu instid0(SALU_CYCLE_1)
	s_and_not1_b32 vcc_lo, exec_lo, s6
	s_cbranch_vccnz .LBB85_202
.LBB85_199:
	s_clause 0x2
	s_load_b96 s[8:10], s[2:3], 0x4
	s_load_b128 s[4:7], s[2:3], 0xc4
	s_load_b64 s[0:1], s[2:3], 0xd4
	s_cmp_lt_u32 s33, 2
	s_wait_kmcnt 0x0
	v_mul_hi_u32 v0, s9, v5
	s_delay_alu instid0(VALU_DEP_1) | instskip(NEXT) | instid1(VALU_DEP_1)
	v_add_nc_u32_e32 v0, v5, v0
	v_lshrrev_b32_e32 v0, s10, v0
	s_delay_alu instid0(VALU_DEP_1) | instskip(NEXT) | instid1(VALU_DEP_1)
	v_mul_lo_u32 v7, v0, s8
	v_sub_nc_u32_e32 v5, v5, v7
	s_delay_alu instid0(VALU_DEP_1)
	v_mul_lo_u32 v20, v5, s5
	v_mul_lo_u32 v15, v5, s4
	;; [unrolled: 1-line block ×6, first 2 shown]
	s_cbranch_scc1 .LBB85_202
; %bb.200:
	s_clause 0x2
	s_load_b96 s[8:10], s[2:3], 0x10
	s_load_b128 s[4:7], s[2:3], 0xdc
	s_load_b64 s[0:1], s[2:3], 0xec
	s_wait_kmcnt 0x0
	v_mul_hi_u32 v5, s9, v0
	s_delay_alu instid0(VALU_DEP_1) | instskip(NEXT) | instid1(VALU_DEP_1)
	v_add_nc_u32_e32 v5, v0, v5
	v_lshrrev_b32_e32 v5, s10, v5
	s_delay_alu instid0(VALU_DEP_1) | instskip(NEXT) | instid1(VALU_DEP_1)
	v_mul_lo_u32 v5, v5, s8
	v_sub_nc_u32_e32 v0, v0, v5
	s_delay_alu instid0(VALU_DEP_1)
	v_mad_u32 v15, v0, s4, v15
	v_mad_u32 v20, v0, s5, v20
	;; [unrolled: 1-line block ×6, first 2 shown]
	s_branch .LBB85_202
.LBB85_201:
	v_dual_mov_b32 v20, 0 :: v_dual_mov_b32 v15, 0
	v_dual_mov_b32 v18, 0 :: v_dual_mov_b32 v19, 0
	;; [unrolled: 1-line block ×3, first 2 shown]
	s_and_not1_b32 vcc_lo, exec_lo, s6
	s_cbranch_vccz .LBB85_199
.LBB85_202:
	s_clause 0x1
	s_load_b128 s[4:7], s[2:3], 0x248
	s_load_b32 s0, s[2:3], 0x278
	s_cmp_eq_u64 s[34:35], 0
	s_mov_b32 s33, s36
	s_wait_kmcnt 0x0
	global_load_b32 v24, v6, s[6:7]
	s_wait_loadcnt 0x0
	v_cmp_ne_u32_e32 vcc_lo, s0, v24
	s_cselect_b32 s0, -1, 0
	s_delay_alu instid0(SALU_CYCLE_1) | instskip(SKIP_2) | instid1(SALU_CYCLE_1)
	s_or_b32 s0, s0, vcc_lo
	s_wait_xcnt 0x0
	s_and_saveexec_b32 s1, s0
	s_xor_b32 s0, exec_lo, s1
	s_cbranch_execnz .LBB85_258
; %bb.203:
	s_or_saveexec_b32 s38, s0
	s_mov_b32 s0, 0
	s_xor_b32 exec_lo, exec_lo, s38
	s_cbranch_execz .LBB85_307
.LBB85_204:
	s_clause 0x1
	s_load_b64 s[16:17], s[2:3], 0x258
	s_load_b64 s[14:15], s[2:3], 0x288
	s_get_pc_i64 s[0:1]
	s_add_nc_u64 s[0:1], s[0:1], .str.7@rel64+4
	s_mov_b32 s39, s33
	s_cmp_eq_u64 s[0:1], 0
	s_cselect_b32 s0, -1, 0
	s_wait_kmcnt 0x0
	global_load_b32 v23, v2, s[16:17]
	s_wait_loadcnt 0x0
	v_cmp_ne_u32_e32 vcc_lo, s14, v23
	s_or_b32 s0, s0, vcc_lo
	s_wait_xcnt 0x0
	s_and_saveexec_b32 s1, s0
	s_delay_alu instid0(SALU_CYCLE_1)
	s_xor_b32 s0, exec_lo, s1
	s_cbranch_execnz .LBB85_264
; %bb.205:
	s_or_saveexec_b32 s40, s0
	s_mov_b32 s0, 0
	s_xor_b32 exec_lo, exec_lo, s40
	s_cbranch_execz .LBB85_306
.LBB85_206:
	s_clause 0x1
	s_load_b128 s[8:11], s[2:3], 0x260
	s_load_b64 s[18:19], s[2:3], 0x280
	s_get_pc_i64 s[12:13]
	s_add_nc_u64 s[12:13], s[12:13], .str.8@rel64+4
	s_wait_kmcnt 0x0
	s_mov_b32 s19, s39
	global_load_b32 v2, v4, s[8:9]
	global_load_b32 v0, v3, s[10:11]
	s_wait_loadcnt 0x0
	v_sub_nc_u32_e32 v3, v0, v2
	s_delay_alu instid0(VALU_DEP_1) | instskip(SKIP_4) | instid1(SALU_CYCLE_1)
	v_cmp_gt_i32_e32 vcc_lo, v24, v3
	v_cmp_lt_i32_e64 s0, s18, v3
	s_or_b32 s0, vcc_lo, s0
	s_cmp_eq_u64 s[12:13], 0
	s_cselect_b32 s1, -1, 0
	s_or_b32 s0, s1, s0
	s_delay_alu instid0(SALU_CYCLE_1) | instskip(NEXT) | instid1(SALU_CYCLE_1)
	s_and_saveexec_b32 s1, s0
	s_xor_b32 s0, exec_lo, s1
	s_cbranch_execnz .LBB85_282
; %bb.207:
	s_or_saveexec_b32 s41, s0
	s_mov_b32 s0, 0
	s_xor_b32 exec_lo, exec_lo, s41
	s_cbranch_execz .LBB85_305
.LBB85_208:
	s_clause 0x1
	s_load_b32 s42, s[2:3], 0x290
	s_load_b64 s[22:23], s[2:3], 0x270
	v_cmp_gt_i64_e64 s0, s[14:15], 0
	v_mov_b64_e32 v[4:5], 0
	s_wait_kmcnt 0x0
	s_add_co_i32 s12, s42, -1
	s_delay_alu instid0(SALU_CYCLE_1) | instskip(SKIP_1) | instid1(SALU_CYCLE_1)
	s_cmp_gt_i32 s12, -1
	s_cselect_b32 s1, -1, 0
	s_and_b32 s0, s0, s1
	s_delay_alu instid0(SALU_CYCLE_1) | instskip(NEXT) | instid1(VALU_DEP_1)
	v_cndmask_b32_e64 v28, 0, 1, s0
	v_cmp_ne_u32_e32 vcc_lo, 1, v28
	s_cbranch_vccnz .LBB85_215
; %bb.209:
	global_load_b32 v4, v1, s[22:23]
	s_mov_b32 s1, 0
	s_mov_b64 s[20:21], 0xffffffff
	s_mov_b32 s13, s1
	v_mov_b32_e32 v6, 0
	s_lshl_b64 s[24:25], s[12:13], 3
	s_mov_b32 s13, s42
	s_add_nc_u64 s[24:25], s[2:3], s[24:25]
	s_delay_alu instid0(SALU_CYCLE_1) | instskip(SKIP_2) | instid1(VALU_DEP_1)
	s_add_nc_u64 s[24:25], s[24:25], 0x298
	s_wait_loadcnt 0x0
	v_ashrrev_i32_e32 v5, 31, v4
	v_mul_u64_e32 v[8:9], s[14:15], v[4:5]
	v_mov_b64_e32 v[4:5], 0
	s_branch .LBB85_211
.LBB85_210:                             ;   in Loop: Header=BB85_211 Depth=1
	s_or_b32 exec_lo, exec_lo, s0
	s_delay_alu instid0(VALU_DEP_1)
	v_mul_u64_e32 v[34:35], s[26:27], v[10:11]
	s_load_b64 s[26:27], s[24:25], 0x40
	s_add_co_i32 s13, s13, -1
	s_wait_xcnt 0x0
	s_add_nc_u64 s[24:25], s[24:25], -8
	s_cmp_eq_u32 s13, 0
	s_delay_alu instid0(VALU_DEP_1) | instskip(SKIP_1) | instid1(VALU_DEP_1)
	v_sub_nc_u64_e32 v[8:9], v[8:9], v[34:35]
	s_wait_kmcnt 0x0
	v_mad_nc_u64_u32 v[4:5], v8, s26, v[4:5]
	s_delay_alu instid0(VALU_DEP_1) | instskip(NEXT) | instid1(VALU_DEP_1)
	v_mad_u32 v1, v9, s26, v5
	v_mad_u32 v5, v8, s27, v1
	v_mov_b64_e32 v[8:9], v[10:11]
	s_cbranch_scc1 .LBB85_215
.LBB85_211:                             ; =>This Inner Loop Header: Depth=1
	s_load_b64 s[26:27], s[24:25], 0x0
                                        ; implicit-def: $vgpr10_vgpr11
	s_mov_b32 s0, exec_lo
	s_wait_kmcnt 0x0
	s_delay_alu instid0(VALU_DEP_1) | instskip(NEXT) | instid1(VALU_DEP_1)
	v_or_b32_e32 v7, s27, v9
	v_cmpx_ne_u64_e32 0, v[6:7]
	s_xor_b32 s34, exec_lo, s0
	s_cbranch_execz .LBB85_213
; %bb.212:                              ;   in Loop: Header=BB85_211 Depth=1
	s_ashr_i32 s28, s27, 31
	v_dual_mov_b32 v37, v6 :: v_dual_ashrrev_i32 v10, 31, v9
	s_mov_b32 s29, s28
	v_mov_b32_e32 v41, v6
	s_add_nc_u64 s[30:31], s[26:27], s[28:29]
	s_delay_alu instid0(VALU_DEP_2)
	v_mov_b32_e32 v11, v10
	s_xor_b64 s[30:31], s[30:31], s[28:29]
	v_mov_b32_e32 v45, v6
	s_cvt_f32_u32 s0, s30
	s_cvt_f32_u32 s29, s31
	s_sub_nc_u64 s[46:47], 0, s[30:31]
	v_add_nc_u64_e32 v[34:35], v[8:9], v[10:11]
	s_delay_alu instid0(SALU_CYCLE_1) | instskip(NEXT) | instid1(SALU_CYCLE_3)
	s_fmamk_f32 s0, s29, 0x4f800000, s0
	v_s_rcp_f32 s0, s0
	s_delay_alu instid0(VALU_DEP_1) | instskip(NEXT) | instid1(VALU_DEP_2)
	v_xor_b32_e32 v40, v35, v10
	v_xor_b32_e32 v36, v34, v10
	s_delay_alu instid0(TRANS32_DEP_1) | instskip(NEXT) | instid1(SALU_CYCLE_3)
	s_mul_f32 s0, s0, 0x5f7ffffc
	s_mul_f32 s29, s0, 0x2f800000
	s_delay_alu instid0(SALU_CYCLE_3) | instskip(NEXT) | instid1(SALU_CYCLE_3)
	s_trunc_f32 s29, s29
	s_fmamk_f32 s0, s29, 0xcf800000, s0
	s_cvt_u32_f32 s45, s29
	s_delay_alu instid0(SALU_CYCLE_2) | instskip(NEXT) | instid1(SALU_CYCLE_3)
	s_cvt_u32_f32 s44, s0
	s_mul_u64 s[48:49], s[46:47], s[44:45]
	s_delay_alu instid0(SALU_CYCLE_1)
	s_mul_hi_u32 s51, s44, s49
	s_mul_i32 s50, s44, s49
	s_mul_hi_u32 s0, s44, s48
	s_mul_i32 s35, s45, s48
	s_add_nc_u64 s[50:51], s[0:1], s[50:51]
	s_mul_hi_u32 s29, s45, s48
	s_mul_hi_u32 s43, s45, s49
	s_add_co_u32 s0, s50, s35
	s_add_co_ci_u32 s0, s51, s29
	s_mul_i32 s48, s45, s49
	s_add_co_ci_u32 s49, s43, 0
	s_delay_alu instid0(SALU_CYCLE_1) | instskip(NEXT) | instid1(SALU_CYCLE_1)
	s_add_nc_u64 s[48:49], s[0:1], s[48:49]
	s_add_co_u32 s44, s44, s48
	s_cselect_b32 s0, -1, 0
	s_delay_alu instid0(SALU_CYCLE_1) | instskip(SKIP_1) | instid1(SALU_CYCLE_1)
	s_cmp_lg_u32 s0, 0
	s_add_co_ci_u32 s45, s45, s49
	s_mul_u64 s[46:47], s[46:47], s[44:45]
	s_delay_alu instid0(SALU_CYCLE_1)
	s_mul_hi_u32 s49, s44, s47
	s_mul_i32 s48, s44, s47
	s_mul_hi_u32 s0, s44, s46
	s_mul_i32 s35, s45, s46
	s_add_nc_u64 s[48:49], s[0:1], s[48:49]
	s_mul_hi_u32 s29, s45, s46
	s_mul_hi_u32 s43, s45, s47
	s_add_co_u32 s0, s48, s35
	s_add_co_ci_u32 s0, s49, s29
	s_mul_i32 s46, s45, s47
	s_add_co_ci_u32 s47, s43, 0
	s_delay_alu instid0(SALU_CYCLE_1) | instskip(NEXT) | instid1(SALU_CYCLE_1)
	s_add_nc_u64 s[46:47], s[0:1], s[46:47]
	s_add_co_u32 s44, s44, s46
	s_cselect_b32 s0, -1, 0
	v_mul_hi_u32 v44, v36, s44
	s_cmp_lg_u32 s0, 0
	s_add_co_ci_u32 s0, s45, s47
	s_and_b64 s[46:47], s[44:45], s[20:21]
	v_mul_u64_e32 v[38:39], s[0:1], v[36:37]
	v_mul_u64_e32 v[34:35], s[46:47], v[40:41]
	;; [unrolled: 1-line block ×3, first 2 shown]
	s_delay_alu instid0(VALU_DEP_3) | instskip(NEXT) | instid1(VALU_DEP_1)
	v_add_nc_u64_e32 v[38:39], v[44:45], v[38:39]
	v_add_co_u32 v1, vcc_lo, v38, v34
	s_delay_alu instid0(VALU_DEP_2) | instskip(NEXT) | instid1(VALU_DEP_4)
	v_add_co_ci_u32_e32 v44, vcc_lo, v39, v35, vcc_lo
	v_add_co_ci_u32_e32 v43, vcc_lo, 0, v43, vcc_lo
	s_delay_alu instid0(VALU_DEP_1) | instskip(NEXT) | instid1(VALU_DEP_1)
	v_add_nc_u64_e32 v[34:35], v[44:45], v[42:43]
	v_mul_u64_e32 v[38:39], s[30:31], v[34:35]
	s_delay_alu instid0(VALU_DEP_1) | instskip(NEXT) | instid1(VALU_DEP_2)
	v_sub_nc_u32_e32 v1, v40, v39
	v_sub_co_u32 v3, vcc_lo, v36, v38
	s_delay_alu instid0(VALU_DEP_1) | instskip(NEXT) | instid1(VALU_DEP_3)
	v_sub_co_ci_u32_e64 v11, null, v40, v39, vcc_lo
	v_subrev_co_ci_u32_e64 v1, null, s31, v1, vcc_lo
	s_delay_alu instid0(VALU_DEP_3) | instskip(SKIP_1) | instid1(VALU_DEP_3)
	v_sub_co_u32 v7, s0, v3, s30
	v_add_nc_u64_e32 v[38:39], 1, v[34:35]
	v_subrev_co_ci_u32_e64 v1, null, 0, v1, s0
	s_delay_alu instid0(VALU_DEP_3) | instskip(SKIP_1) | instid1(VALU_DEP_3)
	v_cmp_le_u32_e32 vcc_lo, s30, v7
	v_cndmask_b32_e64 v7, 0, -1, vcc_lo
	v_cmp_le_u32_e32 vcc_lo, s31, v1
	v_cndmask_b32_e64 v36, 0, -1, vcc_lo
	v_cmp_le_u32_e32 vcc_lo, s30, v3
	v_cndmask_b32_e64 v3, 0, -1, vcc_lo
	v_cmp_le_u32_e32 vcc_lo, s31, v11
	v_cndmask_b32_e64 v40, 0, -1, vcc_lo
	v_cmp_eq_u32_e32 vcc_lo, s31, v1
	v_cndmask_b32_e32 v1, v36, v7, vcc_lo
	v_cmp_eq_u32_e32 vcc_lo, s31, v11
	v_add_nc_u64_e32 v[36:37], 2, v[34:35]
	v_cndmask_b32_e32 v3, v40, v3, vcc_lo
	s_delay_alu instid0(VALU_DEP_4) | instskip(NEXT) | instid1(VALU_DEP_3)
	v_cmp_ne_u32_e32 vcc_lo, 0, v1
	v_cndmask_b32_e32 v1, v39, v37, vcc_lo
	s_delay_alu instid0(VALU_DEP_3) | instskip(SKIP_1) | instid1(VALU_DEP_1)
	v_cmp_ne_u32_e64 s0, 0, v3
	v_dual_cndmask_b32 v3, v38, v36, vcc_lo :: v_dual_bitop2_b32 v10, s28, v10 bitop3:0x14
	v_dual_cndmask_b32 v1, v35, v1, s0 :: v_dual_cndmask_b32 v3, v34, v3, s0
	s_delay_alu instid0(VALU_DEP_1) | instskip(NEXT) | instid1(VALU_DEP_2)
	v_dual_mov_b32 v11, v10 :: v_dual_bitop2_b32 v35, v1, v10 bitop3:0x14
	v_xor_b32_e32 v34, v3, v10
	s_delay_alu instid0(VALU_DEP_1)
	v_sub_nc_u64_e32 v[10:11], v[34:35], v[10:11]
.LBB85_213:                             ;   in Loop: Header=BB85_211 Depth=1
	s_and_not1_saveexec_b32 s0, s34
	s_cbranch_execz .LBB85_210
; %bb.214:                              ;   in Loop: Header=BB85_211 Depth=1
	v_cvt_f32_u32_e32 v1, s26
	s_sub_co_i32 s28, 0, s26
	v_mov_b32_e32 v11, v6
	s_delay_alu instid0(VALU_DEP_2) | instskip(SKIP_1) | instid1(TRANS32_DEP_1)
	v_rcp_iflag_f32_e32 v1, v1
	v_nop
	v_mul_f32_e32 v1, 0x4f7ffffe, v1
	s_delay_alu instid0(VALU_DEP_1) | instskip(NEXT) | instid1(VALU_DEP_1)
	v_cvt_u32_f32_e32 v1, v1
	v_mul_lo_u32 v3, s28, v1
	s_delay_alu instid0(VALU_DEP_1) | instskip(NEXT) | instid1(VALU_DEP_1)
	v_mul_hi_u32 v3, v1, v3
	v_add_nc_u32_e32 v1, v1, v3
	s_delay_alu instid0(VALU_DEP_1) | instskip(NEXT) | instid1(VALU_DEP_1)
	v_mul_hi_u32 v1, v8, v1
	v_mul_lo_u32 v3, v1, s26
	s_delay_alu instid0(VALU_DEP_1) | instskip(NEXT) | instid1(VALU_DEP_1)
	v_sub_nc_u32_e32 v3, v8, v3
	v_subrev_nc_u32_e32 v10, s26, v3
	v_cmp_le_u32_e32 vcc_lo, s26, v3
	s_delay_alu instid0(VALU_DEP_2) | instskip(NEXT) | instid1(VALU_DEP_1)
	v_dual_add_nc_u32 v7, 1, v1 :: v_dual_cndmask_b32 v3, v3, v10, vcc_lo
	v_cndmask_b32_e32 v1, v1, v7, vcc_lo
	s_delay_alu instid0(VALU_DEP_2) | instskip(NEXT) | instid1(VALU_DEP_2)
	v_cmp_le_u32_e32 vcc_lo, s26, v3
	v_add_nc_u32_e32 v7, 1, v1
	s_delay_alu instid0(VALU_DEP_1)
	v_cndmask_b32_e32 v10, v1, v7, vcc_lo
	s_branch .LBB85_210
.LBB85_215:
	s_load_b64 s[20:21], s[2:3], 0x318
	s_get_pc_i64 s[0:1]
	s_add_nc_u64 s[0:1], s[0:1], .str.9@rel64+4
	s_mov_b32 s43, s19
	s_cmp_lg_u64 s[0:1], 0
	s_mov_b32 s1, -1
	s_cselect_b32 s48, -1, 0
	s_mov_b32 s0, exec_lo
	v_cmpx_gt_i32_e64 v0, v2
	s_cbranch_execz .LBB85_222
; %bb.216:
	v_lshlrev_b64_e32 v[4:5], 2, v[4:5]
	v_dual_ashrrev_i32 v3, 31, v2 :: v_dual_ashrrev_i32 v1, 31, v0
	s_mov_b32 s13, 0
	s_xor_b32 s24, s48, -1
                                        ; implicit-def: $sgpr1
                                        ; implicit-def: $sgpr26
                                        ; implicit-def: $sgpr25
	s_delay_alu instid0(VALU_DEP_1) | instskip(SKIP_2) | instid1(VALU_DEP_2)
	v_lshl_add_u64 v[2:3], v[2:3], 2, v[4:5]
	s_wait_kmcnt 0x0
	v_add_nc_u64_e32 v[4:5], s[20:21], v[4:5]
	v_add_nc_u64_e32 v[2:3], s[20:21], v[2:3]
	s_delay_alu instid0(VALU_DEP_2) | instskip(NEXT) | instid1(VALU_DEP_2)
	v_lshl_add_u64 v[0:1], v[0:1], 2, v[4:5]
	v_add_nc_u64_e32 v[2:3], 4, v[2:3]
	s_branch .LBB85_218
.LBB85_217:                             ;   in Loop: Header=BB85_218 Depth=1
	s_or_b32 exec_lo, exec_lo, s27
	s_xor_b32 s27, s25, -1
	s_and_b32 s28, exec_lo, s26
	s_delay_alu instid0(SALU_CYCLE_1) | instskip(SKIP_2) | instid1(SALU_CYCLE_1)
	s_or_b32 s13, s28, s13
	s_and_not1_b32 s1, s1, exec_lo
	s_and_b32 s27, s27, exec_lo
	s_or_b32 s1, s1, s27
	s_and_not1_b32 exec_lo, exec_lo, s13
	s_cbranch_execz .LBB85_220
.LBB85_218:                             ; =>This Inner Loop Header: Depth=1
	s_or_b32 s25, s25, exec_lo
	s_or_b32 s26, s26, exec_lo
	s_mov_b32 s27, exec_lo
	s_delay_alu instid0(VALU_DEP_1)
	v_cmpx_lt_u64_e64 v[2:3], v[0:1]
	s_cbranch_execz .LBB85_217
; %bb.219:                              ;   in Loop: Header=BB85_218 Depth=1
	global_load_b64 v[4:5], v[2:3], off offset:-4
	s_wait_xcnt 0x0
	v_add_nc_u64_e32 v[2:3], 4, v[2:3]
	s_and_not1_b32 s26, s26, exec_lo
	s_and_not1_b32 s25, s25, exec_lo
	s_wait_loadcnt 0x0
	v_cmp_ge_i32_e32 vcc_lo, v4, v5
	s_or_b32 s28, s24, vcc_lo
	s_delay_alu instid0(SALU_CYCLE_1) | instskip(NEXT) | instid1(SALU_CYCLE_1)
	s_and_b32 s28, s28, exec_lo
	s_or_b32 s26, s26, s28
	s_branch .LBB85_217
.LBB85_220:
	s_or_b32 exec_lo, exec_lo, s13
	s_mov_b32 s13, -1
	s_mov_b32 s24, s19
	s_and_saveexec_b32 s25, s1
	s_delay_alu instid0(SALU_CYCLE_1)
	s_xor_b32 s1, exec_lo, s25
	s_cbranch_execnz .LBB85_257
.LBB85_221:
	s_or_b32 exec_lo, exec_lo, s1
	s_delay_alu instid0(SALU_CYCLE_1) | instskip(SKIP_1) | instid1(SALU_CYCLE_1)
	s_and_not1_b32 s1, s19, exec_lo
	s_and_b32 s24, s24, exec_lo
	s_or_b32 s43, s1, s24
	s_or_not1_b32 s1, s13, exec_lo
.LBB85_222:
	s_or_b32 exec_lo, exec_lo, s0
	s_mov_b32 s0, 0
	s_and_saveexec_b32 s44, s1
	s_cbranch_execz .LBB85_304
; %bb.223:
	global_load_b32 v0, v33, s[6:7]
	s_mov_b32 s45, s43
	s_mov_b32 s0, exec_lo
	s_wait_loadcnt 0x0
	v_cmpx_ne_u32_e64 v0, v24
	s_xor_b32 s0, exec_lo, s0
	s_cbranch_execnz .LBB85_283
; %bb.224:
	s_or_saveexec_b32 s46, s0
	s_mov_b32 s0, 0
	s_xor_b32 exec_lo, exec_lo, s46
	s_cbranch_execz .LBB85_303
.LBB85_225:
	global_load_b32 v0, v32, s[16:17]
	s_mov_b32 s47, s45
	s_mov_b32 s0, exec_lo
	s_wait_loadcnt 0x0
	v_cmpx_ne_u32_e64 v0, v23
	s_xor_b32 s0, exec_lo, s0
	s_cbranch_execnz .LBB85_289
; %bb.226:
	s_or_saveexec_b32 s49, s0
	s_mov_b32 s0, 0
	s_xor_b32 exec_lo, exec_lo, s49
	s_cbranch_execz .LBB85_302
.LBB85_227:
	global_load_b32 v2, v31, s[8:9]
	global_load_b32 v0, v30, s[10:11]
	s_mov_b32 s50, s47
	s_wait_loadcnt 0x0
	v_sub_nc_u32_e32 v1, v0, v2
	s_delay_alu instid0(VALU_DEP_1) | instskip(SKIP_4) | instid1(SALU_CYCLE_1)
	v_cmp_gt_i32_e32 vcc_lo, v24, v1
	v_cmp_lt_i32_e64 s0, s18, v1
	s_or_b32 s0, vcc_lo, s0
	s_wait_xcnt 0x0
	s_and_saveexec_b32 s1, s0
	s_xor_b32 s0, exec_lo, s1
	s_cbranch_execnz .LBB85_311
; %bb.228:
	s_or_saveexec_b32 s51, s0
	s_mov_b32 s0, 0
	s_xor_b32 exec_lo, exec_lo, s51
	s_cbranch_execz .LBB85_301
.LBB85_229:
	v_cmp_ne_u32_e32 vcc_lo, 1, v28
	v_mov_b64_e32 v[4:5], 0
	s_cbranch_vccnz .LBB85_236
; %bb.230:
	global_load_b32 v4, v29, s[22:23]
	s_mov_b32 s1, 0
	s_mov_b64 s[24:25], 0xffffffff
	s_mov_b32 s13, s1
	v_mov_b32_e32 v6, 0
	s_lshl_b64 s[26:27], s[12:13], 3
	s_mov_b32 s13, s42
	s_add_nc_u64 s[26:27], s[2:3], s[26:27]
	s_delay_alu instid0(SALU_CYCLE_1) | instskip(SKIP_2) | instid1(VALU_DEP_1)
	s_add_nc_u64 s[26:27], s[26:27], 0x298
	s_wait_loadcnt 0x0
	v_ashrrev_i32_e32 v5, 31, v4
	v_mul_u64_e32 v[8:9], s[14:15], v[4:5]
	v_mov_b64_e32 v[4:5], 0
	s_branch .LBB85_232
.LBB85_231:                             ;   in Loop: Header=BB85_232 Depth=1
	s_or_b32 exec_lo, exec_lo, s0
	s_delay_alu instid0(VALU_DEP_1)
	v_mul_u64_e32 v[30:31], s[28:29], v[10:11]
	s_load_b64 s[28:29], s[26:27], 0x40
	s_add_co_i32 s13, s13, -1
	s_wait_xcnt 0x0
	s_add_nc_u64 s[26:27], s[26:27], -8
	s_cmp_eq_u32 s13, 0
	s_delay_alu instid0(VALU_DEP_1) | instskip(SKIP_1) | instid1(VALU_DEP_1)
	v_sub_nc_u64_e32 v[8:9], v[8:9], v[30:31]
	s_wait_kmcnt 0x0
	v_mad_nc_u64_u32 v[4:5], v8, s28, v[4:5]
	s_delay_alu instid0(VALU_DEP_1) | instskip(NEXT) | instid1(VALU_DEP_1)
	v_mad_u32 v1, v9, s28, v5
	v_mad_u32 v5, v8, s29, v1
	v_mov_b64_e32 v[8:9], v[10:11]
	s_cbranch_scc1 .LBB85_236
.LBB85_232:                             ; =>This Inner Loop Header: Depth=1
	s_load_b64 s[28:29], s[26:27], 0x0
                                        ; implicit-def: $vgpr10_vgpr11
	s_mov_b32 s0, exec_lo
	s_wait_kmcnt 0x0
	s_delay_alu instid0(VALU_DEP_1) | instskip(NEXT) | instid1(VALU_DEP_1)
	v_or_b32_e32 v7, s29, v9
	v_cmpx_ne_u64_e32 0, v[6:7]
	s_xor_b32 s52, exec_lo, s0
	s_cbranch_execz .LBB85_234
; %bb.233:                              ;   in Loop: Header=BB85_232 Depth=1
	s_ashr_i32 s30, s29, 31
	v_dual_mov_b32 v33, v6 :: v_dual_ashrrev_i32 v10, 31, v9
	s_mov_b32 s31, s30
	v_mov_b32_e32 v37, v6
	s_add_nc_u64 s[34:35], s[28:29], s[30:31]
	s_delay_alu instid0(VALU_DEP_2)
	v_mov_b32_e32 v11, v10
	s_xor_b64 s[34:35], s[34:35], s[30:31]
	v_mov_b32_e32 v41, v6
	s_cvt_f32_u32 s0, s34
	s_cvt_f32_u32 s31, s35
	s_sub_nc_u64 s[56:57], 0, s[34:35]
	v_add_nc_u64_e32 v[30:31], v[8:9], v[10:11]
	s_delay_alu instid0(SALU_CYCLE_1) | instskip(NEXT) | instid1(SALU_CYCLE_3)
	s_fmamk_f32 s0, s31, 0x4f800000, s0
	v_s_rcp_f32 s0, s0
	s_delay_alu instid0(VALU_DEP_1) | instskip(NEXT) | instid1(VALU_DEP_2)
	v_xor_b32_e32 v36, v31, v10
	v_xor_b32_e32 v32, v30, v10
	s_delay_alu instid0(TRANS32_DEP_1) | instskip(NEXT) | instid1(SALU_CYCLE_3)
	s_mul_f32 s0, s0, 0x5f7ffffc
	s_mul_f32 s31, s0, 0x2f800000
	s_delay_alu instid0(SALU_CYCLE_3) | instskip(NEXT) | instid1(SALU_CYCLE_3)
	s_trunc_f32 s31, s31
	s_fmamk_f32 s0, s31, 0xcf800000, s0
	s_cvt_u32_f32 s55, s31
	s_delay_alu instid0(SALU_CYCLE_2) | instskip(NEXT) | instid1(SALU_CYCLE_3)
	s_cvt_u32_f32 s54, s0
	s_mul_u64 s[58:59], s[56:57], s[54:55]
	s_delay_alu instid0(SALU_CYCLE_1)
	s_mul_hi_u32 s61, s54, s59
	s_mul_i32 s60, s54, s59
	s_mul_hi_u32 s0, s54, s58
	s_mul_i32 s53, s55, s58
	s_add_nc_u64 s[60:61], s[0:1], s[60:61]
	s_mul_hi_u32 s31, s55, s58
	s_mul_hi_u32 s62, s55, s59
	s_add_co_u32 s0, s60, s53
	s_add_co_ci_u32 s0, s61, s31
	s_mul_i32 s58, s55, s59
	s_add_co_ci_u32 s59, s62, 0
	s_delay_alu instid0(SALU_CYCLE_1) | instskip(NEXT) | instid1(SALU_CYCLE_1)
	s_add_nc_u64 s[58:59], s[0:1], s[58:59]
	s_add_co_u32 s54, s54, s58
	s_cselect_b32 s0, -1, 0
	s_delay_alu instid0(SALU_CYCLE_1) | instskip(SKIP_1) | instid1(SALU_CYCLE_1)
	s_cmp_lg_u32 s0, 0
	s_add_co_ci_u32 s55, s55, s59
	s_mul_u64 s[56:57], s[56:57], s[54:55]
	s_delay_alu instid0(SALU_CYCLE_1)
	s_mul_hi_u32 s59, s54, s57
	s_mul_i32 s58, s54, s57
	s_mul_hi_u32 s0, s54, s56
	s_mul_i32 s53, s55, s56
	s_add_nc_u64 s[58:59], s[0:1], s[58:59]
	s_mul_hi_u32 s31, s55, s56
	s_mul_hi_u32 s60, s55, s57
	s_add_co_u32 s0, s58, s53
	s_add_co_ci_u32 s0, s59, s31
	s_mul_i32 s56, s55, s57
	s_add_co_ci_u32 s57, s60, 0
	s_delay_alu instid0(SALU_CYCLE_1) | instskip(NEXT) | instid1(SALU_CYCLE_1)
	s_add_nc_u64 s[56:57], s[0:1], s[56:57]
	s_add_co_u32 s54, s54, s56
	s_cselect_b32 s0, -1, 0
	v_mul_hi_u32 v40, v32, s54
	s_cmp_lg_u32 s0, 0
	s_add_co_ci_u32 s0, s55, s57
	s_and_b64 s[56:57], s[54:55], s[24:25]
	v_mul_u64_e32 v[34:35], s[0:1], v[32:33]
	v_mul_u64_e32 v[30:31], s[56:57], v[36:37]
	;; [unrolled: 1-line block ×3, first 2 shown]
	s_delay_alu instid0(VALU_DEP_3) | instskip(NEXT) | instid1(VALU_DEP_1)
	v_add_nc_u64_e32 v[34:35], v[40:41], v[34:35]
	v_add_co_u32 v1, vcc_lo, v34, v30
	s_delay_alu instid0(VALU_DEP_2) | instskip(NEXT) | instid1(VALU_DEP_4)
	v_add_co_ci_u32_e32 v40, vcc_lo, v35, v31, vcc_lo
	v_add_co_ci_u32_e32 v39, vcc_lo, 0, v39, vcc_lo
	s_delay_alu instid0(VALU_DEP_1) | instskip(NEXT) | instid1(VALU_DEP_1)
	v_add_nc_u64_e32 v[30:31], v[40:41], v[38:39]
	v_mul_u64_e32 v[34:35], s[34:35], v[30:31]
	s_delay_alu instid0(VALU_DEP_1) | instskip(NEXT) | instid1(VALU_DEP_2)
	v_sub_nc_u32_e32 v1, v36, v35
	v_sub_co_u32 v3, vcc_lo, v32, v34
	s_delay_alu instid0(VALU_DEP_1) | instskip(NEXT) | instid1(VALU_DEP_3)
	v_sub_co_ci_u32_e64 v11, null, v36, v35, vcc_lo
	v_subrev_co_ci_u32_e64 v1, null, s35, v1, vcc_lo
	s_delay_alu instid0(VALU_DEP_3) | instskip(SKIP_1) | instid1(VALU_DEP_3)
	v_sub_co_u32 v7, s0, v3, s34
	v_add_nc_u64_e32 v[32:33], 2, v[30:31]
	v_subrev_co_ci_u32_e64 v1, null, 0, v1, s0
	s_delay_alu instid0(VALU_DEP_3) | instskip(SKIP_2) | instid1(VALU_DEP_4)
	v_cmp_le_u32_e32 vcc_lo, s34, v7
	v_add_nc_u64_e32 v[34:35], 1, v[30:31]
	v_cndmask_b32_e64 v7, 0, -1, vcc_lo
	v_cmp_le_u32_e32 vcc_lo, s35, v1
	v_cndmask_b32_e64 v29, 0, -1, vcc_lo
	v_cmp_le_u32_e32 vcc_lo, s34, v3
	;; [unrolled: 2-line block ×3, first 2 shown]
	v_cndmask_b32_e64 v36, 0, -1, vcc_lo
	v_cmp_eq_u32_e32 vcc_lo, s35, v1
	v_cndmask_b32_e32 v1, v29, v7, vcc_lo
	v_cmp_eq_u32_e32 vcc_lo, s35, v11
	s_delay_alu instid0(VALU_DEP_4) | instskip(NEXT) | instid1(VALU_DEP_3)
	v_cndmask_b32_e32 v3, v36, v3, vcc_lo
	v_cmp_ne_u32_e32 vcc_lo, 0, v1
	v_cndmask_b32_e32 v1, v35, v33, vcc_lo
	s_delay_alu instid0(VALU_DEP_3) | instskip(SKIP_1) | instid1(VALU_DEP_1)
	v_cmp_ne_u32_e64 s0, 0, v3
	v_dual_cndmask_b32 v3, v34, v32, vcc_lo :: v_dual_bitop2_b32 v10, s30, v10 bitop3:0x14
	v_dual_cndmask_b32 v1, v31, v1, s0 :: v_dual_cndmask_b32 v3, v30, v3, s0
	s_delay_alu instid0(VALU_DEP_1) | instskip(NEXT) | instid1(VALU_DEP_2)
	v_dual_mov_b32 v11, v10 :: v_dual_bitop2_b32 v31, v1, v10 bitop3:0x14
	v_xor_b32_e32 v30, v3, v10
	s_delay_alu instid0(VALU_DEP_1)
	v_sub_nc_u64_e32 v[10:11], v[30:31], v[10:11]
.LBB85_234:                             ;   in Loop: Header=BB85_232 Depth=1
	s_and_not1_saveexec_b32 s0, s52
	s_cbranch_execz .LBB85_231
; %bb.235:                              ;   in Loop: Header=BB85_232 Depth=1
	v_cvt_f32_u32_e32 v1, s28
	s_sub_co_i32 s30, 0, s28
	v_mov_b32_e32 v11, v6
	s_delay_alu instid0(VALU_DEP_2) | instskip(SKIP_1) | instid1(TRANS32_DEP_1)
	v_rcp_iflag_f32_e32 v1, v1
	v_nop
	v_mul_f32_e32 v1, 0x4f7ffffe, v1
	s_delay_alu instid0(VALU_DEP_1) | instskip(NEXT) | instid1(VALU_DEP_1)
	v_cvt_u32_f32_e32 v1, v1
	v_mul_lo_u32 v3, s30, v1
	s_delay_alu instid0(VALU_DEP_1) | instskip(NEXT) | instid1(VALU_DEP_1)
	v_mul_hi_u32 v3, v1, v3
	v_add_nc_u32_e32 v1, v1, v3
	s_delay_alu instid0(VALU_DEP_1) | instskip(NEXT) | instid1(VALU_DEP_1)
	v_mul_hi_u32 v1, v8, v1
	v_mul_lo_u32 v3, v1, s28
	s_delay_alu instid0(VALU_DEP_1) | instskip(NEXT) | instid1(VALU_DEP_1)
	v_sub_nc_u32_e32 v3, v8, v3
	v_subrev_nc_u32_e32 v10, s28, v3
	v_cmp_le_u32_e32 vcc_lo, s28, v3
	s_delay_alu instid0(VALU_DEP_2) | instskip(NEXT) | instid1(VALU_DEP_1)
	v_dual_add_nc_u32 v7, 1, v1 :: v_dual_cndmask_b32 v3, v3, v10, vcc_lo
	v_cndmask_b32_e32 v1, v1, v7, vcc_lo
	s_delay_alu instid0(VALU_DEP_2) | instskip(NEXT) | instid1(VALU_DEP_2)
	v_cmp_le_u32_e32 vcc_lo, s28, v3
	v_add_nc_u32_e32 v7, 1, v1
	s_delay_alu instid0(VALU_DEP_1)
	v_cndmask_b32_e32 v10, v1, v7, vcc_lo
	s_branch .LBB85_231
.LBB85_236:
	s_mov_b32 s1, -1
	s_mov_b32 s52, s50
	s_mov_b32 s0, exec_lo
	v_cmpx_gt_i32_e64 v0, v2
	s_cbranch_execz .LBB85_243
; %bb.237:
	s_delay_alu instid0(VALU_DEP_2) | instskip(SKIP_3) | instid1(VALU_DEP_1)
	v_lshlrev_b64_e32 v[4:5], 2, v[4:5]
	v_dual_ashrrev_i32 v3, 31, v2 :: v_dual_ashrrev_i32 v1, 31, v0
	s_mov_b32 s13, 0
	s_xor_b32 s24, s48, -1
                                        ; implicit-def: $sgpr1
                                        ; implicit-def: $sgpr26
                                        ; implicit-def: $sgpr25
	v_lshl_add_u64 v[2:3], v[2:3], 2, v[4:5]
	s_wait_kmcnt 0x0
	v_add_nc_u64_e32 v[4:5], s[20:21], v[4:5]
	s_delay_alu instid0(VALU_DEP_2) | instskip(NEXT) | instid1(VALU_DEP_2)
	v_add_nc_u64_e32 v[2:3], s[20:21], v[2:3]
	v_lshl_add_u64 v[0:1], v[0:1], 2, v[4:5]
	s_delay_alu instid0(VALU_DEP_2)
	v_add_nc_u64_e32 v[2:3], 4, v[2:3]
	s_branch .LBB85_239
.LBB85_238:                             ;   in Loop: Header=BB85_239 Depth=1
	s_or_b32 exec_lo, exec_lo, s27
	s_xor_b32 s27, s25, -1
	s_and_b32 s28, exec_lo, s26
	s_delay_alu instid0(SALU_CYCLE_1) | instskip(SKIP_2) | instid1(SALU_CYCLE_1)
	s_or_b32 s13, s28, s13
	s_and_not1_b32 s1, s1, exec_lo
	s_and_b32 s27, s27, exec_lo
	s_or_b32 s1, s1, s27
	s_and_not1_b32 exec_lo, exec_lo, s13
	s_cbranch_execz .LBB85_241
.LBB85_239:                             ; =>This Inner Loop Header: Depth=1
	s_or_b32 s25, s25, exec_lo
	s_or_b32 s26, s26, exec_lo
	s_mov_b32 s27, exec_lo
	s_delay_alu instid0(VALU_DEP_1)
	v_cmpx_lt_u64_e64 v[2:3], v[0:1]
	s_cbranch_execz .LBB85_238
; %bb.240:                              ;   in Loop: Header=BB85_239 Depth=1
	global_load_b64 v[4:5], v[2:3], off offset:-4
	s_wait_xcnt 0x0
	v_add_nc_u64_e32 v[2:3], 4, v[2:3]
	s_and_not1_b32 s26, s26, exec_lo
	s_and_not1_b32 s25, s25, exec_lo
	s_wait_loadcnt 0x0
	v_cmp_ge_i32_e32 vcc_lo, v4, v5
	s_or_b32 s28, s24, vcc_lo
	s_delay_alu instid0(SALU_CYCLE_1) | instskip(NEXT) | instid1(SALU_CYCLE_1)
	s_and_b32 s28, s28, exec_lo
	s_or_b32 s26, s26, s28
	s_branch .LBB85_238
.LBB85_241:
	s_or_b32 exec_lo, exec_lo, s13
	s_mov_b32 s13, -1
	s_mov_b32 s24, s50
	s_and_saveexec_b32 s25, s1
	s_delay_alu instid0(SALU_CYCLE_1)
	s_xor_b32 s1, exec_lo, s25
	s_cbranch_execnz .LBB85_281
.LBB85_242:
	s_or_b32 exec_lo, exec_lo, s1
	s_delay_alu instid0(SALU_CYCLE_1) | instskip(SKIP_1) | instid1(SALU_CYCLE_1)
	s_and_not1_b32 s1, s50, exec_lo
	s_and_b32 s24, s24, exec_lo
	s_or_b32 s52, s1, s24
	s_or_not1_b32 s1, s13, exec_lo
.LBB85_243:
	s_or_b32 exec_lo, exec_lo, s0
	s_mov_b32 s0, 0
	s_and_saveexec_b32 s53, s1
	s_cbranch_execz .LBB85_300
; %bb.244:
	global_load_b32 v0, v27, s[6:7]
	s_mov_b32 s54, s52
	s_mov_b32 s0, exec_lo
	s_wait_loadcnt 0x0
	v_cmpx_ne_u32_e64 v0, v24
	s_xor_b32 s0, exec_lo, s0
	s_cbranch_execnz .LBB85_312
; %bb.245:
	s_or_saveexec_b32 s55, s0
	s_mov_b32 s0, 0
	s_xor_b32 exec_lo, exec_lo, s55
	s_cbranch_execz .LBB85_299
.LBB85_246:
	global_load_b32 v0, v26, s[16:17]
	s_mov_b32 s56, s54
	s_mov_b32 s0, exec_lo
	s_wait_loadcnt 0x0
	v_cmpx_ne_u32_e64 v0, v23
	s_xor_b32 s0, exec_lo, s0
	s_cbranch_execnz .LBB85_313
; %bb.247:
	s_or_saveexec_b32 s57, s0
	s_mov_b32 s0, 0
	s_xor_b32 exec_lo, exec_lo, s57
	s_cbranch_execz .LBB85_298
.LBB85_248:
	global_load_b32 v2, v25, s[8:9]
	global_load_b32 v0, v22, s[10:11]
	s_mov_b32 s58, s56
	s_wait_loadcnt 0x0
	v_sub_nc_u32_e32 v1, v0, v2
	s_delay_alu instid0(VALU_DEP_1) | instskip(SKIP_4) | instid1(SALU_CYCLE_1)
	v_cmp_gt_i32_e32 vcc_lo, v24, v1
	v_cmp_lt_i32_e64 s0, s18, v1
	s_or_b32 s0, vcc_lo, s0
	s_wait_xcnt 0x0
	s_and_saveexec_b32 s1, s0
	s_xor_b32 s0, exec_lo, s1
	s_cbranch_execnz .LBB85_315
; %bb.249:
	s_or_saveexec_b32 s59, s0
	s_mov_b32 s0, 0
	s_xor_b32 exec_lo, exec_lo, s59
	s_cbranch_execz .LBB85_297
.LBB85_250:
	v_cmp_ne_u32_e32 vcc_lo, 1, v28
	v_mov_b64_e32 v[4:5], 0
	s_cbranch_vccnz .LBB85_259
; %bb.251:
	global_load_b32 v4, v21, s[22:23]
	s_mov_b32 s1, 0
	s_mov_b64 s[24:25], 0xffffffff
	s_mov_b32 s13, s1
	v_mov_b32_e32 v6, 0
	s_lshl_b64 s[26:27], s[12:13], 3
	s_mov_b32 s13, s42
	s_add_nc_u64 s[26:27], s[2:3], s[26:27]
	s_delay_alu instid0(SALU_CYCLE_1) | instskip(SKIP_2) | instid1(VALU_DEP_1)
	s_add_nc_u64 s[26:27], s[26:27], 0x298
	s_wait_loadcnt 0x0
	v_ashrrev_i32_e32 v5, 31, v4
	v_mul_u64_e32 v[8:9], s[14:15], v[4:5]
	v_mov_b64_e32 v[4:5], 0
	s_branch .LBB85_253
.LBB85_252:                             ;   in Loop: Header=BB85_253 Depth=1
	s_or_b32 exec_lo, exec_lo, s0
	s_delay_alu instid0(VALU_DEP_1)
	v_mul_u64_e32 v[26:27], s[28:29], v[10:11]
	s_load_b64 s[28:29], s[26:27], 0x40
	s_add_co_i32 s13, s13, -1
	s_wait_xcnt 0x0
	s_add_nc_u64 s[26:27], s[26:27], -8
	s_cmp_eq_u32 s13, 0
	s_delay_alu instid0(VALU_DEP_1) | instskip(SKIP_1) | instid1(VALU_DEP_1)
	v_sub_nc_u64_e32 v[8:9], v[8:9], v[26:27]
	s_wait_kmcnt 0x0
	v_mad_nc_u64_u32 v[4:5], v8, s28, v[4:5]
	s_delay_alu instid0(VALU_DEP_1) | instskip(NEXT) | instid1(VALU_DEP_1)
	v_mad_u32 v1, v9, s28, v5
	v_mad_u32 v5, v8, s29, v1
	v_mov_b64_e32 v[8:9], v[10:11]
	s_cbranch_scc1 .LBB85_259
.LBB85_253:                             ; =>This Inner Loop Header: Depth=1
	s_load_b64 s[28:29], s[26:27], 0x0
                                        ; implicit-def: $vgpr10_vgpr11
	s_mov_b32 s0, exec_lo
	s_wait_kmcnt 0x0
	s_delay_alu instid0(VALU_DEP_1) | instskip(NEXT) | instid1(VALU_DEP_1)
	v_or_b32_e32 v7, s29, v9
	v_cmpx_ne_u64_e32 0, v[6:7]
	s_xor_b32 s60, exec_lo, s0
	s_cbranch_execz .LBB85_255
; %bb.254:                              ;   in Loop: Header=BB85_253 Depth=1
	s_ashr_i32 s30, s29, 31
	v_dual_mov_b32 v31, v6 :: v_dual_ashrrev_i32 v10, 31, v9
	s_mov_b32 s31, s30
	v_mov_b32_e32 v35, v6
	s_add_nc_u64 s[34:35], s[28:29], s[30:31]
	s_delay_alu instid0(VALU_DEP_2)
	v_mov_b32_e32 v11, v10
	s_xor_b64 s[34:35], s[34:35], s[30:31]
	v_mov_b32_e32 v39, v6
	s_cvt_f32_u32 s0, s34
	s_cvt_f32_u32 s31, s35
	s_sub_nc_u64 s[64:65], 0, s[34:35]
	v_add_nc_u64_e32 v[26:27], v[8:9], v[10:11]
	s_delay_alu instid0(SALU_CYCLE_1) | instskip(NEXT) | instid1(SALU_CYCLE_3)
	s_fmamk_f32 s0, s31, 0x4f800000, s0
	v_s_rcp_f32 s0, s0
	s_delay_alu instid0(VALU_DEP_1) | instskip(NEXT) | instid1(VALU_DEP_2)
	v_xor_b32_e32 v30, v26, v10
	v_xor_b32_e32 v34, v27, v10
	;; [unrolled: 1-line block ×3, first 2 shown]
	s_delay_alu instid0(TRANS32_DEP_1) | instskip(NEXT) | instid1(SALU_CYCLE_3)
	s_mul_f32 s0, s0, 0x5f7ffffc
	s_mul_f32 s31, s0, 0x2f800000
	s_delay_alu instid0(SALU_CYCLE_3) | instskip(NEXT) | instid1(SALU_CYCLE_3)
	s_trunc_f32 s31, s31
	s_fmamk_f32 s0, s31, 0xcf800000, s0
	s_cvt_u32_f32 s63, s31
	s_delay_alu instid0(SALU_CYCLE_2) | instskip(NEXT) | instid1(SALU_CYCLE_3)
	s_cvt_u32_f32 s62, s0
	s_mul_u64 s[66:67], s[64:65], s[62:63]
	s_delay_alu instid0(SALU_CYCLE_1)
	s_mul_hi_u32 s69, s62, s67
	s_mul_i32 s68, s62, s67
	s_mul_hi_u32 s0, s62, s66
	s_mul_i32 s61, s63, s66
	s_add_nc_u64 s[68:69], s[0:1], s[68:69]
	s_mul_hi_u32 s31, s63, s66
	s_mul_hi_u32 s70, s63, s67
	s_add_co_u32 s0, s68, s61
	s_add_co_ci_u32 s0, s69, s31
	s_mul_i32 s66, s63, s67
	s_add_co_ci_u32 s67, s70, 0
	s_delay_alu instid0(SALU_CYCLE_1) | instskip(NEXT) | instid1(SALU_CYCLE_1)
	s_add_nc_u64 s[66:67], s[0:1], s[66:67]
	s_add_co_u32 s62, s62, s66
	s_cselect_b32 s0, -1, 0
	s_delay_alu instid0(SALU_CYCLE_1) | instskip(SKIP_1) | instid1(SALU_CYCLE_1)
	s_cmp_lg_u32 s0, 0
	s_add_co_ci_u32 s63, s63, s67
	s_mul_u64 s[64:65], s[64:65], s[62:63]
	s_delay_alu instid0(SALU_CYCLE_1)
	s_mul_hi_u32 s67, s62, s65
	s_mul_i32 s66, s62, s65
	s_mul_hi_u32 s0, s62, s64
	s_mul_i32 s61, s63, s64
	s_add_nc_u64 s[66:67], s[0:1], s[66:67]
	s_mul_hi_u32 s31, s63, s64
	s_mul_hi_u32 s68, s63, s65
	s_add_co_u32 s0, s66, s61
	s_add_co_ci_u32 s0, s67, s31
	s_mul_i32 s64, s63, s65
	s_add_co_ci_u32 s65, s68, 0
	s_delay_alu instid0(SALU_CYCLE_1) | instskip(NEXT) | instid1(SALU_CYCLE_1)
	s_add_nc_u64 s[64:65], s[0:1], s[64:65]
	s_add_co_u32 s62, s62, s64
	s_cselect_b32 s0, -1, 0
	v_mul_hi_u32 v38, v30, s62
	s_cmp_lg_u32 s0, 0
	s_add_co_ci_u32 s0, s63, s65
	s_and_b64 s[64:65], s[62:63], s[24:25]
	v_mul_u64_e32 v[32:33], s[0:1], v[30:31]
	v_mul_u64_e32 v[26:27], s[64:65], v[34:35]
	;; [unrolled: 1-line block ×3, first 2 shown]
	s_delay_alu instid0(VALU_DEP_3) | instskip(NEXT) | instid1(VALU_DEP_1)
	v_add_nc_u64_e32 v[32:33], v[38:39], v[32:33]
	v_add_co_u32 v1, vcc_lo, v32, v26
	s_delay_alu instid0(VALU_DEP_2) | instskip(NEXT) | instid1(VALU_DEP_4)
	v_add_co_ci_u32_e32 v38, vcc_lo, v33, v27, vcc_lo
	v_add_co_ci_u32_e32 v37, vcc_lo, 0, v37, vcc_lo
	s_delay_alu instid0(VALU_DEP_1) | instskip(NEXT) | instid1(VALU_DEP_1)
	v_add_nc_u64_e32 v[26:27], v[38:39], v[36:37]
	v_mul_u64_e32 v[32:33], s[34:35], v[26:27]
	s_delay_alu instid0(VALU_DEP_1) | instskip(SKIP_1) | instid1(VALU_DEP_3)
	v_sub_co_u32 v3, vcc_lo, v30, v32
	v_add_nc_u64_e32 v[30:31], 2, v[26:27]
	v_sub_nc_u32_e32 v1, v34, v33
	v_sub_co_ci_u32_e64 v11, null, v34, v33, vcc_lo
	s_delay_alu instid0(VALU_DEP_4) | instskip(NEXT) | instid1(VALU_DEP_3)
	v_sub_co_u32 v7, s0, v3, s34
	v_subrev_co_ci_u32_e64 v1, null, s35, v1, vcc_lo
	v_add_nc_u64_e32 v[32:33], 1, v[26:27]
	s_delay_alu instid0(VALU_DEP_3) | instskip(NEXT) | instid1(VALU_DEP_3)
	v_cmp_le_u32_e32 vcc_lo, s34, v7
	v_subrev_co_ci_u32_e64 v1, null, 0, v1, s0
	v_cndmask_b32_e64 v7, 0, -1, vcc_lo
	s_delay_alu instid0(VALU_DEP_2)
	v_cmp_le_u32_e32 vcc_lo, s35, v1
	v_cndmask_b32_e64 v21, 0, -1, vcc_lo
	v_cmp_le_u32_e32 vcc_lo, s34, v3
	v_cndmask_b32_e64 v3, 0, -1, vcc_lo
	v_cmp_le_u32_e32 vcc_lo, s35, v11
	v_cndmask_b32_e64 v22, 0, -1, vcc_lo
	v_cmp_eq_u32_e32 vcc_lo, s35, v1
	v_cndmask_b32_e32 v1, v21, v7, vcc_lo
	v_cmp_eq_u32_e32 vcc_lo, s35, v11
	v_mov_b32_e32 v11, v10
	v_cndmask_b32_e32 v3, v22, v3, vcc_lo
	s_delay_alu instid0(VALU_DEP_4) | instskip(NEXT) | instid1(VALU_DEP_2)
	v_cmp_ne_u32_e32 vcc_lo, 0, v1
	v_cmp_ne_u32_e64 s0, 0, v3
	v_dual_cndmask_b32 v1, v33, v31, vcc_lo :: v_dual_cndmask_b32 v3, v32, v30, vcc_lo
	s_delay_alu instid0(VALU_DEP_1) | instskip(NEXT) | instid1(VALU_DEP_1)
	v_dual_cndmask_b32 v1, v27, v1, s0 :: v_dual_cndmask_b32 v3, v26, v3, s0
	v_xor_b32_e32 v27, v1, v10
	s_delay_alu instid0(VALU_DEP_2) | instskip(NEXT) | instid1(VALU_DEP_1)
	v_xor_b32_e32 v26, v3, v10
	v_sub_nc_u64_e32 v[10:11], v[26:27], v[10:11]
.LBB85_255:                             ;   in Loop: Header=BB85_253 Depth=1
	s_and_not1_saveexec_b32 s0, s60
	s_cbranch_execz .LBB85_252
; %bb.256:                              ;   in Loop: Header=BB85_253 Depth=1
	v_cvt_f32_u32_e32 v1, s28
	s_sub_co_i32 s30, 0, s28
	v_mov_b32_e32 v11, v6
	s_delay_alu instid0(VALU_DEP_2) | instskip(SKIP_1) | instid1(TRANS32_DEP_1)
	v_rcp_iflag_f32_e32 v1, v1
	v_nop
	v_mul_f32_e32 v1, 0x4f7ffffe, v1
	s_delay_alu instid0(VALU_DEP_1) | instskip(NEXT) | instid1(VALU_DEP_1)
	v_cvt_u32_f32_e32 v1, v1
	v_mul_lo_u32 v3, s30, v1
	s_delay_alu instid0(VALU_DEP_1) | instskip(NEXT) | instid1(VALU_DEP_1)
	v_mul_hi_u32 v3, v1, v3
	v_add_nc_u32_e32 v1, v1, v3
	s_delay_alu instid0(VALU_DEP_1) | instskip(NEXT) | instid1(VALU_DEP_1)
	v_mul_hi_u32 v1, v8, v1
	v_mul_lo_u32 v3, v1, s28
	s_delay_alu instid0(VALU_DEP_1) | instskip(NEXT) | instid1(VALU_DEP_1)
	v_sub_nc_u32_e32 v3, v8, v3
	v_subrev_nc_u32_e32 v10, s28, v3
	v_cmp_le_u32_e32 vcc_lo, s28, v3
	s_delay_alu instid0(VALU_DEP_2) | instskip(NEXT) | instid1(VALU_DEP_1)
	v_dual_add_nc_u32 v7, 1, v1 :: v_dual_cndmask_b32 v3, v3, v10, vcc_lo
	v_cndmask_b32_e32 v1, v1, v7, vcc_lo
	s_delay_alu instid0(VALU_DEP_2) | instskip(NEXT) | instid1(VALU_DEP_2)
	v_cmp_le_u32_e32 vcc_lo, s28, v3
	v_add_nc_u32_e32 v7, 1, v1
	s_delay_alu instid0(VALU_DEP_1)
	v_cndmask_b32_e32 v10, v1, v7, vcc_lo
	s_branch .LBB85_252
.LBB85_257:
	s_or_b32 s24, s19, exec_lo
	s_xor_b32 s13, exec_lo, -1
	s_trap 2
	s_branch .LBB85_221
.LBB85_258:
	s_or_b32 s33, s36, exec_lo
	s_trap 2
                                        ; implicit-def: $vgpr3
                                        ; implicit-def: $vgpr1
                                        ; implicit-def: $vgpr2
                                        ; implicit-def: $vgpr4
                                        ; implicit-def: $vgpr30
                                        ; implicit-def: $vgpr29
                                        ; implicit-def: $vgpr32
                                        ; implicit-def: $vgpr31
                                        ; implicit-def: $vgpr33
                                        ; implicit-def: $vgpr22
                                        ; implicit-def: $vgpr21
                                        ; implicit-def: $vgpr26
                                        ; implicit-def: $vgpr25
                                        ; implicit-def: $vgpr27
                                        ; implicit-def: $vgpr17
                                        ; implicit-def: $vgpr16
                                        ; implicit-def: $vgpr19
                                        ; implicit-def: $vgpr18
                                        ; implicit-def: $vgpr20
                                        ; implicit-def: $vgpr24
	s_or_saveexec_b32 s38, s0
	s_mov_b32 s0, 0
	s_xor_b32 exec_lo, exec_lo, s38
	s_cbranch_execnz .LBB85_204
	s_branch .LBB85_307
.LBB85_259:
	s_mov_b32 s13, -1
	s_mov_b32 s1, s58
	s_mov_b32 s0, exec_lo
	v_cmpx_gt_i32_e64 v0, v2
	s_cbranch_execz .LBB85_267
; %bb.260:
	s_delay_alu instid0(VALU_DEP_2) | instskip(SKIP_3) | instid1(VALU_DEP_1)
	v_lshlrev_b64_e32 v[4:5], 2, v[4:5]
	v_dual_ashrrev_i32 v3, 31, v2 :: v_dual_ashrrev_i32 v1, 31, v0
	s_mov_b32 s13, 0
	s_xor_b32 s24, s48, -1
                                        ; implicit-def: $sgpr1
                                        ; implicit-def: $sgpr26
                                        ; implicit-def: $sgpr25
	v_lshl_add_u64 v[2:3], v[2:3], 2, v[4:5]
	s_wait_kmcnt 0x0
	v_add_nc_u64_e32 v[4:5], s[20:21], v[4:5]
	s_delay_alu instid0(VALU_DEP_2) | instskip(NEXT) | instid1(VALU_DEP_2)
	v_add_nc_u64_e32 v[2:3], s[20:21], v[2:3]
	v_lshl_add_u64 v[0:1], v[0:1], 2, v[4:5]
	s_delay_alu instid0(VALU_DEP_2)
	v_add_nc_u64_e32 v[2:3], 4, v[2:3]
	s_branch .LBB85_262
.LBB85_261:                             ;   in Loop: Header=BB85_262 Depth=1
	s_or_b32 exec_lo, exec_lo, s27
	s_xor_b32 s27, s25, -1
	s_and_b32 s28, exec_lo, s26
	s_delay_alu instid0(SALU_CYCLE_1) | instskip(SKIP_2) | instid1(SALU_CYCLE_1)
	s_or_b32 s13, s28, s13
	s_and_not1_b32 s1, s1, exec_lo
	s_and_b32 s27, s27, exec_lo
	s_or_b32 s1, s1, s27
	s_and_not1_b32 exec_lo, exec_lo, s13
	s_cbranch_execz .LBB85_265
.LBB85_262:                             ; =>This Inner Loop Header: Depth=1
	s_or_b32 s25, s25, exec_lo
	s_or_b32 s26, s26, exec_lo
	s_mov_b32 s27, exec_lo
	s_delay_alu instid0(VALU_DEP_1)
	v_cmpx_lt_u64_e64 v[2:3], v[0:1]
	s_cbranch_execz .LBB85_261
; %bb.263:                              ;   in Loop: Header=BB85_262 Depth=1
	global_load_b64 v[4:5], v[2:3], off offset:-4
	s_wait_xcnt 0x0
	v_add_nc_u64_e32 v[2:3], 4, v[2:3]
	s_and_not1_b32 s26, s26, exec_lo
	s_and_not1_b32 s25, s25, exec_lo
	s_wait_loadcnt 0x0
	v_cmp_ge_i32_e32 vcc_lo, v4, v5
	s_or_b32 s28, s24, vcc_lo
	s_delay_alu instid0(SALU_CYCLE_1) | instskip(NEXT) | instid1(SALU_CYCLE_1)
	s_and_b32 s28, s28, exec_lo
	s_or_b32 s26, s26, s28
	s_branch .LBB85_261
.LBB85_264:
	s_or_b32 s39, s33, exec_lo
	s_trap 2
                                        ; implicit-def: $vgpr23
                                        ; implicit-def: $vgpr3
                                        ; implicit-def: $vgpr1
                                        ; implicit-def: $vgpr4
                                        ; implicit-def: $vgpr30
                                        ; implicit-def: $vgpr29
                                        ; implicit-def: $vgpr32
                                        ; implicit-def: $vgpr31
                                        ; implicit-def: $vgpr33
                                        ; implicit-def: $vgpr22
                                        ; implicit-def: $vgpr21
                                        ; implicit-def: $vgpr26
                                        ; implicit-def: $vgpr25
                                        ; implicit-def: $vgpr27
                                        ; implicit-def: $vgpr17
                                        ; implicit-def: $vgpr16
                                        ; implicit-def: $vgpr19
                                        ; implicit-def: $vgpr18
                                        ; implicit-def: $vgpr20
                                        ; implicit-def: $vgpr24
	s_or_saveexec_b32 s40, s0
	s_mov_b32 s0, 0
	s_xor_b32 exec_lo, exec_lo, s40
	s_cbranch_execnz .LBB85_206
	s_branch .LBB85_306
.LBB85_265:
	s_or_b32 exec_lo, exec_lo, s13
	s_mov_b32 s13, -1
	s_mov_b32 s24, s58
	s_and_saveexec_b32 s25, s1
	s_delay_alu instid0(SALU_CYCLE_1)
	s_xor_b32 s1, exec_lo, s25
	s_cbranch_execnz .LBB85_310
.LBB85_266:
	s_or_b32 exec_lo, exec_lo, s1
	s_delay_alu instid0(SALU_CYCLE_1)
	s_and_not1_b32 s1, s58, exec_lo
	s_and_b32 s24, s24, exec_lo
	s_or_not1_b32 s13, s13, exec_lo
	s_or_b32 s1, s1, s24
.LBB85_267:
	s_or_b32 exec_lo, exec_lo, s0
	s_mov_b32 s0, 0
	s_and_saveexec_b32 s24, s13
	s_cbranch_execz .LBB85_296
; %bb.268:
	global_load_b32 v0, v20, s[6:7]
	s_mov_b32 s25, s1
	s_mov_b32 s0, exec_lo
	s_wait_loadcnt 0x0
	v_cmpx_ne_u32_e64 v0, v24
	s_xor_b32 s0, exec_lo, s0
	s_cbranch_execnz .LBB85_316
; %bb.269:
	s_or_saveexec_b32 s26, s0
	s_mov_b32 s0, 0
	s_xor_b32 exec_lo, exec_lo, s26
	s_cbranch_execz .LBB85_295
.LBB85_270:
	global_load_b32 v0, v19, s[16:17]
	s_wait_xcnt 0x0
	s_mov_b32 s16, s25
	s_mov_b32 s0, exec_lo
	s_wait_loadcnt 0x0
	v_cmpx_ne_u32_e64 v0, v23
	s_xor_b32 s0, exec_lo, s0
	s_cbranch_execnz .LBB85_317
; %bb.271:
	s_or_saveexec_b32 s17, s0
	s_mov_b32 s0, 0
	s_xor_b32 exec_lo, exec_lo, s17
	s_cbranch_execz .LBB85_294
.LBB85_272:
	global_load_b32 v2, v18, s[8:9]
	global_load_b32 v0, v17, s[10:11]
	s_wait_loadcnt 0x0
	v_sub_nc_u32_e32 v1, v0, v2
	s_delay_alu instid0(VALU_DEP_1)
	v_cmp_gt_i32_e32 vcc_lo, v24, v1
	v_cmp_lt_i32_e64 s0, s18, v1
	s_mov_b32 s18, s16
	s_or_b32 s0, vcc_lo, s0
	s_wait_xcnt 0x0
	s_and_saveexec_b32 s6, s0
	s_delay_alu instid0(SALU_CYCLE_1)
	s_xor_b32 s0, exec_lo, s6
	s_cbranch_execnz .LBB85_318
; %bb.273:
	s_or_saveexec_b32 s27, s0
	s_mov_b32 s0, 0
	s_xor_b32 exec_lo, exec_lo, s27
	s_cbranch_execz .LBB85_293
.LBB85_274:
	v_cmp_ne_u32_e32 vcc_lo, 1, v28
	v_mov_b64_e32 v[4:5], 0
	s_cbranch_vccnz .LBB85_284
; %bb.275:
	global_load_b32 v4, v16, s[22:23]
	s_mov_b32 s13, 0
	s_mov_b64 s[6:7], 0xffffffff
	s_lshl_b64 s[8:9], s[12:13], 3
	v_mov_b32_e32 v6, 0
	s_add_nc_u64 s[2:3], s[2:3], s[8:9]
	s_delay_alu instid0(SALU_CYCLE_1) | instskip(SKIP_2) | instid1(VALU_DEP_1)
	s_add_nc_u64 s[2:3], s[2:3], 0x298
	s_wait_loadcnt 0x0
	v_ashrrev_i32_e32 v5, 31, v4
	v_mul_u64_e32 v[8:9], s[14:15], v[4:5]
	v_mov_b64_e32 v[4:5], 0
	s_branch .LBB85_277
.LBB85_276:                             ;   in Loop: Header=BB85_277 Depth=1
	s_or_b32 exec_lo, exec_lo, s0
	s_delay_alu instid0(VALU_DEP_1)
	v_mul_u64_e32 v[16:17], s[8:9], v[10:11]
	s_load_b64 s[8:9], s[2:3], 0x40
	s_add_co_i32 s42, s42, -1
	s_wait_xcnt 0x0
	s_add_nc_u64 s[2:3], s[2:3], -8
	s_cmp_eq_u32 s42, 0
	s_delay_alu instid0(VALU_DEP_1) | instskip(SKIP_1) | instid1(VALU_DEP_1)
	v_sub_nc_u64_e32 v[8:9], v[8:9], v[16:17]
	s_wait_kmcnt 0x0
	v_mad_nc_u64_u32 v[4:5], v8, s8, v[4:5]
	s_delay_alu instid0(VALU_DEP_1) | instskip(NEXT) | instid1(VALU_DEP_1)
	v_mad_u32 v1, v9, s8, v5
	v_mad_u32 v5, v8, s9, v1
	v_mov_b64_e32 v[8:9], v[10:11]
	s_cbranch_scc1 .LBB85_284
.LBB85_277:                             ; =>This Inner Loop Header: Depth=1
	s_load_b64 s[8:9], s[2:3], 0x0
                                        ; implicit-def: $vgpr10_vgpr11
	s_mov_b32 s0, exec_lo
	s_wait_kmcnt 0x0
	s_delay_alu instid0(VALU_DEP_1) | instskip(NEXT) | instid1(VALU_DEP_1)
	v_or_b32_e32 v7, s9, v9
	v_cmpx_ne_u64_e32 0, v[6:7]
	s_xor_b32 s22, exec_lo, s0
	s_cbranch_execz .LBB85_279
; %bb.278:                              ;   in Loop: Header=BB85_277 Depth=1
	s_ashr_i32 s10, s9, 31
	v_dual_mov_b32 v19, v6 :: v_dual_ashrrev_i32 v10, 31, v9
	s_mov_b32 s11, s10
	v_mov_b32_e32 v27, v6
	s_add_nc_u64 s[14:15], s[8:9], s[10:11]
	s_delay_alu instid0(VALU_DEP_2) | instskip(SKIP_1) | instid1(SALU_CYCLE_1)
	v_mov_b32_e32 v11, v10
	s_xor_b64 s[14:15], s[14:15], s[10:11]
	s_cvt_f32_u32 s0, s14
	s_cvt_f32_u32 s11, s15
	s_sub_nc_u64 s[30:31], 0, s[14:15]
	v_add_nc_u64_e32 v[16:17], v[8:9], v[10:11]
	v_mov_b32_e32 v23, v6
	s_fmamk_f32 s0, s11, 0x4f800000, s0
	s_delay_alu instid0(SALU_CYCLE_3) | instskip(NEXT) | instid1(VALU_DEP_2)
	v_s_rcp_f32 s0, s0
	v_xor_b32_e32 v18, v16, v10
	s_delay_alu instid0(VALU_DEP_3) | instskip(NEXT) | instid1(TRANS32_DEP_1)
	v_xor_b32_e32 v22, v17, v10
	s_mul_f32 s0, s0, 0x5f7ffffc
	s_delay_alu instid0(SALU_CYCLE_3) | instskip(NEXT) | instid1(SALU_CYCLE_3)
	s_mul_f32 s11, s0, 0x2f800000
	s_trunc_f32 s11, s11
	s_delay_alu instid0(SALU_CYCLE_3) | instskip(SKIP_1) | instid1(SALU_CYCLE_2)
	s_fmamk_f32 s0, s11, 0xcf800000, s0
	s_cvt_u32_f32 s29, s11
	s_cvt_u32_f32 s28, s0
	s_delay_alu instid0(SALU_CYCLE_3) | instskip(NEXT) | instid1(SALU_CYCLE_1)
	s_mul_u64 s[34:35], s[30:31], s[28:29]
	s_mul_hi_u32 s61, s28, s35
	s_mul_i32 s60, s28, s35
	s_mul_hi_u32 s12, s28, s34
	s_mul_i32 s11, s29, s34
	s_add_nc_u64 s[60:61], s[12:13], s[60:61]
	s_mul_hi_u32 s0, s29, s34
	s_mul_hi_u32 s23, s29, s35
	s_add_co_u32 s11, s60, s11
	s_add_co_ci_u32 s12, s61, s0
	s_mul_i32 s34, s29, s35
	s_add_co_ci_u32 s35, s23, 0
	s_delay_alu instid0(SALU_CYCLE_1) | instskip(NEXT) | instid1(SALU_CYCLE_1)
	s_add_nc_u64 s[34:35], s[12:13], s[34:35]
	s_add_co_u32 s28, s28, s34
	s_cselect_b32 s0, -1, 0
	s_delay_alu instid0(SALU_CYCLE_1) | instskip(SKIP_1) | instid1(SALU_CYCLE_1)
	s_cmp_lg_u32 s0, 0
	s_add_co_ci_u32 s29, s29, s35
	s_mul_u64 s[30:31], s[30:31], s[28:29]
	s_delay_alu instid0(SALU_CYCLE_1)
	s_mul_hi_u32 s35, s28, s31
	s_mul_i32 s34, s28, s31
	s_mul_hi_u32 s12, s28, s30
	s_mul_i32 s11, s29, s30
	s_add_nc_u64 s[34:35], s[12:13], s[34:35]
	s_mul_hi_u32 s0, s29, s30
	s_mul_hi_u32 s23, s29, s31
	s_add_co_u32 s11, s34, s11
	s_add_co_ci_u32 s12, s35, s0
	s_mul_i32 s30, s29, s31
	s_add_co_ci_u32 s31, s23, 0
	s_delay_alu instid0(SALU_CYCLE_1) | instskip(NEXT) | instid1(SALU_CYCLE_1)
	s_add_nc_u64 s[30:31], s[12:13], s[30:31]
	s_add_co_u32 s0, s28, s30
	s_cselect_b32 s11, -1, 0
	v_mul_hi_u32 v26, v18, s0
	s_cmp_lg_u32 s11, 0
	s_add_co_ci_u32 s12, s29, s31
	s_and_b64 s[28:29], s[0:1], s[6:7]
	v_mul_u64_e32 v[20:21], s[12:13], v[18:19]
	v_mul_u64_e32 v[16:17], s[28:29], v[22:23]
	;; [unrolled: 1-line block ×3, first 2 shown]
	s_delay_alu instid0(VALU_DEP_3) | instskip(NEXT) | instid1(VALU_DEP_1)
	v_add_nc_u64_e32 v[20:21], v[26:27], v[20:21]
	v_add_co_u32 v1, vcc_lo, v20, v16
	s_delay_alu instid0(VALU_DEP_2) | instskip(NEXT) | instid1(VALU_DEP_4)
	v_add_co_ci_u32_e32 v26, vcc_lo, v21, v17, vcc_lo
	v_add_co_ci_u32_e32 v25, vcc_lo, 0, v25, vcc_lo
	s_delay_alu instid0(VALU_DEP_1) | instskip(NEXT) | instid1(VALU_DEP_1)
	v_add_nc_u64_e32 v[16:17], v[26:27], v[24:25]
	v_mul_u64_e32 v[20:21], s[14:15], v[16:17]
	s_delay_alu instid0(VALU_DEP_1) | instskip(NEXT) | instid1(VALU_DEP_2)
	v_sub_nc_u32_e32 v1, v22, v21
	v_sub_co_u32 v3, vcc_lo, v18, v20
	s_delay_alu instid0(VALU_DEP_1) | instskip(NEXT) | instid1(VALU_DEP_3)
	v_sub_co_ci_u32_e64 v11, null, v22, v21, vcc_lo
	v_subrev_co_ci_u32_e64 v1, null, s15, v1, vcc_lo
	s_delay_alu instid0(VALU_DEP_3) | instskip(SKIP_1) | instid1(VALU_DEP_3)
	v_sub_co_u32 v7, s0, v3, s14
	v_add_nc_u64_e32 v[20:21], 1, v[16:17]
	v_subrev_co_ci_u32_e64 v1, null, 0, v1, s0
	s_delay_alu instid0(VALU_DEP_3) | instskip(SKIP_1) | instid1(VALU_DEP_3)
	v_cmp_le_u32_e32 vcc_lo, s14, v7
	v_cndmask_b32_e64 v7, 0, -1, vcc_lo
	v_cmp_le_u32_e32 vcc_lo, s15, v1
	v_cndmask_b32_e64 v18, 0, -1, vcc_lo
	;; [unrolled: 2-line block ×4, first 2 shown]
	v_cmp_eq_u32_e32 vcc_lo, s15, v1
	v_cndmask_b32_e32 v1, v18, v7, vcc_lo
	v_cmp_eq_u32_e32 vcc_lo, s15, v11
	v_add_nc_u64_e32 v[18:19], 2, v[16:17]
	v_cndmask_b32_e32 v3, v22, v3, vcc_lo
	s_delay_alu instid0(VALU_DEP_4) | instskip(NEXT) | instid1(VALU_DEP_2)
	v_cmp_ne_u32_e32 vcc_lo, 0, v1
	v_cmp_ne_u32_e64 s0, 0, v3
	s_delay_alu instid0(VALU_DEP_4) | instskip(NEXT) | instid1(VALU_DEP_1)
	v_dual_cndmask_b32 v1, v21, v19, vcc_lo :: v_dual_cndmask_b32 v3, v20, v18, vcc_lo
	v_dual_cndmask_b32 v1, v17, v1, s0 :: v_dual_bitop2_b32 v10, s10, v10 bitop3:0x14
	s_delay_alu instid0(VALU_DEP_1) | instskip(NEXT) | instid1(VALU_DEP_2)
	v_dual_cndmask_b32 v3, v16, v3, s0 :: v_dual_mov_b32 v11, v10
	v_xor_b32_e32 v17, v1, v10
	s_delay_alu instid0(VALU_DEP_2) | instskip(NEXT) | instid1(VALU_DEP_1)
	v_xor_b32_e32 v16, v3, v10
	v_sub_nc_u64_e32 v[10:11], v[16:17], v[10:11]
.LBB85_279:                             ;   in Loop: Header=BB85_277 Depth=1
	s_and_not1_saveexec_b32 s0, s22
	s_cbranch_execz .LBB85_276
; %bb.280:                              ;   in Loop: Header=BB85_277 Depth=1
	v_cvt_f32_u32_e32 v1, s8
	s_sub_co_i32 s10, 0, s8
	v_mov_b32_e32 v11, v6
	s_delay_alu instid0(VALU_DEP_2) | instskip(SKIP_1) | instid1(TRANS32_DEP_1)
	v_rcp_iflag_f32_e32 v1, v1
	v_nop
	v_mul_f32_e32 v1, 0x4f7ffffe, v1
	s_delay_alu instid0(VALU_DEP_1) | instskip(NEXT) | instid1(VALU_DEP_1)
	v_cvt_u32_f32_e32 v1, v1
	v_mul_lo_u32 v3, s10, v1
	s_delay_alu instid0(VALU_DEP_1) | instskip(NEXT) | instid1(VALU_DEP_1)
	v_mul_hi_u32 v3, v1, v3
	v_add_nc_u32_e32 v1, v1, v3
	s_delay_alu instid0(VALU_DEP_1) | instskip(NEXT) | instid1(VALU_DEP_1)
	v_mul_hi_u32 v1, v8, v1
	v_mul_lo_u32 v3, v1, s8
	s_delay_alu instid0(VALU_DEP_1) | instskip(NEXT) | instid1(VALU_DEP_1)
	v_sub_nc_u32_e32 v3, v8, v3
	v_subrev_nc_u32_e32 v10, s8, v3
	v_cmp_le_u32_e32 vcc_lo, s8, v3
	s_delay_alu instid0(VALU_DEP_2) | instskip(NEXT) | instid1(VALU_DEP_1)
	v_dual_add_nc_u32 v7, 1, v1 :: v_dual_cndmask_b32 v3, v3, v10, vcc_lo
	v_cndmask_b32_e32 v1, v1, v7, vcc_lo
	s_delay_alu instid0(VALU_DEP_2) | instskip(NEXT) | instid1(VALU_DEP_2)
	v_cmp_le_u32_e32 vcc_lo, s8, v3
	v_add_nc_u32_e32 v7, 1, v1
	s_delay_alu instid0(VALU_DEP_1)
	v_cndmask_b32_e32 v10, v1, v7, vcc_lo
	s_branch .LBB85_276
.LBB85_281:
	s_or_b32 s24, s50, exec_lo
	s_xor_b32 s13, exec_lo, -1
	s_trap 2
	s_branch .LBB85_242
.LBB85_282:
	s_or_b32 s19, s39, exec_lo
	s_trap 2
                                        ; implicit-def: $vgpr2
                                        ; implicit-def: $vgpr0
                                        ; implicit-def: $vgpr23
                                        ; implicit-def: $vgpr1
                                        ; implicit-def: $vgpr30
                                        ; implicit-def: $vgpr29
                                        ; implicit-def: $vgpr32
                                        ; implicit-def: $vgpr31
                                        ; implicit-def: $vgpr33
                                        ; implicit-def: $vgpr22
                                        ; implicit-def: $vgpr21
                                        ; implicit-def: $vgpr26
                                        ; implicit-def: $vgpr25
                                        ; implicit-def: $vgpr27
                                        ; implicit-def: $vgpr17
                                        ; implicit-def: $vgpr16
                                        ; implicit-def: $vgpr19
                                        ; implicit-def: $vgpr18
                                        ; implicit-def: $vgpr20
                                        ; implicit-def: $vgpr24
	s_or_saveexec_b32 s41, s0
	s_mov_b32 s0, 0
	s_xor_b32 exec_lo, exec_lo, s41
	s_cbranch_execnz .LBB85_208
	s_branch .LBB85_305
.LBB85_283:
	s_or_b32 s45, s43, exec_lo
	s_trap 2
                                        ; implicit-def: $vgpr28
                                        ; implicit-def: $vgpr23
                                        ; implicit-def: $vgpr30
                                        ; implicit-def: $vgpr29
                                        ; implicit-def: $vgpr32
                                        ; implicit-def: $vgpr31
                                        ; implicit-def: $vgpr22
                                        ; implicit-def: $vgpr21
                                        ; implicit-def: $vgpr26
                                        ; implicit-def: $vgpr25
                                        ; implicit-def: $vgpr27
                                        ; implicit-def: $vgpr17
                                        ; implicit-def: $vgpr16
                                        ; implicit-def: $vgpr19
                                        ; implicit-def: $vgpr18
                                        ; implicit-def: $vgpr20
                                        ; implicit-def: $vgpr24
	s_or_saveexec_b32 s46, s0
	s_mov_b32 s0, 0
	s_xor_b32 exec_lo, exec_lo, s46
	s_cbranch_execnz .LBB85_225
	s_branch .LBB85_303
.LBB85_284:
	s_mov_b32 s2, -1
	s_mov_b32 s3, s18
	s_mov_b32 s0, exec_lo
	v_cmpx_gt_i32_e64 v0, v2
	s_cbranch_execz .LBB85_292
; %bb.285:
	s_delay_alu instid0(VALU_DEP_2) | instskip(SKIP_3) | instid1(VALU_DEP_1)
	v_lshlrev_b64_e32 v[4:5], 2, v[4:5]
	v_dual_ashrrev_i32 v3, 31, v2 :: v_dual_ashrrev_i32 v1, 31, v0
	s_mov_b32 s3, 0
	s_xor_b32 s6, s48, -1
                                        ; implicit-def: $sgpr2
                                        ; implicit-def: $sgpr8
                                        ; implicit-def: $sgpr7
	v_lshl_add_u64 v[2:3], v[2:3], 2, v[4:5]
	s_wait_kmcnt 0x0
	v_add_nc_u64_e32 v[4:5], s[20:21], v[4:5]
	s_delay_alu instid0(VALU_DEP_2) | instskip(NEXT) | instid1(VALU_DEP_2)
	v_add_nc_u64_e32 v[2:3], s[20:21], v[2:3]
	v_lshl_add_u64 v[0:1], v[0:1], 2, v[4:5]
	s_delay_alu instid0(VALU_DEP_2)
	v_add_nc_u64_e32 v[2:3], 4, v[2:3]
	s_branch .LBB85_287
.LBB85_286:                             ;   in Loop: Header=BB85_287 Depth=1
	s_or_b32 exec_lo, exec_lo, s9
	s_xor_b32 s9, s7, -1
	s_and_b32 s10, exec_lo, s8
	s_delay_alu instid0(SALU_CYCLE_1) | instskip(SKIP_2) | instid1(SALU_CYCLE_1)
	s_or_b32 s3, s10, s3
	s_and_not1_b32 s2, s2, exec_lo
	s_and_b32 s9, s9, exec_lo
	s_or_b32 s2, s2, s9
	s_and_not1_b32 exec_lo, exec_lo, s3
	s_cbranch_execz .LBB85_290
.LBB85_287:                             ; =>This Inner Loop Header: Depth=1
	s_or_b32 s7, s7, exec_lo
	s_or_b32 s8, s8, exec_lo
	s_mov_b32 s9, exec_lo
	s_delay_alu instid0(VALU_DEP_1)
	v_cmpx_lt_u64_e64 v[2:3], v[0:1]
	s_cbranch_execz .LBB85_286
; %bb.288:                              ;   in Loop: Header=BB85_287 Depth=1
	global_load_b64 v[4:5], v[2:3], off offset:-4
	s_wait_xcnt 0x0
	v_add_nc_u64_e32 v[2:3], 4, v[2:3]
	s_and_not1_b32 s8, s8, exec_lo
	s_and_not1_b32 s7, s7, exec_lo
	s_wait_loadcnt 0x0
	v_cmp_ge_i32_e32 vcc_lo, v4, v5
	s_or_b32 s10, s6, vcc_lo
	s_delay_alu instid0(SALU_CYCLE_1) | instskip(NEXT) | instid1(SALU_CYCLE_1)
	s_and_b32 s10, s10, exec_lo
	s_or_b32 s8, s8, s10
	s_branch .LBB85_286
.LBB85_289:
	s_or_b32 s47, s45, exec_lo
	s_trap 2
                                        ; implicit-def: $vgpr28
                                        ; implicit-def: $vgpr23
                                        ; implicit-def: $vgpr30
                                        ; implicit-def: $vgpr29
                                        ; implicit-def: $vgpr31
                                        ; implicit-def: $vgpr22
                                        ; implicit-def: $vgpr21
                                        ; implicit-def: $vgpr26
                                        ; implicit-def: $vgpr25
                                        ; implicit-def: $vgpr27
                                        ; implicit-def: $vgpr17
                                        ; implicit-def: $vgpr16
                                        ; implicit-def: $vgpr19
                                        ; implicit-def: $vgpr18
                                        ; implicit-def: $vgpr20
                                        ; implicit-def: $vgpr24
	s_or_saveexec_b32 s49, s0
	s_mov_b32 s0, 0
	s_xor_b32 exec_lo, exec_lo, s49
	s_cbranch_execnz .LBB85_227
	s_branch .LBB85_302
.LBB85_290:
	s_or_b32 exec_lo, exec_lo, s3
	s_mov_b32 s3, -1
	s_mov_b32 s6, s18
	s_and_saveexec_b32 s7, s2
	s_delay_alu instid0(SALU_CYCLE_1)
	s_xor_b32 s2, exec_lo, s7
	s_cbranch_execnz .LBB85_314
.LBB85_291:
	s_or_b32 exec_lo, exec_lo, s2
	s_delay_alu instid0(SALU_CYCLE_1)
	s_and_not1_b32 s7, s18, exec_lo
	s_and_b32 s6, s6, exec_lo
	s_or_not1_b32 s2, s3, exec_lo
	s_or_b32 s3, s7, s6
.LBB85_292:
	s_or_b32 exec_lo, exec_lo, s0
	s_delay_alu instid0(SALU_CYCLE_1)
	s_and_not1_b32 s6, s18, exec_lo
	s_and_b32 s3, s3, exec_lo
	s_and_b32 s0, s2, exec_lo
	s_or_b32 s18, s6, s3
.LBB85_293:
	s_or_b32 exec_lo, exec_lo, s27
	s_delay_alu instid0(SALU_CYCLE_1)
	s_and_not1_b32 s2, s16, exec_lo
	s_and_b32 s3, s18, exec_lo
	s_and_b32 s0, s0, exec_lo
	s_or_b32 s16, s2, s3
.LBB85_294:
	s_or_b32 exec_lo, exec_lo, s17
	s_delay_alu instid0(SALU_CYCLE_1)
	s_and_not1_b32 s2, s25, exec_lo
	s_and_b32 s3, s16, exec_lo
	s_and_b32 s0, s0, exec_lo
	s_or_b32 s25, s2, s3
.LBB85_295:
	s_or_b32 exec_lo, exec_lo, s26
	s_delay_alu instid0(SALU_CYCLE_1)
	s_and_not1_b32 s1, s1, exec_lo
	s_and_b32 s2, s25, exec_lo
	s_and_b32 s0, s0, exec_lo
	s_or_b32 s1, s1, s2
.LBB85_296:
	s_or_b32 exec_lo, exec_lo, s24
	s_delay_alu instid0(SALU_CYCLE_1)
	s_and_not1_b32 s2, s58, exec_lo
	s_and_b32 s1, s1, exec_lo
	s_and_b32 s0, s0, exec_lo
	s_or_b32 s58, s2, s1
.LBB85_297:
	s_or_b32 exec_lo, exec_lo, s59
	s_delay_alu instid0(SALU_CYCLE_1)
	s_and_not1_b32 s1, s56, exec_lo
	s_and_b32 s2, s58, exec_lo
	s_and_b32 s0, s0, exec_lo
	s_or_b32 s56, s1, s2
.LBB85_298:
	s_or_b32 exec_lo, exec_lo, s57
	s_delay_alu instid0(SALU_CYCLE_1)
	s_and_not1_b32 s1, s54, exec_lo
	s_and_b32 s2, s56, exec_lo
	s_and_b32 s0, s0, exec_lo
	s_or_b32 s54, s1, s2
.LBB85_299:
	s_or_b32 exec_lo, exec_lo, s55
	s_delay_alu instid0(SALU_CYCLE_1)
	s_and_not1_b32 s1, s52, exec_lo
	s_and_b32 s2, s54, exec_lo
	s_and_b32 s0, s0, exec_lo
	s_or_b32 s52, s1, s2
.LBB85_300:
	s_or_b32 exec_lo, exec_lo, s53
	s_delay_alu instid0(SALU_CYCLE_1)
	s_and_not1_b32 s1, s50, exec_lo
	s_and_b32 s2, s52, exec_lo
	s_and_b32 s0, s0, exec_lo
	s_or_b32 s50, s1, s2
.LBB85_301:
	s_or_b32 exec_lo, exec_lo, s51
	s_delay_alu instid0(SALU_CYCLE_1)
	s_and_not1_b32 s1, s47, exec_lo
	s_and_b32 s2, s50, exec_lo
	s_and_b32 s0, s0, exec_lo
	s_or_b32 s47, s1, s2
.LBB85_302:
	s_or_b32 exec_lo, exec_lo, s49
	s_delay_alu instid0(SALU_CYCLE_1)
	s_and_not1_b32 s1, s45, exec_lo
	s_and_b32 s2, s47, exec_lo
	s_and_b32 s0, s0, exec_lo
	s_or_b32 s45, s1, s2
.LBB85_303:
	s_or_b32 exec_lo, exec_lo, s46
	s_delay_alu instid0(SALU_CYCLE_1)
	s_and_not1_b32 s1, s43, exec_lo
	s_and_b32 s2, s45, exec_lo
	s_and_b32 s0, s0, exec_lo
	s_or_b32 s43, s1, s2
.LBB85_304:
	s_or_b32 exec_lo, exec_lo, s44
	s_delay_alu instid0(SALU_CYCLE_1)
	s_and_not1_b32 s1, s19, exec_lo
	s_wait_xcnt 0x0
	s_and_b32 s2, s43, exec_lo
	s_and_b32 s0, s0, exec_lo
	s_or_b32 s19, s1, s2
.LBB85_305:
	s_or_b32 exec_lo, exec_lo, s41
	s_delay_alu instid0(SALU_CYCLE_1)
	s_and_not1_b32 s1, s39, exec_lo
	s_and_b32 s2, s19, exec_lo
	s_and_b32 s0, s0, exec_lo
	s_or_b32 s39, s1, s2
.LBB85_306:
	s_or_b32 exec_lo, exec_lo, s40
	s_delay_alu instid0(SALU_CYCLE_1)
	s_and_not1_b32 s1, s33, exec_lo
	s_and_b32 s2, s39, exec_lo
	s_and_b32 s0, s0, exec_lo
	s_or_b32 s33, s1, s2
.LBB85_307:
	s_or_b32 exec_lo, exec_lo, s38
	s_delay_alu instid0(SALU_CYCLE_1)
	s_and_not1_b32 s1, s36, exec_lo
	s_and_b32 s2, s33, exec_lo
	s_and_b32 s61, s0, exec_lo
	s_or_b32 s36, s1, s2
	s_or_b32 exec_lo, exec_lo, s37
	s_and_saveexec_b32 s0, s36
	s_cbranch_execnz .LBB85_145
.LBB85_308:
	s_or_b32 exec_lo, exec_lo, s0
	s_and_saveexec_b32 s0, s61
	s_cbranch_execz .LBB85_146
.LBB85_309:
	v_mov_b32_e32 v0, 0
	s_clause 0x3
	global_store_b32 v12, v0, s[4:5]
	global_store_b32 v13, v0, s[4:5]
	;; [unrolled: 1-line block ×4, first 2 shown]
	s_endpgm
.LBB85_310:
	s_or_b32 s24, s58, exec_lo
	s_xor_b32 s13, exec_lo, -1
	s_trap 2
	s_branch .LBB85_266
.LBB85_311:
	s_or_b32 s50, s47, exec_lo
	s_trap 2
                                        ; implicit-def: $vgpr2
                                        ; implicit-def: $vgpr0
                                        ; implicit-def: $vgpr28
                                        ; implicit-def: $vgpr23
                                        ; implicit-def: $vgpr29
                                        ; implicit-def: $vgpr22
                                        ; implicit-def: $vgpr21
                                        ; implicit-def: $vgpr26
                                        ; implicit-def: $vgpr25
                                        ; implicit-def: $vgpr27
                                        ; implicit-def: $vgpr17
                                        ; implicit-def: $vgpr16
                                        ; implicit-def: $vgpr19
                                        ; implicit-def: $vgpr18
                                        ; implicit-def: $vgpr20
                                        ; implicit-def: $vgpr24
	s_or_saveexec_b32 s51, s0
	s_mov_b32 s0, 0
	s_xor_b32 exec_lo, exec_lo, s51
	s_cbranch_execnz .LBB85_229
	s_branch .LBB85_301
.LBB85_312:
	s_or_b32 s54, s52, exec_lo
	s_trap 2
                                        ; implicit-def: $vgpr28
                                        ; implicit-def: $vgpr23
                                        ; implicit-def: $vgpr22
                                        ; implicit-def: $vgpr21
                                        ; implicit-def: $vgpr26
                                        ; implicit-def: $vgpr25
                                        ; implicit-def: $vgpr17
                                        ; implicit-def: $vgpr16
                                        ; implicit-def: $vgpr19
                                        ; implicit-def: $vgpr18
                                        ; implicit-def: $vgpr20
                                        ; implicit-def: $vgpr24
	s_or_saveexec_b32 s55, s0
	s_mov_b32 s0, 0
	s_xor_b32 exec_lo, exec_lo, s55
	s_cbranch_execnz .LBB85_246
	s_branch .LBB85_299
.LBB85_313:
	s_or_b32 s56, s54, exec_lo
	s_trap 2
                                        ; implicit-def: $vgpr28
                                        ; implicit-def: $vgpr23
                                        ; implicit-def: $vgpr22
                                        ; implicit-def: $vgpr21
                                        ; implicit-def: $vgpr25
                                        ; implicit-def: $vgpr17
                                        ; implicit-def: $vgpr16
                                        ; implicit-def: $vgpr19
                                        ; implicit-def: $vgpr18
                                        ; implicit-def: $vgpr20
                                        ; implicit-def: $vgpr24
	s_or_saveexec_b32 s57, s0
	s_mov_b32 s0, 0
	s_xor_b32 exec_lo, exec_lo, s57
	s_cbranch_execnz .LBB85_248
	s_branch .LBB85_298
.LBB85_314:
	s_xor_b32 s3, exec_lo, -1
	s_or_b32 s6, s18, exec_lo
	s_trap 2
	s_branch .LBB85_291
.LBB85_315:
	s_or_b32 s58, s56, exec_lo
	s_trap 2
                                        ; implicit-def: $vgpr2
                                        ; implicit-def: $vgpr0
                                        ; implicit-def: $vgpr28
                                        ; implicit-def: $vgpr23
                                        ; implicit-def: $vgpr21
                                        ; implicit-def: $vgpr17
                                        ; implicit-def: $vgpr16
                                        ; implicit-def: $vgpr19
                                        ; implicit-def: $vgpr18
                                        ; implicit-def: $vgpr20
                                        ; implicit-def: $vgpr24
	s_or_saveexec_b32 s59, s0
	s_mov_b32 s0, 0
	s_xor_b32 exec_lo, exec_lo, s59
	s_cbranch_execnz .LBB85_250
	s_branch .LBB85_297
.LBB85_316:
	s_or_b32 s25, s1, exec_lo
	s_trap 2
                                        ; implicit-def: $vgpr19
                                        ; implicit-def: $vgpr23
                                        ; implicit-def: $vgpr18
                                        ; implicit-def: $vgpr17
                                        ; implicit-def: $vgpr24
                                        ; implicit-def: $vgpr28
                                        ; implicit-def: $vgpr16
	s_or_saveexec_b32 s26, s0
	s_mov_b32 s0, 0
	s_xor_b32 exec_lo, exec_lo, s26
	s_cbranch_execnz .LBB85_270
	s_branch .LBB85_295
.LBB85_317:
	s_or_b32 s16, s25, exec_lo
	s_trap 2
                                        ; implicit-def: $vgpr18
                                        ; implicit-def: $vgpr17
                                        ; implicit-def: $vgpr24
                                        ; implicit-def: $vgpr28
                                        ; implicit-def: $vgpr16
	s_or_saveexec_b32 s17, s0
	s_mov_b32 s0, 0
	s_xor_b32 exec_lo, exec_lo, s17
	s_cbranch_execnz .LBB85_272
	s_branch .LBB85_294
.LBB85_318:
	s_or_b32 s18, s16, exec_lo
	s_trap 2
                                        ; implicit-def: $vgpr0
                                        ; implicit-def: $vgpr2
                                        ; implicit-def: $vgpr28
                                        ; implicit-def: $vgpr16
	s_or_saveexec_b32 s27, s0
	s_mov_b32 s0, 0
	s_xor_b32 exec_lo, exec_lo, s27
	s_cbranch_execnz .LBB85_274
	s_branch .LBB85_293
	.section	.rodata,"a",@progbits
	.p2align	6, 0x0
	.amdhsa_kernel _ZN2at6native32elementwise_kernel_manual_unrollILi128ELi4EZNS0_22gpu_kernel_impl_nocastIZZZNS0_12_GLOBAL__N_142_validate_compressed_sparse_indices_kernelILNS3_8CDimNameE1ENS3_18CUDAKernelLauncherENS3_14EmptyVecKernelENS3_8DummyVecELm8EEEvRKNS_6TensorESB_lllENKUlvE1_clEvENKUlvE_clEvEUliiiiiE_EEvRNS_18TensorIteratorBaseERKT_EUlibE_EEviT1_
		.amdhsa_group_segment_fixed_size 0
		.amdhsa_private_segment_fixed_size 0
		.amdhsa_kernarg_size 808
		.amdhsa_user_sgpr_count 2
		.amdhsa_user_sgpr_dispatch_ptr 0
		.amdhsa_user_sgpr_queue_ptr 0
		.amdhsa_user_sgpr_kernarg_segment_ptr 1
		.amdhsa_user_sgpr_dispatch_id 0
		.amdhsa_user_sgpr_kernarg_preload_length 0
		.amdhsa_user_sgpr_kernarg_preload_offset 0
		.amdhsa_user_sgpr_private_segment_size 0
		.amdhsa_wavefront_size32 1
		.amdhsa_uses_dynamic_stack 0
		.amdhsa_enable_private_segment 0
		.amdhsa_system_sgpr_workgroup_id_x 1
		.amdhsa_system_sgpr_workgroup_id_y 0
		.amdhsa_system_sgpr_workgroup_id_z 0
		.amdhsa_system_sgpr_workgroup_info 0
		.amdhsa_system_vgpr_workitem_id 0
		.amdhsa_next_free_vgpr 46
		.amdhsa_next_free_sgpr 100
		.amdhsa_named_barrier_count 0
		.amdhsa_reserve_vcc 1
		.amdhsa_float_round_mode_32 0
		.amdhsa_float_round_mode_16_64 0
		.amdhsa_float_denorm_mode_32 3
		.amdhsa_float_denorm_mode_16_64 3
		.amdhsa_fp16_overflow 0
		.amdhsa_memory_ordered 1
		.amdhsa_forward_progress 1
		.amdhsa_inst_pref_size 154
		.amdhsa_round_robin_scheduling 0
		.amdhsa_exception_fp_ieee_invalid_op 0
		.amdhsa_exception_fp_denorm_src 0
		.amdhsa_exception_fp_ieee_div_zero 0
		.amdhsa_exception_fp_ieee_overflow 0
		.amdhsa_exception_fp_ieee_underflow 0
		.amdhsa_exception_fp_ieee_inexact 0
		.amdhsa_exception_int_div_zero 0
	.end_amdhsa_kernel
	.section	.text._ZN2at6native32elementwise_kernel_manual_unrollILi128ELi4EZNS0_22gpu_kernel_impl_nocastIZZZNS0_12_GLOBAL__N_142_validate_compressed_sparse_indices_kernelILNS3_8CDimNameE1ENS3_18CUDAKernelLauncherENS3_14EmptyVecKernelENS3_8DummyVecELm8EEEvRKNS_6TensorESB_lllENKUlvE1_clEvENKUlvE_clEvEUliiiiiE_EEvRNS_18TensorIteratorBaseERKT_EUlibE_EEviT1_,"axG",@progbits,_ZN2at6native32elementwise_kernel_manual_unrollILi128ELi4EZNS0_22gpu_kernel_impl_nocastIZZZNS0_12_GLOBAL__N_142_validate_compressed_sparse_indices_kernelILNS3_8CDimNameE1ENS3_18CUDAKernelLauncherENS3_14EmptyVecKernelENS3_8DummyVecELm8EEEvRKNS_6TensorESB_lllENKUlvE1_clEvENKUlvE_clEvEUliiiiiE_EEvRNS_18TensorIteratorBaseERKT_EUlibE_EEviT1_,comdat
.Lfunc_end85:
	.size	_ZN2at6native32elementwise_kernel_manual_unrollILi128ELi4EZNS0_22gpu_kernel_impl_nocastIZZZNS0_12_GLOBAL__N_142_validate_compressed_sparse_indices_kernelILNS3_8CDimNameE1ENS3_18CUDAKernelLauncherENS3_14EmptyVecKernelENS3_8DummyVecELm8EEEvRKNS_6TensorESB_lllENKUlvE1_clEvENKUlvE_clEvEUliiiiiE_EEvRNS_18TensorIteratorBaseERKT_EUlibE_EEviT1_, .Lfunc_end85-_ZN2at6native32elementwise_kernel_manual_unrollILi128ELi4EZNS0_22gpu_kernel_impl_nocastIZZZNS0_12_GLOBAL__N_142_validate_compressed_sparse_indices_kernelILNS3_8CDimNameE1ENS3_18CUDAKernelLauncherENS3_14EmptyVecKernelENS3_8DummyVecELm8EEEvRKNS_6TensorESB_lllENKUlvE1_clEvENKUlvE_clEvEUliiiiiE_EEvRNS_18TensorIteratorBaseERKT_EUlibE_EEviT1_
                                        ; -- End function
	.set _ZN2at6native32elementwise_kernel_manual_unrollILi128ELi4EZNS0_22gpu_kernel_impl_nocastIZZZNS0_12_GLOBAL__N_142_validate_compressed_sparse_indices_kernelILNS3_8CDimNameE1ENS3_18CUDAKernelLauncherENS3_14EmptyVecKernelENS3_8DummyVecELm8EEEvRKNS_6TensorESB_lllENKUlvE1_clEvENKUlvE_clEvEUliiiiiE_EEvRNS_18TensorIteratorBaseERKT_EUlibE_EEviT1_.num_vgpr, 46
	.set _ZN2at6native32elementwise_kernel_manual_unrollILi128ELi4EZNS0_22gpu_kernel_impl_nocastIZZZNS0_12_GLOBAL__N_142_validate_compressed_sparse_indices_kernelILNS3_8CDimNameE1ENS3_18CUDAKernelLauncherENS3_14EmptyVecKernelENS3_8DummyVecELm8EEEvRKNS_6TensorESB_lllENKUlvE1_clEvENKUlvE_clEvEUliiiiiE_EEvRNS_18TensorIteratorBaseERKT_EUlibE_EEviT1_.num_agpr, 0
	.set _ZN2at6native32elementwise_kernel_manual_unrollILi128ELi4EZNS0_22gpu_kernel_impl_nocastIZZZNS0_12_GLOBAL__N_142_validate_compressed_sparse_indices_kernelILNS3_8CDimNameE1ENS3_18CUDAKernelLauncherENS3_14EmptyVecKernelENS3_8DummyVecELm8EEEvRKNS_6TensorESB_lllENKUlvE1_clEvENKUlvE_clEvEUliiiiiE_EEvRNS_18TensorIteratorBaseERKT_EUlibE_EEviT1_.numbered_sgpr, 100
	.set _ZN2at6native32elementwise_kernel_manual_unrollILi128ELi4EZNS0_22gpu_kernel_impl_nocastIZZZNS0_12_GLOBAL__N_142_validate_compressed_sparse_indices_kernelILNS3_8CDimNameE1ENS3_18CUDAKernelLauncherENS3_14EmptyVecKernelENS3_8DummyVecELm8EEEvRKNS_6TensorESB_lllENKUlvE1_clEvENKUlvE_clEvEUliiiiiE_EEvRNS_18TensorIteratorBaseERKT_EUlibE_EEviT1_.num_named_barrier, 0
	.set _ZN2at6native32elementwise_kernel_manual_unrollILi128ELi4EZNS0_22gpu_kernel_impl_nocastIZZZNS0_12_GLOBAL__N_142_validate_compressed_sparse_indices_kernelILNS3_8CDimNameE1ENS3_18CUDAKernelLauncherENS3_14EmptyVecKernelENS3_8DummyVecELm8EEEvRKNS_6TensorESB_lllENKUlvE1_clEvENKUlvE_clEvEUliiiiiE_EEvRNS_18TensorIteratorBaseERKT_EUlibE_EEviT1_.private_seg_size, 0
	.set _ZN2at6native32elementwise_kernel_manual_unrollILi128ELi4EZNS0_22gpu_kernel_impl_nocastIZZZNS0_12_GLOBAL__N_142_validate_compressed_sparse_indices_kernelILNS3_8CDimNameE1ENS3_18CUDAKernelLauncherENS3_14EmptyVecKernelENS3_8DummyVecELm8EEEvRKNS_6TensorESB_lllENKUlvE1_clEvENKUlvE_clEvEUliiiiiE_EEvRNS_18TensorIteratorBaseERKT_EUlibE_EEviT1_.uses_vcc, 1
	.set _ZN2at6native32elementwise_kernel_manual_unrollILi128ELi4EZNS0_22gpu_kernel_impl_nocastIZZZNS0_12_GLOBAL__N_142_validate_compressed_sparse_indices_kernelILNS3_8CDimNameE1ENS3_18CUDAKernelLauncherENS3_14EmptyVecKernelENS3_8DummyVecELm8EEEvRKNS_6TensorESB_lllENKUlvE1_clEvENKUlvE_clEvEUliiiiiE_EEvRNS_18TensorIteratorBaseERKT_EUlibE_EEviT1_.uses_flat_scratch, 0
	.set _ZN2at6native32elementwise_kernel_manual_unrollILi128ELi4EZNS0_22gpu_kernel_impl_nocastIZZZNS0_12_GLOBAL__N_142_validate_compressed_sparse_indices_kernelILNS3_8CDimNameE1ENS3_18CUDAKernelLauncherENS3_14EmptyVecKernelENS3_8DummyVecELm8EEEvRKNS_6TensorESB_lllENKUlvE1_clEvENKUlvE_clEvEUliiiiiE_EEvRNS_18TensorIteratorBaseERKT_EUlibE_EEviT1_.has_dyn_sized_stack, 0
	.set _ZN2at6native32elementwise_kernel_manual_unrollILi128ELi4EZNS0_22gpu_kernel_impl_nocastIZZZNS0_12_GLOBAL__N_142_validate_compressed_sparse_indices_kernelILNS3_8CDimNameE1ENS3_18CUDAKernelLauncherENS3_14EmptyVecKernelENS3_8DummyVecELm8EEEvRKNS_6TensorESB_lllENKUlvE1_clEvENKUlvE_clEvEUliiiiiE_EEvRNS_18TensorIteratorBaseERKT_EUlibE_EEviT1_.has_recursion, 0
	.set _ZN2at6native32elementwise_kernel_manual_unrollILi128ELi4EZNS0_22gpu_kernel_impl_nocastIZZZNS0_12_GLOBAL__N_142_validate_compressed_sparse_indices_kernelILNS3_8CDimNameE1ENS3_18CUDAKernelLauncherENS3_14EmptyVecKernelENS3_8DummyVecELm8EEEvRKNS_6TensorESB_lllENKUlvE1_clEvENKUlvE_clEvEUliiiiiE_EEvRNS_18TensorIteratorBaseERKT_EUlibE_EEviT1_.has_indirect_call, 0
	.section	.AMDGPU.csdata,"",@progbits
; Kernel info:
; codeLenInByte = 19656
; TotalNumSgprs: 102
; NumVgprs: 46
; ScratchSize: 0
; MemoryBound: 0
; FloatMode: 240
; IeeeMode: 1
; LDSByteSize: 0 bytes/workgroup (compile time only)
; SGPRBlocks: 0
; VGPRBlocks: 2
; NumSGPRsForWavesPerEU: 102
; NumVGPRsForWavesPerEU: 46
; NamedBarCnt: 0
; Occupancy: 16
; WaveLimiterHint : 1
; COMPUTE_PGM_RSRC2:SCRATCH_EN: 0
; COMPUTE_PGM_RSRC2:USER_SGPR: 2
; COMPUTE_PGM_RSRC2:TRAP_HANDLER: 0
; COMPUTE_PGM_RSRC2:TGID_X_EN: 1
; COMPUTE_PGM_RSRC2:TGID_Y_EN: 0
; COMPUTE_PGM_RSRC2:TGID_Z_EN: 0
; COMPUTE_PGM_RSRC2:TIDIG_COMP_CNT: 0
	.section	.text._ZN2at6native32elementwise_kernel_manual_unrollILi128ELi4EZNS0_15gpu_kernel_implIZZZNS0_12_GLOBAL__N_142_validate_compressed_sparse_indices_kernelILNS3_8CDimNameE1ENS3_18CUDAKernelLauncherENS3_14EmptyVecKernelENS3_8DummyVecELm8EEEvRKNS_6TensorESB_lllENKUlvE1_clEvENKUlvE_clEvEUliiiiiE_EEvRNS_18TensorIteratorBaseERKT_EUlibE_EEviT1_,"axG",@progbits,_ZN2at6native32elementwise_kernel_manual_unrollILi128ELi4EZNS0_15gpu_kernel_implIZZZNS0_12_GLOBAL__N_142_validate_compressed_sparse_indices_kernelILNS3_8CDimNameE1ENS3_18CUDAKernelLauncherENS3_14EmptyVecKernelENS3_8DummyVecELm8EEEvRKNS_6TensorESB_lllENKUlvE1_clEvENKUlvE_clEvEUliiiiiE_EEvRNS_18TensorIteratorBaseERKT_EUlibE_EEviT1_,comdat
	.globl	_ZN2at6native32elementwise_kernel_manual_unrollILi128ELi4EZNS0_15gpu_kernel_implIZZZNS0_12_GLOBAL__N_142_validate_compressed_sparse_indices_kernelILNS3_8CDimNameE1ENS3_18CUDAKernelLauncherENS3_14EmptyVecKernelENS3_8DummyVecELm8EEEvRKNS_6TensorESB_lllENKUlvE1_clEvENKUlvE_clEvEUliiiiiE_EEvRNS_18TensorIteratorBaseERKT_EUlibE_EEviT1_ ; -- Begin function _ZN2at6native32elementwise_kernel_manual_unrollILi128ELi4EZNS0_15gpu_kernel_implIZZZNS0_12_GLOBAL__N_142_validate_compressed_sparse_indices_kernelILNS3_8CDimNameE1ENS3_18CUDAKernelLauncherENS3_14EmptyVecKernelENS3_8DummyVecELm8EEEvRKNS_6TensorESB_lllENKUlvE1_clEvENKUlvE_clEvEUliiiiiE_EEvRNS_18TensorIteratorBaseERKT_EUlibE_EEviT1_
	.p2align	8
	.type	_ZN2at6native32elementwise_kernel_manual_unrollILi128ELi4EZNS0_15gpu_kernel_implIZZZNS0_12_GLOBAL__N_142_validate_compressed_sparse_indices_kernelILNS3_8CDimNameE1ENS3_18CUDAKernelLauncherENS3_14EmptyVecKernelENS3_8DummyVecELm8EEEvRKNS_6TensorESB_lllENKUlvE1_clEvENKUlvE_clEvEUliiiiiE_EEvRNS_18TensorIteratorBaseERKT_EUlibE_EEviT1_,@function
_ZN2at6native32elementwise_kernel_manual_unrollILi128ELi4EZNS0_15gpu_kernel_implIZZZNS0_12_GLOBAL__N_142_validate_compressed_sparse_indices_kernelILNS3_8CDimNameE1ENS3_18CUDAKernelLauncherENS3_14EmptyVecKernelENS3_8DummyVecELm8EEEvRKNS_6TensorESB_lllENKUlvE1_clEvENKUlvE_clEvEUliiiiiE_EEvRNS_18TensorIteratorBaseERKT_EUlibE_EEviT1_: ; @_ZN2at6native32elementwise_kernel_manual_unrollILi128ELi4EZNS0_15gpu_kernel_implIZZZNS0_12_GLOBAL__N_142_validate_compressed_sparse_indices_kernelILNS3_8CDimNameE1ENS3_18CUDAKernelLauncherENS3_14EmptyVecKernelENS3_8DummyVecELm8EEEvRKNS_6TensorESB_lllENKUlvE1_clEvENKUlvE_clEvEUliiiiiE_EEvRNS_18TensorIteratorBaseERKT_EUlibE_EEviT1_
; %bb.0:
	s_bfe_u32 s4, ttmp6, 0x4000c
	s_clause 0x2
	s_load_b32 s55, s[0:1], 0x0
	s_load_b64 s[2:3], s[0:1], 0x8
	s_load_b32 s33, s[0:1], 0x38
	s_add_co_i32 s4, s4, 1
	s_and_b32 s5, ttmp6, 15
	s_mul_i32 s4, ttmp9, s4
	s_getreg_b32 s6, hwreg(HW_REG_IB_STS2, 6, 4)
	s_add_co_i32 s5, s5, s4
	s_cmp_eq_u32 s6, 0
	s_add_nc_u64 s[24:25], s[0:1], 8
	s_cselect_b32 s4, ttmp9, s5
	s_mov_b32 s46, 0
	v_lshl_or_b32 v22, s4, 9, v0
	s_mov_b32 s36, 0
	s_wait_xcnt 0x0
	s_mov_b32 s0, exec_lo
	s_delay_alu instid0(VALU_DEP_1) | instskip(SKIP_1) | instid1(VALU_DEP_1)
	v_or_b32_e32 v0, 0x180, v22
	s_wait_kmcnt 0x0
	v_cmpx_le_i32_e64 s55, v0
	s_xor_b32 s47, exec_lo, s0
	s_cbranch_execz .LBB86_2803
; %bb.1:
	s_clause 0x6
	s_load_b128 s[12:15], s[24:25], 0xe8
	s_load_b256 s[4:11], s[24:25], 0x8
	s_load_b64 s[30:31], s[24:25], 0x28
	s_load_b128 s[20:23], s[24:25], 0x34
	s_load_b64 s[28:29], s[24:25], 0x44
	s_load_b128 s[16:19], s[24:25], 0x50
	s_load_b32 s48, s[24:25], 0x60
	s_get_pc_i64 s[26:27]
	s_add_nc_u64 s[26:27], s[26:27], .str.6@rel64+4
	s_get_pc_i64 s[36:37]
	s_add_nc_u64 s[36:37], s[36:37], .str.7@rel64+4
	;; [unrolled: 2-line block ×4, first 2 shown]
	v_cmp_gt_i32_e32 vcc_lo, s55, v22
	s_mov_b32 s1, -1
	s_mov_b32 s67, 0
	s_mov_b32 s65, 0
	;; [unrolled: 1-line block ×7, first 2 shown]
	s_wait_kmcnt 0x0
	s_lshr_b32 s56, s14, 8
	s_lshr_b32 s53, s14, 16
	s_lshr_b64 s[34:35], s[14:15], 24
	s_lshr_b32 s52, s15, 8
	s_cmp_lg_u64 s[26:27], 0
	v_cmp_gt_i64_e64 s0, s[18:19], 0
	s_cselect_b32 s51, -1, 0
	s_cmp_lg_u64 s[36:37], 0
	s_mov_b32 s59, 0
	s_cselect_b32 s50, -1, 0
	s_cmp_lg_u64 s[38:39], 0
	s_mov_b32 s58, 0
	s_cselect_b32 s49, -1, 0
	s_add_co_i32 s26, s48, -1
	s_mov_b32 s57, 0
	s_cmp_gt_i32 s26, -1
	s_mov_b32 s54, 0
	s_cselect_b32 s17, -1, 0
	s_delay_alu instid0(SALU_CYCLE_1)
	s_and_b32 s17, s0, s17
	s_cmp_lg_u64 s[40:41], 0
	s_cselect_b32 s35, -1, 0
	s_and_saveexec_b32 s66, vcc_lo
	s_cbranch_execz .LBB86_630
; %bb.2:
	v_mul_lo_u32 v0, s20, v22
	s_and_b32 s0, s56, 0xff
	s_delay_alu instid0(SALU_CYCLE_1) | instskip(NEXT) | instid1(VALU_DEP_1)
	s_cmp_lt_i32 s0, 11
	v_ashrrev_i32_e32 v1, 31, v0
	s_delay_alu instid0(VALU_DEP_1)
	v_add_nc_u64_e32 v[0:1], s[4:5], v[0:1]
	s_cbranch_scc1 .LBB86_9
; %bb.3:
	s_and_b32 s1, 0xffff, s0
	s_delay_alu instid0(SALU_CYCLE_1)
	s_cmp_gt_i32 s1, 25
	s_cbranch_scc0 .LBB86_11
; %bb.4:
	s_cmp_gt_i32 s1, 28
	s_cbranch_scc0 .LBB86_12
; %bb.5:
	s_cmp_gt_i32 s1, 43
	s_cbranch_scc0 .LBB86_13
; %bb.6:
	s_cmp_gt_i32 s1, 45
	s_cbranch_scc0 .LBB86_14
; %bb.7:
	s_cmp_eq_u32 s1, 46
	s_mov_b32 s36, 0
	s_cbranch_scc0 .LBB86_15
; %bb.8:
	global_load_b32 v2, v[0:1], off
	s_mov_b32 s27, -1
	s_wait_loadcnt 0x0
	v_lshlrev_b32_e32 v2, 16, v2
	s_delay_alu instid0(VALU_DEP_1)
	v_cvt_i32_f32_e32 v7, v2
	s_branch .LBB86_17
.LBB86_9:
	s_mov_b32 s27, 0
                                        ; implicit-def: $vgpr7
	s_and_b32 vcc_lo, exec_lo, s1
	s_cbranch_vccnz .LBB86_77
.LBB86_10:
	s_and_not1_b32 vcc_lo, exec_lo, s27
	s_cbranch_vccz .LBB86_124
	s_branch .LBB86_628
.LBB86_11:
	s_mov_b32 s27, 0
                                        ; implicit-def: $vgpr7
	s_cbranch_execnz .LBB86_44
	s_branch .LBB86_76
.LBB86_12:
	s_mov_b32 s36, -1
	s_mov_b32 s27, 0
                                        ; implicit-def: $vgpr7
	s_branch .LBB86_27
.LBB86_13:
	s_mov_b32 s36, -1
	s_mov_b32 s27, 0
                                        ; implicit-def: $vgpr7
	s_branch .LBB86_22
.LBB86_14:
	s_mov_b32 s36, -1
	s_branch .LBB86_16
.LBB86_15:
	s_mov_b32 s65, -1
.LBB86_16:
	s_mov_b32 s27, 0
                                        ; implicit-def: $vgpr7
.LBB86_17:
	s_and_b32 vcc_lo, exec_lo, s36
	s_cbranch_vccz .LBB86_21
; %bb.18:
	s_cmp_eq_u32 s1, 44
	s_cbranch_scc0 .LBB86_20
; %bb.19:
	global_load_u8 v2, v[0:1], off
	s_mov_b32 s65, 0
	s_mov_b32 s27, -1
	s_wait_loadcnt 0x0
	v_lshlrev_b32_e32 v3, 23, v2
	v_cmp_ne_u32_e32 vcc_lo, 0, v2
	s_delay_alu instid0(VALU_DEP_2) | instskip(NEXT) | instid1(VALU_DEP_1)
	v_cvt_i32_f32_e32 v3, v3
	v_cndmask_b32_e32 v7, 0, v3, vcc_lo
	s_branch .LBB86_21
.LBB86_20:
	s_mov_b32 s65, -1
                                        ; implicit-def: $vgpr7
.LBB86_21:
	s_mov_b32 s36, 0
.LBB86_22:
	s_delay_alu instid0(SALU_CYCLE_1)
	s_and_b32 vcc_lo, exec_lo, s36
	s_cbranch_vccz .LBB86_26
; %bb.23:
	s_cmp_eq_u32 s1, 29
	s_cbranch_scc0 .LBB86_25
; %bb.24:
	global_load_b32 v7, v[0:1], off
	s_mov_b32 s27, -1
	s_mov_b32 s65, 0
	s_branch .LBB86_26
.LBB86_25:
	s_mov_b32 s65, -1
                                        ; implicit-def: $vgpr7
.LBB86_26:
	s_mov_b32 s36, 0
.LBB86_27:
	s_delay_alu instid0(SALU_CYCLE_1)
	s_and_b32 vcc_lo, exec_lo, s36
	s_cbranch_vccz .LBB86_43
; %bb.28:
	s_cmp_lt_i32 s1, 27
	s_cbranch_scc1 .LBB86_31
; %bb.29:
	s_cmp_gt_i32 s1, 27
	s_cbranch_scc0 .LBB86_32
; %bb.30:
	s_wait_loadcnt 0x0
	global_load_b32 v7, v[0:1], off
	s_mov_b32 s27, 0
	s_branch .LBB86_33
.LBB86_31:
	s_mov_b32 s27, -1
                                        ; implicit-def: $vgpr7
	s_branch .LBB86_36
.LBB86_32:
	s_mov_b32 s27, -1
                                        ; implicit-def: $vgpr7
.LBB86_33:
	s_delay_alu instid0(SALU_CYCLE_1)
	s_and_not1_b32 vcc_lo, exec_lo, s27
	s_cbranch_vccnz .LBB86_35
; %bb.34:
	s_wait_loadcnt 0x0
	global_load_u16 v7, v[0:1], off
.LBB86_35:
	s_mov_b32 s27, 0
.LBB86_36:
	s_delay_alu instid0(SALU_CYCLE_1)
	s_and_not1_b32 vcc_lo, exec_lo, s27
	s_cbranch_vccnz .LBB86_42
; %bb.37:
	global_load_u8 v2, v[0:1], off
	s_mov_b32 s36, 0
	s_mov_b32 s27, exec_lo
	s_wait_loadcnt 0x0
	v_cmpx_lt_i16_e32 0x7f, v2
	s_xor_b32 s27, exec_lo, s27
	s_cbranch_execz .LBB86_53
; %bb.38:
	v_cmp_ne_u16_e32 vcc_lo, 0x80, v2
	s_and_b32 s36, vcc_lo, exec_lo
	s_and_not1_saveexec_b32 s27, s27
	s_cbranch_execnz .LBB86_54
.LBB86_39:
	s_or_b32 exec_lo, exec_lo, s27
	v_mov_b32_e32 v7, 0
	s_and_saveexec_b32 s27, s36
	s_cbranch_execz .LBB86_41
.LBB86_40:
	v_and_b32_e32 v3, 0xffff, v2
	s_delay_alu instid0(VALU_DEP_1) | instskip(SKIP_1) | instid1(VALU_DEP_2)
	v_and_b32_e32 v4, 7, v3
	v_bfe_u32 v7, v3, 3, 4
	v_clz_i32_u32_e32 v5, v4
	s_delay_alu instid0(VALU_DEP_2) | instskip(NEXT) | instid1(VALU_DEP_2)
	v_cmp_eq_u32_e32 vcc_lo, 0, v7
	v_min_u32_e32 v5, 32, v5
	s_delay_alu instid0(VALU_DEP_1) | instskip(NEXT) | instid1(VALU_DEP_1)
	v_subrev_nc_u32_e32 v6, 28, v5
	v_dual_lshlrev_b32 v3, v6, v3 :: v_dual_sub_nc_u32 v5, 29, v5
	s_delay_alu instid0(VALU_DEP_1) | instskip(NEXT) | instid1(VALU_DEP_1)
	v_dual_lshlrev_b32 v2, 24, v2 :: v_dual_bitop2_b32 v3, 7, v3 bitop3:0x40
	v_dual_cndmask_b32 v5, v7, v5, vcc_lo :: v_dual_cndmask_b32 v3, v4, v3, vcc_lo
	s_delay_alu instid0(VALU_DEP_2) | instskip(NEXT) | instid1(VALU_DEP_2)
	v_and_b32_e32 v2, 0x80000000, v2
	v_lshl_add_u32 v4, v5, 23, 0x3b800000
	s_delay_alu instid0(VALU_DEP_3) | instskip(NEXT) | instid1(VALU_DEP_1)
	v_lshlrev_b32_e32 v3, 20, v3
	v_or3_b32 v2, v2, v4, v3
	s_delay_alu instid0(VALU_DEP_1)
	v_cvt_i32_f32_e32 v7, v2
.LBB86_41:
	s_or_b32 exec_lo, exec_lo, s27
.LBB86_42:
	s_mov_b32 s27, -1
.LBB86_43:
	s_branch .LBB86_76
.LBB86_44:
	s_cmp_gt_i32 s1, 22
	s_cbranch_scc0 .LBB86_52
; %bb.45:
	s_cmp_lt_i32 s1, 24
	s_cbranch_scc1 .LBB86_55
; %bb.46:
	s_cmp_gt_i32 s1, 24
	s_cbranch_scc0 .LBB86_56
; %bb.47:
	global_load_u8 v2, v[0:1], off
	s_mov_b32 s36, 0
	s_mov_b32 s27, exec_lo
	s_wait_loadcnt 0x0
	v_cmpx_lt_i16_e32 0x7f, v2
	s_xor_b32 s27, exec_lo, s27
	s_cbranch_execz .LBB86_68
; %bb.48:
	v_cmp_ne_u16_e32 vcc_lo, 0x80, v2
	s_and_b32 s36, vcc_lo, exec_lo
	s_and_not1_saveexec_b32 s27, s27
	s_cbranch_execnz .LBB86_69
.LBB86_49:
	s_or_b32 exec_lo, exec_lo, s27
	v_mov_b32_e32 v7, 0
	s_and_saveexec_b32 s27, s36
	s_cbranch_execz .LBB86_51
.LBB86_50:
	v_and_b32_e32 v3, 0xffff, v2
	s_delay_alu instid0(VALU_DEP_1) | instskip(SKIP_1) | instid1(VALU_DEP_2)
	v_and_b32_e32 v4, 3, v3
	v_bfe_u32 v7, v3, 2, 5
	v_clz_i32_u32_e32 v5, v4
	s_delay_alu instid0(VALU_DEP_2) | instskip(NEXT) | instid1(VALU_DEP_2)
	v_cmp_eq_u32_e32 vcc_lo, 0, v7
	v_min_u32_e32 v5, 32, v5
	s_delay_alu instid0(VALU_DEP_1) | instskip(NEXT) | instid1(VALU_DEP_1)
	v_subrev_nc_u32_e32 v6, 29, v5
	v_dual_lshlrev_b32 v3, v6, v3 :: v_dual_sub_nc_u32 v5, 30, v5
	s_delay_alu instid0(VALU_DEP_1) | instskip(NEXT) | instid1(VALU_DEP_1)
	v_dual_lshlrev_b32 v2, 24, v2 :: v_dual_bitop2_b32 v3, 3, v3 bitop3:0x40
	v_dual_cndmask_b32 v5, v7, v5, vcc_lo :: v_dual_cndmask_b32 v3, v4, v3, vcc_lo
	s_delay_alu instid0(VALU_DEP_2) | instskip(NEXT) | instid1(VALU_DEP_2)
	v_and_b32_e32 v2, 0x80000000, v2
	v_lshl_add_u32 v4, v5, 23, 0x37800000
	s_delay_alu instid0(VALU_DEP_3) | instskip(NEXT) | instid1(VALU_DEP_1)
	v_lshlrev_b32_e32 v3, 21, v3
	v_or3_b32 v2, v2, v4, v3
	s_delay_alu instid0(VALU_DEP_1)
	v_cvt_i32_f32_e32 v7, v2
.LBB86_51:
	s_or_b32 exec_lo, exec_lo, s27
	s_mov_b32 s27, 0
	s_branch .LBB86_57
.LBB86_52:
	s_mov_b32 s36, -1
                                        ; implicit-def: $vgpr7
	s_branch .LBB86_63
.LBB86_53:
	s_and_not1_saveexec_b32 s27, s27
	s_cbranch_execz .LBB86_39
.LBB86_54:
	v_cmp_ne_u16_e32 vcc_lo, 0, v2
	s_and_not1_b32 s36, s36, exec_lo
	s_and_b32 s37, vcc_lo, exec_lo
	s_delay_alu instid0(SALU_CYCLE_1)
	s_or_b32 s36, s36, s37
	s_or_b32 exec_lo, exec_lo, s27
	v_mov_b32_e32 v7, 0
	s_and_saveexec_b32 s27, s36
	s_cbranch_execnz .LBB86_40
	s_branch .LBB86_41
.LBB86_55:
	s_mov_b32 s27, -1
                                        ; implicit-def: $vgpr7
	s_branch .LBB86_60
.LBB86_56:
	s_mov_b32 s27, -1
                                        ; implicit-def: $vgpr7
.LBB86_57:
	s_delay_alu instid0(SALU_CYCLE_1)
	s_and_b32 vcc_lo, exec_lo, s27
	s_cbranch_vccz .LBB86_59
; %bb.58:
	global_load_u8 v2, v[0:1], off
	s_wait_loadcnt 0x0
	v_lshlrev_b32_e32 v2, 24, v2
	s_delay_alu instid0(VALU_DEP_1) | instskip(NEXT) | instid1(VALU_DEP_1)
	v_and_b32_e32 v3, 0x7f000000, v2
	v_clz_i32_u32_e32 v4, v3
	v_cmp_ne_u32_e32 vcc_lo, 0, v3
	v_add_nc_u32_e32 v6, 0x1000000, v3
	s_delay_alu instid0(VALU_DEP_3) | instskip(NEXT) | instid1(VALU_DEP_1)
	v_min_u32_e32 v4, 32, v4
	v_sub_nc_u32_e64 v4, v4, 4 clamp
	s_delay_alu instid0(VALU_DEP_1) | instskip(NEXT) | instid1(VALU_DEP_1)
	v_dual_lshlrev_b32 v5, v4, v3 :: v_dual_lshlrev_b32 v4, 23, v4
	v_lshrrev_b32_e32 v5, 4, v5
	s_delay_alu instid0(VALU_DEP_1) | instskip(NEXT) | instid1(VALU_DEP_1)
	v_dual_sub_nc_u32 v4, v5, v4 :: v_dual_ashrrev_i32 v5, 8, v6
	v_add_nc_u32_e32 v4, 0x3c000000, v4
	s_delay_alu instid0(VALU_DEP_1) | instskip(NEXT) | instid1(VALU_DEP_1)
	v_and_or_b32 v4, 0x7f800000, v5, v4
	v_cndmask_b32_e32 v3, 0, v4, vcc_lo
	s_delay_alu instid0(VALU_DEP_1) | instskip(NEXT) | instid1(VALU_DEP_1)
	v_and_or_b32 v2, 0x80000000, v2, v3
	v_cvt_i32_f32_e32 v7, v2
.LBB86_59:
	s_mov_b32 s27, 0
.LBB86_60:
	s_delay_alu instid0(SALU_CYCLE_1)
	s_and_not1_b32 vcc_lo, exec_lo, s27
	s_cbranch_vccnz .LBB86_62
; %bb.61:
	global_load_u8 v2, v[0:1], off
	s_wait_loadcnt 0x0
	v_lshlrev_b32_e32 v3, 25, v2
	v_lshlrev_b16 v2, 8, v2
	s_delay_alu instid0(VALU_DEP_1) | instskip(SKIP_1) | instid1(VALU_DEP_2)
	v_and_or_b32 v5, 0x7f00, v2, 0.5
	v_bfe_i32 v2, v2, 0, 16
	v_dual_add_f32 v5, -0.5, v5 :: v_dual_lshrrev_b32 v4, 4, v3
	v_cmp_gt_u32_e32 vcc_lo, 0x8000000, v3
	s_delay_alu instid0(VALU_DEP_2) | instskip(NEXT) | instid1(VALU_DEP_1)
	v_or_b32_e32 v4, 0x70000000, v4
	v_mul_f32_e32 v4, 0x7800000, v4
	s_delay_alu instid0(VALU_DEP_1) | instskip(NEXT) | instid1(VALU_DEP_1)
	v_cndmask_b32_e32 v3, v4, v5, vcc_lo
	v_and_or_b32 v2, 0x80000000, v2, v3
	s_delay_alu instid0(VALU_DEP_1)
	v_cvt_i32_f32_e32 v7, v2
.LBB86_62:
	s_mov_b32 s36, 0
	s_mov_b32 s27, -1
.LBB86_63:
	s_and_not1_b32 vcc_lo, exec_lo, s36
	s_cbranch_vccnz .LBB86_76
; %bb.64:
	s_cmp_gt_i32 s1, 14
	s_cbranch_scc0 .LBB86_67
; %bb.65:
	s_cmp_eq_u32 s1, 15
	s_cbranch_scc0 .LBB86_70
; %bb.66:
	global_load_u16 v2, v[0:1], off
	s_mov_b32 s27, -1
	s_mov_b32 s65, 0
	s_wait_loadcnt 0x0
	v_lshlrev_b32_e32 v2, 16, v2
	s_delay_alu instid0(VALU_DEP_1)
	v_cvt_i32_f32_e32 v7, v2
	s_branch .LBB86_71
.LBB86_67:
	s_mov_b32 s36, -1
                                        ; implicit-def: $vgpr7
	s_branch .LBB86_72
.LBB86_68:
	s_and_not1_saveexec_b32 s27, s27
	s_cbranch_execz .LBB86_49
.LBB86_69:
	v_cmp_ne_u16_e32 vcc_lo, 0, v2
	s_and_not1_b32 s36, s36, exec_lo
	s_and_b32 s37, vcc_lo, exec_lo
	s_delay_alu instid0(SALU_CYCLE_1)
	s_or_b32 s36, s36, s37
	s_or_b32 exec_lo, exec_lo, s27
	v_mov_b32_e32 v7, 0
	s_and_saveexec_b32 s27, s36
	s_cbranch_execnz .LBB86_50
	s_branch .LBB86_51
.LBB86_70:
	s_mov_b32 s65, -1
                                        ; implicit-def: $vgpr7
.LBB86_71:
	s_mov_b32 s36, 0
.LBB86_72:
	s_delay_alu instid0(SALU_CYCLE_1)
	s_and_b32 vcc_lo, exec_lo, s36
	s_cbranch_vccz .LBB86_76
; %bb.73:
	s_cmp_eq_u32 s1, 11
	s_cbranch_scc0 .LBB86_75
; %bb.74:
	global_load_u8 v2, v[0:1], off
	s_mov_b32 s65, 0
	s_mov_b32 s27, -1
	s_wait_loadcnt 0x0
	v_cmp_ne_u16_e32 vcc_lo, 0, v2
	v_cndmask_b32_e64 v7, 0, 1, vcc_lo
	s_branch .LBB86_76
.LBB86_75:
	s_mov_b32 s65, -1
                                        ; implicit-def: $vgpr7
.LBB86_76:
	s_branch .LBB86_10
.LBB86_77:
	s_and_b32 s0, 0xffff, s0
	s_delay_alu instid0(SALU_CYCLE_1)
	s_cmp_lt_i32 s0, 5
	s_cbranch_scc1 .LBB86_82
; %bb.78:
	s_cmp_lt_i32 s0, 8
	s_cbranch_scc1 .LBB86_83
; %bb.79:
	;; [unrolled: 3-line block ×3, first 2 shown]
	s_cmp_gt_i32 s0, 9
	s_cbranch_scc0 .LBB86_85
; %bb.81:
	global_load_b64 v[2:3], v[0:1], off
	s_mov_b32 s1, 0
	s_wait_loadcnt 0x0
	v_cvt_i32_f64_e32 v7, v[2:3]
	s_branch .LBB86_86
.LBB86_82:
                                        ; implicit-def: $vgpr7
	s_branch .LBB86_104
.LBB86_83:
	s_mov_b32 s1, -1
                                        ; implicit-def: $vgpr7
	s_branch .LBB86_92
.LBB86_84:
	s_mov_b32 s1, -1
                                        ; implicit-def: $vgpr7
	s_branch .LBB86_89
.LBB86_85:
	s_mov_b32 s1, -1
                                        ; implicit-def: $vgpr7
.LBB86_86:
	s_delay_alu instid0(SALU_CYCLE_1)
	s_and_not1_b32 vcc_lo, exec_lo, s1
	s_cbranch_vccnz .LBB86_88
; %bb.87:
	global_load_b32 v2, v[0:1], off
	s_wait_loadcnt 0x0
	v_cvt_i32_f32_e32 v7, v2
.LBB86_88:
	s_mov_b32 s1, 0
.LBB86_89:
	s_delay_alu instid0(SALU_CYCLE_1)
	s_and_not1_b32 vcc_lo, exec_lo, s1
	s_cbranch_vccnz .LBB86_91
; %bb.90:
	global_load_b32 v2, v[0:1], off
	s_wait_loadcnt 0x0
	v_cvt_f32_f16_e32 v2, v2
	s_delay_alu instid0(VALU_DEP_1)
	v_cvt_i32_f32_e32 v7, v2
.LBB86_91:
	s_mov_b32 s1, 0
.LBB86_92:
	s_delay_alu instid0(SALU_CYCLE_1)
	s_and_not1_b32 vcc_lo, exec_lo, s1
	s_cbranch_vccnz .LBB86_103
; %bb.93:
	s_cmp_lt_i32 s0, 6
	s_cbranch_scc1 .LBB86_96
; %bb.94:
	s_cmp_gt_i32 s0, 6
	s_cbranch_scc0 .LBB86_97
; %bb.95:
	global_load_b64 v[2:3], v[0:1], off
	s_mov_b32 s1, 0
	s_wait_loadcnt 0x0
	v_cvt_i32_f64_e32 v7, v[2:3]
	s_branch .LBB86_98
.LBB86_96:
	s_mov_b32 s1, -1
                                        ; implicit-def: $vgpr7
	s_branch .LBB86_101
.LBB86_97:
	s_mov_b32 s1, -1
                                        ; implicit-def: $vgpr7
.LBB86_98:
	s_delay_alu instid0(SALU_CYCLE_1)
	s_and_not1_b32 vcc_lo, exec_lo, s1
	s_cbranch_vccnz .LBB86_100
; %bb.99:
	global_load_b32 v2, v[0:1], off
	s_wait_loadcnt 0x0
	v_cvt_i32_f32_e32 v7, v2
.LBB86_100:
	s_mov_b32 s1, 0
.LBB86_101:
	s_delay_alu instid0(SALU_CYCLE_1)
	s_and_not1_b32 vcc_lo, exec_lo, s1
	s_cbranch_vccnz .LBB86_103
; %bb.102:
	global_load_u16 v2, v[0:1], off
	s_wait_loadcnt 0x0
	v_cvt_f32_f16_e32 v2, v2
	s_delay_alu instid0(VALU_DEP_1)
	v_cvt_i32_f32_e32 v7, v2
.LBB86_103:
	s_cbranch_execnz .LBB86_123
.LBB86_104:
	s_cmp_lt_i32 s0, 2
	s_cbranch_scc1 .LBB86_108
; %bb.105:
	s_cmp_lt_i32 s0, 3
	s_cbranch_scc1 .LBB86_109
; %bb.106:
	s_cmp_gt_i32 s0, 3
	s_cbranch_scc0 .LBB86_110
; %bb.107:
	s_wait_loadcnt 0x0
	global_load_b32 v7, v[0:1], off
	s_mov_b32 s1, 0
	s_branch .LBB86_111
.LBB86_108:
	s_mov_b32 s1, -1
                                        ; implicit-def: $vgpr7
	s_branch .LBB86_117
.LBB86_109:
	s_mov_b32 s1, -1
                                        ; implicit-def: $vgpr7
	s_branch .LBB86_114
.LBB86_110:
	s_mov_b32 s1, -1
                                        ; implicit-def: $vgpr7
.LBB86_111:
	s_delay_alu instid0(SALU_CYCLE_1)
	s_and_not1_b32 vcc_lo, exec_lo, s1
	s_cbranch_vccnz .LBB86_113
; %bb.112:
	s_wait_loadcnt 0x0
	global_load_b32 v7, v[0:1], off
.LBB86_113:
	s_mov_b32 s1, 0
.LBB86_114:
	s_delay_alu instid0(SALU_CYCLE_1)
	s_and_not1_b32 vcc_lo, exec_lo, s1
	s_cbranch_vccnz .LBB86_116
; %bb.115:
	s_wait_loadcnt 0x0
	global_load_i16 v7, v[0:1], off
.LBB86_116:
	s_mov_b32 s1, 0
.LBB86_117:
	s_delay_alu instid0(SALU_CYCLE_1)
	s_and_not1_b32 vcc_lo, exec_lo, s1
	s_cbranch_vccnz .LBB86_123
; %bb.118:
	s_cmp_gt_i32 s0, 0
	s_mov_b32 s0, 0
	s_cbranch_scc0 .LBB86_120
; %bb.119:
	s_wait_loadcnt 0x0
	global_load_i8 v7, v[0:1], off
	s_branch .LBB86_121
.LBB86_120:
	s_mov_b32 s0, -1
                                        ; implicit-def: $vgpr7
.LBB86_121:
	s_delay_alu instid0(SALU_CYCLE_1)
	s_and_not1_b32 vcc_lo, exec_lo, s0
	s_cbranch_vccnz .LBB86_123
; %bb.122:
	s_wait_loadcnt 0x0
	global_load_u8 v7, v[0:1], off
.LBB86_123:
.LBB86_124:
	s_wait_xcnt 0x0
	v_mul_lo_u32 v0, s21, v22
	s_and_b32 s0, s53, 0xff
	s_delay_alu instid0(SALU_CYCLE_1) | instskip(NEXT) | instid1(VALU_DEP_1)
	s_cmp_lt_i32 s0, 11
	v_ashrrev_i32_e32 v1, 31, v0
	s_delay_alu instid0(VALU_DEP_1)
	v_add_nc_u64_e32 v[0:1], s[6:7], v[0:1]
	s_cbranch_scc1 .LBB86_131
; %bb.125:
	s_and_b32 s1, 0xffff, s0
	s_delay_alu instid0(SALU_CYCLE_1)
	s_cmp_gt_i32 s1, 25
	s_cbranch_scc0 .LBB86_133
; %bb.126:
	s_cmp_gt_i32 s1, 28
	s_cbranch_scc0 .LBB86_134
; %bb.127:
	;; [unrolled: 3-line block ×4, first 2 shown]
	s_cmp_eq_u32 s1, 46
	s_mov_b32 s36, 0
	s_cbranch_scc0 .LBB86_137
; %bb.130:
	global_load_b32 v2, v[0:1], off
	s_mov_b32 s27, -1
	s_wait_loadcnt 0x0
	v_lshlrev_b32_e32 v2, 16, v2
	s_delay_alu instid0(VALU_DEP_1)
	v_cvt_i32_f32_e32 v8, v2
	s_branch .LBB86_139
.LBB86_131:
	s_mov_b32 s27, 0
                                        ; implicit-def: $vgpr8
	s_cbranch_execnz .LBB86_200
.LBB86_132:
	s_and_not1_b32 vcc_lo, exec_lo, s27
	s_cbranch_vccnz .LBB86_628
	s_branch .LBB86_248
.LBB86_133:
	s_mov_b32 s36, -1
	s_mov_b32 s27, 0
                                        ; implicit-def: $vgpr8
	s_branch .LBB86_166
.LBB86_134:
	s_mov_b32 s36, -1
	s_mov_b32 s27, 0
                                        ; implicit-def: $vgpr8
	s_branch .LBB86_149
.LBB86_135:
	s_mov_b32 s36, -1
	s_mov_b32 s27, 0
                                        ; implicit-def: $vgpr8
	s_branch .LBB86_144
.LBB86_136:
	s_mov_b32 s36, -1
	s_branch .LBB86_138
.LBB86_137:
	s_mov_b32 s64, -1
.LBB86_138:
	s_mov_b32 s27, 0
                                        ; implicit-def: $vgpr8
.LBB86_139:
	s_and_b32 vcc_lo, exec_lo, s36
	s_cbranch_vccz .LBB86_143
; %bb.140:
	s_cmp_eq_u32 s1, 44
	s_cbranch_scc0 .LBB86_142
; %bb.141:
	global_load_u8 v2, v[0:1], off
	s_mov_b32 s64, 0
	s_mov_b32 s27, -1
	s_wait_loadcnt 0x0
	v_lshlrev_b32_e32 v3, 23, v2
	v_cmp_ne_u32_e32 vcc_lo, 0, v2
	s_delay_alu instid0(VALU_DEP_2) | instskip(NEXT) | instid1(VALU_DEP_1)
	v_cvt_i32_f32_e32 v3, v3
	v_cndmask_b32_e32 v8, 0, v3, vcc_lo
	s_branch .LBB86_143
.LBB86_142:
	s_mov_b32 s64, -1
                                        ; implicit-def: $vgpr8
.LBB86_143:
	s_mov_b32 s36, 0
.LBB86_144:
	s_delay_alu instid0(SALU_CYCLE_1)
	s_and_b32 vcc_lo, exec_lo, s36
	s_cbranch_vccz .LBB86_148
; %bb.145:
	s_cmp_eq_u32 s1, 29
	s_cbranch_scc0 .LBB86_147
; %bb.146:
	global_load_b32 v8, v[0:1], off
	s_mov_b32 s27, -1
	s_mov_b32 s64, 0
	s_branch .LBB86_148
.LBB86_147:
	s_mov_b32 s64, -1
                                        ; implicit-def: $vgpr8
.LBB86_148:
	s_mov_b32 s36, 0
.LBB86_149:
	s_delay_alu instid0(SALU_CYCLE_1)
	s_and_b32 vcc_lo, exec_lo, s36
	s_cbranch_vccz .LBB86_165
; %bb.150:
	s_cmp_lt_i32 s1, 27
	s_cbranch_scc1 .LBB86_153
; %bb.151:
	s_cmp_gt_i32 s1, 27
	s_cbranch_scc0 .LBB86_154
; %bb.152:
	s_wait_loadcnt 0x0
	global_load_b32 v8, v[0:1], off
	s_mov_b32 s27, 0
	s_branch .LBB86_155
.LBB86_153:
	s_mov_b32 s27, -1
                                        ; implicit-def: $vgpr8
	s_branch .LBB86_158
.LBB86_154:
	s_mov_b32 s27, -1
                                        ; implicit-def: $vgpr8
.LBB86_155:
	s_delay_alu instid0(SALU_CYCLE_1)
	s_and_not1_b32 vcc_lo, exec_lo, s27
	s_cbranch_vccnz .LBB86_157
; %bb.156:
	s_wait_loadcnt 0x0
	global_load_u16 v8, v[0:1], off
.LBB86_157:
	s_mov_b32 s27, 0
.LBB86_158:
	s_delay_alu instid0(SALU_CYCLE_1)
	s_and_not1_b32 vcc_lo, exec_lo, s27
	s_cbranch_vccnz .LBB86_164
; %bb.159:
	global_load_u8 v2, v[0:1], off
	s_mov_b32 s36, 0
	s_mov_b32 s27, exec_lo
	s_wait_loadcnt 0x0
	v_cmpx_lt_i16_e32 0x7f, v2
	s_xor_b32 s27, exec_lo, s27
	s_cbranch_execz .LBB86_176
; %bb.160:
	v_cmp_ne_u16_e32 vcc_lo, 0x80, v2
	s_and_b32 s36, vcc_lo, exec_lo
	s_and_not1_saveexec_b32 s27, s27
	s_cbranch_execnz .LBB86_177
.LBB86_161:
	s_or_b32 exec_lo, exec_lo, s27
	v_mov_b32_e32 v8, 0
	s_and_saveexec_b32 s27, s36
	s_cbranch_execz .LBB86_163
.LBB86_162:
	v_and_b32_e32 v3, 0xffff, v2
	s_delay_alu instid0(VALU_DEP_1) | instskip(SKIP_1) | instid1(VALU_DEP_2)
	v_and_b32_e32 v4, 7, v3
	v_bfe_u32 v8, v3, 3, 4
	v_clz_i32_u32_e32 v5, v4
	s_delay_alu instid0(VALU_DEP_2) | instskip(NEXT) | instid1(VALU_DEP_2)
	v_cmp_eq_u32_e32 vcc_lo, 0, v8
	v_min_u32_e32 v5, 32, v5
	s_delay_alu instid0(VALU_DEP_1) | instskip(NEXT) | instid1(VALU_DEP_1)
	v_subrev_nc_u32_e32 v6, 28, v5
	v_dual_lshlrev_b32 v3, v6, v3 :: v_dual_sub_nc_u32 v5, 29, v5
	s_delay_alu instid0(VALU_DEP_1) | instskip(NEXT) | instid1(VALU_DEP_2)
	v_dual_lshlrev_b32 v2, 24, v2 :: v_dual_bitop2_b32 v3, 7, v3 bitop3:0x40
	v_cndmask_b32_e32 v5, v8, v5, vcc_lo
	s_delay_alu instid0(VALU_DEP_2) | instskip(NEXT) | instid1(VALU_DEP_3)
	v_cndmask_b32_e32 v3, v4, v3, vcc_lo
	v_and_b32_e32 v2, 0x80000000, v2
	s_delay_alu instid0(VALU_DEP_3) | instskip(NEXT) | instid1(VALU_DEP_3)
	v_lshl_add_u32 v4, v5, 23, 0x3b800000
	v_lshlrev_b32_e32 v3, 20, v3
	s_delay_alu instid0(VALU_DEP_1) | instskip(NEXT) | instid1(VALU_DEP_1)
	v_or3_b32 v2, v2, v4, v3
	v_cvt_i32_f32_e32 v8, v2
.LBB86_163:
	s_or_b32 exec_lo, exec_lo, s27
.LBB86_164:
	s_mov_b32 s27, -1
.LBB86_165:
	s_mov_b32 s36, 0
.LBB86_166:
	s_delay_alu instid0(SALU_CYCLE_1)
	s_and_b32 vcc_lo, exec_lo, s36
	s_cbranch_vccz .LBB86_199
; %bb.167:
	s_cmp_gt_i32 s1, 22
	s_cbranch_scc0 .LBB86_175
; %bb.168:
	s_cmp_lt_i32 s1, 24
	s_cbranch_scc1 .LBB86_178
; %bb.169:
	s_cmp_gt_i32 s1, 24
	s_cbranch_scc0 .LBB86_179
; %bb.170:
	global_load_u8 v2, v[0:1], off
	s_mov_b32 s36, 0
	s_mov_b32 s27, exec_lo
	s_wait_loadcnt 0x0
	v_cmpx_lt_i16_e32 0x7f, v2
	s_xor_b32 s27, exec_lo, s27
	s_cbranch_execz .LBB86_191
; %bb.171:
	v_cmp_ne_u16_e32 vcc_lo, 0x80, v2
	s_and_b32 s36, vcc_lo, exec_lo
	s_and_not1_saveexec_b32 s27, s27
	s_cbranch_execnz .LBB86_192
.LBB86_172:
	s_or_b32 exec_lo, exec_lo, s27
	v_mov_b32_e32 v8, 0
	s_and_saveexec_b32 s27, s36
	s_cbranch_execz .LBB86_174
.LBB86_173:
	v_and_b32_e32 v3, 0xffff, v2
	s_delay_alu instid0(VALU_DEP_1) | instskip(SKIP_1) | instid1(VALU_DEP_2)
	v_and_b32_e32 v4, 3, v3
	v_bfe_u32 v8, v3, 2, 5
	v_clz_i32_u32_e32 v5, v4
	s_delay_alu instid0(VALU_DEP_2) | instskip(NEXT) | instid1(VALU_DEP_2)
	v_cmp_eq_u32_e32 vcc_lo, 0, v8
	v_min_u32_e32 v5, 32, v5
	s_delay_alu instid0(VALU_DEP_1) | instskip(NEXT) | instid1(VALU_DEP_1)
	v_subrev_nc_u32_e32 v6, 29, v5
	v_dual_lshlrev_b32 v3, v6, v3 :: v_dual_sub_nc_u32 v5, 30, v5
	s_delay_alu instid0(VALU_DEP_1) | instskip(NEXT) | instid1(VALU_DEP_2)
	v_dual_lshlrev_b32 v2, 24, v2 :: v_dual_bitop2_b32 v3, 3, v3 bitop3:0x40
	v_cndmask_b32_e32 v5, v8, v5, vcc_lo
	s_delay_alu instid0(VALU_DEP_2) | instskip(NEXT) | instid1(VALU_DEP_3)
	v_cndmask_b32_e32 v3, v4, v3, vcc_lo
	v_and_b32_e32 v2, 0x80000000, v2
	s_delay_alu instid0(VALU_DEP_3) | instskip(NEXT) | instid1(VALU_DEP_3)
	v_lshl_add_u32 v4, v5, 23, 0x37800000
	v_lshlrev_b32_e32 v3, 21, v3
	s_delay_alu instid0(VALU_DEP_1) | instskip(NEXT) | instid1(VALU_DEP_1)
	v_or3_b32 v2, v2, v4, v3
	v_cvt_i32_f32_e32 v8, v2
.LBB86_174:
	s_or_b32 exec_lo, exec_lo, s27
	s_mov_b32 s27, 0
	s_branch .LBB86_180
.LBB86_175:
	s_mov_b32 s36, -1
                                        ; implicit-def: $vgpr8
	s_branch .LBB86_186
.LBB86_176:
	s_and_not1_saveexec_b32 s27, s27
	s_cbranch_execz .LBB86_161
.LBB86_177:
	v_cmp_ne_u16_e32 vcc_lo, 0, v2
	s_and_not1_b32 s36, s36, exec_lo
	s_and_b32 s37, vcc_lo, exec_lo
	s_delay_alu instid0(SALU_CYCLE_1)
	s_or_b32 s36, s36, s37
	s_or_b32 exec_lo, exec_lo, s27
	v_mov_b32_e32 v8, 0
	s_and_saveexec_b32 s27, s36
	s_cbranch_execnz .LBB86_162
	s_branch .LBB86_163
.LBB86_178:
	s_mov_b32 s27, -1
                                        ; implicit-def: $vgpr8
	s_branch .LBB86_183
.LBB86_179:
	s_mov_b32 s27, -1
                                        ; implicit-def: $vgpr8
.LBB86_180:
	s_delay_alu instid0(SALU_CYCLE_1)
	s_and_b32 vcc_lo, exec_lo, s27
	s_cbranch_vccz .LBB86_182
; %bb.181:
	global_load_u8 v2, v[0:1], off
	s_wait_loadcnt 0x0
	v_lshlrev_b32_e32 v2, 24, v2
	s_delay_alu instid0(VALU_DEP_1) | instskip(NEXT) | instid1(VALU_DEP_1)
	v_and_b32_e32 v3, 0x7f000000, v2
	v_clz_i32_u32_e32 v4, v3
	v_cmp_ne_u32_e32 vcc_lo, 0, v3
	v_add_nc_u32_e32 v6, 0x1000000, v3
	s_delay_alu instid0(VALU_DEP_3) | instskip(NEXT) | instid1(VALU_DEP_1)
	v_min_u32_e32 v4, 32, v4
	v_sub_nc_u32_e64 v4, v4, 4 clamp
	s_delay_alu instid0(VALU_DEP_1) | instskip(NEXT) | instid1(VALU_DEP_1)
	v_dual_lshlrev_b32 v5, v4, v3 :: v_dual_lshlrev_b32 v4, 23, v4
	v_lshrrev_b32_e32 v5, 4, v5
	s_delay_alu instid0(VALU_DEP_1) | instskip(NEXT) | instid1(VALU_DEP_1)
	v_dual_sub_nc_u32 v4, v5, v4 :: v_dual_ashrrev_i32 v5, 8, v6
	v_add_nc_u32_e32 v4, 0x3c000000, v4
	s_delay_alu instid0(VALU_DEP_1) | instskip(NEXT) | instid1(VALU_DEP_1)
	v_and_or_b32 v4, 0x7f800000, v5, v4
	v_cndmask_b32_e32 v3, 0, v4, vcc_lo
	s_delay_alu instid0(VALU_DEP_1) | instskip(NEXT) | instid1(VALU_DEP_1)
	v_and_or_b32 v2, 0x80000000, v2, v3
	v_cvt_i32_f32_e32 v8, v2
.LBB86_182:
	s_mov_b32 s27, 0
.LBB86_183:
	s_delay_alu instid0(SALU_CYCLE_1)
	s_and_not1_b32 vcc_lo, exec_lo, s27
	s_cbranch_vccnz .LBB86_185
; %bb.184:
	global_load_u8 v2, v[0:1], off
	s_wait_loadcnt 0x0
	v_lshlrev_b32_e32 v3, 25, v2
	v_lshlrev_b16 v2, 8, v2
	s_delay_alu instid0(VALU_DEP_1) | instskip(SKIP_1) | instid1(VALU_DEP_2)
	v_and_or_b32 v5, 0x7f00, v2, 0.5
	v_bfe_i32 v2, v2, 0, 16
	v_dual_add_f32 v5, -0.5, v5 :: v_dual_lshrrev_b32 v4, 4, v3
	v_cmp_gt_u32_e32 vcc_lo, 0x8000000, v3
	s_delay_alu instid0(VALU_DEP_2) | instskip(NEXT) | instid1(VALU_DEP_1)
	v_or_b32_e32 v4, 0x70000000, v4
	v_mul_f32_e32 v4, 0x7800000, v4
	s_delay_alu instid0(VALU_DEP_1) | instskip(NEXT) | instid1(VALU_DEP_1)
	v_cndmask_b32_e32 v3, v4, v5, vcc_lo
	v_and_or_b32 v2, 0x80000000, v2, v3
	s_delay_alu instid0(VALU_DEP_1)
	v_cvt_i32_f32_e32 v8, v2
.LBB86_185:
	s_mov_b32 s36, 0
	s_mov_b32 s27, -1
.LBB86_186:
	s_and_not1_b32 vcc_lo, exec_lo, s36
	s_cbranch_vccnz .LBB86_199
; %bb.187:
	s_cmp_gt_i32 s1, 14
	s_cbranch_scc0 .LBB86_190
; %bb.188:
	s_cmp_eq_u32 s1, 15
	s_cbranch_scc0 .LBB86_193
; %bb.189:
	global_load_u16 v2, v[0:1], off
	s_mov_b32 s27, -1
	s_mov_b32 s64, 0
	s_wait_loadcnt 0x0
	v_lshlrev_b32_e32 v2, 16, v2
	s_delay_alu instid0(VALU_DEP_1)
	v_cvt_i32_f32_e32 v8, v2
	s_branch .LBB86_194
.LBB86_190:
	s_mov_b32 s36, -1
                                        ; implicit-def: $vgpr8
	s_branch .LBB86_195
.LBB86_191:
	s_and_not1_saveexec_b32 s27, s27
	s_cbranch_execz .LBB86_172
.LBB86_192:
	v_cmp_ne_u16_e32 vcc_lo, 0, v2
	s_and_not1_b32 s36, s36, exec_lo
	s_and_b32 s37, vcc_lo, exec_lo
	s_delay_alu instid0(SALU_CYCLE_1)
	s_or_b32 s36, s36, s37
	s_or_b32 exec_lo, exec_lo, s27
	v_mov_b32_e32 v8, 0
	s_and_saveexec_b32 s27, s36
	s_cbranch_execnz .LBB86_173
	s_branch .LBB86_174
.LBB86_193:
	s_mov_b32 s64, -1
                                        ; implicit-def: $vgpr8
.LBB86_194:
	s_mov_b32 s36, 0
.LBB86_195:
	s_delay_alu instid0(SALU_CYCLE_1)
	s_and_b32 vcc_lo, exec_lo, s36
	s_cbranch_vccz .LBB86_199
; %bb.196:
	s_cmp_eq_u32 s1, 11
	s_cbranch_scc0 .LBB86_198
; %bb.197:
	global_load_u8 v2, v[0:1], off
	s_mov_b32 s64, 0
	s_mov_b32 s27, -1
	s_wait_loadcnt 0x0
	v_cmp_ne_u16_e32 vcc_lo, 0, v2
	v_cndmask_b32_e64 v8, 0, 1, vcc_lo
	s_branch .LBB86_199
.LBB86_198:
	s_mov_b32 s64, -1
                                        ; implicit-def: $vgpr8
.LBB86_199:
	s_branch .LBB86_132
.LBB86_200:
	s_and_b32 s0, 0xffff, s0
	s_delay_alu instid0(SALU_CYCLE_1)
	s_cmp_lt_i32 s0, 5
	s_cbranch_scc1 .LBB86_205
; %bb.201:
	s_cmp_lt_i32 s0, 8
	s_cbranch_scc1 .LBB86_206
; %bb.202:
	;; [unrolled: 3-line block ×3, first 2 shown]
	s_cmp_gt_i32 s0, 9
	s_cbranch_scc0 .LBB86_208
; %bb.204:
	global_load_b64 v[2:3], v[0:1], off
	s_mov_b32 s1, 0
	s_wait_loadcnt 0x0
	v_cvt_i32_f64_e32 v8, v[2:3]
	s_branch .LBB86_209
.LBB86_205:
	s_mov_b32 s1, -1
                                        ; implicit-def: $vgpr8
	s_branch .LBB86_227
.LBB86_206:
	s_mov_b32 s1, -1
                                        ; implicit-def: $vgpr8
	s_branch .LBB86_215
.LBB86_207:
	s_mov_b32 s1, -1
                                        ; implicit-def: $vgpr8
	s_branch .LBB86_212
.LBB86_208:
	s_mov_b32 s1, -1
                                        ; implicit-def: $vgpr8
.LBB86_209:
	s_delay_alu instid0(SALU_CYCLE_1)
	s_and_not1_b32 vcc_lo, exec_lo, s1
	s_cbranch_vccnz .LBB86_211
; %bb.210:
	global_load_b32 v2, v[0:1], off
	s_wait_loadcnt 0x0
	v_cvt_i32_f32_e32 v8, v2
.LBB86_211:
	s_mov_b32 s1, 0
.LBB86_212:
	s_delay_alu instid0(SALU_CYCLE_1)
	s_and_not1_b32 vcc_lo, exec_lo, s1
	s_cbranch_vccnz .LBB86_214
; %bb.213:
	global_load_b32 v2, v[0:1], off
	s_wait_loadcnt 0x0
	v_cvt_f32_f16_e32 v2, v2
	s_delay_alu instid0(VALU_DEP_1)
	v_cvt_i32_f32_e32 v8, v2
.LBB86_214:
	s_mov_b32 s1, 0
.LBB86_215:
	s_delay_alu instid0(SALU_CYCLE_1)
	s_and_not1_b32 vcc_lo, exec_lo, s1
	s_cbranch_vccnz .LBB86_226
; %bb.216:
	s_cmp_lt_i32 s0, 6
	s_cbranch_scc1 .LBB86_219
; %bb.217:
	s_cmp_gt_i32 s0, 6
	s_cbranch_scc0 .LBB86_220
; %bb.218:
	global_load_b64 v[2:3], v[0:1], off
	s_mov_b32 s1, 0
	s_wait_loadcnt 0x0
	v_cvt_i32_f64_e32 v8, v[2:3]
	s_branch .LBB86_221
.LBB86_219:
	s_mov_b32 s1, -1
                                        ; implicit-def: $vgpr8
	s_branch .LBB86_224
.LBB86_220:
	s_mov_b32 s1, -1
                                        ; implicit-def: $vgpr8
.LBB86_221:
	s_delay_alu instid0(SALU_CYCLE_1)
	s_and_not1_b32 vcc_lo, exec_lo, s1
	s_cbranch_vccnz .LBB86_223
; %bb.222:
	global_load_b32 v2, v[0:1], off
	s_wait_loadcnt 0x0
	v_cvt_i32_f32_e32 v8, v2
.LBB86_223:
	s_mov_b32 s1, 0
.LBB86_224:
	s_delay_alu instid0(SALU_CYCLE_1)
	s_and_not1_b32 vcc_lo, exec_lo, s1
	s_cbranch_vccnz .LBB86_226
; %bb.225:
	global_load_u16 v2, v[0:1], off
	s_wait_loadcnt 0x0
	v_cvt_f32_f16_e32 v2, v2
	s_delay_alu instid0(VALU_DEP_1)
	v_cvt_i32_f32_e32 v8, v2
.LBB86_226:
	s_mov_b32 s1, 0
.LBB86_227:
	s_delay_alu instid0(SALU_CYCLE_1)
	s_and_not1_b32 vcc_lo, exec_lo, s1
	s_cbranch_vccnz .LBB86_247
; %bb.228:
	s_cmp_lt_i32 s0, 2
	s_cbranch_scc1 .LBB86_232
; %bb.229:
	s_cmp_lt_i32 s0, 3
	s_cbranch_scc1 .LBB86_233
; %bb.230:
	s_cmp_gt_i32 s0, 3
	s_cbranch_scc0 .LBB86_234
; %bb.231:
	s_wait_loadcnt 0x0
	global_load_b32 v8, v[0:1], off
	s_mov_b32 s1, 0
	s_branch .LBB86_235
.LBB86_232:
	s_mov_b32 s1, -1
                                        ; implicit-def: $vgpr8
	s_branch .LBB86_241
.LBB86_233:
	s_mov_b32 s1, -1
                                        ; implicit-def: $vgpr8
	s_branch .LBB86_238
.LBB86_234:
	s_mov_b32 s1, -1
                                        ; implicit-def: $vgpr8
.LBB86_235:
	s_delay_alu instid0(SALU_CYCLE_1)
	s_and_not1_b32 vcc_lo, exec_lo, s1
	s_cbranch_vccnz .LBB86_237
; %bb.236:
	s_wait_loadcnt 0x0
	global_load_b32 v8, v[0:1], off
.LBB86_237:
	s_mov_b32 s1, 0
.LBB86_238:
	s_delay_alu instid0(SALU_CYCLE_1)
	s_and_not1_b32 vcc_lo, exec_lo, s1
	s_cbranch_vccnz .LBB86_240
; %bb.239:
	s_wait_loadcnt 0x0
	global_load_i16 v8, v[0:1], off
.LBB86_240:
	s_mov_b32 s1, 0
.LBB86_241:
	s_delay_alu instid0(SALU_CYCLE_1)
	s_and_not1_b32 vcc_lo, exec_lo, s1
	s_cbranch_vccnz .LBB86_247
; %bb.242:
	s_cmp_gt_i32 s0, 0
	s_mov_b32 s0, 0
	s_cbranch_scc0 .LBB86_244
; %bb.243:
	s_wait_loadcnt 0x0
	global_load_i8 v8, v[0:1], off
	s_branch .LBB86_245
.LBB86_244:
	s_mov_b32 s0, -1
                                        ; implicit-def: $vgpr8
.LBB86_245:
	s_delay_alu instid0(SALU_CYCLE_1)
	s_and_not1_b32 vcc_lo, exec_lo, s0
	s_cbranch_vccnz .LBB86_247
; %bb.246:
	s_wait_loadcnt 0x0
	global_load_u8 v8, v[0:1], off
.LBB86_247:
.LBB86_248:
	s_wait_xcnt 0x0
	v_mul_lo_u32 v0, s22, v22
	s_and_b32 s0, s34, 0xff
	s_delay_alu instid0(SALU_CYCLE_1) | instskip(NEXT) | instid1(VALU_DEP_1)
	s_cmp_lt_i32 s0, 11
	v_ashrrev_i32_e32 v1, 31, v0
	s_delay_alu instid0(VALU_DEP_1)
	v_add_nc_u64_e32 v[2:3], s[8:9], v[0:1]
	s_cbranch_scc1 .LBB86_255
; %bb.249:
	s_and_b32 s1, 0xffff, s0
	s_delay_alu instid0(SALU_CYCLE_1)
	s_cmp_gt_i32 s1, 25
	s_cbranch_scc0 .LBB86_256
; %bb.250:
	s_cmp_gt_i32 s1, 28
	s_cbranch_scc0 .LBB86_257
; %bb.251:
	;; [unrolled: 3-line block ×4, first 2 shown]
	s_cmp_eq_u32 s1, 46
	s_mov_b32 s36, 0
	s_cbranch_scc0 .LBB86_260
; %bb.254:
	global_load_b32 v0, v[2:3], off
	s_mov_b32 s27, -1
	s_wait_loadcnt 0x0
	v_lshlrev_b32_e32 v0, 16, v0
	s_delay_alu instid0(VALU_DEP_1)
	v_cvt_i32_f32_e32 v0, v0
	s_branch .LBB86_262
.LBB86_255:
	s_mov_b32 s1, -1
	s_mov_b32 s27, 0
                                        ; implicit-def: $vgpr0
	s_branch .LBB86_323
.LBB86_256:
	s_mov_b32 s36, -1
	s_mov_b32 s27, 0
                                        ; implicit-def: $vgpr0
	s_branch .LBB86_289
.LBB86_257:
	s_mov_b32 s36, -1
	s_mov_b32 s27, 0
                                        ; implicit-def: $vgpr0
	s_branch .LBB86_272
.LBB86_258:
	s_mov_b32 s36, -1
	s_mov_b32 s27, 0
                                        ; implicit-def: $vgpr0
	s_branch .LBB86_267
.LBB86_259:
	s_mov_b32 s36, -1
	s_branch .LBB86_261
.LBB86_260:
	s_mov_b32 s63, -1
.LBB86_261:
	s_mov_b32 s27, 0
                                        ; implicit-def: $vgpr0
.LBB86_262:
	s_and_b32 vcc_lo, exec_lo, s36
	s_cbranch_vccz .LBB86_266
; %bb.263:
	s_cmp_eq_u32 s1, 44
	s_cbranch_scc0 .LBB86_265
; %bb.264:
	global_load_u8 v0, v[2:3], off
	s_mov_b32 s63, 0
	s_mov_b32 s27, -1
	s_wait_loadcnt 0x0
	v_lshlrev_b32_e32 v1, 23, v0
	v_cmp_ne_u32_e32 vcc_lo, 0, v0
	s_delay_alu instid0(VALU_DEP_2) | instskip(NEXT) | instid1(VALU_DEP_1)
	v_cvt_i32_f32_e32 v1, v1
	v_cndmask_b32_e32 v0, 0, v1, vcc_lo
	s_branch .LBB86_266
.LBB86_265:
	s_mov_b32 s63, -1
                                        ; implicit-def: $vgpr0
.LBB86_266:
	s_mov_b32 s36, 0
.LBB86_267:
	s_delay_alu instid0(SALU_CYCLE_1)
	s_and_b32 vcc_lo, exec_lo, s36
	s_cbranch_vccz .LBB86_271
; %bb.268:
	s_cmp_eq_u32 s1, 29
	s_cbranch_scc0 .LBB86_270
; %bb.269:
	global_load_b32 v0, v[2:3], off
	s_mov_b32 s27, -1
	s_mov_b32 s63, 0
	s_branch .LBB86_271
.LBB86_270:
	s_mov_b32 s63, -1
                                        ; implicit-def: $vgpr0
.LBB86_271:
	s_mov_b32 s36, 0
.LBB86_272:
	s_delay_alu instid0(SALU_CYCLE_1)
	s_and_b32 vcc_lo, exec_lo, s36
	s_cbranch_vccz .LBB86_288
; %bb.273:
	s_cmp_lt_i32 s1, 27
	s_cbranch_scc1 .LBB86_276
; %bb.274:
	s_cmp_gt_i32 s1, 27
	s_cbranch_scc0 .LBB86_277
; %bb.275:
	s_wait_loadcnt 0x0
	global_load_b32 v0, v[2:3], off
	s_mov_b32 s27, 0
	s_branch .LBB86_278
.LBB86_276:
	s_mov_b32 s27, -1
                                        ; implicit-def: $vgpr0
	s_branch .LBB86_281
.LBB86_277:
	s_mov_b32 s27, -1
                                        ; implicit-def: $vgpr0
.LBB86_278:
	s_delay_alu instid0(SALU_CYCLE_1)
	s_and_not1_b32 vcc_lo, exec_lo, s27
	s_cbranch_vccnz .LBB86_280
; %bb.279:
	s_wait_loadcnt 0x0
	global_load_u16 v0, v[2:3], off
.LBB86_280:
	s_mov_b32 s27, 0
.LBB86_281:
	s_delay_alu instid0(SALU_CYCLE_1)
	s_and_not1_b32 vcc_lo, exec_lo, s27
	s_cbranch_vccnz .LBB86_287
; %bb.282:
	global_load_u8 v1, v[2:3], off
	s_mov_b32 s36, 0
	s_mov_b32 s27, exec_lo
	s_wait_loadcnt 0x0
	v_cmpx_lt_i16_e32 0x7f, v1
	s_xor_b32 s27, exec_lo, s27
	s_cbranch_execz .LBB86_299
; %bb.283:
	v_cmp_ne_u16_e32 vcc_lo, 0x80, v1
	s_and_b32 s36, vcc_lo, exec_lo
	s_and_not1_saveexec_b32 s27, s27
	s_cbranch_execnz .LBB86_300
.LBB86_284:
	s_or_b32 exec_lo, exec_lo, s27
	v_mov_b32_e32 v0, 0
	s_and_saveexec_b32 s27, s36
	s_cbranch_execz .LBB86_286
.LBB86_285:
	v_and_b32_e32 v0, 0xffff, v1
	s_delay_alu instid0(VALU_DEP_1) | instskip(SKIP_1) | instid1(VALU_DEP_2)
	v_and_b32_e32 v4, 7, v0
	v_bfe_u32 v9, v0, 3, 4
	v_clz_i32_u32_e32 v5, v4
	s_delay_alu instid0(VALU_DEP_2) | instskip(NEXT) | instid1(VALU_DEP_2)
	v_cmp_eq_u32_e32 vcc_lo, 0, v9
	v_min_u32_e32 v5, 32, v5
	s_delay_alu instid0(VALU_DEP_1) | instskip(NEXT) | instid1(VALU_DEP_1)
	v_subrev_nc_u32_e32 v6, 28, v5
	v_dual_lshlrev_b32 v0, v6, v0 :: v_dual_sub_nc_u32 v5, 29, v5
	s_delay_alu instid0(VALU_DEP_1) | instskip(NEXT) | instid1(VALU_DEP_1)
	v_dual_lshlrev_b32 v1, 24, v1 :: v_dual_bitop2_b32 v0, 7, v0 bitop3:0x40
	v_dual_cndmask_b32 v0, v4, v0 :: v_dual_cndmask_b32 v5, v9, v5
	s_delay_alu instid0(VALU_DEP_2) | instskip(NEXT) | instid1(VALU_DEP_2)
	v_and_b32_e32 v1, 0x80000000, v1
	v_lshlrev_b32_e32 v0, 20, v0
	s_delay_alu instid0(VALU_DEP_3) | instskip(NEXT) | instid1(VALU_DEP_1)
	v_lshl_add_u32 v4, v5, 23, 0x3b800000
	v_or3_b32 v0, v1, v4, v0
	s_delay_alu instid0(VALU_DEP_1)
	v_cvt_i32_f32_e32 v0, v0
.LBB86_286:
	s_or_b32 exec_lo, exec_lo, s27
.LBB86_287:
	s_mov_b32 s27, -1
.LBB86_288:
	s_mov_b32 s36, 0
.LBB86_289:
	s_delay_alu instid0(SALU_CYCLE_1)
	s_and_b32 vcc_lo, exec_lo, s36
	s_cbranch_vccz .LBB86_322
; %bb.290:
	s_cmp_gt_i32 s1, 22
	s_cbranch_scc0 .LBB86_298
; %bb.291:
	s_cmp_lt_i32 s1, 24
	s_cbranch_scc1 .LBB86_301
; %bb.292:
	s_cmp_gt_i32 s1, 24
	s_cbranch_scc0 .LBB86_302
; %bb.293:
	global_load_u8 v1, v[2:3], off
	s_mov_b32 s36, 0
	s_mov_b32 s27, exec_lo
	s_wait_loadcnt 0x0
	v_cmpx_lt_i16_e32 0x7f, v1
	s_xor_b32 s27, exec_lo, s27
	s_cbranch_execz .LBB86_314
; %bb.294:
	v_cmp_ne_u16_e32 vcc_lo, 0x80, v1
	s_and_b32 s36, vcc_lo, exec_lo
	s_and_not1_saveexec_b32 s27, s27
	s_cbranch_execnz .LBB86_315
.LBB86_295:
	s_or_b32 exec_lo, exec_lo, s27
	v_mov_b32_e32 v0, 0
	s_and_saveexec_b32 s27, s36
	s_cbranch_execz .LBB86_297
.LBB86_296:
	v_and_b32_e32 v0, 0xffff, v1
	s_delay_alu instid0(VALU_DEP_1) | instskip(SKIP_1) | instid1(VALU_DEP_2)
	v_and_b32_e32 v4, 3, v0
	v_bfe_u32 v9, v0, 2, 5
	v_clz_i32_u32_e32 v5, v4
	s_delay_alu instid0(VALU_DEP_2) | instskip(NEXT) | instid1(VALU_DEP_2)
	v_cmp_eq_u32_e32 vcc_lo, 0, v9
	v_min_u32_e32 v5, 32, v5
	s_delay_alu instid0(VALU_DEP_1) | instskip(NEXT) | instid1(VALU_DEP_1)
	v_subrev_nc_u32_e32 v6, 29, v5
	v_dual_lshlrev_b32 v0, v6, v0 :: v_dual_sub_nc_u32 v5, 30, v5
	s_delay_alu instid0(VALU_DEP_1) | instskip(NEXT) | instid1(VALU_DEP_1)
	v_dual_lshlrev_b32 v1, 24, v1 :: v_dual_bitop2_b32 v0, 3, v0 bitop3:0x40
	v_dual_cndmask_b32 v0, v4, v0 :: v_dual_cndmask_b32 v5, v9, v5
	s_delay_alu instid0(VALU_DEP_2) | instskip(NEXT) | instid1(VALU_DEP_2)
	v_and_b32_e32 v1, 0x80000000, v1
	v_lshlrev_b32_e32 v0, 21, v0
	s_delay_alu instid0(VALU_DEP_3) | instskip(NEXT) | instid1(VALU_DEP_1)
	v_lshl_add_u32 v4, v5, 23, 0x37800000
	v_or3_b32 v0, v1, v4, v0
	s_delay_alu instid0(VALU_DEP_1)
	v_cvt_i32_f32_e32 v0, v0
.LBB86_297:
	s_or_b32 exec_lo, exec_lo, s27
	s_mov_b32 s27, 0
	s_branch .LBB86_303
.LBB86_298:
	s_mov_b32 s36, -1
                                        ; implicit-def: $vgpr0
	s_branch .LBB86_309
.LBB86_299:
	s_and_not1_saveexec_b32 s27, s27
	s_cbranch_execz .LBB86_284
.LBB86_300:
	v_cmp_ne_u16_e32 vcc_lo, 0, v1
	s_and_not1_b32 s36, s36, exec_lo
	s_and_b32 s37, vcc_lo, exec_lo
	s_delay_alu instid0(SALU_CYCLE_1)
	s_or_b32 s36, s36, s37
	s_or_b32 exec_lo, exec_lo, s27
	v_mov_b32_e32 v0, 0
	s_and_saveexec_b32 s27, s36
	s_cbranch_execnz .LBB86_285
	s_branch .LBB86_286
.LBB86_301:
	s_mov_b32 s27, -1
                                        ; implicit-def: $vgpr0
	s_branch .LBB86_306
.LBB86_302:
	s_mov_b32 s27, -1
                                        ; implicit-def: $vgpr0
.LBB86_303:
	s_delay_alu instid0(SALU_CYCLE_1)
	s_and_b32 vcc_lo, exec_lo, s27
	s_cbranch_vccz .LBB86_305
; %bb.304:
	s_wait_loadcnt 0x0
	global_load_u8 v0, v[2:3], off
	s_wait_loadcnt 0x0
	v_lshlrev_b32_e32 v0, 24, v0
	s_delay_alu instid0(VALU_DEP_1) | instskip(NEXT) | instid1(VALU_DEP_1)
	v_and_b32_e32 v1, 0x7f000000, v0
	v_clz_i32_u32_e32 v4, v1
	v_cmp_ne_u32_e32 vcc_lo, 0, v1
	v_add_nc_u32_e32 v6, 0x1000000, v1
	s_delay_alu instid0(VALU_DEP_3) | instskip(NEXT) | instid1(VALU_DEP_1)
	v_min_u32_e32 v4, 32, v4
	v_sub_nc_u32_e64 v4, v4, 4 clamp
	s_delay_alu instid0(VALU_DEP_1) | instskip(NEXT) | instid1(VALU_DEP_1)
	v_dual_lshlrev_b32 v5, v4, v1 :: v_dual_lshlrev_b32 v4, 23, v4
	v_lshrrev_b32_e32 v5, 4, v5
	s_delay_alu instid0(VALU_DEP_1) | instskip(NEXT) | instid1(VALU_DEP_1)
	v_dual_sub_nc_u32 v4, v5, v4 :: v_dual_ashrrev_i32 v5, 8, v6
	v_add_nc_u32_e32 v4, 0x3c000000, v4
	s_delay_alu instid0(VALU_DEP_1) | instskip(NEXT) | instid1(VALU_DEP_1)
	v_and_or_b32 v4, 0x7f800000, v5, v4
	v_cndmask_b32_e32 v1, 0, v4, vcc_lo
	s_delay_alu instid0(VALU_DEP_1) | instskip(NEXT) | instid1(VALU_DEP_1)
	v_and_or_b32 v0, 0x80000000, v0, v1
	v_cvt_i32_f32_e32 v0, v0
.LBB86_305:
	s_mov_b32 s27, 0
.LBB86_306:
	s_delay_alu instid0(SALU_CYCLE_1)
	s_and_not1_b32 vcc_lo, exec_lo, s27
	s_cbranch_vccnz .LBB86_308
; %bb.307:
	s_wait_loadcnt 0x0
	global_load_u8 v0, v[2:3], off
	s_wait_loadcnt 0x0
	v_lshlrev_b32_e32 v1, 25, v0
	v_lshlrev_b16 v0, 8, v0
	s_delay_alu instid0(VALU_DEP_1) | instskip(SKIP_1) | instid1(VALU_DEP_2)
	v_and_or_b32 v5, 0x7f00, v0, 0.5
	v_bfe_i32 v0, v0, 0, 16
	v_add_f32_e32 v5, -0.5, v5
	v_lshrrev_b32_e32 v4, 4, v1
	v_cmp_gt_u32_e32 vcc_lo, 0x8000000, v1
	s_delay_alu instid0(VALU_DEP_2) | instskip(NEXT) | instid1(VALU_DEP_1)
	v_or_b32_e32 v4, 0x70000000, v4
	v_mul_f32_e32 v4, 0x7800000, v4
	s_delay_alu instid0(VALU_DEP_1) | instskip(NEXT) | instid1(VALU_DEP_1)
	v_cndmask_b32_e32 v1, v4, v5, vcc_lo
	v_and_or_b32 v0, 0x80000000, v0, v1
	s_delay_alu instid0(VALU_DEP_1)
	v_cvt_i32_f32_e32 v0, v0
.LBB86_308:
	s_mov_b32 s36, 0
	s_mov_b32 s27, -1
.LBB86_309:
	s_and_not1_b32 vcc_lo, exec_lo, s36
	s_cbranch_vccnz .LBB86_322
; %bb.310:
	s_cmp_gt_i32 s1, 14
	s_cbranch_scc0 .LBB86_313
; %bb.311:
	s_cmp_eq_u32 s1, 15
	s_cbranch_scc0 .LBB86_316
; %bb.312:
	s_wait_loadcnt 0x0
	global_load_u16 v0, v[2:3], off
	s_mov_b32 s27, -1
	s_mov_b32 s63, 0
	s_wait_loadcnt 0x0
	v_lshlrev_b32_e32 v0, 16, v0
	s_delay_alu instid0(VALU_DEP_1)
	v_cvt_i32_f32_e32 v0, v0
	s_branch .LBB86_317
.LBB86_313:
	s_mov_b32 s36, -1
                                        ; implicit-def: $vgpr0
	s_branch .LBB86_318
.LBB86_314:
	s_and_not1_saveexec_b32 s27, s27
	s_cbranch_execz .LBB86_295
.LBB86_315:
	v_cmp_ne_u16_e32 vcc_lo, 0, v1
	s_and_not1_b32 s36, s36, exec_lo
	s_and_b32 s37, vcc_lo, exec_lo
	s_delay_alu instid0(SALU_CYCLE_1)
	s_or_b32 s36, s36, s37
	s_or_b32 exec_lo, exec_lo, s27
	v_mov_b32_e32 v0, 0
	s_and_saveexec_b32 s27, s36
	s_cbranch_execnz .LBB86_296
	s_branch .LBB86_297
.LBB86_316:
	s_mov_b32 s63, -1
                                        ; implicit-def: $vgpr0
.LBB86_317:
	s_mov_b32 s36, 0
.LBB86_318:
	s_delay_alu instid0(SALU_CYCLE_1)
	s_and_b32 vcc_lo, exec_lo, s36
	s_cbranch_vccz .LBB86_322
; %bb.319:
	s_cmp_eq_u32 s1, 11
	s_cbranch_scc0 .LBB86_321
; %bb.320:
	s_wait_loadcnt 0x0
	global_load_u8 v0, v[2:3], off
	s_mov_b32 s63, 0
	s_mov_b32 s27, -1
	s_wait_loadcnt 0x0
	v_cmp_ne_u16_e32 vcc_lo, 0, v0
	v_cndmask_b32_e64 v0, 0, 1, vcc_lo
	s_branch .LBB86_322
.LBB86_321:
	s_mov_b32 s63, -1
                                        ; implicit-def: $vgpr0
.LBB86_322:
	s_mov_b32 s1, 0
.LBB86_323:
	s_delay_alu instid0(SALU_CYCLE_1)
	s_and_b32 vcc_lo, exec_lo, s1
	s_cbranch_vccz .LBB86_372
; %bb.324:
	s_and_b32 s0, 0xffff, s0
	s_delay_alu instid0(SALU_CYCLE_1)
	s_cmp_lt_i32 s0, 5
	s_cbranch_scc1 .LBB86_329
; %bb.325:
	s_cmp_lt_i32 s0, 8
	s_cbranch_scc1 .LBB86_330
; %bb.326:
	;; [unrolled: 3-line block ×3, first 2 shown]
	s_cmp_gt_i32 s0, 9
	s_cbranch_scc0 .LBB86_332
; %bb.328:
	s_wait_loadcnt 0x0
	global_load_b64 v[0:1], v[2:3], off
	s_mov_b32 s1, 0
	s_wait_loadcnt 0x0
	v_cvt_i32_f64_e32 v0, v[0:1]
	s_branch .LBB86_333
.LBB86_329:
	s_mov_b32 s1, -1
                                        ; implicit-def: $vgpr0
	s_branch .LBB86_351
.LBB86_330:
	s_mov_b32 s1, -1
                                        ; implicit-def: $vgpr0
	s_branch .LBB86_339
.LBB86_331:
	s_mov_b32 s1, -1
                                        ; implicit-def: $vgpr0
	s_branch .LBB86_336
.LBB86_332:
	s_mov_b32 s1, -1
                                        ; implicit-def: $vgpr0
.LBB86_333:
	s_delay_alu instid0(SALU_CYCLE_1)
	s_and_not1_b32 vcc_lo, exec_lo, s1
	s_cbranch_vccnz .LBB86_335
; %bb.334:
	s_wait_loadcnt 0x0
	global_load_b32 v0, v[2:3], off
	s_wait_loadcnt 0x0
	v_cvt_i32_f32_e32 v0, v0
.LBB86_335:
	s_mov_b32 s1, 0
.LBB86_336:
	s_delay_alu instid0(SALU_CYCLE_1)
	s_and_not1_b32 vcc_lo, exec_lo, s1
	s_cbranch_vccnz .LBB86_338
; %bb.337:
	s_wait_loadcnt 0x0
	global_load_b32 v0, v[2:3], off
	s_wait_loadcnt 0x0
	v_cvt_f32_f16_e32 v0, v0
	s_delay_alu instid0(VALU_DEP_1)
	v_cvt_i32_f32_e32 v0, v0
.LBB86_338:
	s_mov_b32 s1, 0
.LBB86_339:
	s_delay_alu instid0(SALU_CYCLE_1)
	s_and_not1_b32 vcc_lo, exec_lo, s1
	s_cbranch_vccnz .LBB86_350
; %bb.340:
	s_cmp_lt_i32 s0, 6
	s_cbranch_scc1 .LBB86_343
; %bb.341:
	s_cmp_gt_i32 s0, 6
	s_cbranch_scc0 .LBB86_344
; %bb.342:
	s_wait_loadcnt 0x0
	global_load_b64 v[0:1], v[2:3], off
	s_mov_b32 s1, 0
	s_wait_loadcnt 0x0
	v_cvt_i32_f64_e32 v0, v[0:1]
	s_branch .LBB86_345
.LBB86_343:
	s_mov_b32 s1, -1
                                        ; implicit-def: $vgpr0
	s_branch .LBB86_348
.LBB86_344:
	s_mov_b32 s1, -1
                                        ; implicit-def: $vgpr0
.LBB86_345:
	s_delay_alu instid0(SALU_CYCLE_1)
	s_and_not1_b32 vcc_lo, exec_lo, s1
	s_cbranch_vccnz .LBB86_347
; %bb.346:
	s_wait_loadcnt 0x0
	global_load_b32 v0, v[2:3], off
	s_wait_loadcnt 0x0
	v_cvt_i32_f32_e32 v0, v0
.LBB86_347:
	s_mov_b32 s1, 0
.LBB86_348:
	s_delay_alu instid0(SALU_CYCLE_1)
	s_and_not1_b32 vcc_lo, exec_lo, s1
	s_cbranch_vccnz .LBB86_350
; %bb.349:
	s_wait_loadcnt 0x0
	global_load_u16 v0, v[2:3], off
	s_wait_loadcnt 0x0
	v_cvt_f32_f16_e32 v0, v0
	s_delay_alu instid0(VALU_DEP_1)
	v_cvt_i32_f32_e32 v0, v0
.LBB86_350:
	s_mov_b32 s1, 0
.LBB86_351:
	s_delay_alu instid0(SALU_CYCLE_1)
	s_and_not1_b32 vcc_lo, exec_lo, s1
	s_cbranch_vccnz .LBB86_371
; %bb.352:
	s_cmp_lt_i32 s0, 2
	s_cbranch_scc1 .LBB86_356
; %bb.353:
	s_cmp_lt_i32 s0, 3
	s_cbranch_scc1 .LBB86_357
; %bb.354:
	s_cmp_gt_i32 s0, 3
	s_cbranch_scc0 .LBB86_358
; %bb.355:
	s_wait_loadcnt 0x0
	global_load_b32 v0, v[2:3], off
	s_mov_b32 s1, 0
	s_branch .LBB86_359
.LBB86_356:
	s_mov_b32 s1, -1
                                        ; implicit-def: $vgpr0
	s_branch .LBB86_365
.LBB86_357:
	s_mov_b32 s1, -1
                                        ; implicit-def: $vgpr0
	s_branch .LBB86_362
.LBB86_358:
	s_mov_b32 s1, -1
                                        ; implicit-def: $vgpr0
.LBB86_359:
	s_delay_alu instid0(SALU_CYCLE_1)
	s_and_not1_b32 vcc_lo, exec_lo, s1
	s_cbranch_vccnz .LBB86_361
; %bb.360:
	s_wait_loadcnt 0x0
	global_load_b32 v0, v[2:3], off
.LBB86_361:
	s_mov_b32 s1, 0
.LBB86_362:
	s_delay_alu instid0(SALU_CYCLE_1)
	s_and_not1_b32 vcc_lo, exec_lo, s1
	s_cbranch_vccnz .LBB86_364
; %bb.363:
	s_wait_loadcnt 0x0
	global_load_i16 v0, v[2:3], off
.LBB86_364:
	s_mov_b32 s1, 0
.LBB86_365:
	s_delay_alu instid0(SALU_CYCLE_1)
	s_and_not1_b32 vcc_lo, exec_lo, s1
	s_cbranch_vccnz .LBB86_371
; %bb.366:
	s_cmp_gt_i32 s0, 0
	s_mov_b32 s0, 0
	s_cbranch_scc0 .LBB86_368
; %bb.367:
	s_wait_loadcnt 0x0
	global_load_i8 v0, v[2:3], off
	s_branch .LBB86_369
.LBB86_368:
	s_mov_b32 s0, -1
                                        ; implicit-def: $vgpr0
.LBB86_369:
	s_delay_alu instid0(SALU_CYCLE_1)
	s_and_not1_b32 vcc_lo, exec_lo, s0
	s_cbranch_vccnz .LBB86_371
; %bb.370:
	s_wait_loadcnt 0x0
	global_load_u8 v0, v[2:3], off
.LBB86_371:
	s_mov_b32 s27, -1
.LBB86_372:
	s_delay_alu instid0(SALU_CYCLE_1)
	s_and_not1_b32 vcc_lo, exec_lo, s27
	s_cbranch_vccnz .LBB86_628
; %bb.373:
	s_wait_xcnt 0x0
	v_mul_lo_u32 v2, s23, v22
	s_and_b32 s0, s15, 0xff
	s_delay_alu instid0(SALU_CYCLE_1) | instskip(NEXT) | instid1(VALU_DEP_1)
	s_cmp_lt_i32 s0, 11
	v_ashrrev_i32_e32 v3, 31, v2
	s_delay_alu instid0(VALU_DEP_1)
	v_add_nc_u64_e32 v[4:5], s[10:11], v[2:3]
	s_cbranch_scc1 .LBB86_380
; %bb.374:
	s_and_b32 s1, 0xffff, s0
	s_delay_alu instid0(SALU_CYCLE_1)
	s_cmp_gt_i32 s1, 25
	s_cbranch_scc0 .LBB86_381
; %bb.375:
	s_cmp_gt_i32 s1, 28
	s_cbranch_scc0 .LBB86_382
; %bb.376:
	;; [unrolled: 3-line block ×4, first 2 shown]
	s_cmp_eq_u32 s1, 46
	s_mov_b32 s36, 0
	s_cbranch_scc0 .LBB86_385
; %bb.379:
	global_load_b32 v1, v[4:5], off
	s_mov_b32 s27, -1
	s_wait_loadcnt 0x0
	v_lshlrev_b32_e32 v1, 16, v1
	s_delay_alu instid0(VALU_DEP_1)
	v_cvt_i32_f32_e32 v2, v1
	s_branch .LBB86_387
.LBB86_380:
	s_mov_b32 s1, -1
	s_mov_b32 s27, 0
                                        ; implicit-def: $vgpr2
	s_branch .LBB86_448
.LBB86_381:
	s_mov_b32 s36, -1
	s_mov_b32 s27, 0
                                        ; implicit-def: $vgpr2
	s_branch .LBB86_414
.LBB86_382:
	s_mov_b32 s36, -1
	s_mov_b32 s27, 0
                                        ; implicit-def: $vgpr2
	s_branch .LBB86_397
.LBB86_383:
	s_mov_b32 s36, -1
	s_mov_b32 s27, 0
                                        ; implicit-def: $vgpr2
	s_branch .LBB86_392
.LBB86_384:
	s_mov_b32 s36, -1
	s_branch .LBB86_386
.LBB86_385:
	s_mov_b32 s62, -1
.LBB86_386:
	s_mov_b32 s27, 0
                                        ; implicit-def: $vgpr2
.LBB86_387:
	s_and_b32 vcc_lo, exec_lo, s36
	s_cbranch_vccz .LBB86_391
; %bb.388:
	s_cmp_eq_u32 s1, 44
	s_cbranch_scc0 .LBB86_390
; %bb.389:
	global_load_u8 v1, v[4:5], off
	s_mov_b32 s62, 0
	s_mov_b32 s27, -1
	s_wait_loadcnt 0x0
	v_lshlrev_b32_e32 v2, 23, v1
	v_cmp_ne_u32_e32 vcc_lo, 0, v1
	s_delay_alu instid0(VALU_DEP_2) | instskip(NEXT) | instid1(VALU_DEP_1)
	v_cvt_i32_f32_e32 v2, v2
	v_cndmask_b32_e32 v2, 0, v2, vcc_lo
	s_branch .LBB86_391
.LBB86_390:
	s_mov_b32 s62, -1
                                        ; implicit-def: $vgpr2
.LBB86_391:
	s_mov_b32 s36, 0
.LBB86_392:
	s_delay_alu instid0(SALU_CYCLE_1)
	s_and_b32 vcc_lo, exec_lo, s36
	s_cbranch_vccz .LBB86_396
; %bb.393:
	s_cmp_eq_u32 s1, 29
	s_cbranch_scc0 .LBB86_395
; %bb.394:
	global_load_b32 v2, v[4:5], off
	s_mov_b32 s27, -1
	s_mov_b32 s62, 0
	s_branch .LBB86_396
.LBB86_395:
	s_mov_b32 s62, -1
                                        ; implicit-def: $vgpr2
.LBB86_396:
	s_mov_b32 s36, 0
.LBB86_397:
	s_delay_alu instid0(SALU_CYCLE_1)
	s_and_b32 vcc_lo, exec_lo, s36
	s_cbranch_vccz .LBB86_413
; %bb.398:
	s_cmp_lt_i32 s1, 27
	s_cbranch_scc1 .LBB86_401
; %bb.399:
	s_cmp_gt_i32 s1, 27
	s_cbranch_scc0 .LBB86_402
; %bb.400:
	s_wait_loadcnt 0x0
	global_load_b32 v2, v[4:5], off
	s_mov_b32 s27, 0
	s_branch .LBB86_403
.LBB86_401:
	s_mov_b32 s27, -1
                                        ; implicit-def: $vgpr2
	s_branch .LBB86_406
.LBB86_402:
	s_mov_b32 s27, -1
                                        ; implicit-def: $vgpr2
.LBB86_403:
	s_delay_alu instid0(SALU_CYCLE_1)
	s_and_not1_b32 vcc_lo, exec_lo, s27
	s_cbranch_vccnz .LBB86_405
; %bb.404:
	s_wait_loadcnt 0x0
	global_load_u16 v2, v[4:5], off
.LBB86_405:
	s_mov_b32 s27, 0
.LBB86_406:
	s_delay_alu instid0(SALU_CYCLE_1)
	s_and_not1_b32 vcc_lo, exec_lo, s27
	s_cbranch_vccnz .LBB86_412
; %bb.407:
	global_load_u8 v1, v[4:5], off
	s_mov_b32 s36, 0
	s_mov_b32 s27, exec_lo
	s_wait_loadcnt 0x0
	v_cmpx_lt_i16_e32 0x7f, v1
	s_xor_b32 s27, exec_lo, s27
	s_cbranch_execz .LBB86_424
; %bb.408:
	v_cmp_ne_u16_e32 vcc_lo, 0x80, v1
	s_and_b32 s36, vcc_lo, exec_lo
	s_and_not1_saveexec_b32 s27, s27
	s_cbranch_execnz .LBB86_425
.LBB86_409:
	s_or_b32 exec_lo, exec_lo, s27
	v_mov_b32_e32 v2, 0
	s_and_saveexec_b32 s27, s36
	s_cbranch_execz .LBB86_411
.LBB86_410:
	v_and_b32_e32 v2, 0xffff, v1
	s_delay_alu instid0(VALU_DEP_1) | instskip(SKIP_1) | instid1(VALU_DEP_2)
	v_dual_lshlrev_b32 v1, 24, v1 :: v_dual_bitop2_b32 v3, 7, v2 bitop3:0x40
	v_bfe_u32 v10, v2, 3, 4
	v_and_b32_e32 v1, 0x80000000, v1
	s_delay_alu instid0(VALU_DEP_3) | instskip(NEXT) | instid1(VALU_DEP_3)
	v_clz_i32_u32_e32 v6, v3
	v_cmp_eq_u32_e32 vcc_lo, 0, v10
	s_delay_alu instid0(VALU_DEP_2) | instskip(NEXT) | instid1(VALU_DEP_1)
	v_min_u32_e32 v6, 32, v6
	v_subrev_nc_u32_e32 v9, 28, v6
	v_sub_nc_u32_e32 v6, 29, v6
	s_delay_alu instid0(VALU_DEP_2) | instskip(NEXT) | instid1(VALU_DEP_2)
	v_lshlrev_b32_e32 v2, v9, v2
	v_cndmask_b32_e32 v6, v10, v6, vcc_lo
	s_delay_alu instid0(VALU_DEP_2) | instskip(NEXT) | instid1(VALU_DEP_1)
	v_and_b32_e32 v2, 7, v2
	v_cndmask_b32_e32 v2, v3, v2, vcc_lo
	s_delay_alu instid0(VALU_DEP_3) | instskip(NEXT) | instid1(VALU_DEP_2)
	v_lshl_add_u32 v3, v6, 23, 0x3b800000
	v_lshlrev_b32_e32 v2, 20, v2
	s_delay_alu instid0(VALU_DEP_1) | instskip(NEXT) | instid1(VALU_DEP_1)
	v_or3_b32 v1, v1, v3, v2
	v_cvt_i32_f32_e32 v2, v1
.LBB86_411:
	s_or_b32 exec_lo, exec_lo, s27
.LBB86_412:
	s_mov_b32 s27, -1
.LBB86_413:
	s_mov_b32 s36, 0
.LBB86_414:
	s_delay_alu instid0(SALU_CYCLE_1)
	s_and_b32 vcc_lo, exec_lo, s36
	s_cbranch_vccz .LBB86_447
; %bb.415:
	s_cmp_gt_i32 s1, 22
	s_cbranch_scc0 .LBB86_423
; %bb.416:
	s_cmp_lt_i32 s1, 24
	s_cbranch_scc1 .LBB86_426
; %bb.417:
	s_cmp_gt_i32 s1, 24
	s_cbranch_scc0 .LBB86_427
; %bb.418:
	global_load_u8 v1, v[4:5], off
	s_mov_b32 s36, 0
	s_mov_b32 s27, exec_lo
	s_wait_loadcnt 0x0
	v_cmpx_lt_i16_e32 0x7f, v1
	s_xor_b32 s27, exec_lo, s27
	s_cbranch_execz .LBB86_439
; %bb.419:
	v_cmp_ne_u16_e32 vcc_lo, 0x80, v1
	s_and_b32 s36, vcc_lo, exec_lo
	s_and_not1_saveexec_b32 s27, s27
	s_cbranch_execnz .LBB86_440
.LBB86_420:
	s_or_b32 exec_lo, exec_lo, s27
	v_mov_b32_e32 v2, 0
	s_and_saveexec_b32 s27, s36
	s_cbranch_execz .LBB86_422
.LBB86_421:
	v_and_b32_e32 v2, 0xffff, v1
	s_delay_alu instid0(VALU_DEP_1) | instskip(SKIP_1) | instid1(VALU_DEP_2)
	v_dual_lshlrev_b32 v1, 24, v1 :: v_dual_bitop2_b32 v3, 3, v2 bitop3:0x40
	v_bfe_u32 v10, v2, 2, 5
	v_and_b32_e32 v1, 0x80000000, v1
	s_delay_alu instid0(VALU_DEP_3) | instskip(NEXT) | instid1(VALU_DEP_3)
	v_clz_i32_u32_e32 v6, v3
	v_cmp_eq_u32_e32 vcc_lo, 0, v10
	s_delay_alu instid0(VALU_DEP_2) | instskip(NEXT) | instid1(VALU_DEP_1)
	v_min_u32_e32 v6, 32, v6
	v_subrev_nc_u32_e32 v9, 29, v6
	v_sub_nc_u32_e32 v6, 30, v6
	s_delay_alu instid0(VALU_DEP_2) | instskip(NEXT) | instid1(VALU_DEP_2)
	v_lshlrev_b32_e32 v2, v9, v2
	v_cndmask_b32_e32 v6, v10, v6, vcc_lo
	s_delay_alu instid0(VALU_DEP_2) | instskip(NEXT) | instid1(VALU_DEP_1)
	v_and_b32_e32 v2, 3, v2
	v_cndmask_b32_e32 v2, v3, v2, vcc_lo
	s_delay_alu instid0(VALU_DEP_3) | instskip(NEXT) | instid1(VALU_DEP_2)
	v_lshl_add_u32 v3, v6, 23, 0x37800000
	v_lshlrev_b32_e32 v2, 21, v2
	s_delay_alu instid0(VALU_DEP_1) | instskip(NEXT) | instid1(VALU_DEP_1)
	v_or3_b32 v1, v1, v3, v2
	v_cvt_i32_f32_e32 v2, v1
.LBB86_422:
	s_or_b32 exec_lo, exec_lo, s27
	s_mov_b32 s27, 0
	s_branch .LBB86_428
.LBB86_423:
	s_mov_b32 s36, -1
                                        ; implicit-def: $vgpr2
	s_branch .LBB86_434
.LBB86_424:
	s_and_not1_saveexec_b32 s27, s27
	s_cbranch_execz .LBB86_409
.LBB86_425:
	v_cmp_ne_u16_e32 vcc_lo, 0, v1
	s_and_not1_b32 s36, s36, exec_lo
	s_and_b32 s37, vcc_lo, exec_lo
	s_delay_alu instid0(SALU_CYCLE_1)
	s_or_b32 s36, s36, s37
	s_or_b32 exec_lo, exec_lo, s27
	v_mov_b32_e32 v2, 0
	s_and_saveexec_b32 s27, s36
	s_cbranch_execnz .LBB86_410
	s_branch .LBB86_411
.LBB86_426:
	s_mov_b32 s27, -1
                                        ; implicit-def: $vgpr2
	s_branch .LBB86_431
.LBB86_427:
	s_mov_b32 s27, -1
                                        ; implicit-def: $vgpr2
.LBB86_428:
	s_delay_alu instid0(SALU_CYCLE_1)
	s_and_b32 vcc_lo, exec_lo, s27
	s_cbranch_vccz .LBB86_430
; %bb.429:
	global_load_u8 v1, v[4:5], off
	s_wait_loadcnt 0x0
	v_lshlrev_b32_e32 v1, 24, v1
	s_delay_alu instid0(VALU_DEP_1) | instskip(NEXT) | instid1(VALU_DEP_1)
	v_and_b32_e32 v2, 0x7f000000, v1
	v_clz_i32_u32_e32 v3, v2
	v_cmp_ne_u32_e32 vcc_lo, 0, v2
	v_add_nc_u32_e32 v9, 0x1000000, v2
	s_delay_alu instid0(VALU_DEP_3) | instskip(NEXT) | instid1(VALU_DEP_1)
	v_min_u32_e32 v3, 32, v3
	v_sub_nc_u32_e64 v3, v3, 4 clamp
	s_delay_alu instid0(VALU_DEP_1) | instskip(NEXT) | instid1(VALU_DEP_1)
	v_dual_lshlrev_b32 v6, v3, v2 :: v_dual_lshlrev_b32 v3, 23, v3
	v_lshrrev_b32_e32 v6, 4, v6
	s_delay_alu instid0(VALU_DEP_1) | instskip(NEXT) | instid1(VALU_DEP_1)
	v_dual_sub_nc_u32 v3, v6, v3 :: v_dual_ashrrev_i32 v6, 8, v9
	v_add_nc_u32_e32 v3, 0x3c000000, v3
	s_delay_alu instid0(VALU_DEP_1) | instskip(NEXT) | instid1(VALU_DEP_1)
	v_and_or_b32 v3, 0x7f800000, v6, v3
	v_cndmask_b32_e32 v2, 0, v3, vcc_lo
	s_delay_alu instid0(VALU_DEP_1) | instskip(NEXT) | instid1(VALU_DEP_1)
	v_and_or_b32 v1, 0x80000000, v1, v2
	v_cvt_i32_f32_e32 v2, v1
.LBB86_430:
	s_mov_b32 s27, 0
.LBB86_431:
	s_delay_alu instid0(SALU_CYCLE_1)
	s_and_not1_b32 vcc_lo, exec_lo, s27
	s_cbranch_vccnz .LBB86_433
; %bb.432:
	global_load_u8 v1, v[4:5], off
	s_wait_loadcnt 0x0
	v_lshlrev_b32_e32 v2, 25, v1
	v_lshlrev_b16 v1, 8, v1
	s_delay_alu instid0(VALU_DEP_1) | instskip(SKIP_1) | instid1(VALU_DEP_2)
	v_and_or_b32 v6, 0x7f00, v1, 0.5
	v_bfe_i32 v1, v1, 0, 16
	v_add_f32_e32 v6, -0.5, v6
	v_lshrrev_b32_e32 v3, 4, v2
	v_cmp_gt_u32_e32 vcc_lo, 0x8000000, v2
	s_delay_alu instid0(VALU_DEP_2) | instskip(NEXT) | instid1(VALU_DEP_1)
	v_or_b32_e32 v3, 0x70000000, v3
	v_mul_f32_e32 v3, 0x7800000, v3
	s_delay_alu instid0(VALU_DEP_1) | instskip(NEXT) | instid1(VALU_DEP_1)
	v_cndmask_b32_e32 v2, v3, v6, vcc_lo
	v_and_or_b32 v1, 0x80000000, v1, v2
	s_delay_alu instid0(VALU_DEP_1)
	v_cvt_i32_f32_e32 v2, v1
.LBB86_433:
	s_mov_b32 s36, 0
	s_mov_b32 s27, -1
.LBB86_434:
	s_and_not1_b32 vcc_lo, exec_lo, s36
	s_cbranch_vccnz .LBB86_447
; %bb.435:
	s_cmp_gt_i32 s1, 14
	s_cbranch_scc0 .LBB86_438
; %bb.436:
	s_cmp_eq_u32 s1, 15
	s_cbranch_scc0 .LBB86_441
; %bb.437:
	global_load_u16 v1, v[4:5], off
	s_mov_b32 s27, -1
	s_mov_b32 s62, 0
	s_wait_loadcnt 0x0
	v_lshlrev_b32_e32 v1, 16, v1
	s_delay_alu instid0(VALU_DEP_1)
	v_cvt_i32_f32_e32 v2, v1
	s_branch .LBB86_442
.LBB86_438:
	s_mov_b32 s36, -1
                                        ; implicit-def: $vgpr2
	s_branch .LBB86_443
.LBB86_439:
	s_and_not1_saveexec_b32 s27, s27
	s_cbranch_execz .LBB86_420
.LBB86_440:
	v_cmp_ne_u16_e32 vcc_lo, 0, v1
	s_and_not1_b32 s36, s36, exec_lo
	s_and_b32 s37, vcc_lo, exec_lo
	s_delay_alu instid0(SALU_CYCLE_1)
	s_or_b32 s36, s36, s37
	s_or_b32 exec_lo, exec_lo, s27
	v_mov_b32_e32 v2, 0
	s_and_saveexec_b32 s27, s36
	s_cbranch_execnz .LBB86_421
	s_branch .LBB86_422
.LBB86_441:
	s_mov_b32 s62, -1
                                        ; implicit-def: $vgpr2
.LBB86_442:
	s_mov_b32 s36, 0
.LBB86_443:
	s_delay_alu instid0(SALU_CYCLE_1)
	s_and_b32 vcc_lo, exec_lo, s36
	s_cbranch_vccz .LBB86_447
; %bb.444:
	s_cmp_eq_u32 s1, 11
	s_cbranch_scc0 .LBB86_446
; %bb.445:
	global_load_u8 v1, v[4:5], off
	s_mov_b32 s62, 0
	s_mov_b32 s27, -1
	s_wait_loadcnt 0x0
	v_cmp_ne_u16_e32 vcc_lo, 0, v1
	v_cndmask_b32_e64 v2, 0, 1, vcc_lo
	s_branch .LBB86_447
.LBB86_446:
	s_mov_b32 s62, -1
                                        ; implicit-def: $vgpr2
.LBB86_447:
	s_mov_b32 s1, 0
.LBB86_448:
	s_delay_alu instid0(SALU_CYCLE_1)
	s_and_b32 vcc_lo, exec_lo, s1
	s_cbranch_vccz .LBB86_497
; %bb.449:
	s_and_b32 s0, 0xffff, s0
	s_delay_alu instid0(SALU_CYCLE_1)
	s_cmp_lt_i32 s0, 5
	s_cbranch_scc1 .LBB86_454
; %bb.450:
	s_cmp_lt_i32 s0, 8
	s_cbranch_scc1 .LBB86_455
; %bb.451:
	;; [unrolled: 3-line block ×3, first 2 shown]
	s_cmp_gt_i32 s0, 9
	s_cbranch_scc0 .LBB86_457
; %bb.453:
	s_wait_loadcnt 0x0
	global_load_b64 v[2:3], v[4:5], off
	s_mov_b32 s1, 0
	s_wait_loadcnt 0x0
	v_cvt_i32_f64_e32 v2, v[2:3]
	s_branch .LBB86_458
.LBB86_454:
	s_mov_b32 s1, -1
                                        ; implicit-def: $vgpr2
	s_branch .LBB86_476
.LBB86_455:
	s_mov_b32 s1, -1
                                        ; implicit-def: $vgpr2
	s_branch .LBB86_464
.LBB86_456:
	s_mov_b32 s1, -1
                                        ; implicit-def: $vgpr2
	s_branch .LBB86_461
.LBB86_457:
	s_mov_b32 s1, -1
                                        ; implicit-def: $vgpr2
.LBB86_458:
	s_delay_alu instid0(SALU_CYCLE_1)
	s_and_not1_b32 vcc_lo, exec_lo, s1
	s_cbranch_vccnz .LBB86_460
; %bb.459:
	global_load_b32 v1, v[4:5], off
	s_wait_loadcnt 0x0
	v_cvt_i32_f32_e32 v2, v1
.LBB86_460:
	s_mov_b32 s1, 0
.LBB86_461:
	s_delay_alu instid0(SALU_CYCLE_1)
	s_and_not1_b32 vcc_lo, exec_lo, s1
	s_cbranch_vccnz .LBB86_463
; %bb.462:
	global_load_b32 v1, v[4:5], off
	s_wait_loadcnt 0x0
	v_cvt_f32_f16_e32 v1, v1
	s_delay_alu instid0(VALU_DEP_1)
	v_cvt_i32_f32_e32 v2, v1
.LBB86_463:
	s_mov_b32 s1, 0
.LBB86_464:
	s_delay_alu instid0(SALU_CYCLE_1)
	s_and_not1_b32 vcc_lo, exec_lo, s1
	s_cbranch_vccnz .LBB86_475
; %bb.465:
	s_cmp_lt_i32 s0, 6
	s_cbranch_scc1 .LBB86_468
; %bb.466:
	s_cmp_gt_i32 s0, 6
	s_cbranch_scc0 .LBB86_469
; %bb.467:
	s_wait_loadcnt 0x0
	global_load_b64 v[2:3], v[4:5], off
	s_mov_b32 s1, 0
	s_wait_loadcnt 0x0
	v_cvt_i32_f64_e32 v2, v[2:3]
	s_branch .LBB86_470
.LBB86_468:
	s_mov_b32 s1, -1
                                        ; implicit-def: $vgpr2
	s_branch .LBB86_473
.LBB86_469:
	s_mov_b32 s1, -1
                                        ; implicit-def: $vgpr2
.LBB86_470:
	s_delay_alu instid0(SALU_CYCLE_1)
	s_and_not1_b32 vcc_lo, exec_lo, s1
	s_cbranch_vccnz .LBB86_472
; %bb.471:
	global_load_b32 v1, v[4:5], off
	s_wait_loadcnt 0x0
	v_cvt_i32_f32_e32 v2, v1
.LBB86_472:
	s_mov_b32 s1, 0
.LBB86_473:
	s_delay_alu instid0(SALU_CYCLE_1)
	s_and_not1_b32 vcc_lo, exec_lo, s1
	s_cbranch_vccnz .LBB86_475
; %bb.474:
	global_load_u16 v1, v[4:5], off
	s_wait_loadcnt 0x0
	v_cvt_f32_f16_e32 v1, v1
	s_delay_alu instid0(VALU_DEP_1)
	v_cvt_i32_f32_e32 v2, v1
.LBB86_475:
	s_mov_b32 s1, 0
.LBB86_476:
	s_delay_alu instid0(SALU_CYCLE_1)
	s_and_not1_b32 vcc_lo, exec_lo, s1
	s_cbranch_vccnz .LBB86_496
; %bb.477:
	s_cmp_lt_i32 s0, 2
	s_cbranch_scc1 .LBB86_481
; %bb.478:
	s_cmp_lt_i32 s0, 3
	s_cbranch_scc1 .LBB86_482
; %bb.479:
	s_cmp_gt_i32 s0, 3
	s_cbranch_scc0 .LBB86_483
; %bb.480:
	s_wait_loadcnt 0x0
	global_load_b32 v2, v[4:5], off
	s_mov_b32 s1, 0
	s_branch .LBB86_484
.LBB86_481:
	s_mov_b32 s1, -1
                                        ; implicit-def: $vgpr2
	s_branch .LBB86_490
.LBB86_482:
	s_mov_b32 s1, -1
                                        ; implicit-def: $vgpr2
	s_branch .LBB86_487
.LBB86_483:
	s_mov_b32 s1, -1
                                        ; implicit-def: $vgpr2
.LBB86_484:
	s_delay_alu instid0(SALU_CYCLE_1)
	s_and_not1_b32 vcc_lo, exec_lo, s1
	s_cbranch_vccnz .LBB86_486
; %bb.485:
	s_wait_loadcnt 0x0
	global_load_b32 v2, v[4:5], off
.LBB86_486:
	s_mov_b32 s1, 0
.LBB86_487:
	s_delay_alu instid0(SALU_CYCLE_1)
	s_and_not1_b32 vcc_lo, exec_lo, s1
	s_cbranch_vccnz .LBB86_489
; %bb.488:
	s_wait_loadcnt 0x0
	global_load_i16 v2, v[4:5], off
.LBB86_489:
	s_mov_b32 s1, 0
.LBB86_490:
	s_delay_alu instid0(SALU_CYCLE_1)
	s_and_not1_b32 vcc_lo, exec_lo, s1
	s_cbranch_vccnz .LBB86_496
; %bb.491:
	s_cmp_gt_i32 s0, 0
	s_mov_b32 s0, 0
	s_cbranch_scc0 .LBB86_493
; %bb.492:
	s_wait_loadcnt 0x0
	global_load_i8 v2, v[4:5], off
	s_branch .LBB86_494
.LBB86_493:
	s_mov_b32 s0, -1
                                        ; implicit-def: $vgpr2
.LBB86_494:
	s_delay_alu instid0(SALU_CYCLE_1)
	s_and_not1_b32 vcc_lo, exec_lo, s0
	s_cbranch_vccnz .LBB86_496
; %bb.495:
	s_wait_loadcnt 0x0
	global_load_u8 v2, v[4:5], off
.LBB86_496:
	s_mov_b32 s27, -1
.LBB86_497:
	s_delay_alu instid0(SALU_CYCLE_1)
	s_and_not1_b32 vcc_lo, exec_lo, s27
	s_cbranch_vccnz .LBB86_628
; %bb.498:
	s_wait_xcnt 0x0
	v_mul_lo_u32 v4, s28, v22
	s_and_b32 s0, s52, 0xff
	s_delay_alu instid0(SALU_CYCLE_1) | instskip(NEXT) | instid1(VALU_DEP_1)
	s_cmp_lt_i32 s0, 11
	v_ashrrev_i32_e32 v5, 31, v4
	s_delay_alu instid0(VALU_DEP_1)
	v_add_nc_u64_e32 v[4:5], s[30:31], v[4:5]
	s_cbranch_scc1 .LBB86_505
; %bb.499:
	s_and_b32 s1, 0xffff, s0
	s_delay_alu instid0(SALU_CYCLE_1)
	s_cmp_gt_i32 s1, 25
	s_cbranch_scc0 .LBB86_506
; %bb.500:
	s_cmp_gt_i32 s1, 28
	s_cbranch_scc0 .LBB86_507
; %bb.501:
	;; [unrolled: 3-line block ×4, first 2 shown]
	s_cmp_eq_u32 s1, 46
	s_mov_b32 s36, 0
	s_cbranch_scc0 .LBB86_510
; %bb.504:
	global_load_b32 v1, v[4:5], off
	s_mov_b32 s27, -1
	s_wait_loadcnt 0x0
	v_lshlrev_b32_e32 v1, 16, v1
	s_delay_alu instid0(VALU_DEP_1)
	v_cvt_i32_f32_e32 v6, v1
	s_branch .LBB86_512
.LBB86_505:
	s_mov_b32 s1, -1
	s_mov_b32 s27, 0
                                        ; implicit-def: $vgpr6
	s_branch .LBB86_573
.LBB86_506:
	s_mov_b32 s36, -1
	s_mov_b32 s27, 0
                                        ; implicit-def: $vgpr6
	s_branch .LBB86_539
.LBB86_507:
	s_mov_b32 s36, -1
	s_mov_b32 s27, 0
                                        ; implicit-def: $vgpr6
	s_branch .LBB86_522
.LBB86_508:
	s_mov_b32 s36, -1
	s_mov_b32 s27, 0
                                        ; implicit-def: $vgpr6
	s_branch .LBB86_517
.LBB86_509:
	s_mov_b32 s36, -1
	s_branch .LBB86_511
.LBB86_510:
	s_mov_b32 s61, -1
.LBB86_511:
	s_mov_b32 s27, 0
                                        ; implicit-def: $vgpr6
.LBB86_512:
	s_and_b32 vcc_lo, exec_lo, s36
	s_cbranch_vccz .LBB86_516
; %bb.513:
	s_cmp_eq_u32 s1, 44
	s_cbranch_scc0 .LBB86_515
; %bb.514:
	global_load_u8 v1, v[4:5], off
	s_mov_b32 s61, 0
	s_mov_b32 s27, -1
	s_wait_loadcnt 0x0
	v_lshlrev_b32_e32 v3, 23, v1
	v_cmp_ne_u32_e32 vcc_lo, 0, v1
	s_delay_alu instid0(VALU_DEP_2) | instskip(NEXT) | instid1(VALU_DEP_1)
	v_cvt_i32_f32_e32 v3, v3
	v_cndmask_b32_e32 v6, 0, v3, vcc_lo
	s_branch .LBB86_516
.LBB86_515:
	s_mov_b32 s61, -1
                                        ; implicit-def: $vgpr6
.LBB86_516:
	s_mov_b32 s36, 0
.LBB86_517:
	s_delay_alu instid0(SALU_CYCLE_1)
	s_and_b32 vcc_lo, exec_lo, s36
	s_cbranch_vccz .LBB86_521
; %bb.518:
	s_cmp_eq_u32 s1, 29
	s_cbranch_scc0 .LBB86_520
; %bb.519:
	global_load_b32 v6, v[4:5], off
	s_mov_b32 s27, -1
	s_mov_b32 s61, 0
	s_branch .LBB86_521
.LBB86_520:
	s_mov_b32 s61, -1
                                        ; implicit-def: $vgpr6
.LBB86_521:
	s_mov_b32 s36, 0
.LBB86_522:
	s_delay_alu instid0(SALU_CYCLE_1)
	s_and_b32 vcc_lo, exec_lo, s36
	s_cbranch_vccz .LBB86_538
; %bb.523:
	s_cmp_lt_i32 s1, 27
	s_cbranch_scc1 .LBB86_526
; %bb.524:
	s_cmp_gt_i32 s1, 27
	s_cbranch_scc0 .LBB86_527
; %bb.525:
	s_wait_loadcnt 0x0
	global_load_b32 v6, v[4:5], off
	s_mov_b32 s27, 0
	s_branch .LBB86_528
.LBB86_526:
	s_mov_b32 s27, -1
                                        ; implicit-def: $vgpr6
	s_branch .LBB86_531
.LBB86_527:
	s_mov_b32 s27, -1
                                        ; implicit-def: $vgpr6
.LBB86_528:
	s_delay_alu instid0(SALU_CYCLE_1)
	s_and_not1_b32 vcc_lo, exec_lo, s27
	s_cbranch_vccnz .LBB86_530
; %bb.529:
	s_wait_loadcnt 0x0
	global_load_u16 v6, v[4:5], off
.LBB86_530:
	s_mov_b32 s27, 0
.LBB86_531:
	s_delay_alu instid0(SALU_CYCLE_1)
	s_and_not1_b32 vcc_lo, exec_lo, s27
	s_cbranch_vccnz .LBB86_537
; %bb.532:
	global_load_u8 v1, v[4:5], off
	s_mov_b32 s36, 0
	s_mov_b32 s27, exec_lo
	s_wait_loadcnt 0x0
	v_cmpx_lt_i16_e32 0x7f, v1
	s_xor_b32 s27, exec_lo, s27
	s_cbranch_execz .LBB86_549
; %bb.533:
	v_cmp_ne_u16_e32 vcc_lo, 0x80, v1
	s_and_b32 s36, vcc_lo, exec_lo
	s_and_not1_saveexec_b32 s27, s27
	s_cbranch_execnz .LBB86_550
.LBB86_534:
	s_or_b32 exec_lo, exec_lo, s27
	v_mov_b32_e32 v6, 0
	s_and_saveexec_b32 s27, s36
	s_cbranch_execz .LBB86_536
.LBB86_535:
	v_and_b32_e32 v3, 0xffff, v1
	s_delay_alu instid0(VALU_DEP_1) | instskip(SKIP_1) | instid1(VALU_DEP_2)
	v_and_b32_e32 v6, 7, v3
	v_bfe_u32 v11, v3, 3, 4
	v_clz_i32_u32_e32 v9, v6
	s_delay_alu instid0(VALU_DEP_2) | instskip(NEXT) | instid1(VALU_DEP_2)
	v_cmp_eq_u32_e32 vcc_lo, 0, v11
	v_min_u32_e32 v9, 32, v9
	s_delay_alu instid0(VALU_DEP_1) | instskip(NEXT) | instid1(VALU_DEP_1)
	v_subrev_nc_u32_e32 v10, 28, v9
	v_dual_lshlrev_b32 v3, v10, v3 :: v_dual_sub_nc_u32 v9, 29, v9
	s_delay_alu instid0(VALU_DEP_1) | instskip(NEXT) | instid1(VALU_DEP_1)
	v_dual_lshlrev_b32 v1, 24, v1 :: v_dual_bitop2_b32 v3, 7, v3 bitop3:0x40
	v_dual_cndmask_b32 v3, v6, v3, vcc_lo :: v_dual_cndmask_b32 v9, v11, v9, vcc_lo
	s_delay_alu instid0(VALU_DEP_2) | instskip(NEXT) | instid1(VALU_DEP_2)
	v_and_b32_e32 v1, 0x80000000, v1
	v_lshlrev_b32_e32 v3, 20, v3
	s_delay_alu instid0(VALU_DEP_3) | instskip(NEXT) | instid1(VALU_DEP_1)
	v_lshl_add_u32 v6, v9, 23, 0x3b800000
	v_or3_b32 v1, v1, v6, v3
	s_delay_alu instid0(VALU_DEP_1)
	v_cvt_i32_f32_e32 v6, v1
.LBB86_536:
	s_or_b32 exec_lo, exec_lo, s27
.LBB86_537:
	s_mov_b32 s27, -1
.LBB86_538:
	s_mov_b32 s36, 0
.LBB86_539:
	s_delay_alu instid0(SALU_CYCLE_1)
	s_and_b32 vcc_lo, exec_lo, s36
	s_cbranch_vccz .LBB86_572
; %bb.540:
	s_cmp_gt_i32 s1, 22
	s_cbranch_scc0 .LBB86_548
; %bb.541:
	s_cmp_lt_i32 s1, 24
	s_cbranch_scc1 .LBB86_551
; %bb.542:
	s_cmp_gt_i32 s1, 24
	s_cbranch_scc0 .LBB86_552
; %bb.543:
	global_load_u8 v1, v[4:5], off
	s_mov_b32 s36, 0
	s_mov_b32 s27, exec_lo
	s_wait_loadcnt 0x0
	v_cmpx_lt_i16_e32 0x7f, v1
	s_xor_b32 s27, exec_lo, s27
	s_cbranch_execz .LBB86_564
; %bb.544:
	v_cmp_ne_u16_e32 vcc_lo, 0x80, v1
	s_and_b32 s36, vcc_lo, exec_lo
	s_and_not1_saveexec_b32 s27, s27
	s_cbranch_execnz .LBB86_565
.LBB86_545:
	s_or_b32 exec_lo, exec_lo, s27
	v_mov_b32_e32 v6, 0
	s_and_saveexec_b32 s27, s36
	s_cbranch_execz .LBB86_547
.LBB86_546:
	v_and_b32_e32 v3, 0xffff, v1
	s_delay_alu instid0(VALU_DEP_1) | instskip(SKIP_1) | instid1(VALU_DEP_2)
	v_and_b32_e32 v6, 3, v3
	v_bfe_u32 v11, v3, 2, 5
	v_clz_i32_u32_e32 v9, v6
	s_delay_alu instid0(VALU_DEP_2) | instskip(NEXT) | instid1(VALU_DEP_2)
	v_cmp_eq_u32_e32 vcc_lo, 0, v11
	v_min_u32_e32 v9, 32, v9
	s_delay_alu instid0(VALU_DEP_1) | instskip(NEXT) | instid1(VALU_DEP_1)
	v_subrev_nc_u32_e32 v10, 29, v9
	v_dual_lshlrev_b32 v3, v10, v3 :: v_dual_sub_nc_u32 v9, 30, v9
	s_delay_alu instid0(VALU_DEP_1) | instskip(NEXT) | instid1(VALU_DEP_1)
	v_dual_lshlrev_b32 v1, 24, v1 :: v_dual_bitop2_b32 v3, 3, v3 bitop3:0x40
	v_dual_cndmask_b32 v3, v6, v3, vcc_lo :: v_dual_cndmask_b32 v9, v11, v9, vcc_lo
	s_delay_alu instid0(VALU_DEP_2) | instskip(NEXT) | instid1(VALU_DEP_2)
	v_and_b32_e32 v1, 0x80000000, v1
	v_lshlrev_b32_e32 v3, 21, v3
	s_delay_alu instid0(VALU_DEP_3) | instskip(NEXT) | instid1(VALU_DEP_1)
	v_lshl_add_u32 v6, v9, 23, 0x37800000
	v_or3_b32 v1, v1, v6, v3
	s_delay_alu instid0(VALU_DEP_1)
	v_cvt_i32_f32_e32 v6, v1
.LBB86_547:
	s_or_b32 exec_lo, exec_lo, s27
	s_mov_b32 s27, 0
	s_branch .LBB86_553
.LBB86_548:
	s_mov_b32 s36, -1
                                        ; implicit-def: $vgpr6
	s_branch .LBB86_559
.LBB86_549:
	s_and_not1_saveexec_b32 s27, s27
	s_cbranch_execz .LBB86_534
.LBB86_550:
	v_cmp_ne_u16_e32 vcc_lo, 0, v1
	s_and_not1_b32 s36, s36, exec_lo
	s_and_b32 s37, vcc_lo, exec_lo
	s_delay_alu instid0(SALU_CYCLE_1)
	s_or_b32 s36, s36, s37
	s_or_b32 exec_lo, exec_lo, s27
	v_mov_b32_e32 v6, 0
	s_and_saveexec_b32 s27, s36
	s_cbranch_execnz .LBB86_535
	s_branch .LBB86_536
.LBB86_551:
	s_mov_b32 s27, -1
                                        ; implicit-def: $vgpr6
	s_branch .LBB86_556
.LBB86_552:
	s_mov_b32 s27, -1
                                        ; implicit-def: $vgpr6
.LBB86_553:
	s_delay_alu instid0(SALU_CYCLE_1)
	s_and_b32 vcc_lo, exec_lo, s27
	s_cbranch_vccz .LBB86_555
; %bb.554:
	global_load_u8 v1, v[4:5], off
	s_wait_loadcnt 0x0
	v_lshlrev_b32_e32 v1, 24, v1
	s_delay_alu instid0(VALU_DEP_1) | instskip(NEXT) | instid1(VALU_DEP_1)
	v_and_b32_e32 v3, 0x7f000000, v1
	v_clz_i32_u32_e32 v6, v3
	v_cmp_ne_u32_e32 vcc_lo, 0, v3
	v_add_nc_u32_e32 v10, 0x1000000, v3
	s_delay_alu instid0(VALU_DEP_3) | instskip(NEXT) | instid1(VALU_DEP_1)
	v_min_u32_e32 v6, 32, v6
	v_sub_nc_u32_e64 v6, v6, 4 clamp
	s_delay_alu instid0(VALU_DEP_1) | instskip(NEXT) | instid1(VALU_DEP_1)
	v_dual_lshlrev_b32 v9, v6, v3 :: v_dual_lshlrev_b32 v6, 23, v6
	v_lshrrev_b32_e32 v9, 4, v9
	s_delay_alu instid0(VALU_DEP_1) | instskip(SKIP_1) | instid1(VALU_DEP_2)
	v_sub_nc_u32_e32 v6, v9, v6
	v_ashrrev_i32_e32 v9, 8, v10
	v_add_nc_u32_e32 v6, 0x3c000000, v6
	s_delay_alu instid0(VALU_DEP_1) | instskip(NEXT) | instid1(VALU_DEP_1)
	v_and_or_b32 v6, 0x7f800000, v9, v6
	v_cndmask_b32_e32 v3, 0, v6, vcc_lo
	s_delay_alu instid0(VALU_DEP_1) | instskip(NEXT) | instid1(VALU_DEP_1)
	v_and_or_b32 v1, 0x80000000, v1, v3
	v_cvt_i32_f32_e32 v6, v1
.LBB86_555:
	s_mov_b32 s27, 0
.LBB86_556:
	s_delay_alu instid0(SALU_CYCLE_1)
	s_and_not1_b32 vcc_lo, exec_lo, s27
	s_cbranch_vccnz .LBB86_558
; %bb.557:
	global_load_u8 v1, v[4:5], off
	s_wait_loadcnt 0x0
	v_lshlrev_b32_e32 v3, 25, v1
	v_lshlrev_b16 v1, 8, v1
	s_delay_alu instid0(VALU_DEP_1) | instskip(NEXT) | instid1(VALU_DEP_3)
	v_and_or_b32 v9, 0x7f00, v1, 0.5
	v_lshrrev_b32_e32 v6, 4, v3
	v_bfe_i32 v1, v1, 0, 16
	s_delay_alu instid0(VALU_DEP_3) | instskip(NEXT) | instid1(VALU_DEP_3)
	v_add_f32_e32 v9, -0.5, v9
	v_or_b32_e32 v6, 0x70000000, v6
	s_delay_alu instid0(VALU_DEP_1) | instskip(SKIP_1) | instid1(VALU_DEP_2)
	v_mul_f32_e32 v6, 0x7800000, v6
	v_cmp_gt_u32_e32 vcc_lo, 0x8000000, v3
	v_cndmask_b32_e32 v3, v6, v9, vcc_lo
	s_delay_alu instid0(VALU_DEP_1) | instskip(NEXT) | instid1(VALU_DEP_1)
	v_and_or_b32 v1, 0x80000000, v1, v3
	v_cvt_i32_f32_e32 v6, v1
.LBB86_558:
	s_mov_b32 s36, 0
	s_mov_b32 s27, -1
.LBB86_559:
	s_and_not1_b32 vcc_lo, exec_lo, s36
	s_cbranch_vccnz .LBB86_572
; %bb.560:
	s_cmp_gt_i32 s1, 14
	s_cbranch_scc0 .LBB86_563
; %bb.561:
	s_cmp_eq_u32 s1, 15
	s_cbranch_scc0 .LBB86_566
; %bb.562:
	global_load_u16 v1, v[4:5], off
	s_mov_b32 s27, -1
	s_mov_b32 s61, 0
	s_wait_loadcnt 0x0
	v_lshlrev_b32_e32 v1, 16, v1
	s_delay_alu instid0(VALU_DEP_1)
	v_cvt_i32_f32_e32 v6, v1
	s_branch .LBB86_567
.LBB86_563:
	s_mov_b32 s36, -1
                                        ; implicit-def: $vgpr6
	s_branch .LBB86_568
.LBB86_564:
	s_and_not1_saveexec_b32 s27, s27
	s_cbranch_execz .LBB86_545
.LBB86_565:
	v_cmp_ne_u16_e32 vcc_lo, 0, v1
	s_and_not1_b32 s36, s36, exec_lo
	s_and_b32 s37, vcc_lo, exec_lo
	s_delay_alu instid0(SALU_CYCLE_1)
	s_or_b32 s36, s36, s37
	s_or_b32 exec_lo, exec_lo, s27
	v_mov_b32_e32 v6, 0
	s_and_saveexec_b32 s27, s36
	s_cbranch_execnz .LBB86_546
	s_branch .LBB86_547
.LBB86_566:
	s_mov_b32 s61, -1
                                        ; implicit-def: $vgpr6
.LBB86_567:
	s_mov_b32 s36, 0
.LBB86_568:
	s_delay_alu instid0(SALU_CYCLE_1)
	s_and_b32 vcc_lo, exec_lo, s36
	s_cbranch_vccz .LBB86_572
; %bb.569:
	s_cmp_eq_u32 s1, 11
	s_cbranch_scc0 .LBB86_571
; %bb.570:
	global_load_u8 v1, v[4:5], off
	s_mov_b32 s61, 0
	s_mov_b32 s27, -1
	s_wait_loadcnt 0x0
	v_cmp_ne_u16_e32 vcc_lo, 0, v1
	v_cndmask_b32_e64 v6, 0, 1, vcc_lo
	s_branch .LBB86_572
.LBB86_571:
	s_mov_b32 s61, -1
                                        ; implicit-def: $vgpr6
.LBB86_572:
	s_mov_b32 s1, 0
.LBB86_573:
	s_delay_alu instid0(SALU_CYCLE_1)
	s_and_b32 vcc_lo, exec_lo, s1
	s_cbranch_vccz .LBB86_622
; %bb.574:
	s_and_b32 s0, 0xffff, s0
	s_delay_alu instid0(SALU_CYCLE_1)
	s_cmp_lt_i32 s0, 5
	s_cbranch_scc1 .LBB86_579
; %bb.575:
	s_cmp_lt_i32 s0, 8
	s_cbranch_scc1 .LBB86_580
; %bb.576:
	;; [unrolled: 3-line block ×3, first 2 shown]
	s_cmp_gt_i32 s0, 9
	s_cbranch_scc0 .LBB86_582
; %bb.578:
	global_load_b64 v[10:11], v[4:5], off
	s_mov_b32 s1, 0
	s_wait_loadcnt 0x0
	v_cvt_i32_f64_e32 v6, v[10:11]
	s_branch .LBB86_583
.LBB86_579:
	s_mov_b32 s1, -1
                                        ; implicit-def: $vgpr6
	s_branch .LBB86_601
.LBB86_580:
	s_mov_b32 s1, -1
                                        ; implicit-def: $vgpr6
	s_branch .LBB86_589
.LBB86_581:
	s_mov_b32 s1, -1
                                        ; implicit-def: $vgpr6
	s_branch .LBB86_586
.LBB86_582:
	s_mov_b32 s1, -1
                                        ; implicit-def: $vgpr6
.LBB86_583:
	s_delay_alu instid0(SALU_CYCLE_1)
	s_and_not1_b32 vcc_lo, exec_lo, s1
	s_cbranch_vccnz .LBB86_585
; %bb.584:
	global_load_b32 v1, v[4:5], off
	s_wait_loadcnt 0x0
	v_cvt_i32_f32_e32 v6, v1
.LBB86_585:
	s_mov_b32 s1, 0
.LBB86_586:
	s_delay_alu instid0(SALU_CYCLE_1)
	s_and_not1_b32 vcc_lo, exec_lo, s1
	s_cbranch_vccnz .LBB86_588
; %bb.587:
	global_load_b32 v1, v[4:5], off
	s_wait_loadcnt 0x0
	v_cvt_f32_f16_e32 v1, v1
	s_delay_alu instid0(VALU_DEP_1)
	v_cvt_i32_f32_e32 v6, v1
.LBB86_588:
	s_mov_b32 s1, 0
.LBB86_589:
	s_delay_alu instid0(SALU_CYCLE_1)
	s_and_not1_b32 vcc_lo, exec_lo, s1
	s_cbranch_vccnz .LBB86_600
; %bb.590:
	s_cmp_lt_i32 s0, 6
	s_cbranch_scc1 .LBB86_593
; %bb.591:
	s_cmp_gt_i32 s0, 6
	s_cbranch_scc0 .LBB86_594
; %bb.592:
	global_load_b64 v[10:11], v[4:5], off
	s_mov_b32 s1, 0
	s_wait_loadcnt 0x0
	v_cvt_i32_f64_e32 v6, v[10:11]
	s_branch .LBB86_595
.LBB86_593:
	s_mov_b32 s1, -1
                                        ; implicit-def: $vgpr6
	s_branch .LBB86_598
.LBB86_594:
	s_mov_b32 s1, -1
                                        ; implicit-def: $vgpr6
.LBB86_595:
	s_delay_alu instid0(SALU_CYCLE_1)
	s_and_not1_b32 vcc_lo, exec_lo, s1
	s_cbranch_vccnz .LBB86_597
; %bb.596:
	global_load_b32 v1, v[4:5], off
	s_wait_loadcnt 0x0
	v_cvt_i32_f32_e32 v6, v1
.LBB86_597:
	s_mov_b32 s1, 0
.LBB86_598:
	s_delay_alu instid0(SALU_CYCLE_1)
	s_and_not1_b32 vcc_lo, exec_lo, s1
	s_cbranch_vccnz .LBB86_600
; %bb.599:
	global_load_u16 v1, v[4:5], off
	s_wait_loadcnt 0x0
	v_cvt_f32_f16_e32 v1, v1
	s_delay_alu instid0(VALU_DEP_1)
	v_cvt_i32_f32_e32 v6, v1
.LBB86_600:
	s_mov_b32 s1, 0
.LBB86_601:
	s_delay_alu instid0(SALU_CYCLE_1)
	s_and_not1_b32 vcc_lo, exec_lo, s1
	s_cbranch_vccnz .LBB86_621
; %bb.602:
	s_cmp_lt_i32 s0, 2
	s_cbranch_scc1 .LBB86_606
; %bb.603:
	s_cmp_lt_i32 s0, 3
	s_cbranch_scc1 .LBB86_607
; %bb.604:
	s_cmp_gt_i32 s0, 3
	s_cbranch_scc0 .LBB86_608
; %bb.605:
	s_wait_loadcnt 0x0
	global_load_b32 v6, v[4:5], off
	s_mov_b32 s1, 0
	s_branch .LBB86_609
.LBB86_606:
	s_mov_b32 s1, -1
                                        ; implicit-def: $vgpr6
	s_branch .LBB86_615
.LBB86_607:
	s_mov_b32 s1, -1
                                        ; implicit-def: $vgpr6
	s_branch .LBB86_612
.LBB86_608:
	s_mov_b32 s1, -1
                                        ; implicit-def: $vgpr6
.LBB86_609:
	s_delay_alu instid0(SALU_CYCLE_1)
	s_and_not1_b32 vcc_lo, exec_lo, s1
	s_cbranch_vccnz .LBB86_611
; %bb.610:
	s_wait_loadcnt 0x0
	global_load_b32 v6, v[4:5], off
.LBB86_611:
	s_mov_b32 s1, 0
.LBB86_612:
	s_delay_alu instid0(SALU_CYCLE_1)
	s_and_not1_b32 vcc_lo, exec_lo, s1
	s_cbranch_vccnz .LBB86_614
; %bb.613:
	s_wait_loadcnt 0x0
	global_load_i16 v6, v[4:5], off
.LBB86_614:
	s_mov_b32 s1, 0
.LBB86_615:
	s_delay_alu instid0(SALU_CYCLE_1)
	s_and_not1_b32 vcc_lo, exec_lo, s1
	s_cbranch_vccnz .LBB86_621
; %bb.616:
	s_cmp_gt_i32 s0, 0
	s_mov_b32 s0, 0
	s_cbranch_scc0 .LBB86_618
; %bb.617:
	s_wait_loadcnt 0x0
	global_load_i8 v6, v[4:5], off
	s_branch .LBB86_619
.LBB86_618:
	s_mov_b32 s0, -1
                                        ; implicit-def: $vgpr6
.LBB86_619:
	s_delay_alu instid0(SALU_CYCLE_1)
	s_and_not1_b32 vcc_lo, exec_lo, s0
	s_cbranch_vccnz .LBB86_621
; %bb.620:
	s_wait_loadcnt 0x0
	global_load_u8 v6, v[4:5], off
.LBB86_621:
	s_mov_b32 s27, -1
.LBB86_622:
	s_delay_alu instid0(SALU_CYCLE_1)
	s_and_not1_b32 vcc_lo, exec_lo, s27
	s_cbranch_vccnz .LBB86_628
; %bb.623:
	s_wait_loadcnt 0x0
	v_cmp_eq_u32_e32 vcc_lo, s29, v7
	s_mov_b32 s1, -1
	s_mov_b32 s0, 0
	s_mov_b32 s27, 0
	;; [unrolled: 1-line block ×3, first 2 shown]
	s_and_b32 s39, s51, vcc_lo
	s_mov_b32 s37, 0
	s_mov_b32 s38, 0
	s_and_saveexec_b32 s54, s39
	s_cbranch_execz .LBB86_3937
; %bb.624:
	v_cmp_eq_u32_e32 vcc_lo, s18, v8
	s_and_b32 s27, s50, vcc_lo
	s_delay_alu instid0(SALU_CYCLE_1)
	s_and_saveexec_b32 s57, s27
	s_cbranch_execz .LBB86_1919
; %bb.625:
	v_sub_nc_u32_e32 v1, v2, v0
	s_mov_b32 s27, 0
	s_delay_alu instid0(VALU_DEP_1)
	v_cmp_le_i32_e32 vcc_lo, s29, v1
	v_cmp_ge_i32_e64 s0, s16, v1
	s_and_b32 s36, vcc_lo, s0
	s_mov_b32 s0, 0
	s_and_b32 s37, s49, s36
	s_mov_b32 s36, 0
	s_and_saveexec_b32 s58, s37
	s_cbranch_execz .LBB86_1918
; %bb.626:
	v_mov_b64_e32 v[4:5], 0
	s_and_not1_b32 vcc_lo, exec_lo, s17
	s_cbranch_vccnz .LBB86_662
; %bb.627:
	v_ashrrev_i32_e32 v7, 31, v6
	s_mov_b32 s1, 0
	v_mov_b64_e32 v[4:5], 0
	s_mov_b32 s27, s1
	s_mov_b64 s[36:37], 0xffffffff
	v_mul_u64_e32 v[8:9], s[18:19], v[6:7]
	s_lshl_b64 s[38:39], s[26:27], 3
	v_mov_b32_e32 v6, 0
	s_add_nc_u64 s[38:39], s[24:25], s[38:39]
	s_mov_b32 s27, s48
	s_add_nc_u64 s[38:39], s[38:39], 0x68
	s_branch .LBB86_643
.LBB86_628:
	s_mov_b32 s0, 0
	s_mov_b32 s1, 0
	;; [unrolled: 1-line block ×6, first 2 shown]
                                        ; implicit-def: $vgpr22
.LBB86_629:
	s_delay_alu instid0(SALU_CYCLE_1)
	s_and_b32 s54, s38, exec_lo
	s_and_b32 s57, s37, exec_lo
	;; [unrolled: 1-line block ×10, first 2 shown]
	s_or_not1_b32 s1, s0, exec_lo
.LBB86_630:
	s_wait_xcnt 0x0
	s_or_b32 exec_lo, exec_lo, s66
	s_mov_b32 s36, 0
	s_mov_b32 s27, 0
                                        ; implicit-def: $sgpr0
                                        ; implicit-def: $vgpr0_vgpr1
                                        ; implicit-def: $vgpr7
	s_and_saveexec_b32 s66, s1
	s_cbranch_execz .LBB86_639
; %bb.631:
	s_mov_b32 s37, -1
	s_mov_b32 s67, s65
	s_mov_b32 s69, s64
	;; [unrolled: 1-line block ×10, first 2 shown]
	s_mov_b32 s77, exec_lo
	v_cmpx_gt_i32_e64 s55, v22
	s_cbranch_execz .LBB86_1299
; %bb.632:
	s_wait_loadcnt 0x0
	v_mul_lo_u32 v0, s20, v22
	s_and_b32 s0, s56, 0xff
	s_delay_alu instid0(SALU_CYCLE_1) | instskip(NEXT) | instid1(VALU_DEP_1)
	s_cmp_lt_i32 s0, 11
	v_ashrrev_i32_e32 v1, 31, v0
	s_delay_alu instid0(VALU_DEP_1)
	v_add_nc_u64_e32 v[0:1], s[4:5], v[0:1]
	s_cbranch_scc1 .LBB86_647
; %bb.633:
	s_and_b32 s1, 0xffff, s0
	s_delay_alu instid0(SALU_CYCLE_1)
	s_cmp_gt_i32 s1, 25
	s_cbranch_scc0 .LBB86_656
; %bb.634:
	s_cmp_gt_i32 s1, 28
	s_cbranch_scc0 .LBB86_658
; %bb.635:
	;; [unrolled: 3-line block ×4, first 2 shown]
	s_cmp_eq_u32 s1, 46
	s_cbranch_scc0 .LBB86_678
; %bb.638:
	global_load_b32 v2, v[0:1], off
	s_mov_b32 s27, -1
	s_mov_b32 s67, 0
	s_wait_loadcnt 0x0
	v_lshlrev_b32_e32 v2, 16, v2
	s_delay_alu instid0(VALU_DEP_1)
	v_cvt_i32_f32_e32 v7, v2
	s_branch .LBB86_680
.LBB86_639:
	s_or_b32 exec_lo, exec_lo, s66
	s_mov_b32 s1, 0
	s_and_saveexec_b32 s4, s65
	s_cbranch_execnz .LBB86_2140
.LBB86_640:
	s_or_b32 exec_lo, exec_lo, s4
	s_and_saveexec_b32 s4, s67
	s_delay_alu instid0(SALU_CYCLE_1)
	s_xor_b32 s4, exec_lo, s4
	s_cbranch_execz .LBB86_2141
.LBB86_641:
	s_wait_loadcnt 0x0
	global_load_u8 v2, v[0:1], off
	s_or_b32 s27, s27, exec_lo
	s_wait_loadcnt 0x0
	v_cmp_ne_u16_e32 vcc_lo, 0, v2
	v_cndmask_b32_e64 v7, 0, 1, vcc_lo
	s_wait_xcnt 0x0
	s_or_b32 exec_lo, exec_lo, s4
	s_and_saveexec_b32 s4, s36
	s_cbranch_execz .LBB86_2187
	s_branch .LBB86_2142
.LBB86_642:                             ;   in Loop: Header=BB86_643 Depth=1
	s_or_b32 exec_lo, exec_lo, s0
	s_delay_alu instid0(VALU_DEP_1)
	v_mul_u64_e32 v[12:13], s[40:41], v[10:11]
	s_load_b64 s[40:41], s[38:39], 0x40
	s_add_co_i32 s27, s27, -1
	s_wait_xcnt 0x0
	s_add_nc_u64 s[38:39], s[38:39], -8
	s_cmp_eq_u32 s27, 0
	s_delay_alu instid0(VALU_DEP_1) | instskip(SKIP_1) | instid1(VALU_DEP_1)
	v_sub_nc_u64_e32 v[8:9], v[8:9], v[12:13]
	s_wait_kmcnt 0x0
	v_mad_nc_u64_u32 v[4:5], v8, s40, v[4:5]
	s_delay_alu instid0(VALU_DEP_1) | instskip(NEXT) | instid1(VALU_DEP_1)
	v_mad_u32 v1, v9, s40, v5
	v_mad_u32 v5, v8, s41, v1
	v_mov_b64_e32 v[8:9], v[10:11]
	s_cbranch_scc1 .LBB86_662
.LBB86_643:                             ; =>This Inner Loop Header: Depth=1
	s_load_b64 s[40:41], s[38:39], 0x0
                                        ; implicit-def: $vgpr10_vgpr11
	s_mov_b32 s0, exec_lo
	s_wait_kmcnt 0x0
	s_delay_alu instid0(VALU_DEP_1) | instskip(NEXT) | instid1(VALU_DEP_1)
	v_or_b32_e32 v7, s41, v9
	v_cmpx_ne_u64_e32 0, v[6:7]
	s_xor_b32 s59, exec_lo, s0
	s_cbranch_execz .LBB86_645
; %bb.644:                              ;   in Loop: Header=BB86_643 Depth=1
	s_ashr_i32 s42, s41, 31
	v_dual_mov_b32 v15, v6 :: v_dual_ashrrev_i32 v10, 31, v9
	s_mov_b32 s43, s42
	v_mov_b32_e32 v25, v6
	s_add_nc_u64 s[44:45], s[40:41], s[42:43]
	s_delay_alu instid0(VALU_DEP_2) | instskip(SKIP_1) | instid1(SALU_CYCLE_1)
	v_mov_b32_e32 v11, v10
	s_xor_b64 s[44:45], s[44:45], s[42:43]
	s_cvt_f32_u32 s0, s44
	s_cvt_f32_u32 s43, s45
	s_sub_nc_u64 s[70:71], 0, s[44:45]
	v_add_nc_u64_e32 v[12:13], v[8:9], v[10:11]
	v_mov_b32_e32 v19, v6
	s_fmamk_f32 s0, s43, 0x4f800000, s0
	s_delay_alu instid0(SALU_CYCLE_3) | instskip(NEXT) | instid1(VALU_DEP_2)
	v_s_rcp_f32 s0, s0
	v_xor_b32_e32 v14, v12, v10
	s_delay_alu instid0(VALU_DEP_3) | instskip(NEXT) | instid1(TRANS32_DEP_1)
	v_xor_b32_e32 v18, v13, v10
	s_mul_f32 s0, s0, 0x5f7ffffc
	s_delay_alu instid0(SALU_CYCLE_3) | instskip(NEXT) | instid1(SALU_CYCLE_3)
	s_mul_f32 s43, s0, 0x2f800000
	s_trunc_f32 s43, s43
	s_delay_alu instid0(SALU_CYCLE_3) | instskip(SKIP_1) | instid1(SALU_CYCLE_2)
	s_fmamk_f32 s0, s43, 0xcf800000, s0
	s_cvt_u32_f32 s69, s43
	s_cvt_u32_f32 s68, s0
	s_delay_alu instid0(SALU_CYCLE_3) | instskip(NEXT) | instid1(SALU_CYCLE_1)
	s_mul_u64 s[72:73], s[70:71], s[68:69]
	s_mul_hi_u32 s75, s68, s73
	s_mul_i32 s74, s68, s73
	s_mul_hi_u32 s0, s68, s72
	s_mul_i32 s60, s69, s72
	s_add_nc_u64 s[74:75], s[0:1], s[74:75]
	s_mul_hi_u32 s43, s69, s72
	s_mul_hi_u32 s76, s69, s73
	s_add_co_u32 s0, s74, s60
	s_add_co_ci_u32 s0, s75, s43
	s_mul_i32 s72, s69, s73
	s_add_co_ci_u32 s73, s76, 0
	s_delay_alu instid0(SALU_CYCLE_1) | instskip(NEXT) | instid1(SALU_CYCLE_1)
	s_add_nc_u64 s[72:73], s[0:1], s[72:73]
	s_add_co_u32 s68, s68, s72
	s_cselect_b32 s0, -1, 0
	s_delay_alu instid0(SALU_CYCLE_1) | instskip(SKIP_1) | instid1(SALU_CYCLE_1)
	s_cmp_lg_u32 s0, 0
	s_add_co_ci_u32 s69, s69, s73
	s_mul_u64 s[70:71], s[70:71], s[68:69]
	s_delay_alu instid0(SALU_CYCLE_1)
	s_mul_hi_u32 s73, s68, s71
	s_mul_i32 s72, s68, s71
	s_mul_hi_u32 s0, s68, s70
	s_mul_i32 s60, s69, s70
	s_add_nc_u64 s[72:73], s[0:1], s[72:73]
	s_mul_hi_u32 s43, s69, s70
	s_mul_hi_u32 s74, s69, s71
	s_add_co_u32 s0, s72, s60
	s_add_co_ci_u32 s0, s73, s43
	s_mul_i32 s70, s69, s71
	s_add_co_ci_u32 s71, s74, 0
	s_delay_alu instid0(SALU_CYCLE_1) | instskip(NEXT) | instid1(SALU_CYCLE_1)
	s_add_nc_u64 s[70:71], s[0:1], s[70:71]
	s_add_co_u32 s60, s68, s70
	s_cselect_b32 s0, -1, 0
	v_mul_hi_u32 v24, v14, s60
	s_cmp_lg_u32 s0, 0
	s_add_co_ci_u32 s0, s69, s71
	s_and_b64 s[68:69], s[60:61], s[36:37]
	v_mul_u64_e32 v[16:17], s[0:1], v[14:15]
	v_mul_u64_e32 v[12:13], s[68:69], v[18:19]
	;; [unrolled: 1-line block ×3, first 2 shown]
	s_delay_alu instid0(VALU_DEP_3) | instskip(NEXT) | instid1(VALU_DEP_1)
	v_add_nc_u64_e32 v[16:17], v[24:25], v[16:17]
	v_add_co_u32 v1, vcc_lo, v16, v12
	s_delay_alu instid0(VALU_DEP_2) | instskip(NEXT) | instid1(VALU_DEP_4)
	v_add_co_ci_u32_e32 v24, vcc_lo, v17, v13, vcc_lo
	v_add_co_ci_u32_e32 v21, vcc_lo, 0, v21, vcc_lo
	s_delay_alu instid0(VALU_DEP_1) | instskip(NEXT) | instid1(VALU_DEP_1)
	v_add_nc_u64_e32 v[12:13], v[24:25], v[20:21]
	v_mul_u64_e32 v[16:17], s[44:45], v[12:13]
	s_delay_alu instid0(VALU_DEP_1) | instskip(NEXT) | instid1(VALU_DEP_2)
	v_sub_nc_u32_e32 v1, v18, v17
	v_sub_co_u32 v3, vcc_lo, v14, v16
	s_delay_alu instid0(VALU_DEP_1) | instskip(NEXT) | instid1(VALU_DEP_3)
	v_sub_co_ci_u32_e64 v11, null, v18, v17, vcc_lo
	v_subrev_co_ci_u32_e64 v1, null, s45, v1, vcc_lo
	s_delay_alu instid0(VALU_DEP_3) | instskip(SKIP_1) | instid1(VALU_DEP_3)
	v_sub_co_u32 v7, s0, v3, s44
	v_add_nc_u64_e32 v[16:17], 1, v[12:13]
	v_subrev_co_ci_u32_e64 v1, null, 0, v1, s0
	s_delay_alu instid0(VALU_DEP_3) | instskip(SKIP_1) | instid1(VALU_DEP_3)
	v_cmp_le_u32_e32 vcc_lo, s44, v7
	v_cndmask_b32_e64 v7, 0, -1, vcc_lo
	v_cmp_le_u32_e32 vcc_lo, s45, v1
	v_cndmask_b32_e64 v14, 0, -1, vcc_lo
	;; [unrolled: 2-line block ×4, first 2 shown]
	v_cmp_eq_u32_e32 vcc_lo, s45, v1
	v_cndmask_b32_e32 v1, v14, v7, vcc_lo
	v_cmp_eq_u32_e32 vcc_lo, s45, v11
	v_add_nc_u64_e32 v[14:15], 2, v[12:13]
	v_cndmask_b32_e32 v3, v18, v3, vcc_lo
	s_delay_alu instid0(VALU_DEP_4) | instskip(NEXT) | instid1(VALU_DEP_2)
	v_cmp_ne_u32_e32 vcc_lo, 0, v1
	v_cmp_ne_u32_e64 s0, 0, v3
	s_delay_alu instid0(VALU_DEP_4) | instskip(NEXT) | instid1(VALU_DEP_1)
	v_dual_cndmask_b32 v1, v17, v15, vcc_lo :: v_dual_cndmask_b32 v3, v16, v14, vcc_lo
	v_dual_cndmask_b32 v1, v13, v1, s0 :: v_dual_bitop2_b32 v10, s42, v10 bitop3:0x14
	s_delay_alu instid0(VALU_DEP_1) | instskip(NEXT) | instid1(VALU_DEP_2)
	v_dual_cndmask_b32 v3, v12, v3, s0 :: v_dual_mov_b32 v11, v10
	v_xor_b32_e32 v13, v1, v10
	s_delay_alu instid0(VALU_DEP_2) | instskip(NEXT) | instid1(VALU_DEP_1)
	v_xor_b32_e32 v12, v3, v10
	v_sub_nc_u64_e32 v[10:11], v[12:13], v[10:11]
.LBB86_645:                             ;   in Loop: Header=BB86_643 Depth=1
	s_and_not1_saveexec_b32 s0, s59
	s_cbranch_execz .LBB86_642
; %bb.646:                              ;   in Loop: Header=BB86_643 Depth=1
	v_cvt_f32_u32_e32 v1, s40
	s_sub_co_i32 s42, 0, s40
	v_mov_b32_e32 v11, v6
	s_delay_alu instid0(VALU_DEP_2) | instskip(SKIP_1) | instid1(TRANS32_DEP_1)
	v_rcp_iflag_f32_e32 v1, v1
	v_nop
	v_mul_f32_e32 v1, 0x4f7ffffe, v1
	s_delay_alu instid0(VALU_DEP_1) | instskip(NEXT) | instid1(VALU_DEP_1)
	v_cvt_u32_f32_e32 v1, v1
	v_mul_lo_u32 v3, s42, v1
	s_delay_alu instid0(VALU_DEP_1) | instskip(NEXT) | instid1(VALU_DEP_1)
	v_mul_hi_u32 v3, v1, v3
	v_add_nc_u32_e32 v1, v1, v3
	s_delay_alu instid0(VALU_DEP_1) | instskip(NEXT) | instid1(VALU_DEP_1)
	v_mul_hi_u32 v1, v8, v1
	v_mul_lo_u32 v3, v1, s40
	s_delay_alu instid0(VALU_DEP_1) | instskip(NEXT) | instid1(VALU_DEP_1)
	v_sub_nc_u32_e32 v3, v8, v3
	v_subrev_nc_u32_e32 v10, s40, v3
	v_cmp_le_u32_e32 vcc_lo, s40, v3
	s_delay_alu instid0(VALU_DEP_2) | instskip(NEXT) | instid1(VALU_DEP_1)
	v_dual_add_nc_u32 v7, 1, v1 :: v_dual_cndmask_b32 v3, v3, v10, vcc_lo
	v_cndmask_b32_e32 v1, v1, v7, vcc_lo
	s_delay_alu instid0(VALU_DEP_2) | instskip(NEXT) | instid1(VALU_DEP_2)
	v_cmp_le_u32_e32 vcc_lo, s40, v3
	v_add_nc_u32_e32 v7, 1, v1
	s_delay_alu instid0(VALU_DEP_1)
	v_cndmask_b32_e32 v10, v1, v7, vcc_lo
	s_branch .LBB86_642
.LBB86_647:
	s_mov_b32 s67, s65
                                        ; implicit-def: $vgpr7
	s_cbranch_execnz .LBB86_742
.LBB86_648:
	s_and_not1_b32 vcc_lo, exec_lo, s27
	s_cbranch_vccnz .LBB86_790
.LBB86_649:
	s_wait_xcnt 0x0
	v_mul_lo_u32 v0, s21, v22
	s_and_b32 s0, s53, 0xff
	s_delay_alu instid0(SALU_CYCLE_1) | instskip(NEXT) | instid1(VALU_DEP_1)
	s_cmp_lt_i32 s0, 11
	v_ashrrev_i32_e32 v1, 31, v0
	s_delay_alu instid0(VALU_DEP_1)
	v_add_nc_u64_e32 v[0:1], s[6:7], v[0:1]
	s_cbranch_scc1 .LBB86_657
; %bb.650:
	s_and_b32 s1, 0xffff, s0
	s_delay_alu instid0(SALU_CYCLE_1)
	s_cmp_gt_i32 s1, 25
	s_cbranch_scc0 .LBB86_659
; %bb.651:
	s_cmp_gt_i32 s1, 28
	s_cbranch_scc0 .LBB86_661
; %bb.652:
	;; [unrolled: 3-line block ×4, first 2 shown]
	s_cmp_eq_u32 s1, 46
	s_mov_b32 s36, 0
	s_cbranch_scc0 .LBB86_792
; %bb.655:
	global_load_b32 v2, v[0:1], off
	s_mov_b32 s27, -1
	s_mov_b32 s69, 0
	s_wait_loadcnt 0x0
	v_lshlrev_b32_e32 v2, 16, v2
	s_delay_alu instid0(VALU_DEP_1)
	v_cvt_i32_f32_e32 v8, v2
	s_branch .LBB86_794
.LBB86_656:
	s_mov_b32 s36, -1
	s_mov_b32 s67, s65
                                        ; implicit-def: $vgpr7
	s_branch .LBB86_708
.LBB86_657:
	s_mov_b32 s1, -1
	s_mov_b32 s27, 0
	s_mov_b32 s69, s64
                                        ; implicit-def: $vgpr8
	s_branch .LBB86_855
.LBB86_658:
	s_mov_b32 s36, -1
	s_mov_b32 s67, s65
                                        ; implicit-def: $vgpr7
	s_branch .LBB86_691
.LBB86_659:
	s_mov_b32 s36, -1
	s_mov_b32 s27, 0
	s_mov_b32 s69, s64
                                        ; implicit-def: $vgpr8
	s_branch .LBB86_821
.LBB86_660:
	s_mov_b32 s36, -1
	s_mov_b32 s67, s65
                                        ; implicit-def: $vgpr7
	s_branch .LBB86_686
.LBB86_661:
	s_mov_b32 s36, -1
	s_mov_b32 s27, 0
	s_mov_b32 s69, s64
                                        ; implicit-def: $vgpr8
	s_branch .LBB86_804
.LBB86_662:
	s_mov_b32 s37, -1
	s_mov_b32 s27, 0
	s_mov_b32 s0, 0
	s_mov_b32 s1, exec_lo
	v_cmpx_gt_i32_e64 v2, v0
	s_cbranch_execz .LBB86_670
; %bb.663:
	s_delay_alu instid0(VALU_DEP_2) | instskip(SKIP_2) | instid1(VALU_DEP_1)
	v_lshlrev_b64_e32 v[4:5], 2, v[4:5]
	v_dual_ashrrev_i32 v1, 31, v0 :: v_dual_ashrrev_i32 v3, 31, v2
	s_xor_b32 s37, s35, -1
                                        ; implicit-def: $sgpr36
                                        ; implicit-def: $sgpr39
                                        ; implicit-def: $sgpr38
	v_lshl_add_u64 v[0:1], v[0:1], 2, v[4:5]
	v_add_nc_u64_e32 v[4:5], s[12:13], v[4:5]
	s_delay_alu instid0(VALU_DEP_2) | instskip(NEXT) | instid1(VALU_DEP_2)
	v_add_nc_u64_e32 v[0:1], s[12:13], v[0:1]
	v_lshl_add_u64 v[2:3], v[2:3], 2, v[4:5]
	s_delay_alu instid0(VALU_DEP_2)
	v_add_nc_u64_e32 v[0:1], 4, v[0:1]
	s_branch .LBB86_665
.LBB86_664:                             ;   in Loop: Header=BB86_665 Depth=1
	s_or_b32 exec_lo, exec_lo, s40
	s_delay_alu instid0(SALU_CYCLE_1) | instskip(NEXT) | instid1(SALU_CYCLE_1)
	s_and_b32 s40, exec_lo, s39
	s_or_b32 s0, s40, s0
	s_and_not1_b32 s36, s36, exec_lo
	s_and_b32 s40, s38, exec_lo
	s_delay_alu instid0(SALU_CYCLE_1)
	s_or_b32 s36, s36, s40
	s_and_not1_b32 exec_lo, exec_lo, s0
	s_cbranch_execz .LBB86_669
.LBB86_665:                             ; =>This Inner Loop Header: Depth=1
	s_or_b32 s38, s38, exec_lo
	s_or_b32 s39, s39, exec_lo
	s_mov_b32 s40, exec_lo
	s_delay_alu instid0(VALU_DEP_1)
	v_cmpx_lt_u64_e64 v[0:1], v[2:3]
	s_cbranch_execz .LBB86_664
; %bb.666:                              ;   in Loop: Header=BB86_665 Depth=1
	global_load_b64 v[4:5], v[0:1], off offset:-4
	s_wait_xcnt 0x0
	v_add_nc_u64_e32 v[0:1], 4, v[0:1]
	s_and_not1_b32 s39, s39, exec_lo
	s_and_not1_b32 s38, s38, exec_lo
	s_wait_loadcnt 0x0
	v_cmp_ge_i32_e32 vcc_lo, v4, v5
	s_or_b32 s41, s37, vcc_lo
	s_delay_alu instid0(SALU_CYCLE_1) | instskip(NEXT) | instid1(SALU_CYCLE_1)
	s_and_b32 s41, s41, exec_lo
	s_or_b32 s39, s39, s41
	s_branch .LBB86_664
.LBB86_667:
	s_mov_b32 s36, -1
	s_mov_b32 s67, s65
	s_branch .LBB86_679
.LBB86_668:
	s_mov_b32 s36, -1
	s_mov_b32 s27, 0
	s_mov_b32 s69, s64
                                        ; implicit-def: $vgpr8
	s_branch .LBB86_799
.LBB86_669:
	s_or_b32 exec_lo, exec_lo, s0
	s_delay_alu instid0(SALU_CYCLE_1)
	s_mov_b32 s0, exec_lo
	s_or_not1_b32 s37, s36, exec_lo
.LBB86_670:
	s_or_b32 exec_lo, exec_lo, s1
	s_mov_b32 s36, 0
	s_and_saveexec_b32 s1, s37
	s_cbranch_execz .LBB86_1917
; %bb.671:
	v_mul_lo_u32 v0, s33, v22
	s_and_b32 s36, s14, 0xff
	s_delay_alu instid0(SALU_CYCLE_1) | instskip(NEXT) | instid1(VALU_DEP_1)
	s_cmp_lt_i32 s36, 11
	v_ashrrev_i32_e32 v1, 31, v0
	s_delay_alu instid0(VALU_DEP_1)
	v_add_nc_u64_e32 v[0:1], s[2:3], v[0:1]
	s_cbranch_scc1 .LBB86_791
; %bb.672:
	s_and_b32 s37, 0xffff, s36
	s_delay_alu instid0(SALU_CYCLE_1)
	s_cmp_gt_i32 s37, 25
	s_cbranch_scc0 .LBB86_918
; %bb.673:
	s_cmp_gt_i32 s37, 28
	s_cbranch_scc0 .LBB86_1045
; %bb.674:
	;; [unrolled: 3-line block ×4, first 2 shown]
	s_mov_b32 s39, 0
	s_mov_b32 s27, -1
	s_cmp_eq_u32 s37, 46
	s_mov_b32 s38, 0
	s_cbranch_scc0 .LBB86_1835
; %bb.677:
	v_mov_b32_e32 v2, 0
	s_mov_b32 s38, -1
	s_mov_b32 s27, 0
	global_store_b32 v[0:1], v2, off
	s_branch .LBB86_1835
.LBB86_678:
	s_mov_b32 s67, -1
.LBB86_679:
                                        ; implicit-def: $vgpr7
.LBB86_680:
	s_and_b32 vcc_lo, exec_lo, s36
	s_cbranch_vccz .LBB86_685
; %bb.681:
	s_cmp_eq_u32 s1, 44
	s_cbranch_scc0 .LBB86_684
; %bb.682:
	global_load_u8 v2, v[0:1], off
	s_mov_b32 s67, 0
	s_mov_b32 s27, -1
	s_wait_loadcnt 0x0
	v_lshlrev_b32_e32 v3, 23, v2
	v_cmp_ne_u32_e32 vcc_lo, 0, v2
	s_delay_alu instid0(VALU_DEP_2) | instskip(NEXT) | instid1(VALU_DEP_1)
	v_cvt_i32_f32_e32 v3, v3
	v_cndmask_b32_e32 v7, 0, v3, vcc_lo
	s_branch .LBB86_685
.LBB86_683:
	s_mov_b32 s36, -1
	s_mov_b32 s27, 0
	s_mov_b32 s69, s64
	s_branch .LBB86_793
.LBB86_684:
	s_mov_b32 s67, -1
                                        ; implicit-def: $vgpr7
.LBB86_685:
	s_mov_b32 s36, 0
.LBB86_686:
	s_delay_alu instid0(SALU_CYCLE_1)
	s_and_b32 vcc_lo, exec_lo, s36
	s_cbranch_vccz .LBB86_690
; %bb.687:
	s_cmp_eq_u32 s1, 29
	s_cbranch_scc0 .LBB86_689
; %bb.688:
	global_load_b32 v7, v[0:1], off
	s_mov_b32 s27, -1
	s_mov_b32 s67, 0
	s_branch .LBB86_690
.LBB86_689:
	s_mov_b32 s67, -1
                                        ; implicit-def: $vgpr7
.LBB86_690:
	s_mov_b32 s36, 0
.LBB86_691:
	s_delay_alu instid0(SALU_CYCLE_1)
	s_and_b32 vcc_lo, exec_lo, s36
	s_cbranch_vccz .LBB86_707
; %bb.692:
	s_cmp_lt_i32 s1, 27
	s_cbranch_scc1 .LBB86_695
; %bb.693:
	s_cmp_gt_i32 s1, 27
	s_cbranch_scc0 .LBB86_696
; %bb.694:
	s_wait_loadcnt 0x0
	global_load_b32 v7, v[0:1], off
	s_mov_b32 s27, 0
	s_branch .LBB86_697
.LBB86_695:
	s_mov_b32 s27, -1
                                        ; implicit-def: $vgpr7
	s_branch .LBB86_700
.LBB86_696:
	s_mov_b32 s27, -1
                                        ; implicit-def: $vgpr7
.LBB86_697:
	s_delay_alu instid0(SALU_CYCLE_1)
	s_and_not1_b32 vcc_lo, exec_lo, s27
	s_cbranch_vccnz .LBB86_699
; %bb.698:
	s_wait_loadcnt 0x0
	global_load_u16 v7, v[0:1], off
.LBB86_699:
	s_mov_b32 s27, 0
.LBB86_700:
	s_delay_alu instid0(SALU_CYCLE_1)
	s_and_not1_b32 vcc_lo, exec_lo, s27
	s_cbranch_vccnz .LBB86_706
; %bb.701:
	global_load_u8 v2, v[0:1], off
	s_mov_b32 s36, 0
	s_mov_b32 s27, exec_lo
	s_wait_loadcnt 0x0
	v_cmpx_lt_i16_e32 0x7f, v2
	s_xor_b32 s27, exec_lo, s27
	s_cbranch_execz .LBB86_718
; %bb.702:
	v_cmp_ne_u16_e32 vcc_lo, 0x80, v2
	s_and_b32 s36, vcc_lo, exec_lo
	s_and_not1_saveexec_b32 s27, s27
	s_cbranch_execnz .LBB86_719
.LBB86_703:
	s_or_b32 exec_lo, exec_lo, s27
	v_mov_b32_e32 v7, 0
	s_and_saveexec_b32 s27, s36
	s_cbranch_execz .LBB86_705
.LBB86_704:
	v_and_b32_e32 v3, 0xffff, v2
	s_delay_alu instid0(VALU_DEP_1) | instskip(SKIP_1) | instid1(VALU_DEP_2)
	v_and_b32_e32 v4, 7, v3
	v_bfe_u32 v7, v3, 3, 4
	v_clz_i32_u32_e32 v5, v4
	s_delay_alu instid0(VALU_DEP_2) | instskip(NEXT) | instid1(VALU_DEP_2)
	v_cmp_eq_u32_e32 vcc_lo, 0, v7
	v_min_u32_e32 v5, 32, v5
	s_delay_alu instid0(VALU_DEP_1) | instskip(NEXT) | instid1(VALU_DEP_1)
	v_subrev_nc_u32_e32 v6, 28, v5
	v_dual_lshlrev_b32 v3, v6, v3 :: v_dual_sub_nc_u32 v5, 29, v5
	s_delay_alu instid0(VALU_DEP_1) | instskip(NEXT) | instid1(VALU_DEP_1)
	v_dual_lshlrev_b32 v2, 24, v2 :: v_dual_bitop2_b32 v3, 7, v3 bitop3:0x40
	v_dual_cndmask_b32 v5, v7, v5, vcc_lo :: v_dual_cndmask_b32 v3, v4, v3, vcc_lo
	s_delay_alu instid0(VALU_DEP_2) | instskip(NEXT) | instid1(VALU_DEP_2)
	v_and_b32_e32 v2, 0x80000000, v2
	v_lshl_add_u32 v4, v5, 23, 0x3b800000
	s_delay_alu instid0(VALU_DEP_3) | instskip(NEXT) | instid1(VALU_DEP_1)
	v_lshlrev_b32_e32 v3, 20, v3
	v_or3_b32 v2, v2, v4, v3
	s_delay_alu instid0(VALU_DEP_1)
	v_cvt_i32_f32_e32 v7, v2
.LBB86_705:
	s_or_b32 exec_lo, exec_lo, s27
.LBB86_706:
	s_mov_b32 s27, -1
.LBB86_707:
	s_mov_b32 s36, 0
.LBB86_708:
	s_delay_alu instid0(SALU_CYCLE_1)
	s_and_b32 vcc_lo, exec_lo, s36
	s_cbranch_vccz .LBB86_741
; %bb.709:
	s_cmp_gt_i32 s1, 22
	s_cbranch_scc0 .LBB86_717
; %bb.710:
	s_cmp_lt_i32 s1, 24
	s_cbranch_scc1 .LBB86_720
; %bb.711:
	s_cmp_gt_i32 s1, 24
	s_cbranch_scc0 .LBB86_721
; %bb.712:
	global_load_u8 v2, v[0:1], off
	s_mov_b32 s36, 0
	s_mov_b32 s27, exec_lo
	s_wait_loadcnt 0x0
	v_cmpx_lt_i16_e32 0x7f, v2
	s_xor_b32 s27, exec_lo, s27
	s_cbranch_execz .LBB86_733
; %bb.713:
	v_cmp_ne_u16_e32 vcc_lo, 0x80, v2
	s_and_b32 s36, vcc_lo, exec_lo
	s_and_not1_saveexec_b32 s27, s27
	s_cbranch_execnz .LBB86_734
.LBB86_714:
	s_or_b32 exec_lo, exec_lo, s27
	v_mov_b32_e32 v7, 0
	s_and_saveexec_b32 s27, s36
	s_cbranch_execz .LBB86_716
.LBB86_715:
	v_and_b32_e32 v3, 0xffff, v2
	s_delay_alu instid0(VALU_DEP_1) | instskip(SKIP_1) | instid1(VALU_DEP_2)
	v_and_b32_e32 v4, 3, v3
	v_bfe_u32 v7, v3, 2, 5
	v_clz_i32_u32_e32 v5, v4
	s_delay_alu instid0(VALU_DEP_2) | instskip(NEXT) | instid1(VALU_DEP_2)
	v_cmp_eq_u32_e32 vcc_lo, 0, v7
	v_min_u32_e32 v5, 32, v5
	s_delay_alu instid0(VALU_DEP_1) | instskip(NEXT) | instid1(VALU_DEP_1)
	v_subrev_nc_u32_e32 v6, 29, v5
	v_dual_lshlrev_b32 v3, v6, v3 :: v_dual_sub_nc_u32 v5, 30, v5
	s_delay_alu instid0(VALU_DEP_1) | instskip(NEXT) | instid1(VALU_DEP_1)
	v_dual_lshlrev_b32 v2, 24, v2 :: v_dual_bitop2_b32 v3, 3, v3 bitop3:0x40
	v_dual_cndmask_b32 v5, v7, v5, vcc_lo :: v_dual_cndmask_b32 v3, v4, v3, vcc_lo
	s_delay_alu instid0(VALU_DEP_2) | instskip(NEXT) | instid1(VALU_DEP_2)
	v_and_b32_e32 v2, 0x80000000, v2
	v_lshl_add_u32 v4, v5, 23, 0x37800000
	s_delay_alu instid0(VALU_DEP_3) | instskip(NEXT) | instid1(VALU_DEP_1)
	v_lshlrev_b32_e32 v3, 21, v3
	v_or3_b32 v2, v2, v4, v3
	s_delay_alu instid0(VALU_DEP_1)
	v_cvt_i32_f32_e32 v7, v2
.LBB86_716:
	s_or_b32 exec_lo, exec_lo, s27
	s_mov_b32 s27, 0
	s_branch .LBB86_722
.LBB86_717:
	s_mov_b32 s36, -1
                                        ; implicit-def: $vgpr7
	s_branch .LBB86_728
.LBB86_718:
	s_and_not1_saveexec_b32 s27, s27
	s_cbranch_execz .LBB86_703
.LBB86_719:
	v_cmp_ne_u16_e32 vcc_lo, 0, v2
	s_and_not1_b32 s36, s36, exec_lo
	s_and_b32 s37, vcc_lo, exec_lo
	s_delay_alu instid0(SALU_CYCLE_1)
	s_or_b32 s36, s36, s37
	s_or_b32 exec_lo, exec_lo, s27
	v_mov_b32_e32 v7, 0
	s_and_saveexec_b32 s27, s36
	s_cbranch_execnz .LBB86_704
	s_branch .LBB86_705
.LBB86_720:
	s_mov_b32 s27, -1
                                        ; implicit-def: $vgpr7
	s_branch .LBB86_725
.LBB86_721:
	s_mov_b32 s27, -1
                                        ; implicit-def: $vgpr7
.LBB86_722:
	s_delay_alu instid0(SALU_CYCLE_1)
	s_and_b32 vcc_lo, exec_lo, s27
	s_cbranch_vccz .LBB86_724
; %bb.723:
	global_load_u8 v2, v[0:1], off
	s_wait_loadcnt 0x0
	v_lshlrev_b32_e32 v2, 24, v2
	s_delay_alu instid0(VALU_DEP_1) | instskip(NEXT) | instid1(VALU_DEP_1)
	v_and_b32_e32 v3, 0x7f000000, v2
	v_clz_i32_u32_e32 v4, v3
	v_cmp_ne_u32_e32 vcc_lo, 0, v3
	v_add_nc_u32_e32 v6, 0x1000000, v3
	s_delay_alu instid0(VALU_DEP_3) | instskip(NEXT) | instid1(VALU_DEP_1)
	v_min_u32_e32 v4, 32, v4
	v_sub_nc_u32_e64 v4, v4, 4 clamp
	s_delay_alu instid0(VALU_DEP_1) | instskip(NEXT) | instid1(VALU_DEP_1)
	v_dual_lshlrev_b32 v5, v4, v3 :: v_dual_lshlrev_b32 v4, 23, v4
	v_lshrrev_b32_e32 v5, 4, v5
	s_delay_alu instid0(VALU_DEP_1) | instskip(NEXT) | instid1(VALU_DEP_1)
	v_dual_sub_nc_u32 v4, v5, v4 :: v_dual_ashrrev_i32 v5, 8, v6
	v_add_nc_u32_e32 v4, 0x3c000000, v4
	s_delay_alu instid0(VALU_DEP_1) | instskip(NEXT) | instid1(VALU_DEP_1)
	v_and_or_b32 v4, 0x7f800000, v5, v4
	v_cndmask_b32_e32 v3, 0, v4, vcc_lo
	s_delay_alu instid0(VALU_DEP_1) | instskip(NEXT) | instid1(VALU_DEP_1)
	v_and_or_b32 v2, 0x80000000, v2, v3
	v_cvt_i32_f32_e32 v7, v2
.LBB86_724:
	s_mov_b32 s27, 0
.LBB86_725:
	s_delay_alu instid0(SALU_CYCLE_1)
	s_and_not1_b32 vcc_lo, exec_lo, s27
	s_cbranch_vccnz .LBB86_727
; %bb.726:
	global_load_u8 v2, v[0:1], off
	s_wait_loadcnt 0x0
	v_lshlrev_b32_e32 v3, 25, v2
	v_lshlrev_b16 v2, 8, v2
	s_delay_alu instid0(VALU_DEP_1) | instskip(SKIP_1) | instid1(VALU_DEP_2)
	v_and_or_b32 v5, 0x7f00, v2, 0.5
	v_bfe_i32 v2, v2, 0, 16
	v_dual_add_f32 v5, -0.5, v5 :: v_dual_lshrrev_b32 v4, 4, v3
	v_cmp_gt_u32_e32 vcc_lo, 0x8000000, v3
	s_delay_alu instid0(VALU_DEP_2) | instskip(NEXT) | instid1(VALU_DEP_1)
	v_or_b32_e32 v4, 0x70000000, v4
	v_mul_f32_e32 v4, 0x7800000, v4
	s_delay_alu instid0(VALU_DEP_1) | instskip(NEXT) | instid1(VALU_DEP_1)
	v_cndmask_b32_e32 v3, v4, v5, vcc_lo
	v_and_or_b32 v2, 0x80000000, v2, v3
	s_delay_alu instid0(VALU_DEP_1)
	v_cvt_i32_f32_e32 v7, v2
.LBB86_727:
	s_mov_b32 s36, 0
	s_mov_b32 s27, -1
.LBB86_728:
	s_and_not1_b32 vcc_lo, exec_lo, s36
	s_cbranch_vccnz .LBB86_741
; %bb.729:
	s_cmp_gt_i32 s1, 14
	s_cbranch_scc0 .LBB86_732
; %bb.730:
	s_cmp_eq_u32 s1, 15
	s_cbranch_scc0 .LBB86_735
; %bb.731:
	global_load_u16 v2, v[0:1], off
	s_mov_b32 s27, -1
	s_mov_b32 s67, 0
	s_wait_loadcnt 0x0
	v_lshlrev_b32_e32 v2, 16, v2
	s_delay_alu instid0(VALU_DEP_1)
	v_cvt_i32_f32_e32 v7, v2
	s_branch .LBB86_736
.LBB86_732:
	s_mov_b32 s36, -1
                                        ; implicit-def: $vgpr7
	s_branch .LBB86_737
.LBB86_733:
	s_and_not1_saveexec_b32 s27, s27
	s_cbranch_execz .LBB86_714
.LBB86_734:
	v_cmp_ne_u16_e32 vcc_lo, 0, v2
	s_and_not1_b32 s36, s36, exec_lo
	s_and_b32 s37, vcc_lo, exec_lo
	s_delay_alu instid0(SALU_CYCLE_1)
	s_or_b32 s36, s36, s37
	s_or_b32 exec_lo, exec_lo, s27
	v_mov_b32_e32 v7, 0
	s_and_saveexec_b32 s27, s36
	s_cbranch_execnz .LBB86_715
	s_branch .LBB86_716
.LBB86_735:
	s_mov_b32 s67, -1
                                        ; implicit-def: $vgpr7
.LBB86_736:
	s_mov_b32 s36, 0
.LBB86_737:
	s_delay_alu instid0(SALU_CYCLE_1)
	s_and_b32 vcc_lo, exec_lo, s36
	s_cbranch_vccz .LBB86_741
; %bb.738:
	s_cmp_eq_u32 s1, 11
	s_cbranch_scc0 .LBB86_740
; %bb.739:
	global_load_u8 v2, v[0:1], off
	s_mov_b32 s67, 0
	s_mov_b32 s27, -1
	s_wait_loadcnt 0x0
	v_cmp_ne_u16_e32 vcc_lo, 0, v2
	v_cndmask_b32_e64 v7, 0, 1, vcc_lo
	s_branch .LBB86_741
.LBB86_740:
	s_mov_b32 s67, -1
                                        ; implicit-def: $vgpr7
.LBB86_741:
	s_branch .LBB86_648
.LBB86_742:
	s_and_b32 s0, 0xffff, s0
	s_delay_alu instid0(SALU_CYCLE_1)
	s_cmp_lt_i32 s0, 5
	s_cbranch_scc1 .LBB86_747
; %bb.743:
	s_cmp_lt_i32 s0, 8
	s_cbranch_scc1 .LBB86_748
; %bb.744:
	;; [unrolled: 3-line block ×3, first 2 shown]
	s_cmp_gt_i32 s0, 9
	s_cbranch_scc0 .LBB86_750
; %bb.746:
	global_load_b64 v[2:3], v[0:1], off
	s_mov_b32 s1, 0
	s_wait_loadcnt 0x0
	v_cvt_i32_f64_e32 v7, v[2:3]
	s_branch .LBB86_751
.LBB86_747:
	s_mov_b32 s1, -1
                                        ; implicit-def: $vgpr7
	s_branch .LBB86_769
.LBB86_748:
	s_mov_b32 s1, -1
                                        ; implicit-def: $vgpr7
	s_branch .LBB86_757
.LBB86_749:
	s_mov_b32 s1, -1
                                        ; implicit-def: $vgpr7
	s_branch .LBB86_754
.LBB86_750:
	s_mov_b32 s1, -1
                                        ; implicit-def: $vgpr7
.LBB86_751:
	s_delay_alu instid0(SALU_CYCLE_1)
	s_and_not1_b32 vcc_lo, exec_lo, s1
	s_cbranch_vccnz .LBB86_753
; %bb.752:
	global_load_b32 v2, v[0:1], off
	s_wait_loadcnt 0x0
	v_cvt_i32_f32_e32 v7, v2
.LBB86_753:
	s_mov_b32 s1, 0
.LBB86_754:
	s_delay_alu instid0(SALU_CYCLE_1)
	s_and_not1_b32 vcc_lo, exec_lo, s1
	s_cbranch_vccnz .LBB86_756
; %bb.755:
	global_load_b32 v2, v[0:1], off
	s_wait_loadcnt 0x0
	v_cvt_f32_f16_e32 v2, v2
	s_delay_alu instid0(VALU_DEP_1)
	v_cvt_i32_f32_e32 v7, v2
.LBB86_756:
	s_mov_b32 s1, 0
.LBB86_757:
	s_delay_alu instid0(SALU_CYCLE_1)
	s_and_not1_b32 vcc_lo, exec_lo, s1
	s_cbranch_vccnz .LBB86_768
; %bb.758:
	s_cmp_lt_i32 s0, 6
	s_cbranch_scc1 .LBB86_761
; %bb.759:
	s_cmp_gt_i32 s0, 6
	s_cbranch_scc0 .LBB86_762
; %bb.760:
	global_load_b64 v[2:3], v[0:1], off
	s_mov_b32 s1, 0
	s_wait_loadcnt 0x0
	v_cvt_i32_f64_e32 v7, v[2:3]
	s_branch .LBB86_763
.LBB86_761:
	s_mov_b32 s1, -1
                                        ; implicit-def: $vgpr7
	s_branch .LBB86_766
.LBB86_762:
	s_mov_b32 s1, -1
                                        ; implicit-def: $vgpr7
.LBB86_763:
	s_delay_alu instid0(SALU_CYCLE_1)
	s_and_not1_b32 vcc_lo, exec_lo, s1
	s_cbranch_vccnz .LBB86_765
; %bb.764:
	global_load_b32 v2, v[0:1], off
	s_wait_loadcnt 0x0
	v_cvt_i32_f32_e32 v7, v2
.LBB86_765:
	s_mov_b32 s1, 0
.LBB86_766:
	s_delay_alu instid0(SALU_CYCLE_1)
	s_and_not1_b32 vcc_lo, exec_lo, s1
	s_cbranch_vccnz .LBB86_768
; %bb.767:
	global_load_u16 v2, v[0:1], off
	s_wait_loadcnt 0x0
	v_cvt_f32_f16_e32 v2, v2
	s_delay_alu instid0(VALU_DEP_1)
	v_cvt_i32_f32_e32 v7, v2
.LBB86_768:
	s_mov_b32 s1, 0
.LBB86_769:
	s_delay_alu instid0(SALU_CYCLE_1)
	s_and_not1_b32 vcc_lo, exec_lo, s1
	s_cbranch_vccnz .LBB86_789
; %bb.770:
	s_cmp_lt_i32 s0, 2
	s_cbranch_scc1 .LBB86_774
; %bb.771:
	s_cmp_lt_i32 s0, 3
	s_cbranch_scc1 .LBB86_775
; %bb.772:
	s_cmp_gt_i32 s0, 3
	s_cbranch_scc0 .LBB86_776
; %bb.773:
	s_wait_loadcnt 0x0
	global_load_b32 v7, v[0:1], off
	s_mov_b32 s1, 0
	s_branch .LBB86_777
.LBB86_774:
	s_mov_b32 s1, -1
                                        ; implicit-def: $vgpr7
	s_branch .LBB86_783
.LBB86_775:
	s_mov_b32 s1, -1
                                        ; implicit-def: $vgpr7
	s_branch .LBB86_780
.LBB86_776:
	s_mov_b32 s1, -1
                                        ; implicit-def: $vgpr7
.LBB86_777:
	s_delay_alu instid0(SALU_CYCLE_1)
	s_and_not1_b32 vcc_lo, exec_lo, s1
	s_cbranch_vccnz .LBB86_779
; %bb.778:
	s_wait_loadcnt 0x0
	global_load_b32 v7, v[0:1], off
.LBB86_779:
	s_mov_b32 s1, 0
.LBB86_780:
	s_delay_alu instid0(SALU_CYCLE_1)
	s_and_not1_b32 vcc_lo, exec_lo, s1
	s_cbranch_vccnz .LBB86_782
; %bb.781:
	s_wait_loadcnt 0x0
	global_load_i16 v7, v[0:1], off
.LBB86_782:
	s_mov_b32 s1, 0
.LBB86_783:
	s_delay_alu instid0(SALU_CYCLE_1)
	s_and_not1_b32 vcc_lo, exec_lo, s1
	s_cbranch_vccnz .LBB86_789
; %bb.784:
	s_cmp_gt_i32 s0, 0
	s_mov_b32 s0, 0
	s_cbranch_scc0 .LBB86_786
; %bb.785:
	s_wait_loadcnt 0x0
	global_load_i8 v7, v[0:1], off
	s_branch .LBB86_787
.LBB86_786:
	s_mov_b32 s0, -1
                                        ; implicit-def: $vgpr7
.LBB86_787:
	s_delay_alu instid0(SALU_CYCLE_1)
	s_and_not1_b32 vcc_lo, exec_lo, s0
	s_cbranch_vccnz .LBB86_789
; %bb.788:
	s_wait_loadcnt 0x0
	global_load_u8 v7, v[0:1], off
.LBB86_789:
	s_branch .LBB86_649
.LBB86_790:
	s_mov_b32 s0, 0
	s_mov_b32 s1, s54
	;; [unrolled: 1-line block ×10, first 2 shown]
	s_branch .LBB86_1297
.LBB86_791:
	s_mov_b32 s37, -1
	s_mov_b32 s27, 0
	s_mov_b32 s38, 0
	s_branch .LBB86_1874
.LBB86_792:
	s_mov_b32 s69, -1
	s_mov_b32 s27, 0
.LBB86_793:
                                        ; implicit-def: $vgpr8
.LBB86_794:
	s_and_b32 vcc_lo, exec_lo, s36
	s_cbranch_vccz .LBB86_798
; %bb.795:
	s_cmp_eq_u32 s1, 44
	s_cbranch_scc0 .LBB86_797
; %bb.796:
	global_load_u8 v2, v[0:1], off
	s_mov_b32 s69, 0
	s_mov_b32 s27, -1
	s_wait_loadcnt 0x0
	v_lshlrev_b32_e32 v3, 23, v2
	v_cmp_ne_u32_e32 vcc_lo, 0, v2
	s_delay_alu instid0(VALU_DEP_2) | instskip(NEXT) | instid1(VALU_DEP_1)
	v_cvt_i32_f32_e32 v3, v3
	v_cndmask_b32_e32 v8, 0, v3, vcc_lo
	s_branch .LBB86_798
.LBB86_797:
	s_mov_b32 s69, -1
                                        ; implicit-def: $vgpr8
.LBB86_798:
	s_mov_b32 s36, 0
.LBB86_799:
	s_delay_alu instid0(SALU_CYCLE_1)
	s_and_b32 vcc_lo, exec_lo, s36
	s_cbranch_vccz .LBB86_803
; %bb.800:
	s_cmp_eq_u32 s1, 29
	s_cbranch_scc0 .LBB86_802
; %bb.801:
	global_load_b32 v8, v[0:1], off
	s_mov_b32 s27, -1
	s_mov_b32 s69, 0
	s_branch .LBB86_803
.LBB86_802:
	s_mov_b32 s69, -1
                                        ; implicit-def: $vgpr8
.LBB86_803:
	s_mov_b32 s36, 0
.LBB86_804:
	s_delay_alu instid0(SALU_CYCLE_1)
	s_and_b32 vcc_lo, exec_lo, s36
	s_cbranch_vccz .LBB86_820
; %bb.805:
	s_cmp_lt_i32 s1, 27
	s_cbranch_scc1 .LBB86_808
; %bb.806:
	s_cmp_gt_i32 s1, 27
	s_cbranch_scc0 .LBB86_809
; %bb.807:
	s_wait_loadcnt 0x0
	global_load_b32 v8, v[0:1], off
	s_mov_b32 s27, 0
	s_branch .LBB86_810
.LBB86_808:
	s_mov_b32 s27, -1
                                        ; implicit-def: $vgpr8
	s_branch .LBB86_813
.LBB86_809:
	s_mov_b32 s27, -1
                                        ; implicit-def: $vgpr8
.LBB86_810:
	s_delay_alu instid0(SALU_CYCLE_1)
	s_and_not1_b32 vcc_lo, exec_lo, s27
	s_cbranch_vccnz .LBB86_812
; %bb.811:
	s_wait_loadcnt 0x0
	global_load_u16 v8, v[0:1], off
.LBB86_812:
	s_mov_b32 s27, 0
.LBB86_813:
	s_delay_alu instid0(SALU_CYCLE_1)
	s_and_not1_b32 vcc_lo, exec_lo, s27
	s_cbranch_vccnz .LBB86_819
; %bb.814:
	global_load_u8 v2, v[0:1], off
	s_mov_b32 s36, 0
	s_mov_b32 s27, exec_lo
	s_wait_loadcnt 0x0
	v_cmpx_lt_i16_e32 0x7f, v2
	s_xor_b32 s27, exec_lo, s27
	s_cbranch_execz .LBB86_831
; %bb.815:
	v_cmp_ne_u16_e32 vcc_lo, 0x80, v2
	s_and_b32 s36, vcc_lo, exec_lo
	s_and_not1_saveexec_b32 s27, s27
	s_cbranch_execnz .LBB86_832
.LBB86_816:
	s_or_b32 exec_lo, exec_lo, s27
	v_mov_b32_e32 v8, 0
	s_and_saveexec_b32 s27, s36
	s_cbranch_execz .LBB86_818
.LBB86_817:
	v_and_b32_e32 v3, 0xffff, v2
	s_delay_alu instid0(VALU_DEP_1) | instskip(SKIP_1) | instid1(VALU_DEP_2)
	v_and_b32_e32 v4, 7, v3
	v_bfe_u32 v8, v3, 3, 4
	v_clz_i32_u32_e32 v5, v4
	s_delay_alu instid0(VALU_DEP_2) | instskip(NEXT) | instid1(VALU_DEP_2)
	v_cmp_eq_u32_e32 vcc_lo, 0, v8
	v_min_u32_e32 v5, 32, v5
	s_delay_alu instid0(VALU_DEP_1) | instskip(NEXT) | instid1(VALU_DEP_1)
	v_subrev_nc_u32_e32 v6, 28, v5
	v_dual_lshlrev_b32 v3, v6, v3 :: v_dual_sub_nc_u32 v5, 29, v5
	s_delay_alu instid0(VALU_DEP_1) | instskip(NEXT) | instid1(VALU_DEP_2)
	v_dual_lshlrev_b32 v2, 24, v2 :: v_dual_bitop2_b32 v3, 7, v3 bitop3:0x40
	v_cndmask_b32_e32 v5, v8, v5, vcc_lo
	s_delay_alu instid0(VALU_DEP_2) | instskip(NEXT) | instid1(VALU_DEP_3)
	v_cndmask_b32_e32 v3, v4, v3, vcc_lo
	v_and_b32_e32 v2, 0x80000000, v2
	s_delay_alu instid0(VALU_DEP_3) | instskip(NEXT) | instid1(VALU_DEP_3)
	v_lshl_add_u32 v4, v5, 23, 0x3b800000
	v_lshlrev_b32_e32 v3, 20, v3
	s_delay_alu instid0(VALU_DEP_1) | instskip(NEXT) | instid1(VALU_DEP_1)
	v_or3_b32 v2, v2, v4, v3
	v_cvt_i32_f32_e32 v8, v2
.LBB86_818:
	s_or_b32 exec_lo, exec_lo, s27
.LBB86_819:
	s_mov_b32 s27, -1
.LBB86_820:
	s_mov_b32 s36, 0
.LBB86_821:
	s_delay_alu instid0(SALU_CYCLE_1)
	s_and_b32 vcc_lo, exec_lo, s36
	s_cbranch_vccz .LBB86_854
; %bb.822:
	s_cmp_gt_i32 s1, 22
	s_cbranch_scc0 .LBB86_830
; %bb.823:
	s_cmp_lt_i32 s1, 24
	s_cbranch_scc1 .LBB86_833
; %bb.824:
	s_cmp_gt_i32 s1, 24
	s_cbranch_scc0 .LBB86_834
; %bb.825:
	global_load_u8 v2, v[0:1], off
	s_mov_b32 s36, 0
	s_mov_b32 s27, exec_lo
	s_wait_loadcnt 0x0
	v_cmpx_lt_i16_e32 0x7f, v2
	s_xor_b32 s27, exec_lo, s27
	s_cbranch_execz .LBB86_846
; %bb.826:
	v_cmp_ne_u16_e32 vcc_lo, 0x80, v2
	s_and_b32 s36, vcc_lo, exec_lo
	s_and_not1_saveexec_b32 s27, s27
	s_cbranch_execnz .LBB86_847
.LBB86_827:
	s_or_b32 exec_lo, exec_lo, s27
	v_mov_b32_e32 v8, 0
	s_and_saveexec_b32 s27, s36
	s_cbranch_execz .LBB86_829
.LBB86_828:
	v_and_b32_e32 v3, 0xffff, v2
	s_delay_alu instid0(VALU_DEP_1) | instskip(SKIP_1) | instid1(VALU_DEP_2)
	v_and_b32_e32 v4, 3, v3
	v_bfe_u32 v8, v3, 2, 5
	v_clz_i32_u32_e32 v5, v4
	s_delay_alu instid0(VALU_DEP_2) | instskip(NEXT) | instid1(VALU_DEP_2)
	v_cmp_eq_u32_e32 vcc_lo, 0, v8
	v_min_u32_e32 v5, 32, v5
	s_delay_alu instid0(VALU_DEP_1) | instskip(NEXT) | instid1(VALU_DEP_1)
	v_subrev_nc_u32_e32 v6, 29, v5
	v_dual_lshlrev_b32 v3, v6, v3 :: v_dual_sub_nc_u32 v5, 30, v5
	s_delay_alu instid0(VALU_DEP_1) | instskip(NEXT) | instid1(VALU_DEP_2)
	v_dual_lshlrev_b32 v2, 24, v2 :: v_dual_bitop2_b32 v3, 3, v3 bitop3:0x40
	v_cndmask_b32_e32 v5, v8, v5, vcc_lo
	s_delay_alu instid0(VALU_DEP_2) | instskip(NEXT) | instid1(VALU_DEP_3)
	v_cndmask_b32_e32 v3, v4, v3, vcc_lo
	v_and_b32_e32 v2, 0x80000000, v2
	s_delay_alu instid0(VALU_DEP_3) | instskip(NEXT) | instid1(VALU_DEP_3)
	v_lshl_add_u32 v4, v5, 23, 0x37800000
	v_lshlrev_b32_e32 v3, 21, v3
	s_delay_alu instid0(VALU_DEP_1) | instskip(NEXT) | instid1(VALU_DEP_1)
	v_or3_b32 v2, v2, v4, v3
	v_cvt_i32_f32_e32 v8, v2
.LBB86_829:
	s_or_b32 exec_lo, exec_lo, s27
	s_mov_b32 s27, 0
	s_branch .LBB86_835
.LBB86_830:
	s_mov_b32 s36, -1
                                        ; implicit-def: $vgpr8
	s_branch .LBB86_841
.LBB86_831:
	s_and_not1_saveexec_b32 s27, s27
	s_cbranch_execz .LBB86_816
.LBB86_832:
	v_cmp_ne_u16_e32 vcc_lo, 0, v2
	s_and_not1_b32 s36, s36, exec_lo
	s_and_b32 s37, vcc_lo, exec_lo
	s_delay_alu instid0(SALU_CYCLE_1)
	s_or_b32 s36, s36, s37
	s_or_b32 exec_lo, exec_lo, s27
	v_mov_b32_e32 v8, 0
	s_and_saveexec_b32 s27, s36
	s_cbranch_execnz .LBB86_817
	s_branch .LBB86_818
.LBB86_833:
	s_mov_b32 s27, -1
                                        ; implicit-def: $vgpr8
	s_branch .LBB86_838
.LBB86_834:
	s_mov_b32 s27, -1
                                        ; implicit-def: $vgpr8
.LBB86_835:
	s_delay_alu instid0(SALU_CYCLE_1)
	s_and_b32 vcc_lo, exec_lo, s27
	s_cbranch_vccz .LBB86_837
; %bb.836:
	global_load_u8 v2, v[0:1], off
	s_wait_loadcnt 0x0
	v_lshlrev_b32_e32 v2, 24, v2
	s_delay_alu instid0(VALU_DEP_1) | instskip(NEXT) | instid1(VALU_DEP_1)
	v_and_b32_e32 v3, 0x7f000000, v2
	v_clz_i32_u32_e32 v4, v3
	v_cmp_ne_u32_e32 vcc_lo, 0, v3
	v_add_nc_u32_e32 v6, 0x1000000, v3
	s_delay_alu instid0(VALU_DEP_3) | instskip(NEXT) | instid1(VALU_DEP_1)
	v_min_u32_e32 v4, 32, v4
	v_sub_nc_u32_e64 v4, v4, 4 clamp
	s_delay_alu instid0(VALU_DEP_1) | instskip(NEXT) | instid1(VALU_DEP_1)
	v_dual_lshlrev_b32 v5, v4, v3 :: v_dual_lshlrev_b32 v4, 23, v4
	v_lshrrev_b32_e32 v5, 4, v5
	s_delay_alu instid0(VALU_DEP_1) | instskip(NEXT) | instid1(VALU_DEP_1)
	v_dual_sub_nc_u32 v4, v5, v4 :: v_dual_ashrrev_i32 v5, 8, v6
	v_add_nc_u32_e32 v4, 0x3c000000, v4
	s_delay_alu instid0(VALU_DEP_1) | instskip(NEXT) | instid1(VALU_DEP_1)
	v_and_or_b32 v4, 0x7f800000, v5, v4
	v_cndmask_b32_e32 v3, 0, v4, vcc_lo
	s_delay_alu instid0(VALU_DEP_1) | instskip(NEXT) | instid1(VALU_DEP_1)
	v_and_or_b32 v2, 0x80000000, v2, v3
	v_cvt_i32_f32_e32 v8, v2
.LBB86_837:
	s_mov_b32 s27, 0
.LBB86_838:
	s_delay_alu instid0(SALU_CYCLE_1)
	s_and_not1_b32 vcc_lo, exec_lo, s27
	s_cbranch_vccnz .LBB86_840
; %bb.839:
	global_load_u8 v2, v[0:1], off
	s_wait_loadcnt 0x0
	v_lshlrev_b32_e32 v3, 25, v2
	v_lshlrev_b16 v2, 8, v2
	s_delay_alu instid0(VALU_DEP_1) | instskip(SKIP_1) | instid1(VALU_DEP_2)
	v_and_or_b32 v5, 0x7f00, v2, 0.5
	v_bfe_i32 v2, v2, 0, 16
	v_dual_add_f32 v5, -0.5, v5 :: v_dual_lshrrev_b32 v4, 4, v3
	v_cmp_gt_u32_e32 vcc_lo, 0x8000000, v3
	s_delay_alu instid0(VALU_DEP_2) | instskip(NEXT) | instid1(VALU_DEP_1)
	v_or_b32_e32 v4, 0x70000000, v4
	v_mul_f32_e32 v4, 0x7800000, v4
	s_delay_alu instid0(VALU_DEP_1) | instskip(NEXT) | instid1(VALU_DEP_1)
	v_cndmask_b32_e32 v3, v4, v5, vcc_lo
	v_and_or_b32 v2, 0x80000000, v2, v3
	s_delay_alu instid0(VALU_DEP_1)
	v_cvt_i32_f32_e32 v8, v2
.LBB86_840:
	s_mov_b32 s36, 0
	s_mov_b32 s27, -1
.LBB86_841:
	s_and_not1_b32 vcc_lo, exec_lo, s36
	s_cbranch_vccnz .LBB86_854
; %bb.842:
	s_cmp_gt_i32 s1, 14
	s_cbranch_scc0 .LBB86_845
; %bb.843:
	s_cmp_eq_u32 s1, 15
	s_cbranch_scc0 .LBB86_848
; %bb.844:
	global_load_u16 v2, v[0:1], off
	s_mov_b32 s27, -1
	s_mov_b32 s69, 0
	s_wait_loadcnt 0x0
	v_lshlrev_b32_e32 v2, 16, v2
	s_delay_alu instid0(VALU_DEP_1)
	v_cvt_i32_f32_e32 v8, v2
	s_branch .LBB86_849
.LBB86_845:
	s_mov_b32 s36, -1
                                        ; implicit-def: $vgpr8
	s_branch .LBB86_850
.LBB86_846:
	s_and_not1_saveexec_b32 s27, s27
	s_cbranch_execz .LBB86_827
.LBB86_847:
	v_cmp_ne_u16_e32 vcc_lo, 0, v2
	s_and_not1_b32 s36, s36, exec_lo
	s_and_b32 s37, vcc_lo, exec_lo
	s_delay_alu instid0(SALU_CYCLE_1)
	s_or_b32 s36, s36, s37
	s_or_b32 exec_lo, exec_lo, s27
	v_mov_b32_e32 v8, 0
	s_and_saveexec_b32 s27, s36
	s_cbranch_execnz .LBB86_828
	s_branch .LBB86_829
.LBB86_848:
	s_mov_b32 s69, -1
                                        ; implicit-def: $vgpr8
.LBB86_849:
	s_mov_b32 s36, 0
.LBB86_850:
	s_delay_alu instid0(SALU_CYCLE_1)
	s_and_b32 vcc_lo, exec_lo, s36
	s_cbranch_vccz .LBB86_854
; %bb.851:
	s_cmp_eq_u32 s1, 11
	s_cbranch_scc0 .LBB86_853
; %bb.852:
	global_load_u8 v2, v[0:1], off
	s_mov_b32 s69, 0
	s_mov_b32 s27, -1
	s_wait_loadcnt 0x0
	v_cmp_ne_u16_e32 vcc_lo, 0, v2
	v_cndmask_b32_e64 v8, 0, 1, vcc_lo
	s_branch .LBB86_854
.LBB86_853:
	s_mov_b32 s69, -1
                                        ; implicit-def: $vgpr8
.LBB86_854:
	s_mov_b32 s1, 0
.LBB86_855:
	s_delay_alu instid0(SALU_CYCLE_1)
	s_and_b32 vcc_lo, exec_lo, s1
	s_cbranch_vccz .LBB86_904
; %bb.856:
	s_and_b32 s0, 0xffff, s0
	s_delay_alu instid0(SALU_CYCLE_1)
	s_cmp_lt_i32 s0, 5
	s_cbranch_scc1 .LBB86_861
; %bb.857:
	s_cmp_lt_i32 s0, 8
	s_cbranch_scc1 .LBB86_862
; %bb.858:
	s_cmp_lt_i32 s0, 9
	s_cbranch_scc1 .LBB86_863
; %bb.859:
	s_cmp_gt_i32 s0, 9
	s_cbranch_scc0 .LBB86_864
; %bb.860:
	global_load_b64 v[2:3], v[0:1], off
	s_mov_b32 s1, 0
	s_wait_loadcnt 0x0
	v_cvt_i32_f64_e32 v8, v[2:3]
	s_branch .LBB86_865
.LBB86_861:
	s_mov_b32 s1, -1
                                        ; implicit-def: $vgpr8
	s_branch .LBB86_883
.LBB86_862:
	s_mov_b32 s1, -1
                                        ; implicit-def: $vgpr8
	s_branch .LBB86_871
.LBB86_863:
	s_mov_b32 s1, -1
                                        ; implicit-def: $vgpr8
	s_branch .LBB86_868
.LBB86_864:
	s_mov_b32 s1, -1
                                        ; implicit-def: $vgpr8
.LBB86_865:
	s_delay_alu instid0(SALU_CYCLE_1)
	s_and_not1_b32 vcc_lo, exec_lo, s1
	s_cbranch_vccnz .LBB86_867
; %bb.866:
	global_load_b32 v2, v[0:1], off
	s_wait_loadcnt 0x0
	v_cvt_i32_f32_e32 v8, v2
.LBB86_867:
	s_mov_b32 s1, 0
.LBB86_868:
	s_delay_alu instid0(SALU_CYCLE_1)
	s_and_not1_b32 vcc_lo, exec_lo, s1
	s_cbranch_vccnz .LBB86_870
; %bb.869:
	global_load_b32 v2, v[0:1], off
	s_wait_loadcnt 0x0
	v_cvt_f32_f16_e32 v2, v2
	s_delay_alu instid0(VALU_DEP_1)
	v_cvt_i32_f32_e32 v8, v2
.LBB86_870:
	s_mov_b32 s1, 0
.LBB86_871:
	s_delay_alu instid0(SALU_CYCLE_1)
	s_and_not1_b32 vcc_lo, exec_lo, s1
	s_cbranch_vccnz .LBB86_882
; %bb.872:
	s_cmp_lt_i32 s0, 6
	s_cbranch_scc1 .LBB86_875
; %bb.873:
	s_cmp_gt_i32 s0, 6
	s_cbranch_scc0 .LBB86_876
; %bb.874:
	global_load_b64 v[2:3], v[0:1], off
	s_mov_b32 s1, 0
	s_wait_loadcnt 0x0
	v_cvt_i32_f64_e32 v8, v[2:3]
	s_branch .LBB86_877
.LBB86_875:
	s_mov_b32 s1, -1
                                        ; implicit-def: $vgpr8
	s_branch .LBB86_880
.LBB86_876:
	s_mov_b32 s1, -1
                                        ; implicit-def: $vgpr8
.LBB86_877:
	s_delay_alu instid0(SALU_CYCLE_1)
	s_and_not1_b32 vcc_lo, exec_lo, s1
	s_cbranch_vccnz .LBB86_879
; %bb.878:
	global_load_b32 v2, v[0:1], off
	s_wait_loadcnt 0x0
	v_cvt_i32_f32_e32 v8, v2
.LBB86_879:
	s_mov_b32 s1, 0
.LBB86_880:
	s_delay_alu instid0(SALU_CYCLE_1)
	s_and_not1_b32 vcc_lo, exec_lo, s1
	s_cbranch_vccnz .LBB86_882
; %bb.881:
	global_load_u16 v2, v[0:1], off
	s_wait_loadcnt 0x0
	v_cvt_f32_f16_e32 v2, v2
	s_delay_alu instid0(VALU_DEP_1)
	v_cvt_i32_f32_e32 v8, v2
.LBB86_882:
	s_mov_b32 s1, 0
.LBB86_883:
	s_delay_alu instid0(SALU_CYCLE_1)
	s_and_not1_b32 vcc_lo, exec_lo, s1
	s_cbranch_vccnz .LBB86_903
; %bb.884:
	s_cmp_lt_i32 s0, 2
	s_cbranch_scc1 .LBB86_888
; %bb.885:
	s_cmp_lt_i32 s0, 3
	s_cbranch_scc1 .LBB86_889
; %bb.886:
	s_cmp_gt_i32 s0, 3
	s_cbranch_scc0 .LBB86_890
; %bb.887:
	s_wait_loadcnt 0x0
	global_load_b32 v8, v[0:1], off
	s_mov_b32 s1, 0
	s_branch .LBB86_891
.LBB86_888:
	s_mov_b32 s1, -1
                                        ; implicit-def: $vgpr8
	s_branch .LBB86_897
.LBB86_889:
	s_mov_b32 s1, -1
                                        ; implicit-def: $vgpr8
	s_branch .LBB86_894
.LBB86_890:
	s_mov_b32 s1, -1
                                        ; implicit-def: $vgpr8
.LBB86_891:
	s_delay_alu instid0(SALU_CYCLE_1)
	s_and_not1_b32 vcc_lo, exec_lo, s1
	s_cbranch_vccnz .LBB86_893
; %bb.892:
	s_wait_loadcnt 0x0
	global_load_b32 v8, v[0:1], off
.LBB86_893:
	s_mov_b32 s1, 0
.LBB86_894:
	s_delay_alu instid0(SALU_CYCLE_1)
	s_and_not1_b32 vcc_lo, exec_lo, s1
	s_cbranch_vccnz .LBB86_896
; %bb.895:
	s_wait_loadcnt 0x0
	global_load_i16 v8, v[0:1], off
.LBB86_896:
	s_mov_b32 s1, 0
.LBB86_897:
	s_delay_alu instid0(SALU_CYCLE_1)
	s_and_not1_b32 vcc_lo, exec_lo, s1
	s_cbranch_vccnz .LBB86_903
; %bb.898:
	s_cmp_gt_i32 s0, 0
	s_mov_b32 s0, 0
	s_cbranch_scc0 .LBB86_900
; %bb.899:
	s_wait_loadcnt 0x0
	global_load_i8 v8, v[0:1], off
	s_branch .LBB86_901
.LBB86_900:
	s_mov_b32 s0, -1
                                        ; implicit-def: $vgpr8
.LBB86_901:
	s_delay_alu instid0(SALU_CYCLE_1)
	s_and_not1_b32 vcc_lo, exec_lo, s0
	s_cbranch_vccnz .LBB86_903
; %bb.902:
	s_wait_loadcnt 0x0
	global_load_u8 v8, v[0:1], off
.LBB86_903:
	s_mov_b32 s27, -1
.LBB86_904:
	s_delay_alu instid0(SALU_CYCLE_1)
	s_and_not1_b32 vcc_lo, exec_lo, s27
	s_cbranch_vccnz .LBB86_912
; %bb.905:
	s_wait_xcnt 0x0
	v_mul_lo_u32 v0, s22, v22
	s_and_b32 s0, s34, 0xff
	s_delay_alu instid0(SALU_CYCLE_1) | instskip(NEXT) | instid1(VALU_DEP_1)
	s_cmp_lt_i32 s0, 11
	v_ashrrev_i32_e32 v1, 31, v0
	s_delay_alu instid0(VALU_DEP_1)
	v_add_nc_u64_e32 v[2:3], s[8:9], v[0:1]
	s_cbranch_scc1 .LBB86_913
; %bb.906:
	s_and_b32 s1, 0xffff, s0
	s_delay_alu instid0(SALU_CYCLE_1)
	s_cmp_gt_i32 s1, 25
	s_cbranch_scc0 .LBB86_914
; %bb.907:
	s_cmp_gt_i32 s1, 28
	s_cbranch_scc0 .LBB86_915
; %bb.908:
	s_cmp_gt_i32 s1, 43
	s_cbranch_scc0 .LBB86_916
; %bb.909:
	s_cmp_gt_i32 s1, 45
	s_cbranch_scc0 .LBB86_917
; %bb.910:
	s_cmp_eq_u32 s1, 46
	s_mov_b32 s36, 0
	s_cbranch_scc0 .LBB86_919
; %bb.911:
	global_load_b32 v0, v[2:3], off
	s_mov_b32 s27, -1
	s_mov_b32 s68, 0
	s_wait_loadcnt 0x0
	v_lshlrev_b32_e32 v0, 16, v0
	s_delay_alu instid0(VALU_DEP_1)
	v_cvt_i32_f32_e32 v0, v0
	s_branch .LBB86_921
.LBB86_912:
	s_mov_b32 s0, 0
	s_mov_b32 s1, s54
	;; [unrolled: 1-line block ×9, first 2 shown]
	s_branch .LBB86_1297
.LBB86_913:
	s_mov_b32 s1, -1
	s_mov_b32 s27, 0
	s_mov_b32 s68, s63
                                        ; implicit-def: $vgpr0
	s_branch .LBB86_982
.LBB86_914:
	s_mov_b32 s36, -1
	s_mov_b32 s27, 0
	s_mov_b32 s68, s63
                                        ; implicit-def: $vgpr0
	s_branch .LBB86_948
.LBB86_915:
	s_mov_b32 s36, -1
	s_mov_b32 s27, 0
	s_mov_b32 s68, s63
                                        ; implicit-def: $vgpr0
	s_branch .LBB86_931
.LBB86_916:
	s_mov_b32 s36, -1
	s_mov_b32 s27, 0
	s_mov_b32 s68, s63
                                        ; implicit-def: $vgpr0
	s_branch .LBB86_926
.LBB86_917:
	s_mov_b32 s36, -1
	s_mov_b32 s27, 0
	s_mov_b32 s68, s63
	s_branch .LBB86_920
.LBB86_918:
	s_mov_b32 s39, -1
	s_mov_b32 s27, 0
	s_mov_b32 s38, 0
	s_branch .LBB86_1854
.LBB86_919:
	s_mov_b32 s68, -1
	s_mov_b32 s27, 0
.LBB86_920:
                                        ; implicit-def: $vgpr0
.LBB86_921:
	s_and_b32 vcc_lo, exec_lo, s36
	s_cbranch_vccz .LBB86_925
; %bb.922:
	s_cmp_eq_u32 s1, 44
	s_cbranch_scc0 .LBB86_924
; %bb.923:
	global_load_u8 v0, v[2:3], off
	s_mov_b32 s68, 0
	s_mov_b32 s27, -1
	s_wait_loadcnt 0x0
	v_lshlrev_b32_e32 v1, 23, v0
	v_cmp_ne_u32_e32 vcc_lo, 0, v0
	s_delay_alu instid0(VALU_DEP_2) | instskip(NEXT) | instid1(VALU_DEP_1)
	v_cvt_i32_f32_e32 v1, v1
	v_cndmask_b32_e32 v0, 0, v1, vcc_lo
	s_branch .LBB86_925
.LBB86_924:
	s_mov_b32 s68, -1
                                        ; implicit-def: $vgpr0
.LBB86_925:
	s_mov_b32 s36, 0
.LBB86_926:
	s_delay_alu instid0(SALU_CYCLE_1)
	s_and_b32 vcc_lo, exec_lo, s36
	s_cbranch_vccz .LBB86_930
; %bb.927:
	s_cmp_eq_u32 s1, 29
	s_cbranch_scc0 .LBB86_929
; %bb.928:
	global_load_b32 v0, v[2:3], off
	s_mov_b32 s27, -1
	s_mov_b32 s68, 0
	s_branch .LBB86_930
.LBB86_929:
	s_mov_b32 s68, -1
                                        ; implicit-def: $vgpr0
.LBB86_930:
	s_mov_b32 s36, 0
.LBB86_931:
	s_delay_alu instid0(SALU_CYCLE_1)
	s_and_b32 vcc_lo, exec_lo, s36
	s_cbranch_vccz .LBB86_947
; %bb.932:
	s_cmp_lt_i32 s1, 27
	s_cbranch_scc1 .LBB86_935
; %bb.933:
	s_cmp_gt_i32 s1, 27
	s_cbranch_scc0 .LBB86_936
; %bb.934:
	s_wait_loadcnt 0x0
	global_load_b32 v0, v[2:3], off
	s_mov_b32 s27, 0
	s_branch .LBB86_937
.LBB86_935:
	s_mov_b32 s27, -1
                                        ; implicit-def: $vgpr0
	s_branch .LBB86_940
.LBB86_936:
	s_mov_b32 s27, -1
                                        ; implicit-def: $vgpr0
.LBB86_937:
	s_delay_alu instid0(SALU_CYCLE_1)
	s_and_not1_b32 vcc_lo, exec_lo, s27
	s_cbranch_vccnz .LBB86_939
; %bb.938:
	s_wait_loadcnt 0x0
	global_load_u16 v0, v[2:3], off
.LBB86_939:
	s_mov_b32 s27, 0
.LBB86_940:
	s_delay_alu instid0(SALU_CYCLE_1)
	s_and_not1_b32 vcc_lo, exec_lo, s27
	s_cbranch_vccnz .LBB86_946
; %bb.941:
	global_load_u8 v1, v[2:3], off
	s_mov_b32 s36, 0
	s_mov_b32 s27, exec_lo
	s_wait_loadcnt 0x0
	v_cmpx_lt_i16_e32 0x7f, v1
	s_xor_b32 s27, exec_lo, s27
	s_cbranch_execz .LBB86_958
; %bb.942:
	v_cmp_ne_u16_e32 vcc_lo, 0x80, v1
	s_and_b32 s36, vcc_lo, exec_lo
	s_and_not1_saveexec_b32 s27, s27
	s_cbranch_execnz .LBB86_959
.LBB86_943:
	s_or_b32 exec_lo, exec_lo, s27
	v_mov_b32_e32 v0, 0
	s_and_saveexec_b32 s27, s36
	s_cbranch_execz .LBB86_945
.LBB86_944:
	v_and_b32_e32 v0, 0xffff, v1
	s_delay_alu instid0(VALU_DEP_1) | instskip(SKIP_1) | instid1(VALU_DEP_2)
	v_and_b32_e32 v4, 7, v0
	v_bfe_u32 v9, v0, 3, 4
	v_clz_i32_u32_e32 v5, v4
	s_delay_alu instid0(VALU_DEP_2) | instskip(NEXT) | instid1(VALU_DEP_2)
	v_cmp_eq_u32_e32 vcc_lo, 0, v9
	v_min_u32_e32 v5, 32, v5
	s_delay_alu instid0(VALU_DEP_1) | instskip(NEXT) | instid1(VALU_DEP_1)
	v_subrev_nc_u32_e32 v6, 28, v5
	v_dual_lshlrev_b32 v0, v6, v0 :: v_dual_sub_nc_u32 v5, 29, v5
	s_delay_alu instid0(VALU_DEP_1) | instskip(NEXT) | instid1(VALU_DEP_1)
	v_dual_lshlrev_b32 v1, 24, v1 :: v_dual_bitop2_b32 v0, 7, v0 bitop3:0x40
	v_dual_cndmask_b32 v0, v4, v0 :: v_dual_cndmask_b32 v5, v9, v5
	s_delay_alu instid0(VALU_DEP_2) | instskip(NEXT) | instid1(VALU_DEP_2)
	v_and_b32_e32 v1, 0x80000000, v1
	v_lshlrev_b32_e32 v0, 20, v0
	s_delay_alu instid0(VALU_DEP_3) | instskip(NEXT) | instid1(VALU_DEP_1)
	v_lshl_add_u32 v4, v5, 23, 0x3b800000
	v_or3_b32 v0, v1, v4, v0
	s_delay_alu instid0(VALU_DEP_1)
	v_cvt_i32_f32_e32 v0, v0
.LBB86_945:
	s_or_b32 exec_lo, exec_lo, s27
.LBB86_946:
	s_mov_b32 s27, -1
.LBB86_947:
	s_mov_b32 s36, 0
.LBB86_948:
	s_delay_alu instid0(SALU_CYCLE_1)
	s_and_b32 vcc_lo, exec_lo, s36
	s_cbranch_vccz .LBB86_981
; %bb.949:
	s_cmp_gt_i32 s1, 22
	s_cbranch_scc0 .LBB86_957
; %bb.950:
	s_cmp_lt_i32 s1, 24
	s_cbranch_scc1 .LBB86_960
; %bb.951:
	s_cmp_gt_i32 s1, 24
	s_cbranch_scc0 .LBB86_961
; %bb.952:
	global_load_u8 v1, v[2:3], off
	s_mov_b32 s36, 0
	s_mov_b32 s27, exec_lo
	s_wait_loadcnt 0x0
	v_cmpx_lt_i16_e32 0x7f, v1
	s_xor_b32 s27, exec_lo, s27
	s_cbranch_execz .LBB86_973
; %bb.953:
	v_cmp_ne_u16_e32 vcc_lo, 0x80, v1
	s_and_b32 s36, vcc_lo, exec_lo
	s_and_not1_saveexec_b32 s27, s27
	s_cbranch_execnz .LBB86_974
.LBB86_954:
	s_or_b32 exec_lo, exec_lo, s27
	v_mov_b32_e32 v0, 0
	s_and_saveexec_b32 s27, s36
	s_cbranch_execz .LBB86_956
.LBB86_955:
	v_and_b32_e32 v0, 0xffff, v1
	s_delay_alu instid0(VALU_DEP_1) | instskip(SKIP_1) | instid1(VALU_DEP_2)
	v_and_b32_e32 v4, 3, v0
	v_bfe_u32 v9, v0, 2, 5
	v_clz_i32_u32_e32 v5, v4
	s_delay_alu instid0(VALU_DEP_2) | instskip(NEXT) | instid1(VALU_DEP_2)
	v_cmp_eq_u32_e32 vcc_lo, 0, v9
	v_min_u32_e32 v5, 32, v5
	s_delay_alu instid0(VALU_DEP_1) | instskip(NEXT) | instid1(VALU_DEP_1)
	v_subrev_nc_u32_e32 v6, 29, v5
	v_dual_lshlrev_b32 v0, v6, v0 :: v_dual_sub_nc_u32 v5, 30, v5
	s_delay_alu instid0(VALU_DEP_1) | instskip(NEXT) | instid1(VALU_DEP_1)
	v_dual_lshlrev_b32 v1, 24, v1 :: v_dual_bitop2_b32 v0, 3, v0 bitop3:0x40
	v_dual_cndmask_b32 v0, v4, v0 :: v_dual_cndmask_b32 v5, v9, v5
	s_delay_alu instid0(VALU_DEP_2) | instskip(NEXT) | instid1(VALU_DEP_2)
	v_and_b32_e32 v1, 0x80000000, v1
	v_lshlrev_b32_e32 v0, 21, v0
	s_delay_alu instid0(VALU_DEP_3) | instskip(NEXT) | instid1(VALU_DEP_1)
	v_lshl_add_u32 v4, v5, 23, 0x37800000
	v_or3_b32 v0, v1, v4, v0
	s_delay_alu instid0(VALU_DEP_1)
	v_cvt_i32_f32_e32 v0, v0
.LBB86_956:
	s_or_b32 exec_lo, exec_lo, s27
	s_mov_b32 s27, 0
	s_branch .LBB86_962
.LBB86_957:
	s_mov_b32 s36, -1
                                        ; implicit-def: $vgpr0
	s_branch .LBB86_968
.LBB86_958:
	s_and_not1_saveexec_b32 s27, s27
	s_cbranch_execz .LBB86_943
.LBB86_959:
	v_cmp_ne_u16_e32 vcc_lo, 0, v1
	s_and_not1_b32 s36, s36, exec_lo
	s_and_b32 s37, vcc_lo, exec_lo
	s_delay_alu instid0(SALU_CYCLE_1)
	s_or_b32 s36, s36, s37
	s_or_b32 exec_lo, exec_lo, s27
	v_mov_b32_e32 v0, 0
	s_and_saveexec_b32 s27, s36
	s_cbranch_execnz .LBB86_944
	s_branch .LBB86_945
.LBB86_960:
	s_mov_b32 s27, -1
                                        ; implicit-def: $vgpr0
	s_branch .LBB86_965
.LBB86_961:
	s_mov_b32 s27, -1
                                        ; implicit-def: $vgpr0
.LBB86_962:
	s_delay_alu instid0(SALU_CYCLE_1)
	s_and_b32 vcc_lo, exec_lo, s27
	s_cbranch_vccz .LBB86_964
; %bb.963:
	s_wait_loadcnt 0x0
	global_load_u8 v0, v[2:3], off
	s_wait_loadcnt 0x0
	v_lshlrev_b32_e32 v0, 24, v0
	s_delay_alu instid0(VALU_DEP_1) | instskip(NEXT) | instid1(VALU_DEP_1)
	v_and_b32_e32 v1, 0x7f000000, v0
	v_clz_i32_u32_e32 v4, v1
	v_cmp_ne_u32_e32 vcc_lo, 0, v1
	v_add_nc_u32_e32 v6, 0x1000000, v1
	s_delay_alu instid0(VALU_DEP_3) | instskip(NEXT) | instid1(VALU_DEP_1)
	v_min_u32_e32 v4, 32, v4
	v_sub_nc_u32_e64 v4, v4, 4 clamp
	s_delay_alu instid0(VALU_DEP_1) | instskip(NEXT) | instid1(VALU_DEP_1)
	v_dual_lshlrev_b32 v5, v4, v1 :: v_dual_lshlrev_b32 v4, 23, v4
	v_lshrrev_b32_e32 v5, 4, v5
	s_delay_alu instid0(VALU_DEP_1) | instskip(NEXT) | instid1(VALU_DEP_1)
	v_dual_sub_nc_u32 v4, v5, v4 :: v_dual_ashrrev_i32 v5, 8, v6
	v_add_nc_u32_e32 v4, 0x3c000000, v4
	s_delay_alu instid0(VALU_DEP_1) | instskip(NEXT) | instid1(VALU_DEP_1)
	v_and_or_b32 v4, 0x7f800000, v5, v4
	v_cndmask_b32_e32 v1, 0, v4, vcc_lo
	s_delay_alu instid0(VALU_DEP_1) | instskip(NEXT) | instid1(VALU_DEP_1)
	v_and_or_b32 v0, 0x80000000, v0, v1
	v_cvt_i32_f32_e32 v0, v0
.LBB86_964:
	s_mov_b32 s27, 0
.LBB86_965:
	s_delay_alu instid0(SALU_CYCLE_1)
	s_and_not1_b32 vcc_lo, exec_lo, s27
	s_cbranch_vccnz .LBB86_967
; %bb.966:
	s_wait_loadcnt 0x0
	global_load_u8 v0, v[2:3], off
	s_wait_loadcnt 0x0
	v_lshlrev_b32_e32 v1, 25, v0
	v_lshlrev_b16 v0, 8, v0
	s_delay_alu instid0(VALU_DEP_1) | instskip(SKIP_1) | instid1(VALU_DEP_2)
	v_and_or_b32 v5, 0x7f00, v0, 0.5
	v_bfe_i32 v0, v0, 0, 16
	v_add_f32_e32 v5, -0.5, v5
	v_lshrrev_b32_e32 v4, 4, v1
	v_cmp_gt_u32_e32 vcc_lo, 0x8000000, v1
	s_delay_alu instid0(VALU_DEP_2) | instskip(NEXT) | instid1(VALU_DEP_1)
	v_or_b32_e32 v4, 0x70000000, v4
	v_mul_f32_e32 v4, 0x7800000, v4
	s_delay_alu instid0(VALU_DEP_1) | instskip(NEXT) | instid1(VALU_DEP_1)
	v_cndmask_b32_e32 v1, v4, v5, vcc_lo
	v_and_or_b32 v0, 0x80000000, v0, v1
	s_delay_alu instid0(VALU_DEP_1)
	v_cvt_i32_f32_e32 v0, v0
.LBB86_967:
	s_mov_b32 s36, 0
	s_mov_b32 s27, -1
.LBB86_968:
	s_and_not1_b32 vcc_lo, exec_lo, s36
	s_cbranch_vccnz .LBB86_981
; %bb.969:
	s_cmp_gt_i32 s1, 14
	s_cbranch_scc0 .LBB86_972
; %bb.970:
	s_cmp_eq_u32 s1, 15
	s_cbranch_scc0 .LBB86_975
; %bb.971:
	s_wait_loadcnt 0x0
	global_load_u16 v0, v[2:3], off
	s_mov_b32 s27, -1
	s_mov_b32 s68, 0
	s_wait_loadcnt 0x0
	v_lshlrev_b32_e32 v0, 16, v0
	s_delay_alu instid0(VALU_DEP_1)
	v_cvt_i32_f32_e32 v0, v0
	s_branch .LBB86_976
.LBB86_972:
	s_mov_b32 s36, -1
                                        ; implicit-def: $vgpr0
	s_branch .LBB86_977
.LBB86_973:
	s_and_not1_saveexec_b32 s27, s27
	s_cbranch_execz .LBB86_954
.LBB86_974:
	v_cmp_ne_u16_e32 vcc_lo, 0, v1
	s_and_not1_b32 s36, s36, exec_lo
	s_and_b32 s37, vcc_lo, exec_lo
	s_delay_alu instid0(SALU_CYCLE_1)
	s_or_b32 s36, s36, s37
	s_or_b32 exec_lo, exec_lo, s27
	v_mov_b32_e32 v0, 0
	s_and_saveexec_b32 s27, s36
	s_cbranch_execnz .LBB86_955
	s_branch .LBB86_956
.LBB86_975:
	s_mov_b32 s68, -1
                                        ; implicit-def: $vgpr0
.LBB86_976:
	s_mov_b32 s36, 0
.LBB86_977:
	s_delay_alu instid0(SALU_CYCLE_1)
	s_and_b32 vcc_lo, exec_lo, s36
	s_cbranch_vccz .LBB86_981
; %bb.978:
	s_cmp_eq_u32 s1, 11
	s_cbranch_scc0 .LBB86_980
; %bb.979:
	s_wait_loadcnt 0x0
	global_load_u8 v0, v[2:3], off
	s_mov_b32 s68, 0
	s_mov_b32 s27, -1
	s_wait_loadcnt 0x0
	v_cmp_ne_u16_e32 vcc_lo, 0, v0
	v_cndmask_b32_e64 v0, 0, 1, vcc_lo
	s_branch .LBB86_981
.LBB86_980:
	s_mov_b32 s68, -1
                                        ; implicit-def: $vgpr0
.LBB86_981:
	s_mov_b32 s1, 0
.LBB86_982:
	s_delay_alu instid0(SALU_CYCLE_1)
	s_and_b32 vcc_lo, exec_lo, s1
	s_cbranch_vccz .LBB86_1031
; %bb.983:
	s_and_b32 s0, 0xffff, s0
	s_delay_alu instid0(SALU_CYCLE_1)
	s_cmp_lt_i32 s0, 5
	s_cbranch_scc1 .LBB86_988
; %bb.984:
	s_cmp_lt_i32 s0, 8
	s_cbranch_scc1 .LBB86_989
; %bb.985:
	;; [unrolled: 3-line block ×3, first 2 shown]
	s_cmp_gt_i32 s0, 9
	s_cbranch_scc0 .LBB86_991
; %bb.987:
	s_wait_loadcnt 0x0
	global_load_b64 v[0:1], v[2:3], off
	s_mov_b32 s1, 0
	s_wait_loadcnt 0x0
	v_cvt_i32_f64_e32 v0, v[0:1]
	s_branch .LBB86_992
.LBB86_988:
	s_mov_b32 s1, -1
                                        ; implicit-def: $vgpr0
	s_branch .LBB86_1010
.LBB86_989:
	s_mov_b32 s1, -1
                                        ; implicit-def: $vgpr0
	s_branch .LBB86_998
.LBB86_990:
	s_mov_b32 s1, -1
                                        ; implicit-def: $vgpr0
	s_branch .LBB86_995
.LBB86_991:
	s_mov_b32 s1, -1
                                        ; implicit-def: $vgpr0
.LBB86_992:
	s_delay_alu instid0(SALU_CYCLE_1)
	s_and_not1_b32 vcc_lo, exec_lo, s1
	s_cbranch_vccnz .LBB86_994
; %bb.993:
	s_wait_loadcnt 0x0
	global_load_b32 v0, v[2:3], off
	s_wait_loadcnt 0x0
	v_cvt_i32_f32_e32 v0, v0
.LBB86_994:
	s_mov_b32 s1, 0
.LBB86_995:
	s_delay_alu instid0(SALU_CYCLE_1)
	s_and_not1_b32 vcc_lo, exec_lo, s1
	s_cbranch_vccnz .LBB86_997
; %bb.996:
	s_wait_loadcnt 0x0
	global_load_b32 v0, v[2:3], off
	s_wait_loadcnt 0x0
	v_cvt_f32_f16_e32 v0, v0
	s_delay_alu instid0(VALU_DEP_1)
	v_cvt_i32_f32_e32 v0, v0
.LBB86_997:
	s_mov_b32 s1, 0
.LBB86_998:
	s_delay_alu instid0(SALU_CYCLE_1)
	s_and_not1_b32 vcc_lo, exec_lo, s1
	s_cbranch_vccnz .LBB86_1009
; %bb.999:
	s_cmp_lt_i32 s0, 6
	s_cbranch_scc1 .LBB86_1002
; %bb.1000:
	s_cmp_gt_i32 s0, 6
	s_cbranch_scc0 .LBB86_1003
; %bb.1001:
	s_wait_loadcnt 0x0
	global_load_b64 v[0:1], v[2:3], off
	s_mov_b32 s1, 0
	s_wait_loadcnt 0x0
	v_cvt_i32_f64_e32 v0, v[0:1]
	s_branch .LBB86_1004
.LBB86_1002:
	s_mov_b32 s1, -1
                                        ; implicit-def: $vgpr0
	s_branch .LBB86_1007
.LBB86_1003:
	s_mov_b32 s1, -1
                                        ; implicit-def: $vgpr0
.LBB86_1004:
	s_delay_alu instid0(SALU_CYCLE_1)
	s_and_not1_b32 vcc_lo, exec_lo, s1
	s_cbranch_vccnz .LBB86_1006
; %bb.1005:
	s_wait_loadcnt 0x0
	global_load_b32 v0, v[2:3], off
	s_wait_loadcnt 0x0
	v_cvt_i32_f32_e32 v0, v0
.LBB86_1006:
	s_mov_b32 s1, 0
.LBB86_1007:
	s_delay_alu instid0(SALU_CYCLE_1)
	s_and_not1_b32 vcc_lo, exec_lo, s1
	s_cbranch_vccnz .LBB86_1009
; %bb.1008:
	s_wait_loadcnt 0x0
	global_load_u16 v0, v[2:3], off
	s_wait_loadcnt 0x0
	v_cvt_f32_f16_e32 v0, v0
	s_delay_alu instid0(VALU_DEP_1)
	v_cvt_i32_f32_e32 v0, v0
.LBB86_1009:
	s_mov_b32 s1, 0
.LBB86_1010:
	s_delay_alu instid0(SALU_CYCLE_1)
	s_and_not1_b32 vcc_lo, exec_lo, s1
	s_cbranch_vccnz .LBB86_1030
; %bb.1011:
	s_cmp_lt_i32 s0, 2
	s_cbranch_scc1 .LBB86_1015
; %bb.1012:
	s_cmp_lt_i32 s0, 3
	s_cbranch_scc1 .LBB86_1016
; %bb.1013:
	s_cmp_gt_i32 s0, 3
	s_cbranch_scc0 .LBB86_1017
; %bb.1014:
	s_wait_loadcnt 0x0
	global_load_b32 v0, v[2:3], off
	s_mov_b32 s1, 0
	s_branch .LBB86_1018
.LBB86_1015:
	s_mov_b32 s1, -1
                                        ; implicit-def: $vgpr0
	s_branch .LBB86_1024
.LBB86_1016:
	s_mov_b32 s1, -1
                                        ; implicit-def: $vgpr0
	s_branch .LBB86_1021
.LBB86_1017:
	s_mov_b32 s1, -1
                                        ; implicit-def: $vgpr0
.LBB86_1018:
	s_delay_alu instid0(SALU_CYCLE_1)
	s_and_not1_b32 vcc_lo, exec_lo, s1
	s_cbranch_vccnz .LBB86_1020
; %bb.1019:
	s_wait_loadcnt 0x0
	global_load_b32 v0, v[2:3], off
.LBB86_1020:
	s_mov_b32 s1, 0
.LBB86_1021:
	s_delay_alu instid0(SALU_CYCLE_1)
	s_and_not1_b32 vcc_lo, exec_lo, s1
	s_cbranch_vccnz .LBB86_1023
; %bb.1022:
	s_wait_loadcnt 0x0
	global_load_i16 v0, v[2:3], off
.LBB86_1023:
	s_mov_b32 s1, 0
.LBB86_1024:
	s_delay_alu instid0(SALU_CYCLE_1)
	s_and_not1_b32 vcc_lo, exec_lo, s1
	s_cbranch_vccnz .LBB86_1030
; %bb.1025:
	s_cmp_gt_i32 s0, 0
	s_mov_b32 s0, 0
	s_cbranch_scc0 .LBB86_1027
; %bb.1026:
	s_wait_loadcnt 0x0
	global_load_i8 v0, v[2:3], off
	s_branch .LBB86_1028
.LBB86_1027:
	s_mov_b32 s0, -1
                                        ; implicit-def: $vgpr0
.LBB86_1028:
	s_delay_alu instid0(SALU_CYCLE_1)
	s_and_not1_b32 vcc_lo, exec_lo, s0
	s_cbranch_vccnz .LBB86_1030
; %bb.1029:
	s_wait_loadcnt 0x0
	global_load_u8 v0, v[2:3], off
.LBB86_1030:
	s_mov_b32 s27, -1
.LBB86_1031:
	s_delay_alu instid0(SALU_CYCLE_1)
	s_and_not1_b32 vcc_lo, exec_lo, s27
	s_cbranch_vccnz .LBB86_1039
; %bb.1032:
	s_wait_xcnt 0x0
	v_mul_lo_u32 v2, s23, v22
	s_and_b32 s0, s15, 0xff
	s_delay_alu instid0(SALU_CYCLE_1) | instskip(NEXT) | instid1(VALU_DEP_1)
	s_cmp_lt_i32 s0, 11
	v_ashrrev_i32_e32 v3, 31, v2
	s_delay_alu instid0(VALU_DEP_1)
	v_add_nc_u64_e32 v[4:5], s[10:11], v[2:3]
	s_cbranch_scc1 .LBB86_1040
; %bb.1033:
	s_and_b32 s1, 0xffff, s0
	s_delay_alu instid0(SALU_CYCLE_1)
	s_cmp_gt_i32 s1, 25
	s_cbranch_scc0 .LBB86_1041
; %bb.1034:
	s_cmp_gt_i32 s1, 28
	s_cbranch_scc0 .LBB86_1042
; %bb.1035:
	;; [unrolled: 3-line block ×4, first 2 shown]
	s_cmp_eq_u32 s1, 46
	s_mov_b32 s36, 0
	s_cbranch_scc0 .LBB86_1046
; %bb.1038:
	global_load_b32 v1, v[4:5], off
	s_mov_b32 s27, -1
	s_mov_b32 s71, 0
	s_wait_loadcnt 0x0
	v_lshlrev_b32_e32 v1, 16, v1
	s_delay_alu instid0(VALU_DEP_1)
	v_cvt_i32_f32_e32 v2, v1
	s_branch .LBB86_1048
.LBB86_1039:
	s_mov_b32 s0, 0
	s_mov_b32 s1, s54
	;; [unrolled: 1-line block ×8, first 2 shown]
	s_branch .LBB86_1297
.LBB86_1040:
	s_mov_b32 s1, -1
	s_mov_b32 s27, 0
	s_mov_b32 s71, s62
                                        ; implicit-def: $vgpr2
	s_branch .LBB86_1109
.LBB86_1041:
	s_mov_b32 s36, -1
	s_mov_b32 s27, 0
	s_mov_b32 s71, s62
                                        ; implicit-def: $vgpr2
	s_branch .LBB86_1075
.LBB86_1042:
	s_mov_b32 s36, -1
	s_mov_b32 s27, 0
	s_mov_b32 s71, s62
                                        ; implicit-def: $vgpr2
	s_branch .LBB86_1058
.LBB86_1043:
	s_mov_b32 s36, -1
	s_mov_b32 s27, 0
	s_mov_b32 s71, s62
                                        ; implicit-def: $vgpr2
	s_branch .LBB86_1053
.LBB86_1044:
	s_mov_b32 s36, -1
	s_mov_b32 s27, 0
	s_mov_b32 s71, s62
	s_branch .LBB86_1047
.LBB86_1045:
	s_mov_b32 s39, -1
	s_mov_b32 s27, 0
	s_mov_b32 s38, 0
	s_branch .LBB86_1843
.LBB86_1046:
	s_mov_b32 s71, -1
	s_mov_b32 s27, 0
.LBB86_1047:
                                        ; implicit-def: $vgpr2
.LBB86_1048:
	s_and_b32 vcc_lo, exec_lo, s36
	s_cbranch_vccz .LBB86_1052
; %bb.1049:
	s_cmp_eq_u32 s1, 44
	s_cbranch_scc0 .LBB86_1051
; %bb.1050:
	global_load_u8 v1, v[4:5], off
	s_mov_b32 s71, 0
	s_mov_b32 s27, -1
	s_wait_loadcnt 0x0
	v_lshlrev_b32_e32 v2, 23, v1
	v_cmp_ne_u32_e32 vcc_lo, 0, v1
	s_delay_alu instid0(VALU_DEP_2) | instskip(NEXT) | instid1(VALU_DEP_1)
	v_cvt_i32_f32_e32 v2, v2
	v_cndmask_b32_e32 v2, 0, v2, vcc_lo
	s_branch .LBB86_1052
.LBB86_1051:
	s_mov_b32 s71, -1
                                        ; implicit-def: $vgpr2
.LBB86_1052:
	s_mov_b32 s36, 0
.LBB86_1053:
	s_delay_alu instid0(SALU_CYCLE_1)
	s_and_b32 vcc_lo, exec_lo, s36
	s_cbranch_vccz .LBB86_1057
; %bb.1054:
	s_cmp_eq_u32 s1, 29
	s_cbranch_scc0 .LBB86_1056
; %bb.1055:
	global_load_b32 v2, v[4:5], off
	s_mov_b32 s27, -1
	s_mov_b32 s71, 0
	s_branch .LBB86_1057
.LBB86_1056:
	s_mov_b32 s71, -1
                                        ; implicit-def: $vgpr2
.LBB86_1057:
	s_mov_b32 s36, 0
.LBB86_1058:
	s_delay_alu instid0(SALU_CYCLE_1)
	s_and_b32 vcc_lo, exec_lo, s36
	s_cbranch_vccz .LBB86_1074
; %bb.1059:
	s_cmp_lt_i32 s1, 27
	s_cbranch_scc1 .LBB86_1062
; %bb.1060:
	s_cmp_gt_i32 s1, 27
	s_cbranch_scc0 .LBB86_1063
; %bb.1061:
	s_wait_loadcnt 0x0
	global_load_b32 v2, v[4:5], off
	s_mov_b32 s27, 0
	s_branch .LBB86_1064
.LBB86_1062:
	s_mov_b32 s27, -1
                                        ; implicit-def: $vgpr2
	s_branch .LBB86_1067
.LBB86_1063:
	s_mov_b32 s27, -1
                                        ; implicit-def: $vgpr2
.LBB86_1064:
	s_delay_alu instid0(SALU_CYCLE_1)
	s_and_not1_b32 vcc_lo, exec_lo, s27
	s_cbranch_vccnz .LBB86_1066
; %bb.1065:
	s_wait_loadcnt 0x0
	global_load_u16 v2, v[4:5], off
.LBB86_1066:
	s_mov_b32 s27, 0
.LBB86_1067:
	s_delay_alu instid0(SALU_CYCLE_1)
	s_and_not1_b32 vcc_lo, exec_lo, s27
	s_cbranch_vccnz .LBB86_1073
; %bb.1068:
	global_load_u8 v1, v[4:5], off
	s_mov_b32 s36, 0
	s_mov_b32 s27, exec_lo
	s_wait_loadcnt 0x0
	v_cmpx_lt_i16_e32 0x7f, v1
	s_xor_b32 s27, exec_lo, s27
	s_cbranch_execz .LBB86_1085
; %bb.1069:
	v_cmp_ne_u16_e32 vcc_lo, 0x80, v1
	s_and_b32 s36, vcc_lo, exec_lo
	s_and_not1_saveexec_b32 s27, s27
	s_cbranch_execnz .LBB86_1086
.LBB86_1070:
	s_or_b32 exec_lo, exec_lo, s27
	v_mov_b32_e32 v2, 0
	s_and_saveexec_b32 s27, s36
	s_cbranch_execz .LBB86_1072
.LBB86_1071:
	v_and_b32_e32 v2, 0xffff, v1
	s_delay_alu instid0(VALU_DEP_1) | instskip(SKIP_1) | instid1(VALU_DEP_2)
	v_dual_lshlrev_b32 v1, 24, v1 :: v_dual_bitop2_b32 v3, 7, v2 bitop3:0x40
	v_bfe_u32 v10, v2, 3, 4
	v_and_b32_e32 v1, 0x80000000, v1
	s_delay_alu instid0(VALU_DEP_3) | instskip(NEXT) | instid1(VALU_DEP_3)
	v_clz_i32_u32_e32 v6, v3
	v_cmp_eq_u32_e32 vcc_lo, 0, v10
	s_delay_alu instid0(VALU_DEP_2) | instskip(NEXT) | instid1(VALU_DEP_1)
	v_min_u32_e32 v6, 32, v6
	v_subrev_nc_u32_e32 v9, 28, v6
	v_sub_nc_u32_e32 v6, 29, v6
	s_delay_alu instid0(VALU_DEP_2) | instskip(NEXT) | instid1(VALU_DEP_2)
	v_lshlrev_b32_e32 v2, v9, v2
	v_cndmask_b32_e32 v6, v10, v6, vcc_lo
	s_delay_alu instid0(VALU_DEP_2) | instskip(NEXT) | instid1(VALU_DEP_1)
	v_and_b32_e32 v2, 7, v2
	v_cndmask_b32_e32 v2, v3, v2, vcc_lo
	s_delay_alu instid0(VALU_DEP_3) | instskip(NEXT) | instid1(VALU_DEP_2)
	v_lshl_add_u32 v3, v6, 23, 0x3b800000
	v_lshlrev_b32_e32 v2, 20, v2
	s_delay_alu instid0(VALU_DEP_1) | instskip(NEXT) | instid1(VALU_DEP_1)
	v_or3_b32 v1, v1, v3, v2
	v_cvt_i32_f32_e32 v2, v1
.LBB86_1072:
	s_or_b32 exec_lo, exec_lo, s27
.LBB86_1073:
	s_mov_b32 s27, -1
.LBB86_1074:
	s_mov_b32 s36, 0
.LBB86_1075:
	s_delay_alu instid0(SALU_CYCLE_1)
	s_and_b32 vcc_lo, exec_lo, s36
	s_cbranch_vccz .LBB86_1108
; %bb.1076:
	s_cmp_gt_i32 s1, 22
	s_cbranch_scc0 .LBB86_1084
; %bb.1077:
	s_cmp_lt_i32 s1, 24
	s_cbranch_scc1 .LBB86_1087
; %bb.1078:
	s_cmp_gt_i32 s1, 24
	s_cbranch_scc0 .LBB86_1088
; %bb.1079:
	global_load_u8 v1, v[4:5], off
	s_mov_b32 s36, 0
	s_mov_b32 s27, exec_lo
	s_wait_loadcnt 0x0
	v_cmpx_lt_i16_e32 0x7f, v1
	s_xor_b32 s27, exec_lo, s27
	s_cbranch_execz .LBB86_1100
; %bb.1080:
	v_cmp_ne_u16_e32 vcc_lo, 0x80, v1
	s_and_b32 s36, vcc_lo, exec_lo
	s_and_not1_saveexec_b32 s27, s27
	s_cbranch_execnz .LBB86_1101
.LBB86_1081:
	s_or_b32 exec_lo, exec_lo, s27
	v_mov_b32_e32 v2, 0
	s_and_saveexec_b32 s27, s36
	s_cbranch_execz .LBB86_1083
.LBB86_1082:
	v_and_b32_e32 v2, 0xffff, v1
	s_delay_alu instid0(VALU_DEP_1) | instskip(SKIP_1) | instid1(VALU_DEP_2)
	v_dual_lshlrev_b32 v1, 24, v1 :: v_dual_bitop2_b32 v3, 3, v2 bitop3:0x40
	v_bfe_u32 v10, v2, 2, 5
	v_and_b32_e32 v1, 0x80000000, v1
	s_delay_alu instid0(VALU_DEP_3) | instskip(NEXT) | instid1(VALU_DEP_3)
	v_clz_i32_u32_e32 v6, v3
	v_cmp_eq_u32_e32 vcc_lo, 0, v10
	s_delay_alu instid0(VALU_DEP_2) | instskip(NEXT) | instid1(VALU_DEP_1)
	v_min_u32_e32 v6, 32, v6
	v_subrev_nc_u32_e32 v9, 29, v6
	v_sub_nc_u32_e32 v6, 30, v6
	s_delay_alu instid0(VALU_DEP_2) | instskip(NEXT) | instid1(VALU_DEP_2)
	v_lshlrev_b32_e32 v2, v9, v2
	v_cndmask_b32_e32 v6, v10, v6, vcc_lo
	s_delay_alu instid0(VALU_DEP_2) | instskip(NEXT) | instid1(VALU_DEP_1)
	v_and_b32_e32 v2, 3, v2
	v_cndmask_b32_e32 v2, v3, v2, vcc_lo
	s_delay_alu instid0(VALU_DEP_3) | instskip(NEXT) | instid1(VALU_DEP_2)
	v_lshl_add_u32 v3, v6, 23, 0x37800000
	v_lshlrev_b32_e32 v2, 21, v2
	s_delay_alu instid0(VALU_DEP_1) | instskip(NEXT) | instid1(VALU_DEP_1)
	v_or3_b32 v1, v1, v3, v2
	v_cvt_i32_f32_e32 v2, v1
.LBB86_1083:
	s_or_b32 exec_lo, exec_lo, s27
	s_mov_b32 s27, 0
	s_branch .LBB86_1089
.LBB86_1084:
	s_mov_b32 s36, -1
                                        ; implicit-def: $vgpr2
	s_branch .LBB86_1095
.LBB86_1085:
	s_and_not1_saveexec_b32 s27, s27
	s_cbranch_execz .LBB86_1070
.LBB86_1086:
	v_cmp_ne_u16_e32 vcc_lo, 0, v1
	s_and_not1_b32 s36, s36, exec_lo
	s_and_b32 s37, vcc_lo, exec_lo
	s_delay_alu instid0(SALU_CYCLE_1)
	s_or_b32 s36, s36, s37
	s_or_b32 exec_lo, exec_lo, s27
	v_mov_b32_e32 v2, 0
	s_and_saveexec_b32 s27, s36
	s_cbranch_execnz .LBB86_1071
	s_branch .LBB86_1072
.LBB86_1087:
	s_mov_b32 s27, -1
                                        ; implicit-def: $vgpr2
	s_branch .LBB86_1092
.LBB86_1088:
	s_mov_b32 s27, -1
                                        ; implicit-def: $vgpr2
.LBB86_1089:
	s_delay_alu instid0(SALU_CYCLE_1)
	s_and_b32 vcc_lo, exec_lo, s27
	s_cbranch_vccz .LBB86_1091
; %bb.1090:
	global_load_u8 v1, v[4:5], off
	s_wait_loadcnt 0x0
	v_lshlrev_b32_e32 v1, 24, v1
	s_delay_alu instid0(VALU_DEP_1) | instskip(NEXT) | instid1(VALU_DEP_1)
	v_and_b32_e32 v2, 0x7f000000, v1
	v_clz_i32_u32_e32 v3, v2
	v_cmp_ne_u32_e32 vcc_lo, 0, v2
	v_add_nc_u32_e32 v9, 0x1000000, v2
	s_delay_alu instid0(VALU_DEP_3) | instskip(NEXT) | instid1(VALU_DEP_1)
	v_min_u32_e32 v3, 32, v3
	v_sub_nc_u32_e64 v3, v3, 4 clamp
	s_delay_alu instid0(VALU_DEP_1) | instskip(NEXT) | instid1(VALU_DEP_1)
	v_dual_lshlrev_b32 v6, v3, v2 :: v_dual_lshlrev_b32 v3, 23, v3
	v_lshrrev_b32_e32 v6, 4, v6
	s_delay_alu instid0(VALU_DEP_1) | instskip(NEXT) | instid1(VALU_DEP_1)
	v_dual_sub_nc_u32 v3, v6, v3 :: v_dual_ashrrev_i32 v6, 8, v9
	v_add_nc_u32_e32 v3, 0x3c000000, v3
	s_delay_alu instid0(VALU_DEP_1) | instskip(NEXT) | instid1(VALU_DEP_1)
	v_and_or_b32 v3, 0x7f800000, v6, v3
	v_cndmask_b32_e32 v2, 0, v3, vcc_lo
	s_delay_alu instid0(VALU_DEP_1) | instskip(NEXT) | instid1(VALU_DEP_1)
	v_and_or_b32 v1, 0x80000000, v1, v2
	v_cvt_i32_f32_e32 v2, v1
.LBB86_1091:
	s_mov_b32 s27, 0
.LBB86_1092:
	s_delay_alu instid0(SALU_CYCLE_1)
	s_and_not1_b32 vcc_lo, exec_lo, s27
	s_cbranch_vccnz .LBB86_1094
; %bb.1093:
	global_load_u8 v1, v[4:5], off
	s_wait_loadcnt 0x0
	v_lshlrev_b32_e32 v2, 25, v1
	v_lshlrev_b16 v1, 8, v1
	s_delay_alu instid0(VALU_DEP_1) | instskip(SKIP_1) | instid1(VALU_DEP_2)
	v_and_or_b32 v6, 0x7f00, v1, 0.5
	v_bfe_i32 v1, v1, 0, 16
	v_add_f32_e32 v6, -0.5, v6
	v_lshrrev_b32_e32 v3, 4, v2
	v_cmp_gt_u32_e32 vcc_lo, 0x8000000, v2
	s_delay_alu instid0(VALU_DEP_2) | instskip(NEXT) | instid1(VALU_DEP_1)
	v_or_b32_e32 v3, 0x70000000, v3
	v_mul_f32_e32 v3, 0x7800000, v3
	s_delay_alu instid0(VALU_DEP_1) | instskip(NEXT) | instid1(VALU_DEP_1)
	v_cndmask_b32_e32 v2, v3, v6, vcc_lo
	v_and_or_b32 v1, 0x80000000, v1, v2
	s_delay_alu instid0(VALU_DEP_1)
	v_cvt_i32_f32_e32 v2, v1
.LBB86_1094:
	s_mov_b32 s36, 0
	s_mov_b32 s27, -1
.LBB86_1095:
	s_and_not1_b32 vcc_lo, exec_lo, s36
	s_cbranch_vccnz .LBB86_1108
; %bb.1096:
	s_cmp_gt_i32 s1, 14
	s_cbranch_scc0 .LBB86_1099
; %bb.1097:
	s_cmp_eq_u32 s1, 15
	s_cbranch_scc0 .LBB86_1102
; %bb.1098:
	global_load_u16 v1, v[4:5], off
	s_mov_b32 s27, -1
	s_mov_b32 s71, 0
	s_wait_loadcnt 0x0
	v_lshlrev_b32_e32 v1, 16, v1
	s_delay_alu instid0(VALU_DEP_1)
	v_cvt_i32_f32_e32 v2, v1
	s_branch .LBB86_1103
.LBB86_1099:
	s_mov_b32 s36, -1
                                        ; implicit-def: $vgpr2
	s_branch .LBB86_1104
.LBB86_1100:
	s_and_not1_saveexec_b32 s27, s27
	s_cbranch_execz .LBB86_1081
.LBB86_1101:
	v_cmp_ne_u16_e32 vcc_lo, 0, v1
	s_and_not1_b32 s36, s36, exec_lo
	s_and_b32 s37, vcc_lo, exec_lo
	s_delay_alu instid0(SALU_CYCLE_1)
	s_or_b32 s36, s36, s37
	s_or_b32 exec_lo, exec_lo, s27
	v_mov_b32_e32 v2, 0
	s_and_saveexec_b32 s27, s36
	s_cbranch_execnz .LBB86_1082
	s_branch .LBB86_1083
.LBB86_1102:
	s_mov_b32 s71, -1
                                        ; implicit-def: $vgpr2
.LBB86_1103:
	s_mov_b32 s36, 0
.LBB86_1104:
	s_delay_alu instid0(SALU_CYCLE_1)
	s_and_b32 vcc_lo, exec_lo, s36
	s_cbranch_vccz .LBB86_1108
; %bb.1105:
	s_cmp_eq_u32 s1, 11
	s_cbranch_scc0 .LBB86_1107
; %bb.1106:
	global_load_u8 v1, v[4:5], off
	s_mov_b32 s71, 0
	s_mov_b32 s27, -1
	s_wait_loadcnt 0x0
	v_cmp_ne_u16_e32 vcc_lo, 0, v1
	v_cndmask_b32_e64 v2, 0, 1, vcc_lo
	s_branch .LBB86_1108
.LBB86_1107:
	s_mov_b32 s71, -1
                                        ; implicit-def: $vgpr2
.LBB86_1108:
	s_mov_b32 s1, 0
.LBB86_1109:
	s_delay_alu instid0(SALU_CYCLE_1)
	s_and_b32 vcc_lo, exec_lo, s1
	s_cbranch_vccz .LBB86_1158
; %bb.1110:
	s_and_b32 s0, 0xffff, s0
	s_delay_alu instid0(SALU_CYCLE_1)
	s_cmp_lt_i32 s0, 5
	s_cbranch_scc1 .LBB86_1115
; %bb.1111:
	s_cmp_lt_i32 s0, 8
	s_cbranch_scc1 .LBB86_1116
; %bb.1112:
	;; [unrolled: 3-line block ×3, first 2 shown]
	s_cmp_gt_i32 s0, 9
	s_cbranch_scc0 .LBB86_1118
; %bb.1114:
	s_wait_loadcnt 0x0
	global_load_b64 v[2:3], v[4:5], off
	s_mov_b32 s1, 0
	s_wait_loadcnt 0x0
	v_cvt_i32_f64_e32 v2, v[2:3]
	s_branch .LBB86_1119
.LBB86_1115:
	s_mov_b32 s1, -1
                                        ; implicit-def: $vgpr2
	s_branch .LBB86_1137
.LBB86_1116:
	s_mov_b32 s1, -1
                                        ; implicit-def: $vgpr2
	s_branch .LBB86_1125
.LBB86_1117:
	s_mov_b32 s1, -1
                                        ; implicit-def: $vgpr2
	s_branch .LBB86_1122
.LBB86_1118:
	s_mov_b32 s1, -1
                                        ; implicit-def: $vgpr2
.LBB86_1119:
	s_delay_alu instid0(SALU_CYCLE_1)
	s_and_not1_b32 vcc_lo, exec_lo, s1
	s_cbranch_vccnz .LBB86_1121
; %bb.1120:
	global_load_b32 v1, v[4:5], off
	s_wait_loadcnt 0x0
	v_cvt_i32_f32_e32 v2, v1
.LBB86_1121:
	s_mov_b32 s1, 0
.LBB86_1122:
	s_delay_alu instid0(SALU_CYCLE_1)
	s_and_not1_b32 vcc_lo, exec_lo, s1
	s_cbranch_vccnz .LBB86_1124
; %bb.1123:
	global_load_b32 v1, v[4:5], off
	s_wait_loadcnt 0x0
	v_cvt_f32_f16_e32 v1, v1
	s_delay_alu instid0(VALU_DEP_1)
	v_cvt_i32_f32_e32 v2, v1
.LBB86_1124:
	s_mov_b32 s1, 0
.LBB86_1125:
	s_delay_alu instid0(SALU_CYCLE_1)
	s_and_not1_b32 vcc_lo, exec_lo, s1
	s_cbranch_vccnz .LBB86_1136
; %bb.1126:
	s_cmp_lt_i32 s0, 6
	s_cbranch_scc1 .LBB86_1129
; %bb.1127:
	s_cmp_gt_i32 s0, 6
	s_cbranch_scc0 .LBB86_1130
; %bb.1128:
	s_wait_loadcnt 0x0
	global_load_b64 v[2:3], v[4:5], off
	s_mov_b32 s1, 0
	s_wait_loadcnt 0x0
	v_cvt_i32_f64_e32 v2, v[2:3]
	s_branch .LBB86_1131
.LBB86_1129:
	s_mov_b32 s1, -1
                                        ; implicit-def: $vgpr2
	s_branch .LBB86_1134
.LBB86_1130:
	s_mov_b32 s1, -1
                                        ; implicit-def: $vgpr2
.LBB86_1131:
	s_delay_alu instid0(SALU_CYCLE_1)
	s_and_not1_b32 vcc_lo, exec_lo, s1
	s_cbranch_vccnz .LBB86_1133
; %bb.1132:
	global_load_b32 v1, v[4:5], off
	s_wait_loadcnt 0x0
	v_cvt_i32_f32_e32 v2, v1
.LBB86_1133:
	s_mov_b32 s1, 0
.LBB86_1134:
	s_delay_alu instid0(SALU_CYCLE_1)
	s_and_not1_b32 vcc_lo, exec_lo, s1
	s_cbranch_vccnz .LBB86_1136
; %bb.1135:
	global_load_u16 v1, v[4:5], off
	s_wait_loadcnt 0x0
	v_cvt_f32_f16_e32 v1, v1
	s_delay_alu instid0(VALU_DEP_1)
	v_cvt_i32_f32_e32 v2, v1
.LBB86_1136:
	s_mov_b32 s1, 0
.LBB86_1137:
	s_delay_alu instid0(SALU_CYCLE_1)
	s_and_not1_b32 vcc_lo, exec_lo, s1
	s_cbranch_vccnz .LBB86_1157
; %bb.1138:
	s_cmp_lt_i32 s0, 2
	s_cbranch_scc1 .LBB86_1142
; %bb.1139:
	s_cmp_lt_i32 s0, 3
	s_cbranch_scc1 .LBB86_1143
; %bb.1140:
	s_cmp_gt_i32 s0, 3
	s_cbranch_scc0 .LBB86_1144
; %bb.1141:
	s_wait_loadcnt 0x0
	global_load_b32 v2, v[4:5], off
	s_mov_b32 s1, 0
	s_branch .LBB86_1145
.LBB86_1142:
	s_mov_b32 s1, -1
                                        ; implicit-def: $vgpr2
	s_branch .LBB86_1151
.LBB86_1143:
	s_mov_b32 s1, -1
                                        ; implicit-def: $vgpr2
	s_branch .LBB86_1148
.LBB86_1144:
	s_mov_b32 s1, -1
                                        ; implicit-def: $vgpr2
.LBB86_1145:
	s_delay_alu instid0(SALU_CYCLE_1)
	s_and_not1_b32 vcc_lo, exec_lo, s1
	s_cbranch_vccnz .LBB86_1147
; %bb.1146:
	s_wait_loadcnt 0x0
	global_load_b32 v2, v[4:5], off
.LBB86_1147:
	s_mov_b32 s1, 0
.LBB86_1148:
	s_delay_alu instid0(SALU_CYCLE_1)
	s_and_not1_b32 vcc_lo, exec_lo, s1
	s_cbranch_vccnz .LBB86_1150
; %bb.1149:
	s_wait_loadcnt 0x0
	global_load_i16 v2, v[4:5], off
.LBB86_1150:
	s_mov_b32 s1, 0
.LBB86_1151:
	s_delay_alu instid0(SALU_CYCLE_1)
	s_and_not1_b32 vcc_lo, exec_lo, s1
	s_cbranch_vccnz .LBB86_1157
; %bb.1152:
	s_cmp_gt_i32 s0, 0
	s_mov_b32 s0, 0
	s_cbranch_scc0 .LBB86_1154
; %bb.1153:
	s_wait_loadcnt 0x0
	global_load_i8 v2, v[4:5], off
	s_branch .LBB86_1155
.LBB86_1154:
	s_mov_b32 s0, -1
                                        ; implicit-def: $vgpr2
.LBB86_1155:
	s_delay_alu instid0(SALU_CYCLE_1)
	s_and_not1_b32 vcc_lo, exec_lo, s0
	s_cbranch_vccnz .LBB86_1157
; %bb.1156:
	s_wait_loadcnt 0x0
	global_load_u8 v2, v[4:5], off
.LBB86_1157:
	s_mov_b32 s27, -1
.LBB86_1158:
	s_delay_alu instid0(SALU_CYCLE_1)
	s_and_not1_b32 vcc_lo, exec_lo, s27
	s_cbranch_vccnz .LBB86_1166
; %bb.1159:
	s_wait_xcnt 0x0
	v_mul_lo_u32 v4, s28, v22
	s_and_b32 s0, s52, 0xff
	s_delay_alu instid0(SALU_CYCLE_1) | instskip(NEXT) | instid1(VALU_DEP_1)
	s_cmp_lt_i32 s0, 11
	v_ashrrev_i32_e32 v5, 31, v4
	s_delay_alu instid0(VALU_DEP_1)
	v_add_nc_u64_e32 v[4:5], s[30:31], v[4:5]
	s_cbranch_scc1 .LBB86_1167
; %bb.1160:
	s_and_b32 s1, 0xffff, s0
	s_delay_alu instid0(SALU_CYCLE_1)
	s_cmp_gt_i32 s1, 25
	s_cbranch_scc0 .LBB86_1168
; %bb.1161:
	s_cmp_gt_i32 s1, 28
	s_cbranch_scc0 .LBB86_1169
; %bb.1162:
	;; [unrolled: 3-line block ×4, first 2 shown]
	s_cmp_eq_u32 s1, 46
	s_mov_b32 s36, 0
	s_cbranch_scc0 .LBB86_1173
; %bb.1165:
	global_load_b32 v1, v[4:5], off
	s_mov_b32 s27, -1
	s_mov_b32 s70, 0
	s_wait_loadcnt 0x0
	v_lshlrev_b32_e32 v1, 16, v1
	s_delay_alu instid0(VALU_DEP_1)
	v_cvt_i32_f32_e32 v6, v1
	s_branch .LBB86_1175
.LBB86_1166:
	s_mov_b32 s0, 0
	s_mov_b32 s1, s54
	;; [unrolled: 1-line block ×7, first 2 shown]
	s_branch .LBB86_1297
.LBB86_1167:
	s_mov_b32 s1, -1
	s_mov_b32 s27, 0
	s_mov_b32 s70, s61
                                        ; implicit-def: $vgpr6
	s_branch .LBB86_1236
.LBB86_1168:
	s_mov_b32 s36, -1
	s_mov_b32 s27, 0
	s_mov_b32 s70, s61
                                        ; implicit-def: $vgpr6
	s_branch .LBB86_1202
.LBB86_1169:
	s_mov_b32 s36, -1
	s_mov_b32 s27, 0
	s_mov_b32 s70, s61
                                        ; implicit-def: $vgpr6
	s_branch .LBB86_1185
.LBB86_1170:
	s_mov_b32 s36, -1
	s_mov_b32 s27, 0
	s_mov_b32 s70, s61
                                        ; implicit-def: $vgpr6
	s_branch .LBB86_1180
.LBB86_1171:
	s_mov_b32 s36, -1
	s_mov_b32 s27, 0
	s_mov_b32 s70, s61
	s_branch .LBB86_1174
.LBB86_1172:
	s_mov_b32 s39, -1
	s_mov_b32 s27, 0
	s_mov_b32 s38, 0
	s_branch .LBB86_1839
.LBB86_1173:
	s_mov_b32 s70, -1
	s_mov_b32 s27, 0
.LBB86_1174:
                                        ; implicit-def: $vgpr6
.LBB86_1175:
	s_and_b32 vcc_lo, exec_lo, s36
	s_cbranch_vccz .LBB86_1179
; %bb.1176:
	s_cmp_eq_u32 s1, 44
	s_cbranch_scc0 .LBB86_1178
; %bb.1177:
	global_load_u8 v1, v[4:5], off
	s_mov_b32 s70, 0
	s_mov_b32 s27, -1
	s_wait_loadcnt 0x0
	v_lshlrev_b32_e32 v3, 23, v1
	v_cmp_ne_u32_e32 vcc_lo, 0, v1
	s_delay_alu instid0(VALU_DEP_2) | instskip(NEXT) | instid1(VALU_DEP_1)
	v_cvt_i32_f32_e32 v3, v3
	v_cndmask_b32_e32 v6, 0, v3, vcc_lo
	s_branch .LBB86_1179
.LBB86_1178:
	s_mov_b32 s70, -1
                                        ; implicit-def: $vgpr6
.LBB86_1179:
	s_mov_b32 s36, 0
.LBB86_1180:
	s_delay_alu instid0(SALU_CYCLE_1)
	s_and_b32 vcc_lo, exec_lo, s36
	s_cbranch_vccz .LBB86_1184
; %bb.1181:
	s_cmp_eq_u32 s1, 29
	s_cbranch_scc0 .LBB86_1183
; %bb.1182:
	global_load_b32 v6, v[4:5], off
	s_mov_b32 s27, -1
	s_mov_b32 s70, 0
	s_branch .LBB86_1184
.LBB86_1183:
	s_mov_b32 s70, -1
                                        ; implicit-def: $vgpr6
.LBB86_1184:
	s_mov_b32 s36, 0
.LBB86_1185:
	s_delay_alu instid0(SALU_CYCLE_1)
	s_and_b32 vcc_lo, exec_lo, s36
	s_cbranch_vccz .LBB86_1201
; %bb.1186:
	s_cmp_lt_i32 s1, 27
	s_cbranch_scc1 .LBB86_1189
; %bb.1187:
	s_cmp_gt_i32 s1, 27
	s_cbranch_scc0 .LBB86_1190
; %bb.1188:
	s_wait_loadcnt 0x0
	global_load_b32 v6, v[4:5], off
	s_mov_b32 s27, 0
	s_branch .LBB86_1191
.LBB86_1189:
	s_mov_b32 s27, -1
                                        ; implicit-def: $vgpr6
	s_branch .LBB86_1194
.LBB86_1190:
	s_mov_b32 s27, -1
                                        ; implicit-def: $vgpr6
.LBB86_1191:
	s_delay_alu instid0(SALU_CYCLE_1)
	s_and_not1_b32 vcc_lo, exec_lo, s27
	s_cbranch_vccnz .LBB86_1193
; %bb.1192:
	s_wait_loadcnt 0x0
	global_load_u16 v6, v[4:5], off
.LBB86_1193:
	s_mov_b32 s27, 0
.LBB86_1194:
	s_delay_alu instid0(SALU_CYCLE_1)
	s_and_not1_b32 vcc_lo, exec_lo, s27
	s_cbranch_vccnz .LBB86_1200
; %bb.1195:
	global_load_u8 v1, v[4:5], off
	s_mov_b32 s36, 0
	s_mov_b32 s27, exec_lo
	s_wait_loadcnt 0x0
	v_cmpx_lt_i16_e32 0x7f, v1
	s_xor_b32 s27, exec_lo, s27
	s_cbranch_execz .LBB86_1212
; %bb.1196:
	v_cmp_ne_u16_e32 vcc_lo, 0x80, v1
	s_and_b32 s36, vcc_lo, exec_lo
	s_and_not1_saveexec_b32 s27, s27
	s_cbranch_execnz .LBB86_1213
.LBB86_1197:
	s_or_b32 exec_lo, exec_lo, s27
	v_mov_b32_e32 v6, 0
	s_and_saveexec_b32 s27, s36
	s_cbranch_execz .LBB86_1199
.LBB86_1198:
	v_and_b32_e32 v3, 0xffff, v1
	s_delay_alu instid0(VALU_DEP_1) | instskip(SKIP_1) | instid1(VALU_DEP_2)
	v_and_b32_e32 v6, 7, v3
	v_bfe_u32 v11, v3, 3, 4
	v_clz_i32_u32_e32 v9, v6
	s_delay_alu instid0(VALU_DEP_2) | instskip(NEXT) | instid1(VALU_DEP_2)
	v_cmp_eq_u32_e32 vcc_lo, 0, v11
	v_min_u32_e32 v9, 32, v9
	s_delay_alu instid0(VALU_DEP_1) | instskip(NEXT) | instid1(VALU_DEP_1)
	v_subrev_nc_u32_e32 v10, 28, v9
	v_dual_lshlrev_b32 v3, v10, v3 :: v_dual_sub_nc_u32 v9, 29, v9
	s_delay_alu instid0(VALU_DEP_1) | instskip(NEXT) | instid1(VALU_DEP_1)
	v_dual_lshlrev_b32 v1, 24, v1 :: v_dual_bitop2_b32 v3, 7, v3 bitop3:0x40
	v_dual_cndmask_b32 v3, v6, v3, vcc_lo :: v_dual_cndmask_b32 v9, v11, v9, vcc_lo
	s_delay_alu instid0(VALU_DEP_2) | instskip(NEXT) | instid1(VALU_DEP_2)
	v_and_b32_e32 v1, 0x80000000, v1
	v_lshlrev_b32_e32 v3, 20, v3
	s_delay_alu instid0(VALU_DEP_3) | instskip(NEXT) | instid1(VALU_DEP_1)
	v_lshl_add_u32 v6, v9, 23, 0x3b800000
	v_or3_b32 v1, v1, v6, v3
	s_delay_alu instid0(VALU_DEP_1)
	v_cvt_i32_f32_e32 v6, v1
.LBB86_1199:
	s_or_b32 exec_lo, exec_lo, s27
.LBB86_1200:
	s_mov_b32 s27, -1
.LBB86_1201:
	s_mov_b32 s36, 0
.LBB86_1202:
	s_delay_alu instid0(SALU_CYCLE_1)
	s_and_b32 vcc_lo, exec_lo, s36
	s_cbranch_vccz .LBB86_1235
; %bb.1203:
	s_cmp_gt_i32 s1, 22
	s_cbranch_scc0 .LBB86_1211
; %bb.1204:
	s_cmp_lt_i32 s1, 24
	s_cbranch_scc1 .LBB86_1214
; %bb.1205:
	s_cmp_gt_i32 s1, 24
	s_cbranch_scc0 .LBB86_1215
; %bb.1206:
	global_load_u8 v1, v[4:5], off
	s_mov_b32 s36, 0
	s_mov_b32 s27, exec_lo
	s_wait_loadcnt 0x0
	v_cmpx_lt_i16_e32 0x7f, v1
	s_xor_b32 s27, exec_lo, s27
	s_cbranch_execz .LBB86_1227
; %bb.1207:
	v_cmp_ne_u16_e32 vcc_lo, 0x80, v1
	s_and_b32 s36, vcc_lo, exec_lo
	s_and_not1_saveexec_b32 s27, s27
	s_cbranch_execnz .LBB86_1228
.LBB86_1208:
	s_or_b32 exec_lo, exec_lo, s27
	v_mov_b32_e32 v6, 0
	s_and_saveexec_b32 s27, s36
	s_cbranch_execz .LBB86_1210
.LBB86_1209:
	v_and_b32_e32 v3, 0xffff, v1
	s_delay_alu instid0(VALU_DEP_1) | instskip(SKIP_1) | instid1(VALU_DEP_2)
	v_and_b32_e32 v6, 3, v3
	v_bfe_u32 v11, v3, 2, 5
	v_clz_i32_u32_e32 v9, v6
	s_delay_alu instid0(VALU_DEP_2) | instskip(NEXT) | instid1(VALU_DEP_2)
	v_cmp_eq_u32_e32 vcc_lo, 0, v11
	v_min_u32_e32 v9, 32, v9
	s_delay_alu instid0(VALU_DEP_1) | instskip(NEXT) | instid1(VALU_DEP_1)
	v_subrev_nc_u32_e32 v10, 29, v9
	v_dual_lshlrev_b32 v3, v10, v3 :: v_dual_sub_nc_u32 v9, 30, v9
	s_delay_alu instid0(VALU_DEP_1) | instskip(NEXT) | instid1(VALU_DEP_1)
	v_dual_lshlrev_b32 v1, 24, v1 :: v_dual_bitop2_b32 v3, 3, v3 bitop3:0x40
	v_dual_cndmask_b32 v3, v6, v3, vcc_lo :: v_dual_cndmask_b32 v9, v11, v9, vcc_lo
	s_delay_alu instid0(VALU_DEP_2) | instskip(NEXT) | instid1(VALU_DEP_2)
	v_and_b32_e32 v1, 0x80000000, v1
	v_lshlrev_b32_e32 v3, 21, v3
	s_delay_alu instid0(VALU_DEP_3) | instskip(NEXT) | instid1(VALU_DEP_1)
	v_lshl_add_u32 v6, v9, 23, 0x37800000
	v_or3_b32 v1, v1, v6, v3
	s_delay_alu instid0(VALU_DEP_1)
	v_cvt_i32_f32_e32 v6, v1
.LBB86_1210:
	s_or_b32 exec_lo, exec_lo, s27
	s_mov_b32 s27, 0
	s_branch .LBB86_1216
.LBB86_1211:
	s_mov_b32 s36, -1
                                        ; implicit-def: $vgpr6
	s_branch .LBB86_1222
.LBB86_1212:
	s_and_not1_saveexec_b32 s27, s27
	s_cbranch_execz .LBB86_1197
.LBB86_1213:
	v_cmp_ne_u16_e32 vcc_lo, 0, v1
	s_and_not1_b32 s36, s36, exec_lo
	s_and_b32 s37, vcc_lo, exec_lo
	s_delay_alu instid0(SALU_CYCLE_1)
	s_or_b32 s36, s36, s37
	s_or_b32 exec_lo, exec_lo, s27
	v_mov_b32_e32 v6, 0
	s_and_saveexec_b32 s27, s36
	s_cbranch_execnz .LBB86_1198
	s_branch .LBB86_1199
.LBB86_1214:
	s_mov_b32 s27, -1
                                        ; implicit-def: $vgpr6
	s_branch .LBB86_1219
.LBB86_1215:
	s_mov_b32 s27, -1
                                        ; implicit-def: $vgpr6
.LBB86_1216:
	s_delay_alu instid0(SALU_CYCLE_1)
	s_and_b32 vcc_lo, exec_lo, s27
	s_cbranch_vccz .LBB86_1218
; %bb.1217:
	global_load_u8 v1, v[4:5], off
	s_wait_loadcnt 0x0
	v_lshlrev_b32_e32 v1, 24, v1
	s_delay_alu instid0(VALU_DEP_1) | instskip(NEXT) | instid1(VALU_DEP_1)
	v_and_b32_e32 v3, 0x7f000000, v1
	v_clz_i32_u32_e32 v6, v3
	v_cmp_ne_u32_e32 vcc_lo, 0, v3
	v_add_nc_u32_e32 v10, 0x1000000, v3
	s_delay_alu instid0(VALU_DEP_3) | instskip(NEXT) | instid1(VALU_DEP_1)
	v_min_u32_e32 v6, 32, v6
	v_sub_nc_u32_e64 v6, v6, 4 clamp
	s_delay_alu instid0(VALU_DEP_1) | instskip(NEXT) | instid1(VALU_DEP_1)
	v_dual_lshlrev_b32 v9, v6, v3 :: v_dual_lshlrev_b32 v6, 23, v6
	v_lshrrev_b32_e32 v9, 4, v9
	s_delay_alu instid0(VALU_DEP_1) | instskip(SKIP_1) | instid1(VALU_DEP_2)
	v_sub_nc_u32_e32 v6, v9, v6
	v_ashrrev_i32_e32 v9, 8, v10
	v_add_nc_u32_e32 v6, 0x3c000000, v6
	s_delay_alu instid0(VALU_DEP_1) | instskip(NEXT) | instid1(VALU_DEP_1)
	v_and_or_b32 v6, 0x7f800000, v9, v6
	v_cndmask_b32_e32 v3, 0, v6, vcc_lo
	s_delay_alu instid0(VALU_DEP_1) | instskip(NEXT) | instid1(VALU_DEP_1)
	v_and_or_b32 v1, 0x80000000, v1, v3
	v_cvt_i32_f32_e32 v6, v1
.LBB86_1218:
	s_mov_b32 s27, 0
.LBB86_1219:
	s_delay_alu instid0(SALU_CYCLE_1)
	s_and_not1_b32 vcc_lo, exec_lo, s27
	s_cbranch_vccnz .LBB86_1221
; %bb.1220:
	global_load_u8 v1, v[4:5], off
	s_wait_loadcnt 0x0
	v_lshlrev_b32_e32 v3, 25, v1
	v_lshlrev_b16 v1, 8, v1
	s_delay_alu instid0(VALU_DEP_1) | instskip(NEXT) | instid1(VALU_DEP_3)
	v_and_or_b32 v9, 0x7f00, v1, 0.5
	v_lshrrev_b32_e32 v6, 4, v3
	v_bfe_i32 v1, v1, 0, 16
	s_delay_alu instid0(VALU_DEP_3) | instskip(NEXT) | instid1(VALU_DEP_3)
	v_add_f32_e32 v9, -0.5, v9
	v_or_b32_e32 v6, 0x70000000, v6
	s_delay_alu instid0(VALU_DEP_1) | instskip(SKIP_1) | instid1(VALU_DEP_2)
	v_mul_f32_e32 v6, 0x7800000, v6
	v_cmp_gt_u32_e32 vcc_lo, 0x8000000, v3
	v_cndmask_b32_e32 v3, v6, v9, vcc_lo
	s_delay_alu instid0(VALU_DEP_1) | instskip(NEXT) | instid1(VALU_DEP_1)
	v_and_or_b32 v1, 0x80000000, v1, v3
	v_cvt_i32_f32_e32 v6, v1
.LBB86_1221:
	s_mov_b32 s36, 0
	s_mov_b32 s27, -1
.LBB86_1222:
	s_and_not1_b32 vcc_lo, exec_lo, s36
	s_cbranch_vccnz .LBB86_1235
; %bb.1223:
	s_cmp_gt_i32 s1, 14
	s_cbranch_scc0 .LBB86_1226
; %bb.1224:
	s_cmp_eq_u32 s1, 15
	s_cbranch_scc0 .LBB86_1229
; %bb.1225:
	global_load_u16 v1, v[4:5], off
	s_mov_b32 s27, -1
	s_mov_b32 s70, 0
	s_wait_loadcnt 0x0
	v_lshlrev_b32_e32 v1, 16, v1
	s_delay_alu instid0(VALU_DEP_1)
	v_cvt_i32_f32_e32 v6, v1
	s_branch .LBB86_1230
.LBB86_1226:
	s_mov_b32 s36, -1
                                        ; implicit-def: $vgpr6
	s_branch .LBB86_1231
.LBB86_1227:
	s_and_not1_saveexec_b32 s27, s27
	s_cbranch_execz .LBB86_1208
.LBB86_1228:
	v_cmp_ne_u16_e32 vcc_lo, 0, v1
	s_and_not1_b32 s36, s36, exec_lo
	s_and_b32 s37, vcc_lo, exec_lo
	s_delay_alu instid0(SALU_CYCLE_1)
	s_or_b32 s36, s36, s37
	s_or_b32 exec_lo, exec_lo, s27
	v_mov_b32_e32 v6, 0
	s_and_saveexec_b32 s27, s36
	s_cbranch_execnz .LBB86_1209
	s_branch .LBB86_1210
.LBB86_1229:
	s_mov_b32 s70, -1
                                        ; implicit-def: $vgpr6
.LBB86_1230:
	s_mov_b32 s36, 0
.LBB86_1231:
	s_delay_alu instid0(SALU_CYCLE_1)
	s_and_b32 vcc_lo, exec_lo, s36
	s_cbranch_vccz .LBB86_1235
; %bb.1232:
	s_cmp_eq_u32 s1, 11
	s_cbranch_scc0 .LBB86_1234
; %bb.1233:
	global_load_u8 v1, v[4:5], off
	s_mov_b32 s70, 0
	s_mov_b32 s27, -1
	s_wait_loadcnt 0x0
	v_cmp_ne_u16_e32 vcc_lo, 0, v1
	v_cndmask_b32_e64 v6, 0, 1, vcc_lo
	s_branch .LBB86_1235
.LBB86_1234:
	s_mov_b32 s70, -1
                                        ; implicit-def: $vgpr6
.LBB86_1235:
	s_mov_b32 s1, 0
.LBB86_1236:
	s_delay_alu instid0(SALU_CYCLE_1)
	s_and_b32 vcc_lo, exec_lo, s1
	s_cbranch_vccz .LBB86_1285
; %bb.1237:
	s_and_b32 s0, 0xffff, s0
	s_delay_alu instid0(SALU_CYCLE_1)
	s_cmp_lt_i32 s0, 5
	s_cbranch_scc1 .LBB86_1242
; %bb.1238:
	s_cmp_lt_i32 s0, 8
	s_cbranch_scc1 .LBB86_1243
; %bb.1239:
	;; [unrolled: 3-line block ×3, first 2 shown]
	s_cmp_gt_i32 s0, 9
	s_cbranch_scc0 .LBB86_1245
; %bb.1241:
	global_load_b64 v[10:11], v[4:5], off
	s_mov_b32 s1, 0
	s_wait_loadcnt 0x0
	v_cvt_i32_f64_e32 v6, v[10:11]
	s_branch .LBB86_1246
.LBB86_1242:
	s_mov_b32 s1, -1
                                        ; implicit-def: $vgpr6
	s_branch .LBB86_1264
.LBB86_1243:
	s_mov_b32 s1, -1
                                        ; implicit-def: $vgpr6
	s_branch .LBB86_1252
.LBB86_1244:
	s_mov_b32 s1, -1
                                        ; implicit-def: $vgpr6
	s_branch .LBB86_1249
.LBB86_1245:
	s_mov_b32 s1, -1
                                        ; implicit-def: $vgpr6
.LBB86_1246:
	s_delay_alu instid0(SALU_CYCLE_1)
	s_and_not1_b32 vcc_lo, exec_lo, s1
	s_cbranch_vccnz .LBB86_1248
; %bb.1247:
	global_load_b32 v1, v[4:5], off
	s_wait_loadcnt 0x0
	v_cvt_i32_f32_e32 v6, v1
.LBB86_1248:
	s_mov_b32 s1, 0
.LBB86_1249:
	s_delay_alu instid0(SALU_CYCLE_1)
	s_and_not1_b32 vcc_lo, exec_lo, s1
	s_cbranch_vccnz .LBB86_1251
; %bb.1250:
	global_load_b32 v1, v[4:5], off
	s_wait_loadcnt 0x0
	v_cvt_f32_f16_e32 v1, v1
	s_delay_alu instid0(VALU_DEP_1)
	v_cvt_i32_f32_e32 v6, v1
.LBB86_1251:
	s_mov_b32 s1, 0
.LBB86_1252:
	s_delay_alu instid0(SALU_CYCLE_1)
	s_and_not1_b32 vcc_lo, exec_lo, s1
	s_cbranch_vccnz .LBB86_1263
; %bb.1253:
	s_cmp_lt_i32 s0, 6
	s_cbranch_scc1 .LBB86_1256
; %bb.1254:
	s_cmp_gt_i32 s0, 6
	s_cbranch_scc0 .LBB86_1257
; %bb.1255:
	global_load_b64 v[10:11], v[4:5], off
	s_mov_b32 s1, 0
	s_wait_loadcnt 0x0
	v_cvt_i32_f64_e32 v6, v[10:11]
	s_branch .LBB86_1258
.LBB86_1256:
	s_mov_b32 s1, -1
                                        ; implicit-def: $vgpr6
	s_branch .LBB86_1261
.LBB86_1257:
	s_mov_b32 s1, -1
                                        ; implicit-def: $vgpr6
.LBB86_1258:
	s_delay_alu instid0(SALU_CYCLE_1)
	s_and_not1_b32 vcc_lo, exec_lo, s1
	s_cbranch_vccnz .LBB86_1260
; %bb.1259:
	global_load_b32 v1, v[4:5], off
	s_wait_loadcnt 0x0
	v_cvt_i32_f32_e32 v6, v1
.LBB86_1260:
	s_mov_b32 s1, 0
.LBB86_1261:
	s_delay_alu instid0(SALU_CYCLE_1)
	s_and_not1_b32 vcc_lo, exec_lo, s1
	s_cbranch_vccnz .LBB86_1263
; %bb.1262:
	global_load_u16 v1, v[4:5], off
	s_wait_loadcnt 0x0
	v_cvt_f32_f16_e32 v1, v1
	s_delay_alu instid0(VALU_DEP_1)
	v_cvt_i32_f32_e32 v6, v1
.LBB86_1263:
	s_mov_b32 s1, 0
.LBB86_1264:
	s_delay_alu instid0(SALU_CYCLE_1)
	s_and_not1_b32 vcc_lo, exec_lo, s1
	s_cbranch_vccnz .LBB86_1284
; %bb.1265:
	s_cmp_lt_i32 s0, 2
	s_cbranch_scc1 .LBB86_1269
; %bb.1266:
	s_cmp_lt_i32 s0, 3
	s_cbranch_scc1 .LBB86_1270
; %bb.1267:
	s_cmp_gt_i32 s0, 3
	s_cbranch_scc0 .LBB86_1271
; %bb.1268:
	s_wait_loadcnt 0x0
	global_load_b32 v6, v[4:5], off
	s_mov_b32 s1, 0
	s_branch .LBB86_1272
.LBB86_1269:
	s_mov_b32 s1, -1
                                        ; implicit-def: $vgpr6
	s_branch .LBB86_1278
.LBB86_1270:
	s_mov_b32 s1, -1
                                        ; implicit-def: $vgpr6
	s_branch .LBB86_1275
.LBB86_1271:
	s_mov_b32 s1, -1
                                        ; implicit-def: $vgpr6
.LBB86_1272:
	s_delay_alu instid0(SALU_CYCLE_1)
	s_and_not1_b32 vcc_lo, exec_lo, s1
	s_cbranch_vccnz .LBB86_1274
; %bb.1273:
	s_wait_loadcnt 0x0
	global_load_b32 v6, v[4:5], off
.LBB86_1274:
	s_mov_b32 s1, 0
.LBB86_1275:
	s_delay_alu instid0(SALU_CYCLE_1)
	s_and_not1_b32 vcc_lo, exec_lo, s1
	s_cbranch_vccnz .LBB86_1277
; %bb.1276:
	s_wait_loadcnt 0x0
	global_load_i16 v6, v[4:5], off
.LBB86_1277:
	s_mov_b32 s1, 0
.LBB86_1278:
	s_delay_alu instid0(SALU_CYCLE_1)
	s_and_not1_b32 vcc_lo, exec_lo, s1
	s_cbranch_vccnz .LBB86_1284
; %bb.1279:
	s_cmp_gt_i32 s0, 0
	s_mov_b32 s0, 0
	s_cbranch_scc0 .LBB86_1281
; %bb.1280:
	s_wait_loadcnt 0x0
	global_load_i8 v6, v[4:5], off
	s_branch .LBB86_1282
.LBB86_1281:
	s_mov_b32 s0, -1
                                        ; implicit-def: $vgpr6
.LBB86_1282:
	s_delay_alu instid0(SALU_CYCLE_1)
	s_and_not1_b32 vcc_lo, exec_lo, s0
	s_cbranch_vccnz .LBB86_1284
; %bb.1283:
	s_wait_loadcnt 0x0
	global_load_u8 v6, v[4:5], off
.LBB86_1284:
	s_mov_b32 s27, -1
.LBB86_1285:
	s_delay_alu instid0(SALU_CYCLE_1)
	s_and_not1_b32 vcc_lo, exec_lo, s27
	s_cbranch_vccnz .LBB86_1296
; %bb.1286:
	s_wait_loadcnt 0x0
	v_cmp_eq_u32_e32 vcc_lo, s29, v7
	s_mov_b32 s0, 0
	s_mov_b32 s37, -1
	s_mov_b32 s38, s59
	s_mov_b32 s36, s58
	s_and_b32 s39, s51, vcc_lo
	s_mov_b32 s27, s57
	s_mov_b32 s1, s54
	s_wait_xcnt 0x0
	s_and_saveexec_b32 s72, s39
	s_cbranch_execz .LBB86_4066
; %bb.1287:
	v_cmp_eq_u32_e32 vcc_lo, s18, v8
	s_mov_b32 s36, -1
	s_mov_b32 s37, s58
	s_mov_b32 s27, s57
	;; [unrolled: 1-line block ×3, first 2 shown]
	s_and_b32 s1, s50, vcc_lo
	s_delay_alu instid0(SALU_CYCLE_1)
	s_and_saveexec_b32 s73, s1
	s_cbranch_execz .LBB86_3592
; %bb.1288:
	v_sub_nc_u32_e32 v1, v2, v0
	s_mov_b32 s1, 0
	s_mov_b32 s27, -1
	s_mov_b32 s37, s54
	s_delay_alu instid0(VALU_DEP_1) | instskip(SKIP_4) | instid1(SALU_CYCLE_1)
	v_cmp_le_i32_e32 vcc_lo, s29, v1
	v_cmp_ge_i32_e64 s0, s16, v1
	s_and_b32 s36, vcc_lo, s0
	s_mov_b32 s0, s57
	s_and_b32 s36, s49, s36
	s_and_saveexec_b32 s74, s36
	s_cbranch_execz .LBB86_3591
; %bb.1289:
	v_mov_b64_e32 v[4:5], 0
	s_and_not1_b32 vcc_lo, exec_lo, s17
	s_cbranch_vccnz .LBB86_1312
; %bb.1290:
	v_ashrrev_i32_e32 v7, 31, v6
	s_mov_b32 s27, s1
	v_mov_b64_e32 v[4:5], 0
	s_lshl_b64 s[38:39], s[26:27], 3
	s_mov_b64 s[36:37], 0xffffffff
	v_mul_u64_e32 v[8:9], s[18:19], v[6:7]
	v_mov_b32_e32 v6, 0
	s_add_nc_u64 s[38:39], s[24:25], s[38:39]
	s_mov_b32 s27, s48
	s_add_nc_u64 s[38:39], s[38:39], 0x68
	s_branch .LBB86_1292
.LBB86_1291:                            ;   in Loop: Header=BB86_1292 Depth=1
	s_or_b32 exec_lo, exec_lo, s0
	s_delay_alu instid0(VALU_DEP_1)
	v_mul_u64_e32 v[12:13], s[40:41], v[10:11]
	s_load_b64 s[40:41], s[38:39], 0x40
	s_add_co_i32 s27, s27, -1
	s_wait_xcnt 0x0
	s_add_nc_u64 s[38:39], s[38:39], -8
	s_cmp_lg_u32 s27, 0
	s_delay_alu instid0(VALU_DEP_1) | instskip(SKIP_1) | instid1(VALU_DEP_1)
	v_sub_nc_u64_e32 v[8:9], v[8:9], v[12:13]
	s_wait_kmcnt 0x0
	v_mad_nc_u64_u32 v[4:5], v8, s40, v[4:5]
	s_delay_alu instid0(VALU_DEP_1) | instskip(NEXT) | instid1(VALU_DEP_1)
	v_mad_u32 v1, v9, s40, v5
	v_mad_u32 v5, v8, s41, v1
	v_mov_b64_e32 v[8:9], v[10:11]
	s_cbranch_scc0 .LBB86_1312
.LBB86_1292:                            ; =>This Inner Loop Header: Depth=1
	s_load_b64 s[40:41], s[38:39], 0x0
                                        ; implicit-def: $vgpr10_vgpr11
	s_mov_b32 s0, exec_lo
	s_wait_kmcnt 0x0
	s_delay_alu instid0(VALU_DEP_1) | instskip(NEXT) | instid1(VALU_DEP_1)
	v_or_b32_e32 v7, s41, v9
	v_cmpx_ne_u64_e32 0, v[6:7]
	s_xor_b32 s75, exec_lo, s0
	s_cbranch_execz .LBB86_1294
; %bb.1293:                             ;   in Loop: Header=BB86_1292 Depth=1
	s_ashr_i32 s42, s41, 31
	v_dual_mov_b32 v15, v6 :: v_dual_ashrrev_i32 v10, 31, v9
	s_mov_b32 s43, s42
	v_mov_b32_e32 v25, v6
	s_add_nc_u64 s[44:45], s[40:41], s[42:43]
	s_delay_alu instid0(VALU_DEP_2) | instskip(SKIP_1) | instid1(SALU_CYCLE_1)
	v_mov_b32_e32 v11, v10
	s_xor_b64 s[44:45], s[44:45], s[42:43]
	s_cvt_f32_u32 s0, s44
	s_cvt_f32_u32 s43, s45
	s_sub_nc_u64 s[80:81], 0, s[44:45]
	v_add_nc_u64_e32 v[12:13], v[8:9], v[10:11]
	v_mov_b32_e32 v19, v6
	s_fmamk_f32 s0, s43, 0x4f800000, s0
	s_delay_alu instid0(SALU_CYCLE_3) | instskip(NEXT) | instid1(VALU_DEP_2)
	v_s_rcp_f32 s0, s0
	v_xor_b32_e32 v14, v12, v10
	s_delay_alu instid0(VALU_DEP_3) | instskip(NEXT) | instid1(TRANS32_DEP_1)
	v_xor_b32_e32 v18, v13, v10
	s_mul_f32 s0, s0, 0x5f7ffffc
	s_delay_alu instid0(SALU_CYCLE_3) | instskip(NEXT) | instid1(SALU_CYCLE_3)
	s_mul_f32 s43, s0, 0x2f800000
	s_trunc_f32 s43, s43
	s_delay_alu instid0(SALU_CYCLE_3) | instskip(SKIP_1) | instid1(SALU_CYCLE_2)
	s_fmamk_f32 s0, s43, 0xcf800000, s0
	s_cvt_u32_f32 s79, s43
	s_cvt_u32_f32 s78, s0
	s_delay_alu instid0(SALU_CYCLE_3) | instskip(NEXT) | instid1(SALU_CYCLE_1)
	s_mul_u64 s[82:83], s[80:81], s[78:79]
	s_mul_hi_u32 s85, s78, s83
	s_mul_i32 s84, s78, s83
	s_mul_hi_u32 s0, s78, s82
	s_mul_i32 s76, s79, s82
	s_add_nc_u64 s[84:85], s[0:1], s[84:85]
	s_mul_hi_u32 s43, s79, s82
	s_mul_hi_u32 s86, s79, s83
	s_add_co_u32 s0, s84, s76
	s_add_co_ci_u32 s0, s85, s43
	s_mul_i32 s82, s79, s83
	s_add_co_ci_u32 s83, s86, 0
	s_delay_alu instid0(SALU_CYCLE_1) | instskip(NEXT) | instid1(SALU_CYCLE_1)
	s_add_nc_u64 s[82:83], s[0:1], s[82:83]
	s_add_co_u32 s78, s78, s82
	s_cselect_b32 s0, -1, 0
	s_delay_alu instid0(SALU_CYCLE_1) | instskip(SKIP_1) | instid1(SALU_CYCLE_1)
	s_cmp_lg_u32 s0, 0
	s_add_co_ci_u32 s79, s79, s83
	s_mul_u64 s[80:81], s[80:81], s[78:79]
	s_delay_alu instid0(SALU_CYCLE_1)
	s_mul_hi_u32 s83, s78, s81
	s_mul_i32 s82, s78, s81
	s_mul_hi_u32 s0, s78, s80
	s_mul_i32 s76, s79, s80
	s_add_nc_u64 s[82:83], s[0:1], s[82:83]
	s_mul_hi_u32 s43, s79, s80
	s_mul_hi_u32 s84, s79, s81
	s_add_co_u32 s0, s82, s76
	s_add_co_ci_u32 s0, s83, s43
	s_mul_i32 s80, s79, s81
	s_add_co_ci_u32 s81, s84, 0
	s_delay_alu instid0(SALU_CYCLE_1) | instskip(NEXT) | instid1(SALU_CYCLE_1)
	s_add_nc_u64 s[80:81], s[0:1], s[80:81]
	s_add_co_u32 s76, s78, s80
	s_cselect_b32 s0, -1, 0
	v_mul_hi_u32 v24, v14, s76
	s_cmp_lg_u32 s0, 0
	s_add_co_ci_u32 s0, s79, s81
	s_and_b64 s[78:79], s[76:77], s[36:37]
	v_mul_u64_e32 v[16:17], s[0:1], v[14:15]
	v_mul_u64_e32 v[12:13], s[78:79], v[18:19]
	v_mul_u64_e32 v[20:21], s[0:1], v[18:19]
	s_delay_alu instid0(VALU_DEP_3) | instskip(NEXT) | instid1(VALU_DEP_1)
	v_add_nc_u64_e32 v[16:17], v[24:25], v[16:17]
	v_add_co_u32 v1, vcc_lo, v16, v12
	s_delay_alu instid0(VALU_DEP_2) | instskip(NEXT) | instid1(VALU_DEP_4)
	v_add_co_ci_u32_e32 v24, vcc_lo, v17, v13, vcc_lo
	v_add_co_ci_u32_e32 v21, vcc_lo, 0, v21, vcc_lo
	s_delay_alu instid0(VALU_DEP_1) | instskip(NEXT) | instid1(VALU_DEP_1)
	v_add_nc_u64_e32 v[12:13], v[24:25], v[20:21]
	v_mul_u64_e32 v[16:17], s[44:45], v[12:13]
	s_delay_alu instid0(VALU_DEP_1) | instskip(NEXT) | instid1(VALU_DEP_2)
	v_sub_nc_u32_e32 v1, v18, v17
	v_sub_co_u32 v3, vcc_lo, v14, v16
	s_delay_alu instid0(VALU_DEP_1) | instskip(NEXT) | instid1(VALU_DEP_3)
	v_sub_co_ci_u32_e64 v11, null, v18, v17, vcc_lo
	v_subrev_co_ci_u32_e64 v1, null, s45, v1, vcc_lo
	s_delay_alu instid0(VALU_DEP_3) | instskip(SKIP_1) | instid1(VALU_DEP_3)
	v_sub_co_u32 v7, s0, v3, s44
	v_add_nc_u64_e32 v[16:17], 1, v[12:13]
	v_subrev_co_ci_u32_e64 v1, null, 0, v1, s0
	s_delay_alu instid0(VALU_DEP_3) | instskip(SKIP_1) | instid1(VALU_DEP_3)
	v_cmp_le_u32_e32 vcc_lo, s44, v7
	v_cndmask_b32_e64 v7, 0, -1, vcc_lo
	v_cmp_le_u32_e32 vcc_lo, s45, v1
	v_cndmask_b32_e64 v14, 0, -1, vcc_lo
	v_cmp_le_u32_e32 vcc_lo, s44, v3
	v_cndmask_b32_e64 v3, 0, -1, vcc_lo
	v_cmp_le_u32_e32 vcc_lo, s45, v11
	v_cndmask_b32_e64 v18, 0, -1, vcc_lo
	v_cmp_eq_u32_e32 vcc_lo, s45, v1
	v_cndmask_b32_e32 v1, v14, v7, vcc_lo
	v_cmp_eq_u32_e32 vcc_lo, s45, v11
	v_add_nc_u64_e32 v[14:15], 2, v[12:13]
	v_cndmask_b32_e32 v3, v18, v3, vcc_lo
	s_delay_alu instid0(VALU_DEP_4) | instskip(NEXT) | instid1(VALU_DEP_2)
	v_cmp_ne_u32_e32 vcc_lo, 0, v1
	v_cmp_ne_u32_e64 s0, 0, v3
	s_delay_alu instid0(VALU_DEP_4) | instskip(NEXT) | instid1(VALU_DEP_1)
	v_dual_cndmask_b32 v1, v17, v15, vcc_lo :: v_dual_cndmask_b32 v3, v16, v14, vcc_lo
	v_dual_cndmask_b32 v1, v13, v1, s0 :: v_dual_bitop2_b32 v10, s42, v10 bitop3:0x14
	s_delay_alu instid0(VALU_DEP_1) | instskip(NEXT) | instid1(VALU_DEP_2)
	v_dual_cndmask_b32 v3, v12, v3, s0 :: v_dual_mov_b32 v11, v10
	v_xor_b32_e32 v13, v1, v10
	s_delay_alu instid0(VALU_DEP_2) | instskip(NEXT) | instid1(VALU_DEP_1)
	v_xor_b32_e32 v12, v3, v10
	v_sub_nc_u64_e32 v[10:11], v[12:13], v[10:11]
.LBB86_1294:                            ;   in Loop: Header=BB86_1292 Depth=1
	s_and_not1_saveexec_b32 s0, s75
	s_cbranch_execz .LBB86_1291
; %bb.1295:                             ;   in Loop: Header=BB86_1292 Depth=1
	v_cvt_f32_u32_e32 v1, s40
	s_sub_co_i32 s42, 0, s40
	v_mov_b32_e32 v11, v6
	s_delay_alu instid0(VALU_DEP_2) | instskip(SKIP_1) | instid1(TRANS32_DEP_1)
	v_rcp_iflag_f32_e32 v1, v1
	v_nop
	v_mul_f32_e32 v1, 0x4f7ffffe, v1
	s_delay_alu instid0(VALU_DEP_1) | instskip(NEXT) | instid1(VALU_DEP_1)
	v_cvt_u32_f32_e32 v1, v1
	v_mul_lo_u32 v3, s42, v1
	s_delay_alu instid0(VALU_DEP_1) | instskip(NEXT) | instid1(VALU_DEP_1)
	v_mul_hi_u32 v3, v1, v3
	v_add_nc_u32_e32 v1, v1, v3
	s_delay_alu instid0(VALU_DEP_1) | instskip(NEXT) | instid1(VALU_DEP_1)
	v_mul_hi_u32 v1, v8, v1
	v_mul_lo_u32 v3, v1, s40
	s_delay_alu instid0(VALU_DEP_1) | instskip(NEXT) | instid1(VALU_DEP_1)
	v_sub_nc_u32_e32 v3, v8, v3
	v_subrev_nc_u32_e32 v10, s40, v3
	v_cmp_le_u32_e32 vcc_lo, s40, v3
	s_delay_alu instid0(VALU_DEP_2) | instskip(NEXT) | instid1(VALU_DEP_1)
	v_dual_add_nc_u32 v7, 1, v1 :: v_dual_cndmask_b32 v3, v3, v10, vcc_lo
	v_cndmask_b32_e32 v1, v1, v7, vcc_lo
	s_delay_alu instid0(VALU_DEP_2) | instskip(NEXT) | instid1(VALU_DEP_2)
	v_cmp_le_u32_e32 vcc_lo, s40, v3
	v_add_nc_u32_e32 v7, 1, v1
	s_delay_alu instid0(VALU_DEP_1)
	v_cndmask_b32_e32 v10, v1, v7, vcc_lo
	s_branch .LBB86_1291
.LBB86_1296:
	s_mov_b32 s0, 0
	s_mov_b32 s1, s54
	;; [unrolled: 1-line block ×6, first 2 shown]
.LBB86_1297:
                                        ; implicit-def: $vgpr22
.LBB86_1298:
	s_and_not1_b32 s39, s54, exec_lo
	s_and_b32 s1, s1, exec_lo
	s_and_not1_b32 s40, s57, exec_lo
	s_and_b32 s27, s27, exec_lo
	s_or_b32 s74, s39, s1
	s_or_b32 s75, s40, s27
	s_and_not1_b32 s1, s58, exec_lo
	s_and_b32 s27, s36, exec_lo
	s_and_not1_b32 s36, s59, exec_lo
	s_and_b32 s38, s38, exec_lo
	s_or_b32 s76, s1, s27
	s_or_b32 s72, s36, s38
	;; [unrolled: 6-line block ×5, first 2 shown]
	s_or_not1_b32 s37, s0, exec_lo
.LBB86_1299:
	s_wait_xcnt 0x0
	s_or_b32 exec_lo, exec_lo, s77
	s_mov_b32 s1, 0
	s_mov_b32 s36, 0
	;; [unrolled: 1-line block ×3, first 2 shown]
                                        ; implicit-def: $sgpr0
                                        ; implicit-def: $vgpr0_vgpr1
                                        ; implicit-def: $vgpr7
	s_and_saveexec_b32 s77, s37
	s_cbranch_execz .LBB86_2139
; %bb.1300:
	s_mov_b32 s80, -1
	s_mov_b32 s1, s67
	s_mov_b32 s37, s69
	s_mov_b32 s27, s68
	s_mov_b32 s39, s71
	s_mov_b32 s36, s70
	s_mov_b32 s41, s73
	s_mov_b32 s38, s72
	s_mov_b32 s42, s76
	s_mov_b32 s40, s75
	s_mov_b32 s43, s74
	s_mov_b32 s78, exec_lo
	v_cmpx_gt_i32_e64 s55, v22
	s_cbranch_execz .LBB86_2047
; %bb.1301:
	s_wait_loadcnt 0x0
	v_mul_lo_u32 v0, s20, v22
	s_and_b32 s0, s56, 0xff
	s_delay_alu instid0(SALU_CYCLE_1) | instskip(NEXT) | instid1(VALU_DEP_1)
	s_cmp_lt_i32 s0, 11
	v_ashrrev_i32_e32 v1, 31, v0
	s_delay_alu instid0(VALU_DEP_1)
	v_add_nc_u64_e32 v[0:1], s[4:5], v[0:1]
	s_cbranch_scc1 .LBB86_1308
; %bb.1302:
	s_and_b32 s1, 0xffff, s0
	s_delay_alu instid0(SALU_CYCLE_1)
	s_cmp_gt_i32 s1, 25
	s_cbranch_scc0 .LBB86_1309
; %bb.1303:
	s_cmp_gt_i32 s1, 28
	s_cbranch_scc0 .LBB86_1310
; %bb.1304:
	;; [unrolled: 3-line block ×4, first 2 shown]
	s_cmp_eq_u32 s1, 46
	s_mov_b32 s36, 0
	s_cbranch_scc0 .LBB86_1327
; %bb.1307:
	global_load_b32 v2, v[0:1], off
	s_mov_b32 s27, -1
	s_mov_b32 s79, 0
	s_wait_loadcnt 0x0
	v_lshlrev_b32_e32 v2, 16, v2
	s_delay_alu instid0(VALU_DEP_1)
	v_cvt_i32_f32_e32 v7, v2
	s_branch .LBB86_1329
.LBB86_1308:
	s_mov_b32 s1, -1
	s_mov_b32 s27, 0
	s_mov_b32 s79, s67
                                        ; implicit-def: $vgpr7
	s_branch .LBB86_1390
.LBB86_1309:
	s_mov_b32 s36, -1
	s_mov_b32 s27, 0
	s_mov_b32 s79, s67
                                        ; implicit-def: $vgpr7
	s_branch .LBB86_1356
.LBB86_1310:
	s_mov_b32 s36, -1
	s_mov_b32 s27, 0
	s_mov_b32 s79, s67
                                        ; implicit-def: $vgpr7
	s_branch .LBB86_1339
.LBB86_1311:
	s_mov_b32 s36, -1
	s_mov_b32 s27, 0
	s_mov_b32 s79, s67
                                        ; implicit-def: $vgpr7
	s_branch .LBB86_1334
.LBB86_1312:
	s_mov_b32 s37, -1
	s_mov_b32 s0, s57
	s_mov_b32 s1, exec_lo
	v_cmpx_gt_i32_e64 v2, v0
	s_cbranch_execz .LBB86_1319
; %bb.1313:
	s_delay_alu instid0(VALU_DEP_2) | instskip(SKIP_3) | instid1(VALU_DEP_1)
	v_lshlrev_b64_e32 v[4:5], 2, v[4:5]
	v_dual_ashrrev_i32 v1, 31, v0 :: v_dual_ashrrev_i32 v3, 31, v2
	s_mov_b32 s0, 0
	s_xor_b32 s36, s35, -1
                                        ; implicit-def: $sgpr27
                                        ; implicit-def: $sgpr38
                                        ; implicit-def: $sgpr37
	v_lshl_add_u64 v[0:1], v[0:1], 2, v[4:5]
	v_add_nc_u64_e32 v[4:5], s[12:13], v[4:5]
	s_delay_alu instid0(VALU_DEP_2) | instskip(NEXT) | instid1(VALU_DEP_2)
	v_add_nc_u64_e32 v[0:1], s[12:13], v[0:1]
	v_lshl_add_u64 v[2:3], v[2:3], 2, v[4:5]
	s_delay_alu instid0(VALU_DEP_2)
	v_add_nc_u64_e32 v[0:1], 4, v[0:1]
	s_branch .LBB86_1315
.LBB86_1314:                            ;   in Loop: Header=BB86_1315 Depth=1
	s_or_b32 exec_lo, exec_lo, s39
	s_delay_alu instid0(SALU_CYCLE_1) | instskip(NEXT) | instid1(SALU_CYCLE_1)
	s_and_b32 s39, exec_lo, s38
	s_or_b32 s0, s39, s0
	s_and_not1_b32 s27, s27, exec_lo
	s_and_b32 s39, s37, exec_lo
	s_delay_alu instid0(SALU_CYCLE_1)
	s_or_b32 s27, s27, s39
	s_and_not1_b32 exec_lo, exec_lo, s0
	s_cbranch_execz .LBB86_1318
.LBB86_1315:                            ; =>This Inner Loop Header: Depth=1
	s_or_b32 s37, s37, exec_lo
	s_or_b32 s38, s38, exec_lo
	s_mov_b32 s39, exec_lo
	s_delay_alu instid0(VALU_DEP_1)
	v_cmpx_lt_u64_e64 v[0:1], v[2:3]
	s_cbranch_execz .LBB86_1314
; %bb.1316:                             ;   in Loop: Header=BB86_1315 Depth=1
	global_load_b64 v[4:5], v[0:1], off offset:-4
	s_wait_xcnt 0x0
	v_add_nc_u64_e32 v[0:1], 4, v[0:1]
	s_and_not1_b32 s38, s38, exec_lo
	s_and_not1_b32 s37, s37, exec_lo
	s_wait_loadcnt 0x0
	v_cmp_ge_i32_e32 vcc_lo, v4, v5
	s_or_b32 s40, s36, vcc_lo
	s_delay_alu instid0(SALU_CYCLE_1) | instskip(NEXT) | instid1(SALU_CYCLE_1)
	s_and_b32 s40, s40, exec_lo
	s_or_b32 s38, s38, s40
	s_branch .LBB86_1314
.LBB86_1317:
	s_mov_b32 s36, -1
	s_mov_b32 s27, 0
	s_mov_b32 s79, s67
	s_branch .LBB86_1328
.LBB86_1318:
	s_or_b32 exec_lo, exec_lo, s0
	s_delay_alu instid0(SALU_CYCLE_1)
	s_or_b32 s0, s57, exec_lo
	s_or_not1_b32 s37, s27, exec_lo
.LBB86_1319:
	s_or_b32 exec_lo, exec_lo, s1
	s_mov_b32 s36, 0
	s_mov_b32 s27, s54
	s_and_saveexec_b32 s1, s37
	s_cbranch_execz .LBB86_3590
; %bb.1320:
	v_mul_lo_u32 v0, s33, v22
	s_and_b32 s36, s14, 0xff
	s_delay_alu instid0(SALU_CYCLE_1) | instskip(NEXT) | instid1(VALU_DEP_1)
	s_cmp_lt_i32 s36, 11
	v_ashrrev_i32_e32 v1, 31, v0
	s_delay_alu instid0(VALU_DEP_1)
	v_add_nc_u64_e32 v[0:1], s[2:3], v[0:1]
	s_cbranch_scc1 .LBB86_1453
; %bb.1321:
	s_and_b32 s37, 0xffff, s36
	s_delay_alu instid0(SALU_CYCLE_1)
	s_cmp_gt_i32 s37, 25
	s_cbranch_scc0 .LBB86_1580
; %bb.1322:
	s_cmp_gt_i32 s37, 28
	s_cbranch_scc0 .LBB86_1707
; %bb.1323:
	;; [unrolled: 3-line block ×4, first 2 shown]
	s_mov_b32 s39, 0
	s_mov_b32 s27, -1
	s_cmp_eq_u32 s37, 46
	s_mov_b32 s38, 0
	s_cbranch_scc0 .LBB86_3508
; %bb.1326:
	v_mov_b32_e32 v2, 0
	s_mov_b32 s38, -1
	s_mov_b32 s27, 0
	global_store_b32 v[0:1], v2, off
	s_branch .LBB86_3508
.LBB86_1327:
	s_mov_b32 s79, -1
	s_mov_b32 s27, 0
.LBB86_1328:
                                        ; implicit-def: $vgpr7
.LBB86_1329:
	s_and_b32 vcc_lo, exec_lo, s36
	s_cbranch_vccz .LBB86_1333
; %bb.1330:
	s_cmp_eq_u32 s1, 44
	s_cbranch_scc0 .LBB86_1332
; %bb.1331:
	global_load_u8 v2, v[0:1], off
	s_mov_b32 s79, 0
	s_mov_b32 s27, -1
	s_wait_loadcnt 0x0
	v_lshlrev_b32_e32 v3, 23, v2
	v_cmp_ne_u32_e32 vcc_lo, 0, v2
	s_delay_alu instid0(VALU_DEP_2) | instskip(NEXT) | instid1(VALU_DEP_1)
	v_cvt_i32_f32_e32 v3, v3
	v_cndmask_b32_e32 v7, 0, v3, vcc_lo
	s_branch .LBB86_1333
.LBB86_1332:
	s_mov_b32 s79, -1
                                        ; implicit-def: $vgpr7
.LBB86_1333:
	s_mov_b32 s36, 0
.LBB86_1334:
	s_delay_alu instid0(SALU_CYCLE_1)
	s_and_b32 vcc_lo, exec_lo, s36
	s_cbranch_vccz .LBB86_1338
; %bb.1335:
	s_cmp_eq_u32 s1, 29
	s_cbranch_scc0 .LBB86_1337
; %bb.1336:
	global_load_b32 v7, v[0:1], off
	s_mov_b32 s27, -1
	s_mov_b32 s79, 0
	s_branch .LBB86_1338
.LBB86_1337:
	s_mov_b32 s79, -1
                                        ; implicit-def: $vgpr7
.LBB86_1338:
	s_mov_b32 s36, 0
.LBB86_1339:
	s_delay_alu instid0(SALU_CYCLE_1)
	s_and_b32 vcc_lo, exec_lo, s36
	s_cbranch_vccz .LBB86_1355
; %bb.1340:
	s_cmp_lt_i32 s1, 27
	s_cbranch_scc1 .LBB86_1343
; %bb.1341:
	s_cmp_gt_i32 s1, 27
	s_cbranch_scc0 .LBB86_1344
; %bb.1342:
	s_wait_loadcnt 0x0
	global_load_b32 v7, v[0:1], off
	s_mov_b32 s27, 0
	s_branch .LBB86_1345
.LBB86_1343:
	s_mov_b32 s27, -1
                                        ; implicit-def: $vgpr7
	s_branch .LBB86_1348
.LBB86_1344:
	s_mov_b32 s27, -1
                                        ; implicit-def: $vgpr7
.LBB86_1345:
	s_delay_alu instid0(SALU_CYCLE_1)
	s_and_not1_b32 vcc_lo, exec_lo, s27
	s_cbranch_vccnz .LBB86_1347
; %bb.1346:
	s_wait_loadcnt 0x0
	global_load_u16 v7, v[0:1], off
.LBB86_1347:
	s_mov_b32 s27, 0
.LBB86_1348:
	s_delay_alu instid0(SALU_CYCLE_1)
	s_and_not1_b32 vcc_lo, exec_lo, s27
	s_cbranch_vccnz .LBB86_1354
; %bb.1349:
	global_load_u8 v2, v[0:1], off
	s_mov_b32 s36, 0
	s_mov_b32 s27, exec_lo
	s_wait_loadcnt 0x0
	v_cmpx_lt_i16_e32 0x7f, v2
	s_xor_b32 s27, exec_lo, s27
	s_cbranch_execz .LBB86_1366
; %bb.1350:
	v_cmp_ne_u16_e32 vcc_lo, 0x80, v2
	s_and_b32 s36, vcc_lo, exec_lo
	s_and_not1_saveexec_b32 s27, s27
	s_cbranch_execnz .LBB86_1367
.LBB86_1351:
	s_or_b32 exec_lo, exec_lo, s27
	v_mov_b32_e32 v7, 0
	s_and_saveexec_b32 s27, s36
	s_cbranch_execz .LBB86_1353
.LBB86_1352:
	v_and_b32_e32 v3, 0xffff, v2
	s_delay_alu instid0(VALU_DEP_1) | instskip(SKIP_1) | instid1(VALU_DEP_2)
	v_and_b32_e32 v4, 7, v3
	v_bfe_u32 v7, v3, 3, 4
	v_clz_i32_u32_e32 v5, v4
	s_delay_alu instid0(VALU_DEP_2) | instskip(NEXT) | instid1(VALU_DEP_2)
	v_cmp_eq_u32_e32 vcc_lo, 0, v7
	v_min_u32_e32 v5, 32, v5
	s_delay_alu instid0(VALU_DEP_1) | instskip(NEXT) | instid1(VALU_DEP_1)
	v_subrev_nc_u32_e32 v6, 28, v5
	v_dual_lshlrev_b32 v3, v6, v3 :: v_dual_sub_nc_u32 v5, 29, v5
	s_delay_alu instid0(VALU_DEP_1) | instskip(NEXT) | instid1(VALU_DEP_1)
	v_dual_lshlrev_b32 v2, 24, v2 :: v_dual_bitop2_b32 v3, 7, v3 bitop3:0x40
	v_dual_cndmask_b32 v5, v7, v5, vcc_lo :: v_dual_cndmask_b32 v3, v4, v3, vcc_lo
	s_delay_alu instid0(VALU_DEP_2) | instskip(NEXT) | instid1(VALU_DEP_2)
	v_and_b32_e32 v2, 0x80000000, v2
	v_lshl_add_u32 v4, v5, 23, 0x3b800000
	s_delay_alu instid0(VALU_DEP_3) | instskip(NEXT) | instid1(VALU_DEP_1)
	v_lshlrev_b32_e32 v3, 20, v3
	v_or3_b32 v2, v2, v4, v3
	s_delay_alu instid0(VALU_DEP_1)
	v_cvt_i32_f32_e32 v7, v2
.LBB86_1353:
	s_or_b32 exec_lo, exec_lo, s27
.LBB86_1354:
	s_mov_b32 s27, -1
.LBB86_1355:
	s_mov_b32 s36, 0
.LBB86_1356:
	s_delay_alu instid0(SALU_CYCLE_1)
	s_and_b32 vcc_lo, exec_lo, s36
	s_cbranch_vccz .LBB86_1389
; %bb.1357:
	s_cmp_gt_i32 s1, 22
	s_cbranch_scc0 .LBB86_1365
; %bb.1358:
	s_cmp_lt_i32 s1, 24
	s_cbranch_scc1 .LBB86_1368
; %bb.1359:
	s_cmp_gt_i32 s1, 24
	s_cbranch_scc0 .LBB86_1369
; %bb.1360:
	global_load_u8 v2, v[0:1], off
	s_mov_b32 s36, 0
	s_mov_b32 s27, exec_lo
	s_wait_loadcnt 0x0
	v_cmpx_lt_i16_e32 0x7f, v2
	s_xor_b32 s27, exec_lo, s27
	s_cbranch_execz .LBB86_1381
; %bb.1361:
	v_cmp_ne_u16_e32 vcc_lo, 0x80, v2
	s_and_b32 s36, vcc_lo, exec_lo
	s_and_not1_saveexec_b32 s27, s27
	s_cbranch_execnz .LBB86_1382
.LBB86_1362:
	s_or_b32 exec_lo, exec_lo, s27
	v_mov_b32_e32 v7, 0
	s_and_saveexec_b32 s27, s36
	s_cbranch_execz .LBB86_1364
.LBB86_1363:
	v_and_b32_e32 v3, 0xffff, v2
	s_delay_alu instid0(VALU_DEP_1) | instskip(SKIP_1) | instid1(VALU_DEP_2)
	v_and_b32_e32 v4, 3, v3
	v_bfe_u32 v7, v3, 2, 5
	v_clz_i32_u32_e32 v5, v4
	s_delay_alu instid0(VALU_DEP_2) | instskip(NEXT) | instid1(VALU_DEP_2)
	v_cmp_eq_u32_e32 vcc_lo, 0, v7
	v_min_u32_e32 v5, 32, v5
	s_delay_alu instid0(VALU_DEP_1) | instskip(NEXT) | instid1(VALU_DEP_1)
	v_subrev_nc_u32_e32 v6, 29, v5
	v_dual_lshlrev_b32 v3, v6, v3 :: v_dual_sub_nc_u32 v5, 30, v5
	s_delay_alu instid0(VALU_DEP_1) | instskip(NEXT) | instid1(VALU_DEP_1)
	v_dual_lshlrev_b32 v2, 24, v2 :: v_dual_bitop2_b32 v3, 3, v3 bitop3:0x40
	v_dual_cndmask_b32 v5, v7, v5, vcc_lo :: v_dual_cndmask_b32 v3, v4, v3, vcc_lo
	s_delay_alu instid0(VALU_DEP_2) | instskip(NEXT) | instid1(VALU_DEP_2)
	v_and_b32_e32 v2, 0x80000000, v2
	v_lshl_add_u32 v4, v5, 23, 0x37800000
	s_delay_alu instid0(VALU_DEP_3) | instskip(NEXT) | instid1(VALU_DEP_1)
	v_lshlrev_b32_e32 v3, 21, v3
	v_or3_b32 v2, v2, v4, v3
	s_delay_alu instid0(VALU_DEP_1)
	v_cvt_i32_f32_e32 v7, v2
.LBB86_1364:
	s_or_b32 exec_lo, exec_lo, s27
	s_mov_b32 s27, 0
	s_branch .LBB86_1370
.LBB86_1365:
	s_mov_b32 s36, -1
                                        ; implicit-def: $vgpr7
	s_branch .LBB86_1376
.LBB86_1366:
	s_and_not1_saveexec_b32 s27, s27
	s_cbranch_execz .LBB86_1351
.LBB86_1367:
	v_cmp_ne_u16_e32 vcc_lo, 0, v2
	s_and_not1_b32 s36, s36, exec_lo
	s_and_b32 s37, vcc_lo, exec_lo
	s_delay_alu instid0(SALU_CYCLE_1)
	s_or_b32 s36, s36, s37
	s_or_b32 exec_lo, exec_lo, s27
	v_mov_b32_e32 v7, 0
	s_and_saveexec_b32 s27, s36
	s_cbranch_execnz .LBB86_1352
	s_branch .LBB86_1353
.LBB86_1368:
	s_mov_b32 s27, -1
                                        ; implicit-def: $vgpr7
	s_branch .LBB86_1373
.LBB86_1369:
	s_mov_b32 s27, -1
                                        ; implicit-def: $vgpr7
.LBB86_1370:
	s_delay_alu instid0(SALU_CYCLE_1)
	s_and_b32 vcc_lo, exec_lo, s27
	s_cbranch_vccz .LBB86_1372
; %bb.1371:
	global_load_u8 v2, v[0:1], off
	s_wait_loadcnt 0x0
	v_lshlrev_b32_e32 v2, 24, v2
	s_delay_alu instid0(VALU_DEP_1) | instskip(NEXT) | instid1(VALU_DEP_1)
	v_and_b32_e32 v3, 0x7f000000, v2
	v_clz_i32_u32_e32 v4, v3
	v_cmp_ne_u32_e32 vcc_lo, 0, v3
	v_add_nc_u32_e32 v6, 0x1000000, v3
	s_delay_alu instid0(VALU_DEP_3) | instskip(NEXT) | instid1(VALU_DEP_1)
	v_min_u32_e32 v4, 32, v4
	v_sub_nc_u32_e64 v4, v4, 4 clamp
	s_delay_alu instid0(VALU_DEP_1) | instskip(NEXT) | instid1(VALU_DEP_1)
	v_dual_lshlrev_b32 v5, v4, v3 :: v_dual_lshlrev_b32 v4, 23, v4
	v_lshrrev_b32_e32 v5, 4, v5
	s_delay_alu instid0(VALU_DEP_1) | instskip(NEXT) | instid1(VALU_DEP_1)
	v_dual_sub_nc_u32 v4, v5, v4 :: v_dual_ashrrev_i32 v5, 8, v6
	v_add_nc_u32_e32 v4, 0x3c000000, v4
	s_delay_alu instid0(VALU_DEP_1) | instskip(NEXT) | instid1(VALU_DEP_1)
	v_and_or_b32 v4, 0x7f800000, v5, v4
	v_cndmask_b32_e32 v3, 0, v4, vcc_lo
	s_delay_alu instid0(VALU_DEP_1) | instskip(NEXT) | instid1(VALU_DEP_1)
	v_and_or_b32 v2, 0x80000000, v2, v3
	v_cvt_i32_f32_e32 v7, v2
.LBB86_1372:
	s_mov_b32 s27, 0
.LBB86_1373:
	s_delay_alu instid0(SALU_CYCLE_1)
	s_and_not1_b32 vcc_lo, exec_lo, s27
	s_cbranch_vccnz .LBB86_1375
; %bb.1374:
	global_load_u8 v2, v[0:1], off
	s_wait_loadcnt 0x0
	v_lshlrev_b32_e32 v3, 25, v2
	v_lshlrev_b16 v2, 8, v2
	s_delay_alu instid0(VALU_DEP_1) | instskip(SKIP_1) | instid1(VALU_DEP_2)
	v_and_or_b32 v5, 0x7f00, v2, 0.5
	v_bfe_i32 v2, v2, 0, 16
	v_dual_add_f32 v5, -0.5, v5 :: v_dual_lshrrev_b32 v4, 4, v3
	v_cmp_gt_u32_e32 vcc_lo, 0x8000000, v3
	s_delay_alu instid0(VALU_DEP_2) | instskip(NEXT) | instid1(VALU_DEP_1)
	v_or_b32_e32 v4, 0x70000000, v4
	v_mul_f32_e32 v4, 0x7800000, v4
	s_delay_alu instid0(VALU_DEP_1) | instskip(NEXT) | instid1(VALU_DEP_1)
	v_cndmask_b32_e32 v3, v4, v5, vcc_lo
	v_and_or_b32 v2, 0x80000000, v2, v3
	s_delay_alu instid0(VALU_DEP_1)
	v_cvt_i32_f32_e32 v7, v2
.LBB86_1375:
	s_mov_b32 s36, 0
	s_mov_b32 s27, -1
.LBB86_1376:
	s_and_not1_b32 vcc_lo, exec_lo, s36
	s_cbranch_vccnz .LBB86_1389
; %bb.1377:
	s_cmp_gt_i32 s1, 14
	s_cbranch_scc0 .LBB86_1380
; %bb.1378:
	s_cmp_eq_u32 s1, 15
	s_cbranch_scc0 .LBB86_1383
; %bb.1379:
	global_load_u16 v2, v[0:1], off
	s_mov_b32 s27, -1
	s_mov_b32 s79, 0
	s_wait_loadcnt 0x0
	v_lshlrev_b32_e32 v2, 16, v2
	s_delay_alu instid0(VALU_DEP_1)
	v_cvt_i32_f32_e32 v7, v2
	s_branch .LBB86_1384
.LBB86_1380:
	s_mov_b32 s36, -1
                                        ; implicit-def: $vgpr7
	s_branch .LBB86_1385
.LBB86_1381:
	s_and_not1_saveexec_b32 s27, s27
	s_cbranch_execz .LBB86_1362
.LBB86_1382:
	v_cmp_ne_u16_e32 vcc_lo, 0, v2
	s_and_not1_b32 s36, s36, exec_lo
	s_and_b32 s37, vcc_lo, exec_lo
	s_delay_alu instid0(SALU_CYCLE_1)
	s_or_b32 s36, s36, s37
	s_or_b32 exec_lo, exec_lo, s27
	v_mov_b32_e32 v7, 0
	s_and_saveexec_b32 s27, s36
	s_cbranch_execnz .LBB86_1363
	s_branch .LBB86_1364
.LBB86_1383:
	s_mov_b32 s79, -1
                                        ; implicit-def: $vgpr7
.LBB86_1384:
	s_mov_b32 s36, 0
.LBB86_1385:
	s_delay_alu instid0(SALU_CYCLE_1)
	s_and_b32 vcc_lo, exec_lo, s36
	s_cbranch_vccz .LBB86_1389
; %bb.1386:
	s_cmp_eq_u32 s1, 11
	s_cbranch_scc0 .LBB86_1388
; %bb.1387:
	global_load_u8 v2, v[0:1], off
	s_mov_b32 s79, 0
	s_mov_b32 s27, -1
	s_wait_loadcnt 0x0
	v_cmp_ne_u16_e32 vcc_lo, 0, v2
	v_cndmask_b32_e64 v7, 0, 1, vcc_lo
	s_branch .LBB86_1389
.LBB86_1388:
	s_mov_b32 s79, -1
                                        ; implicit-def: $vgpr7
.LBB86_1389:
	s_mov_b32 s1, 0
.LBB86_1390:
	s_delay_alu instid0(SALU_CYCLE_1)
	s_and_b32 vcc_lo, exec_lo, s1
	s_cbranch_vccz .LBB86_1439
; %bb.1391:
	s_and_b32 s0, 0xffff, s0
	s_delay_alu instid0(SALU_CYCLE_1)
	s_cmp_lt_i32 s0, 5
	s_cbranch_scc1 .LBB86_1396
; %bb.1392:
	s_cmp_lt_i32 s0, 8
	s_cbranch_scc1 .LBB86_1397
; %bb.1393:
	;; [unrolled: 3-line block ×3, first 2 shown]
	s_cmp_gt_i32 s0, 9
	s_cbranch_scc0 .LBB86_1399
; %bb.1395:
	global_load_b64 v[2:3], v[0:1], off
	s_mov_b32 s1, 0
	s_wait_loadcnt 0x0
	v_cvt_i32_f64_e32 v7, v[2:3]
	s_branch .LBB86_1400
.LBB86_1396:
	s_mov_b32 s1, -1
                                        ; implicit-def: $vgpr7
	s_branch .LBB86_1418
.LBB86_1397:
	s_mov_b32 s1, -1
                                        ; implicit-def: $vgpr7
	s_branch .LBB86_1406
.LBB86_1398:
	s_mov_b32 s1, -1
                                        ; implicit-def: $vgpr7
	s_branch .LBB86_1403
.LBB86_1399:
	s_mov_b32 s1, -1
                                        ; implicit-def: $vgpr7
.LBB86_1400:
	s_delay_alu instid0(SALU_CYCLE_1)
	s_and_not1_b32 vcc_lo, exec_lo, s1
	s_cbranch_vccnz .LBB86_1402
; %bb.1401:
	global_load_b32 v2, v[0:1], off
	s_wait_loadcnt 0x0
	v_cvt_i32_f32_e32 v7, v2
.LBB86_1402:
	s_mov_b32 s1, 0
.LBB86_1403:
	s_delay_alu instid0(SALU_CYCLE_1)
	s_and_not1_b32 vcc_lo, exec_lo, s1
	s_cbranch_vccnz .LBB86_1405
; %bb.1404:
	global_load_b32 v2, v[0:1], off
	s_wait_loadcnt 0x0
	v_cvt_f32_f16_e32 v2, v2
	s_delay_alu instid0(VALU_DEP_1)
	v_cvt_i32_f32_e32 v7, v2
.LBB86_1405:
	s_mov_b32 s1, 0
.LBB86_1406:
	s_delay_alu instid0(SALU_CYCLE_1)
	s_and_not1_b32 vcc_lo, exec_lo, s1
	s_cbranch_vccnz .LBB86_1417
; %bb.1407:
	s_cmp_lt_i32 s0, 6
	s_cbranch_scc1 .LBB86_1410
; %bb.1408:
	s_cmp_gt_i32 s0, 6
	s_cbranch_scc0 .LBB86_1411
; %bb.1409:
	global_load_b64 v[2:3], v[0:1], off
	s_mov_b32 s1, 0
	s_wait_loadcnt 0x0
	v_cvt_i32_f64_e32 v7, v[2:3]
	s_branch .LBB86_1412
.LBB86_1410:
	s_mov_b32 s1, -1
                                        ; implicit-def: $vgpr7
	s_branch .LBB86_1415
.LBB86_1411:
	s_mov_b32 s1, -1
                                        ; implicit-def: $vgpr7
.LBB86_1412:
	s_delay_alu instid0(SALU_CYCLE_1)
	s_and_not1_b32 vcc_lo, exec_lo, s1
	s_cbranch_vccnz .LBB86_1414
; %bb.1413:
	global_load_b32 v2, v[0:1], off
	s_wait_loadcnt 0x0
	v_cvt_i32_f32_e32 v7, v2
.LBB86_1414:
	s_mov_b32 s1, 0
.LBB86_1415:
	s_delay_alu instid0(SALU_CYCLE_1)
	s_and_not1_b32 vcc_lo, exec_lo, s1
	s_cbranch_vccnz .LBB86_1417
; %bb.1416:
	global_load_u16 v2, v[0:1], off
	s_wait_loadcnt 0x0
	v_cvt_f32_f16_e32 v2, v2
	s_delay_alu instid0(VALU_DEP_1)
	v_cvt_i32_f32_e32 v7, v2
.LBB86_1417:
	s_mov_b32 s1, 0
.LBB86_1418:
	s_delay_alu instid0(SALU_CYCLE_1)
	s_and_not1_b32 vcc_lo, exec_lo, s1
	s_cbranch_vccnz .LBB86_1438
; %bb.1419:
	s_cmp_lt_i32 s0, 2
	s_cbranch_scc1 .LBB86_1423
; %bb.1420:
	s_cmp_lt_i32 s0, 3
	s_cbranch_scc1 .LBB86_1424
; %bb.1421:
	s_cmp_gt_i32 s0, 3
	s_cbranch_scc0 .LBB86_1425
; %bb.1422:
	s_wait_loadcnt 0x0
	global_load_b32 v7, v[0:1], off
	s_mov_b32 s1, 0
	s_branch .LBB86_1426
.LBB86_1423:
	s_mov_b32 s1, -1
                                        ; implicit-def: $vgpr7
	s_branch .LBB86_1432
.LBB86_1424:
	s_mov_b32 s1, -1
                                        ; implicit-def: $vgpr7
	s_branch .LBB86_1429
.LBB86_1425:
	s_mov_b32 s1, -1
                                        ; implicit-def: $vgpr7
.LBB86_1426:
	s_delay_alu instid0(SALU_CYCLE_1)
	s_and_not1_b32 vcc_lo, exec_lo, s1
	s_cbranch_vccnz .LBB86_1428
; %bb.1427:
	s_wait_loadcnt 0x0
	global_load_b32 v7, v[0:1], off
.LBB86_1428:
	s_mov_b32 s1, 0
.LBB86_1429:
	s_delay_alu instid0(SALU_CYCLE_1)
	s_and_not1_b32 vcc_lo, exec_lo, s1
	s_cbranch_vccnz .LBB86_1431
; %bb.1430:
	s_wait_loadcnt 0x0
	global_load_i16 v7, v[0:1], off
.LBB86_1431:
	s_mov_b32 s1, 0
.LBB86_1432:
	s_delay_alu instid0(SALU_CYCLE_1)
	s_and_not1_b32 vcc_lo, exec_lo, s1
	s_cbranch_vccnz .LBB86_1438
; %bb.1433:
	s_cmp_gt_i32 s0, 0
	s_mov_b32 s0, 0
	s_cbranch_scc0 .LBB86_1435
; %bb.1434:
	s_wait_loadcnt 0x0
	global_load_i8 v7, v[0:1], off
	s_branch .LBB86_1436
.LBB86_1435:
	s_mov_b32 s0, -1
                                        ; implicit-def: $vgpr7
.LBB86_1436:
	s_delay_alu instid0(SALU_CYCLE_1)
	s_and_not1_b32 vcc_lo, exec_lo, s0
	s_cbranch_vccnz .LBB86_1438
; %bb.1437:
	s_wait_loadcnt 0x0
	global_load_u8 v7, v[0:1], off
.LBB86_1438:
	s_mov_b32 s27, -1
.LBB86_1439:
	s_delay_alu instid0(SALU_CYCLE_1)
	s_and_not1_b32 vcc_lo, exec_lo, s27
	s_cbranch_vccnz .LBB86_1447
; %bb.1440:
	s_wait_xcnt 0x0
	v_mul_lo_u32 v0, s21, v22
	s_and_b32 s0, s53, 0xff
	s_delay_alu instid0(SALU_CYCLE_1) | instskip(NEXT) | instid1(VALU_DEP_1)
	s_cmp_lt_i32 s0, 11
	v_ashrrev_i32_e32 v1, 31, v0
	s_delay_alu instid0(VALU_DEP_1)
	v_add_nc_u64_e32 v[0:1], s[6:7], v[0:1]
	s_cbranch_scc1 .LBB86_1448
; %bb.1441:
	s_and_b32 s1, 0xffff, s0
	s_delay_alu instid0(SALU_CYCLE_1)
	s_cmp_gt_i32 s1, 25
	s_cbranch_scc0 .LBB86_1449
; %bb.1442:
	s_cmp_gt_i32 s1, 28
	s_cbranch_scc0 .LBB86_1450
; %bb.1443:
	s_cmp_gt_i32 s1, 43
	s_cbranch_scc0 .LBB86_1451
; %bb.1444:
	s_cmp_gt_i32 s1, 45
	s_cbranch_scc0 .LBB86_1452
; %bb.1445:
	s_cmp_eq_u32 s1, 46
	s_mov_b32 s36, 0
	s_cbranch_scc0 .LBB86_1454
; %bb.1446:
	global_load_b32 v2, v[0:1], off
	s_mov_b32 s27, -1
	s_mov_b32 s80, 0
	s_wait_loadcnt 0x0
	v_lshlrev_b32_e32 v2, 16, v2
	s_delay_alu instid0(VALU_DEP_1)
	v_cvt_i32_f32_e32 v8, v2
	s_branch .LBB86_1456
.LBB86_1447:
	s_mov_b32 s0, 0
	s_mov_b32 s1, s74
	;; [unrolled: 1-line block ×10, first 2 shown]
	s_branch .LBB86_2045
.LBB86_1448:
	s_mov_b32 s1, -1
	s_mov_b32 s27, 0
	s_mov_b32 s80, s69
                                        ; implicit-def: $vgpr8
	s_branch .LBB86_1517
.LBB86_1449:
	s_mov_b32 s36, -1
	s_mov_b32 s27, 0
	s_mov_b32 s80, s69
                                        ; implicit-def: $vgpr8
	s_branch .LBB86_1483
.LBB86_1450:
	s_mov_b32 s36, -1
	s_mov_b32 s27, 0
	s_mov_b32 s80, s69
                                        ; implicit-def: $vgpr8
	s_branch .LBB86_1466
.LBB86_1451:
	s_mov_b32 s36, -1
	s_mov_b32 s27, 0
	s_mov_b32 s80, s69
                                        ; implicit-def: $vgpr8
	s_branch .LBB86_1461
.LBB86_1452:
	s_mov_b32 s36, -1
	s_mov_b32 s27, 0
	s_mov_b32 s80, s69
	s_branch .LBB86_1455
.LBB86_1453:
	s_mov_b32 s37, -1
	s_mov_b32 s38, 0
	s_mov_b32 s27, s54
	s_branch .LBB86_3547
.LBB86_1454:
	s_mov_b32 s27, 0
.LBB86_1455:
                                        ; implicit-def: $vgpr8
.LBB86_1456:
	s_and_b32 vcc_lo, exec_lo, s36
	s_cbranch_vccz .LBB86_1460
; %bb.1457:
	s_cmp_eq_u32 s1, 44
	s_cbranch_scc0 .LBB86_1459
; %bb.1458:
	global_load_u8 v2, v[0:1], off
	s_mov_b32 s80, 0
	s_mov_b32 s27, -1
	s_wait_loadcnt 0x0
	v_lshlrev_b32_e32 v3, 23, v2
	v_cmp_ne_u32_e32 vcc_lo, 0, v2
	s_delay_alu instid0(VALU_DEP_2) | instskip(NEXT) | instid1(VALU_DEP_1)
	v_cvt_i32_f32_e32 v3, v3
	v_cndmask_b32_e32 v8, 0, v3, vcc_lo
	s_branch .LBB86_1460
.LBB86_1459:
	s_mov_b32 s80, -1
                                        ; implicit-def: $vgpr8
.LBB86_1460:
	s_mov_b32 s36, 0
.LBB86_1461:
	s_delay_alu instid0(SALU_CYCLE_1)
	s_and_b32 vcc_lo, exec_lo, s36
	s_cbranch_vccz .LBB86_1465
; %bb.1462:
	s_cmp_eq_u32 s1, 29
	s_cbranch_scc0 .LBB86_1464
; %bb.1463:
	global_load_b32 v8, v[0:1], off
	s_mov_b32 s27, -1
	s_mov_b32 s80, 0
	s_branch .LBB86_1465
.LBB86_1464:
	s_mov_b32 s80, -1
                                        ; implicit-def: $vgpr8
.LBB86_1465:
	s_mov_b32 s36, 0
.LBB86_1466:
	s_delay_alu instid0(SALU_CYCLE_1)
	s_and_b32 vcc_lo, exec_lo, s36
	s_cbranch_vccz .LBB86_1482
; %bb.1467:
	s_cmp_lt_i32 s1, 27
	s_cbranch_scc1 .LBB86_1470
; %bb.1468:
	s_cmp_gt_i32 s1, 27
	s_cbranch_scc0 .LBB86_1471
; %bb.1469:
	s_wait_loadcnt 0x0
	global_load_b32 v8, v[0:1], off
	s_mov_b32 s27, 0
	s_branch .LBB86_1472
.LBB86_1470:
	s_mov_b32 s27, -1
                                        ; implicit-def: $vgpr8
	s_branch .LBB86_1475
.LBB86_1471:
	s_mov_b32 s27, -1
                                        ; implicit-def: $vgpr8
.LBB86_1472:
	s_delay_alu instid0(SALU_CYCLE_1)
	s_and_not1_b32 vcc_lo, exec_lo, s27
	s_cbranch_vccnz .LBB86_1474
; %bb.1473:
	s_wait_loadcnt 0x0
	global_load_u16 v8, v[0:1], off
.LBB86_1474:
	s_mov_b32 s27, 0
.LBB86_1475:
	s_delay_alu instid0(SALU_CYCLE_1)
	s_and_not1_b32 vcc_lo, exec_lo, s27
	s_cbranch_vccnz .LBB86_1481
; %bb.1476:
	global_load_u8 v2, v[0:1], off
	s_mov_b32 s36, 0
	s_mov_b32 s27, exec_lo
	s_wait_loadcnt 0x0
	v_cmpx_lt_i16_e32 0x7f, v2
	s_xor_b32 s27, exec_lo, s27
	s_cbranch_execz .LBB86_1493
; %bb.1477:
	v_cmp_ne_u16_e32 vcc_lo, 0x80, v2
	s_and_b32 s36, vcc_lo, exec_lo
	s_and_not1_saveexec_b32 s27, s27
	s_cbranch_execnz .LBB86_1494
.LBB86_1478:
	s_or_b32 exec_lo, exec_lo, s27
	v_mov_b32_e32 v8, 0
	s_and_saveexec_b32 s27, s36
	s_cbranch_execz .LBB86_1480
.LBB86_1479:
	v_and_b32_e32 v3, 0xffff, v2
	s_delay_alu instid0(VALU_DEP_1) | instskip(SKIP_1) | instid1(VALU_DEP_2)
	v_and_b32_e32 v4, 7, v3
	v_bfe_u32 v8, v3, 3, 4
	v_clz_i32_u32_e32 v5, v4
	s_delay_alu instid0(VALU_DEP_2) | instskip(NEXT) | instid1(VALU_DEP_2)
	v_cmp_eq_u32_e32 vcc_lo, 0, v8
	v_min_u32_e32 v5, 32, v5
	s_delay_alu instid0(VALU_DEP_1) | instskip(NEXT) | instid1(VALU_DEP_1)
	v_subrev_nc_u32_e32 v6, 28, v5
	v_dual_lshlrev_b32 v3, v6, v3 :: v_dual_sub_nc_u32 v5, 29, v5
	s_delay_alu instid0(VALU_DEP_1) | instskip(NEXT) | instid1(VALU_DEP_2)
	v_dual_lshlrev_b32 v2, 24, v2 :: v_dual_bitop2_b32 v3, 7, v3 bitop3:0x40
	v_cndmask_b32_e32 v5, v8, v5, vcc_lo
	s_delay_alu instid0(VALU_DEP_2) | instskip(NEXT) | instid1(VALU_DEP_3)
	v_cndmask_b32_e32 v3, v4, v3, vcc_lo
	v_and_b32_e32 v2, 0x80000000, v2
	s_delay_alu instid0(VALU_DEP_3) | instskip(NEXT) | instid1(VALU_DEP_3)
	v_lshl_add_u32 v4, v5, 23, 0x3b800000
	v_lshlrev_b32_e32 v3, 20, v3
	s_delay_alu instid0(VALU_DEP_1) | instskip(NEXT) | instid1(VALU_DEP_1)
	v_or3_b32 v2, v2, v4, v3
	v_cvt_i32_f32_e32 v8, v2
.LBB86_1480:
	s_or_b32 exec_lo, exec_lo, s27
.LBB86_1481:
	s_mov_b32 s27, -1
.LBB86_1482:
	s_mov_b32 s36, 0
.LBB86_1483:
	s_delay_alu instid0(SALU_CYCLE_1)
	s_and_b32 vcc_lo, exec_lo, s36
	s_cbranch_vccz .LBB86_1516
; %bb.1484:
	s_cmp_gt_i32 s1, 22
	s_cbranch_scc0 .LBB86_1492
; %bb.1485:
	s_cmp_lt_i32 s1, 24
	s_cbranch_scc1 .LBB86_1495
; %bb.1486:
	s_cmp_gt_i32 s1, 24
	s_cbranch_scc0 .LBB86_1496
; %bb.1487:
	global_load_u8 v2, v[0:1], off
	s_mov_b32 s36, 0
	s_mov_b32 s27, exec_lo
	s_wait_loadcnt 0x0
	v_cmpx_lt_i16_e32 0x7f, v2
	s_xor_b32 s27, exec_lo, s27
	s_cbranch_execz .LBB86_1508
; %bb.1488:
	v_cmp_ne_u16_e32 vcc_lo, 0x80, v2
	s_and_b32 s36, vcc_lo, exec_lo
	s_and_not1_saveexec_b32 s27, s27
	s_cbranch_execnz .LBB86_1509
.LBB86_1489:
	s_or_b32 exec_lo, exec_lo, s27
	v_mov_b32_e32 v8, 0
	s_and_saveexec_b32 s27, s36
	s_cbranch_execz .LBB86_1491
.LBB86_1490:
	v_and_b32_e32 v3, 0xffff, v2
	s_delay_alu instid0(VALU_DEP_1) | instskip(SKIP_1) | instid1(VALU_DEP_2)
	v_and_b32_e32 v4, 3, v3
	v_bfe_u32 v8, v3, 2, 5
	v_clz_i32_u32_e32 v5, v4
	s_delay_alu instid0(VALU_DEP_2) | instskip(NEXT) | instid1(VALU_DEP_2)
	v_cmp_eq_u32_e32 vcc_lo, 0, v8
	v_min_u32_e32 v5, 32, v5
	s_delay_alu instid0(VALU_DEP_1) | instskip(NEXT) | instid1(VALU_DEP_1)
	v_subrev_nc_u32_e32 v6, 29, v5
	v_dual_lshlrev_b32 v3, v6, v3 :: v_dual_sub_nc_u32 v5, 30, v5
	s_delay_alu instid0(VALU_DEP_1) | instskip(NEXT) | instid1(VALU_DEP_2)
	v_dual_lshlrev_b32 v2, 24, v2 :: v_dual_bitop2_b32 v3, 3, v3 bitop3:0x40
	v_cndmask_b32_e32 v5, v8, v5, vcc_lo
	s_delay_alu instid0(VALU_DEP_2) | instskip(NEXT) | instid1(VALU_DEP_3)
	v_cndmask_b32_e32 v3, v4, v3, vcc_lo
	v_and_b32_e32 v2, 0x80000000, v2
	s_delay_alu instid0(VALU_DEP_3) | instskip(NEXT) | instid1(VALU_DEP_3)
	v_lshl_add_u32 v4, v5, 23, 0x37800000
	v_lshlrev_b32_e32 v3, 21, v3
	s_delay_alu instid0(VALU_DEP_1) | instskip(NEXT) | instid1(VALU_DEP_1)
	v_or3_b32 v2, v2, v4, v3
	v_cvt_i32_f32_e32 v8, v2
.LBB86_1491:
	s_or_b32 exec_lo, exec_lo, s27
	s_mov_b32 s27, 0
	s_branch .LBB86_1497
.LBB86_1492:
	s_mov_b32 s36, -1
                                        ; implicit-def: $vgpr8
	s_branch .LBB86_1503
.LBB86_1493:
	s_and_not1_saveexec_b32 s27, s27
	s_cbranch_execz .LBB86_1478
.LBB86_1494:
	v_cmp_ne_u16_e32 vcc_lo, 0, v2
	s_and_not1_b32 s36, s36, exec_lo
	s_and_b32 s37, vcc_lo, exec_lo
	s_delay_alu instid0(SALU_CYCLE_1)
	s_or_b32 s36, s36, s37
	s_or_b32 exec_lo, exec_lo, s27
	v_mov_b32_e32 v8, 0
	s_and_saveexec_b32 s27, s36
	s_cbranch_execnz .LBB86_1479
	s_branch .LBB86_1480
.LBB86_1495:
	s_mov_b32 s27, -1
                                        ; implicit-def: $vgpr8
	s_branch .LBB86_1500
.LBB86_1496:
	s_mov_b32 s27, -1
                                        ; implicit-def: $vgpr8
.LBB86_1497:
	s_delay_alu instid0(SALU_CYCLE_1)
	s_and_b32 vcc_lo, exec_lo, s27
	s_cbranch_vccz .LBB86_1499
; %bb.1498:
	global_load_u8 v2, v[0:1], off
	s_wait_loadcnt 0x0
	v_lshlrev_b32_e32 v2, 24, v2
	s_delay_alu instid0(VALU_DEP_1) | instskip(NEXT) | instid1(VALU_DEP_1)
	v_and_b32_e32 v3, 0x7f000000, v2
	v_clz_i32_u32_e32 v4, v3
	v_cmp_ne_u32_e32 vcc_lo, 0, v3
	v_add_nc_u32_e32 v6, 0x1000000, v3
	s_delay_alu instid0(VALU_DEP_3) | instskip(NEXT) | instid1(VALU_DEP_1)
	v_min_u32_e32 v4, 32, v4
	v_sub_nc_u32_e64 v4, v4, 4 clamp
	s_delay_alu instid0(VALU_DEP_1) | instskip(NEXT) | instid1(VALU_DEP_1)
	v_dual_lshlrev_b32 v5, v4, v3 :: v_dual_lshlrev_b32 v4, 23, v4
	v_lshrrev_b32_e32 v5, 4, v5
	s_delay_alu instid0(VALU_DEP_1) | instskip(NEXT) | instid1(VALU_DEP_1)
	v_dual_sub_nc_u32 v4, v5, v4 :: v_dual_ashrrev_i32 v5, 8, v6
	v_add_nc_u32_e32 v4, 0x3c000000, v4
	s_delay_alu instid0(VALU_DEP_1) | instskip(NEXT) | instid1(VALU_DEP_1)
	v_and_or_b32 v4, 0x7f800000, v5, v4
	v_cndmask_b32_e32 v3, 0, v4, vcc_lo
	s_delay_alu instid0(VALU_DEP_1) | instskip(NEXT) | instid1(VALU_DEP_1)
	v_and_or_b32 v2, 0x80000000, v2, v3
	v_cvt_i32_f32_e32 v8, v2
.LBB86_1499:
	s_mov_b32 s27, 0
.LBB86_1500:
	s_delay_alu instid0(SALU_CYCLE_1)
	s_and_not1_b32 vcc_lo, exec_lo, s27
	s_cbranch_vccnz .LBB86_1502
; %bb.1501:
	global_load_u8 v2, v[0:1], off
	s_wait_loadcnt 0x0
	v_lshlrev_b32_e32 v3, 25, v2
	v_lshlrev_b16 v2, 8, v2
	s_delay_alu instid0(VALU_DEP_1) | instskip(SKIP_1) | instid1(VALU_DEP_2)
	v_and_or_b32 v5, 0x7f00, v2, 0.5
	v_bfe_i32 v2, v2, 0, 16
	v_dual_add_f32 v5, -0.5, v5 :: v_dual_lshrrev_b32 v4, 4, v3
	v_cmp_gt_u32_e32 vcc_lo, 0x8000000, v3
	s_delay_alu instid0(VALU_DEP_2) | instskip(NEXT) | instid1(VALU_DEP_1)
	v_or_b32_e32 v4, 0x70000000, v4
	v_mul_f32_e32 v4, 0x7800000, v4
	s_delay_alu instid0(VALU_DEP_1) | instskip(NEXT) | instid1(VALU_DEP_1)
	v_cndmask_b32_e32 v3, v4, v5, vcc_lo
	v_and_or_b32 v2, 0x80000000, v2, v3
	s_delay_alu instid0(VALU_DEP_1)
	v_cvt_i32_f32_e32 v8, v2
.LBB86_1502:
	s_mov_b32 s36, 0
	s_mov_b32 s27, -1
.LBB86_1503:
	s_and_not1_b32 vcc_lo, exec_lo, s36
	s_cbranch_vccnz .LBB86_1516
; %bb.1504:
	s_cmp_gt_i32 s1, 14
	s_cbranch_scc0 .LBB86_1507
; %bb.1505:
	s_cmp_eq_u32 s1, 15
	s_cbranch_scc0 .LBB86_1510
; %bb.1506:
	global_load_u16 v2, v[0:1], off
	s_mov_b32 s27, -1
	s_mov_b32 s80, 0
	s_wait_loadcnt 0x0
	v_lshlrev_b32_e32 v2, 16, v2
	s_delay_alu instid0(VALU_DEP_1)
	v_cvt_i32_f32_e32 v8, v2
	s_branch .LBB86_1511
.LBB86_1507:
	s_mov_b32 s36, -1
                                        ; implicit-def: $vgpr8
	s_branch .LBB86_1512
.LBB86_1508:
	s_and_not1_saveexec_b32 s27, s27
	s_cbranch_execz .LBB86_1489
.LBB86_1509:
	v_cmp_ne_u16_e32 vcc_lo, 0, v2
	s_and_not1_b32 s36, s36, exec_lo
	s_and_b32 s37, vcc_lo, exec_lo
	s_delay_alu instid0(SALU_CYCLE_1)
	s_or_b32 s36, s36, s37
	s_or_b32 exec_lo, exec_lo, s27
	v_mov_b32_e32 v8, 0
	s_and_saveexec_b32 s27, s36
	s_cbranch_execnz .LBB86_1490
	s_branch .LBB86_1491
.LBB86_1510:
	s_mov_b32 s80, -1
                                        ; implicit-def: $vgpr8
.LBB86_1511:
	s_mov_b32 s36, 0
.LBB86_1512:
	s_delay_alu instid0(SALU_CYCLE_1)
	s_and_b32 vcc_lo, exec_lo, s36
	s_cbranch_vccz .LBB86_1516
; %bb.1513:
	s_cmp_eq_u32 s1, 11
	s_cbranch_scc0 .LBB86_1515
; %bb.1514:
	global_load_u8 v2, v[0:1], off
	s_mov_b32 s80, 0
	s_mov_b32 s27, -1
	s_wait_loadcnt 0x0
	v_cmp_ne_u16_e32 vcc_lo, 0, v2
	v_cndmask_b32_e64 v8, 0, 1, vcc_lo
	s_branch .LBB86_1516
.LBB86_1515:
	s_mov_b32 s80, -1
                                        ; implicit-def: $vgpr8
.LBB86_1516:
	s_mov_b32 s1, 0
.LBB86_1517:
	s_delay_alu instid0(SALU_CYCLE_1)
	s_and_b32 vcc_lo, exec_lo, s1
	s_cbranch_vccz .LBB86_1566
; %bb.1518:
	s_and_b32 s0, 0xffff, s0
	s_delay_alu instid0(SALU_CYCLE_1)
	s_cmp_lt_i32 s0, 5
	s_cbranch_scc1 .LBB86_1523
; %bb.1519:
	s_cmp_lt_i32 s0, 8
	s_cbranch_scc1 .LBB86_1524
; %bb.1520:
	;; [unrolled: 3-line block ×3, first 2 shown]
	s_cmp_gt_i32 s0, 9
	s_cbranch_scc0 .LBB86_1526
; %bb.1522:
	global_load_b64 v[2:3], v[0:1], off
	s_mov_b32 s1, 0
	s_wait_loadcnt 0x0
	v_cvt_i32_f64_e32 v8, v[2:3]
	s_branch .LBB86_1527
.LBB86_1523:
	s_mov_b32 s1, -1
                                        ; implicit-def: $vgpr8
	s_branch .LBB86_1545
.LBB86_1524:
	s_mov_b32 s1, -1
                                        ; implicit-def: $vgpr8
	s_branch .LBB86_1533
.LBB86_1525:
	s_mov_b32 s1, -1
                                        ; implicit-def: $vgpr8
	s_branch .LBB86_1530
.LBB86_1526:
	s_mov_b32 s1, -1
                                        ; implicit-def: $vgpr8
.LBB86_1527:
	s_delay_alu instid0(SALU_CYCLE_1)
	s_and_not1_b32 vcc_lo, exec_lo, s1
	s_cbranch_vccnz .LBB86_1529
; %bb.1528:
	global_load_b32 v2, v[0:1], off
	s_wait_loadcnt 0x0
	v_cvt_i32_f32_e32 v8, v2
.LBB86_1529:
	s_mov_b32 s1, 0
.LBB86_1530:
	s_delay_alu instid0(SALU_CYCLE_1)
	s_and_not1_b32 vcc_lo, exec_lo, s1
	s_cbranch_vccnz .LBB86_1532
; %bb.1531:
	global_load_b32 v2, v[0:1], off
	s_wait_loadcnt 0x0
	v_cvt_f32_f16_e32 v2, v2
	s_delay_alu instid0(VALU_DEP_1)
	v_cvt_i32_f32_e32 v8, v2
.LBB86_1532:
	s_mov_b32 s1, 0
.LBB86_1533:
	s_delay_alu instid0(SALU_CYCLE_1)
	s_and_not1_b32 vcc_lo, exec_lo, s1
	s_cbranch_vccnz .LBB86_1544
; %bb.1534:
	s_cmp_lt_i32 s0, 6
	s_cbranch_scc1 .LBB86_1537
; %bb.1535:
	s_cmp_gt_i32 s0, 6
	s_cbranch_scc0 .LBB86_1538
; %bb.1536:
	global_load_b64 v[2:3], v[0:1], off
	s_mov_b32 s1, 0
	s_wait_loadcnt 0x0
	v_cvt_i32_f64_e32 v8, v[2:3]
	s_branch .LBB86_1539
.LBB86_1537:
	s_mov_b32 s1, -1
                                        ; implicit-def: $vgpr8
	s_branch .LBB86_1542
.LBB86_1538:
	s_mov_b32 s1, -1
                                        ; implicit-def: $vgpr8
.LBB86_1539:
	s_delay_alu instid0(SALU_CYCLE_1)
	s_and_not1_b32 vcc_lo, exec_lo, s1
	s_cbranch_vccnz .LBB86_1541
; %bb.1540:
	global_load_b32 v2, v[0:1], off
	s_wait_loadcnt 0x0
	v_cvt_i32_f32_e32 v8, v2
.LBB86_1541:
	s_mov_b32 s1, 0
.LBB86_1542:
	s_delay_alu instid0(SALU_CYCLE_1)
	s_and_not1_b32 vcc_lo, exec_lo, s1
	s_cbranch_vccnz .LBB86_1544
; %bb.1543:
	global_load_u16 v2, v[0:1], off
	s_wait_loadcnt 0x0
	v_cvt_f32_f16_e32 v2, v2
	s_delay_alu instid0(VALU_DEP_1)
	v_cvt_i32_f32_e32 v8, v2
.LBB86_1544:
	s_mov_b32 s1, 0
.LBB86_1545:
	s_delay_alu instid0(SALU_CYCLE_1)
	s_and_not1_b32 vcc_lo, exec_lo, s1
	s_cbranch_vccnz .LBB86_1565
; %bb.1546:
	s_cmp_lt_i32 s0, 2
	s_cbranch_scc1 .LBB86_1550
; %bb.1547:
	s_cmp_lt_i32 s0, 3
	s_cbranch_scc1 .LBB86_1551
; %bb.1548:
	s_cmp_gt_i32 s0, 3
	s_cbranch_scc0 .LBB86_1552
; %bb.1549:
	s_wait_loadcnt 0x0
	global_load_b32 v8, v[0:1], off
	s_mov_b32 s1, 0
	s_branch .LBB86_1553
.LBB86_1550:
	s_mov_b32 s1, -1
                                        ; implicit-def: $vgpr8
	s_branch .LBB86_1559
.LBB86_1551:
	s_mov_b32 s1, -1
                                        ; implicit-def: $vgpr8
	s_branch .LBB86_1556
.LBB86_1552:
	s_mov_b32 s1, -1
                                        ; implicit-def: $vgpr8
.LBB86_1553:
	s_delay_alu instid0(SALU_CYCLE_1)
	s_and_not1_b32 vcc_lo, exec_lo, s1
	s_cbranch_vccnz .LBB86_1555
; %bb.1554:
	s_wait_loadcnt 0x0
	global_load_b32 v8, v[0:1], off
.LBB86_1555:
	s_mov_b32 s1, 0
.LBB86_1556:
	s_delay_alu instid0(SALU_CYCLE_1)
	s_and_not1_b32 vcc_lo, exec_lo, s1
	s_cbranch_vccnz .LBB86_1558
; %bb.1557:
	s_wait_loadcnt 0x0
	global_load_i16 v8, v[0:1], off
.LBB86_1558:
	s_mov_b32 s1, 0
.LBB86_1559:
	s_delay_alu instid0(SALU_CYCLE_1)
	s_and_not1_b32 vcc_lo, exec_lo, s1
	s_cbranch_vccnz .LBB86_1565
; %bb.1560:
	s_cmp_gt_i32 s0, 0
	s_mov_b32 s0, 0
	s_cbranch_scc0 .LBB86_1562
; %bb.1561:
	s_wait_loadcnt 0x0
	global_load_i8 v8, v[0:1], off
	s_branch .LBB86_1563
.LBB86_1562:
	s_mov_b32 s0, -1
                                        ; implicit-def: $vgpr8
.LBB86_1563:
	s_delay_alu instid0(SALU_CYCLE_1)
	s_and_not1_b32 vcc_lo, exec_lo, s0
	s_cbranch_vccnz .LBB86_1565
; %bb.1564:
	s_wait_loadcnt 0x0
	global_load_u8 v8, v[0:1], off
.LBB86_1565:
	s_mov_b32 s27, -1
.LBB86_1566:
	s_delay_alu instid0(SALU_CYCLE_1)
	s_and_not1_b32 vcc_lo, exec_lo, s27
	s_cbranch_vccnz .LBB86_1574
; %bb.1567:
	s_wait_xcnt 0x0
	v_mul_lo_u32 v0, s22, v22
	s_and_b32 s0, s34, 0xff
	s_delay_alu instid0(SALU_CYCLE_1) | instskip(NEXT) | instid1(VALU_DEP_1)
	s_cmp_lt_i32 s0, 11
	v_ashrrev_i32_e32 v1, 31, v0
	s_delay_alu instid0(VALU_DEP_1)
	v_add_nc_u64_e32 v[2:3], s[8:9], v[0:1]
	s_cbranch_scc1 .LBB86_1575
; %bb.1568:
	s_and_b32 s1, 0xffff, s0
	s_delay_alu instid0(SALU_CYCLE_1)
	s_cmp_gt_i32 s1, 25
	s_cbranch_scc0 .LBB86_1576
; %bb.1569:
	s_cmp_gt_i32 s1, 28
	s_cbranch_scc0 .LBB86_1577
; %bb.1570:
	;; [unrolled: 3-line block ×4, first 2 shown]
	s_cmp_eq_u32 s1, 46
	s_mov_b32 s36, 0
	s_cbranch_scc0 .LBB86_1581
; %bb.1573:
	global_load_b32 v0, v[2:3], off
	s_mov_b32 s27, -1
	s_mov_b32 s81, 0
	s_wait_loadcnt 0x0
	v_lshlrev_b32_e32 v0, 16, v0
	s_delay_alu instid0(VALU_DEP_1)
	v_cvt_i32_f32_e32 v0, v0
	s_branch .LBB86_1583
.LBB86_1574:
	s_mov_b32 s0, 0
	s_mov_b32 s1, s74
	;; [unrolled: 1-line block ×9, first 2 shown]
	s_branch .LBB86_2045
.LBB86_1575:
	s_mov_b32 s1, -1
	s_mov_b32 s27, 0
	s_mov_b32 s81, s68
                                        ; implicit-def: $vgpr0
	s_branch .LBB86_1644
.LBB86_1576:
	s_mov_b32 s36, -1
	s_mov_b32 s27, 0
	s_mov_b32 s81, s68
                                        ; implicit-def: $vgpr0
	s_branch .LBB86_1610
.LBB86_1577:
	s_mov_b32 s36, -1
	s_mov_b32 s27, 0
	s_mov_b32 s81, s68
                                        ; implicit-def: $vgpr0
	s_branch .LBB86_1593
.LBB86_1578:
	s_mov_b32 s36, -1
	s_mov_b32 s27, 0
	s_mov_b32 s81, s68
                                        ; implicit-def: $vgpr0
	s_branch .LBB86_1588
.LBB86_1579:
	s_mov_b32 s36, -1
	s_mov_b32 s27, 0
	s_mov_b32 s81, s68
	s_branch .LBB86_1582
.LBB86_1580:
	s_mov_b32 s39, -1
	s_mov_b32 s38, 0
	s_mov_b32 s27, s54
	s_branch .LBB86_3527
.LBB86_1581:
	s_mov_b32 s81, -1
	s_mov_b32 s27, 0
.LBB86_1582:
                                        ; implicit-def: $vgpr0
.LBB86_1583:
	s_and_b32 vcc_lo, exec_lo, s36
	s_cbranch_vccz .LBB86_1587
; %bb.1584:
	s_cmp_eq_u32 s1, 44
	s_cbranch_scc0 .LBB86_1586
; %bb.1585:
	global_load_u8 v0, v[2:3], off
	s_mov_b32 s81, 0
	s_mov_b32 s27, -1
	s_wait_loadcnt 0x0
	v_lshlrev_b32_e32 v1, 23, v0
	v_cmp_ne_u32_e32 vcc_lo, 0, v0
	s_delay_alu instid0(VALU_DEP_2) | instskip(NEXT) | instid1(VALU_DEP_1)
	v_cvt_i32_f32_e32 v1, v1
	v_cndmask_b32_e32 v0, 0, v1, vcc_lo
	s_branch .LBB86_1587
.LBB86_1586:
	s_mov_b32 s81, -1
                                        ; implicit-def: $vgpr0
.LBB86_1587:
	s_mov_b32 s36, 0
.LBB86_1588:
	s_delay_alu instid0(SALU_CYCLE_1)
	s_and_b32 vcc_lo, exec_lo, s36
	s_cbranch_vccz .LBB86_1592
; %bb.1589:
	s_cmp_eq_u32 s1, 29
	s_cbranch_scc0 .LBB86_1591
; %bb.1590:
	global_load_b32 v0, v[2:3], off
	s_mov_b32 s27, -1
	s_mov_b32 s81, 0
	s_branch .LBB86_1592
.LBB86_1591:
	s_mov_b32 s81, -1
                                        ; implicit-def: $vgpr0
.LBB86_1592:
	s_mov_b32 s36, 0
.LBB86_1593:
	s_delay_alu instid0(SALU_CYCLE_1)
	s_and_b32 vcc_lo, exec_lo, s36
	s_cbranch_vccz .LBB86_1609
; %bb.1594:
	s_cmp_lt_i32 s1, 27
	s_cbranch_scc1 .LBB86_1597
; %bb.1595:
	s_cmp_gt_i32 s1, 27
	s_cbranch_scc0 .LBB86_1598
; %bb.1596:
	s_wait_loadcnt 0x0
	global_load_b32 v0, v[2:3], off
	s_mov_b32 s27, 0
	s_branch .LBB86_1599
.LBB86_1597:
	s_mov_b32 s27, -1
                                        ; implicit-def: $vgpr0
	s_branch .LBB86_1602
.LBB86_1598:
	s_mov_b32 s27, -1
                                        ; implicit-def: $vgpr0
.LBB86_1599:
	s_delay_alu instid0(SALU_CYCLE_1)
	s_and_not1_b32 vcc_lo, exec_lo, s27
	s_cbranch_vccnz .LBB86_1601
; %bb.1600:
	s_wait_loadcnt 0x0
	global_load_u16 v0, v[2:3], off
.LBB86_1601:
	s_mov_b32 s27, 0
.LBB86_1602:
	s_delay_alu instid0(SALU_CYCLE_1)
	s_and_not1_b32 vcc_lo, exec_lo, s27
	s_cbranch_vccnz .LBB86_1608
; %bb.1603:
	global_load_u8 v1, v[2:3], off
	s_mov_b32 s36, 0
	s_mov_b32 s27, exec_lo
	s_wait_loadcnt 0x0
	v_cmpx_lt_i16_e32 0x7f, v1
	s_xor_b32 s27, exec_lo, s27
	s_cbranch_execz .LBB86_1620
; %bb.1604:
	v_cmp_ne_u16_e32 vcc_lo, 0x80, v1
	s_and_b32 s36, vcc_lo, exec_lo
	s_and_not1_saveexec_b32 s27, s27
	s_cbranch_execnz .LBB86_1621
.LBB86_1605:
	s_or_b32 exec_lo, exec_lo, s27
	v_mov_b32_e32 v0, 0
	s_and_saveexec_b32 s27, s36
	s_cbranch_execz .LBB86_1607
.LBB86_1606:
	v_and_b32_e32 v0, 0xffff, v1
	s_delay_alu instid0(VALU_DEP_1) | instskip(SKIP_1) | instid1(VALU_DEP_2)
	v_and_b32_e32 v4, 7, v0
	v_bfe_u32 v9, v0, 3, 4
	v_clz_i32_u32_e32 v5, v4
	s_delay_alu instid0(VALU_DEP_2) | instskip(NEXT) | instid1(VALU_DEP_2)
	v_cmp_eq_u32_e32 vcc_lo, 0, v9
	v_min_u32_e32 v5, 32, v5
	s_delay_alu instid0(VALU_DEP_1) | instskip(NEXT) | instid1(VALU_DEP_1)
	v_subrev_nc_u32_e32 v6, 28, v5
	v_dual_lshlrev_b32 v0, v6, v0 :: v_dual_sub_nc_u32 v5, 29, v5
	s_delay_alu instid0(VALU_DEP_1) | instskip(NEXT) | instid1(VALU_DEP_1)
	v_dual_lshlrev_b32 v1, 24, v1 :: v_dual_bitop2_b32 v0, 7, v0 bitop3:0x40
	v_dual_cndmask_b32 v0, v4, v0 :: v_dual_cndmask_b32 v5, v9, v5
	s_delay_alu instid0(VALU_DEP_2) | instskip(NEXT) | instid1(VALU_DEP_2)
	v_and_b32_e32 v1, 0x80000000, v1
	v_lshlrev_b32_e32 v0, 20, v0
	s_delay_alu instid0(VALU_DEP_3) | instskip(NEXT) | instid1(VALU_DEP_1)
	v_lshl_add_u32 v4, v5, 23, 0x3b800000
	v_or3_b32 v0, v1, v4, v0
	s_delay_alu instid0(VALU_DEP_1)
	v_cvt_i32_f32_e32 v0, v0
.LBB86_1607:
	s_or_b32 exec_lo, exec_lo, s27
.LBB86_1608:
	s_mov_b32 s27, -1
.LBB86_1609:
	s_mov_b32 s36, 0
.LBB86_1610:
	s_delay_alu instid0(SALU_CYCLE_1)
	s_and_b32 vcc_lo, exec_lo, s36
	s_cbranch_vccz .LBB86_1643
; %bb.1611:
	s_cmp_gt_i32 s1, 22
	s_cbranch_scc0 .LBB86_1619
; %bb.1612:
	s_cmp_lt_i32 s1, 24
	s_cbranch_scc1 .LBB86_1622
; %bb.1613:
	s_cmp_gt_i32 s1, 24
	s_cbranch_scc0 .LBB86_1623
; %bb.1614:
	global_load_u8 v1, v[2:3], off
	s_mov_b32 s36, 0
	s_mov_b32 s27, exec_lo
	s_wait_loadcnt 0x0
	v_cmpx_lt_i16_e32 0x7f, v1
	s_xor_b32 s27, exec_lo, s27
	s_cbranch_execz .LBB86_1635
; %bb.1615:
	v_cmp_ne_u16_e32 vcc_lo, 0x80, v1
	s_and_b32 s36, vcc_lo, exec_lo
	s_and_not1_saveexec_b32 s27, s27
	s_cbranch_execnz .LBB86_1636
.LBB86_1616:
	s_or_b32 exec_lo, exec_lo, s27
	v_mov_b32_e32 v0, 0
	s_and_saveexec_b32 s27, s36
	s_cbranch_execz .LBB86_1618
.LBB86_1617:
	v_and_b32_e32 v0, 0xffff, v1
	s_delay_alu instid0(VALU_DEP_1) | instskip(SKIP_1) | instid1(VALU_DEP_2)
	v_and_b32_e32 v4, 3, v0
	v_bfe_u32 v9, v0, 2, 5
	v_clz_i32_u32_e32 v5, v4
	s_delay_alu instid0(VALU_DEP_2) | instskip(NEXT) | instid1(VALU_DEP_2)
	v_cmp_eq_u32_e32 vcc_lo, 0, v9
	v_min_u32_e32 v5, 32, v5
	s_delay_alu instid0(VALU_DEP_1) | instskip(NEXT) | instid1(VALU_DEP_1)
	v_subrev_nc_u32_e32 v6, 29, v5
	v_dual_lshlrev_b32 v0, v6, v0 :: v_dual_sub_nc_u32 v5, 30, v5
	s_delay_alu instid0(VALU_DEP_1) | instskip(NEXT) | instid1(VALU_DEP_1)
	v_dual_lshlrev_b32 v1, 24, v1 :: v_dual_bitop2_b32 v0, 3, v0 bitop3:0x40
	v_dual_cndmask_b32 v0, v4, v0 :: v_dual_cndmask_b32 v5, v9, v5
	s_delay_alu instid0(VALU_DEP_2) | instskip(NEXT) | instid1(VALU_DEP_2)
	v_and_b32_e32 v1, 0x80000000, v1
	v_lshlrev_b32_e32 v0, 21, v0
	s_delay_alu instid0(VALU_DEP_3) | instskip(NEXT) | instid1(VALU_DEP_1)
	v_lshl_add_u32 v4, v5, 23, 0x37800000
	v_or3_b32 v0, v1, v4, v0
	s_delay_alu instid0(VALU_DEP_1)
	v_cvt_i32_f32_e32 v0, v0
.LBB86_1618:
	s_or_b32 exec_lo, exec_lo, s27
	s_mov_b32 s27, 0
	s_branch .LBB86_1624
.LBB86_1619:
	s_mov_b32 s36, -1
                                        ; implicit-def: $vgpr0
	s_branch .LBB86_1630
.LBB86_1620:
	s_and_not1_saveexec_b32 s27, s27
	s_cbranch_execz .LBB86_1605
.LBB86_1621:
	v_cmp_ne_u16_e32 vcc_lo, 0, v1
	s_and_not1_b32 s36, s36, exec_lo
	s_and_b32 s37, vcc_lo, exec_lo
	s_delay_alu instid0(SALU_CYCLE_1)
	s_or_b32 s36, s36, s37
	s_or_b32 exec_lo, exec_lo, s27
	v_mov_b32_e32 v0, 0
	s_and_saveexec_b32 s27, s36
	s_cbranch_execnz .LBB86_1606
	s_branch .LBB86_1607
.LBB86_1622:
	s_mov_b32 s27, -1
                                        ; implicit-def: $vgpr0
	s_branch .LBB86_1627
.LBB86_1623:
	s_mov_b32 s27, -1
                                        ; implicit-def: $vgpr0
.LBB86_1624:
	s_delay_alu instid0(SALU_CYCLE_1)
	s_and_b32 vcc_lo, exec_lo, s27
	s_cbranch_vccz .LBB86_1626
; %bb.1625:
	s_wait_loadcnt 0x0
	global_load_u8 v0, v[2:3], off
	s_wait_loadcnt 0x0
	v_lshlrev_b32_e32 v0, 24, v0
	s_delay_alu instid0(VALU_DEP_1) | instskip(NEXT) | instid1(VALU_DEP_1)
	v_and_b32_e32 v1, 0x7f000000, v0
	v_clz_i32_u32_e32 v4, v1
	v_cmp_ne_u32_e32 vcc_lo, 0, v1
	v_add_nc_u32_e32 v6, 0x1000000, v1
	s_delay_alu instid0(VALU_DEP_3) | instskip(NEXT) | instid1(VALU_DEP_1)
	v_min_u32_e32 v4, 32, v4
	v_sub_nc_u32_e64 v4, v4, 4 clamp
	s_delay_alu instid0(VALU_DEP_1) | instskip(NEXT) | instid1(VALU_DEP_1)
	v_dual_lshlrev_b32 v5, v4, v1 :: v_dual_lshlrev_b32 v4, 23, v4
	v_lshrrev_b32_e32 v5, 4, v5
	s_delay_alu instid0(VALU_DEP_1) | instskip(NEXT) | instid1(VALU_DEP_1)
	v_dual_sub_nc_u32 v4, v5, v4 :: v_dual_ashrrev_i32 v5, 8, v6
	v_add_nc_u32_e32 v4, 0x3c000000, v4
	s_delay_alu instid0(VALU_DEP_1) | instskip(NEXT) | instid1(VALU_DEP_1)
	v_and_or_b32 v4, 0x7f800000, v5, v4
	v_cndmask_b32_e32 v1, 0, v4, vcc_lo
	s_delay_alu instid0(VALU_DEP_1) | instskip(NEXT) | instid1(VALU_DEP_1)
	v_and_or_b32 v0, 0x80000000, v0, v1
	v_cvt_i32_f32_e32 v0, v0
.LBB86_1626:
	s_mov_b32 s27, 0
.LBB86_1627:
	s_delay_alu instid0(SALU_CYCLE_1)
	s_and_not1_b32 vcc_lo, exec_lo, s27
	s_cbranch_vccnz .LBB86_1629
; %bb.1628:
	s_wait_loadcnt 0x0
	global_load_u8 v0, v[2:3], off
	s_wait_loadcnt 0x0
	v_lshlrev_b32_e32 v1, 25, v0
	v_lshlrev_b16 v0, 8, v0
	s_delay_alu instid0(VALU_DEP_1) | instskip(SKIP_1) | instid1(VALU_DEP_2)
	v_and_or_b32 v5, 0x7f00, v0, 0.5
	v_bfe_i32 v0, v0, 0, 16
	v_add_f32_e32 v5, -0.5, v5
	v_lshrrev_b32_e32 v4, 4, v1
	v_cmp_gt_u32_e32 vcc_lo, 0x8000000, v1
	s_delay_alu instid0(VALU_DEP_2) | instskip(NEXT) | instid1(VALU_DEP_1)
	v_or_b32_e32 v4, 0x70000000, v4
	v_mul_f32_e32 v4, 0x7800000, v4
	s_delay_alu instid0(VALU_DEP_1) | instskip(NEXT) | instid1(VALU_DEP_1)
	v_cndmask_b32_e32 v1, v4, v5, vcc_lo
	v_and_or_b32 v0, 0x80000000, v0, v1
	s_delay_alu instid0(VALU_DEP_1)
	v_cvt_i32_f32_e32 v0, v0
.LBB86_1629:
	s_mov_b32 s36, 0
	s_mov_b32 s27, -1
.LBB86_1630:
	s_and_not1_b32 vcc_lo, exec_lo, s36
	s_cbranch_vccnz .LBB86_1643
; %bb.1631:
	s_cmp_gt_i32 s1, 14
	s_cbranch_scc0 .LBB86_1634
; %bb.1632:
	s_cmp_eq_u32 s1, 15
	s_cbranch_scc0 .LBB86_1637
; %bb.1633:
	s_wait_loadcnt 0x0
	global_load_u16 v0, v[2:3], off
	s_mov_b32 s27, -1
	s_mov_b32 s81, 0
	s_wait_loadcnt 0x0
	v_lshlrev_b32_e32 v0, 16, v0
	s_delay_alu instid0(VALU_DEP_1)
	v_cvt_i32_f32_e32 v0, v0
	s_branch .LBB86_1638
.LBB86_1634:
	s_mov_b32 s36, -1
                                        ; implicit-def: $vgpr0
	s_branch .LBB86_1639
.LBB86_1635:
	s_and_not1_saveexec_b32 s27, s27
	s_cbranch_execz .LBB86_1616
.LBB86_1636:
	v_cmp_ne_u16_e32 vcc_lo, 0, v1
	s_and_not1_b32 s36, s36, exec_lo
	s_and_b32 s37, vcc_lo, exec_lo
	s_delay_alu instid0(SALU_CYCLE_1)
	s_or_b32 s36, s36, s37
	s_or_b32 exec_lo, exec_lo, s27
	v_mov_b32_e32 v0, 0
	s_and_saveexec_b32 s27, s36
	s_cbranch_execnz .LBB86_1617
	s_branch .LBB86_1618
.LBB86_1637:
	s_mov_b32 s81, -1
                                        ; implicit-def: $vgpr0
.LBB86_1638:
	s_mov_b32 s36, 0
.LBB86_1639:
	s_delay_alu instid0(SALU_CYCLE_1)
	s_and_b32 vcc_lo, exec_lo, s36
	s_cbranch_vccz .LBB86_1643
; %bb.1640:
	s_cmp_eq_u32 s1, 11
	s_cbranch_scc0 .LBB86_1642
; %bb.1641:
	s_wait_loadcnt 0x0
	global_load_u8 v0, v[2:3], off
	s_mov_b32 s81, 0
	s_mov_b32 s27, -1
	s_wait_loadcnt 0x0
	v_cmp_ne_u16_e32 vcc_lo, 0, v0
	v_cndmask_b32_e64 v0, 0, 1, vcc_lo
	s_branch .LBB86_1643
.LBB86_1642:
	s_mov_b32 s81, -1
                                        ; implicit-def: $vgpr0
.LBB86_1643:
	s_mov_b32 s1, 0
.LBB86_1644:
	s_delay_alu instid0(SALU_CYCLE_1)
	s_and_b32 vcc_lo, exec_lo, s1
	s_cbranch_vccz .LBB86_1693
; %bb.1645:
	s_and_b32 s0, 0xffff, s0
	s_delay_alu instid0(SALU_CYCLE_1)
	s_cmp_lt_i32 s0, 5
	s_cbranch_scc1 .LBB86_1650
; %bb.1646:
	s_cmp_lt_i32 s0, 8
	s_cbranch_scc1 .LBB86_1651
; %bb.1647:
	;; [unrolled: 3-line block ×3, first 2 shown]
	s_cmp_gt_i32 s0, 9
	s_cbranch_scc0 .LBB86_1653
; %bb.1649:
	s_wait_loadcnt 0x0
	global_load_b64 v[0:1], v[2:3], off
	s_mov_b32 s1, 0
	s_wait_loadcnt 0x0
	v_cvt_i32_f64_e32 v0, v[0:1]
	s_branch .LBB86_1654
.LBB86_1650:
	s_mov_b32 s1, -1
                                        ; implicit-def: $vgpr0
	s_branch .LBB86_1672
.LBB86_1651:
	s_mov_b32 s1, -1
                                        ; implicit-def: $vgpr0
	s_branch .LBB86_1660
.LBB86_1652:
	s_mov_b32 s1, -1
                                        ; implicit-def: $vgpr0
	s_branch .LBB86_1657
.LBB86_1653:
	s_mov_b32 s1, -1
                                        ; implicit-def: $vgpr0
.LBB86_1654:
	s_delay_alu instid0(SALU_CYCLE_1)
	s_and_not1_b32 vcc_lo, exec_lo, s1
	s_cbranch_vccnz .LBB86_1656
; %bb.1655:
	s_wait_loadcnt 0x0
	global_load_b32 v0, v[2:3], off
	s_wait_loadcnt 0x0
	v_cvt_i32_f32_e32 v0, v0
.LBB86_1656:
	s_mov_b32 s1, 0
.LBB86_1657:
	s_delay_alu instid0(SALU_CYCLE_1)
	s_and_not1_b32 vcc_lo, exec_lo, s1
	s_cbranch_vccnz .LBB86_1659
; %bb.1658:
	s_wait_loadcnt 0x0
	global_load_b32 v0, v[2:3], off
	s_wait_loadcnt 0x0
	v_cvt_f32_f16_e32 v0, v0
	s_delay_alu instid0(VALU_DEP_1)
	v_cvt_i32_f32_e32 v0, v0
.LBB86_1659:
	s_mov_b32 s1, 0
.LBB86_1660:
	s_delay_alu instid0(SALU_CYCLE_1)
	s_and_not1_b32 vcc_lo, exec_lo, s1
	s_cbranch_vccnz .LBB86_1671
; %bb.1661:
	s_cmp_lt_i32 s0, 6
	s_cbranch_scc1 .LBB86_1664
; %bb.1662:
	s_cmp_gt_i32 s0, 6
	s_cbranch_scc0 .LBB86_1665
; %bb.1663:
	s_wait_loadcnt 0x0
	global_load_b64 v[0:1], v[2:3], off
	s_mov_b32 s1, 0
	s_wait_loadcnt 0x0
	v_cvt_i32_f64_e32 v0, v[0:1]
	s_branch .LBB86_1666
.LBB86_1664:
	s_mov_b32 s1, -1
                                        ; implicit-def: $vgpr0
	s_branch .LBB86_1669
.LBB86_1665:
	s_mov_b32 s1, -1
                                        ; implicit-def: $vgpr0
.LBB86_1666:
	s_delay_alu instid0(SALU_CYCLE_1)
	s_and_not1_b32 vcc_lo, exec_lo, s1
	s_cbranch_vccnz .LBB86_1668
; %bb.1667:
	s_wait_loadcnt 0x0
	global_load_b32 v0, v[2:3], off
	s_wait_loadcnt 0x0
	v_cvt_i32_f32_e32 v0, v0
.LBB86_1668:
	s_mov_b32 s1, 0
.LBB86_1669:
	s_delay_alu instid0(SALU_CYCLE_1)
	s_and_not1_b32 vcc_lo, exec_lo, s1
	s_cbranch_vccnz .LBB86_1671
; %bb.1670:
	s_wait_loadcnt 0x0
	global_load_u16 v0, v[2:3], off
	s_wait_loadcnt 0x0
	v_cvt_f32_f16_e32 v0, v0
	s_delay_alu instid0(VALU_DEP_1)
	v_cvt_i32_f32_e32 v0, v0
.LBB86_1671:
	s_mov_b32 s1, 0
.LBB86_1672:
	s_delay_alu instid0(SALU_CYCLE_1)
	s_and_not1_b32 vcc_lo, exec_lo, s1
	s_cbranch_vccnz .LBB86_1692
; %bb.1673:
	s_cmp_lt_i32 s0, 2
	s_cbranch_scc1 .LBB86_1677
; %bb.1674:
	s_cmp_lt_i32 s0, 3
	s_cbranch_scc1 .LBB86_1678
; %bb.1675:
	s_cmp_gt_i32 s0, 3
	s_cbranch_scc0 .LBB86_1679
; %bb.1676:
	s_wait_loadcnt 0x0
	global_load_b32 v0, v[2:3], off
	s_mov_b32 s1, 0
	s_branch .LBB86_1680
.LBB86_1677:
	s_mov_b32 s1, -1
                                        ; implicit-def: $vgpr0
	s_branch .LBB86_1686
.LBB86_1678:
	s_mov_b32 s1, -1
                                        ; implicit-def: $vgpr0
	s_branch .LBB86_1683
.LBB86_1679:
	s_mov_b32 s1, -1
                                        ; implicit-def: $vgpr0
.LBB86_1680:
	s_delay_alu instid0(SALU_CYCLE_1)
	s_and_not1_b32 vcc_lo, exec_lo, s1
	s_cbranch_vccnz .LBB86_1682
; %bb.1681:
	s_wait_loadcnt 0x0
	global_load_b32 v0, v[2:3], off
.LBB86_1682:
	s_mov_b32 s1, 0
.LBB86_1683:
	s_delay_alu instid0(SALU_CYCLE_1)
	s_and_not1_b32 vcc_lo, exec_lo, s1
	s_cbranch_vccnz .LBB86_1685
; %bb.1684:
	s_wait_loadcnt 0x0
	global_load_i16 v0, v[2:3], off
.LBB86_1685:
	s_mov_b32 s1, 0
.LBB86_1686:
	s_delay_alu instid0(SALU_CYCLE_1)
	s_and_not1_b32 vcc_lo, exec_lo, s1
	s_cbranch_vccnz .LBB86_1692
; %bb.1687:
	s_cmp_gt_i32 s0, 0
	s_mov_b32 s0, 0
	s_cbranch_scc0 .LBB86_1689
; %bb.1688:
	s_wait_loadcnt 0x0
	global_load_i8 v0, v[2:3], off
	s_branch .LBB86_1690
.LBB86_1689:
	s_mov_b32 s0, -1
                                        ; implicit-def: $vgpr0
.LBB86_1690:
	s_delay_alu instid0(SALU_CYCLE_1)
	s_and_not1_b32 vcc_lo, exec_lo, s0
	s_cbranch_vccnz .LBB86_1692
; %bb.1691:
	s_wait_loadcnt 0x0
	global_load_u8 v0, v[2:3], off
.LBB86_1692:
	s_mov_b32 s27, -1
.LBB86_1693:
	s_delay_alu instid0(SALU_CYCLE_1)
	s_and_not1_b32 vcc_lo, exec_lo, s27
	s_cbranch_vccnz .LBB86_1701
; %bb.1694:
	s_wait_xcnt 0x0
	v_mul_lo_u32 v2, s23, v22
	s_and_b32 s0, s15, 0xff
	s_delay_alu instid0(SALU_CYCLE_1) | instskip(NEXT) | instid1(VALU_DEP_1)
	s_cmp_lt_i32 s0, 11
	v_ashrrev_i32_e32 v3, 31, v2
	s_delay_alu instid0(VALU_DEP_1)
	v_add_nc_u64_e32 v[4:5], s[10:11], v[2:3]
	s_cbranch_scc1 .LBB86_1702
; %bb.1695:
	s_and_b32 s1, 0xffff, s0
	s_delay_alu instid0(SALU_CYCLE_1)
	s_cmp_gt_i32 s1, 25
	s_cbranch_scc0 .LBB86_1703
; %bb.1696:
	s_cmp_gt_i32 s1, 28
	s_cbranch_scc0 .LBB86_1704
; %bb.1697:
	s_cmp_gt_i32 s1, 43
	s_cbranch_scc0 .LBB86_1705
; %bb.1698:
	s_cmp_gt_i32 s1, 45
	s_cbranch_scc0 .LBB86_1706
; %bb.1699:
	s_cmp_eq_u32 s1, 46
	s_mov_b32 s36, 0
	s_cbranch_scc0 .LBB86_1708
; %bb.1700:
	global_load_b32 v1, v[4:5], off
	s_mov_b32 s27, -1
	s_mov_b32 s82, 0
	s_wait_loadcnt 0x0
	v_lshlrev_b32_e32 v1, 16, v1
	s_delay_alu instid0(VALU_DEP_1)
	v_cvt_i32_f32_e32 v2, v1
	s_branch .LBB86_1710
.LBB86_1701:
	s_mov_b32 s0, 0
	s_mov_b32 s1, s74
	;; [unrolled: 1-line block ×8, first 2 shown]
	s_branch .LBB86_2045
.LBB86_1702:
	s_mov_b32 s1, -1
	s_mov_b32 s27, 0
	s_mov_b32 s82, s71
                                        ; implicit-def: $vgpr2
	s_branch .LBB86_1771
.LBB86_1703:
	s_mov_b32 s36, -1
	s_mov_b32 s27, 0
	s_mov_b32 s82, s71
                                        ; implicit-def: $vgpr2
	s_branch .LBB86_1737
.LBB86_1704:
	s_mov_b32 s36, -1
	s_mov_b32 s27, 0
	s_mov_b32 s82, s71
                                        ; implicit-def: $vgpr2
	s_branch .LBB86_1720
.LBB86_1705:
	s_mov_b32 s36, -1
	s_mov_b32 s27, 0
	s_mov_b32 s82, s71
                                        ; implicit-def: $vgpr2
	s_branch .LBB86_1715
.LBB86_1706:
	s_mov_b32 s36, -1
	s_mov_b32 s27, 0
	s_mov_b32 s82, s71
	s_branch .LBB86_1709
.LBB86_1707:
	s_mov_b32 s39, -1
	s_mov_b32 s38, 0
	s_mov_b32 s27, s54
	s_branch .LBB86_3516
.LBB86_1708:
	s_mov_b32 s82, -1
	s_mov_b32 s27, 0
.LBB86_1709:
                                        ; implicit-def: $vgpr2
.LBB86_1710:
	s_and_b32 vcc_lo, exec_lo, s36
	s_cbranch_vccz .LBB86_1714
; %bb.1711:
	s_cmp_eq_u32 s1, 44
	s_cbranch_scc0 .LBB86_1713
; %bb.1712:
	global_load_u8 v1, v[4:5], off
	s_mov_b32 s82, 0
	s_mov_b32 s27, -1
	s_wait_loadcnt 0x0
	v_lshlrev_b32_e32 v2, 23, v1
	v_cmp_ne_u32_e32 vcc_lo, 0, v1
	s_delay_alu instid0(VALU_DEP_2) | instskip(NEXT) | instid1(VALU_DEP_1)
	v_cvt_i32_f32_e32 v2, v2
	v_cndmask_b32_e32 v2, 0, v2, vcc_lo
	s_branch .LBB86_1714
.LBB86_1713:
	s_mov_b32 s82, -1
                                        ; implicit-def: $vgpr2
.LBB86_1714:
	s_mov_b32 s36, 0
.LBB86_1715:
	s_delay_alu instid0(SALU_CYCLE_1)
	s_and_b32 vcc_lo, exec_lo, s36
	s_cbranch_vccz .LBB86_1719
; %bb.1716:
	s_cmp_eq_u32 s1, 29
	s_cbranch_scc0 .LBB86_1718
; %bb.1717:
	global_load_b32 v2, v[4:5], off
	s_mov_b32 s27, -1
	s_mov_b32 s82, 0
	s_branch .LBB86_1719
.LBB86_1718:
	s_mov_b32 s82, -1
                                        ; implicit-def: $vgpr2
.LBB86_1719:
	s_mov_b32 s36, 0
.LBB86_1720:
	s_delay_alu instid0(SALU_CYCLE_1)
	s_and_b32 vcc_lo, exec_lo, s36
	s_cbranch_vccz .LBB86_1736
; %bb.1721:
	s_cmp_lt_i32 s1, 27
	s_cbranch_scc1 .LBB86_1724
; %bb.1722:
	s_cmp_gt_i32 s1, 27
	s_cbranch_scc0 .LBB86_1725
; %bb.1723:
	s_wait_loadcnt 0x0
	global_load_b32 v2, v[4:5], off
	s_mov_b32 s27, 0
	s_branch .LBB86_1726
.LBB86_1724:
	s_mov_b32 s27, -1
                                        ; implicit-def: $vgpr2
	s_branch .LBB86_1729
.LBB86_1725:
	s_mov_b32 s27, -1
                                        ; implicit-def: $vgpr2
.LBB86_1726:
	s_delay_alu instid0(SALU_CYCLE_1)
	s_and_not1_b32 vcc_lo, exec_lo, s27
	s_cbranch_vccnz .LBB86_1728
; %bb.1727:
	s_wait_loadcnt 0x0
	global_load_u16 v2, v[4:5], off
.LBB86_1728:
	s_mov_b32 s27, 0
.LBB86_1729:
	s_delay_alu instid0(SALU_CYCLE_1)
	s_and_not1_b32 vcc_lo, exec_lo, s27
	s_cbranch_vccnz .LBB86_1735
; %bb.1730:
	global_load_u8 v1, v[4:5], off
	s_mov_b32 s36, 0
	s_mov_b32 s27, exec_lo
	s_wait_loadcnt 0x0
	v_cmpx_lt_i16_e32 0x7f, v1
	s_xor_b32 s27, exec_lo, s27
	s_cbranch_execz .LBB86_1747
; %bb.1731:
	v_cmp_ne_u16_e32 vcc_lo, 0x80, v1
	s_and_b32 s36, vcc_lo, exec_lo
	s_and_not1_saveexec_b32 s27, s27
	s_cbranch_execnz .LBB86_1748
.LBB86_1732:
	s_or_b32 exec_lo, exec_lo, s27
	v_mov_b32_e32 v2, 0
	s_and_saveexec_b32 s27, s36
	s_cbranch_execz .LBB86_1734
.LBB86_1733:
	v_and_b32_e32 v2, 0xffff, v1
	s_delay_alu instid0(VALU_DEP_1) | instskip(SKIP_1) | instid1(VALU_DEP_2)
	v_dual_lshlrev_b32 v1, 24, v1 :: v_dual_bitop2_b32 v3, 7, v2 bitop3:0x40
	v_bfe_u32 v10, v2, 3, 4
	v_and_b32_e32 v1, 0x80000000, v1
	s_delay_alu instid0(VALU_DEP_3) | instskip(NEXT) | instid1(VALU_DEP_3)
	v_clz_i32_u32_e32 v6, v3
	v_cmp_eq_u32_e32 vcc_lo, 0, v10
	s_delay_alu instid0(VALU_DEP_2) | instskip(NEXT) | instid1(VALU_DEP_1)
	v_min_u32_e32 v6, 32, v6
	v_subrev_nc_u32_e32 v9, 28, v6
	v_sub_nc_u32_e32 v6, 29, v6
	s_delay_alu instid0(VALU_DEP_2) | instskip(NEXT) | instid1(VALU_DEP_2)
	v_lshlrev_b32_e32 v2, v9, v2
	v_cndmask_b32_e32 v6, v10, v6, vcc_lo
	s_delay_alu instid0(VALU_DEP_2) | instskip(NEXT) | instid1(VALU_DEP_1)
	v_and_b32_e32 v2, 7, v2
	v_cndmask_b32_e32 v2, v3, v2, vcc_lo
	s_delay_alu instid0(VALU_DEP_3) | instskip(NEXT) | instid1(VALU_DEP_2)
	v_lshl_add_u32 v3, v6, 23, 0x3b800000
	v_lshlrev_b32_e32 v2, 20, v2
	s_delay_alu instid0(VALU_DEP_1) | instskip(NEXT) | instid1(VALU_DEP_1)
	v_or3_b32 v1, v1, v3, v2
	v_cvt_i32_f32_e32 v2, v1
.LBB86_1734:
	s_or_b32 exec_lo, exec_lo, s27
.LBB86_1735:
	s_mov_b32 s27, -1
.LBB86_1736:
	s_mov_b32 s36, 0
.LBB86_1737:
	s_delay_alu instid0(SALU_CYCLE_1)
	s_and_b32 vcc_lo, exec_lo, s36
	s_cbranch_vccz .LBB86_1770
; %bb.1738:
	s_cmp_gt_i32 s1, 22
	s_cbranch_scc0 .LBB86_1746
; %bb.1739:
	s_cmp_lt_i32 s1, 24
	s_cbranch_scc1 .LBB86_1749
; %bb.1740:
	s_cmp_gt_i32 s1, 24
	s_cbranch_scc0 .LBB86_1750
; %bb.1741:
	global_load_u8 v1, v[4:5], off
	s_mov_b32 s36, 0
	s_mov_b32 s27, exec_lo
	s_wait_loadcnt 0x0
	v_cmpx_lt_i16_e32 0x7f, v1
	s_xor_b32 s27, exec_lo, s27
	s_cbranch_execz .LBB86_1762
; %bb.1742:
	v_cmp_ne_u16_e32 vcc_lo, 0x80, v1
	s_and_b32 s36, vcc_lo, exec_lo
	s_and_not1_saveexec_b32 s27, s27
	s_cbranch_execnz .LBB86_1763
.LBB86_1743:
	s_or_b32 exec_lo, exec_lo, s27
	v_mov_b32_e32 v2, 0
	s_and_saveexec_b32 s27, s36
	s_cbranch_execz .LBB86_1745
.LBB86_1744:
	v_and_b32_e32 v2, 0xffff, v1
	s_delay_alu instid0(VALU_DEP_1) | instskip(SKIP_1) | instid1(VALU_DEP_2)
	v_dual_lshlrev_b32 v1, 24, v1 :: v_dual_bitop2_b32 v3, 3, v2 bitop3:0x40
	v_bfe_u32 v10, v2, 2, 5
	v_and_b32_e32 v1, 0x80000000, v1
	s_delay_alu instid0(VALU_DEP_3) | instskip(NEXT) | instid1(VALU_DEP_3)
	v_clz_i32_u32_e32 v6, v3
	v_cmp_eq_u32_e32 vcc_lo, 0, v10
	s_delay_alu instid0(VALU_DEP_2) | instskip(NEXT) | instid1(VALU_DEP_1)
	v_min_u32_e32 v6, 32, v6
	v_subrev_nc_u32_e32 v9, 29, v6
	v_sub_nc_u32_e32 v6, 30, v6
	s_delay_alu instid0(VALU_DEP_2) | instskip(NEXT) | instid1(VALU_DEP_2)
	v_lshlrev_b32_e32 v2, v9, v2
	v_cndmask_b32_e32 v6, v10, v6, vcc_lo
	s_delay_alu instid0(VALU_DEP_2) | instskip(NEXT) | instid1(VALU_DEP_1)
	v_and_b32_e32 v2, 3, v2
	v_cndmask_b32_e32 v2, v3, v2, vcc_lo
	s_delay_alu instid0(VALU_DEP_3) | instskip(NEXT) | instid1(VALU_DEP_2)
	v_lshl_add_u32 v3, v6, 23, 0x37800000
	v_lshlrev_b32_e32 v2, 21, v2
	s_delay_alu instid0(VALU_DEP_1) | instskip(NEXT) | instid1(VALU_DEP_1)
	v_or3_b32 v1, v1, v3, v2
	v_cvt_i32_f32_e32 v2, v1
.LBB86_1745:
	s_or_b32 exec_lo, exec_lo, s27
	s_mov_b32 s27, 0
	s_branch .LBB86_1751
.LBB86_1746:
	s_mov_b32 s36, -1
                                        ; implicit-def: $vgpr2
	s_branch .LBB86_1757
.LBB86_1747:
	s_and_not1_saveexec_b32 s27, s27
	s_cbranch_execz .LBB86_1732
.LBB86_1748:
	v_cmp_ne_u16_e32 vcc_lo, 0, v1
	s_and_not1_b32 s36, s36, exec_lo
	s_and_b32 s37, vcc_lo, exec_lo
	s_delay_alu instid0(SALU_CYCLE_1)
	s_or_b32 s36, s36, s37
	s_or_b32 exec_lo, exec_lo, s27
	v_mov_b32_e32 v2, 0
	s_and_saveexec_b32 s27, s36
	s_cbranch_execnz .LBB86_1733
	s_branch .LBB86_1734
.LBB86_1749:
	s_mov_b32 s27, -1
                                        ; implicit-def: $vgpr2
	s_branch .LBB86_1754
.LBB86_1750:
	s_mov_b32 s27, -1
                                        ; implicit-def: $vgpr2
.LBB86_1751:
	s_delay_alu instid0(SALU_CYCLE_1)
	s_and_b32 vcc_lo, exec_lo, s27
	s_cbranch_vccz .LBB86_1753
; %bb.1752:
	global_load_u8 v1, v[4:5], off
	s_wait_loadcnt 0x0
	v_lshlrev_b32_e32 v1, 24, v1
	s_delay_alu instid0(VALU_DEP_1) | instskip(NEXT) | instid1(VALU_DEP_1)
	v_and_b32_e32 v2, 0x7f000000, v1
	v_clz_i32_u32_e32 v3, v2
	v_cmp_ne_u32_e32 vcc_lo, 0, v2
	v_add_nc_u32_e32 v9, 0x1000000, v2
	s_delay_alu instid0(VALU_DEP_3) | instskip(NEXT) | instid1(VALU_DEP_1)
	v_min_u32_e32 v3, 32, v3
	v_sub_nc_u32_e64 v3, v3, 4 clamp
	s_delay_alu instid0(VALU_DEP_1) | instskip(NEXT) | instid1(VALU_DEP_1)
	v_dual_lshlrev_b32 v6, v3, v2 :: v_dual_lshlrev_b32 v3, 23, v3
	v_lshrrev_b32_e32 v6, 4, v6
	s_delay_alu instid0(VALU_DEP_1) | instskip(NEXT) | instid1(VALU_DEP_1)
	v_dual_sub_nc_u32 v3, v6, v3 :: v_dual_ashrrev_i32 v6, 8, v9
	v_add_nc_u32_e32 v3, 0x3c000000, v3
	s_delay_alu instid0(VALU_DEP_1) | instskip(NEXT) | instid1(VALU_DEP_1)
	v_and_or_b32 v3, 0x7f800000, v6, v3
	v_cndmask_b32_e32 v2, 0, v3, vcc_lo
	s_delay_alu instid0(VALU_DEP_1) | instskip(NEXT) | instid1(VALU_DEP_1)
	v_and_or_b32 v1, 0x80000000, v1, v2
	v_cvt_i32_f32_e32 v2, v1
.LBB86_1753:
	s_mov_b32 s27, 0
.LBB86_1754:
	s_delay_alu instid0(SALU_CYCLE_1)
	s_and_not1_b32 vcc_lo, exec_lo, s27
	s_cbranch_vccnz .LBB86_1756
; %bb.1755:
	global_load_u8 v1, v[4:5], off
	s_wait_loadcnt 0x0
	v_lshlrev_b32_e32 v2, 25, v1
	v_lshlrev_b16 v1, 8, v1
	s_delay_alu instid0(VALU_DEP_1) | instskip(SKIP_1) | instid1(VALU_DEP_2)
	v_and_or_b32 v6, 0x7f00, v1, 0.5
	v_bfe_i32 v1, v1, 0, 16
	v_add_f32_e32 v6, -0.5, v6
	v_lshrrev_b32_e32 v3, 4, v2
	v_cmp_gt_u32_e32 vcc_lo, 0x8000000, v2
	s_delay_alu instid0(VALU_DEP_2) | instskip(NEXT) | instid1(VALU_DEP_1)
	v_or_b32_e32 v3, 0x70000000, v3
	v_mul_f32_e32 v3, 0x7800000, v3
	s_delay_alu instid0(VALU_DEP_1) | instskip(NEXT) | instid1(VALU_DEP_1)
	v_cndmask_b32_e32 v2, v3, v6, vcc_lo
	v_and_or_b32 v1, 0x80000000, v1, v2
	s_delay_alu instid0(VALU_DEP_1)
	v_cvt_i32_f32_e32 v2, v1
.LBB86_1756:
	s_mov_b32 s36, 0
	s_mov_b32 s27, -1
.LBB86_1757:
	s_and_not1_b32 vcc_lo, exec_lo, s36
	s_cbranch_vccnz .LBB86_1770
; %bb.1758:
	s_cmp_gt_i32 s1, 14
	s_cbranch_scc0 .LBB86_1761
; %bb.1759:
	s_cmp_eq_u32 s1, 15
	s_cbranch_scc0 .LBB86_1764
; %bb.1760:
	global_load_u16 v1, v[4:5], off
	s_mov_b32 s27, -1
	s_mov_b32 s82, 0
	s_wait_loadcnt 0x0
	v_lshlrev_b32_e32 v1, 16, v1
	s_delay_alu instid0(VALU_DEP_1)
	v_cvt_i32_f32_e32 v2, v1
	s_branch .LBB86_1765
.LBB86_1761:
	s_mov_b32 s36, -1
                                        ; implicit-def: $vgpr2
	s_branch .LBB86_1766
.LBB86_1762:
	s_and_not1_saveexec_b32 s27, s27
	s_cbranch_execz .LBB86_1743
.LBB86_1763:
	v_cmp_ne_u16_e32 vcc_lo, 0, v1
	s_and_not1_b32 s36, s36, exec_lo
	s_and_b32 s37, vcc_lo, exec_lo
	s_delay_alu instid0(SALU_CYCLE_1)
	s_or_b32 s36, s36, s37
	s_or_b32 exec_lo, exec_lo, s27
	v_mov_b32_e32 v2, 0
	s_and_saveexec_b32 s27, s36
	s_cbranch_execnz .LBB86_1744
	s_branch .LBB86_1745
.LBB86_1764:
	s_mov_b32 s82, -1
                                        ; implicit-def: $vgpr2
.LBB86_1765:
	s_mov_b32 s36, 0
.LBB86_1766:
	s_delay_alu instid0(SALU_CYCLE_1)
	s_and_b32 vcc_lo, exec_lo, s36
	s_cbranch_vccz .LBB86_1770
; %bb.1767:
	s_cmp_eq_u32 s1, 11
	s_cbranch_scc0 .LBB86_1769
; %bb.1768:
	global_load_u8 v1, v[4:5], off
	s_mov_b32 s82, 0
	s_mov_b32 s27, -1
	s_wait_loadcnt 0x0
	v_cmp_ne_u16_e32 vcc_lo, 0, v1
	v_cndmask_b32_e64 v2, 0, 1, vcc_lo
	s_branch .LBB86_1770
.LBB86_1769:
	s_mov_b32 s82, -1
                                        ; implicit-def: $vgpr2
.LBB86_1770:
	s_mov_b32 s1, 0
.LBB86_1771:
	s_delay_alu instid0(SALU_CYCLE_1)
	s_and_b32 vcc_lo, exec_lo, s1
	s_cbranch_vccz .LBB86_1820
; %bb.1772:
	s_and_b32 s0, 0xffff, s0
	s_delay_alu instid0(SALU_CYCLE_1)
	s_cmp_lt_i32 s0, 5
	s_cbranch_scc1 .LBB86_1777
; %bb.1773:
	s_cmp_lt_i32 s0, 8
	s_cbranch_scc1 .LBB86_1778
; %bb.1774:
	;; [unrolled: 3-line block ×3, first 2 shown]
	s_cmp_gt_i32 s0, 9
	s_cbranch_scc0 .LBB86_1780
; %bb.1776:
	s_wait_loadcnt 0x0
	global_load_b64 v[2:3], v[4:5], off
	s_mov_b32 s1, 0
	s_wait_loadcnt 0x0
	v_cvt_i32_f64_e32 v2, v[2:3]
	s_branch .LBB86_1781
.LBB86_1777:
	s_mov_b32 s1, -1
                                        ; implicit-def: $vgpr2
	s_branch .LBB86_1799
.LBB86_1778:
	s_mov_b32 s1, -1
                                        ; implicit-def: $vgpr2
	s_branch .LBB86_1787
.LBB86_1779:
	s_mov_b32 s1, -1
                                        ; implicit-def: $vgpr2
	s_branch .LBB86_1784
.LBB86_1780:
	s_mov_b32 s1, -1
                                        ; implicit-def: $vgpr2
.LBB86_1781:
	s_delay_alu instid0(SALU_CYCLE_1)
	s_and_not1_b32 vcc_lo, exec_lo, s1
	s_cbranch_vccnz .LBB86_1783
; %bb.1782:
	global_load_b32 v1, v[4:5], off
	s_wait_loadcnt 0x0
	v_cvt_i32_f32_e32 v2, v1
.LBB86_1783:
	s_mov_b32 s1, 0
.LBB86_1784:
	s_delay_alu instid0(SALU_CYCLE_1)
	s_and_not1_b32 vcc_lo, exec_lo, s1
	s_cbranch_vccnz .LBB86_1786
; %bb.1785:
	global_load_b32 v1, v[4:5], off
	s_wait_loadcnt 0x0
	v_cvt_f32_f16_e32 v1, v1
	s_delay_alu instid0(VALU_DEP_1)
	v_cvt_i32_f32_e32 v2, v1
.LBB86_1786:
	s_mov_b32 s1, 0
.LBB86_1787:
	s_delay_alu instid0(SALU_CYCLE_1)
	s_and_not1_b32 vcc_lo, exec_lo, s1
	s_cbranch_vccnz .LBB86_1798
; %bb.1788:
	s_cmp_lt_i32 s0, 6
	s_cbranch_scc1 .LBB86_1791
; %bb.1789:
	s_cmp_gt_i32 s0, 6
	s_cbranch_scc0 .LBB86_1792
; %bb.1790:
	s_wait_loadcnt 0x0
	global_load_b64 v[2:3], v[4:5], off
	s_mov_b32 s1, 0
	s_wait_loadcnt 0x0
	v_cvt_i32_f64_e32 v2, v[2:3]
	s_branch .LBB86_1793
.LBB86_1791:
	s_mov_b32 s1, -1
                                        ; implicit-def: $vgpr2
	s_branch .LBB86_1796
.LBB86_1792:
	s_mov_b32 s1, -1
                                        ; implicit-def: $vgpr2
.LBB86_1793:
	s_delay_alu instid0(SALU_CYCLE_1)
	s_and_not1_b32 vcc_lo, exec_lo, s1
	s_cbranch_vccnz .LBB86_1795
; %bb.1794:
	global_load_b32 v1, v[4:5], off
	s_wait_loadcnt 0x0
	v_cvt_i32_f32_e32 v2, v1
.LBB86_1795:
	s_mov_b32 s1, 0
.LBB86_1796:
	s_delay_alu instid0(SALU_CYCLE_1)
	s_and_not1_b32 vcc_lo, exec_lo, s1
	s_cbranch_vccnz .LBB86_1798
; %bb.1797:
	global_load_u16 v1, v[4:5], off
	s_wait_loadcnt 0x0
	v_cvt_f32_f16_e32 v1, v1
	s_delay_alu instid0(VALU_DEP_1)
	v_cvt_i32_f32_e32 v2, v1
.LBB86_1798:
	s_mov_b32 s1, 0
.LBB86_1799:
	s_delay_alu instid0(SALU_CYCLE_1)
	s_and_not1_b32 vcc_lo, exec_lo, s1
	s_cbranch_vccnz .LBB86_1819
; %bb.1800:
	s_cmp_lt_i32 s0, 2
	s_cbranch_scc1 .LBB86_1804
; %bb.1801:
	s_cmp_lt_i32 s0, 3
	s_cbranch_scc1 .LBB86_1805
; %bb.1802:
	s_cmp_gt_i32 s0, 3
	s_cbranch_scc0 .LBB86_1806
; %bb.1803:
	s_wait_loadcnt 0x0
	global_load_b32 v2, v[4:5], off
	s_mov_b32 s1, 0
	s_branch .LBB86_1807
.LBB86_1804:
	s_mov_b32 s1, -1
                                        ; implicit-def: $vgpr2
	s_branch .LBB86_1813
.LBB86_1805:
	s_mov_b32 s1, -1
                                        ; implicit-def: $vgpr2
	s_branch .LBB86_1810
.LBB86_1806:
	s_mov_b32 s1, -1
                                        ; implicit-def: $vgpr2
.LBB86_1807:
	s_delay_alu instid0(SALU_CYCLE_1)
	s_and_not1_b32 vcc_lo, exec_lo, s1
	s_cbranch_vccnz .LBB86_1809
; %bb.1808:
	s_wait_loadcnt 0x0
	global_load_b32 v2, v[4:5], off
.LBB86_1809:
	s_mov_b32 s1, 0
.LBB86_1810:
	s_delay_alu instid0(SALU_CYCLE_1)
	s_and_not1_b32 vcc_lo, exec_lo, s1
	s_cbranch_vccnz .LBB86_1812
; %bb.1811:
	s_wait_loadcnt 0x0
	global_load_i16 v2, v[4:5], off
.LBB86_1812:
	s_mov_b32 s1, 0
.LBB86_1813:
	s_delay_alu instid0(SALU_CYCLE_1)
	s_and_not1_b32 vcc_lo, exec_lo, s1
	s_cbranch_vccnz .LBB86_1819
; %bb.1814:
	s_cmp_gt_i32 s0, 0
	s_mov_b32 s0, 0
	s_cbranch_scc0 .LBB86_1816
; %bb.1815:
	s_wait_loadcnt 0x0
	global_load_i8 v2, v[4:5], off
	s_branch .LBB86_1817
.LBB86_1816:
	s_mov_b32 s0, -1
                                        ; implicit-def: $vgpr2
.LBB86_1817:
	s_delay_alu instid0(SALU_CYCLE_1)
	s_and_not1_b32 vcc_lo, exec_lo, s0
	s_cbranch_vccnz .LBB86_1819
; %bb.1818:
	s_wait_loadcnt 0x0
	global_load_u8 v2, v[4:5], off
.LBB86_1819:
	s_mov_b32 s27, -1
.LBB86_1820:
	s_delay_alu instid0(SALU_CYCLE_1)
	s_and_not1_b32 vcc_lo, exec_lo, s27
	s_cbranch_vccnz .LBB86_1828
; %bb.1821:
	s_wait_xcnt 0x0
	v_mul_lo_u32 v4, s28, v22
	s_and_b32 s0, s52, 0xff
	s_delay_alu instid0(SALU_CYCLE_1) | instskip(NEXT) | instid1(VALU_DEP_1)
	s_cmp_lt_i32 s0, 11
	v_ashrrev_i32_e32 v5, 31, v4
	s_delay_alu instid0(VALU_DEP_1)
	v_add_nc_u64_e32 v[4:5], s[30:31], v[4:5]
	s_cbranch_scc1 .LBB86_1829
; %bb.1822:
	s_and_b32 s1, 0xffff, s0
	s_delay_alu instid0(SALU_CYCLE_1)
	s_cmp_gt_i32 s1, 25
	s_cbranch_scc0 .LBB86_1830
; %bb.1823:
	s_cmp_gt_i32 s1, 28
	s_cbranch_scc0 .LBB86_1831
; %bb.1824:
	;; [unrolled: 3-line block ×4, first 2 shown]
	s_cmp_eq_u32 s1, 46
	s_mov_b32 s36, 0
	s_cbranch_scc0 .LBB86_1921
; %bb.1827:
	global_load_b32 v1, v[4:5], off
	s_mov_b32 s27, -1
	s_mov_b32 s83, 0
	s_wait_loadcnt 0x0
	v_lshlrev_b32_e32 v1, 16, v1
	s_delay_alu instid0(VALU_DEP_1)
	v_cvt_i32_f32_e32 v6, v1
	s_branch .LBB86_1923
.LBB86_1828:
	s_mov_b32 s0, 0
	s_mov_b32 s1, s74
	;; [unrolled: 1-line block ×7, first 2 shown]
	s_branch .LBB86_2045
.LBB86_1829:
	s_mov_b32 s1, -1
	s_mov_b32 s27, 0
	s_mov_b32 s83, s70
                                        ; implicit-def: $vgpr6
	s_branch .LBB86_1984
.LBB86_1830:
	s_mov_b32 s36, -1
	s_mov_b32 s27, 0
	s_mov_b32 s83, s70
                                        ; implicit-def: $vgpr6
	s_branch .LBB86_1950
.LBB86_1831:
	s_mov_b32 s36, -1
	s_mov_b32 s27, 0
	s_mov_b32 s83, s70
                                        ; implicit-def: $vgpr6
	s_branch .LBB86_1933
.LBB86_1832:
	s_mov_b32 s36, -1
	s_mov_b32 s27, 0
	s_mov_b32 s83, s70
                                        ; implicit-def: $vgpr6
	s_branch .LBB86_1928
.LBB86_1833:
	s_mov_b32 s36, -1
	s_mov_b32 s27, 0
	s_mov_b32 s83, s70
	s_branch .LBB86_1922
.LBB86_1834:
	s_mov_b32 s39, -1
	s_mov_b32 s27, 0
	s_mov_b32 s38, 0
.LBB86_1835:
	s_and_b32 vcc_lo, exec_lo, s39
	s_cbranch_vccz .LBB86_1838
; %bb.1836:
	s_cmp_eq_u32 s37, 44
	s_mov_b32 s27, -1
	s_cbranch_scc0 .LBB86_1838
; %bb.1837:
	s_wait_xcnt 0x0
	v_mov_b32_e32 v2, 0
	s_mov_b32 s38, -1
	s_mov_b32 s27, 0
	s_mov_b32 s39, 0
	global_store_b8 v[0:1], v2, off
	s_branch .LBB86_1839
.LBB86_1838:
	s_mov_b32 s39, 0
.LBB86_1839:
	s_delay_alu instid0(SALU_CYCLE_1)
	s_and_b32 vcc_lo, exec_lo, s39
	s_cbranch_vccz .LBB86_1842
; %bb.1840:
	s_cmp_eq_u32 s37, 29
	s_mov_b32 s27, -1
	s_cbranch_scc0 .LBB86_1842
; %bb.1841:
	s_wait_xcnt 0x0
	v_mov_b64_e32 v[2:3], 0
	s_mov_b32 s38, -1
	s_mov_b32 s27, 0
	s_mov_b32 s39, 0
	global_store_b64 v[0:1], v[2:3], off
	s_branch .LBB86_1843
.LBB86_1842:
	s_mov_b32 s39, 0
.LBB86_1843:
	s_delay_alu instid0(SALU_CYCLE_1)
	s_and_b32 vcc_lo, exec_lo, s39
	s_cbranch_vccz .LBB86_1853
; %bb.1844:
	s_cmp_lt_i32 s37, 27
	s_mov_b32 s38, -1
	s_cbranch_scc1 .LBB86_1850
; %bb.1845:
	s_cmp_gt_i32 s37, 27
	s_cbranch_scc0 .LBB86_1847
; %bb.1846:
	s_wait_xcnt 0x0
	v_mov_b32_e32 v2, 0
	s_mov_b32 s38, 0
	global_store_b32 v[0:1], v2, off
.LBB86_1847:
	s_and_not1_b32 vcc_lo, exec_lo, s38
	s_cbranch_vccnz .LBB86_1849
; %bb.1848:
	s_wait_xcnt 0x0
	v_mov_b32_e32 v2, 0
	global_store_b16 v[0:1], v2, off
.LBB86_1849:
	s_mov_b32 s38, 0
.LBB86_1850:
	s_delay_alu instid0(SALU_CYCLE_1)
	s_and_not1_b32 vcc_lo, exec_lo, s38
	s_cbranch_vccnz .LBB86_1852
; %bb.1851:
	s_wait_xcnt 0x0
	v_mov_b32_e32 v2, 0
	global_store_b8 v[0:1], v2, off
.LBB86_1852:
	s_mov_b32 s38, -1
.LBB86_1853:
	s_mov_b32 s39, 0
.LBB86_1854:
	s_delay_alu instid0(SALU_CYCLE_1)
	s_and_b32 vcc_lo, exec_lo, s39
	s_cbranch_vccz .LBB86_1873
; %bb.1855:
	s_cmp_gt_i32 s37, 22
	s_mov_b32 s39, -1
	s_cbranch_scc0 .LBB86_1865
; %bb.1856:
	s_cmp_lt_i32 s37, 24
	s_mov_b32 s38, -1
	s_cbranch_scc1 .LBB86_1862
; %bb.1857:
	s_cmp_gt_i32 s37, 24
	s_cbranch_scc0 .LBB86_1859
; %bb.1858:
	s_wait_xcnt 0x0
	v_mov_b32_e32 v2, 0
	s_mov_b32 s38, 0
	global_store_b8 v[0:1], v2, off
.LBB86_1859:
	s_and_not1_b32 vcc_lo, exec_lo, s38
	s_cbranch_vccnz .LBB86_1861
; %bb.1860:
	s_wait_xcnt 0x0
	v_mov_b32_e32 v2, 0
	global_store_b8 v[0:1], v2, off
.LBB86_1861:
	s_mov_b32 s38, 0
.LBB86_1862:
	s_delay_alu instid0(SALU_CYCLE_1)
	s_and_not1_b32 vcc_lo, exec_lo, s38
	s_cbranch_vccnz .LBB86_1864
; %bb.1863:
	s_wait_xcnt 0x0
	v_mov_b32_e32 v2, 0
	global_store_b8 v[0:1], v2, off
.LBB86_1864:
	s_mov_b32 s39, 0
	s_mov_b32 s38, -1
.LBB86_1865:
	s_and_not1_b32 vcc_lo, exec_lo, s39
	s_cbranch_vccnz .LBB86_1873
; %bb.1866:
	s_cmp_gt_i32 s37, 14
	s_mov_b32 s39, -1
	s_cbranch_scc0 .LBB86_1870
; %bb.1867:
	s_cmp_eq_u32 s37, 15
	s_mov_b32 s27, -1
	s_cbranch_scc0 .LBB86_1869
; %bb.1868:
	s_wait_xcnt 0x0
	v_mov_b32_e32 v2, 0
	s_mov_b32 s38, -1
	s_mov_b32 s27, 0
	global_store_b16 v[0:1], v2, off
.LBB86_1869:
	s_mov_b32 s39, 0
.LBB86_1870:
	s_delay_alu instid0(SALU_CYCLE_1)
	s_and_b32 vcc_lo, exec_lo, s39
	s_cbranch_vccz .LBB86_1873
; %bb.1871:
	s_cmp_eq_u32 s37, 11
	s_mov_b32 s27, -1
	s_cbranch_scc0 .LBB86_1873
; %bb.1872:
	s_wait_xcnt 0x0
	v_mov_b32_e32 v2, 0
	s_mov_b32 s38, -1
	s_mov_b32 s27, 0
	global_store_b8 v[0:1], v2, off
.LBB86_1873:
	s_mov_b32 s37, 0
.LBB86_1874:
	s_delay_alu instid0(SALU_CYCLE_1)
	s_and_b32 vcc_lo, exec_lo, s37
	s_cbranch_vccz .LBB86_1913
; %bb.1875:
	s_and_b32 s36, 0xffff, s36
	s_mov_b32 s37, -1
	s_cmp_lt_i32 s36, 5
	s_cbranch_scc1 .LBB86_1896
; %bb.1876:
	s_cmp_lt_i32 s36, 8
	s_cbranch_scc1 .LBB86_1886
; %bb.1877:
	;; [unrolled: 3-line block ×3, first 2 shown]
	s_cmp_gt_i32 s36, 9
	s_cbranch_scc0 .LBB86_1880
; %bb.1879:
	s_wait_xcnt 0x0
	v_mov_b32_e32 v2, 0
	s_mov_b32 s37, 0
	s_delay_alu instid0(VALU_DEP_1)
	v_dual_mov_b32 v3, v2 :: v_dual_mov_b32 v4, v2
	v_mov_b32_e32 v5, v2
	global_store_b128 v[0:1], v[2:5], off
.LBB86_1880:
	s_and_not1_b32 vcc_lo, exec_lo, s37
	s_cbranch_vccnz .LBB86_1882
; %bb.1881:
	s_wait_xcnt 0x0
	v_mov_b64_e32 v[2:3], 0
	global_store_b64 v[0:1], v[2:3], off
.LBB86_1882:
	s_mov_b32 s37, 0
.LBB86_1883:
	s_delay_alu instid0(SALU_CYCLE_1)
	s_and_not1_b32 vcc_lo, exec_lo, s37
	s_cbranch_vccnz .LBB86_1885
; %bb.1884:
	s_wait_xcnt 0x0
	v_mov_b32_e32 v2, 0
	global_store_b32 v[0:1], v2, off
.LBB86_1885:
	s_mov_b32 s37, 0
.LBB86_1886:
	s_delay_alu instid0(SALU_CYCLE_1)
	s_and_not1_b32 vcc_lo, exec_lo, s37
	s_cbranch_vccnz .LBB86_1895
; %bb.1887:
	s_cmp_lt_i32 s36, 6
	s_mov_b32 s37, -1
	s_cbranch_scc1 .LBB86_1893
; %bb.1888:
	s_cmp_gt_i32 s36, 6
	s_cbranch_scc0 .LBB86_1890
; %bb.1889:
	s_wait_xcnt 0x0
	v_mov_b64_e32 v[2:3], 0
	s_mov_b32 s37, 0
	global_store_b64 v[0:1], v[2:3], off
.LBB86_1890:
	s_and_not1_b32 vcc_lo, exec_lo, s37
	s_cbranch_vccnz .LBB86_1892
; %bb.1891:
	s_wait_xcnt 0x0
	v_mov_b32_e32 v2, 0
	global_store_b32 v[0:1], v2, off
.LBB86_1892:
	s_mov_b32 s37, 0
.LBB86_1893:
	s_delay_alu instid0(SALU_CYCLE_1)
	s_and_not1_b32 vcc_lo, exec_lo, s37
	s_cbranch_vccnz .LBB86_1895
; %bb.1894:
	s_wait_xcnt 0x0
	v_mov_b32_e32 v2, 0
	global_store_b16 v[0:1], v2, off
.LBB86_1895:
	s_mov_b32 s37, 0
.LBB86_1896:
	s_delay_alu instid0(SALU_CYCLE_1)
	s_and_not1_b32 vcc_lo, exec_lo, s37
	s_cbranch_vccnz .LBB86_1912
; %bb.1897:
	s_cmp_lt_i32 s36, 2
	s_mov_b32 s37, -1
	s_cbranch_scc1 .LBB86_1907
; %bb.1898:
	s_cmp_lt_i32 s36, 3
	s_cbranch_scc1 .LBB86_1904
; %bb.1899:
	s_cmp_gt_i32 s36, 3
	s_cbranch_scc0 .LBB86_1901
; %bb.1900:
	s_wait_xcnt 0x0
	v_mov_b64_e32 v[2:3], 0
	s_mov_b32 s37, 0
	global_store_b64 v[0:1], v[2:3], off
.LBB86_1901:
	s_and_not1_b32 vcc_lo, exec_lo, s37
	s_cbranch_vccnz .LBB86_1903
; %bb.1902:
	s_wait_xcnt 0x0
	v_mov_b32_e32 v2, 0
	global_store_b32 v[0:1], v2, off
.LBB86_1903:
	s_mov_b32 s37, 0
.LBB86_1904:
	s_delay_alu instid0(SALU_CYCLE_1)
	s_and_not1_b32 vcc_lo, exec_lo, s37
	s_cbranch_vccnz .LBB86_1906
; %bb.1905:
	s_wait_xcnt 0x0
	v_mov_b32_e32 v2, 0
	global_store_b16 v[0:1], v2, off
.LBB86_1906:
	s_mov_b32 s37, 0
.LBB86_1907:
	s_delay_alu instid0(SALU_CYCLE_1)
	s_and_not1_b32 vcc_lo, exec_lo, s37
	s_cbranch_vccnz .LBB86_1912
; %bb.1908:
	s_cmp_gt_i32 s36, 0
	s_mov_b32 s36, -1
	s_cbranch_scc0 .LBB86_1910
; %bb.1909:
	s_wait_xcnt 0x0
	v_mov_b32_e32 v2, 0
	s_mov_b32 s36, 0
	global_store_b8 v[0:1], v2, off
.LBB86_1910:
	s_and_not1_b32 vcc_lo, exec_lo, s36
	s_cbranch_vccnz .LBB86_1912
; %bb.1911:
	s_wait_xcnt 0x0
	v_mov_b32_e32 v2, 0
	global_store_b8 v[0:1], v2, off
.LBB86_1912:
	s_mov_b32 s38, -1
.LBB86_1913:
	s_delay_alu instid0(SALU_CYCLE_1)
	s_and_not1_b32 vcc_lo, exec_lo, s38
	s_cbranch_vccnz .LBB86_1915
; %bb.1914:
	v_add_nc_u32_e32 v22, 0x80, v22
	s_mov_b32 s37, -1
	s_branch .LBB86_1916
.LBB86_1915:
	s_mov_b32 s37, 0
                                        ; implicit-def: $vgpr22
.LBB86_1916:
	s_and_b32 s36, s27, exec_lo
	s_and_not1_b32 s0, s0, exec_lo
	s_and_b32 s27, s37, exec_lo
.LBB86_1917:
	s_wait_xcnt 0x0
	s_or_b32 exec_lo, exec_lo, s1
	s_delay_alu instid0(SALU_CYCLE_1)
	s_and_b32 s36, s36, exec_lo
	s_and_b32 s0, s0, exec_lo
	s_xor_b32 s1, exec_lo, -1
	s_and_b32 s27, s27, exec_lo
.LBB86_1918:
	s_or_b32 exec_lo, exec_lo, s58
	s_delay_alu instid0(SALU_CYCLE_1)
	s_and_b32 s38, s36, exec_lo
	s_and_b32 s37, s0, exec_lo
	;; [unrolled: 1-line block ×3, first 2 shown]
	s_xor_b32 s1, exec_lo, -1
	s_and_b32 s0, s27, exec_lo
.LBB86_1919:
	s_or_b32 exec_lo, exec_lo, s57
	s_delay_alu instid0(SALU_CYCLE_1)
	s_and_b32 s38, s38, exec_lo
	s_and_b32 s37, s37, exec_lo
	;; [unrolled: 1-line block ×4, first 2 shown]
	s_xor_b32 s1, exec_lo, -1
	s_and_b32 s0, s0, exec_lo
	s_or_b32 exec_lo, exec_lo, s54
	s_branch .LBB86_629
.LBB86_1920:
	s_mov_b32 s39, -1
	s_mov_b32 s38, 0
	s_mov_b32 s27, s54
	s_branch .LBB86_3512
.LBB86_1921:
	s_mov_b32 s83, -1
	s_mov_b32 s27, 0
.LBB86_1922:
                                        ; implicit-def: $vgpr6
.LBB86_1923:
	s_and_b32 vcc_lo, exec_lo, s36
	s_cbranch_vccz .LBB86_1927
; %bb.1924:
	s_cmp_eq_u32 s1, 44
	s_cbranch_scc0 .LBB86_1926
; %bb.1925:
	global_load_u8 v1, v[4:5], off
	s_mov_b32 s83, 0
	s_mov_b32 s27, -1
	s_wait_loadcnt 0x0
	v_lshlrev_b32_e32 v3, 23, v1
	v_cmp_ne_u32_e32 vcc_lo, 0, v1
	s_delay_alu instid0(VALU_DEP_2) | instskip(NEXT) | instid1(VALU_DEP_1)
	v_cvt_i32_f32_e32 v3, v3
	v_cndmask_b32_e32 v6, 0, v3, vcc_lo
	s_branch .LBB86_1927
.LBB86_1926:
	s_mov_b32 s83, -1
                                        ; implicit-def: $vgpr6
.LBB86_1927:
	s_mov_b32 s36, 0
.LBB86_1928:
	s_delay_alu instid0(SALU_CYCLE_1)
	s_and_b32 vcc_lo, exec_lo, s36
	s_cbranch_vccz .LBB86_1932
; %bb.1929:
	s_cmp_eq_u32 s1, 29
	s_cbranch_scc0 .LBB86_1931
; %bb.1930:
	global_load_b32 v6, v[4:5], off
	s_mov_b32 s27, -1
	s_mov_b32 s83, 0
	s_branch .LBB86_1932
.LBB86_1931:
	s_mov_b32 s83, -1
                                        ; implicit-def: $vgpr6
.LBB86_1932:
	s_mov_b32 s36, 0
.LBB86_1933:
	s_delay_alu instid0(SALU_CYCLE_1)
	s_and_b32 vcc_lo, exec_lo, s36
	s_cbranch_vccz .LBB86_1949
; %bb.1934:
	s_cmp_lt_i32 s1, 27
	s_cbranch_scc1 .LBB86_1937
; %bb.1935:
	s_cmp_gt_i32 s1, 27
	s_cbranch_scc0 .LBB86_1938
; %bb.1936:
	s_wait_loadcnt 0x0
	global_load_b32 v6, v[4:5], off
	s_mov_b32 s27, 0
	s_branch .LBB86_1939
.LBB86_1937:
	s_mov_b32 s27, -1
                                        ; implicit-def: $vgpr6
	s_branch .LBB86_1942
.LBB86_1938:
	s_mov_b32 s27, -1
                                        ; implicit-def: $vgpr6
.LBB86_1939:
	s_delay_alu instid0(SALU_CYCLE_1)
	s_and_not1_b32 vcc_lo, exec_lo, s27
	s_cbranch_vccnz .LBB86_1941
; %bb.1940:
	s_wait_loadcnt 0x0
	global_load_u16 v6, v[4:5], off
.LBB86_1941:
	s_mov_b32 s27, 0
.LBB86_1942:
	s_delay_alu instid0(SALU_CYCLE_1)
	s_and_not1_b32 vcc_lo, exec_lo, s27
	s_cbranch_vccnz .LBB86_1948
; %bb.1943:
	global_load_u8 v1, v[4:5], off
	s_mov_b32 s36, 0
	s_mov_b32 s27, exec_lo
	s_wait_loadcnt 0x0
	v_cmpx_lt_i16_e32 0x7f, v1
	s_xor_b32 s27, exec_lo, s27
	s_cbranch_execz .LBB86_1960
; %bb.1944:
	v_cmp_ne_u16_e32 vcc_lo, 0x80, v1
	s_and_b32 s36, vcc_lo, exec_lo
	s_and_not1_saveexec_b32 s27, s27
	s_cbranch_execnz .LBB86_1961
.LBB86_1945:
	s_or_b32 exec_lo, exec_lo, s27
	v_mov_b32_e32 v6, 0
	s_and_saveexec_b32 s27, s36
	s_cbranch_execz .LBB86_1947
.LBB86_1946:
	v_and_b32_e32 v3, 0xffff, v1
	s_delay_alu instid0(VALU_DEP_1) | instskip(SKIP_1) | instid1(VALU_DEP_2)
	v_and_b32_e32 v6, 7, v3
	v_bfe_u32 v11, v3, 3, 4
	v_clz_i32_u32_e32 v9, v6
	s_delay_alu instid0(VALU_DEP_2) | instskip(NEXT) | instid1(VALU_DEP_2)
	v_cmp_eq_u32_e32 vcc_lo, 0, v11
	v_min_u32_e32 v9, 32, v9
	s_delay_alu instid0(VALU_DEP_1) | instskip(NEXT) | instid1(VALU_DEP_1)
	v_subrev_nc_u32_e32 v10, 28, v9
	v_dual_lshlrev_b32 v3, v10, v3 :: v_dual_sub_nc_u32 v9, 29, v9
	s_delay_alu instid0(VALU_DEP_1) | instskip(NEXT) | instid1(VALU_DEP_1)
	v_dual_lshlrev_b32 v1, 24, v1 :: v_dual_bitop2_b32 v3, 7, v3 bitop3:0x40
	v_dual_cndmask_b32 v3, v6, v3, vcc_lo :: v_dual_cndmask_b32 v9, v11, v9, vcc_lo
	s_delay_alu instid0(VALU_DEP_2) | instskip(NEXT) | instid1(VALU_DEP_2)
	v_and_b32_e32 v1, 0x80000000, v1
	v_lshlrev_b32_e32 v3, 20, v3
	s_delay_alu instid0(VALU_DEP_3) | instskip(NEXT) | instid1(VALU_DEP_1)
	v_lshl_add_u32 v6, v9, 23, 0x3b800000
	v_or3_b32 v1, v1, v6, v3
	s_delay_alu instid0(VALU_DEP_1)
	v_cvt_i32_f32_e32 v6, v1
.LBB86_1947:
	s_or_b32 exec_lo, exec_lo, s27
.LBB86_1948:
	s_mov_b32 s27, -1
.LBB86_1949:
	s_mov_b32 s36, 0
.LBB86_1950:
	s_delay_alu instid0(SALU_CYCLE_1)
	s_and_b32 vcc_lo, exec_lo, s36
	s_cbranch_vccz .LBB86_1983
; %bb.1951:
	s_cmp_gt_i32 s1, 22
	s_cbranch_scc0 .LBB86_1959
; %bb.1952:
	s_cmp_lt_i32 s1, 24
	s_cbranch_scc1 .LBB86_1962
; %bb.1953:
	s_cmp_gt_i32 s1, 24
	s_cbranch_scc0 .LBB86_1963
; %bb.1954:
	global_load_u8 v1, v[4:5], off
	s_mov_b32 s36, 0
	s_mov_b32 s27, exec_lo
	s_wait_loadcnt 0x0
	v_cmpx_lt_i16_e32 0x7f, v1
	s_xor_b32 s27, exec_lo, s27
	s_cbranch_execz .LBB86_1975
; %bb.1955:
	v_cmp_ne_u16_e32 vcc_lo, 0x80, v1
	s_and_b32 s36, vcc_lo, exec_lo
	s_and_not1_saveexec_b32 s27, s27
	s_cbranch_execnz .LBB86_1976
.LBB86_1956:
	s_or_b32 exec_lo, exec_lo, s27
	v_mov_b32_e32 v6, 0
	s_and_saveexec_b32 s27, s36
	s_cbranch_execz .LBB86_1958
.LBB86_1957:
	v_and_b32_e32 v3, 0xffff, v1
	s_delay_alu instid0(VALU_DEP_1) | instskip(SKIP_1) | instid1(VALU_DEP_2)
	v_and_b32_e32 v6, 3, v3
	v_bfe_u32 v11, v3, 2, 5
	v_clz_i32_u32_e32 v9, v6
	s_delay_alu instid0(VALU_DEP_2) | instskip(NEXT) | instid1(VALU_DEP_2)
	v_cmp_eq_u32_e32 vcc_lo, 0, v11
	v_min_u32_e32 v9, 32, v9
	s_delay_alu instid0(VALU_DEP_1) | instskip(NEXT) | instid1(VALU_DEP_1)
	v_subrev_nc_u32_e32 v10, 29, v9
	v_dual_lshlrev_b32 v3, v10, v3 :: v_dual_sub_nc_u32 v9, 30, v9
	s_delay_alu instid0(VALU_DEP_1) | instskip(NEXT) | instid1(VALU_DEP_1)
	v_dual_lshlrev_b32 v1, 24, v1 :: v_dual_bitop2_b32 v3, 3, v3 bitop3:0x40
	v_dual_cndmask_b32 v3, v6, v3, vcc_lo :: v_dual_cndmask_b32 v9, v11, v9, vcc_lo
	s_delay_alu instid0(VALU_DEP_2) | instskip(NEXT) | instid1(VALU_DEP_2)
	v_and_b32_e32 v1, 0x80000000, v1
	v_lshlrev_b32_e32 v3, 21, v3
	s_delay_alu instid0(VALU_DEP_3) | instskip(NEXT) | instid1(VALU_DEP_1)
	v_lshl_add_u32 v6, v9, 23, 0x37800000
	v_or3_b32 v1, v1, v6, v3
	s_delay_alu instid0(VALU_DEP_1)
	v_cvt_i32_f32_e32 v6, v1
.LBB86_1958:
	s_or_b32 exec_lo, exec_lo, s27
	s_mov_b32 s27, 0
	s_branch .LBB86_1964
.LBB86_1959:
	s_mov_b32 s36, -1
                                        ; implicit-def: $vgpr6
	s_branch .LBB86_1970
.LBB86_1960:
	s_and_not1_saveexec_b32 s27, s27
	s_cbranch_execz .LBB86_1945
.LBB86_1961:
	v_cmp_ne_u16_e32 vcc_lo, 0, v1
	s_and_not1_b32 s36, s36, exec_lo
	s_and_b32 s37, vcc_lo, exec_lo
	s_delay_alu instid0(SALU_CYCLE_1)
	s_or_b32 s36, s36, s37
	s_or_b32 exec_lo, exec_lo, s27
	v_mov_b32_e32 v6, 0
	s_and_saveexec_b32 s27, s36
	s_cbranch_execnz .LBB86_1946
	s_branch .LBB86_1947
.LBB86_1962:
	s_mov_b32 s27, -1
                                        ; implicit-def: $vgpr6
	s_branch .LBB86_1967
.LBB86_1963:
	s_mov_b32 s27, -1
                                        ; implicit-def: $vgpr6
.LBB86_1964:
	s_delay_alu instid0(SALU_CYCLE_1)
	s_and_b32 vcc_lo, exec_lo, s27
	s_cbranch_vccz .LBB86_1966
; %bb.1965:
	global_load_u8 v1, v[4:5], off
	s_wait_loadcnt 0x0
	v_lshlrev_b32_e32 v1, 24, v1
	s_delay_alu instid0(VALU_DEP_1) | instskip(NEXT) | instid1(VALU_DEP_1)
	v_and_b32_e32 v3, 0x7f000000, v1
	v_clz_i32_u32_e32 v6, v3
	v_cmp_ne_u32_e32 vcc_lo, 0, v3
	v_add_nc_u32_e32 v10, 0x1000000, v3
	s_delay_alu instid0(VALU_DEP_3) | instskip(NEXT) | instid1(VALU_DEP_1)
	v_min_u32_e32 v6, 32, v6
	v_sub_nc_u32_e64 v6, v6, 4 clamp
	s_delay_alu instid0(VALU_DEP_1) | instskip(NEXT) | instid1(VALU_DEP_1)
	v_dual_lshlrev_b32 v9, v6, v3 :: v_dual_lshlrev_b32 v6, 23, v6
	v_lshrrev_b32_e32 v9, 4, v9
	s_delay_alu instid0(VALU_DEP_1) | instskip(SKIP_1) | instid1(VALU_DEP_2)
	v_sub_nc_u32_e32 v6, v9, v6
	v_ashrrev_i32_e32 v9, 8, v10
	v_add_nc_u32_e32 v6, 0x3c000000, v6
	s_delay_alu instid0(VALU_DEP_1) | instskip(NEXT) | instid1(VALU_DEP_1)
	v_and_or_b32 v6, 0x7f800000, v9, v6
	v_cndmask_b32_e32 v3, 0, v6, vcc_lo
	s_delay_alu instid0(VALU_DEP_1) | instskip(NEXT) | instid1(VALU_DEP_1)
	v_and_or_b32 v1, 0x80000000, v1, v3
	v_cvt_i32_f32_e32 v6, v1
.LBB86_1966:
	s_mov_b32 s27, 0
.LBB86_1967:
	s_delay_alu instid0(SALU_CYCLE_1)
	s_and_not1_b32 vcc_lo, exec_lo, s27
	s_cbranch_vccnz .LBB86_1969
; %bb.1968:
	global_load_u8 v1, v[4:5], off
	s_wait_loadcnt 0x0
	v_lshlrev_b32_e32 v3, 25, v1
	v_lshlrev_b16 v1, 8, v1
	s_delay_alu instid0(VALU_DEP_1) | instskip(NEXT) | instid1(VALU_DEP_3)
	v_and_or_b32 v9, 0x7f00, v1, 0.5
	v_lshrrev_b32_e32 v6, 4, v3
	v_bfe_i32 v1, v1, 0, 16
	s_delay_alu instid0(VALU_DEP_3) | instskip(NEXT) | instid1(VALU_DEP_3)
	v_add_f32_e32 v9, -0.5, v9
	v_or_b32_e32 v6, 0x70000000, v6
	s_delay_alu instid0(VALU_DEP_1) | instskip(SKIP_1) | instid1(VALU_DEP_2)
	v_mul_f32_e32 v6, 0x7800000, v6
	v_cmp_gt_u32_e32 vcc_lo, 0x8000000, v3
	v_cndmask_b32_e32 v3, v6, v9, vcc_lo
	s_delay_alu instid0(VALU_DEP_1) | instskip(NEXT) | instid1(VALU_DEP_1)
	v_and_or_b32 v1, 0x80000000, v1, v3
	v_cvt_i32_f32_e32 v6, v1
.LBB86_1969:
	s_mov_b32 s36, 0
	s_mov_b32 s27, -1
.LBB86_1970:
	s_and_not1_b32 vcc_lo, exec_lo, s36
	s_cbranch_vccnz .LBB86_1983
; %bb.1971:
	s_cmp_gt_i32 s1, 14
	s_cbranch_scc0 .LBB86_1974
; %bb.1972:
	s_cmp_eq_u32 s1, 15
	s_cbranch_scc0 .LBB86_1977
; %bb.1973:
	global_load_u16 v1, v[4:5], off
	s_mov_b32 s27, -1
	s_mov_b32 s83, 0
	s_wait_loadcnt 0x0
	v_lshlrev_b32_e32 v1, 16, v1
	s_delay_alu instid0(VALU_DEP_1)
	v_cvt_i32_f32_e32 v6, v1
	s_branch .LBB86_1978
.LBB86_1974:
	s_mov_b32 s36, -1
                                        ; implicit-def: $vgpr6
	s_branch .LBB86_1979
.LBB86_1975:
	s_and_not1_saveexec_b32 s27, s27
	s_cbranch_execz .LBB86_1956
.LBB86_1976:
	v_cmp_ne_u16_e32 vcc_lo, 0, v1
	s_and_not1_b32 s36, s36, exec_lo
	s_and_b32 s37, vcc_lo, exec_lo
	s_delay_alu instid0(SALU_CYCLE_1)
	s_or_b32 s36, s36, s37
	s_or_b32 exec_lo, exec_lo, s27
	v_mov_b32_e32 v6, 0
	s_and_saveexec_b32 s27, s36
	s_cbranch_execnz .LBB86_1957
	s_branch .LBB86_1958
.LBB86_1977:
	s_mov_b32 s83, -1
                                        ; implicit-def: $vgpr6
.LBB86_1978:
	s_mov_b32 s36, 0
.LBB86_1979:
	s_delay_alu instid0(SALU_CYCLE_1)
	s_and_b32 vcc_lo, exec_lo, s36
	s_cbranch_vccz .LBB86_1983
; %bb.1980:
	s_cmp_eq_u32 s1, 11
	s_cbranch_scc0 .LBB86_1982
; %bb.1981:
	global_load_u8 v1, v[4:5], off
	s_mov_b32 s83, 0
	s_mov_b32 s27, -1
	s_wait_loadcnt 0x0
	v_cmp_ne_u16_e32 vcc_lo, 0, v1
	v_cndmask_b32_e64 v6, 0, 1, vcc_lo
	s_branch .LBB86_1983
.LBB86_1982:
	s_mov_b32 s83, -1
                                        ; implicit-def: $vgpr6
.LBB86_1983:
	s_mov_b32 s1, 0
.LBB86_1984:
	s_delay_alu instid0(SALU_CYCLE_1)
	s_and_b32 vcc_lo, exec_lo, s1
	s_cbranch_vccz .LBB86_2033
; %bb.1985:
	s_and_b32 s0, 0xffff, s0
	s_delay_alu instid0(SALU_CYCLE_1)
	s_cmp_lt_i32 s0, 5
	s_cbranch_scc1 .LBB86_1990
; %bb.1986:
	s_cmp_lt_i32 s0, 8
	s_cbranch_scc1 .LBB86_1991
; %bb.1987:
	;; [unrolled: 3-line block ×3, first 2 shown]
	s_cmp_gt_i32 s0, 9
	s_cbranch_scc0 .LBB86_1993
; %bb.1989:
	global_load_b64 v[10:11], v[4:5], off
	s_mov_b32 s1, 0
	s_wait_loadcnt 0x0
	v_cvt_i32_f64_e32 v6, v[10:11]
	s_branch .LBB86_1994
.LBB86_1990:
	s_mov_b32 s1, -1
                                        ; implicit-def: $vgpr6
	s_branch .LBB86_2012
.LBB86_1991:
	s_mov_b32 s1, -1
                                        ; implicit-def: $vgpr6
	s_branch .LBB86_2000
.LBB86_1992:
	s_mov_b32 s1, -1
                                        ; implicit-def: $vgpr6
	s_branch .LBB86_1997
.LBB86_1993:
	s_mov_b32 s1, -1
                                        ; implicit-def: $vgpr6
.LBB86_1994:
	s_delay_alu instid0(SALU_CYCLE_1)
	s_and_not1_b32 vcc_lo, exec_lo, s1
	s_cbranch_vccnz .LBB86_1996
; %bb.1995:
	global_load_b32 v1, v[4:5], off
	s_wait_loadcnt 0x0
	v_cvt_i32_f32_e32 v6, v1
.LBB86_1996:
	s_mov_b32 s1, 0
.LBB86_1997:
	s_delay_alu instid0(SALU_CYCLE_1)
	s_and_not1_b32 vcc_lo, exec_lo, s1
	s_cbranch_vccnz .LBB86_1999
; %bb.1998:
	global_load_b32 v1, v[4:5], off
	s_wait_loadcnt 0x0
	v_cvt_f32_f16_e32 v1, v1
	s_delay_alu instid0(VALU_DEP_1)
	v_cvt_i32_f32_e32 v6, v1
.LBB86_1999:
	s_mov_b32 s1, 0
.LBB86_2000:
	s_delay_alu instid0(SALU_CYCLE_1)
	s_and_not1_b32 vcc_lo, exec_lo, s1
	s_cbranch_vccnz .LBB86_2011
; %bb.2001:
	s_cmp_lt_i32 s0, 6
	s_cbranch_scc1 .LBB86_2004
; %bb.2002:
	s_cmp_gt_i32 s0, 6
	s_cbranch_scc0 .LBB86_2005
; %bb.2003:
	global_load_b64 v[10:11], v[4:5], off
	s_mov_b32 s1, 0
	s_wait_loadcnt 0x0
	v_cvt_i32_f64_e32 v6, v[10:11]
	s_branch .LBB86_2006
.LBB86_2004:
	s_mov_b32 s1, -1
                                        ; implicit-def: $vgpr6
	s_branch .LBB86_2009
.LBB86_2005:
	s_mov_b32 s1, -1
                                        ; implicit-def: $vgpr6
.LBB86_2006:
	s_delay_alu instid0(SALU_CYCLE_1)
	s_and_not1_b32 vcc_lo, exec_lo, s1
	s_cbranch_vccnz .LBB86_2008
; %bb.2007:
	global_load_b32 v1, v[4:5], off
	s_wait_loadcnt 0x0
	v_cvt_i32_f32_e32 v6, v1
.LBB86_2008:
	s_mov_b32 s1, 0
.LBB86_2009:
	s_delay_alu instid0(SALU_CYCLE_1)
	s_and_not1_b32 vcc_lo, exec_lo, s1
	s_cbranch_vccnz .LBB86_2011
; %bb.2010:
	global_load_u16 v1, v[4:5], off
	s_wait_loadcnt 0x0
	v_cvt_f32_f16_e32 v1, v1
	s_delay_alu instid0(VALU_DEP_1)
	v_cvt_i32_f32_e32 v6, v1
.LBB86_2011:
	s_mov_b32 s1, 0
.LBB86_2012:
	s_delay_alu instid0(SALU_CYCLE_1)
	s_and_not1_b32 vcc_lo, exec_lo, s1
	s_cbranch_vccnz .LBB86_2032
; %bb.2013:
	s_cmp_lt_i32 s0, 2
	s_cbranch_scc1 .LBB86_2017
; %bb.2014:
	s_cmp_lt_i32 s0, 3
	s_cbranch_scc1 .LBB86_2018
; %bb.2015:
	s_cmp_gt_i32 s0, 3
	s_cbranch_scc0 .LBB86_2019
; %bb.2016:
	s_wait_loadcnt 0x0
	global_load_b32 v6, v[4:5], off
	s_mov_b32 s1, 0
	s_branch .LBB86_2020
.LBB86_2017:
	s_mov_b32 s1, -1
                                        ; implicit-def: $vgpr6
	s_branch .LBB86_2026
.LBB86_2018:
	s_mov_b32 s1, -1
                                        ; implicit-def: $vgpr6
	s_branch .LBB86_2023
.LBB86_2019:
	s_mov_b32 s1, -1
                                        ; implicit-def: $vgpr6
.LBB86_2020:
	s_delay_alu instid0(SALU_CYCLE_1)
	s_and_not1_b32 vcc_lo, exec_lo, s1
	s_cbranch_vccnz .LBB86_2022
; %bb.2021:
	s_wait_loadcnt 0x0
	global_load_b32 v6, v[4:5], off
.LBB86_2022:
	s_mov_b32 s1, 0
.LBB86_2023:
	s_delay_alu instid0(SALU_CYCLE_1)
	s_and_not1_b32 vcc_lo, exec_lo, s1
	s_cbranch_vccnz .LBB86_2025
; %bb.2024:
	s_wait_loadcnt 0x0
	global_load_i16 v6, v[4:5], off
.LBB86_2025:
	s_mov_b32 s1, 0
.LBB86_2026:
	s_delay_alu instid0(SALU_CYCLE_1)
	s_and_not1_b32 vcc_lo, exec_lo, s1
	s_cbranch_vccnz .LBB86_2032
; %bb.2027:
	s_cmp_gt_i32 s0, 0
	s_mov_b32 s0, 0
	s_cbranch_scc0 .LBB86_2029
; %bb.2028:
	s_wait_loadcnt 0x0
	global_load_i8 v6, v[4:5], off
	s_branch .LBB86_2030
.LBB86_2029:
	s_mov_b32 s0, -1
                                        ; implicit-def: $vgpr6
.LBB86_2030:
	s_delay_alu instid0(SALU_CYCLE_1)
	s_and_not1_b32 vcc_lo, exec_lo, s0
	s_cbranch_vccnz .LBB86_2032
; %bb.2031:
	s_wait_loadcnt 0x0
	global_load_u8 v6, v[4:5], off
.LBB86_2032:
	s_mov_b32 s27, -1
.LBB86_2033:
	s_delay_alu instid0(SALU_CYCLE_1)
	s_and_not1_b32 vcc_lo, exec_lo, s27
	s_cbranch_vccnz .LBB86_2044
; %bb.2034:
	s_wait_loadcnt 0x0
	v_cmp_eq_u32_e32 vcc_lo, s29, v7
	s_mov_b32 s0, 0
	s_mov_b32 s37, -1
	s_mov_b32 s38, s72
	s_mov_b32 s36, s76
	s_and_b32 s39, s51, vcc_lo
	s_mov_b32 s27, s75
	s_mov_b32 s1, s74
	s_wait_xcnt 0x0
	s_and_saveexec_b32 s84, s39
	s_cbranch_execz .LBB86_4195
; %bb.2035:
	v_cmp_eq_u32_e32 vcc_lo, s18, v8
	s_mov_b32 s36, -1
	s_mov_b32 s37, s76
	s_mov_b32 s27, s75
	;; [unrolled: 1-line block ×3, first 2 shown]
	s_and_b32 s1, s50, vcc_lo
	s_delay_alu instid0(SALU_CYCLE_1)
	s_and_saveexec_b32 s85, s1
	s_cbranch_execz .LBB86_3681
; %bb.2036:
	v_sub_nc_u32_e32 v1, v2, v0
	s_mov_b32 s1, 0
	s_mov_b32 s27, -1
	s_mov_b32 s37, s74
	s_delay_alu instid0(VALU_DEP_1) | instskip(SKIP_4) | instid1(SALU_CYCLE_1)
	v_cmp_le_i32_e32 vcc_lo, s29, v1
	v_cmp_ge_i32_e64 s0, s16, v1
	s_and_b32 s36, vcc_lo, s0
	s_mov_b32 s0, s75
	s_and_b32 s36, s49, s36
	s_and_saveexec_b32 s86, s36
	s_cbranch_execz .LBB86_3680
; %bb.2037:
	v_mov_b64_e32 v[4:5], 0
	s_and_not1_b32 vcc_lo, exec_lo, s17
	s_cbranch_vccnz .LBB86_2060
; %bb.2038:
	v_ashrrev_i32_e32 v7, 31, v6
	s_mov_b32 s27, s1
	v_mov_b64_e32 v[4:5], 0
	s_lshl_b64 s[38:39], s[26:27], 3
	s_mov_b64 s[36:37], 0xffffffff
	v_mul_u64_e32 v[8:9], s[18:19], v[6:7]
	v_mov_b32_e32 v6, 0
	s_add_nc_u64 s[38:39], s[24:25], s[38:39]
	s_mov_b32 s27, s48
	s_add_nc_u64 s[38:39], s[38:39], 0x68
	s_branch .LBB86_2040
.LBB86_2039:                            ;   in Loop: Header=BB86_2040 Depth=1
	s_or_b32 exec_lo, exec_lo, s0
	s_delay_alu instid0(VALU_DEP_1)
	v_mul_u64_e32 v[12:13], s[40:41], v[10:11]
	s_load_b64 s[40:41], s[38:39], 0x40
	s_add_co_i32 s27, s27, -1
	s_wait_xcnt 0x0
	s_add_nc_u64 s[38:39], s[38:39], -8
	s_cmp_lg_u32 s27, 0
	s_delay_alu instid0(VALU_DEP_1) | instskip(SKIP_1) | instid1(VALU_DEP_1)
	v_sub_nc_u64_e32 v[8:9], v[8:9], v[12:13]
	s_wait_kmcnt 0x0
	v_mad_nc_u64_u32 v[4:5], v8, s40, v[4:5]
	s_delay_alu instid0(VALU_DEP_1) | instskip(NEXT) | instid1(VALU_DEP_1)
	v_mad_u32 v1, v9, s40, v5
	v_mad_u32 v5, v8, s41, v1
	v_mov_b64_e32 v[8:9], v[10:11]
	s_cbranch_scc0 .LBB86_2060
.LBB86_2040:                            ; =>This Inner Loop Header: Depth=1
	s_load_b64 s[40:41], s[38:39], 0x0
                                        ; implicit-def: $vgpr10_vgpr11
	s_mov_b32 s0, exec_lo
	s_wait_kmcnt 0x0
	s_delay_alu instid0(VALU_DEP_1) | instskip(NEXT) | instid1(VALU_DEP_1)
	v_or_b32_e32 v7, s41, v9
	v_cmpx_ne_u64_e32 0, v[6:7]
	s_xor_b32 s87, exec_lo, s0
	s_cbranch_execz .LBB86_2042
; %bb.2041:                             ;   in Loop: Header=BB86_2040 Depth=1
	s_ashr_i32 s42, s41, 31
	v_dual_mov_b32 v15, v6 :: v_dual_ashrrev_i32 v10, 31, v9
	s_mov_b32 s43, s42
	v_mov_b32_e32 v25, v6
	s_add_nc_u64 s[44:45], s[40:41], s[42:43]
	s_delay_alu instid0(VALU_DEP_2) | instskip(SKIP_1) | instid1(SALU_CYCLE_1)
	v_mov_b32_e32 v11, v10
	s_xor_b64 s[44:45], s[44:45], s[42:43]
	s_cvt_f32_u32 s0, s44
	s_cvt_f32_u32 s43, s45
	s_sub_nc_u64 s[90:91], 0, s[44:45]
	v_add_nc_u64_e32 v[12:13], v[8:9], v[10:11]
	v_mov_b32_e32 v19, v6
	s_fmamk_f32 s0, s43, 0x4f800000, s0
	s_delay_alu instid0(SALU_CYCLE_3) | instskip(NEXT) | instid1(VALU_DEP_2)
	v_s_rcp_f32 s0, s0
	v_xor_b32_e32 v14, v12, v10
	s_delay_alu instid0(VALU_DEP_3) | instskip(NEXT) | instid1(TRANS32_DEP_1)
	v_xor_b32_e32 v18, v13, v10
	s_mul_f32 s0, s0, 0x5f7ffffc
	s_delay_alu instid0(SALU_CYCLE_3) | instskip(NEXT) | instid1(SALU_CYCLE_3)
	s_mul_f32 s43, s0, 0x2f800000
	s_trunc_f32 s43, s43
	s_delay_alu instid0(SALU_CYCLE_3) | instskip(SKIP_1) | instid1(SALU_CYCLE_2)
	s_fmamk_f32 s0, s43, 0xcf800000, s0
	s_cvt_u32_f32 s89, s43
	s_cvt_u32_f32 s88, s0
	s_delay_alu instid0(SALU_CYCLE_3) | instskip(NEXT) | instid1(SALU_CYCLE_1)
	s_mul_u64 s[92:93], s[90:91], s[88:89]
	s_mul_hi_u32 s95, s88, s93
	s_mul_i32 s94, s88, s93
	s_mul_hi_u32 s0, s88, s92
	s_mul_i32 s96, s89, s92
	s_add_nc_u64 s[94:95], s[0:1], s[94:95]
	s_mul_hi_u32 s43, s89, s92
	s_mul_hi_u32 s97, s89, s93
	s_add_co_u32 s0, s94, s96
	s_add_co_ci_u32 s0, s95, s43
	s_mul_i32 s92, s89, s93
	s_add_co_ci_u32 s93, s97, 0
	s_delay_alu instid0(SALU_CYCLE_1) | instskip(NEXT) | instid1(SALU_CYCLE_1)
	s_add_nc_u64 s[92:93], s[0:1], s[92:93]
	s_add_co_u32 s88, s88, s92
	s_cselect_b32 s0, -1, 0
	s_delay_alu instid0(SALU_CYCLE_1) | instskip(SKIP_1) | instid1(SALU_CYCLE_1)
	s_cmp_lg_u32 s0, 0
	s_add_co_ci_u32 s89, s89, s93
	s_mul_u64 s[90:91], s[90:91], s[88:89]
	s_delay_alu instid0(SALU_CYCLE_1)
	s_mul_hi_u32 s93, s88, s91
	s_mul_i32 s92, s88, s91
	s_mul_hi_u32 s0, s88, s90
	s_mul_i32 s94, s89, s90
	s_add_nc_u64 s[92:93], s[0:1], s[92:93]
	s_mul_hi_u32 s43, s89, s90
	s_mul_hi_u32 s95, s89, s91
	s_add_co_u32 s0, s92, s94
	s_add_co_ci_u32 s0, s93, s43
	s_mul_i32 s90, s89, s91
	s_add_co_ci_u32 s91, s95, 0
	s_delay_alu instid0(SALU_CYCLE_1) | instskip(NEXT) | instid1(SALU_CYCLE_1)
	s_add_nc_u64 s[90:91], s[0:1], s[90:91]
	s_add_co_u32 s88, s88, s90
	s_cselect_b32 s0, -1, 0
	v_mul_hi_u32 v24, v14, s88
	s_cmp_lg_u32 s0, 0
	s_add_co_ci_u32 s0, s89, s91
	s_and_b64 s[90:91], s[88:89], s[36:37]
	v_mul_u64_e32 v[16:17], s[0:1], v[14:15]
	v_mul_u64_e32 v[12:13], s[90:91], v[18:19]
	;; [unrolled: 1-line block ×3, first 2 shown]
	s_delay_alu instid0(VALU_DEP_3) | instskip(NEXT) | instid1(VALU_DEP_1)
	v_add_nc_u64_e32 v[16:17], v[24:25], v[16:17]
	v_add_co_u32 v1, vcc_lo, v16, v12
	s_delay_alu instid0(VALU_DEP_2) | instskip(NEXT) | instid1(VALU_DEP_4)
	v_add_co_ci_u32_e32 v24, vcc_lo, v17, v13, vcc_lo
	v_add_co_ci_u32_e32 v21, vcc_lo, 0, v21, vcc_lo
	s_delay_alu instid0(VALU_DEP_1) | instskip(NEXT) | instid1(VALU_DEP_1)
	v_add_nc_u64_e32 v[12:13], v[24:25], v[20:21]
	v_mul_u64_e32 v[16:17], s[44:45], v[12:13]
	s_delay_alu instid0(VALU_DEP_1) | instskip(NEXT) | instid1(VALU_DEP_2)
	v_sub_nc_u32_e32 v1, v18, v17
	v_sub_co_u32 v3, vcc_lo, v14, v16
	s_delay_alu instid0(VALU_DEP_1) | instskip(NEXT) | instid1(VALU_DEP_3)
	v_sub_co_ci_u32_e64 v11, null, v18, v17, vcc_lo
	v_subrev_co_ci_u32_e64 v1, null, s45, v1, vcc_lo
	s_delay_alu instid0(VALU_DEP_3) | instskip(SKIP_1) | instid1(VALU_DEP_3)
	v_sub_co_u32 v7, s0, v3, s44
	v_add_nc_u64_e32 v[16:17], 1, v[12:13]
	v_subrev_co_ci_u32_e64 v1, null, 0, v1, s0
	s_delay_alu instid0(VALU_DEP_3) | instskip(SKIP_1) | instid1(VALU_DEP_3)
	v_cmp_le_u32_e32 vcc_lo, s44, v7
	v_cndmask_b32_e64 v7, 0, -1, vcc_lo
	v_cmp_le_u32_e32 vcc_lo, s45, v1
	v_cndmask_b32_e64 v14, 0, -1, vcc_lo
	;; [unrolled: 2-line block ×4, first 2 shown]
	v_cmp_eq_u32_e32 vcc_lo, s45, v1
	v_cndmask_b32_e32 v1, v14, v7, vcc_lo
	v_cmp_eq_u32_e32 vcc_lo, s45, v11
	v_add_nc_u64_e32 v[14:15], 2, v[12:13]
	v_cndmask_b32_e32 v3, v18, v3, vcc_lo
	s_delay_alu instid0(VALU_DEP_4) | instskip(NEXT) | instid1(VALU_DEP_2)
	v_cmp_ne_u32_e32 vcc_lo, 0, v1
	v_cmp_ne_u32_e64 s0, 0, v3
	s_delay_alu instid0(VALU_DEP_4) | instskip(NEXT) | instid1(VALU_DEP_1)
	v_dual_cndmask_b32 v1, v17, v15, vcc_lo :: v_dual_cndmask_b32 v3, v16, v14, vcc_lo
	v_dual_cndmask_b32 v1, v13, v1, s0 :: v_dual_bitop2_b32 v10, s42, v10 bitop3:0x14
	s_delay_alu instid0(VALU_DEP_1) | instskip(NEXT) | instid1(VALU_DEP_2)
	v_dual_cndmask_b32 v3, v12, v3, s0 :: v_dual_mov_b32 v11, v10
	v_xor_b32_e32 v13, v1, v10
	s_delay_alu instid0(VALU_DEP_2) | instskip(NEXT) | instid1(VALU_DEP_1)
	v_xor_b32_e32 v12, v3, v10
	v_sub_nc_u64_e32 v[10:11], v[12:13], v[10:11]
.LBB86_2042:                            ;   in Loop: Header=BB86_2040 Depth=1
	s_and_not1_saveexec_b32 s0, s87
	s_cbranch_execz .LBB86_2039
; %bb.2043:                             ;   in Loop: Header=BB86_2040 Depth=1
	v_cvt_f32_u32_e32 v1, s40
	s_sub_co_i32 s42, 0, s40
	v_mov_b32_e32 v11, v6
	s_delay_alu instid0(VALU_DEP_2) | instskip(SKIP_1) | instid1(TRANS32_DEP_1)
	v_rcp_iflag_f32_e32 v1, v1
	v_nop
	v_mul_f32_e32 v1, 0x4f7ffffe, v1
	s_delay_alu instid0(VALU_DEP_1) | instskip(NEXT) | instid1(VALU_DEP_1)
	v_cvt_u32_f32_e32 v1, v1
	v_mul_lo_u32 v3, s42, v1
	s_delay_alu instid0(VALU_DEP_1) | instskip(NEXT) | instid1(VALU_DEP_1)
	v_mul_hi_u32 v3, v1, v3
	v_add_nc_u32_e32 v1, v1, v3
	s_delay_alu instid0(VALU_DEP_1) | instskip(NEXT) | instid1(VALU_DEP_1)
	v_mul_hi_u32 v1, v8, v1
	v_mul_lo_u32 v3, v1, s40
	s_delay_alu instid0(VALU_DEP_1) | instskip(NEXT) | instid1(VALU_DEP_1)
	v_sub_nc_u32_e32 v3, v8, v3
	v_subrev_nc_u32_e32 v10, s40, v3
	v_cmp_le_u32_e32 vcc_lo, s40, v3
	s_delay_alu instid0(VALU_DEP_2) | instskip(NEXT) | instid1(VALU_DEP_1)
	v_dual_add_nc_u32 v7, 1, v1 :: v_dual_cndmask_b32 v3, v3, v10, vcc_lo
	v_cndmask_b32_e32 v1, v1, v7, vcc_lo
	s_delay_alu instid0(VALU_DEP_2) | instskip(NEXT) | instid1(VALU_DEP_2)
	v_cmp_le_u32_e32 vcc_lo, s40, v3
	v_add_nc_u32_e32 v7, 1, v1
	s_delay_alu instid0(VALU_DEP_1)
	v_cndmask_b32_e32 v10, v1, v7, vcc_lo
	s_branch .LBB86_2039
.LBB86_2044:
	s_mov_b32 s0, 0
	s_mov_b32 s1, s74
	;; [unrolled: 1-line block ×6, first 2 shown]
.LBB86_2045:
                                        ; implicit-def: $vgpr22
.LBB86_2046:
	s_and_not1_b32 s39, s74, exec_lo
	s_and_b32 s1, s1, exec_lo
	s_and_not1_b32 s40, s75, exec_lo
	s_and_b32 s27, s27, exec_lo
	s_or_b32 s43, s39, s1
	s_or_b32 s40, s40, s27
	s_and_not1_b32 s1, s76, exec_lo
	s_and_b32 s27, s36, exec_lo
	s_and_not1_b32 s36, s72, exec_lo
	s_and_b32 s38, s38, exec_lo
	s_or_b32 s42, s1, s27
	s_or_b32 s38, s36, s38
	;; [unrolled: 6-line block ×5, first 2 shown]
	s_or_not1_b32 s80, s0, exec_lo
.LBB86_2047:
	s_wait_xcnt 0x0
	s_or_b32 exec_lo, exec_lo, s78
	s_mov_b32 s45, 0
	s_mov_b32 s78, 0
	;; [unrolled: 1-line block ×3, first 2 shown]
                                        ; implicit-def: $sgpr0
                                        ; implicit-def: $vgpr0_vgpr1
                                        ; implicit-def: $vgpr7
	s_and_saveexec_b32 s44, s80
	s_cbranch_execz .LBB86_2138
; %bb.2048:
	v_cmp_gt_i32_e32 vcc_lo, s55, v22
	s_mov_b32 s55, 0
	s_mov_b32 s80, s1
                                        ; implicit-def: $sgpr0
                                        ; implicit-def: $vgpr0_vgpr1
                                        ; implicit-def: $vgpr7
	s_and_saveexec_b32 s45, vcc_lo
	s_cbranch_execz .LBB86_2137
; %bb.2049:
	s_wait_loadcnt 0x0
	v_mul_lo_u32 v0, s20, v22
	s_and_b32 s0, s56, 0xff
	s_delay_alu instid0(SALU_CYCLE_1) | instskip(NEXT) | instid1(VALU_DEP_1)
	s_cmp_lt_i32 s0, 11
	v_ashrrev_i32_e32 v1, 31, v0
	s_delay_alu instid0(VALU_DEP_1)
	v_add_nc_u64_e32 v[0:1], s[4:5], v[0:1]
	s_cbranch_scc1 .LBB86_2056
; %bb.2050:
	s_and_b32 s5, 0xffff, s0
	s_mov_b32 s20, 0
	s_cmp_gt_i32 s5, 25
	s_cbranch_scc0 .LBB86_2057
; %bb.2051:
	s_cmp_gt_i32 s5, 28
	s_cbranch_scc0 .LBB86_2058
; %bb.2052:
	;; [unrolled: 3-line block ×4, first 2 shown]
	s_cmp_eq_u32 s5, 46
	s_mov_b32 s56, 0
	s_cbranch_scc0 .LBB86_2075
; %bb.2055:
	global_load_b32 v2, v[0:1], off
	s_mov_b32 s4, 0
	s_mov_b32 s55, -1
	s_wait_loadcnt 0x0
	v_lshlrev_b32_e32 v2, 16, v2
	s_delay_alu instid0(VALU_DEP_1)
	v_cvt_i32_f32_e32 v7, v2
	s_branch .LBB86_2077
.LBB86_2056:
	s_mov_b32 s5, -1
	s_mov_b32 s20, 0
	s_mov_b32 s4, s1
                                        ; implicit-def: $vgpr7
	s_branch .LBB86_2136
.LBB86_2057:
	s_mov_b32 s56, -1
	s_mov_b32 s4, s1
                                        ; implicit-def: $vgpr7
	s_branch .LBB86_2104
.LBB86_2058:
	s_mov_b32 s56, -1
	s_mov_b32 s4, s1
                                        ; implicit-def: $vgpr7
	s_branch .LBB86_2087
.LBB86_2059:
	s_mov_b32 s56, -1
	s_mov_b32 s4, s1
                                        ; implicit-def: $vgpr7
	s_branch .LBB86_2082
.LBB86_2060:
	s_mov_b32 s37, -1
	s_mov_b32 s0, s75
	s_mov_b32 s1, exec_lo
	v_cmpx_gt_i32_e64 v2, v0
	s_cbranch_execz .LBB86_2067
; %bb.2061:
	s_delay_alu instid0(VALU_DEP_2) | instskip(SKIP_3) | instid1(VALU_DEP_1)
	v_lshlrev_b64_e32 v[4:5], 2, v[4:5]
	v_dual_ashrrev_i32 v1, 31, v0 :: v_dual_ashrrev_i32 v3, 31, v2
	s_mov_b32 s0, 0
	s_xor_b32 s36, s35, -1
                                        ; implicit-def: $sgpr27
                                        ; implicit-def: $sgpr38
                                        ; implicit-def: $sgpr37
	v_lshl_add_u64 v[0:1], v[0:1], 2, v[4:5]
	v_add_nc_u64_e32 v[4:5], s[12:13], v[4:5]
	s_delay_alu instid0(VALU_DEP_2) | instskip(NEXT) | instid1(VALU_DEP_2)
	v_add_nc_u64_e32 v[0:1], s[12:13], v[0:1]
	v_lshl_add_u64 v[2:3], v[2:3], 2, v[4:5]
	s_delay_alu instid0(VALU_DEP_2)
	v_add_nc_u64_e32 v[0:1], 4, v[0:1]
	s_branch .LBB86_2063
.LBB86_2062:                            ;   in Loop: Header=BB86_2063 Depth=1
	s_or_b32 exec_lo, exec_lo, s39
	s_delay_alu instid0(SALU_CYCLE_1) | instskip(NEXT) | instid1(SALU_CYCLE_1)
	s_and_b32 s39, exec_lo, s38
	s_or_b32 s0, s39, s0
	s_and_not1_b32 s27, s27, exec_lo
	s_and_b32 s39, s37, exec_lo
	s_delay_alu instid0(SALU_CYCLE_1)
	s_or_b32 s27, s27, s39
	s_and_not1_b32 exec_lo, exec_lo, s0
	s_cbranch_execz .LBB86_2066
.LBB86_2063:                            ; =>This Inner Loop Header: Depth=1
	s_or_b32 s37, s37, exec_lo
	s_or_b32 s38, s38, exec_lo
	s_mov_b32 s39, exec_lo
	s_delay_alu instid0(VALU_DEP_1)
	v_cmpx_lt_u64_e64 v[0:1], v[2:3]
	s_cbranch_execz .LBB86_2062
; %bb.2064:                             ;   in Loop: Header=BB86_2063 Depth=1
	global_load_b64 v[4:5], v[0:1], off offset:-4
	s_wait_xcnt 0x0
	v_add_nc_u64_e32 v[0:1], 4, v[0:1]
	s_and_not1_b32 s38, s38, exec_lo
	s_and_not1_b32 s37, s37, exec_lo
	s_wait_loadcnt 0x0
	v_cmp_ge_i32_e32 vcc_lo, v4, v5
	s_or_b32 s40, s36, vcc_lo
	s_delay_alu instid0(SALU_CYCLE_1) | instskip(NEXT) | instid1(SALU_CYCLE_1)
	s_and_b32 s40, s40, exec_lo
	s_or_b32 s38, s38, s40
	s_branch .LBB86_2062
.LBB86_2065:
	s_mov_b32 s56, -1
	s_mov_b32 s4, s1
	s_branch .LBB86_2076
.LBB86_2066:
	s_or_b32 exec_lo, exec_lo, s0
	s_delay_alu instid0(SALU_CYCLE_1)
	s_or_b32 s0, s75, exec_lo
	s_or_not1_b32 s37, s27, exec_lo
.LBB86_2067:
	s_or_b32 exec_lo, exec_lo, s1
	s_mov_b32 s36, 0
	s_mov_b32 s27, s74
	s_and_saveexec_b32 s1, s37
	s_cbranch_execz .LBB86_3679
; %bb.2068:
	v_mul_lo_u32 v0, s33, v22
	s_and_b32 s36, s14, 0xff
	s_delay_alu instid0(SALU_CYCLE_1) | instskip(NEXT) | instid1(VALU_DEP_1)
	s_cmp_lt_i32 s36, 11
	v_ashrrev_i32_e32 v1, 31, v0
	s_delay_alu instid0(VALU_DEP_1)
	v_add_nc_u64_e32 v[0:1], s[2:3], v[0:1]
	s_cbranch_scc1 .LBB86_3501
; %bb.2069:
	s_and_b32 s37, 0xffff, s36
	s_delay_alu instid0(SALU_CYCLE_1)
	s_cmp_gt_i32 s37, 25
	s_cbranch_scc0 .LBB86_3503
; %bb.2070:
	s_cmp_gt_i32 s37, 28
	s_cbranch_scc0 .LBB86_3505
; %bb.2071:
	;; [unrolled: 3-line block ×4, first 2 shown]
	s_mov_b32 s39, 0
	s_mov_b32 s27, -1
	s_cmp_eq_u32 s37, 46
	s_mov_b32 s38, 0
	s_cbranch_scc0 .LBB86_3597
; %bb.2074:
	v_mov_b32_e32 v2, 0
	s_mov_b32 s38, -1
	s_mov_b32 s27, 0
	global_store_b32 v[0:1], v2, off
	s_branch .LBB86_3597
.LBB86_2075:
	s_mov_b32 s4, -1
.LBB86_2076:
                                        ; implicit-def: $vgpr7
.LBB86_2077:
	s_and_b32 vcc_lo, exec_lo, s56
	s_cbranch_vccz .LBB86_2081
; %bb.2078:
	s_cmp_eq_u32 s5, 44
	s_cbranch_scc0 .LBB86_2080
; %bb.2079:
	global_load_u8 v2, v[0:1], off
	s_mov_b32 s4, 0
	s_mov_b32 s55, -1
	s_wait_loadcnt 0x0
	v_lshlrev_b32_e32 v3, 23, v2
	v_cmp_ne_u32_e32 vcc_lo, 0, v2
	s_delay_alu instid0(VALU_DEP_2) | instskip(NEXT) | instid1(VALU_DEP_1)
	v_cvt_i32_f32_e32 v3, v3
	v_cndmask_b32_e32 v7, 0, v3, vcc_lo
	s_branch .LBB86_2081
.LBB86_2080:
	s_mov_b32 s4, -1
                                        ; implicit-def: $vgpr7
.LBB86_2081:
	s_mov_b32 s56, 0
.LBB86_2082:
	s_delay_alu instid0(SALU_CYCLE_1)
	s_and_b32 vcc_lo, exec_lo, s56
	s_cbranch_vccz .LBB86_2086
; %bb.2083:
	s_cmp_eq_u32 s5, 29
	s_cbranch_scc0 .LBB86_2085
; %bb.2084:
	global_load_b32 v7, v[0:1], off
	s_mov_b32 s4, 0
	s_mov_b32 s55, -1
	s_branch .LBB86_2086
.LBB86_2085:
	s_mov_b32 s4, -1
                                        ; implicit-def: $vgpr7
.LBB86_2086:
	s_mov_b32 s56, 0
.LBB86_2087:
	s_delay_alu instid0(SALU_CYCLE_1)
	s_and_b32 vcc_lo, exec_lo, s56
	s_cbranch_vccz .LBB86_2103
; %bb.2088:
	s_cmp_lt_i32 s5, 27
	s_cbranch_scc1 .LBB86_2091
; %bb.2089:
	s_cmp_gt_i32 s5, 27
	s_cbranch_scc0 .LBB86_2092
; %bb.2090:
	s_wait_loadcnt 0x0
	global_load_b32 v7, v[0:1], off
	s_mov_b32 s55, 0
	s_branch .LBB86_2093
.LBB86_2091:
	s_mov_b32 s55, -1
                                        ; implicit-def: $vgpr7
	s_branch .LBB86_2096
.LBB86_2092:
	s_mov_b32 s55, -1
                                        ; implicit-def: $vgpr7
.LBB86_2093:
	s_delay_alu instid0(SALU_CYCLE_1)
	s_and_not1_b32 vcc_lo, exec_lo, s55
	s_cbranch_vccnz .LBB86_2095
; %bb.2094:
	s_wait_loadcnt 0x0
	global_load_u16 v7, v[0:1], off
.LBB86_2095:
	s_mov_b32 s55, 0
.LBB86_2096:
	s_delay_alu instid0(SALU_CYCLE_1)
	s_and_not1_b32 vcc_lo, exec_lo, s55
	s_cbranch_vccnz .LBB86_2102
; %bb.2097:
	global_load_u8 v2, v[0:1], off
	s_mov_b32 s56, 0
	s_mov_b32 s55, exec_lo
	s_wait_loadcnt 0x0
	v_cmpx_lt_i16_e32 0x7f, v2
	s_xor_b32 s55, exec_lo, s55
	s_cbranch_execz .LBB86_2114
; %bb.2098:
	v_cmp_ne_u16_e32 vcc_lo, 0x80, v2
	s_and_b32 s56, vcc_lo, exec_lo
	s_and_not1_saveexec_b32 s55, s55
	s_cbranch_execnz .LBB86_2115
.LBB86_2099:
	s_or_b32 exec_lo, exec_lo, s55
	v_mov_b32_e32 v7, 0
	s_and_saveexec_b32 s55, s56
	s_cbranch_execz .LBB86_2101
.LBB86_2100:
	v_and_b32_e32 v3, 0xffff, v2
	s_delay_alu instid0(VALU_DEP_1) | instskip(SKIP_1) | instid1(VALU_DEP_2)
	v_and_b32_e32 v4, 7, v3
	v_bfe_u32 v7, v3, 3, 4
	v_clz_i32_u32_e32 v5, v4
	s_delay_alu instid0(VALU_DEP_2) | instskip(NEXT) | instid1(VALU_DEP_2)
	v_cmp_eq_u32_e32 vcc_lo, 0, v7
	v_min_u32_e32 v5, 32, v5
	s_delay_alu instid0(VALU_DEP_1) | instskip(NEXT) | instid1(VALU_DEP_1)
	v_subrev_nc_u32_e32 v6, 28, v5
	v_dual_lshlrev_b32 v3, v6, v3 :: v_dual_sub_nc_u32 v5, 29, v5
	s_delay_alu instid0(VALU_DEP_1) | instskip(NEXT) | instid1(VALU_DEP_1)
	v_dual_lshlrev_b32 v2, 24, v2 :: v_dual_bitop2_b32 v3, 7, v3 bitop3:0x40
	v_dual_cndmask_b32 v5, v7, v5, vcc_lo :: v_dual_cndmask_b32 v3, v4, v3, vcc_lo
	s_delay_alu instid0(VALU_DEP_2) | instskip(NEXT) | instid1(VALU_DEP_2)
	v_and_b32_e32 v2, 0x80000000, v2
	v_lshl_add_u32 v4, v5, 23, 0x3b800000
	s_delay_alu instid0(VALU_DEP_3) | instskip(NEXT) | instid1(VALU_DEP_1)
	v_lshlrev_b32_e32 v3, 20, v3
	v_or3_b32 v2, v2, v4, v3
	s_delay_alu instid0(VALU_DEP_1)
	v_cvt_i32_f32_e32 v7, v2
.LBB86_2101:
	s_or_b32 exec_lo, exec_lo, s55
.LBB86_2102:
	s_mov_b32 s55, -1
.LBB86_2103:
	s_mov_b32 s56, 0
.LBB86_2104:
	s_delay_alu instid0(SALU_CYCLE_1)
	s_and_b32 vcc_lo, exec_lo, s56
	s_cbranch_vccz .LBB86_2135
; %bb.2105:
	s_cmp_gt_i32 s5, 22
	s_cbranch_scc0 .LBB86_2113
; %bb.2106:
	s_cmp_lt_i32 s5, 24
	s_cbranch_scc1 .LBB86_2116
; %bb.2107:
	s_cmp_gt_i32 s5, 24
	s_cbranch_scc0 .LBB86_2117
; %bb.2108:
	global_load_u8 v2, v[0:1], off
	s_mov_b32 s55, 0
	s_mov_b32 s20, exec_lo
	s_wait_loadcnt 0x0
	v_cmpx_lt_i16_e32 0x7f, v2
	s_xor_b32 s20, exec_lo, s20
	s_cbranch_execz .LBB86_2129
; %bb.2109:
	v_cmp_ne_u16_e32 vcc_lo, 0x80, v2
	s_and_b32 s55, vcc_lo, exec_lo
	s_and_not1_saveexec_b32 s20, s20
	s_cbranch_execnz .LBB86_2130
.LBB86_2110:
	s_or_b32 exec_lo, exec_lo, s20
	v_mov_b32_e32 v7, 0
	s_and_saveexec_b32 s20, s55
	s_cbranch_execz .LBB86_2112
.LBB86_2111:
	v_and_b32_e32 v3, 0xffff, v2
	s_delay_alu instid0(VALU_DEP_1) | instskip(SKIP_1) | instid1(VALU_DEP_2)
	v_and_b32_e32 v4, 3, v3
	v_bfe_u32 v7, v3, 2, 5
	v_clz_i32_u32_e32 v5, v4
	s_delay_alu instid0(VALU_DEP_2) | instskip(NEXT) | instid1(VALU_DEP_2)
	v_cmp_eq_u32_e32 vcc_lo, 0, v7
	v_min_u32_e32 v5, 32, v5
	s_delay_alu instid0(VALU_DEP_1) | instskip(NEXT) | instid1(VALU_DEP_1)
	v_subrev_nc_u32_e32 v6, 29, v5
	v_dual_lshlrev_b32 v3, v6, v3 :: v_dual_sub_nc_u32 v5, 30, v5
	s_delay_alu instid0(VALU_DEP_1) | instskip(NEXT) | instid1(VALU_DEP_1)
	v_dual_lshlrev_b32 v2, 24, v2 :: v_dual_bitop2_b32 v3, 3, v3 bitop3:0x40
	v_dual_cndmask_b32 v5, v7, v5, vcc_lo :: v_dual_cndmask_b32 v3, v4, v3, vcc_lo
	s_delay_alu instid0(VALU_DEP_2) | instskip(NEXT) | instid1(VALU_DEP_2)
	v_and_b32_e32 v2, 0x80000000, v2
	v_lshl_add_u32 v4, v5, 23, 0x37800000
	s_delay_alu instid0(VALU_DEP_3) | instskip(NEXT) | instid1(VALU_DEP_1)
	v_lshlrev_b32_e32 v3, 21, v3
	v_or3_b32 v2, v2, v4, v3
	s_delay_alu instid0(VALU_DEP_1)
	v_cvt_i32_f32_e32 v7, v2
.LBB86_2112:
	s_or_b32 exec_lo, exec_lo, s20
	s_mov_b32 s20, 0
	s_branch .LBB86_2118
.LBB86_2113:
	s_mov_b32 s20, -1
                                        ; implicit-def: $vgpr7
	s_branch .LBB86_2124
.LBB86_2114:
	s_and_not1_saveexec_b32 s55, s55
	s_cbranch_execz .LBB86_2099
.LBB86_2115:
	v_cmp_ne_u16_e32 vcc_lo, 0, v2
	s_and_not1_b32 s56, s56, exec_lo
	s_and_b32 s78, vcc_lo, exec_lo
	s_delay_alu instid0(SALU_CYCLE_1)
	s_or_b32 s56, s56, s78
	s_or_b32 exec_lo, exec_lo, s55
	v_mov_b32_e32 v7, 0
	s_and_saveexec_b32 s55, s56
	s_cbranch_execnz .LBB86_2100
	s_branch .LBB86_2101
.LBB86_2116:
	s_mov_b32 s20, -1
                                        ; implicit-def: $vgpr7
	s_branch .LBB86_2121
.LBB86_2117:
	s_mov_b32 s20, -1
                                        ; implicit-def: $vgpr7
.LBB86_2118:
	s_delay_alu instid0(SALU_CYCLE_1)
	s_and_b32 vcc_lo, exec_lo, s20
	s_cbranch_vccz .LBB86_2120
; %bb.2119:
	global_load_u8 v2, v[0:1], off
	s_wait_loadcnt 0x0
	v_lshlrev_b32_e32 v2, 24, v2
	s_delay_alu instid0(VALU_DEP_1) | instskip(NEXT) | instid1(VALU_DEP_1)
	v_and_b32_e32 v3, 0x7f000000, v2
	v_clz_i32_u32_e32 v4, v3
	v_cmp_ne_u32_e32 vcc_lo, 0, v3
	v_add_nc_u32_e32 v6, 0x1000000, v3
	s_delay_alu instid0(VALU_DEP_3) | instskip(NEXT) | instid1(VALU_DEP_1)
	v_min_u32_e32 v4, 32, v4
	v_sub_nc_u32_e64 v4, v4, 4 clamp
	s_delay_alu instid0(VALU_DEP_1) | instskip(NEXT) | instid1(VALU_DEP_1)
	v_dual_lshlrev_b32 v5, v4, v3 :: v_dual_lshlrev_b32 v4, 23, v4
	v_lshrrev_b32_e32 v5, 4, v5
	s_delay_alu instid0(VALU_DEP_1) | instskip(NEXT) | instid1(VALU_DEP_1)
	v_dual_sub_nc_u32 v4, v5, v4 :: v_dual_ashrrev_i32 v5, 8, v6
	v_add_nc_u32_e32 v4, 0x3c000000, v4
	s_delay_alu instid0(VALU_DEP_1) | instskip(NEXT) | instid1(VALU_DEP_1)
	v_and_or_b32 v4, 0x7f800000, v5, v4
	v_cndmask_b32_e32 v3, 0, v4, vcc_lo
	s_delay_alu instid0(VALU_DEP_1) | instskip(NEXT) | instid1(VALU_DEP_1)
	v_and_or_b32 v2, 0x80000000, v2, v3
	v_cvt_i32_f32_e32 v7, v2
.LBB86_2120:
	s_mov_b32 s20, 0
.LBB86_2121:
	s_delay_alu instid0(SALU_CYCLE_1)
	s_and_not1_b32 vcc_lo, exec_lo, s20
	s_cbranch_vccnz .LBB86_2123
; %bb.2122:
	global_load_u8 v2, v[0:1], off
	s_wait_loadcnt 0x0
	v_lshlrev_b32_e32 v3, 25, v2
	v_lshlrev_b16 v2, 8, v2
	s_delay_alu instid0(VALU_DEP_1) | instskip(SKIP_1) | instid1(VALU_DEP_2)
	v_and_or_b32 v5, 0x7f00, v2, 0.5
	v_bfe_i32 v2, v2, 0, 16
	v_dual_add_f32 v5, -0.5, v5 :: v_dual_lshrrev_b32 v4, 4, v3
	v_cmp_gt_u32_e32 vcc_lo, 0x8000000, v3
	s_delay_alu instid0(VALU_DEP_2) | instskip(NEXT) | instid1(VALU_DEP_1)
	v_or_b32_e32 v4, 0x70000000, v4
	v_mul_f32_e32 v4, 0x7800000, v4
	s_delay_alu instid0(VALU_DEP_1) | instskip(NEXT) | instid1(VALU_DEP_1)
	v_cndmask_b32_e32 v3, v4, v5, vcc_lo
	v_and_or_b32 v2, 0x80000000, v2, v3
	s_delay_alu instid0(VALU_DEP_1)
	v_cvt_i32_f32_e32 v7, v2
.LBB86_2123:
	s_mov_b32 s20, 0
	s_mov_b32 s55, -1
.LBB86_2124:
	s_and_not1_b32 vcc_lo, exec_lo, s20
	s_mov_b32 s20, 0
	s_cbranch_vccnz .LBB86_2135
; %bb.2125:
	s_cmp_gt_i32 s5, 14
	s_cbranch_scc0 .LBB86_2128
; %bb.2126:
	s_cmp_eq_u32 s5, 15
	s_cbranch_scc0 .LBB86_2131
; %bb.2127:
	global_load_u16 v2, v[0:1], off
	s_mov_b32 s4, 0
	s_mov_b32 s55, -1
	s_wait_loadcnt 0x0
	v_lshlrev_b32_e32 v2, 16, v2
	s_delay_alu instid0(VALU_DEP_1)
	v_cvt_i32_f32_e32 v7, v2
	s_branch .LBB86_2133
.LBB86_2128:
	s_mov_b32 s20, -1
	s_branch .LBB86_2132
.LBB86_2129:
	s_and_not1_saveexec_b32 s20, s20
	s_cbranch_execz .LBB86_2110
.LBB86_2130:
	v_cmp_ne_u16_e32 vcc_lo, 0, v2
	s_and_not1_b32 s55, s55, exec_lo
	s_and_b32 s56, vcc_lo, exec_lo
	s_delay_alu instid0(SALU_CYCLE_1)
	s_or_b32 s55, s55, s56
	s_or_b32 exec_lo, exec_lo, s20
	v_mov_b32_e32 v7, 0
	s_and_saveexec_b32 s20, s55
	s_cbranch_execnz .LBB86_2111
	s_branch .LBB86_2112
.LBB86_2131:
	s_mov_b32 s4, -1
.LBB86_2132:
                                        ; implicit-def: $vgpr7
.LBB86_2133:
	s_and_b32 vcc_lo, exec_lo, s20
	s_mov_b32 s20, 0
	s_cbranch_vccz .LBB86_2135
; %bb.2134:
	s_cmp_lg_u32 s5, 11
	s_mov_b32 s20, -1
	s_cselect_b32 s5, -1, 0
	s_and_not1_b32 s4, s4, exec_lo
	s_and_b32 s5, s5, exec_lo
	s_delay_alu instid0(SALU_CYCLE_1)
	s_or_b32 s4, s4, s5
.LBB86_2135:
	s_mov_b32 s5, 0
.LBB86_2136:
	s_delay_alu instid0(SALU_CYCLE_1)
	s_and_b32 s78, s5, exec_lo
	s_and_not1_b32 s5, s1, exec_lo
	s_and_b32 s4, s4, exec_lo
	s_and_b32 s79, s55, exec_lo
	s_and_b32 s55, s20, exec_lo
	s_or_b32 s80, s5, s4
.LBB86_2137:
	s_wait_xcnt 0x0
	s_or_b32 exec_lo, exec_lo, s45
	s_delay_alu instid0(SALU_CYCLE_1)
	s_and_not1_b32 s1, s1, exec_lo
	s_and_b32 s4, s80, exec_lo
	s_and_b32 s79, s79, exec_lo
	;; [unrolled: 1-line block ×4, first 2 shown]
	s_or_b32 s1, s1, s4
.LBB86_2138:
	s_or_b32 exec_lo, exec_lo, s44
	s_delay_alu instid0(SALU_CYCLE_1)
	s_and_not1_b32 s4, s74, exec_lo
	s_and_b32 s5, s43, exec_lo
	s_and_not1_b32 s20, s76, exec_lo
	s_or_b32 s74, s4, s5
	s_and_not1_b32 s4, s75, exec_lo
	s_and_b32 s5, s40, exec_lo
	s_and_b32 s40, s42, exec_lo
	s_or_b32 s75, s4, s5
	s_and_not1_b32 s4, s72, exec_lo
	s_and_b32 s5, s38, exec_lo
	s_or_b32 s76, s20, s40
	s_and_not1_b32 s20, s73, exec_lo
	s_and_b32 s38, s41, exec_lo
	s_or_b32 s72, s4, s5
	s_and_not1_b32 s4, s70, exec_lo
	s_and_b32 s5, s36, exec_lo
	s_or_b32 s73, s20, s38
	s_and_not1_b32 s20, s71, exec_lo
	s_and_b32 s36, s39, exec_lo
	s_or_b32 s70, s4, s5
	s_and_not1_b32 s4, s68, exec_lo
	s_and_b32 s5, s27, exec_lo
	s_or_b32 s71, s20, s36
	s_and_not1_b32 s20, s69, exec_lo
	s_and_b32 s27, s37, exec_lo
	s_or_b32 s68, s4, s5
	s_and_not1_b32 s4, s67, exec_lo
	s_and_b32 s5, s1, exec_lo
	s_or_b32 s69, s20, s27
	s_and_b32 s27, s79, exec_lo
	s_and_b32 s36, s78, exec_lo
	;; [unrolled: 1-line block ×3, first 2 shown]
	s_or_b32 s67, s4, s5
.LBB86_2139:
	s_or_b32 exec_lo, exec_lo, s77
	s_delay_alu instid0(SALU_CYCLE_1)
	s_and_not1_b32 s4, s54, exec_lo
	s_and_b32 s5, s74, exec_lo
	s_and_not1_b32 s20, s58, exec_lo
	s_or_b32 s54, s4, s5
	s_and_not1_b32 s4, s57, exec_lo
	s_and_b32 s5, s75, exec_lo
	s_and_b32 s37, s76, exec_lo
	s_or_b32 s57, s4, s5
	s_and_not1_b32 s4, s59, exec_lo
	s_and_b32 s5, s72, exec_lo
	s_or_b32 s58, s20, s37
	s_and_not1_b32 s20, s60, exec_lo
	;; [unrolled: 3-line block ×7, first 2 shown]
	s_and_b32 s5, s67, exec_lo
	s_or_b32 s64, s20, s37
	s_and_b32 s27, s27, exec_lo
	s_and_b32 s36, s36, exec_lo
	;; [unrolled: 1-line block ×3, first 2 shown]
	s_or_b32 s65, s4, s5
	s_or_b32 exec_lo, exec_lo, s66
	s_mov_b32 s1, 0
	s_and_saveexec_b32 s4, s65
	s_cbranch_execz .LBB86_640
.LBB86_2140:
	s_mov_b32 s1, exec_lo
	s_and_not1_b32 s67, s67, exec_lo
	s_trap 2
	s_or_b32 exec_lo, exec_lo, s4
	s_and_saveexec_b32 s4, s67
	s_delay_alu instid0(SALU_CYCLE_1)
	s_xor_b32 s4, exec_lo, s4
	s_cbranch_execnz .LBB86_641
.LBB86_2141:
	s_or_b32 exec_lo, exec_lo, s4
	s_and_saveexec_b32 s4, s36
	s_cbranch_execz .LBB86_2187
.LBB86_2142:
	s_sext_i32_i16 s5, s0
	s_delay_alu instid0(SALU_CYCLE_1)
	s_cmp_lt_i32 s5, 5
	s_cbranch_scc1 .LBB86_2147
; %bb.2143:
	s_cmp_lt_i32 s5, 8
	s_cbranch_scc1 .LBB86_2148
; %bb.2144:
	;; [unrolled: 3-line block ×3, first 2 shown]
	s_cmp_gt_i32 s5, 9
	s_cbranch_scc0 .LBB86_2150
; %bb.2146:
	s_wait_loadcnt 0x0
	global_load_b64 v[2:3], v[0:1], off
	s_mov_b32 s5, 0
	s_wait_loadcnt 0x0
	v_cvt_i32_f64_e32 v7, v[2:3]
	s_branch .LBB86_2151
.LBB86_2147:
                                        ; implicit-def: $vgpr7
	s_branch .LBB86_2168
.LBB86_2148:
                                        ; implicit-def: $vgpr7
	s_branch .LBB86_2157
.LBB86_2149:
	s_mov_b32 s5, -1
                                        ; implicit-def: $vgpr7
	s_branch .LBB86_2154
.LBB86_2150:
	s_mov_b32 s5, -1
                                        ; implicit-def: $vgpr7
.LBB86_2151:
	s_delay_alu instid0(SALU_CYCLE_1)
	s_and_not1_b32 vcc_lo, exec_lo, s5
	s_cbranch_vccnz .LBB86_2153
; %bb.2152:
	s_wait_loadcnt 0x0
	global_load_b32 v2, v[0:1], off
	s_wait_loadcnt 0x0
	v_cvt_i32_f32_e32 v7, v2
.LBB86_2153:
	s_mov_b32 s5, 0
.LBB86_2154:
	s_delay_alu instid0(SALU_CYCLE_1)
	s_and_not1_b32 vcc_lo, exec_lo, s5
	s_cbranch_vccnz .LBB86_2156
; %bb.2155:
	s_wait_loadcnt 0x0
	global_load_b32 v2, v[0:1], off
	s_wait_loadcnt 0x0
	v_cvt_f32_f16_e32 v2, v2
	s_delay_alu instid0(VALU_DEP_1)
	v_cvt_i32_f32_e32 v7, v2
.LBB86_2156:
	s_cbranch_execnz .LBB86_2167
.LBB86_2157:
	s_sext_i32_i16 s5, s0
	s_delay_alu instid0(SALU_CYCLE_1)
	s_cmp_lt_i32 s5, 6
	s_cbranch_scc1 .LBB86_2160
; %bb.2158:
	s_cmp_gt_i32 s5, 6
	s_cbranch_scc0 .LBB86_2161
; %bb.2159:
	s_wait_loadcnt 0x0
	global_load_b64 v[2:3], v[0:1], off
	s_mov_b32 s5, 0
	s_wait_loadcnt 0x0
	v_cvt_i32_f64_e32 v7, v[2:3]
	s_branch .LBB86_2162
.LBB86_2160:
	s_mov_b32 s5, -1
                                        ; implicit-def: $vgpr7
	s_branch .LBB86_2165
.LBB86_2161:
	s_mov_b32 s5, -1
                                        ; implicit-def: $vgpr7
.LBB86_2162:
	s_delay_alu instid0(SALU_CYCLE_1)
	s_and_not1_b32 vcc_lo, exec_lo, s5
	s_cbranch_vccnz .LBB86_2164
; %bb.2163:
	s_wait_loadcnt 0x0
	global_load_b32 v2, v[0:1], off
	s_wait_loadcnt 0x0
	v_cvt_i32_f32_e32 v7, v2
.LBB86_2164:
	s_mov_b32 s5, 0
.LBB86_2165:
	s_delay_alu instid0(SALU_CYCLE_1)
	s_and_not1_b32 vcc_lo, exec_lo, s5
	s_cbranch_vccnz .LBB86_2167
; %bb.2166:
	s_wait_loadcnt 0x0
	global_load_u16 v2, v[0:1], off
	s_wait_loadcnt 0x0
	v_cvt_f32_f16_e32 v2, v2
	s_delay_alu instid0(VALU_DEP_1)
	v_cvt_i32_f32_e32 v7, v2
.LBB86_2167:
	s_cbranch_execnz .LBB86_2186
.LBB86_2168:
	s_sext_i32_i16 s5, s0
	s_delay_alu instid0(SALU_CYCLE_1)
	s_cmp_lt_i32 s5, 2
	s_cbranch_scc1 .LBB86_2172
; %bb.2169:
	s_cmp_lt_i32 s5, 3
	s_cbranch_scc1 .LBB86_2173
; %bb.2170:
	s_cmp_gt_i32 s5, 3
	s_cbranch_scc0 .LBB86_2174
; %bb.2171:
	s_wait_loadcnt 0x0
	global_load_b32 v7, v[0:1], off
	s_mov_b32 s5, 0
	s_branch .LBB86_2175
.LBB86_2172:
                                        ; implicit-def: $vgpr7
	s_branch .LBB86_2181
.LBB86_2173:
	s_mov_b32 s5, -1
                                        ; implicit-def: $vgpr7
	s_branch .LBB86_2178
.LBB86_2174:
	s_mov_b32 s5, -1
                                        ; implicit-def: $vgpr7
.LBB86_2175:
	s_delay_alu instid0(SALU_CYCLE_1)
	s_and_not1_b32 vcc_lo, exec_lo, s5
	s_cbranch_vccnz .LBB86_2177
; %bb.2176:
	s_wait_loadcnt 0x0
	global_load_b32 v7, v[0:1], off
.LBB86_2177:
	s_mov_b32 s5, 0
.LBB86_2178:
	s_delay_alu instid0(SALU_CYCLE_1)
	s_and_not1_b32 vcc_lo, exec_lo, s5
	s_cbranch_vccnz .LBB86_2180
; %bb.2179:
	s_wait_loadcnt 0x0
	global_load_i16 v7, v[0:1], off
.LBB86_2180:
	s_cbranch_execnz .LBB86_2186
.LBB86_2181:
	s_sext_i32_i16 s0, s0
	s_delay_alu instid0(SALU_CYCLE_1)
	s_cmp_gt_i32 s0, 0
	s_mov_b32 s0, 0
	s_cbranch_scc0 .LBB86_2183
; %bb.2182:
	s_wait_loadcnt 0x0
	global_load_i8 v7, v[0:1], off
	s_branch .LBB86_2184
.LBB86_2183:
	s_mov_b32 s0, -1
                                        ; implicit-def: $vgpr7
.LBB86_2184:
	s_delay_alu instid0(SALU_CYCLE_1)
	s_and_not1_b32 vcc_lo, exec_lo, s0
	s_cbranch_vccnz .LBB86_2186
; %bb.2185:
	s_wait_loadcnt 0x0
	global_load_u8 v7, v[0:1], off
.LBB86_2186:
	s_or_b32 s27, s27, exec_lo
.LBB86_2187:
	s_wait_xcnt 0x0
	s_or_b32 exec_lo, exec_lo, s4
	s_mov_b32 s5, 0
	s_mov_b32 s36, 0
	;; [unrolled: 1-line block ×3, first 2 shown]
                                        ; implicit-def: $sgpr0
                                        ; implicit-def: $vgpr0_vgpr1
                                        ; implicit-def: $vgpr8
	s_and_saveexec_b32 s4, s27
	s_cbranch_execz .LBB86_2195
; %bb.2188:
	s_wait_loadcnt 0x0
	v_mul_lo_u32 v0, s21, v22
	s_and_b32 s0, s53, 0xff
	s_delay_alu instid0(SALU_CYCLE_1) | instskip(NEXT) | instid1(VALU_DEP_1)
	s_cmp_lt_i32 s0, 11
	v_ashrrev_i32_e32 v1, 31, v0
	s_delay_alu instid0(VALU_DEP_1)
	v_add_nc_u64_e32 v[0:1], s[6:7], v[0:1]
	s_cbranch_scc1 .LBB86_2198
; %bb.2189:
	s_and_b32 s6, 0xffff, s0
	s_mov_b32 s7, 0
	s_cmp_gt_i32 s6, 25
	s_cbranch_scc0 .LBB86_2199
; %bb.2190:
	s_cmp_gt_i32 s6, 28
	s_cbranch_scc0 .LBB86_2200
; %bb.2191:
	;; [unrolled: 3-line block ×4, first 2 shown]
	s_cmp_eq_u32 s6, 46
	s_mov_b32 s21, 0
	s_cbranch_scc0 .LBB86_2203
; %bb.2194:
	global_load_b32 v2, v[0:1], off
	s_mov_b32 s20, -1
	s_wait_loadcnt 0x0
	v_lshlrev_b32_e32 v2, 16, v2
	s_delay_alu instid0(VALU_DEP_1)
	v_cvt_i32_f32_e32 v8, v2
	s_branch .LBB86_2205
.LBB86_2195:
	s_or_b32 exec_lo, exec_lo, s4
	s_and_saveexec_b32 s4, s64
	s_cbranch_execnz .LBB86_2264
.LBB86_2196:
	s_or_b32 exec_lo, exec_lo, s4
	s_and_saveexec_b32 s4, s5
	s_delay_alu instid0(SALU_CYCLE_1)
	s_xor_b32 s4, exec_lo, s4
	s_cbranch_execz .LBB86_2265
.LBB86_2197:
	s_wait_loadcnt 0x0
	global_load_u8 v2, v[0:1], off
	s_or_b32 s20, s20, exec_lo
	s_wait_loadcnt 0x0
	v_cmp_ne_u16_e32 vcc_lo, 0, v2
	v_cndmask_b32_e64 v8, 0, 1, vcc_lo
	s_wait_xcnt 0x0
	s_or_b32 exec_lo, exec_lo, s4
	s_and_saveexec_b32 s4, s36
	s_cbranch_execz .LBB86_2311
	s_branch .LBB86_2266
.LBB86_2198:
	s_mov_b32 s6, -1
	s_mov_b32 s7, 0
	s_mov_b32 s5, s64
                                        ; implicit-def: $vgpr8
	s_branch .LBB86_2263
.LBB86_2199:
	s_mov_b32 s5, s64
                                        ; implicit-def: $vgpr8
	s_cbranch_execnz .LBB86_2232
	s_branch .LBB86_2262
.LBB86_2200:
	s_mov_b32 s21, -1
	s_mov_b32 s5, s64
                                        ; implicit-def: $vgpr8
	s_branch .LBB86_2215
.LBB86_2201:
	s_mov_b32 s21, -1
	s_mov_b32 s5, s64
                                        ; implicit-def: $vgpr8
	s_branch .LBB86_2210
.LBB86_2202:
	s_mov_b32 s21, -1
	s_mov_b32 s5, s64
	s_branch .LBB86_2204
.LBB86_2203:
	s_mov_b32 s5, -1
.LBB86_2204:
                                        ; implicit-def: $vgpr8
.LBB86_2205:
	s_and_b32 vcc_lo, exec_lo, s21
	s_cbranch_vccz .LBB86_2209
; %bb.2206:
	s_cmp_eq_u32 s6, 44
	s_cbranch_scc0 .LBB86_2208
; %bb.2207:
	global_load_u8 v2, v[0:1], off
	s_mov_b32 s5, 0
	s_mov_b32 s20, -1
	s_wait_loadcnt 0x0
	v_lshlrev_b32_e32 v3, 23, v2
	v_cmp_ne_u32_e32 vcc_lo, 0, v2
	s_delay_alu instid0(VALU_DEP_2) | instskip(NEXT) | instid1(VALU_DEP_1)
	v_cvt_i32_f32_e32 v3, v3
	v_cndmask_b32_e32 v8, 0, v3, vcc_lo
	s_branch .LBB86_2209
.LBB86_2208:
	s_mov_b32 s5, -1
                                        ; implicit-def: $vgpr8
.LBB86_2209:
	s_mov_b32 s21, 0
.LBB86_2210:
	s_delay_alu instid0(SALU_CYCLE_1)
	s_and_b32 vcc_lo, exec_lo, s21
	s_cbranch_vccz .LBB86_2214
; %bb.2211:
	s_cmp_eq_u32 s6, 29
	s_cbranch_scc0 .LBB86_2213
; %bb.2212:
	global_load_b32 v8, v[0:1], off
	s_mov_b32 s5, 0
	s_mov_b32 s20, -1
	s_branch .LBB86_2214
.LBB86_2213:
	s_mov_b32 s5, -1
                                        ; implicit-def: $vgpr8
.LBB86_2214:
	s_mov_b32 s21, 0
.LBB86_2215:
	s_delay_alu instid0(SALU_CYCLE_1)
	s_and_b32 vcc_lo, exec_lo, s21
	s_cbranch_vccz .LBB86_2231
; %bb.2216:
	s_cmp_lt_i32 s6, 27
	s_cbranch_scc1 .LBB86_2219
; %bb.2217:
	s_cmp_gt_i32 s6, 27
	s_cbranch_scc0 .LBB86_2220
; %bb.2218:
	s_wait_loadcnt 0x0
	global_load_b32 v8, v[0:1], off
	s_mov_b32 s20, 0
	s_branch .LBB86_2221
.LBB86_2219:
	s_mov_b32 s20, -1
                                        ; implicit-def: $vgpr8
	s_branch .LBB86_2224
.LBB86_2220:
	s_mov_b32 s20, -1
                                        ; implicit-def: $vgpr8
.LBB86_2221:
	s_delay_alu instid0(SALU_CYCLE_1)
	s_and_not1_b32 vcc_lo, exec_lo, s20
	s_cbranch_vccnz .LBB86_2223
; %bb.2222:
	s_wait_loadcnt 0x0
	global_load_u16 v8, v[0:1], off
.LBB86_2223:
	s_mov_b32 s20, 0
.LBB86_2224:
	s_delay_alu instid0(SALU_CYCLE_1)
	s_and_not1_b32 vcc_lo, exec_lo, s20
	s_cbranch_vccnz .LBB86_2230
; %bb.2225:
	global_load_u8 v2, v[0:1], off
	s_mov_b32 s21, 0
	s_mov_b32 s20, exec_lo
	s_wait_loadcnt 0x0
	v_cmpx_lt_i16_e32 0x7f, v2
	s_xor_b32 s20, exec_lo, s20
	s_cbranch_execz .LBB86_2241
; %bb.2226:
	v_cmp_ne_u16_e32 vcc_lo, 0x80, v2
	s_and_b32 s21, vcc_lo, exec_lo
	s_and_not1_saveexec_b32 s20, s20
	s_cbranch_execnz .LBB86_2242
.LBB86_2227:
	s_or_b32 exec_lo, exec_lo, s20
	v_mov_b32_e32 v8, 0
	s_and_saveexec_b32 s20, s21
	s_cbranch_execz .LBB86_2229
.LBB86_2228:
	v_and_b32_e32 v3, 0xffff, v2
	s_delay_alu instid0(VALU_DEP_1) | instskip(SKIP_1) | instid1(VALU_DEP_2)
	v_and_b32_e32 v4, 7, v3
	v_bfe_u32 v8, v3, 3, 4
	v_clz_i32_u32_e32 v5, v4
	s_delay_alu instid0(VALU_DEP_2) | instskip(NEXT) | instid1(VALU_DEP_2)
	v_cmp_eq_u32_e32 vcc_lo, 0, v8
	v_min_u32_e32 v5, 32, v5
	s_delay_alu instid0(VALU_DEP_1) | instskip(NEXT) | instid1(VALU_DEP_1)
	v_subrev_nc_u32_e32 v6, 28, v5
	v_dual_lshlrev_b32 v3, v6, v3 :: v_dual_sub_nc_u32 v5, 29, v5
	s_delay_alu instid0(VALU_DEP_1) | instskip(NEXT) | instid1(VALU_DEP_2)
	v_dual_lshlrev_b32 v2, 24, v2 :: v_dual_bitop2_b32 v3, 7, v3 bitop3:0x40
	v_cndmask_b32_e32 v5, v8, v5, vcc_lo
	s_delay_alu instid0(VALU_DEP_2) | instskip(NEXT) | instid1(VALU_DEP_3)
	v_cndmask_b32_e32 v3, v4, v3, vcc_lo
	v_and_b32_e32 v2, 0x80000000, v2
	s_delay_alu instid0(VALU_DEP_3) | instskip(NEXT) | instid1(VALU_DEP_3)
	v_lshl_add_u32 v4, v5, 23, 0x3b800000
	v_lshlrev_b32_e32 v3, 20, v3
	s_delay_alu instid0(VALU_DEP_1) | instskip(NEXT) | instid1(VALU_DEP_1)
	v_or3_b32 v2, v2, v4, v3
	v_cvt_i32_f32_e32 v8, v2
.LBB86_2229:
	s_or_b32 exec_lo, exec_lo, s20
.LBB86_2230:
	s_mov_b32 s20, -1
.LBB86_2231:
	s_branch .LBB86_2262
.LBB86_2232:
	s_cmp_gt_i32 s6, 22
	s_cbranch_scc0 .LBB86_2240
; %bb.2233:
	s_cmp_lt_i32 s6, 24
	s_cbranch_scc1 .LBB86_2243
; %bb.2234:
	s_cmp_gt_i32 s6, 24
	s_cbranch_scc0 .LBB86_2244
; %bb.2235:
	global_load_u8 v2, v[0:1], off
	s_mov_b32 s20, 0
	s_mov_b32 s7, exec_lo
	s_wait_loadcnt 0x0
	v_cmpx_lt_i16_e32 0x7f, v2
	s_xor_b32 s7, exec_lo, s7
	s_cbranch_execz .LBB86_2256
; %bb.2236:
	v_cmp_ne_u16_e32 vcc_lo, 0x80, v2
	s_and_b32 s20, vcc_lo, exec_lo
	s_and_not1_saveexec_b32 s7, s7
	s_cbranch_execnz .LBB86_2257
.LBB86_2237:
	s_or_b32 exec_lo, exec_lo, s7
	v_mov_b32_e32 v8, 0
	s_and_saveexec_b32 s7, s20
	s_cbranch_execz .LBB86_2239
.LBB86_2238:
	v_and_b32_e32 v3, 0xffff, v2
	s_delay_alu instid0(VALU_DEP_1) | instskip(SKIP_1) | instid1(VALU_DEP_2)
	v_and_b32_e32 v4, 3, v3
	v_bfe_u32 v8, v3, 2, 5
	v_clz_i32_u32_e32 v5, v4
	s_delay_alu instid0(VALU_DEP_2) | instskip(NEXT) | instid1(VALU_DEP_2)
	v_cmp_eq_u32_e32 vcc_lo, 0, v8
	v_min_u32_e32 v5, 32, v5
	s_delay_alu instid0(VALU_DEP_1) | instskip(NEXT) | instid1(VALU_DEP_1)
	v_subrev_nc_u32_e32 v6, 29, v5
	v_dual_lshlrev_b32 v3, v6, v3 :: v_dual_sub_nc_u32 v5, 30, v5
	s_delay_alu instid0(VALU_DEP_1) | instskip(NEXT) | instid1(VALU_DEP_2)
	v_dual_lshlrev_b32 v2, 24, v2 :: v_dual_bitop2_b32 v3, 3, v3 bitop3:0x40
	v_cndmask_b32_e32 v5, v8, v5, vcc_lo
	s_delay_alu instid0(VALU_DEP_2) | instskip(NEXT) | instid1(VALU_DEP_3)
	v_cndmask_b32_e32 v3, v4, v3, vcc_lo
	v_and_b32_e32 v2, 0x80000000, v2
	s_delay_alu instid0(VALU_DEP_3) | instskip(NEXT) | instid1(VALU_DEP_3)
	v_lshl_add_u32 v4, v5, 23, 0x37800000
	v_lshlrev_b32_e32 v3, 21, v3
	s_delay_alu instid0(VALU_DEP_1) | instskip(NEXT) | instid1(VALU_DEP_1)
	v_or3_b32 v2, v2, v4, v3
	v_cvt_i32_f32_e32 v8, v2
.LBB86_2239:
	s_or_b32 exec_lo, exec_lo, s7
	s_mov_b32 s7, 0
	s_branch .LBB86_2245
.LBB86_2240:
	s_mov_b32 s7, -1
                                        ; implicit-def: $vgpr8
	s_branch .LBB86_2251
.LBB86_2241:
	s_and_not1_saveexec_b32 s20, s20
	s_cbranch_execz .LBB86_2227
.LBB86_2242:
	v_cmp_ne_u16_e32 vcc_lo, 0, v2
	s_and_not1_b32 s21, s21, exec_lo
	s_and_b32 s27, vcc_lo, exec_lo
	s_delay_alu instid0(SALU_CYCLE_1)
	s_or_b32 s21, s21, s27
	s_or_b32 exec_lo, exec_lo, s20
	v_mov_b32_e32 v8, 0
	s_and_saveexec_b32 s20, s21
	s_cbranch_execnz .LBB86_2228
	s_branch .LBB86_2229
.LBB86_2243:
	s_mov_b32 s7, -1
                                        ; implicit-def: $vgpr8
	s_branch .LBB86_2248
.LBB86_2244:
	s_mov_b32 s7, -1
                                        ; implicit-def: $vgpr8
.LBB86_2245:
	s_delay_alu instid0(SALU_CYCLE_1)
	s_and_b32 vcc_lo, exec_lo, s7
	s_cbranch_vccz .LBB86_2247
; %bb.2246:
	global_load_u8 v2, v[0:1], off
	s_wait_loadcnt 0x0
	v_lshlrev_b32_e32 v2, 24, v2
	s_delay_alu instid0(VALU_DEP_1) | instskip(NEXT) | instid1(VALU_DEP_1)
	v_and_b32_e32 v3, 0x7f000000, v2
	v_clz_i32_u32_e32 v4, v3
	v_cmp_ne_u32_e32 vcc_lo, 0, v3
	v_add_nc_u32_e32 v6, 0x1000000, v3
	s_delay_alu instid0(VALU_DEP_3) | instskip(NEXT) | instid1(VALU_DEP_1)
	v_min_u32_e32 v4, 32, v4
	v_sub_nc_u32_e64 v4, v4, 4 clamp
	s_delay_alu instid0(VALU_DEP_1) | instskip(NEXT) | instid1(VALU_DEP_1)
	v_dual_lshlrev_b32 v5, v4, v3 :: v_dual_lshlrev_b32 v4, 23, v4
	v_lshrrev_b32_e32 v5, 4, v5
	s_delay_alu instid0(VALU_DEP_1) | instskip(NEXT) | instid1(VALU_DEP_1)
	v_dual_sub_nc_u32 v4, v5, v4 :: v_dual_ashrrev_i32 v5, 8, v6
	v_add_nc_u32_e32 v4, 0x3c000000, v4
	s_delay_alu instid0(VALU_DEP_1) | instskip(NEXT) | instid1(VALU_DEP_1)
	v_and_or_b32 v4, 0x7f800000, v5, v4
	v_cndmask_b32_e32 v3, 0, v4, vcc_lo
	s_delay_alu instid0(VALU_DEP_1) | instskip(NEXT) | instid1(VALU_DEP_1)
	v_and_or_b32 v2, 0x80000000, v2, v3
	v_cvt_i32_f32_e32 v8, v2
.LBB86_2247:
	s_mov_b32 s7, 0
.LBB86_2248:
	s_delay_alu instid0(SALU_CYCLE_1)
	s_and_not1_b32 vcc_lo, exec_lo, s7
	s_cbranch_vccnz .LBB86_2250
; %bb.2249:
	global_load_u8 v2, v[0:1], off
	s_wait_loadcnt 0x0
	v_lshlrev_b32_e32 v3, 25, v2
	v_lshlrev_b16 v2, 8, v2
	s_delay_alu instid0(VALU_DEP_1) | instskip(SKIP_1) | instid1(VALU_DEP_2)
	v_and_or_b32 v5, 0x7f00, v2, 0.5
	v_bfe_i32 v2, v2, 0, 16
	v_dual_add_f32 v5, -0.5, v5 :: v_dual_lshrrev_b32 v4, 4, v3
	v_cmp_gt_u32_e32 vcc_lo, 0x8000000, v3
	s_delay_alu instid0(VALU_DEP_2) | instskip(NEXT) | instid1(VALU_DEP_1)
	v_or_b32_e32 v4, 0x70000000, v4
	v_mul_f32_e32 v4, 0x7800000, v4
	s_delay_alu instid0(VALU_DEP_1) | instskip(NEXT) | instid1(VALU_DEP_1)
	v_cndmask_b32_e32 v3, v4, v5, vcc_lo
	v_and_or_b32 v2, 0x80000000, v2, v3
	s_delay_alu instid0(VALU_DEP_1)
	v_cvt_i32_f32_e32 v8, v2
.LBB86_2250:
	s_mov_b32 s7, 0
	s_mov_b32 s20, -1
.LBB86_2251:
	s_and_not1_b32 vcc_lo, exec_lo, s7
	s_mov_b32 s7, 0
	s_cbranch_vccnz .LBB86_2262
; %bb.2252:
	s_cmp_gt_i32 s6, 14
	s_cbranch_scc0 .LBB86_2255
; %bb.2253:
	s_cmp_eq_u32 s6, 15
	s_cbranch_scc0 .LBB86_2258
; %bb.2254:
	global_load_u16 v2, v[0:1], off
	s_mov_b32 s5, 0
	s_mov_b32 s20, -1
	s_wait_loadcnt 0x0
	v_lshlrev_b32_e32 v2, 16, v2
	s_delay_alu instid0(VALU_DEP_1)
	v_cvt_i32_f32_e32 v8, v2
	s_branch .LBB86_2260
.LBB86_2255:
	s_mov_b32 s7, -1
	s_branch .LBB86_2259
.LBB86_2256:
	s_and_not1_saveexec_b32 s7, s7
	s_cbranch_execz .LBB86_2237
.LBB86_2257:
	v_cmp_ne_u16_e32 vcc_lo, 0, v2
	s_and_not1_b32 s20, s20, exec_lo
	s_and_b32 s21, vcc_lo, exec_lo
	s_delay_alu instid0(SALU_CYCLE_1)
	s_or_b32 s20, s20, s21
	s_or_b32 exec_lo, exec_lo, s7
	v_mov_b32_e32 v8, 0
	s_and_saveexec_b32 s7, s20
	s_cbranch_execnz .LBB86_2238
	s_branch .LBB86_2239
.LBB86_2258:
	s_mov_b32 s5, -1
.LBB86_2259:
                                        ; implicit-def: $vgpr8
.LBB86_2260:
	s_and_b32 vcc_lo, exec_lo, s7
	s_mov_b32 s7, 0
	s_cbranch_vccz .LBB86_2262
; %bb.2261:
	s_cmp_lg_u32 s6, 11
	s_mov_b32 s7, -1
	s_cselect_b32 s6, -1, 0
	s_and_not1_b32 s5, s5, exec_lo
	s_and_b32 s6, s6, exec_lo
	s_delay_alu instid0(SALU_CYCLE_1)
	s_or_b32 s5, s5, s6
.LBB86_2262:
	s_mov_b32 s6, 0
.LBB86_2263:
	s_delay_alu instid0(SALU_CYCLE_1)
	s_and_b32 s36, s6, exec_lo
	s_and_not1_b32 s6, s64, exec_lo
	s_and_b32 s21, s5, exec_lo
	s_and_b32 s20, s20, exec_lo
	;; [unrolled: 1-line block ×3, first 2 shown]
	s_or_b32 s64, s6, s21
	s_wait_xcnt 0x0
	s_or_b32 exec_lo, exec_lo, s4
	s_and_saveexec_b32 s4, s64
	s_cbranch_execz .LBB86_2196
.LBB86_2264:
	s_or_b32 s1, s1, exec_lo
	s_and_not1_b32 s5, s5, exec_lo
	s_trap 2
	s_or_b32 exec_lo, exec_lo, s4
	s_and_saveexec_b32 s4, s5
	s_delay_alu instid0(SALU_CYCLE_1)
	s_xor_b32 s4, exec_lo, s4
	s_cbranch_execnz .LBB86_2197
.LBB86_2265:
	s_or_b32 exec_lo, exec_lo, s4
	s_and_saveexec_b32 s4, s36
	s_cbranch_execz .LBB86_2311
.LBB86_2266:
	s_sext_i32_i16 s5, s0
	s_delay_alu instid0(SALU_CYCLE_1)
	s_cmp_lt_i32 s5, 5
	s_cbranch_scc1 .LBB86_2271
; %bb.2267:
	s_cmp_lt_i32 s5, 8
	s_cbranch_scc1 .LBB86_2272
; %bb.2268:
	;; [unrolled: 3-line block ×3, first 2 shown]
	s_cmp_gt_i32 s5, 9
	s_cbranch_scc0 .LBB86_2274
; %bb.2270:
	s_wait_loadcnt 0x0
	global_load_b64 v[2:3], v[0:1], off
	s_mov_b32 s5, 0
	s_wait_loadcnt 0x0
	v_cvt_i32_f64_e32 v8, v[2:3]
	s_branch .LBB86_2275
.LBB86_2271:
                                        ; implicit-def: $vgpr8
	s_branch .LBB86_2292
.LBB86_2272:
                                        ; implicit-def: $vgpr8
	s_branch .LBB86_2281
.LBB86_2273:
	s_mov_b32 s5, -1
                                        ; implicit-def: $vgpr8
	s_branch .LBB86_2278
.LBB86_2274:
	s_mov_b32 s5, -1
                                        ; implicit-def: $vgpr8
.LBB86_2275:
	s_delay_alu instid0(SALU_CYCLE_1)
	s_and_not1_b32 vcc_lo, exec_lo, s5
	s_cbranch_vccnz .LBB86_2277
; %bb.2276:
	s_wait_loadcnt 0x0
	global_load_b32 v2, v[0:1], off
	s_wait_loadcnt 0x0
	v_cvt_i32_f32_e32 v8, v2
.LBB86_2277:
	s_mov_b32 s5, 0
.LBB86_2278:
	s_delay_alu instid0(SALU_CYCLE_1)
	s_and_not1_b32 vcc_lo, exec_lo, s5
	s_cbranch_vccnz .LBB86_2280
; %bb.2279:
	s_wait_loadcnt 0x0
	global_load_b32 v2, v[0:1], off
	s_wait_loadcnt 0x0
	v_cvt_f32_f16_e32 v2, v2
	s_delay_alu instid0(VALU_DEP_1)
	v_cvt_i32_f32_e32 v8, v2
.LBB86_2280:
	s_cbranch_execnz .LBB86_2291
.LBB86_2281:
	s_sext_i32_i16 s5, s0
	s_delay_alu instid0(SALU_CYCLE_1)
	s_cmp_lt_i32 s5, 6
	s_cbranch_scc1 .LBB86_2284
; %bb.2282:
	s_cmp_gt_i32 s5, 6
	s_cbranch_scc0 .LBB86_2285
; %bb.2283:
	s_wait_loadcnt 0x0
	global_load_b64 v[2:3], v[0:1], off
	s_mov_b32 s5, 0
	s_wait_loadcnt 0x0
	v_cvt_i32_f64_e32 v8, v[2:3]
	s_branch .LBB86_2286
.LBB86_2284:
	s_mov_b32 s5, -1
                                        ; implicit-def: $vgpr8
	s_branch .LBB86_2289
.LBB86_2285:
	s_mov_b32 s5, -1
                                        ; implicit-def: $vgpr8
.LBB86_2286:
	s_delay_alu instid0(SALU_CYCLE_1)
	s_and_not1_b32 vcc_lo, exec_lo, s5
	s_cbranch_vccnz .LBB86_2288
; %bb.2287:
	s_wait_loadcnt 0x0
	global_load_b32 v2, v[0:1], off
	s_wait_loadcnt 0x0
	v_cvt_i32_f32_e32 v8, v2
.LBB86_2288:
	s_mov_b32 s5, 0
.LBB86_2289:
	s_delay_alu instid0(SALU_CYCLE_1)
	s_and_not1_b32 vcc_lo, exec_lo, s5
	s_cbranch_vccnz .LBB86_2291
; %bb.2290:
	s_wait_loadcnt 0x0
	global_load_u16 v2, v[0:1], off
	s_wait_loadcnt 0x0
	v_cvt_f32_f16_e32 v2, v2
	s_delay_alu instid0(VALU_DEP_1)
	v_cvt_i32_f32_e32 v8, v2
.LBB86_2291:
	s_cbranch_execnz .LBB86_2310
.LBB86_2292:
	s_sext_i32_i16 s5, s0
	s_delay_alu instid0(SALU_CYCLE_1)
	s_cmp_lt_i32 s5, 2
	s_cbranch_scc1 .LBB86_2296
; %bb.2293:
	s_cmp_lt_i32 s5, 3
	s_cbranch_scc1 .LBB86_2297
; %bb.2294:
	s_cmp_gt_i32 s5, 3
	s_cbranch_scc0 .LBB86_2298
; %bb.2295:
	s_wait_loadcnt 0x0
	global_load_b32 v8, v[0:1], off
	s_mov_b32 s5, 0
	s_branch .LBB86_2299
.LBB86_2296:
                                        ; implicit-def: $vgpr8
	s_branch .LBB86_2305
.LBB86_2297:
	s_mov_b32 s5, -1
                                        ; implicit-def: $vgpr8
	s_branch .LBB86_2302
.LBB86_2298:
	s_mov_b32 s5, -1
                                        ; implicit-def: $vgpr8
.LBB86_2299:
	s_delay_alu instid0(SALU_CYCLE_1)
	s_and_not1_b32 vcc_lo, exec_lo, s5
	s_cbranch_vccnz .LBB86_2301
; %bb.2300:
	s_wait_loadcnt 0x0
	global_load_b32 v8, v[0:1], off
.LBB86_2301:
	s_mov_b32 s5, 0
.LBB86_2302:
	s_delay_alu instid0(SALU_CYCLE_1)
	s_and_not1_b32 vcc_lo, exec_lo, s5
	s_cbranch_vccnz .LBB86_2304
; %bb.2303:
	s_wait_loadcnt 0x0
	global_load_i16 v8, v[0:1], off
.LBB86_2304:
	s_cbranch_execnz .LBB86_2310
.LBB86_2305:
	s_sext_i32_i16 s0, s0
	s_delay_alu instid0(SALU_CYCLE_1)
	s_cmp_gt_i32 s0, 0
	s_mov_b32 s0, 0
	s_cbranch_scc0 .LBB86_2307
; %bb.2306:
	s_wait_loadcnt 0x0
	global_load_i8 v8, v[0:1], off
	s_branch .LBB86_2308
.LBB86_2307:
	s_mov_b32 s0, -1
                                        ; implicit-def: $vgpr8
.LBB86_2308:
	s_delay_alu instid0(SALU_CYCLE_1)
	s_and_not1_b32 vcc_lo, exec_lo, s0
	s_cbranch_vccnz .LBB86_2310
; %bb.2309:
	s_wait_loadcnt 0x0
	global_load_u8 v8, v[0:1], off
.LBB86_2310:
	s_or_b32 s20, s20, exec_lo
.LBB86_2311:
	s_wait_xcnt 0x0
	s_or_b32 exec_lo, exec_lo, s4
	s_mov_b32 s5, 0
	s_mov_b32 s21, 0
	;; [unrolled: 1-line block ×3, first 2 shown]
                                        ; implicit-def: $sgpr0
                                        ; implicit-def: $vgpr2_vgpr3
                                        ; implicit-def: $vgpr0
	s_and_saveexec_b32 s4, s20
	s_cbranch_execz .LBB86_2319
; %bb.2312:
	s_wait_loadcnt 0x0
	v_mul_lo_u32 v0, s22, v22
	s_and_b32 s0, s34, 0xff
	s_delay_alu instid0(SALU_CYCLE_1) | instskip(NEXT) | instid1(VALU_DEP_1)
	s_cmp_lt_i32 s0, 11
	v_ashrrev_i32_e32 v1, 31, v0
	s_delay_alu instid0(VALU_DEP_1)
	v_add_nc_u64_e32 v[2:3], s[8:9], v[0:1]
	s_cbranch_scc1 .LBB86_2322
; %bb.2313:
	s_and_b32 s6, 0xffff, s0
	s_mov_b32 s7, 0
	s_cmp_gt_i32 s6, 25
	s_cbranch_scc0 .LBB86_2323
; %bb.2314:
	s_cmp_gt_i32 s6, 28
	s_cbranch_scc0 .LBB86_2324
; %bb.2315:
	;; [unrolled: 3-line block ×4, first 2 shown]
	s_cmp_eq_u32 s6, 46
	s_mov_b32 s9, 0
	s_cbranch_scc0 .LBB86_2327
; %bb.2318:
	global_load_b32 v0, v[2:3], off
	s_mov_b32 s8, -1
	s_wait_loadcnt 0x0
	v_lshlrev_b32_e32 v0, 16, v0
	s_delay_alu instid0(VALU_DEP_1)
	v_cvt_i32_f32_e32 v0, v0
	s_branch .LBB86_2329
.LBB86_2319:
	s_or_b32 exec_lo, exec_lo, s4
	s_and_saveexec_b32 s4, s63
	s_cbranch_execnz .LBB86_2388
.LBB86_2320:
	s_or_b32 exec_lo, exec_lo, s4
	s_and_saveexec_b32 s4, s5
	s_delay_alu instid0(SALU_CYCLE_1)
	s_xor_b32 s4, exec_lo, s4
	s_cbranch_execz .LBB86_2389
.LBB86_2321:
	s_wait_loadcnt 0x0
	global_load_u8 v0, v[2:3], off
	s_or_b32 s6, s6, exec_lo
	s_wait_loadcnt 0x0
	v_cmp_ne_u16_e32 vcc_lo, 0, v0
	v_cndmask_b32_e64 v0, 0, 1, vcc_lo
	s_wait_xcnt 0x0
	s_or_b32 exec_lo, exec_lo, s4
	s_and_saveexec_b32 s4, s21
	s_cbranch_execz .LBB86_2435
	s_branch .LBB86_2390
.LBB86_2322:
	s_mov_b32 s9, -1
	s_mov_b32 s8, 0
	s_mov_b32 s7, 0
	;; [unrolled: 1-line block ×3, first 2 shown]
                                        ; implicit-def: $vgpr0
	s_branch .LBB86_2387
.LBB86_2323:
	s_mov_b32 s8, 0
	s_mov_b32 s5, s63
                                        ; implicit-def: $vgpr0
	s_cbranch_execnz .LBB86_2356
	s_branch .LBB86_2386
.LBB86_2324:
	s_mov_b32 s9, -1
	s_mov_b32 s8, 0
	s_mov_b32 s5, s63
                                        ; implicit-def: $vgpr0
	s_branch .LBB86_2339
.LBB86_2325:
	s_mov_b32 s9, -1
	s_mov_b32 s8, 0
	s_mov_b32 s5, s63
                                        ; implicit-def: $vgpr0
	s_branch .LBB86_2334
.LBB86_2326:
	s_mov_b32 s9, -1
	s_mov_b32 s8, 0
	s_mov_b32 s5, s63
	s_branch .LBB86_2328
.LBB86_2327:
	s_mov_b32 s5, -1
	s_mov_b32 s8, 0
.LBB86_2328:
                                        ; implicit-def: $vgpr0
.LBB86_2329:
	s_and_b32 vcc_lo, exec_lo, s9
	s_cbranch_vccz .LBB86_2333
; %bb.2330:
	s_cmp_eq_u32 s6, 44
	s_cbranch_scc0 .LBB86_2332
; %bb.2331:
	global_load_u8 v0, v[2:3], off
	s_mov_b32 s5, 0
	s_mov_b32 s8, -1
	s_wait_loadcnt 0x0
	v_lshlrev_b32_e32 v1, 23, v0
	v_cmp_ne_u32_e32 vcc_lo, 0, v0
	s_delay_alu instid0(VALU_DEP_2) | instskip(NEXT) | instid1(VALU_DEP_1)
	v_cvt_i32_f32_e32 v1, v1
	v_cndmask_b32_e32 v0, 0, v1, vcc_lo
	s_branch .LBB86_2333
.LBB86_2332:
	s_mov_b32 s5, -1
                                        ; implicit-def: $vgpr0
.LBB86_2333:
	s_mov_b32 s9, 0
.LBB86_2334:
	s_delay_alu instid0(SALU_CYCLE_1)
	s_and_b32 vcc_lo, exec_lo, s9
	s_cbranch_vccz .LBB86_2338
; %bb.2335:
	s_cmp_eq_u32 s6, 29
	s_cbranch_scc0 .LBB86_2337
; %bb.2336:
	global_load_b32 v0, v[2:3], off
	s_mov_b32 s5, 0
	s_mov_b32 s8, -1
	s_branch .LBB86_2338
.LBB86_2337:
	s_mov_b32 s5, -1
                                        ; implicit-def: $vgpr0
.LBB86_2338:
	s_mov_b32 s9, 0
.LBB86_2339:
	s_delay_alu instid0(SALU_CYCLE_1)
	s_and_b32 vcc_lo, exec_lo, s9
	s_cbranch_vccz .LBB86_2355
; %bb.2340:
	s_cmp_lt_i32 s6, 27
	s_cbranch_scc1 .LBB86_2343
; %bb.2341:
	s_cmp_gt_i32 s6, 27
	s_cbranch_scc0 .LBB86_2344
; %bb.2342:
	s_wait_loadcnt 0x0
	global_load_b32 v0, v[2:3], off
	s_mov_b32 s8, 0
	s_branch .LBB86_2345
.LBB86_2343:
	s_mov_b32 s8, -1
                                        ; implicit-def: $vgpr0
	s_branch .LBB86_2348
.LBB86_2344:
	s_mov_b32 s8, -1
                                        ; implicit-def: $vgpr0
.LBB86_2345:
	s_delay_alu instid0(SALU_CYCLE_1)
	s_and_not1_b32 vcc_lo, exec_lo, s8
	s_cbranch_vccnz .LBB86_2347
; %bb.2346:
	s_wait_loadcnt 0x0
	global_load_u16 v0, v[2:3], off
.LBB86_2347:
	s_mov_b32 s8, 0
.LBB86_2348:
	s_delay_alu instid0(SALU_CYCLE_1)
	s_and_not1_b32 vcc_lo, exec_lo, s8
	s_cbranch_vccnz .LBB86_2354
; %bb.2349:
	global_load_u8 v1, v[2:3], off
	s_mov_b32 s9, 0
	s_mov_b32 s8, exec_lo
	s_wait_loadcnt 0x0
	v_cmpx_lt_i16_e32 0x7f, v1
	s_xor_b32 s8, exec_lo, s8
	s_cbranch_execz .LBB86_2365
; %bb.2350:
	v_cmp_ne_u16_e32 vcc_lo, 0x80, v1
	s_and_b32 s9, vcc_lo, exec_lo
	s_and_not1_saveexec_b32 s8, s8
	s_cbranch_execnz .LBB86_2366
.LBB86_2351:
	s_or_b32 exec_lo, exec_lo, s8
	v_mov_b32_e32 v0, 0
	s_and_saveexec_b32 s8, s9
	s_cbranch_execz .LBB86_2353
.LBB86_2352:
	v_and_b32_e32 v0, 0xffff, v1
	s_delay_alu instid0(VALU_DEP_1) | instskip(SKIP_1) | instid1(VALU_DEP_2)
	v_and_b32_e32 v4, 7, v0
	v_bfe_u32 v9, v0, 3, 4
	v_clz_i32_u32_e32 v5, v4
	s_delay_alu instid0(VALU_DEP_2) | instskip(NEXT) | instid1(VALU_DEP_2)
	v_cmp_eq_u32_e32 vcc_lo, 0, v9
	v_min_u32_e32 v5, 32, v5
	s_delay_alu instid0(VALU_DEP_1) | instskip(NEXT) | instid1(VALU_DEP_1)
	v_subrev_nc_u32_e32 v6, 28, v5
	v_dual_lshlrev_b32 v0, v6, v0 :: v_dual_sub_nc_u32 v5, 29, v5
	s_delay_alu instid0(VALU_DEP_1) | instskip(NEXT) | instid1(VALU_DEP_1)
	v_dual_lshlrev_b32 v1, 24, v1 :: v_dual_bitop2_b32 v0, 7, v0 bitop3:0x40
	v_dual_cndmask_b32 v0, v4, v0 :: v_dual_cndmask_b32 v5, v9, v5
	s_delay_alu instid0(VALU_DEP_2) | instskip(NEXT) | instid1(VALU_DEP_2)
	v_and_b32_e32 v1, 0x80000000, v1
	v_lshlrev_b32_e32 v0, 20, v0
	s_delay_alu instid0(VALU_DEP_3) | instskip(NEXT) | instid1(VALU_DEP_1)
	v_lshl_add_u32 v4, v5, 23, 0x3b800000
	v_or3_b32 v0, v1, v4, v0
	s_delay_alu instid0(VALU_DEP_1)
	v_cvt_i32_f32_e32 v0, v0
.LBB86_2353:
	s_or_b32 exec_lo, exec_lo, s8
.LBB86_2354:
	s_mov_b32 s8, -1
.LBB86_2355:
	s_branch .LBB86_2386
.LBB86_2356:
	s_cmp_gt_i32 s6, 22
	s_cbranch_scc0 .LBB86_2364
; %bb.2357:
	s_cmp_lt_i32 s6, 24
	s_cbranch_scc1 .LBB86_2367
; %bb.2358:
	s_cmp_gt_i32 s6, 24
	s_cbranch_scc0 .LBB86_2368
; %bb.2359:
	global_load_u8 v1, v[2:3], off
	s_mov_b32 s8, 0
	s_mov_b32 s7, exec_lo
	s_wait_loadcnt 0x0
	v_cmpx_lt_i16_e32 0x7f, v1
	s_xor_b32 s7, exec_lo, s7
	s_cbranch_execz .LBB86_2380
; %bb.2360:
	v_cmp_ne_u16_e32 vcc_lo, 0x80, v1
	s_and_b32 s8, vcc_lo, exec_lo
	s_and_not1_saveexec_b32 s7, s7
	s_cbranch_execnz .LBB86_2381
.LBB86_2361:
	s_or_b32 exec_lo, exec_lo, s7
	v_mov_b32_e32 v0, 0
	s_and_saveexec_b32 s7, s8
	s_cbranch_execz .LBB86_2363
.LBB86_2362:
	v_and_b32_e32 v0, 0xffff, v1
	s_delay_alu instid0(VALU_DEP_1) | instskip(SKIP_1) | instid1(VALU_DEP_2)
	v_and_b32_e32 v4, 3, v0
	v_bfe_u32 v9, v0, 2, 5
	v_clz_i32_u32_e32 v5, v4
	s_delay_alu instid0(VALU_DEP_2) | instskip(NEXT) | instid1(VALU_DEP_2)
	v_cmp_eq_u32_e32 vcc_lo, 0, v9
	v_min_u32_e32 v5, 32, v5
	s_delay_alu instid0(VALU_DEP_1) | instskip(NEXT) | instid1(VALU_DEP_1)
	v_subrev_nc_u32_e32 v6, 29, v5
	v_dual_lshlrev_b32 v0, v6, v0 :: v_dual_sub_nc_u32 v5, 30, v5
	s_delay_alu instid0(VALU_DEP_1) | instskip(NEXT) | instid1(VALU_DEP_1)
	v_dual_lshlrev_b32 v1, 24, v1 :: v_dual_bitop2_b32 v0, 3, v0 bitop3:0x40
	v_dual_cndmask_b32 v0, v4, v0 :: v_dual_cndmask_b32 v5, v9, v5
	s_delay_alu instid0(VALU_DEP_2) | instskip(NEXT) | instid1(VALU_DEP_2)
	v_and_b32_e32 v1, 0x80000000, v1
	v_lshlrev_b32_e32 v0, 21, v0
	s_delay_alu instid0(VALU_DEP_3) | instskip(NEXT) | instid1(VALU_DEP_1)
	v_lshl_add_u32 v4, v5, 23, 0x37800000
	v_or3_b32 v0, v1, v4, v0
	s_delay_alu instid0(VALU_DEP_1)
	v_cvt_i32_f32_e32 v0, v0
.LBB86_2363:
	s_or_b32 exec_lo, exec_lo, s7
	s_mov_b32 s7, 0
	s_branch .LBB86_2369
.LBB86_2364:
	s_mov_b32 s7, -1
                                        ; implicit-def: $vgpr0
	s_branch .LBB86_2375
.LBB86_2365:
	s_and_not1_saveexec_b32 s8, s8
	s_cbranch_execz .LBB86_2351
.LBB86_2366:
	v_cmp_ne_u16_e32 vcc_lo, 0, v1
	s_and_not1_b32 s9, s9, exec_lo
	s_and_b32 s20, vcc_lo, exec_lo
	s_delay_alu instid0(SALU_CYCLE_1)
	s_or_b32 s9, s9, s20
	s_or_b32 exec_lo, exec_lo, s8
	v_mov_b32_e32 v0, 0
	s_and_saveexec_b32 s8, s9
	s_cbranch_execnz .LBB86_2352
	s_branch .LBB86_2353
.LBB86_2367:
	s_mov_b32 s7, -1
                                        ; implicit-def: $vgpr0
	s_branch .LBB86_2372
.LBB86_2368:
	s_mov_b32 s7, -1
                                        ; implicit-def: $vgpr0
.LBB86_2369:
	s_delay_alu instid0(SALU_CYCLE_1)
	s_and_b32 vcc_lo, exec_lo, s7
	s_cbranch_vccz .LBB86_2371
; %bb.2370:
	s_wait_loadcnt 0x0
	global_load_u8 v0, v[2:3], off
	s_wait_loadcnt 0x0
	v_lshlrev_b32_e32 v0, 24, v0
	s_delay_alu instid0(VALU_DEP_1) | instskip(NEXT) | instid1(VALU_DEP_1)
	v_and_b32_e32 v1, 0x7f000000, v0
	v_clz_i32_u32_e32 v4, v1
	v_cmp_ne_u32_e32 vcc_lo, 0, v1
	v_add_nc_u32_e32 v6, 0x1000000, v1
	s_delay_alu instid0(VALU_DEP_3) | instskip(NEXT) | instid1(VALU_DEP_1)
	v_min_u32_e32 v4, 32, v4
	v_sub_nc_u32_e64 v4, v4, 4 clamp
	s_delay_alu instid0(VALU_DEP_1) | instskip(NEXT) | instid1(VALU_DEP_1)
	v_dual_lshlrev_b32 v5, v4, v1 :: v_dual_lshlrev_b32 v4, 23, v4
	v_lshrrev_b32_e32 v5, 4, v5
	s_delay_alu instid0(VALU_DEP_1) | instskip(NEXT) | instid1(VALU_DEP_1)
	v_dual_sub_nc_u32 v4, v5, v4 :: v_dual_ashrrev_i32 v5, 8, v6
	v_add_nc_u32_e32 v4, 0x3c000000, v4
	s_delay_alu instid0(VALU_DEP_1) | instskip(NEXT) | instid1(VALU_DEP_1)
	v_and_or_b32 v4, 0x7f800000, v5, v4
	v_cndmask_b32_e32 v1, 0, v4, vcc_lo
	s_delay_alu instid0(VALU_DEP_1) | instskip(NEXT) | instid1(VALU_DEP_1)
	v_and_or_b32 v0, 0x80000000, v0, v1
	v_cvt_i32_f32_e32 v0, v0
.LBB86_2371:
	s_mov_b32 s7, 0
.LBB86_2372:
	s_delay_alu instid0(SALU_CYCLE_1)
	s_and_not1_b32 vcc_lo, exec_lo, s7
	s_cbranch_vccnz .LBB86_2374
; %bb.2373:
	s_wait_loadcnt 0x0
	global_load_u8 v0, v[2:3], off
	s_wait_loadcnt 0x0
	v_lshlrev_b32_e32 v1, 25, v0
	v_lshlrev_b16 v0, 8, v0
	s_delay_alu instid0(VALU_DEP_1) | instskip(SKIP_1) | instid1(VALU_DEP_2)
	v_and_or_b32 v5, 0x7f00, v0, 0.5
	v_bfe_i32 v0, v0, 0, 16
	v_add_f32_e32 v5, -0.5, v5
	v_lshrrev_b32_e32 v4, 4, v1
	v_cmp_gt_u32_e32 vcc_lo, 0x8000000, v1
	s_delay_alu instid0(VALU_DEP_2) | instskip(NEXT) | instid1(VALU_DEP_1)
	v_or_b32_e32 v4, 0x70000000, v4
	v_mul_f32_e32 v4, 0x7800000, v4
	s_delay_alu instid0(VALU_DEP_1) | instskip(NEXT) | instid1(VALU_DEP_1)
	v_cndmask_b32_e32 v1, v4, v5, vcc_lo
	v_and_or_b32 v0, 0x80000000, v0, v1
	s_delay_alu instid0(VALU_DEP_1)
	v_cvt_i32_f32_e32 v0, v0
.LBB86_2374:
	s_mov_b32 s7, 0
	s_mov_b32 s8, -1
.LBB86_2375:
	s_and_not1_b32 vcc_lo, exec_lo, s7
	s_mov_b32 s7, 0
	s_cbranch_vccnz .LBB86_2386
; %bb.2376:
	s_cmp_gt_i32 s6, 14
	s_cbranch_scc0 .LBB86_2379
; %bb.2377:
	s_cmp_eq_u32 s6, 15
	s_cbranch_scc0 .LBB86_2382
; %bb.2378:
	s_wait_loadcnt 0x0
	global_load_u16 v0, v[2:3], off
	s_mov_b32 s5, 0
	s_mov_b32 s8, -1
	s_wait_loadcnt 0x0
	v_lshlrev_b32_e32 v0, 16, v0
	s_delay_alu instid0(VALU_DEP_1)
	v_cvt_i32_f32_e32 v0, v0
	s_branch .LBB86_2384
.LBB86_2379:
	s_mov_b32 s7, -1
	s_branch .LBB86_2383
.LBB86_2380:
	s_and_not1_saveexec_b32 s7, s7
	s_cbranch_execz .LBB86_2361
.LBB86_2381:
	v_cmp_ne_u16_e32 vcc_lo, 0, v1
	s_and_not1_b32 s8, s8, exec_lo
	s_and_b32 s9, vcc_lo, exec_lo
	s_delay_alu instid0(SALU_CYCLE_1)
	s_or_b32 s8, s8, s9
	s_or_b32 exec_lo, exec_lo, s7
	v_mov_b32_e32 v0, 0
	s_and_saveexec_b32 s7, s8
	s_cbranch_execnz .LBB86_2362
	s_branch .LBB86_2363
.LBB86_2382:
	s_mov_b32 s5, -1
.LBB86_2383:
                                        ; implicit-def: $vgpr0
.LBB86_2384:
	s_and_b32 vcc_lo, exec_lo, s7
	s_mov_b32 s7, 0
	s_cbranch_vccz .LBB86_2386
; %bb.2385:
	s_cmp_lg_u32 s6, 11
	s_mov_b32 s7, -1
	s_cselect_b32 s6, -1, 0
	s_and_not1_b32 s5, s5, exec_lo
	s_and_b32 s6, s6, exec_lo
	s_delay_alu instid0(SALU_CYCLE_1)
	s_or_b32 s5, s5, s6
.LBB86_2386:
	s_mov_b32 s9, 0
.LBB86_2387:
	s_and_b32 s6, s8, exec_lo
	s_and_b32 s21, s9, exec_lo
	s_and_not1_b32 s8, s63, exec_lo
	s_and_b32 s9, s5, exec_lo
	s_and_b32 s5, s7, exec_lo
	s_or_b32 s63, s8, s9
	s_wait_xcnt 0x0
	s_or_b32 exec_lo, exec_lo, s4
	s_and_saveexec_b32 s4, s63
	s_cbranch_execz .LBB86_2320
.LBB86_2388:
	s_or_b32 s1, s1, exec_lo
	s_and_not1_b32 s5, s5, exec_lo
	s_trap 2
	s_or_b32 exec_lo, exec_lo, s4
	s_and_saveexec_b32 s4, s5
	s_delay_alu instid0(SALU_CYCLE_1)
	s_xor_b32 s4, exec_lo, s4
	s_cbranch_execnz .LBB86_2321
.LBB86_2389:
	s_or_b32 exec_lo, exec_lo, s4
	s_and_saveexec_b32 s4, s21
	s_cbranch_execz .LBB86_2435
.LBB86_2390:
	s_sext_i32_i16 s5, s0
	s_delay_alu instid0(SALU_CYCLE_1)
	s_cmp_lt_i32 s5, 5
	s_cbranch_scc1 .LBB86_2395
; %bb.2391:
	s_cmp_lt_i32 s5, 8
	s_cbranch_scc1 .LBB86_2396
; %bb.2392:
	;; [unrolled: 3-line block ×3, first 2 shown]
	s_cmp_gt_i32 s5, 9
	s_cbranch_scc0 .LBB86_2398
; %bb.2394:
	s_wait_loadcnt 0x0
	global_load_b64 v[0:1], v[2:3], off
	s_mov_b32 s5, 0
	s_wait_loadcnt 0x0
	v_cvt_i32_f64_e32 v0, v[0:1]
	s_branch .LBB86_2399
.LBB86_2395:
                                        ; implicit-def: $vgpr0
	s_branch .LBB86_2416
.LBB86_2396:
                                        ; implicit-def: $vgpr0
	s_branch .LBB86_2405
.LBB86_2397:
	s_mov_b32 s5, -1
                                        ; implicit-def: $vgpr0
	s_branch .LBB86_2402
.LBB86_2398:
	s_mov_b32 s5, -1
                                        ; implicit-def: $vgpr0
.LBB86_2399:
	s_delay_alu instid0(SALU_CYCLE_1)
	s_and_not1_b32 vcc_lo, exec_lo, s5
	s_cbranch_vccnz .LBB86_2401
; %bb.2400:
	s_wait_loadcnt 0x0
	global_load_b32 v0, v[2:3], off
	s_wait_loadcnt 0x0
	v_cvt_i32_f32_e32 v0, v0
.LBB86_2401:
	s_mov_b32 s5, 0
.LBB86_2402:
	s_delay_alu instid0(SALU_CYCLE_1)
	s_and_not1_b32 vcc_lo, exec_lo, s5
	s_cbranch_vccnz .LBB86_2404
; %bb.2403:
	s_wait_loadcnt 0x0
	global_load_b32 v0, v[2:3], off
	s_wait_loadcnt 0x0
	v_cvt_f32_f16_e32 v0, v0
	s_delay_alu instid0(VALU_DEP_1)
	v_cvt_i32_f32_e32 v0, v0
.LBB86_2404:
	s_cbranch_execnz .LBB86_2415
.LBB86_2405:
	s_sext_i32_i16 s5, s0
	s_delay_alu instid0(SALU_CYCLE_1)
	s_cmp_lt_i32 s5, 6
	s_cbranch_scc1 .LBB86_2408
; %bb.2406:
	s_cmp_gt_i32 s5, 6
	s_cbranch_scc0 .LBB86_2409
; %bb.2407:
	s_wait_loadcnt 0x0
	global_load_b64 v[0:1], v[2:3], off
	s_mov_b32 s5, 0
	s_wait_loadcnt 0x0
	v_cvt_i32_f64_e32 v0, v[0:1]
	s_branch .LBB86_2410
.LBB86_2408:
	s_mov_b32 s5, -1
                                        ; implicit-def: $vgpr0
	s_branch .LBB86_2413
.LBB86_2409:
	s_mov_b32 s5, -1
                                        ; implicit-def: $vgpr0
.LBB86_2410:
	s_delay_alu instid0(SALU_CYCLE_1)
	s_and_not1_b32 vcc_lo, exec_lo, s5
	s_cbranch_vccnz .LBB86_2412
; %bb.2411:
	s_wait_loadcnt 0x0
	global_load_b32 v0, v[2:3], off
	s_wait_loadcnt 0x0
	v_cvt_i32_f32_e32 v0, v0
.LBB86_2412:
	s_mov_b32 s5, 0
.LBB86_2413:
	s_delay_alu instid0(SALU_CYCLE_1)
	s_and_not1_b32 vcc_lo, exec_lo, s5
	s_cbranch_vccnz .LBB86_2415
; %bb.2414:
	s_wait_loadcnt 0x0
	global_load_u16 v0, v[2:3], off
	s_wait_loadcnt 0x0
	v_cvt_f32_f16_e32 v0, v0
	s_delay_alu instid0(VALU_DEP_1)
	v_cvt_i32_f32_e32 v0, v0
.LBB86_2415:
	s_cbranch_execnz .LBB86_2434
.LBB86_2416:
	s_sext_i32_i16 s5, s0
	s_delay_alu instid0(SALU_CYCLE_1)
	s_cmp_lt_i32 s5, 2
	s_cbranch_scc1 .LBB86_2420
; %bb.2417:
	s_cmp_lt_i32 s5, 3
	s_cbranch_scc1 .LBB86_2421
; %bb.2418:
	s_cmp_gt_i32 s5, 3
	s_cbranch_scc0 .LBB86_2422
; %bb.2419:
	s_wait_loadcnt 0x0
	global_load_b32 v0, v[2:3], off
	s_mov_b32 s5, 0
	s_branch .LBB86_2423
.LBB86_2420:
                                        ; implicit-def: $vgpr0
	s_branch .LBB86_2429
.LBB86_2421:
	s_mov_b32 s5, -1
                                        ; implicit-def: $vgpr0
	s_branch .LBB86_2426
.LBB86_2422:
	s_mov_b32 s5, -1
                                        ; implicit-def: $vgpr0
.LBB86_2423:
	s_delay_alu instid0(SALU_CYCLE_1)
	s_and_not1_b32 vcc_lo, exec_lo, s5
	s_cbranch_vccnz .LBB86_2425
; %bb.2424:
	s_wait_loadcnt 0x0
	global_load_b32 v0, v[2:3], off
.LBB86_2425:
	s_mov_b32 s5, 0
.LBB86_2426:
	s_delay_alu instid0(SALU_CYCLE_1)
	s_and_not1_b32 vcc_lo, exec_lo, s5
	s_cbranch_vccnz .LBB86_2428
; %bb.2427:
	s_wait_loadcnt 0x0
	global_load_i16 v0, v[2:3], off
.LBB86_2428:
	s_cbranch_execnz .LBB86_2434
.LBB86_2429:
	s_sext_i32_i16 s0, s0
	s_delay_alu instid0(SALU_CYCLE_1)
	s_cmp_gt_i32 s0, 0
	s_mov_b32 s0, 0
	s_cbranch_scc0 .LBB86_2431
; %bb.2430:
	s_wait_loadcnt 0x0
	global_load_i8 v0, v[2:3], off
	s_branch .LBB86_2432
.LBB86_2431:
	s_mov_b32 s0, -1
                                        ; implicit-def: $vgpr0
.LBB86_2432:
	s_delay_alu instid0(SALU_CYCLE_1)
	s_and_not1_b32 vcc_lo, exec_lo, s0
	s_cbranch_vccnz .LBB86_2434
; %bb.2433:
	s_wait_loadcnt 0x0
	global_load_u8 v0, v[2:3], off
.LBB86_2434:
	s_or_b32 s6, s6, exec_lo
.LBB86_2435:
	s_wait_xcnt 0x0
	s_or_b32 exec_lo, exec_lo, s4
	s_mov_b32 s5, 0
	s_mov_b32 s9, 0
	;; [unrolled: 1-line block ×3, first 2 shown]
                                        ; implicit-def: $sgpr0
                                        ; implicit-def: $vgpr4_vgpr5
                                        ; implicit-def: $vgpr2
	s_and_saveexec_b32 s4, s6
	s_cbranch_execz .LBB86_2443
; %bb.2436:
	s_wait_loadcnt 0x0
	v_mul_lo_u32 v2, s23, v22
	s_and_b32 s0, s15, 0xff
	s_delay_alu instid0(SALU_CYCLE_1) | instskip(NEXT) | instid1(VALU_DEP_1)
	s_cmp_lt_i32 s0, 11
	v_ashrrev_i32_e32 v3, 31, v2
	s_delay_alu instid0(VALU_DEP_1)
	v_add_nc_u64_e32 v[4:5], s[10:11], v[2:3]
	s_cbranch_scc1 .LBB86_2446
; %bb.2437:
	s_and_b32 s6, 0xffff, s0
	s_mov_b32 s8, 0
	s_cmp_gt_i32 s6, 25
	s_cbranch_scc0 .LBB86_2447
; %bb.2438:
	s_cmp_gt_i32 s6, 28
	s_cbranch_scc0 .LBB86_2448
; %bb.2439:
	s_cmp_gt_i32 s6, 43
	s_cbranch_scc0 .LBB86_2449
; %bb.2440:
	s_cmp_gt_i32 s6, 45
	s_cbranch_scc0 .LBB86_2450
; %bb.2441:
	s_cmp_eq_u32 s6, 46
	s_cbranch_scc0 .LBB86_2451
; %bb.2442:
	global_load_b32 v1, v[4:5], off
	s_mov_b32 s7, -1
	s_wait_loadcnt 0x0
	v_lshlrev_b32_e32 v1, 16, v1
	s_delay_alu instid0(VALU_DEP_1)
	v_cvt_i32_f32_e32 v2, v1
	s_branch .LBB86_2453
.LBB86_2443:
	s_or_b32 exec_lo, exec_lo, s4
	s_and_saveexec_b32 s4, s62
	s_cbranch_execnz .LBB86_2512
.LBB86_2444:
	s_or_b32 exec_lo, exec_lo, s4
	s_and_saveexec_b32 s4, s5
	s_delay_alu instid0(SALU_CYCLE_1)
	s_xor_b32 s4, exec_lo, s4
	s_cbranch_execz .LBB86_2513
.LBB86_2445:
	global_load_u8 v1, v[4:5], off
	s_or_b32 s7, s7, exec_lo
	s_wait_loadcnt 0x0
	v_cmp_ne_u16_e32 vcc_lo, 0, v1
	v_cndmask_b32_e64 v2, 0, 1, vcc_lo
	s_wait_xcnt 0x0
	s_or_b32 exec_lo, exec_lo, s4
	s_and_saveexec_b32 s4, s9
	s_cbranch_execz .LBB86_2559
	s_branch .LBB86_2514
.LBB86_2446:
	s_mov_b32 s6, -1
	s_mov_b32 s8, 0
	s_mov_b32 s5, s62
                                        ; implicit-def: $vgpr2
	s_branch .LBB86_2511
.LBB86_2447:
	s_mov_b32 s5, s62
                                        ; implicit-def: $vgpr2
	s_cbranch_execnz .LBB86_2480
	s_branch .LBB86_2510
.LBB86_2448:
	s_mov_b32 s9, -1
	s_mov_b32 s5, s62
                                        ; implicit-def: $vgpr2
	s_branch .LBB86_2463
.LBB86_2449:
	s_mov_b32 s9, -1
	s_mov_b32 s5, s62
                                        ; implicit-def: $vgpr2
	s_branch .LBB86_2458
.LBB86_2450:
	s_mov_b32 s9, -1
	s_mov_b32 s5, s62
	s_branch .LBB86_2452
.LBB86_2451:
	s_mov_b32 s5, -1
.LBB86_2452:
                                        ; implicit-def: $vgpr2
.LBB86_2453:
	s_and_b32 vcc_lo, exec_lo, s9
	s_cbranch_vccz .LBB86_2457
; %bb.2454:
	s_cmp_eq_u32 s6, 44
	s_cbranch_scc0 .LBB86_2456
; %bb.2455:
	global_load_u8 v1, v[4:5], off
	s_mov_b32 s5, 0
	s_mov_b32 s7, -1
	s_wait_loadcnt 0x0
	v_lshlrev_b32_e32 v2, 23, v1
	v_cmp_ne_u32_e32 vcc_lo, 0, v1
	s_delay_alu instid0(VALU_DEP_2) | instskip(NEXT) | instid1(VALU_DEP_1)
	v_cvt_i32_f32_e32 v2, v2
	v_cndmask_b32_e32 v2, 0, v2, vcc_lo
	s_branch .LBB86_2457
.LBB86_2456:
	s_mov_b32 s5, -1
                                        ; implicit-def: $vgpr2
.LBB86_2457:
	s_mov_b32 s9, 0
.LBB86_2458:
	s_delay_alu instid0(SALU_CYCLE_1)
	s_and_b32 vcc_lo, exec_lo, s9
	s_cbranch_vccz .LBB86_2462
; %bb.2459:
	s_cmp_eq_u32 s6, 29
	s_cbranch_scc0 .LBB86_2461
; %bb.2460:
	global_load_b32 v2, v[4:5], off
	s_mov_b32 s5, 0
	s_mov_b32 s7, -1
	s_branch .LBB86_2462
.LBB86_2461:
	s_mov_b32 s5, -1
                                        ; implicit-def: $vgpr2
.LBB86_2462:
	s_mov_b32 s9, 0
.LBB86_2463:
	s_delay_alu instid0(SALU_CYCLE_1)
	s_and_b32 vcc_lo, exec_lo, s9
	s_cbranch_vccz .LBB86_2479
; %bb.2464:
	s_cmp_lt_i32 s6, 27
	s_cbranch_scc1 .LBB86_2467
; %bb.2465:
	s_cmp_gt_i32 s6, 27
	s_cbranch_scc0 .LBB86_2468
; %bb.2466:
	s_wait_loadcnt 0x0
	global_load_b32 v2, v[4:5], off
	s_mov_b32 s7, 0
	s_branch .LBB86_2469
.LBB86_2467:
	s_mov_b32 s7, -1
                                        ; implicit-def: $vgpr2
	s_branch .LBB86_2472
.LBB86_2468:
	s_mov_b32 s7, -1
                                        ; implicit-def: $vgpr2
.LBB86_2469:
	s_delay_alu instid0(SALU_CYCLE_1)
	s_and_not1_b32 vcc_lo, exec_lo, s7
	s_cbranch_vccnz .LBB86_2471
; %bb.2470:
	s_wait_loadcnt 0x0
	global_load_u16 v2, v[4:5], off
.LBB86_2471:
	s_mov_b32 s7, 0
.LBB86_2472:
	s_delay_alu instid0(SALU_CYCLE_1)
	s_and_not1_b32 vcc_lo, exec_lo, s7
	s_cbranch_vccnz .LBB86_2478
; %bb.2473:
	global_load_u8 v1, v[4:5], off
	s_mov_b32 s9, 0
	s_mov_b32 s7, exec_lo
	s_wait_loadcnt 0x0
	v_cmpx_lt_i16_e32 0x7f, v1
	s_xor_b32 s7, exec_lo, s7
	s_cbranch_execz .LBB86_2489
; %bb.2474:
	v_cmp_ne_u16_e32 vcc_lo, 0x80, v1
	s_and_b32 s9, vcc_lo, exec_lo
	s_and_not1_saveexec_b32 s7, s7
	s_cbranch_execnz .LBB86_2490
.LBB86_2475:
	s_or_b32 exec_lo, exec_lo, s7
	v_mov_b32_e32 v2, 0
	s_and_saveexec_b32 s7, s9
	s_cbranch_execz .LBB86_2477
.LBB86_2476:
	v_and_b32_e32 v2, 0xffff, v1
	s_delay_alu instid0(VALU_DEP_1) | instskip(SKIP_1) | instid1(VALU_DEP_2)
	v_dual_lshlrev_b32 v1, 24, v1 :: v_dual_bitop2_b32 v3, 7, v2 bitop3:0x40
	v_bfe_u32 v10, v2, 3, 4
	v_and_b32_e32 v1, 0x80000000, v1
	s_delay_alu instid0(VALU_DEP_3) | instskip(NEXT) | instid1(VALU_DEP_3)
	v_clz_i32_u32_e32 v6, v3
	v_cmp_eq_u32_e32 vcc_lo, 0, v10
	s_delay_alu instid0(VALU_DEP_2) | instskip(NEXT) | instid1(VALU_DEP_1)
	v_min_u32_e32 v6, 32, v6
	v_subrev_nc_u32_e32 v9, 28, v6
	v_sub_nc_u32_e32 v6, 29, v6
	s_delay_alu instid0(VALU_DEP_2) | instskip(NEXT) | instid1(VALU_DEP_2)
	v_lshlrev_b32_e32 v2, v9, v2
	v_cndmask_b32_e32 v6, v10, v6, vcc_lo
	s_delay_alu instid0(VALU_DEP_2) | instskip(NEXT) | instid1(VALU_DEP_1)
	v_and_b32_e32 v2, 7, v2
	v_cndmask_b32_e32 v2, v3, v2, vcc_lo
	s_delay_alu instid0(VALU_DEP_3) | instskip(NEXT) | instid1(VALU_DEP_2)
	v_lshl_add_u32 v3, v6, 23, 0x3b800000
	v_lshlrev_b32_e32 v2, 20, v2
	s_delay_alu instid0(VALU_DEP_1) | instskip(NEXT) | instid1(VALU_DEP_1)
	v_or3_b32 v1, v1, v3, v2
	v_cvt_i32_f32_e32 v2, v1
.LBB86_2477:
	s_or_b32 exec_lo, exec_lo, s7
.LBB86_2478:
	s_mov_b32 s7, -1
.LBB86_2479:
	s_branch .LBB86_2510
.LBB86_2480:
	s_cmp_gt_i32 s6, 22
	s_cbranch_scc0 .LBB86_2488
; %bb.2481:
	s_cmp_lt_i32 s6, 24
	s_cbranch_scc1 .LBB86_2491
; %bb.2482:
	s_cmp_gt_i32 s6, 24
	s_cbranch_scc0 .LBB86_2492
; %bb.2483:
	global_load_u8 v1, v[4:5], off
	s_mov_b32 s7, exec_lo
	s_wait_loadcnt 0x0
	v_cmpx_lt_i16_e32 0x7f, v1
	s_xor_b32 s7, exec_lo, s7
	s_cbranch_execz .LBB86_2504
; %bb.2484:
	v_cmp_ne_u16_e32 vcc_lo, 0x80, v1
	s_and_b32 s8, vcc_lo, exec_lo
	s_and_not1_saveexec_b32 s7, s7
	s_cbranch_execnz .LBB86_2505
.LBB86_2485:
	s_or_b32 exec_lo, exec_lo, s7
	v_mov_b32_e32 v2, 0
	s_and_saveexec_b32 s7, s8
	s_cbranch_execz .LBB86_2487
.LBB86_2486:
	v_and_b32_e32 v2, 0xffff, v1
	s_delay_alu instid0(VALU_DEP_1) | instskip(SKIP_1) | instid1(VALU_DEP_2)
	v_dual_lshlrev_b32 v1, 24, v1 :: v_dual_bitop2_b32 v3, 3, v2 bitop3:0x40
	v_bfe_u32 v10, v2, 2, 5
	v_and_b32_e32 v1, 0x80000000, v1
	s_delay_alu instid0(VALU_DEP_3) | instskip(NEXT) | instid1(VALU_DEP_3)
	v_clz_i32_u32_e32 v6, v3
	v_cmp_eq_u32_e32 vcc_lo, 0, v10
	s_delay_alu instid0(VALU_DEP_2) | instskip(NEXT) | instid1(VALU_DEP_1)
	v_min_u32_e32 v6, 32, v6
	v_subrev_nc_u32_e32 v9, 29, v6
	v_sub_nc_u32_e32 v6, 30, v6
	s_delay_alu instid0(VALU_DEP_2) | instskip(NEXT) | instid1(VALU_DEP_2)
	v_lshlrev_b32_e32 v2, v9, v2
	v_cndmask_b32_e32 v6, v10, v6, vcc_lo
	s_delay_alu instid0(VALU_DEP_2) | instskip(NEXT) | instid1(VALU_DEP_1)
	v_and_b32_e32 v2, 3, v2
	v_cndmask_b32_e32 v2, v3, v2, vcc_lo
	s_delay_alu instid0(VALU_DEP_3) | instskip(NEXT) | instid1(VALU_DEP_2)
	v_lshl_add_u32 v3, v6, 23, 0x37800000
	v_lshlrev_b32_e32 v2, 21, v2
	s_delay_alu instid0(VALU_DEP_1) | instskip(NEXT) | instid1(VALU_DEP_1)
	v_or3_b32 v1, v1, v3, v2
	v_cvt_i32_f32_e32 v2, v1
.LBB86_2487:
	s_or_b32 exec_lo, exec_lo, s7
	s_mov_b32 s7, 0
	s_branch .LBB86_2493
.LBB86_2488:
	s_mov_b32 s8, -1
                                        ; implicit-def: $vgpr2
	s_branch .LBB86_2499
.LBB86_2489:
	s_and_not1_saveexec_b32 s7, s7
	s_cbranch_execz .LBB86_2475
.LBB86_2490:
	v_cmp_ne_u16_e32 vcc_lo, 0, v1
	s_and_not1_b32 s9, s9, exec_lo
	s_and_b32 s10, vcc_lo, exec_lo
	s_delay_alu instid0(SALU_CYCLE_1)
	s_or_b32 s9, s9, s10
	s_or_b32 exec_lo, exec_lo, s7
	v_mov_b32_e32 v2, 0
	s_and_saveexec_b32 s7, s9
	s_cbranch_execnz .LBB86_2476
	s_branch .LBB86_2477
.LBB86_2491:
	s_mov_b32 s7, -1
                                        ; implicit-def: $vgpr2
	s_branch .LBB86_2496
.LBB86_2492:
	s_mov_b32 s7, -1
                                        ; implicit-def: $vgpr2
.LBB86_2493:
	s_delay_alu instid0(SALU_CYCLE_1)
	s_and_b32 vcc_lo, exec_lo, s7
	s_cbranch_vccz .LBB86_2495
; %bb.2494:
	global_load_u8 v1, v[4:5], off
	s_wait_loadcnt 0x0
	v_lshlrev_b32_e32 v1, 24, v1
	s_delay_alu instid0(VALU_DEP_1) | instskip(NEXT) | instid1(VALU_DEP_1)
	v_and_b32_e32 v2, 0x7f000000, v1
	v_clz_i32_u32_e32 v3, v2
	v_cmp_ne_u32_e32 vcc_lo, 0, v2
	v_add_nc_u32_e32 v9, 0x1000000, v2
	s_delay_alu instid0(VALU_DEP_3) | instskip(NEXT) | instid1(VALU_DEP_1)
	v_min_u32_e32 v3, 32, v3
	v_sub_nc_u32_e64 v3, v3, 4 clamp
	s_delay_alu instid0(VALU_DEP_1) | instskip(NEXT) | instid1(VALU_DEP_1)
	v_dual_lshlrev_b32 v6, v3, v2 :: v_dual_lshlrev_b32 v3, 23, v3
	v_lshrrev_b32_e32 v6, 4, v6
	s_delay_alu instid0(VALU_DEP_1) | instskip(NEXT) | instid1(VALU_DEP_1)
	v_dual_sub_nc_u32 v3, v6, v3 :: v_dual_ashrrev_i32 v6, 8, v9
	v_add_nc_u32_e32 v3, 0x3c000000, v3
	s_delay_alu instid0(VALU_DEP_1) | instskip(NEXT) | instid1(VALU_DEP_1)
	v_and_or_b32 v3, 0x7f800000, v6, v3
	v_cndmask_b32_e32 v2, 0, v3, vcc_lo
	s_delay_alu instid0(VALU_DEP_1) | instskip(NEXT) | instid1(VALU_DEP_1)
	v_and_or_b32 v1, 0x80000000, v1, v2
	v_cvt_i32_f32_e32 v2, v1
.LBB86_2495:
	s_mov_b32 s7, 0
.LBB86_2496:
	s_delay_alu instid0(SALU_CYCLE_1)
	s_and_not1_b32 vcc_lo, exec_lo, s7
	s_cbranch_vccnz .LBB86_2498
; %bb.2497:
	global_load_u8 v1, v[4:5], off
	s_wait_loadcnt 0x0
	v_lshlrev_b32_e32 v2, 25, v1
	v_lshlrev_b16 v1, 8, v1
	s_delay_alu instid0(VALU_DEP_1) | instskip(SKIP_1) | instid1(VALU_DEP_2)
	v_and_or_b32 v6, 0x7f00, v1, 0.5
	v_bfe_i32 v1, v1, 0, 16
	v_add_f32_e32 v6, -0.5, v6
	v_lshrrev_b32_e32 v3, 4, v2
	v_cmp_gt_u32_e32 vcc_lo, 0x8000000, v2
	s_delay_alu instid0(VALU_DEP_2) | instskip(NEXT) | instid1(VALU_DEP_1)
	v_or_b32_e32 v3, 0x70000000, v3
	v_mul_f32_e32 v3, 0x7800000, v3
	s_delay_alu instid0(VALU_DEP_1) | instskip(NEXT) | instid1(VALU_DEP_1)
	v_cndmask_b32_e32 v2, v3, v6, vcc_lo
	v_and_or_b32 v1, 0x80000000, v1, v2
	s_delay_alu instid0(VALU_DEP_1)
	v_cvt_i32_f32_e32 v2, v1
.LBB86_2498:
	s_mov_b32 s8, 0
	s_mov_b32 s7, -1
.LBB86_2499:
	s_and_not1_b32 vcc_lo, exec_lo, s8
	s_mov_b32 s8, 0
	s_cbranch_vccnz .LBB86_2510
; %bb.2500:
	s_cmp_gt_i32 s6, 14
	s_cbranch_scc0 .LBB86_2503
; %bb.2501:
	s_cmp_eq_u32 s6, 15
	s_cbranch_scc0 .LBB86_2506
; %bb.2502:
	global_load_u16 v1, v[4:5], off
	s_mov_b32 s5, 0
	s_mov_b32 s7, -1
	s_wait_loadcnt 0x0
	v_lshlrev_b32_e32 v1, 16, v1
	s_delay_alu instid0(VALU_DEP_1)
	v_cvt_i32_f32_e32 v2, v1
	s_branch .LBB86_2508
.LBB86_2503:
	s_mov_b32 s8, -1
	s_branch .LBB86_2507
.LBB86_2504:
	s_and_not1_saveexec_b32 s7, s7
	s_cbranch_execz .LBB86_2485
.LBB86_2505:
	v_cmp_ne_u16_e32 vcc_lo, 0, v1
	s_and_not1_b32 s8, s8, exec_lo
	s_and_b32 s9, vcc_lo, exec_lo
	s_delay_alu instid0(SALU_CYCLE_1)
	s_or_b32 s8, s8, s9
	s_or_b32 exec_lo, exec_lo, s7
	v_mov_b32_e32 v2, 0
	s_and_saveexec_b32 s7, s8
	s_cbranch_execnz .LBB86_2486
	s_branch .LBB86_2487
.LBB86_2506:
	s_mov_b32 s5, -1
.LBB86_2507:
                                        ; implicit-def: $vgpr2
.LBB86_2508:
	s_and_b32 vcc_lo, exec_lo, s8
	s_mov_b32 s8, 0
	s_cbranch_vccz .LBB86_2510
; %bb.2509:
	s_cmp_lg_u32 s6, 11
	s_mov_b32 s8, -1
	s_cselect_b32 s6, -1, 0
	s_and_not1_b32 s5, s5, exec_lo
	s_and_b32 s6, s6, exec_lo
	s_delay_alu instid0(SALU_CYCLE_1)
	s_or_b32 s5, s5, s6
.LBB86_2510:
	s_mov_b32 s6, 0
.LBB86_2511:
	s_delay_alu instid0(SALU_CYCLE_1)
	s_and_b32 s9, s6, exec_lo
	s_and_not1_b32 s6, s62, exec_lo
	s_and_b32 s10, s5, exec_lo
	s_and_b32 s7, s7, exec_lo
	;; [unrolled: 1-line block ×3, first 2 shown]
	s_or_b32 s62, s6, s10
	s_wait_xcnt 0x0
	s_or_b32 exec_lo, exec_lo, s4
	s_and_saveexec_b32 s4, s62
	s_cbranch_execz .LBB86_2444
.LBB86_2512:
	s_or_b32 s1, s1, exec_lo
	s_and_not1_b32 s5, s5, exec_lo
	s_trap 2
	s_or_b32 exec_lo, exec_lo, s4
	s_and_saveexec_b32 s4, s5
	s_delay_alu instid0(SALU_CYCLE_1)
	s_xor_b32 s4, exec_lo, s4
	s_cbranch_execnz .LBB86_2445
.LBB86_2513:
	s_or_b32 exec_lo, exec_lo, s4
	s_and_saveexec_b32 s4, s9
	s_cbranch_execz .LBB86_2559
.LBB86_2514:
	s_sext_i32_i16 s5, s0
	s_delay_alu instid0(SALU_CYCLE_1)
	s_cmp_lt_i32 s5, 5
	s_cbranch_scc1 .LBB86_2519
; %bb.2515:
	s_cmp_lt_i32 s5, 8
	s_cbranch_scc1 .LBB86_2520
; %bb.2516:
	;; [unrolled: 3-line block ×3, first 2 shown]
	s_cmp_gt_i32 s5, 9
	s_cbranch_scc0 .LBB86_2522
; %bb.2518:
	s_wait_loadcnt 0x0
	global_load_b64 v[2:3], v[4:5], off
	s_mov_b32 s5, 0
	s_wait_loadcnt 0x0
	v_cvt_i32_f64_e32 v2, v[2:3]
	s_branch .LBB86_2523
.LBB86_2519:
                                        ; implicit-def: $vgpr2
	s_branch .LBB86_2540
.LBB86_2520:
                                        ; implicit-def: $vgpr2
	s_branch .LBB86_2529
.LBB86_2521:
	s_mov_b32 s5, -1
                                        ; implicit-def: $vgpr2
	s_branch .LBB86_2526
.LBB86_2522:
	s_mov_b32 s5, -1
                                        ; implicit-def: $vgpr2
.LBB86_2523:
	s_delay_alu instid0(SALU_CYCLE_1)
	s_and_not1_b32 vcc_lo, exec_lo, s5
	s_cbranch_vccnz .LBB86_2525
; %bb.2524:
	global_load_b32 v1, v[4:5], off
	s_wait_loadcnt 0x0
	v_cvt_i32_f32_e32 v2, v1
.LBB86_2525:
	s_mov_b32 s5, 0
.LBB86_2526:
	s_delay_alu instid0(SALU_CYCLE_1)
	s_and_not1_b32 vcc_lo, exec_lo, s5
	s_cbranch_vccnz .LBB86_2528
; %bb.2527:
	global_load_b32 v1, v[4:5], off
	s_wait_loadcnt 0x0
	v_cvt_f32_f16_e32 v1, v1
	s_delay_alu instid0(VALU_DEP_1)
	v_cvt_i32_f32_e32 v2, v1
.LBB86_2528:
	s_cbranch_execnz .LBB86_2539
.LBB86_2529:
	s_sext_i32_i16 s5, s0
	s_delay_alu instid0(SALU_CYCLE_1)
	s_cmp_lt_i32 s5, 6
	s_cbranch_scc1 .LBB86_2532
; %bb.2530:
	s_cmp_gt_i32 s5, 6
	s_cbranch_scc0 .LBB86_2533
; %bb.2531:
	s_wait_loadcnt 0x0
	global_load_b64 v[2:3], v[4:5], off
	s_mov_b32 s5, 0
	s_wait_loadcnt 0x0
	v_cvt_i32_f64_e32 v2, v[2:3]
	s_branch .LBB86_2534
.LBB86_2532:
	s_mov_b32 s5, -1
                                        ; implicit-def: $vgpr2
	s_branch .LBB86_2537
.LBB86_2533:
	s_mov_b32 s5, -1
                                        ; implicit-def: $vgpr2
.LBB86_2534:
	s_delay_alu instid0(SALU_CYCLE_1)
	s_and_not1_b32 vcc_lo, exec_lo, s5
	s_cbranch_vccnz .LBB86_2536
; %bb.2535:
	global_load_b32 v1, v[4:5], off
	s_wait_loadcnt 0x0
	v_cvt_i32_f32_e32 v2, v1
.LBB86_2536:
	s_mov_b32 s5, 0
.LBB86_2537:
	s_delay_alu instid0(SALU_CYCLE_1)
	s_and_not1_b32 vcc_lo, exec_lo, s5
	s_cbranch_vccnz .LBB86_2539
; %bb.2538:
	global_load_u16 v1, v[4:5], off
	s_wait_loadcnt 0x0
	v_cvt_f32_f16_e32 v1, v1
	s_delay_alu instid0(VALU_DEP_1)
	v_cvt_i32_f32_e32 v2, v1
.LBB86_2539:
	s_cbranch_execnz .LBB86_2558
.LBB86_2540:
	s_sext_i32_i16 s5, s0
	s_delay_alu instid0(SALU_CYCLE_1)
	s_cmp_lt_i32 s5, 2
	s_cbranch_scc1 .LBB86_2544
; %bb.2541:
	s_cmp_lt_i32 s5, 3
	s_cbranch_scc1 .LBB86_2545
; %bb.2542:
	s_cmp_gt_i32 s5, 3
	s_cbranch_scc0 .LBB86_2546
; %bb.2543:
	s_wait_loadcnt 0x0
	global_load_b32 v2, v[4:5], off
	s_mov_b32 s5, 0
	s_branch .LBB86_2547
.LBB86_2544:
                                        ; implicit-def: $vgpr2
	s_branch .LBB86_2553
.LBB86_2545:
	s_mov_b32 s5, -1
                                        ; implicit-def: $vgpr2
	s_branch .LBB86_2550
.LBB86_2546:
	s_mov_b32 s5, -1
                                        ; implicit-def: $vgpr2
.LBB86_2547:
	s_delay_alu instid0(SALU_CYCLE_1)
	s_and_not1_b32 vcc_lo, exec_lo, s5
	s_cbranch_vccnz .LBB86_2549
; %bb.2548:
	s_wait_loadcnt 0x0
	global_load_b32 v2, v[4:5], off
.LBB86_2549:
	s_mov_b32 s5, 0
.LBB86_2550:
	s_delay_alu instid0(SALU_CYCLE_1)
	s_and_not1_b32 vcc_lo, exec_lo, s5
	s_cbranch_vccnz .LBB86_2552
; %bb.2551:
	s_wait_loadcnt 0x0
	global_load_i16 v2, v[4:5], off
.LBB86_2552:
	s_cbranch_execnz .LBB86_2558
.LBB86_2553:
	s_sext_i32_i16 s0, s0
	s_delay_alu instid0(SALU_CYCLE_1)
	s_cmp_gt_i32 s0, 0
	s_mov_b32 s0, 0
	s_cbranch_scc0 .LBB86_2555
; %bb.2554:
	s_wait_loadcnt 0x0
	global_load_i8 v2, v[4:5], off
	s_branch .LBB86_2556
.LBB86_2555:
	s_mov_b32 s0, -1
                                        ; implicit-def: $vgpr2
.LBB86_2556:
	s_delay_alu instid0(SALU_CYCLE_1)
	s_and_not1_b32 vcc_lo, exec_lo, s0
	s_cbranch_vccnz .LBB86_2558
; %bb.2557:
	s_wait_loadcnt 0x0
	global_load_u8 v2, v[4:5], off
.LBB86_2558:
	s_or_b32 s7, s7, exec_lo
.LBB86_2559:
	s_wait_xcnt 0x0
	s_or_b32 exec_lo, exec_lo, s4
	s_mov_b32 s5, 0
	s_mov_b32 s8, 0
	;; [unrolled: 1-line block ×3, first 2 shown]
                                        ; implicit-def: $sgpr0
                                        ; implicit-def: $vgpr4_vgpr5
                                        ; implicit-def: $vgpr6
	s_and_saveexec_b32 s4, s7
	s_cbranch_execz .LBB86_2567
; %bb.2560:
	v_mul_lo_u32 v4, s28, v22
	s_and_b32 s0, s52, 0xff
	s_delay_alu instid0(SALU_CYCLE_1) | instskip(NEXT) | instid1(VALU_DEP_1)
	s_cmp_lt_i32 s0, 11
	v_ashrrev_i32_e32 v5, 31, v4
	s_delay_alu instid0(VALU_DEP_1)
	v_add_nc_u64_e32 v[4:5], s[30:31], v[4:5]
	s_cbranch_scc1 .LBB86_2570
; %bb.2561:
	s_and_b32 s6, 0xffff, s0
	s_mov_b32 s7, 0
	s_cmp_gt_i32 s6, 25
	s_cbranch_scc0 .LBB86_2571
; %bb.2562:
	s_cmp_gt_i32 s6, 28
	s_cbranch_scc0 .LBB86_2572
; %bb.2563:
	;; [unrolled: 3-line block ×4, first 2 shown]
	s_cmp_eq_u32 s6, 46
	s_mov_b32 s9, 0
	s_cbranch_scc0 .LBB86_2575
; %bb.2566:
	global_load_b32 v1, v[4:5], off
	s_mov_b32 s8, -1
	s_wait_loadcnt 0x0
	v_lshlrev_b32_e32 v1, 16, v1
	s_delay_alu instid0(VALU_DEP_1)
	v_cvt_i32_f32_e32 v6, v1
	s_branch .LBB86_2577
.LBB86_2567:
	s_or_b32 exec_lo, exec_lo, s4
	s_and_saveexec_b32 s4, s61
	s_cbranch_execnz .LBB86_2636
.LBB86_2568:
	s_or_b32 exec_lo, exec_lo, s4
	s_and_saveexec_b32 s4, s5
	s_delay_alu instid0(SALU_CYCLE_1)
	s_xor_b32 s4, exec_lo, s4
	s_cbranch_execz .LBB86_2637
.LBB86_2569:
	global_load_u8 v1, v[4:5], off
	s_or_b32 s6, s6, exec_lo
	s_wait_loadcnt 0x0
	v_cmp_ne_u16_e32 vcc_lo, 0, v1
	v_cndmask_b32_e64 v6, 0, 1, vcc_lo
	s_wait_xcnt 0x0
	s_or_b32 exec_lo, exec_lo, s4
	s_and_saveexec_b32 s4, s8
	s_cbranch_execz .LBB86_2683
	s_branch .LBB86_2638
.LBB86_2570:
	s_mov_b32 s9, -1
	s_mov_b32 s7, 0
	s_mov_b32 s5, s61
                                        ; implicit-def: $vgpr6
	s_branch .LBB86_2635
.LBB86_2571:
	s_mov_b32 s5, s61
                                        ; implicit-def: $vgpr6
	s_cbranch_execnz .LBB86_2604
	s_branch .LBB86_2634
.LBB86_2572:
	s_mov_b32 s9, -1
	s_mov_b32 s5, s61
                                        ; implicit-def: $vgpr6
	s_branch .LBB86_2587
.LBB86_2573:
	s_mov_b32 s9, -1
	s_mov_b32 s5, s61
                                        ; implicit-def: $vgpr6
	s_branch .LBB86_2582
.LBB86_2574:
	s_mov_b32 s9, -1
	s_mov_b32 s5, s61
	s_branch .LBB86_2576
.LBB86_2575:
	s_mov_b32 s5, -1
.LBB86_2576:
                                        ; implicit-def: $vgpr6
.LBB86_2577:
	s_and_b32 vcc_lo, exec_lo, s9
	s_cbranch_vccz .LBB86_2581
; %bb.2578:
	s_cmp_eq_u32 s6, 44
	s_cbranch_scc0 .LBB86_2580
; %bb.2579:
	global_load_u8 v1, v[4:5], off
	s_mov_b32 s5, 0
	s_mov_b32 s8, -1
	s_wait_loadcnt 0x0
	v_lshlrev_b32_e32 v3, 23, v1
	v_cmp_ne_u32_e32 vcc_lo, 0, v1
	s_delay_alu instid0(VALU_DEP_2) | instskip(NEXT) | instid1(VALU_DEP_1)
	v_cvt_i32_f32_e32 v3, v3
	v_cndmask_b32_e32 v6, 0, v3, vcc_lo
	s_branch .LBB86_2581
.LBB86_2580:
	s_mov_b32 s5, -1
                                        ; implicit-def: $vgpr6
.LBB86_2581:
	s_mov_b32 s9, 0
.LBB86_2582:
	s_delay_alu instid0(SALU_CYCLE_1)
	s_and_b32 vcc_lo, exec_lo, s9
	s_cbranch_vccz .LBB86_2586
; %bb.2583:
	s_cmp_eq_u32 s6, 29
	s_cbranch_scc0 .LBB86_2585
; %bb.2584:
	s_wait_loadcnt 0x0
	global_load_b32 v6, v[4:5], off
	s_mov_b32 s5, 0
	s_mov_b32 s8, -1
	s_branch .LBB86_2586
.LBB86_2585:
	s_mov_b32 s5, -1
                                        ; implicit-def: $vgpr6
.LBB86_2586:
	s_mov_b32 s9, 0
.LBB86_2587:
	s_delay_alu instid0(SALU_CYCLE_1)
	s_and_b32 vcc_lo, exec_lo, s9
	s_cbranch_vccz .LBB86_2603
; %bb.2588:
	s_cmp_lt_i32 s6, 27
	s_cbranch_scc1 .LBB86_2591
; %bb.2589:
	s_cmp_gt_i32 s6, 27
	s_cbranch_scc0 .LBB86_2592
; %bb.2590:
	s_wait_loadcnt 0x0
	global_load_b32 v6, v[4:5], off
	s_mov_b32 s8, 0
	s_branch .LBB86_2593
.LBB86_2591:
	s_mov_b32 s8, -1
                                        ; implicit-def: $vgpr6
	s_branch .LBB86_2596
.LBB86_2592:
	s_mov_b32 s8, -1
                                        ; implicit-def: $vgpr6
.LBB86_2593:
	s_delay_alu instid0(SALU_CYCLE_1)
	s_and_not1_b32 vcc_lo, exec_lo, s8
	s_cbranch_vccnz .LBB86_2595
; %bb.2594:
	s_wait_loadcnt 0x0
	global_load_u16 v6, v[4:5], off
.LBB86_2595:
	s_mov_b32 s8, 0
.LBB86_2596:
	s_delay_alu instid0(SALU_CYCLE_1)
	s_and_not1_b32 vcc_lo, exec_lo, s8
	s_cbranch_vccnz .LBB86_2602
; %bb.2597:
	global_load_u8 v1, v[4:5], off
	s_mov_b32 s9, 0
	s_mov_b32 s8, exec_lo
	s_wait_loadcnt 0x0
	v_cmpx_lt_i16_e32 0x7f, v1
	s_xor_b32 s8, exec_lo, s8
	s_cbranch_execz .LBB86_2613
; %bb.2598:
	v_cmp_ne_u16_e32 vcc_lo, 0x80, v1
	s_and_b32 s9, vcc_lo, exec_lo
	s_and_not1_saveexec_b32 s8, s8
	s_cbranch_execnz .LBB86_2614
.LBB86_2599:
	s_or_b32 exec_lo, exec_lo, s8
	v_mov_b32_e32 v6, 0
	s_and_saveexec_b32 s8, s9
	s_cbranch_execz .LBB86_2601
.LBB86_2600:
	v_and_b32_e32 v3, 0xffff, v1
	s_delay_alu instid0(VALU_DEP_1) | instskip(SKIP_1) | instid1(VALU_DEP_2)
	v_and_b32_e32 v6, 7, v3
	v_bfe_u32 v11, v3, 3, 4
	v_clz_i32_u32_e32 v9, v6
	s_delay_alu instid0(VALU_DEP_2) | instskip(NEXT) | instid1(VALU_DEP_2)
	v_cmp_eq_u32_e32 vcc_lo, 0, v11
	v_min_u32_e32 v9, 32, v9
	s_delay_alu instid0(VALU_DEP_1) | instskip(NEXT) | instid1(VALU_DEP_1)
	v_subrev_nc_u32_e32 v10, 28, v9
	v_dual_lshlrev_b32 v3, v10, v3 :: v_dual_sub_nc_u32 v9, 29, v9
	s_delay_alu instid0(VALU_DEP_1) | instskip(NEXT) | instid1(VALU_DEP_1)
	v_dual_lshlrev_b32 v1, 24, v1 :: v_dual_bitop2_b32 v3, 7, v3 bitop3:0x40
	v_dual_cndmask_b32 v3, v6, v3, vcc_lo :: v_dual_cndmask_b32 v9, v11, v9, vcc_lo
	s_delay_alu instid0(VALU_DEP_2) | instskip(NEXT) | instid1(VALU_DEP_2)
	v_and_b32_e32 v1, 0x80000000, v1
	v_lshlrev_b32_e32 v3, 20, v3
	s_delay_alu instid0(VALU_DEP_3) | instskip(NEXT) | instid1(VALU_DEP_1)
	v_lshl_add_u32 v6, v9, 23, 0x3b800000
	v_or3_b32 v1, v1, v6, v3
	s_delay_alu instid0(VALU_DEP_1)
	v_cvt_i32_f32_e32 v6, v1
.LBB86_2601:
	s_or_b32 exec_lo, exec_lo, s8
.LBB86_2602:
	s_mov_b32 s8, -1
.LBB86_2603:
	s_branch .LBB86_2634
.LBB86_2604:
	s_cmp_gt_i32 s6, 22
	s_cbranch_scc0 .LBB86_2612
; %bb.2605:
	s_cmp_lt_i32 s6, 24
	s_cbranch_scc1 .LBB86_2615
; %bb.2606:
	s_cmp_gt_i32 s6, 24
	s_cbranch_scc0 .LBB86_2616
; %bb.2607:
	global_load_u8 v1, v[4:5], off
	s_mov_b32 s8, 0
	s_mov_b32 s7, exec_lo
	s_wait_loadcnt 0x0
	v_cmpx_lt_i16_e32 0x7f, v1
	s_xor_b32 s7, exec_lo, s7
	s_cbranch_execz .LBB86_2628
; %bb.2608:
	v_cmp_ne_u16_e32 vcc_lo, 0x80, v1
	s_and_b32 s8, vcc_lo, exec_lo
	s_and_not1_saveexec_b32 s7, s7
	s_cbranch_execnz .LBB86_2629
.LBB86_2609:
	s_or_b32 exec_lo, exec_lo, s7
	v_mov_b32_e32 v6, 0
	s_and_saveexec_b32 s7, s8
	s_cbranch_execz .LBB86_2611
.LBB86_2610:
	v_and_b32_e32 v3, 0xffff, v1
	s_delay_alu instid0(VALU_DEP_1) | instskip(SKIP_1) | instid1(VALU_DEP_2)
	v_and_b32_e32 v6, 3, v3
	v_bfe_u32 v11, v3, 2, 5
	v_clz_i32_u32_e32 v9, v6
	s_delay_alu instid0(VALU_DEP_2) | instskip(NEXT) | instid1(VALU_DEP_2)
	v_cmp_eq_u32_e32 vcc_lo, 0, v11
	v_min_u32_e32 v9, 32, v9
	s_delay_alu instid0(VALU_DEP_1) | instskip(NEXT) | instid1(VALU_DEP_1)
	v_subrev_nc_u32_e32 v10, 29, v9
	v_dual_lshlrev_b32 v3, v10, v3 :: v_dual_sub_nc_u32 v9, 30, v9
	s_delay_alu instid0(VALU_DEP_1) | instskip(NEXT) | instid1(VALU_DEP_1)
	v_dual_lshlrev_b32 v1, 24, v1 :: v_dual_bitop2_b32 v3, 3, v3 bitop3:0x40
	v_dual_cndmask_b32 v3, v6, v3, vcc_lo :: v_dual_cndmask_b32 v9, v11, v9, vcc_lo
	s_delay_alu instid0(VALU_DEP_2) | instskip(NEXT) | instid1(VALU_DEP_2)
	v_and_b32_e32 v1, 0x80000000, v1
	v_lshlrev_b32_e32 v3, 21, v3
	s_delay_alu instid0(VALU_DEP_3) | instskip(NEXT) | instid1(VALU_DEP_1)
	v_lshl_add_u32 v6, v9, 23, 0x37800000
	v_or3_b32 v1, v1, v6, v3
	s_delay_alu instid0(VALU_DEP_1)
	v_cvt_i32_f32_e32 v6, v1
.LBB86_2611:
	s_or_b32 exec_lo, exec_lo, s7
	s_mov_b32 s7, 0
	s_branch .LBB86_2617
.LBB86_2612:
	s_mov_b32 s7, -1
                                        ; implicit-def: $vgpr6
	s_branch .LBB86_2623
.LBB86_2613:
	s_and_not1_saveexec_b32 s8, s8
	s_cbranch_execz .LBB86_2599
.LBB86_2614:
	v_cmp_ne_u16_e32 vcc_lo, 0, v1
	s_and_not1_b32 s9, s9, exec_lo
	s_and_b32 s10, vcc_lo, exec_lo
	s_delay_alu instid0(SALU_CYCLE_1)
	s_or_b32 s9, s9, s10
	s_or_b32 exec_lo, exec_lo, s8
	v_mov_b32_e32 v6, 0
	s_and_saveexec_b32 s8, s9
	s_cbranch_execnz .LBB86_2600
	s_branch .LBB86_2601
.LBB86_2615:
	s_mov_b32 s7, -1
                                        ; implicit-def: $vgpr6
	s_branch .LBB86_2620
.LBB86_2616:
	s_mov_b32 s7, -1
                                        ; implicit-def: $vgpr6
.LBB86_2617:
	s_delay_alu instid0(SALU_CYCLE_1)
	s_and_b32 vcc_lo, exec_lo, s7
	s_cbranch_vccz .LBB86_2619
; %bb.2618:
	global_load_u8 v1, v[4:5], off
	s_wait_loadcnt 0x0
	v_lshlrev_b32_e32 v1, 24, v1
	s_delay_alu instid0(VALU_DEP_1) | instskip(NEXT) | instid1(VALU_DEP_1)
	v_and_b32_e32 v3, 0x7f000000, v1
	v_clz_i32_u32_e32 v6, v3
	v_cmp_ne_u32_e32 vcc_lo, 0, v3
	v_add_nc_u32_e32 v10, 0x1000000, v3
	s_delay_alu instid0(VALU_DEP_3) | instskip(NEXT) | instid1(VALU_DEP_1)
	v_min_u32_e32 v6, 32, v6
	v_sub_nc_u32_e64 v6, v6, 4 clamp
	s_delay_alu instid0(VALU_DEP_1) | instskip(NEXT) | instid1(VALU_DEP_1)
	v_dual_lshlrev_b32 v9, v6, v3 :: v_dual_lshlrev_b32 v6, 23, v6
	v_lshrrev_b32_e32 v9, 4, v9
	s_delay_alu instid0(VALU_DEP_1) | instskip(SKIP_1) | instid1(VALU_DEP_2)
	v_sub_nc_u32_e32 v6, v9, v6
	v_ashrrev_i32_e32 v9, 8, v10
	v_add_nc_u32_e32 v6, 0x3c000000, v6
	s_delay_alu instid0(VALU_DEP_1) | instskip(NEXT) | instid1(VALU_DEP_1)
	v_and_or_b32 v6, 0x7f800000, v9, v6
	v_cndmask_b32_e32 v3, 0, v6, vcc_lo
	s_delay_alu instid0(VALU_DEP_1) | instskip(NEXT) | instid1(VALU_DEP_1)
	v_and_or_b32 v1, 0x80000000, v1, v3
	v_cvt_i32_f32_e32 v6, v1
.LBB86_2619:
	s_mov_b32 s7, 0
.LBB86_2620:
	s_delay_alu instid0(SALU_CYCLE_1)
	s_and_not1_b32 vcc_lo, exec_lo, s7
	s_cbranch_vccnz .LBB86_2622
; %bb.2621:
	global_load_u8 v1, v[4:5], off
	s_wait_loadcnt 0x0
	v_lshlrev_b32_e32 v3, 25, v1
	v_lshlrev_b16 v1, 8, v1
	s_delay_alu instid0(VALU_DEP_1) | instskip(NEXT) | instid1(VALU_DEP_3)
	v_and_or_b32 v9, 0x7f00, v1, 0.5
	v_lshrrev_b32_e32 v6, 4, v3
	v_bfe_i32 v1, v1, 0, 16
	s_delay_alu instid0(VALU_DEP_3) | instskip(NEXT) | instid1(VALU_DEP_3)
	v_add_f32_e32 v9, -0.5, v9
	v_or_b32_e32 v6, 0x70000000, v6
	s_delay_alu instid0(VALU_DEP_1) | instskip(SKIP_1) | instid1(VALU_DEP_2)
	v_mul_f32_e32 v6, 0x7800000, v6
	v_cmp_gt_u32_e32 vcc_lo, 0x8000000, v3
	v_cndmask_b32_e32 v3, v6, v9, vcc_lo
	s_delay_alu instid0(VALU_DEP_1) | instskip(NEXT) | instid1(VALU_DEP_1)
	v_and_or_b32 v1, 0x80000000, v1, v3
	v_cvt_i32_f32_e32 v6, v1
.LBB86_2622:
	s_mov_b32 s7, 0
	s_mov_b32 s8, -1
.LBB86_2623:
	s_and_not1_b32 vcc_lo, exec_lo, s7
	s_mov_b32 s7, 0
	s_cbranch_vccnz .LBB86_2634
; %bb.2624:
	s_cmp_gt_i32 s6, 14
	s_cbranch_scc0 .LBB86_2627
; %bb.2625:
	s_cmp_eq_u32 s6, 15
	s_cbranch_scc0 .LBB86_2630
; %bb.2626:
	global_load_u16 v1, v[4:5], off
	s_mov_b32 s5, 0
	s_mov_b32 s8, -1
	s_wait_loadcnt 0x0
	v_lshlrev_b32_e32 v1, 16, v1
	s_delay_alu instid0(VALU_DEP_1)
	v_cvt_i32_f32_e32 v6, v1
	s_branch .LBB86_2632
.LBB86_2627:
	s_mov_b32 s7, -1
	s_branch .LBB86_2631
.LBB86_2628:
	s_and_not1_saveexec_b32 s7, s7
	s_cbranch_execz .LBB86_2609
.LBB86_2629:
	v_cmp_ne_u16_e32 vcc_lo, 0, v1
	s_and_not1_b32 s8, s8, exec_lo
	s_and_b32 s9, vcc_lo, exec_lo
	s_delay_alu instid0(SALU_CYCLE_1)
	s_or_b32 s8, s8, s9
	s_or_b32 exec_lo, exec_lo, s7
	v_mov_b32_e32 v6, 0
	s_and_saveexec_b32 s7, s8
	s_cbranch_execnz .LBB86_2610
	s_branch .LBB86_2611
.LBB86_2630:
	s_mov_b32 s5, -1
.LBB86_2631:
                                        ; implicit-def: $vgpr6
.LBB86_2632:
	s_and_b32 vcc_lo, exec_lo, s7
	s_mov_b32 s7, 0
	s_cbranch_vccz .LBB86_2634
; %bb.2633:
	s_cmp_lg_u32 s6, 11
	s_mov_b32 s7, -1
	s_cselect_b32 s6, -1, 0
	s_and_not1_b32 s5, s5, exec_lo
	s_and_b32 s6, s6, exec_lo
	s_delay_alu instid0(SALU_CYCLE_1)
	s_or_b32 s5, s5, s6
.LBB86_2634:
	s_mov_b32 s9, 0
.LBB86_2635:
	s_and_b32 s6, s8, exec_lo
	s_and_b32 s8, s9, exec_lo
	s_and_not1_b32 s9, s61, exec_lo
	s_and_b32 s10, s5, exec_lo
	s_and_b32 s5, s7, exec_lo
	s_or_b32 s61, s9, s10
	s_wait_xcnt 0x0
	s_or_b32 exec_lo, exec_lo, s4
	s_and_saveexec_b32 s4, s61
	s_cbranch_execz .LBB86_2568
.LBB86_2636:
	s_or_b32 s1, s1, exec_lo
	s_and_not1_b32 s5, s5, exec_lo
	s_trap 2
	s_or_b32 exec_lo, exec_lo, s4
	s_and_saveexec_b32 s4, s5
	s_delay_alu instid0(SALU_CYCLE_1)
	s_xor_b32 s4, exec_lo, s4
	s_cbranch_execnz .LBB86_2569
.LBB86_2637:
	s_or_b32 exec_lo, exec_lo, s4
	s_and_saveexec_b32 s4, s8
	s_cbranch_execz .LBB86_2683
.LBB86_2638:
	s_sext_i32_i16 s5, s0
	s_delay_alu instid0(SALU_CYCLE_1)
	s_cmp_lt_i32 s5, 5
	s_cbranch_scc1 .LBB86_2643
; %bb.2639:
	s_cmp_lt_i32 s5, 8
	s_cbranch_scc1 .LBB86_2644
; %bb.2640:
	;; [unrolled: 3-line block ×3, first 2 shown]
	s_cmp_gt_i32 s5, 9
	s_cbranch_scc0 .LBB86_2646
; %bb.2642:
	global_load_b64 v[10:11], v[4:5], off
	s_mov_b32 s5, 0
	s_wait_loadcnt 0x0
	v_cvt_i32_f64_e32 v6, v[10:11]
	s_branch .LBB86_2647
.LBB86_2643:
                                        ; implicit-def: $vgpr6
	s_branch .LBB86_2664
.LBB86_2644:
                                        ; implicit-def: $vgpr6
	s_branch .LBB86_2653
.LBB86_2645:
	s_mov_b32 s5, -1
                                        ; implicit-def: $vgpr6
	s_branch .LBB86_2650
.LBB86_2646:
	s_mov_b32 s5, -1
                                        ; implicit-def: $vgpr6
.LBB86_2647:
	s_delay_alu instid0(SALU_CYCLE_1)
	s_and_not1_b32 vcc_lo, exec_lo, s5
	s_cbranch_vccnz .LBB86_2649
; %bb.2648:
	global_load_b32 v1, v[4:5], off
	s_wait_loadcnt 0x0
	v_cvt_i32_f32_e32 v6, v1
.LBB86_2649:
	s_mov_b32 s5, 0
.LBB86_2650:
	s_delay_alu instid0(SALU_CYCLE_1)
	s_and_not1_b32 vcc_lo, exec_lo, s5
	s_cbranch_vccnz .LBB86_2652
; %bb.2651:
	global_load_b32 v1, v[4:5], off
	s_wait_loadcnt 0x0
	v_cvt_f32_f16_e32 v1, v1
	s_delay_alu instid0(VALU_DEP_1)
	v_cvt_i32_f32_e32 v6, v1
.LBB86_2652:
	s_cbranch_execnz .LBB86_2663
.LBB86_2653:
	s_sext_i32_i16 s5, s0
	s_delay_alu instid0(SALU_CYCLE_1)
	s_cmp_lt_i32 s5, 6
	s_cbranch_scc1 .LBB86_2656
; %bb.2654:
	s_cmp_gt_i32 s5, 6
	s_cbranch_scc0 .LBB86_2657
; %bb.2655:
	global_load_b64 v[10:11], v[4:5], off
	s_mov_b32 s5, 0
	s_wait_loadcnt 0x0
	v_cvt_i32_f64_e32 v6, v[10:11]
	s_branch .LBB86_2658
.LBB86_2656:
	s_mov_b32 s5, -1
                                        ; implicit-def: $vgpr6
	s_branch .LBB86_2661
.LBB86_2657:
	s_mov_b32 s5, -1
                                        ; implicit-def: $vgpr6
.LBB86_2658:
	s_delay_alu instid0(SALU_CYCLE_1)
	s_and_not1_b32 vcc_lo, exec_lo, s5
	s_cbranch_vccnz .LBB86_2660
; %bb.2659:
	global_load_b32 v1, v[4:5], off
	s_wait_loadcnt 0x0
	v_cvt_i32_f32_e32 v6, v1
.LBB86_2660:
	s_mov_b32 s5, 0
.LBB86_2661:
	s_delay_alu instid0(SALU_CYCLE_1)
	s_and_not1_b32 vcc_lo, exec_lo, s5
	s_cbranch_vccnz .LBB86_2663
; %bb.2662:
	global_load_u16 v1, v[4:5], off
	s_wait_loadcnt 0x0
	v_cvt_f32_f16_e32 v1, v1
	s_delay_alu instid0(VALU_DEP_1)
	v_cvt_i32_f32_e32 v6, v1
.LBB86_2663:
	s_cbranch_execnz .LBB86_2682
.LBB86_2664:
	s_sext_i32_i16 s5, s0
	s_delay_alu instid0(SALU_CYCLE_1)
	s_cmp_lt_i32 s5, 2
	s_cbranch_scc1 .LBB86_2668
; %bb.2665:
	s_cmp_lt_i32 s5, 3
	s_cbranch_scc1 .LBB86_2669
; %bb.2666:
	s_cmp_gt_i32 s5, 3
	s_cbranch_scc0 .LBB86_2670
; %bb.2667:
	s_wait_loadcnt 0x0
	global_load_b32 v6, v[4:5], off
	s_mov_b32 s5, 0
	s_branch .LBB86_2671
.LBB86_2668:
                                        ; implicit-def: $vgpr6
	s_branch .LBB86_2677
.LBB86_2669:
	s_mov_b32 s5, -1
                                        ; implicit-def: $vgpr6
	s_branch .LBB86_2674
.LBB86_2670:
	s_mov_b32 s5, -1
                                        ; implicit-def: $vgpr6
.LBB86_2671:
	s_delay_alu instid0(SALU_CYCLE_1)
	s_and_not1_b32 vcc_lo, exec_lo, s5
	s_cbranch_vccnz .LBB86_2673
; %bb.2672:
	s_wait_loadcnt 0x0
	global_load_b32 v6, v[4:5], off
.LBB86_2673:
	s_mov_b32 s5, 0
.LBB86_2674:
	s_delay_alu instid0(SALU_CYCLE_1)
	s_and_not1_b32 vcc_lo, exec_lo, s5
	s_cbranch_vccnz .LBB86_2676
; %bb.2675:
	s_wait_loadcnt 0x0
	global_load_i16 v6, v[4:5], off
.LBB86_2676:
	s_cbranch_execnz .LBB86_2682
.LBB86_2677:
	s_sext_i32_i16 s0, s0
	s_delay_alu instid0(SALU_CYCLE_1)
	s_cmp_gt_i32 s0, 0
	s_mov_b32 s0, 0
	s_cbranch_scc0 .LBB86_2679
; %bb.2678:
	s_wait_loadcnt 0x0
	global_load_i8 v6, v[4:5], off
	s_branch .LBB86_2680
.LBB86_2679:
	s_mov_b32 s0, -1
                                        ; implicit-def: $vgpr6
.LBB86_2680:
	s_delay_alu instid0(SALU_CYCLE_1)
	s_and_not1_b32 vcc_lo, exec_lo, s0
	s_cbranch_vccnz .LBB86_2682
; %bb.2681:
	s_wait_loadcnt 0x0
	global_load_u8 v6, v[4:5], off
.LBB86_2682:
	s_or_b32 s6, s6, exec_lo
.LBB86_2683:
	s_wait_xcnt 0x0
	s_or_b32 exec_lo, exec_lo, s4
	s_mov_b32 s0, 0
	s_and_saveexec_b32 s4, s6
	s_delay_alu instid0(SALU_CYCLE_1)
	s_xor_b32 s4, exec_lo, s4
	s_cbranch_execz .LBB86_2685
; %bb.2684:
	s_wait_loadcnt 0x0
	v_cmp_ne_u32_e32 vcc_lo, s29, v7
	s_xor_b32 s5, s51, -1
	s_and_not1_b32 s6, s60, exec_lo
	s_mov_b32 s0, exec_lo
	s_or_b32 s5, s5, vcc_lo
	s_delay_alu instid0(SALU_CYCLE_1) | instskip(NEXT) | instid1(SALU_CYCLE_1)
	s_and_b32 s5, s5, exec_lo
	s_or_b32 s60, s6, s5
.LBB86_2685:
	s_or_b32 exec_lo, exec_lo, s4
	s_and_saveexec_b32 s4, s60
	s_cbranch_execnz .LBB86_2722
.LBB86_2686:
	s_or_b32 exec_lo, exec_lo, s4
	s_mov_b32 s5, 0
	s_and_saveexec_b32 s4, s0
	s_delay_alu instid0(SALU_CYCLE_1)
	s_xor_b32 s0, exec_lo, s4
	s_cbranch_execz .LBB86_2688
; %bb.2687:
	s_wait_loadcnt 0x0
	v_cmp_ne_u32_e32 vcc_lo, s18, v8
	s_xor_b32 s4, s50, -1
	s_and_not1_b32 s6, s59, exec_lo
	s_mov_b32 s5, exec_lo
	s_or_b32 s4, s4, vcc_lo
	s_delay_alu instid0(SALU_CYCLE_1) | instskip(NEXT) | instid1(SALU_CYCLE_1)
	s_and_b32 s4, s4, exec_lo
	s_or_b32 s59, s6, s4
.LBB86_2688:
	s_or_b32 exec_lo, exec_lo, s0
	s_and_saveexec_b32 s0, s59
	s_cbranch_execnz .LBB86_2723
.LBB86_2689:
	s_or_b32 exec_lo, exec_lo, s0
	s_mov_b32 s4, 0
	s_and_saveexec_b32 s0, s5
	s_delay_alu instid0(SALU_CYCLE_1)
	s_xor_b32 s5, exec_lo, s0
	s_cbranch_execz .LBB86_2701
; %bb.2690:
	s_wait_loadcnt 0x0
	v_sub_nc_u32_e32 v1, v2, v0
	s_and_not1_b32 s6, s58, exec_lo
	s_mov_b32 s4, exec_lo
	s_delay_alu instid0(VALU_DEP_1) | instskip(SKIP_2) | instid1(SALU_CYCLE_1)
	v_cmp_le_i32_e32 vcc_lo, s29, v1
	v_cmp_ge_i32_e64 s0, s16, v1
	s_and_b32 s0, vcc_lo, s0
	s_and_b32 s0, s49, s0
	s_delay_alu instid0(SALU_CYCLE_1) | instskip(NEXT) | instid1(SALU_CYCLE_1)
	s_xor_b32 s0, s0, -1
	s_and_b32 s0, s0, exec_lo
	s_delay_alu instid0(SALU_CYCLE_1)
	s_or_b32 s58, s6, s0
	s_or_b32 exec_lo, exec_lo, s5
	s_and_saveexec_b32 s0, s58
	s_cbranch_execz .LBB86_2702
.LBB86_2691:
	s_or_b32 s1, s1, exec_lo
	s_and_not1_b32 s4, s4, exec_lo
	s_trap 2
	s_or_b32 exec_lo, exec_lo, s0
	s_mov_b32 s5, 0
	s_and_saveexec_b32 s15, s4
	s_cbranch_execnz .LBB86_2703
.LBB86_2692:
	s_or_b32 exec_lo, exec_lo, s15
	s_and_saveexec_b32 s0, s57
	s_cbranch_execnz .LBB86_2721
.LBB86_2693:
	s_or_b32 exec_lo, exec_lo, s0
	s_mov_b32 s7, 0
	s_mov_b32 s6, 0
                                        ; implicit-def: $sgpr0
                                        ; implicit-def: $vgpr0_vgpr1
	s_and_saveexec_b32 s4, s5
	s_cbranch_execz .LBB86_2710
; %bb.2694:
	s_wait_loadcnt 0x0
	v_mul_lo_u32 v0, s33, v22
	s_and_b32 s0, s14, 0xff
	s_delay_alu instid0(SALU_CYCLE_1) | instskip(NEXT) | instid1(VALU_DEP_1)
	s_cmp_lt_i32 s0, 11
	v_ashrrev_i32_e32 v1, 31, v0
	s_delay_alu instid0(VALU_DEP_1)
	v_add_nc_u64_e32 v[0:1], s[2:3], v[0:1]
	s_cbranch_scc1 .LBB86_2718
; %bb.2695:
	s_and_b32 s6, 0xffff, s0
	s_mov_b32 s7, -1
	s_cmp_gt_i32 s6, 25
	s_mov_b32 s5, s54
	s_cbranch_scc0 .LBB86_2743
; %bb.2696:
	s_cmp_gt_i32 s6, 28
	s_mov_b32 s5, s54
	s_cbranch_scc0 .LBB86_2733
; %bb.2697:
	;; [unrolled: 4-line block ×4, first 2 shown]
	s_cmp_eq_u32 s6, 46
	s_mov_b32 s5, -1
	s_cbranch_scc0 .LBB86_2724
; %bb.2700:
	v_mov_b32_e32 v2, 0
	s_mov_b32 s5, 0
	s_mov_b32 s7, 0
	global_store_b32 v[0:1], v2, off
	s_branch .LBB86_2725
.LBB86_2701:
	s_or_b32 exec_lo, exec_lo, s5
	s_and_saveexec_b32 s0, s58
	s_cbranch_execnz .LBB86_2691
.LBB86_2702:
	s_or_b32 exec_lo, exec_lo, s0
	s_mov_b32 s5, 0
	s_and_saveexec_b32 s15, s4
	s_cbranch_execz .LBB86_2692
.LBB86_2703:
	v_mov_b64_e32 v[4:5], 0
	s_and_not1_b32 vcc_lo, exec_lo, s17
	s_cbranch_vccnz .LBB86_2713
; %bb.2704:
	s_wait_loadcnt 0x0
	v_ashrrev_i32_e32 v7, 31, v6
	s_mov_b32 s27, 0
	v_mov_b64_e32 v[4:5], 0
	s_lshl_b64 s[6:7], s[26:27], 3
	s_mov_b64 s[4:5], 0xffffffff
	v_mul_u64_e32 v[8:9], s[18:19], v[6:7]
	v_mov_b32_e32 v6, 0
	s_add_nc_u64 s[6:7], s[24:25], s[6:7]
	s_delay_alu instid0(SALU_CYCLE_1)
	s_add_nc_u64 s[6:7], s[6:7], 0x68
	s_branch .LBB86_2706
.LBB86_2705:                            ;   in Loop: Header=BB86_2706 Depth=1
	s_or_b32 exec_lo, exec_lo, s0
	s_delay_alu instid0(VALU_DEP_1)
	v_mul_u64_e32 v[12:13], s[8:9], v[10:11]
	s_load_b64 s[8:9], s[6:7], 0x40
	s_add_co_i32 s48, s48, -1
	s_wait_xcnt 0x0
	s_add_nc_u64 s[6:7], s[6:7], -8
	s_cmp_lg_u32 s48, 0
	s_delay_alu instid0(VALU_DEP_1) | instskip(SKIP_1) | instid1(VALU_DEP_1)
	v_sub_nc_u64_e32 v[8:9], v[8:9], v[12:13]
	s_wait_kmcnt 0x0
	v_mad_nc_u64_u32 v[4:5], v8, s8, v[4:5]
	s_delay_alu instid0(VALU_DEP_1) | instskip(NEXT) | instid1(VALU_DEP_1)
	v_mad_u32 v1, v9, s8, v5
	v_mad_u32 v5, v8, s9, v1
	v_mov_b64_e32 v[8:9], v[10:11]
	s_cbranch_scc0 .LBB86_2713
.LBB86_2706:                            ; =>This Inner Loop Header: Depth=1
	s_load_b64 s[8:9], s[6:7], 0x0
                                        ; implicit-def: $vgpr10_vgpr11
	s_mov_b32 s0, exec_lo
	s_wait_kmcnt 0x0
	s_delay_alu instid0(VALU_DEP_1) | instskip(NEXT) | instid1(VALU_DEP_1)
	v_or_b32_e32 v7, s9, v9
	v_cmpx_ne_u64_e32 0, v[6:7]
	s_xor_b32 s18, exec_lo, s0
	s_cbranch_execz .LBB86_2708
; %bb.2707:                             ;   in Loop: Header=BB86_2706 Depth=1
	s_ashr_i32 s10, s9, 31
	v_dual_mov_b32 v15, v6 :: v_dual_ashrrev_i32 v10, 31, v9
	s_mov_b32 s11, s10
	v_mov_b32_e32 v25, v6
	s_add_nc_u64 s[16:17], s[8:9], s[10:11]
	s_delay_alu instid0(VALU_DEP_2) | instskip(SKIP_1) | instid1(SALU_CYCLE_1)
	v_mov_b32_e32 v11, v10
	s_xor_b64 s[16:17], s[16:17], s[10:11]
	s_cvt_f32_u32 s0, s16
	s_cvt_f32_u32 s11, s17
	s_sub_nc_u64 s[22:23], 0, s[16:17]
	v_add_nc_u64_e32 v[12:13], v[8:9], v[10:11]
	v_mov_b32_e32 v19, v6
	s_fmamk_f32 s0, s11, 0x4f800000, s0
	s_delay_alu instid0(SALU_CYCLE_3) | instskip(NEXT) | instid1(VALU_DEP_2)
	v_s_rcp_f32 s0, s0
	v_xor_b32_e32 v14, v12, v10
	s_delay_alu instid0(VALU_DEP_3) | instskip(NEXT) | instid1(TRANS32_DEP_1)
	v_xor_b32_e32 v18, v13, v10
	s_mul_f32 s0, s0, 0x5f7ffffc
	s_delay_alu instid0(SALU_CYCLE_3) | instskip(NEXT) | instid1(SALU_CYCLE_3)
	s_mul_f32 s11, s0, 0x2f800000
	s_trunc_f32 s11, s11
	s_delay_alu instid0(SALU_CYCLE_3) | instskip(SKIP_1) | instid1(SALU_CYCLE_2)
	s_fmamk_f32 s0, s11, 0xcf800000, s0
	s_cvt_u32_f32 s21, s11
	s_cvt_u32_f32 s20, s0
	s_delay_alu instid0(SALU_CYCLE_3) | instskip(NEXT) | instid1(SALU_CYCLE_1)
	s_mul_u64 s[28:29], s[22:23], s[20:21]
	s_mul_hi_u32 s31, s20, s29
	s_mul_i32 s30, s20, s29
	s_mul_hi_u32 s26, s20, s28
	s_mul_i32 s11, s21, s28
	s_add_nc_u64 s[30:31], s[26:27], s[30:31]
	s_mul_hi_u32 s0, s21, s28
	s_mul_hi_u32 s19, s21, s29
	s_add_co_u32 s11, s30, s11
	s_add_co_ci_u32 s26, s31, s0
	s_mul_i32 s28, s21, s29
	s_add_co_ci_u32 s29, s19, 0
	s_delay_alu instid0(SALU_CYCLE_1) | instskip(NEXT) | instid1(SALU_CYCLE_1)
	s_add_nc_u64 s[28:29], s[26:27], s[28:29]
	s_add_co_u32 s20, s20, s28
	s_cselect_b32 s0, -1, 0
	s_delay_alu instid0(SALU_CYCLE_1) | instskip(SKIP_1) | instid1(SALU_CYCLE_1)
	s_cmp_lg_u32 s0, 0
	s_add_co_ci_u32 s21, s21, s29
	s_mul_u64 s[22:23], s[22:23], s[20:21]
	s_delay_alu instid0(SALU_CYCLE_1)
	s_mul_hi_u32 s29, s20, s23
	s_mul_i32 s28, s20, s23
	s_mul_hi_u32 s26, s20, s22
	s_mul_i32 s11, s21, s22
	s_add_nc_u64 s[28:29], s[26:27], s[28:29]
	s_mul_hi_u32 s0, s21, s22
	s_mul_hi_u32 s19, s21, s23
	s_add_co_u32 s11, s28, s11
	s_add_co_ci_u32 s26, s29, s0
	s_mul_i32 s22, s21, s23
	s_add_co_ci_u32 s23, s19, 0
	s_delay_alu instid0(SALU_CYCLE_1) | instskip(NEXT) | instid1(SALU_CYCLE_1)
	s_add_nc_u64 s[22:23], s[26:27], s[22:23]
	s_add_co_u32 s0, s20, s22
	s_cselect_b32 s11, -1, 0
	v_mul_hi_u32 v24, v14, s0
	s_cmp_lg_u32 s11, 0
	s_add_co_ci_u32 s26, s21, s23
	s_and_b64 s[20:21], s[0:1], s[4:5]
	v_mul_u64_e32 v[16:17], s[26:27], v[14:15]
	v_mul_u64_e32 v[12:13], s[20:21], v[18:19]
	;; [unrolled: 1-line block ×3, first 2 shown]
	s_delay_alu instid0(VALU_DEP_3) | instskip(NEXT) | instid1(VALU_DEP_1)
	v_add_nc_u64_e32 v[16:17], v[24:25], v[16:17]
	v_add_co_u32 v1, vcc_lo, v16, v12
	s_delay_alu instid0(VALU_DEP_2) | instskip(NEXT) | instid1(VALU_DEP_4)
	v_add_co_ci_u32_e32 v24, vcc_lo, v17, v13, vcc_lo
	v_add_co_ci_u32_e32 v21, vcc_lo, 0, v21, vcc_lo
	s_delay_alu instid0(VALU_DEP_1) | instskip(NEXT) | instid1(VALU_DEP_1)
	v_add_nc_u64_e32 v[12:13], v[24:25], v[20:21]
	v_mul_u64_e32 v[16:17], s[16:17], v[12:13]
	s_delay_alu instid0(VALU_DEP_1) | instskip(NEXT) | instid1(VALU_DEP_2)
	v_sub_nc_u32_e32 v1, v18, v17
	v_sub_co_u32 v3, vcc_lo, v14, v16
	s_delay_alu instid0(VALU_DEP_1) | instskip(NEXT) | instid1(VALU_DEP_3)
	v_sub_co_ci_u32_e64 v11, null, v18, v17, vcc_lo
	v_subrev_co_ci_u32_e64 v1, null, s17, v1, vcc_lo
	s_delay_alu instid0(VALU_DEP_3) | instskip(SKIP_1) | instid1(VALU_DEP_3)
	v_sub_co_u32 v7, s0, v3, s16
	v_add_nc_u64_e32 v[16:17], 1, v[12:13]
	v_subrev_co_ci_u32_e64 v1, null, 0, v1, s0
	s_delay_alu instid0(VALU_DEP_3) | instskip(SKIP_1) | instid1(VALU_DEP_3)
	v_cmp_le_u32_e32 vcc_lo, s16, v7
	v_cndmask_b32_e64 v7, 0, -1, vcc_lo
	v_cmp_le_u32_e32 vcc_lo, s17, v1
	v_cndmask_b32_e64 v14, 0, -1, vcc_lo
	;; [unrolled: 2-line block ×4, first 2 shown]
	v_cmp_eq_u32_e32 vcc_lo, s17, v1
	v_cndmask_b32_e32 v1, v14, v7, vcc_lo
	v_cmp_eq_u32_e32 vcc_lo, s17, v11
	v_add_nc_u64_e32 v[14:15], 2, v[12:13]
	v_cndmask_b32_e32 v3, v18, v3, vcc_lo
	s_delay_alu instid0(VALU_DEP_4) | instskip(NEXT) | instid1(VALU_DEP_2)
	v_cmp_ne_u32_e32 vcc_lo, 0, v1
	v_cmp_ne_u32_e64 s0, 0, v3
	s_delay_alu instid0(VALU_DEP_4) | instskip(NEXT) | instid1(VALU_DEP_1)
	v_dual_cndmask_b32 v1, v17, v15, vcc_lo :: v_dual_cndmask_b32 v3, v16, v14, vcc_lo
	v_dual_cndmask_b32 v1, v13, v1, s0 :: v_dual_bitop2_b32 v10, s10, v10 bitop3:0x14
	s_delay_alu instid0(VALU_DEP_1) | instskip(NEXT) | instid1(VALU_DEP_2)
	v_dual_cndmask_b32 v3, v12, v3, s0 :: v_dual_mov_b32 v11, v10
	v_xor_b32_e32 v13, v1, v10
	s_delay_alu instid0(VALU_DEP_2) | instskip(NEXT) | instid1(VALU_DEP_1)
	v_xor_b32_e32 v12, v3, v10
	v_sub_nc_u64_e32 v[10:11], v[12:13], v[10:11]
.LBB86_2708:                            ;   in Loop: Header=BB86_2706 Depth=1
	s_and_not1_saveexec_b32 s0, s18
	s_cbranch_execz .LBB86_2705
; %bb.2709:                             ;   in Loop: Header=BB86_2706 Depth=1
	v_cvt_f32_u32_e32 v1, s8
	s_sub_co_i32 s10, 0, s8
	v_mov_b32_e32 v11, v6
	s_delay_alu instid0(VALU_DEP_2) | instskip(SKIP_1) | instid1(TRANS32_DEP_1)
	v_rcp_iflag_f32_e32 v1, v1
	v_nop
	v_mul_f32_e32 v1, 0x4f7ffffe, v1
	s_delay_alu instid0(VALU_DEP_1) | instskip(NEXT) | instid1(VALU_DEP_1)
	v_cvt_u32_f32_e32 v1, v1
	v_mul_lo_u32 v3, s10, v1
	s_delay_alu instid0(VALU_DEP_1) | instskip(NEXT) | instid1(VALU_DEP_1)
	v_mul_hi_u32 v3, v1, v3
	v_add_nc_u32_e32 v1, v1, v3
	s_delay_alu instid0(VALU_DEP_1) | instskip(NEXT) | instid1(VALU_DEP_1)
	v_mul_hi_u32 v1, v8, v1
	v_mul_lo_u32 v3, v1, s8
	s_delay_alu instid0(VALU_DEP_1) | instskip(NEXT) | instid1(VALU_DEP_1)
	v_sub_nc_u32_e32 v3, v8, v3
	v_subrev_nc_u32_e32 v10, s8, v3
	v_cmp_le_u32_e32 vcc_lo, s8, v3
	s_delay_alu instid0(VALU_DEP_2) | instskip(NEXT) | instid1(VALU_DEP_1)
	v_dual_add_nc_u32 v7, 1, v1 :: v_dual_cndmask_b32 v3, v3, v10, vcc_lo
	v_cndmask_b32_e32 v1, v1, v7, vcc_lo
	s_delay_alu instid0(VALU_DEP_2) | instskip(NEXT) | instid1(VALU_DEP_2)
	v_cmp_le_u32_e32 vcc_lo, s8, v3
	v_add_nc_u32_e32 v7, 1, v1
	s_delay_alu instid0(VALU_DEP_1)
	v_cndmask_b32_e32 v10, v1, v7, vcc_lo
	s_branch .LBB86_2705
.LBB86_2710:
	s_or_b32 exec_lo, exec_lo, s4
	s_and_saveexec_b32 s4, s54
	s_cbranch_execnz .LBB86_2763
.LBB86_2711:
	s_or_b32 exec_lo, exec_lo, s4
	s_and_saveexec_b32 s4, s7
	s_delay_alu instid0(SALU_CYCLE_1)
	s_xor_b32 s4, exec_lo, s4
	s_cbranch_execz .LBB86_2764
.LBB86_2712:
	s_wait_loadcnt 0x0
	v_mov_b32_e32 v2, 0
	global_store_b8 v[0:1], v2, off
	s_wait_xcnt 0x0
	s_or_b32 exec_lo, exec_lo, s4
	s_and_saveexec_b32 s4, s6
	s_delay_alu instid0(SALU_CYCLE_1)
	s_xor_b32 s4, exec_lo, s4
	s_cbranch_execz .LBB86_2802
	s_branch .LBB86_2765
.LBB86_2713:
	s_mov_b32 s4, s57
	s_mov_b32 s0, exec_lo
	s_wait_loadcnt 0x0
	v_cmpx_gt_i32_e64 v2, v0
	s_cbranch_execz .LBB86_2720
; %bb.2714:
	s_delay_alu instid0(VALU_DEP_2) | instskip(SKIP_3) | instid1(VALU_DEP_1)
	v_lshlrev_b64_e32 v[4:5], 2, v[4:5]
	v_dual_ashrrev_i32 v1, 31, v0 :: v_dual_ashrrev_i32 v3, 31, v2
	s_mov_b32 s4, 0
	s_xor_b32 s6, s35, -1
                                        ; implicit-def: $sgpr5
                                        ; implicit-def: $sgpr8
                                        ; implicit-def: $sgpr7
	v_lshl_add_u64 v[0:1], v[0:1], 2, v[4:5]
	v_add_nc_u64_e32 v[4:5], s[12:13], v[4:5]
	s_delay_alu instid0(VALU_DEP_2) | instskip(NEXT) | instid1(VALU_DEP_2)
	v_add_nc_u64_e32 v[0:1], s[12:13], v[0:1]
	v_lshl_add_u64 v[2:3], v[2:3], 2, v[4:5]
	s_delay_alu instid0(VALU_DEP_2)
	v_add_nc_u64_e32 v[0:1], 4, v[0:1]
	s_branch .LBB86_2716
.LBB86_2715:                            ;   in Loop: Header=BB86_2716 Depth=1
	s_or_b32 exec_lo, exec_lo, s9
	s_xor_b32 s9, s7, -1
	s_and_b32 s10, exec_lo, s8
	s_delay_alu instid0(SALU_CYCLE_1) | instskip(SKIP_2) | instid1(SALU_CYCLE_1)
	s_or_b32 s4, s10, s4
	s_and_not1_b32 s5, s5, exec_lo
	s_and_b32 s9, s9, exec_lo
	s_or_b32 s5, s5, s9
	s_and_not1_b32 exec_lo, exec_lo, s4
	s_cbranch_execz .LBB86_2719
.LBB86_2716:                            ; =>This Inner Loop Header: Depth=1
	s_or_b32 s7, s7, exec_lo
	s_or_b32 s8, s8, exec_lo
	s_mov_b32 s9, exec_lo
	s_delay_alu instid0(VALU_DEP_1)
	v_cmpx_lt_u64_e64 v[0:1], v[2:3]
	s_cbranch_execz .LBB86_2715
; %bb.2717:                             ;   in Loop: Header=BB86_2716 Depth=1
	global_load_b64 v[4:5], v[0:1], off offset:-4
	s_wait_xcnt 0x0
	v_add_nc_u64_e32 v[0:1], 4, v[0:1]
	s_and_not1_b32 s8, s8, exec_lo
	s_and_not1_b32 s7, s7, exec_lo
	s_wait_loadcnt 0x0
	v_cmp_ge_i32_e32 vcc_lo, v4, v5
	s_or_b32 s10, s6, vcc_lo
	s_delay_alu instid0(SALU_CYCLE_1) | instskip(NEXT) | instid1(SALU_CYCLE_1)
	s_and_b32 s10, s10, exec_lo
	s_or_b32 s8, s8, s10
	s_branch .LBB86_2715
.LBB86_2718:
	s_mov_b32 s8, 0
	s_mov_b32 s7, -1
	s_mov_b32 s5, s54
	s_branch .LBB86_2762
.LBB86_2719:
	s_or_b32 exec_lo, exec_lo, s4
	s_delay_alu instid0(SALU_CYCLE_1) | instskip(SKIP_1) | instid1(SALU_CYCLE_1)
	s_and_not1_b32 s4, s57, exec_lo
	s_and_b32 s5, s5, exec_lo
	s_or_b32 s4, s4, s5
.LBB86_2720:
	s_or_b32 exec_lo, exec_lo, s0
	s_delay_alu instid0(SALU_CYCLE_1)
	s_and_not1_b32 s0, s57, exec_lo
	s_and_b32 s4, s4, exec_lo
	s_mov_b32 s5, exec_lo
	s_or_b32 s57, s0, s4
	s_or_b32 exec_lo, exec_lo, s15
	s_and_saveexec_b32 s0, s57
	s_cbranch_execz .LBB86_2693
.LBB86_2721:
	s_or_b32 s1, s1, exec_lo
	s_and_not1_b32 s5, s5, exec_lo
	s_trap 2
	s_branch .LBB86_2693
.LBB86_2722:
	s_or_b32 s1, s1, exec_lo
	s_and_not1_b32 s0, s0, exec_lo
	s_trap 2
	s_branch .LBB86_2686
.LBB86_2723:
	s_or_b32 s1, s1, exec_lo
	s_and_not1_b32 s5, s5, exec_lo
	s_trap 2
	s_branch .LBB86_2689
.LBB86_2724:
	s_mov_b32 s7, 0
.LBB86_2725:
	s_delay_alu instid0(SALU_CYCLE_1)
	s_and_b32 vcc_lo, exec_lo, s7
	s_cbranch_vccz .LBB86_2728
; %bb.2726:
	s_cmp_eq_u32 s6, 44
	s_mov_b32 s5, -1
	s_cbranch_scc0 .LBB86_2728
; %bb.2727:
	s_wait_xcnt 0x0
	v_mov_b32_e32 v2, 0
	s_mov_b32 s5, 0
	s_mov_b32 s7, 0
	global_store_b8 v[0:1], v2, off
	s_branch .LBB86_2729
.LBB86_2728:
	s_mov_b32 s7, 0
.LBB86_2729:
	s_delay_alu instid0(SALU_CYCLE_1)
	s_and_b32 vcc_lo, exec_lo, s7
	s_cbranch_vccz .LBB86_2732
; %bb.2730:
	s_cmp_eq_u32 s6, 29
	s_mov_b32 s5, -1
	s_cbranch_scc0 .LBB86_2732
; %bb.2731:
	s_wait_xcnt 0x0
	v_mov_b64_e32 v[2:3], 0
	s_mov_b32 s5, 0
	s_mov_b32 s7, 0
	global_store_b64 v[0:1], v[2:3], off
	s_branch .LBB86_2733
.LBB86_2732:
	s_mov_b32 s7, 0
.LBB86_2733:
	s_delay_alu instid0(SALU_CYCLE_1)
	s_and_b32 vcc_lo, exec_lo, s7
	s_cbranch_vccz .LBB86_2742
; %bb.2734:
	s_cmp_lt_i32 s6, 27
	s_mov_b32 s7, -1
	s_cbranch_scc1 .LBB86_2740
; %bb.2735:
	s_cmp_gt_i32 s6, 27
	s_cbranch_scc0 .LBB86_2737
; %bb.2736:
	s_wait_xcnt 0x0
	v_mov_b32_e32 v2, 0
	s_mov_b32 s7, 0
	global_store_b32 v[0:1], v2, off
.LBB86_2737:
	s_and_not1_b32 vcc_lo, exec_lo, s7
	s_cbranch_vccnz .LBB86_2739
; %bb.2738:
	s_wait_xcnt 0x0
	v_mov_b32_e32 v2, 0
	global_store_b16 v[0:1], v2, off
.LBB86_2739:
	s_mov_b32 s7, 0
.LBB86_2740:
	s_delay_alu instid0(SALU_CYCLE_1)
	s_and_not1_b32 vcc_lo, exec_lo, s7
	s_cbranch_vccnz .LBB86_2742
; %bb.2741:
	s_wait_xcnt 0x0
	v_mov_b32_e32 v2, 0
	global_store_b8 v[0:1], v2, off
.LBB86_2742:
	s_mov_b32 s7, 0
.LBB86_2743:
	s_delay_alu instid0(SALU_CYCLE_1)
	s_and_b32 vcc_lo, exec_lo, s7
	s_mov_b32 s7, 0
	s_cbranch_vccz .LBB86_2761
; %bb.2744:
	s_cmp_gt_i32 s6, 22
	s_mov_b32 s8, -1
	s_cbranch_scc0 .LBB86_2754
; %bb.2745:
	s_cmp_lt_i32 s6, 24
	s_cbranch_scc1 .LBB86_2751
; %bb.2746:
	s_cmp_gt_i32 s6, 24
	s_cbranch_scc0 .LBB86_2748
; %bb.2747:
	s_wait_xcnt 0x0
	v_mov_b32_e32 v2, 0
	s_mov_b32 s8, 0
	global_store_b8 v[0:1], v2, off
.LBB86_2748:
	s_and_not1_b32 vcc_lo, exec_lo, s8
	s_cbranch_vccnz .LBB86_2750
; %bb.2749:
	s_wait_xcnt 0x0
	v_mov_b32_e32 v2, 0
	global_store_b8 v[0:1], v2, off
.LBB86_2750:
	s_mov_b32 s8, 0
.LBB86_2751:
	s_delay_alu instid0(SALU_CYCLE_1)
	s_and_not1_b32 vcc_lo, exec_lo, s8
	s_cbranch_vccnz .LBB86_2753
; %bb.2752:
	s_wait_xcnt 0x0
	v_mov_b32_e32 v2, 0
	global_store_b8 v[0:1], v2, off
.LBB86_2753:
	s_mov_b32 s8, 0
.LBB86_2754:
	s_delay_alu instid0(SALU_CYCLE_1)
	s_and_not1_b32 vcc_lo, exec_lo, s8
	s_mov_b32 s8, 0
	s_cbranch_vccnz .LBB86_2762
; %bb.2755:
	s_cmp_gt_i32 s6, 14
	s_mov_b32 s8, -1
	s_cbranch_scc0 .LBB86_2759
; %bb.2756:
	s_cmp_eq_u32 s6, 15
	s_mov_b32 s5, -1
	s_cbranch_scc0 .LBB86_2758
; %bb.2757:
	s_wait_xcnt 0x0
	v_mov_b32_e32 v2, 0
	s_mov_b32 s5, 0
	global_store_b16 v[0:1], v2, off
.LBB86_2758:
	s_mov_b32 s8, 0
.LBB86_2759:
	s_delay_alu instid0(SALU_CYCLE_1)
	s_and_b32 vcc_lo, exec_lo, s8
	s_mov_b32 s8, 0
	s_cbranch_vccz .LBB86_2762
; %bb.2760:
	s_cmp_lg_u32 s6, 11
	s_mov_b32 s8, -1
	s_cselect_b32 s6, -1, 0
	s_and_not1_b32 s5, s5, exec_lo
	s_and_b32 s6, s6, exec_lo
	s_delay_alu instid0(SALU_CYCLE_1)
	s_or_b32 s5, s5, s6
	s_branch .LBB86_2762
.LBB86_2761:
	s_mov_b32 s8, 0
.LBB86_2762:
	s_and_not1_b32 s9, s54, exec_lo
	s_and_b32 s5, s5, exec_lo
	s_and_b32 s6, s7, exec_lo
	;; [unrolled: 1-line block ×3, first 2 shown]
	s_or_b32 s54, s9, s5
	s_wait_xcnt 0x0
	s_or_b32 exec_lo, exec_lo, s4
	s_and_saveexec_b32 s4, s54
	s_cbranch_execz .LBB86_2711
.LBB86_2763:
	s_or_b32 s1, s1, exec_lo
	s_and_not1_b32 s7, s7, exec_lo
	s_trap 2
	s_or_b32 exec_lo, exec_lo, s4
	s_and_saveexec_b32 s4, s7
	s_delay_alu instid0(SALU_CYCLE_1)
	s_xor_b32 s4, exec_lo, s4
	s_cbranch_execnz .LBB86_2712
.LBB86_2764:
	s_or_b32 exec_lo, exec_lo, s4
	s_and_saveexec_b32 s4, s6
	s_delay_alu instid0(SALU_CYCLE_1)
	s_xor_b32 s4, exec_lo, s4
	s_cbranch_execz .LBB86_2802
.LBB86_2765:
	s_sext_i32_i16 s6, s0
	s_mov_b32 s5, -1
	s_cmp_lt_i32 s6, 5
	s_cbranch_scc1 .LBB86_2786
; %bb.2766:
	s_cmp_lt_i32 s6, 8
	s_cbranch_scc1 .LBB86_2776
; %bb.2767:
	;; [unrolled: 3-line block ×3, first 2 shown]
	s_cmp_gt_i32 s6, 9
	s_cbranch_scc0 .LBB86_2770
; %bb.2769:
	s_wait_loadcnt 0x0
	v_mov_b32_e32 v2, 0
	s_mov_b32 s5, 0
	s_delay_alu instid0(VALU_DEP_1)
	v_dual_mov_b32 v3, v2 :: v_dual_mov_b32 v4, v2
	v_mov_b32_e32 v5, v2
	global_store_b128 v[0:1], v[2:5], off
.LBB86_2770:
	s_and_not1_b32 vcc_lo, exec_lo, s5
	s_cbranch_vccnz .LBB86_2772
; %bb.2771:
	s_wait_loadcnt 0x0
	v_mov_b64_e32 v[2:3], 0
	global_store_b64 v[0:1], v[2:3], off
.LBB86_2772:
	s_mov_b32 s5, 0
.LBB86_2773:
	s_delay_alu instid0(SALU_CYCLE_1)
	s_and_not1_b32 vcc_lo, exec_lo, s5
	s_cbranch_vccnz .LBB86_2775
; %bb.2774:
	s_wait_loadcnt 0x0
	v_mov_b32_e32 v2, 0
	global_store_b32 v[0:1], v2, off
.LBB86_2775:
	s_mov_b32 s5, 0
.LBB86_2776:
	s_delay_alu instid0(SALU_CYCLE_1)
	s_and_not1_b32 vcc_lo, exec_lo, s5
	s_cbranch_vccnz .LBB86_2785
; %bb.2777:
	s_sext_i32_i16 s6, s0
	s_mov_b32 s5, -1
	s_cmp_lt_i32 s6, 6
	s_cbranch_scc1 .LBB86_2783
; %bb.2778:
	s_cmp_gt_i32 s6, 6
	s_cbranch_scc0 .LBB86_2780
; %bb.2779:
	s_wait_loadcnt 0x0
	v_mov_b64_e32 v[2:3], 0
	s_mov_b32 s5, 0
	global_store_b64 v[0:1], v[2:3], off
.LBB86_2780:
	s_and_not1_b32 vcc_lo, exec_lo, s5
	s_cbranch_vccnz .LBB86_2782
; %bb.2781:
	s_wait_loadcnt 0x0
	v_mov_b32_e32 v2, 0
	global_store_b32 v[0:1], v2, off
.LBB86_2782:
	s_mov_b32 s5, 0
.LBB86_2783:
	s_delay_alu instid0(SALU_CYCLE_1)
	s_and_not1_b32 vcc_lo, exec_lo, s5
	s_cbranch_vccnz .LBB86_2785
; %bb.2784:
	s_wait_loadcnt 0x0
	v_mov_b32_e32 v2, 0
	global_store_b16 v[0:1], v2, off
.LBB86_2785:
	s_mov_b32 s5, 0
.LBB86_2786:
	s_delay_alu instid0(SALU_CYCLE_1)
	s_and_not1_b32 vcc_lo, exec_lo, s5
	s_cbranch_vccnz .LBB86_2802
; %bb.2787:
	s_sext_i32_i16 s6, s0
	s_mov_b32 s5, -1
	s_cmp_lt_i32 s6, 2
	s_cbranch_scc1 .LBB86_2797
; %bb.2788:
	s_cmp_lt_i32 s6, 3
	s_cbranch_scc1 .LBB86_2794
; %bb.2789:
	s_cmp_gt_i32 s6, 3
	s_cbranch_scc0 .LBB86_2791
; %bb.2790:
	s_wait_loadcnt 0x0
	v_mov_b64_e32 v[2:3], 0
	s_mov_b32 s5, 0
	global_store_b64 v[0:1], v[2:3], off
.LBB86_2791:
	s_and_not1_b32 vcc_lo, exec_lo, s5
	s_cbranch_vccnz .LBB86_2793
; %bb.2792:
	s_wait_loadcnt 0x0
	v_mov_b32_e32 v2, 0
	global_store_b32 v[0:1], v2, off
.LBB86_2793:
	s_mov_b32 s5, 0
.LBB86_2794:
	s_delay_alu instid0(SALU_CYCLE_1)
	s_and_not1_b32 vcc_lo, exec_lo, s5
	s_cbranch_vccnz .LBB86_2796
; %bb.2795:
	s_wait_loadcnt 0x0
	v_mov_b32_e32 v2, 0
	global_store_b16 v[0:1], v2, off
.LBB86_2796:
	s_mov_b32 s5, 0
.LBB86_2797:
	s_delay_alu instid0(SALU_CYCLE_1)
	s_and_not1_b32 vcc_lo, exec_lo, s5
	s_cbranch_vccnz .LBB86_2802
; %bb.2798:
	s_sext_i32_i16 s0, s0
	s_delay_alu instid0(SALU_CYCLE_1)
	s_cmp_gt_i32 s0, 0
	s_mov_b32 s0, -1
	s_cbranch_scc0 .LBB86_2800
; %bb.2799:
	s_wait_loadcnt 0x0
	v_mov_b32_e32 v2, 0
	s_mov_b32 s0, 0
	global_store_b8 v[0:1], v2, off
.LBB86_2800:
	s_and_not1_b32 vcc_lo, exec_lo, s0
	s_cbranch_vccnz .LBB86_2802
; %bb.2801:
	s_wait_loadcnt 0x0
	v_mov_b32_e32 v2, 0
	global_store_b8 v[0:1], v2, off
.LBB86_2802:
	s_wait_xcnt 0x0
	s_or_b32 exec_lo, exec_lo, s4
	s_delay_alu instid0(SALU_CYCLE_1)
	s_and_b32 s36, s1, exec_lo
                                        ; implicit-def: $vgpr22
.LBB86_2803:
	s_or_saveexec_b32 s37, s47
	s_mov_b32 s4, 0
                                        ; implicit-def: $vgpr14_vgpr15
                                        ; implicit-def: $sgpr0
	s_xor_b32 exec_lo, exec_lo, s37
	s_cbranch_execz .LBB86_3436
; %bb.2804:
	s_wait_loadcnt 0x0
	v_mov_b32_e32 v0, 0
	s_clause 0x1
	s_load_b32 s55, s[24:25], 0x34
	s_load_b64 s[8:9], s[24:25], 0x8
	global_load_u8 v2, v0, s[24:25] offset:241
	s_wait_kmcnt 0x0
	v_mul_lo_u32 v0, s55, v22
	s_delay_alu instid0(VALU_DEP_1) | instskip(NEXT) | instid1(VALU_DEP_1)
	v_ashrrev_i32_e32 v1, 31, v0
	v_add_nc_u64_e32 v[0:1], s[8:9], v[0:1]
	s_wait_loadcnt 0x0
	v_and_b32_e32 v3, 0xffff, v2
	v_readfirstlane_b32 s34, v2
	s_delay_alu instid0(VALU_DEP_2)
	v_cmp_gt_i32_e32 vcc_lo, 11, v3
	s_cbranch_vccnz .LBB86_2811
; %bb.2805:
	s_and_b32 s0, 0xffff, s34
	s_delay_alu instid0(SALU_CYCLE_1)
	s_cmp_gt_i32 s0, 25
	s_cbranch_scc0 .LBB86_2813
; %bb.2806:
	s_cmp_gt_i32 s0, 28
	s_cbranch_scc0 .LBB86_2814
; %bb.2807:
	;; [unrolled: 3-line block ×4, first 2 shown]
	s_cmp_eq_u32 s0, 46
	s_mov_b32 s6, 0
	s_cbranch_scc0 .LBB86_2817
; %bb.2810:
	global_load_b32 v2, v[0:1], off
	s_mov_b32 s1, 0
	s_mov_b32 s5, -1
	s_wait_loadcnt 0x0
	v_lshlrev_b32_e32 v2, 16, v2
	s_delay_alu instid0(VALU_DEP_1)
	v_cvt_i32_f32_e32 v23, v2
	s_branch .LBB86_2819
.LBB86_2811:
	s_mov_b32 s5, 0
	s_mov_b32 s38, s36
                                        ; implicit-def: $vgpr23
	s_cbranch_execnz .LBB86_2877
.LBB86_2812:
	s_and_not1_b32 vcc_lo, exec_lo, s5
	s_cbranch_vccz .LBB86_2922
	s_branch .LBB86_3434
.LBB86_2813:
	s_mov_b32 s5, 0
	s_mov_b32 s1, 0
                                        ; implicit-def: $vgpr23
	s_cbranch_execnz .LBB86_2844
	s_branch .LBB86_2873
.LBB86_2814:
	s_mov_b32 s5, 0
	s_mov_b32 s1, 0
                                        ; implicit-def: $vgpr23
	s_cbranch_execz .LBB86_2843
	s_branch .LBB86_2828
.LBB86_2815:
	s_mov_b32 s5, 0
	s_mov_b32 s1, 0
                                        ; implicit-def: $vgpr23
	s_cbranch_execnz .LBB86_2824
	s_branch .LBB86_2827
.LBB86_2816:
	s_mov_b32 s6, -1
	s_mov_b32 s5, 0
	s_mov_b32 s1, 0
	s_branch .LBB86_2818
.LBB86_2817:
	s_mov_b32 s1, -1
	s_mov_b32 s5, 0
.LBB86_2818:
                                        ; implicit-def: $vgpr23
.LBB86_2819:
	s_and_b32 vcc_lo, exec_lo, s6
	s_cbranch_vccz .LBB86_2822
; %bb.2820:
	s_cmp_eq_u32 s0, 44
	s_cbranch_scc0 .LBB86_2823
; %bb.2821:
	global_load_u8 v2, v[0:1], off
	s_mov_b32 s1, 0
	s_mov_b32 s5, -1
	s_wait_loadcnt 0x0
	v_lshlrev_b32_e32 v3, 23, v2
	v_cmp_ne_u32_e32 vcc_lo, 0, v2
	s_delay_alu instid0(VALU_DEP_2) | instskip(NEXT) | instid1(VALU_DEP_1)
	v_cvt_i32_f32_e32 v3, v3
	v_cndmask_b32_e32 v23, 0, v3, vcc_lo
.LBB86_2822:
	s_branch .LBB86_2827
.LBB86_2823:
	s_mov_b32 s1, -1
                                        ; implicit-def: $vgpr23
	s_branch .LBB86_2827
.LBB86_2824:
	s_cmp_eq_u32 s0, 29
	s_cbranch_scc0 .LBB86_2826
; %bb.2825:
	global_load_b32 v23, v[0:1], off
	s_mov_b32 s1, 0
	s_mov_b32 s5, -1
	s_branch .LBB86_2827
.LBB86_2826:
	s_mov_b32 s1, -1
                                        ; implicit-def: $vgpr23
.LBB86_2827:
	s_branch .LBB86_2843
.LBB86_2828:
	s_cmp_lt_i32 s0, 27
	s_cbranch_scc1 .LBB86_2831
; %bb.2829:
	s_cmp_gt_i32 s0, 27
	s_cbranch_scc0 .LBB86_2832
; %bb.2830:
	s_wait_loadcnt 0x0
	global_load_b32 v23, v[0:1], off
	s_mov_b32 s5, 0
	s_branch .LBB86_2833
.LBB86_2831:
	s_mov_b32 s5, -1
                                        ; implicit-def: $vgpr23
	s_branch .LBB86_2836
.LBB86_2832:
	s_mov_b32 s5, -1
                                        ; implicit-def: $vgpr23
.LBB86_2833:
	s_delay_alu instid0(SALU_CYCLE_1)
	s_and_not1_b32 vcc_lo, exec_lo, s5
	s_cbranch_vccnz .LBB86_2835
; %bb.2834:
	s_wait_loadcnt 0x0
	global_load_u16 v23, v[0:1], off
.LBB86_2835:
	s_mov_b32 s5, 0
.LBB86_2836:
	s_delay_alu instid0(SALU_CYCLE_1)
	s_and_not1_b32 vcc_lo, exec_lo, s5
	s_cbranch_vccnz .LBB86_2842
; %bb.2837:
	global_load_u8 v2, v[0:1], off
	s_mov_b32 s6, 0
	s_mov_b32 s5, exec_lo
	s_wait_loadcnt 0x0
	v_cmpx_lt_i16_e32 0x7f, v2
	s_xor_b32 s5, exec_lo, s5
	s_cbranch_execz .LBB86_2853
; %bb.2838:
	v_cmp_ne_u16_e32 vcc_lo, 0x80, v2
	s_and_b32 s6, vcc_lo, exec_lo
	s_and_not1_saveexec_b32 s5, s5
	s_cbranch_execnz .LBB86_2854
.LBB86_2839:
	s_or_b32 exec_lo, exec_lo, s5
	v_mov_b32_e32 v23, 0
	s_and_saveexec_b32 s5, s6
	s_cbranch_execz .LBB86_2841
.LBB86_2840:
	v_and_b32_e32 v3, 0xffff, v2
	s_delay_alu instid0(VALU_DEP_1) | instskip(SKIP_1) | instid1(VALU_DEP_2)
	v_and_b32_e32 v4, 7, v3
	v_bfe_u32 v7, v3, 3, 4
	v_clz_i32_u32_e32 v5, v4
	s_delay_alu instid0(VALU_DEP_2) | instskip(NEXT) | instid1(VALU_DEP_2)
	v_cmp_eq_u32_e32 vcc_lo, 0, v7
	v_min_u32_e32 v5, 32, v5
	s_delay_alu instid0(VALU_DEP_1) | instskip(NEXT) | instid1(VALU_DEP_1)
	v_subrev_nc_u32_e32 v6, 28, v5
	v_dual_lshlrev_b32 v3, v6, v3 :: v_dual_sub_nc_u32 v5, 29, v5
	s_delay_alu instid0(VALU_DEP_1) | instskip(NEXT) | instid1(VALU_DEP_1)
	v_dual_lshlrev_b32 v2, 24, v2 :: v_dual_bitop2_b32 v3, 7, v3 bitop3:0x40
	v_dual_cndmask_b32 v5, v7, v5, vcc_lo :: v_dual_cndmask_b32 v3, v4, v3, vcc_lo
	s_delay_alu instid0(VALU_DEP_2) | instskip(NEXT) | instid1(VALU_DEP_2)
	v_and_b32_e32 v2, 0x80000000, v2
	v_lshl_add_u32 v4, v5, 23, 0x3b800000
	s_delay_alu instid0(VALU_DEP_3) | instskip(NEXT) | instid1(VALU_DEP_1)
	v_lshlrev_b32_e32 v3, 20, v3
	v_or3_b32 v2, v2, v4, v3
	s_delay_alu instid0(VALU_DEP_1)
	v_cvt_i32_f32_e32 v23, v2
.LBB86_2841:
	s_or_b32 exec_lo, exec_lo, s5
.LBB86_2842:
	s_mov_b32 s5, -1
.LBB86_2843:
	s_branch .LBB86_2873
.LBB86_2844:
	s_cmp_gt_i32 s0, 22
	s_cbranch_scc0 .LBB86_2852
; %bb.2845:
	s_cmp_lt_i32 s0, 24
	s_cbranch_scc1 .LBB86_2855
; %bb.2846:
	s_cmp_gt_i32 s0, 24
	s_cbranch_scc0 .LBB86_2856
; %bb.2847:
	global_load_u8 v2, v[0:1], off
	s_mov_b32 s5, 0
	s_mov_b32 s4, exec_lo
	s_wait_loadcnt 0x0
	v_cmpx_lt_i16_e32 0x7f, v2
	s_xor_b32 s4, exec_lo, s4
	s_cbranch_execz .LBB86_2867
; %bb.2848:
	v_cmp_ne_u16_e32 vcc_lo, 0x80, v2
	s_and_b32 s5, vcc_lo, exec_lo
	s_and_not1_saveexec_b32 s4, s4
	s_cbranch_execnz .LBB86_2868
.LBB86_2849:
	s_or_b32 exec_lo, exec_lo, s4
	v_mov_b32_e32 v23, 0
	s_and_saveexec_b32 s4, s5
	s_cbranch_execz .LBB86_2851
.LBB86_2850:
	v_and_b32_e32 v3, 0xffff, v2
	s_delay_alu instid0(VALU_DEP_1) | instskip(SKIP_1) | instid1(VALU_DEP_2)
	v_and_b32_e32 v4, 3, v3
	v_bfe_u32 v7, v3, 2, 5
	v_clz_i32_u32_e32 v5, v4
	s_delay_alu instid0(VALU_DEP_2) | instskip(NEXT) | instid1(VALU_DEP_2)
	v_cmp_eq_u32_e32 vcc_lo, 0, v7
	v_min_u32_e32 v5, 32, v5
	s_delay_alu instid0(VALU_DEP_1) | instskip(NEXT) | instid1(VALU_DEP_1)
	v_subrev_nc_u32_e32 v6, 29, v5
	v_dual_lshlrev_b32 v3, v6, v3 :: v_dual_sub_nc_u32 v5, 30, v5
	s_delay_alu instid0(VALU_DEP_1) | instskip(NEXT) | instid1(VALU_DEP_1)
	v_dual_lshlrev_b32 v2, 24, v2 :: v_dual_bitop2_b32 v3, 3, v3 bitop3:0x40
	v_dual_cndmask_b32 v5, v7, v5, vcc_lo :: v_dual_cndmask_b32 v3, v4, v3, vcc_lo
	s_delay_alu instid0(VALU_DEP_2) | instskip(NEXT) | instid1(VALU_DEP_2)
	v_and_b32_e32 v2, 0x80000000, v2
	v_lshl_add_u32 v4, v5, 23, 0x37800000
	s_delay_alu instid0(VALU_DEP_3) | instskip(NEXT) | instid1(VALU_DEP_1)
	v_lshlrev_b32_e32 v3, 21, v3
	v_or3_b32 v2, v2, v4, v3
	s_delay_alu instid0(VALU_DEP_1)
	v_cvt_i32_f32_e32 v23, v2
.LBB86_2851:
	s_or_b32 exec_lo, exec_lo, s4
	s_mov_b32 s4, 0
	s_branch .LBB86_2857
.LBB86_2852:
                                        ; implicit-def: $vgpr23
	s_mov_b32 s4, 0
	s_branch .LBB86_2863
.LBB86_2853:
	s_and_not1_saveexec_b32 s5, s5
	s_cbranch_execz .LBB86_2839
.LBB86_2854:
	v_cmp_ne_u16_e32 vcc_lo, 0, v2
	s_and_not1_b32 s6, s6, exec_lo
	s_and_b32 s7, vcc_lo, exec_lo
	s_delay_alu instid0(SALU_CYCLE_1)
	s_or_b32 s6, s6, s7
	s_or_b32 exec_lo, exec_lo, s5
	v_mov_b32_e32 v23, 0
	s_and_saveexec_b32 s5, s6
	s_cbranch_execnz .LBB86_2840
	s_branch .LBB86_2841
.LBB86_2855:
	s_mov_b32 s4, -1
                                        ; implicit-def: $vgpr23
	s_branch .LBB86_2860
.LBB86_2856:
	s_mov_b32 s4, -1
                                        ; implicit-def: $vgpr23
.LBB86_2857:
	s_delay_alu instid0(SALU_CYCLE_1)
	s_and_b32 vcc_lo, exec_lo, s4
	s_cbranch_vccz .LBB86_2859
; %bb.2858:
	global_load_u8 v2, v[0:1], off
	s_wait_loadcnt 0x0
	v_lshlrev_b32_e32 v2, 24, v2
	s_delay_alu instid0(VALU_DEP_1) | instskip(NEXT) | instid1(VALU_DEP_1)
	v_and_b32_e32 v3, 0x7f000000, v2
	v_clz_i32_u32_e32 v4, v3
	v_cmp_ne_u32_e32 vcc_lo, 0, v3
	v_add_nc_u32_e32 v6, 0x1000000, v3
	s_delay_alu instid0(VALU_DEP_3) | instskip(NEXT) | instid1(VALU_DEP_1)
	v_min_u32_e32 v4, 32, v4
	v_sub_nc_u32_e64 v4, v4, 4 clamp
	s_delay_alu instid0(VALU_DEP_1) | instskip(NEXT) | instid1(VALU_DEP_1)
	v_dual_lshlrev_b32 v5, v4, v3 :: v_dual_lshlrev_b32 v4, 23, v4
	v_lshrrev_b32_e32 v5, 4, v5
	s_delay_alu instid0(VALU_DEP_1) | instskip(NEXT) | instid1(VALU_DEP_1)
	v_dual_sub_nc_u32 v4, v5, v4 :: v_dual_ashrrev_i32 v5, 8, v6
	v_add_nc_u32_e32 v4, 0x3c000000, v4
	s_delay_alu instid0(VALU_DEP_1) | instskip(NEXT) | instid1(VALU_DEP_1)
	v_and_or_b32 v4, 0x7f800000, v5, v4
	v_cndmask_b32_e32 v3, 0, v4, vcc_lo
	s_delay_alu instid0(VALU_DEP_1) | instskip(NEXT) | instid1(VALU_DEP_1)
	v_and_or_b32 v2, 0x80000000, v2, v3
	v_cvt_i32_f32_e32 v23, v2
.LBB86_2859:
	s_mov_b32 s4, 0
.LBB86_2860:
	s_delay_alu instid0(SALU_CYCLE_1)
	s_and_not1_b32 vcc_lo, exec_lo, s4
	s_cbranch_vccnz .LBB86_2862
; %bb.2861:
	global_load_u8 v2, v[0:1], off
	s_wait_loadcnt 0x0
	v_lshlrev_b32_e32 v3, 25, v2
	v_lshlrev_b16 v2, 8, v2
	s_delay_alu instid0(VALU_DEP_1) | instskip(SKIP_1) | instid1(VALU_DEP_2)
	v_and_or_b32 v5, 0x7f00, v2, 0.5
	v_bfe_i32 v2, v2, 0, 16
	v_dual_add_f32 v5, -0.5, v5 :: v_dual_lshrrev_b32 v4, 4, v3
	v_cmp_gt_u32_e32 vcc_lo, 0x8000000, v3
	s_delay_alu instid0(VALU_DEP_2) | instskip(NEXT) | instid1(VALU_DEP_1)
	v_or_b32_e32 v4, 0x70000000, v4
	v_mul_f32_e32 v4, 0x7800000, v4
	s_delay_alu instid0(VALU_DEP_1) | instskip(NEXT) | instid1(VALU_DEP_1)
	v_cndmask_b32_e32 v3, v4, v5, vcc_lo
	v_and_or_b32 v2, 0x80000000, v2, v3
	s_delay_alu instid0(VALU_DEP_1)
	v_cvt_i32_f32_e32 v23, v2
.LBB86_2862:
	s_mov_b32 s5, -1
	s_mov_b32 s4, 0
	s_cbranch_execnz .LBB86_2873
.LBB86_2863:
	s_cmp_gt_i32 s0, 14
	s_cbranch_scc0 .LBB86_2866
; %bb.2864:
	s_cmp_eq_u32 s0, 15
	s_cbranch_scc0 .LBB86_2869
; %bb.2865:
	global_load_u16 v2, v[0:1], off
	s_mov_b32 s1, 0
	s_mov_b32 s5, -1
	s_wait_loadcnt 0x0
	v_lshlrev_b32_e32 v2, 16, v2
	s_delay_alu instid0(VALU_DEP_1)
	v_cvt_i32_f32_e32 v23, v2
	s_branch .LBB86_2871
.LBB86_2866:
	s_mov_b32 s4, -1
	s_branch .LBB86_2870
.LBB86_2867:
	s_and_not1_saveexec_b32 s4, s4
	s_cbranch_execz .LBB86_2849
.LBB86_2868:
	v_cmp_ne_u16_e32 vcc_lo, 0, v2
	s_and_not1_b32 s5, s5, exec_lo
	s_and_b32 s6, vcc_lo, exec_lo
	s_delay_alu instid0(SALU_CYCLE_1)
	s_or_b32 s5, s5, s6
	s_or_b32 exec_lo, exec_lo, s4
	v_mov_b32_e32 v23, 0
	s_and_saveexec_b32 s4, s5
	s_cbranch_execnz .LBB86_2850
	s_branch .LBB86_2851
.LBB86_2869:
	s_mov_b32 s1, -1
.LBB86_2870:
                                        ; implicit-def: $vgpr23
.LBB86_2871:
	s_and_b32 vcc_lo, exec_lo, s4
	s_mov_b32 s4, 0
	s_cbranch_vccz .LBB86_2873
; %bb.2872:
	s_cmp_lg_u32 s0, 11
	s_mov_b32 s4, -1
	s_cselect_b32 s1, -1, 0
.LBB86_2873:
	s_delay_alu instid0(SALU_CYCLE_1)
	s_and_b32 vcc_lo, exec_lo, s1
	s_mov_b32 s38, s36
	s_cbranch_vccnz .LBB86_2934
; %bb.2874:
	s_and_not1_b32 vcc_lo, exec_lo, s4
	s_cbranch_vccnz .LBB86_2876
.LBB86_2875:
	global_load_u8 v2, v[0:1], off
	s_mov_b32 s5, -1
	s_wait_loadcnt 0x0
	v_cmp_ne_u16_e32 vcc_lo, 0, v2
	v_cndmask_b32_e64 v23, 0, 1, vcc_lo
.LBB86_2876:
	s_branch .LBB86_2812
.LBB86_2877:
	s_and_b32 s0, 0xffff, s34
	s_delay_alu instid0(SALU_CYCLE_1)
	s_cmp_lt_i32 s0, 5
	s_cbranch_scc1 .LBB86_2882
; %bb.2878:
	s_cmp_lt_i32 s0, 8
	s_cbranch_scc1 .LBB86_2883
; %bb.2879:
	;; [unrolled: 3-line block ×3, first 2 shown]
	s_cmp_gt_i32 s0, 9
	s_cbranch_scc0 .LBB86_2885
; %bb.2881:
	global_load_b64 v[2:3], v[0:1], off
	s_mov_b32 s1, 0
	s_wait_loadcnt 0x0
	v_cvt_i32_f64_e32 v23, v[2:3]
	s_branch .LBB86_2886
.LBB86_2882:
                                        ; implicit-def: $vgpr23
	s_branch .LBB86_2903
.LBB86_2883:
                                        ; implicit-def: $vgpr23
	s_branch .LBB86_2892
.LBB86_2884:
	s_mov_b32 s1, -1
                                        ; implicit-def: $vgpr23
	s_branch .LBB86_2889
.LBB86_2885:
	s_mov_b32 s1, -1
                                        ; implicit-def: $vgpr23
.LBB86_2886:
	s_delay_alu instid0(SALU_CYCLE_1)
	s_and_not1_b32 vcc_lo, exec_lo, s1
	s_cbranch_vccnz .LBB86_2888
; %bb.2887:
	global_load_b32 v2, v[0:1], off
	s_wait_loadcnt 0x0
	v_cvt_i32_f32_e32 v23, v2
.LBB86_2888:
	s_mov_b32 s1, 0
.LBB86_2889:
	s_delay_alu instid0(SALU_CYCLE_1)
	s_and_not1_b32 vcc_lo, exec_lo, s1
	s_cbranch_vccnz .LBB86_2891
; %bb.2890:
	global_load_b32 v2, v[0:1], off
	s_wait_loadcnt 0x0
	v_cvt_f32_f16_e32 v2, v2
	s_delay_alu instid0(VALU_DEP_1)
	v_cvt_i32_f32_e32 v23, v2
.LBB86_2891:
	s_cbranch_execnz .LBB86_2902
.LBB86_2892:
	s_cmp_lt_i32 s0, 6
	s_cbranch_scc1 .LBB86_2895
; %bb.2893:
	s_cmp_gt_i32 s0, 6
	s_cbranch_scc0 .LBB86_2896
; %bb.2894:
	global_load_b64 v[2:3], v[0:1], off
	s_mov_b32 s1, 0
	s_wait_loadcnt 0x0
	v_cvt_i32_f64_e32 v23, v[2:3]
	s_branch .LBB86_2897
.LBB86_2895:
	s_mov_b32 s1, -1
                                        ; implicit-def: $vgpr23
	s_branch .LBB86_2900
.LBB86_2896:
	s_mov_b32 s1, -1
                                        ; implicit-def: $vgpr23
.LBB86_2897:
	s_delay_alu instid0(SALU_CYCLE_1)
	s_and_not1_b32 vcc_lo, exec_lo, s1
	s_cbranch_vccnz .LBB86_2899
; %bb.2898:
	global_load_b32 v2, v[0:1], off
	s_wait_loadcnt 0x0
	v_cvt_i32_f32_e32 v23, v2
.LBB86_2899:
	s_mov_b32 s1, 0
.LBB86_2900:
	s_delay_alu instid0(SALU_CYCLE_1)
	s_and_not1_b32 vcc_lo, exec_lo, s1
	s_cbranch_vccnz .LBB86_2902
; %bb.2901:
	global_load_u16 v2, v[0:1], off
	s_wait_loadcnt 0x0
	v_cvt_f32_f16_e32 v2, v2
	s_delay_alu instid0(VALU_DEP_1)
	v_cvt_i32_f32_e32 v23, v2
.LBB86_2902:
	s_cbranch_execnz .LBB86_2921
.LBB86_2903:
	s_cmp_lt_i32 s0, 2
	s_cbranch_scc1 .LBB86_2907
; %bb.2904:
	s_cmp_lt_i32 s0, 3
	s_cbranch_scc1 .LBB86_2908
; %bb.2905:
	s_cmp_gt_i32 s0, 3
	s_cbranch_scc0 .LBB86_2909
; %bb.2906:
	s_wait_loadcnt 0x0
	global_load_b32 v23, v[0:1], off
	s_mov_b32 s1, 0
	s_branch .LBB86_2910
.LBB86_2907:
                                        ; implicit-def: $vgpr23
	s_branch .LBB86_2916
.LBB86_2908:
	s_mov_b32 s1, -1
                                        ; implicit-def: $vgpr23
	s_branch .LBB86_2913
.LBB86_2909:
	s_mov_b32 s1, -1
                                        ; implicit-def: $vgpr23
.LBB86_2910:
	s_delay_alu instid0(SALU_CYCLE_1)
	s_and_not1_b32 vcc_lo, exec_lo, s1
	s_cbranch_vccnz .LBB86_2912
; %bb.2911:
	s_wait_loadcnt 0x0
	global_load_b32 v23, v[0:1], off
.LBB86_2912:
	s_mov_b32 s1, 0
.LBB86_2913:
	s_delay_alu instid0(SALU_CYCLE_1)
	s_and_not1_b32 vcc_lo, exec_lo, s1
	s_cbranch_vccnz .LBB86_2915
; %bb.2914:
	s_wait_loadcnt 0x0
	global_load_i16 v23, v[0:1], off
.LBB86_2915:
	s_cbranch_execnz .LBB86_2921
.LBB86_2916:
	s_cmp_gt_i32 s0, 0
	s_mov_b32 s0, 0
	s_cbranch_scc0 .LBB86_2918
; %bb.2917:
	s_wait_loadcnt 0x0
	global_load_i8 v23, v[0:1], off
	s_branch .LBB86_2919
.LBB86_2918:
	s_mov_b32 s0, -1
                                        ; implicit-def: $vgpr23
.LBB86_2919:
	s_delay_alu instid0(SALU_CYCLE_1)
	s_and_not1_b32 vcc_lo, exec_lo, s0
	s_cbranch_vccnz .LBB86_2921
; %bb.2920:
	s_wait_loadcnt 0x0
	global_load_u8 v23, v[0:1], off
.LBB86_2921:
.LBB86_2922:
	s_wait_xcnt 0x0
	v_mov_b32_e32 v0, 0
	s_clause 0x1
	s_load_b32 s61, s[24:25], 0x38
	s_load_b64 s[10:11], s[24:25], 0x10
	global_load_u8 v2, v0, s[24:25] offset:242
	s_wait_kmcnt 0x0
	v_mul_lo_u32 v0, s61, v22
	s_delay_alu instid0(VALU_DEP_1) | instskip(NEXT) | instid1(VALU_DEP_1)
	v_ashrrev_i32_e32 v1, 31, v0
	v_add_nc_u64_e32 v[0:1], s[10:11], v[0:1]
	s_wait_loadcnt 0x0
	v_and_b32_e32 v3, 0xffff, v2
	v_readfirstlane_b32 s35, v2
	s_delay_alu instid0(VALU_DEP_2)
	v_cmp_gt_i32_e32 vcc_lo, 11, v3
	s_cbranch_vccnz .LBB86_2929
; %bb.2923:
	s_and_b32 s0, 0xffff, s35
	s_mov_b32 s4, 0
	s_cmp_gt_i32 s0, 25
	s_cbranch_scc0 .LBB86_2931
; %bb.2924:
	s_cmp_gt_i32 s0, 28
	s_cbranch_scc0 .LBB86_2932
; %bb.2925:
	;; [unrolled: 3-line block ×4, first 2 shown]
	s_cmp_eq_u32 s0, 46
	s_mov_b32 s6, 0
	s_cbranch_scc0 .LBB86_2936
; %bb.2928:
	global_load_b32 v2, v[0:1], off
	s_mov_b32 s1, 0
	s_mov_b32 s5, -1
	s_wait_loadcnt 0x0
	v_lshlrev_b32_e32 v2, 16, v2
	s_delay_alu instid0(VALU_DEP_1)
	v_cvt_i32_f32_e32 v24, v2
	s_branch .LBB86_2938
.LBB86_2929:
	s_mov_b32 s5, 0
                                        ; implicit-def: $vgpr24
	s_cbranch_execnz .LBB86_2999
.LBB86_2930:
	s_and_not1_b32 vcc_lo, exec_lo, s5
	s_cbranch_vccnz .LBB86_3434
	s_branch .LBB86_3046
.LBB86_2931:
	s_mov_b32 s5, 0
	s_mov_b32 s1, 0
                                        ; implicit-def: $vgpr24
	s_cbranch_execnz .LBB86_2965
	s_branch .LBB86_2995
.LBB86_2932:
	s_mov_b32 s6, -1
	s_mov_b32 s5, 0
	s_mov_b32 s1, 0
                                        ; implicit-def: $vgpr24
	s_branch .LBB86_2948
.LBB86_2933:
	s_mov_b32 s6, -1
	s_mov_b32 s5, 0
	s_mov_b32 s1, 0
                                        ; implicit-def: $vgpr24
	s_branch .LBB86_2943
.LBB86_2934:
	s_or_b32 s38, s36, exec_lo
	s_trap 2
	s_cbranch_execz .LBB86_2875
	s_branch .LBB86_2876
.LBB86_2935:
	s_mov_b32 s6, -1
	s_mov_b32 s5, 0
	s_mov_b32 s1, 0
	s_branch .LBB86_2937
.LBB86_2936:
	s_mov_b32 s1, -1
	s_mov_b32 s5, 0
.LBB86_2937:
                                        ; implicit-def: $vgpr24
.LBB86_2938:
	s_and_b32 vcc_lo, exec_lo, s6
	s_cbranch_vccz .LBB86_2942
; %bb.2939:
	s_cmp_eq_u32 s0, 44
	s_cbranch_scc0 .LBB86_2941
; %bb.2940:
	global_load_u8 v2, v[0:1], off
	s_mov_b32 s1, 0
	s_mov_b32 s5, -1
	s_wait_loadcnt 0x0
	v_lshlrev_b32_e32 v3, 23, v2
	v_cmp_ne_u32_e32 vcc_lo, 0, v2
	s_delay_alu instid0(VALU_DEP_2) | instskip(NEXT) | instid1(VALU_DEP_1)
	v_cvt_i32_f32_e32 v3, v3
	v_cndmask_b32_e32 v24, 0, v3, vcc_lo
	s_branch .LBB86_2942
.LBB86_2941:
	s_mov_b32 s1, -1
                                        ; implicit-def: $vgpr24
.LBB86_2942:
	s_mov_b32 s6, 0
.LBB86_2943:
	s_delay_alu instid0(SALU_CYCLE_1)
	s_and_b32 vcc_lo, exec_lo, s6
	s_cbranch_vccz .LBB86_2947
; %bb.2944:
	s_cmp_eq_u32 s0, 29
	s_cbranch_scc0 .LBB86_2946
; %bb.2945:
	global_load_b32 v24, v[0:1], off
	s_mov_b32 s1, 0
	s_mov_b32 s5, -1
	s_branch .LBB86_2947
.LBB86_2946:
	s_mov_b32 s1, -1
                                        ; implicit-def: $vgpr24
.LBB86_2947:
	s_mov_b32 s6, 0
.LBB86_2948:
	s_delay_alu instid0(SALU_CYCLE_1)
	s_and_b32 vcc_lo, exec_lo, s6
	s_cbranch_vccz .LBB86_2964
; %bb.2949:
	s_cmp_lt_i32 s0, 27
	s_cbranch_scc1 .LBB86_2952
; %bb.2950:
	s_cmp_gt_i32 s0, 27
	s_cbranch_scc0 .LBB86_2953
; %bb.2951:
	s_wait_loadcnt 0x0
	global_load_b32 v24, v[0:1], off
	s_mov_b32 s5, 0
	s_branch .LBB86_2954
.LBB86_2952:
	s_mov_b32 s5, -1
                                        ; implicit-def: $vgpr24
	s_branch .LBB86_2957
.LBB86_2953:
	s_mov_b32 s5, -1
                                        ; implicit-def: $vgpr24
.LBB86_2954:
	s_delay_alu instid0(SALU_CYCLE_1)
	s_and_not1_b32 vcc_lo, exec_lo, s5
	s_cbranch_vccnz .LBB86_2956
; %bb.2955:
	s_wait_loadcnt 0x0
	global_load_u16 v24, v[0:1], off
.LBB86_2956:
	s_mov_b32 s5, 0
.LBB86_2957:
	s_delay_alu instid0(SALU_CYCLE_1)
	s_and_not1_b32 vcc_lo, exec_lo, s5
	s_cbranch_vccnz .LBB86_2963
; %bb.2958:
	global_load_u8 v2, v[0:1], off
	s_mov_b32 s6, 0
	s_mov_b32 s5, exec_lo
	s_wait_loadcnt 0x0
	v_cmpx_lt_i16_e32 0x7f, v2
	s_xor_b32 s5, exec_lo, s5
	s_cbranch_execz .LBB86_2974
; %bb.2959:
	v_cmp_ne_u16_e32 vcc_lo, 0x80, v2
	s_and_b32 s6, vcc_lo, exec_lo
	s_and_not1_saveexec_b32 s5, s5
	s_cbranch_execnz .LBB86_2975
.LBB86_2960:
	s_or_b32 exec_lo, exec_lo, s5
	v_mov_b32_e32 v24, 0
	s_and_saveexec_b32 s5, s6
	s_cbranch_execz .LBB86_2962
.LBB86_2961:
	v_and_b32_e32 v3, 0xffff, v2
	s_delay_alu instid0(VALU_DEP_1) | instskip(SKIP_1) | instid1(VALU_DEP_2)
	v_and_b32_e32 v4, 7, v3
	v_bfe_u32 v7, v3, 3, 4
	v_clz_i32_u32_e32 v5, v4
	s_delay_alu instid0(VALU_DEP_2) | instskip(NEXT) | instid1(VALU_DEP_2)
	v_cmp_eq_u32_e32 vcc_lo, 0, v7
	v_min_u32_e32 v5, 32, v5
	s_delay_alu instid0(VALU_DEP_1) | instskip(NEXT) | instid1(VALU_DEP_1)
	v_subrev_nc_u32_e32 v6, 28, v5
	v_dual_lshlrev_b32 v3, v6, v3 :: v_dual_sub_nc_u32 v5, 29, v5
	s_delay_alu instid0(VALU_DEP_1) | instskip(NEXT) | instid1(VALU_DEP_1)
	v_dual_lshlrev_b32 v2, 24, v2 :: v_dual_bitop2_b32 v3, 7, v3 bitop3:0x40
	v_dual_cndmask_b32 v5, v7, v5, vcc_lo :: v_dual_cndmask_b32 v3, v4, v3, vcc_lo
	s_delay_alu instid0(VALU_DEP_2) | instskip(NEXT) | instid1(VALU_DEP_2)
	v_and_b32_e32 v2, 0x80000000, v2
	v_lshl_add_u32 v4, v5, 23, 0x3b800000
	s_delay_alu instid0(VALU_DEP_3) | instskip(NEXT) | instid1(VALU_DEP_1)
	v_lshlrev_b32_e32 v3, 20, v3
	v_or3_b32 v2, v2, v4, v3
	s_delay_alu instid0(VALU_DEP_1)
	v_cvt_i32_f32_e32 v24, v2
.LBB86_2962:
	s_or_b32 exec_lo, exec_lo, s5
.LBB86_2963:
	s_mov_b32 s5, -1
.LBB86_2964:
	s_branch .LBB86_2995
.LBB86_2965:
	s_cmp_gt_i32 s0, 22
	s_cbranch_scc0 .LBB86_2973
; %bb.2966:
	s_cmp_lt_i32 s0, 24
	s_cbranch_scc1 .LBB86_2976
; %bb.2967:
	s_cmp_gt_i32 s0, 24
	s_cbranch_scc0 .LBB86_2977
; %bb.2968:
	global_load_u8 v2, v[0:1], off
	s_mov_b32 s5, 0
	s_mov_b32 s4, exec_lo
	s_wait_loadcnt 0x0
	v_cmpx_lt_i16_e32 0x7f, v2
	s_xor_b32 s4, exec_lo, s4
	s_cbranch_execz .LBB86_2989
; %bb.2969:
	v_cmp_ne_u16_e32 vcc_lo, 0x80, v2
	s_and_b32 s5, vcc_lo, exec_lo
	s_and_not1_saveexec_b32 s4, s4
	s_cbranch_execnz .LBB86_2990
.LBB86_2970:
	s_or_b32 exec_lo, exec_lo, s4
	v_mov_b32_e32 v24, 0
	s_and_saveexec_b32 s4, s5
	s_cbranch_execz .LBB86_2972
.LBB86_2971:
	v_and_b32_e32 v3, 0xffff, v2
	s_delay_alu instid0(VALU_DEP_1) | instskip(SKIP_1) | instid1(VALU_DEP_2)
	v_and_b32_e32 v4, 3, v3
	v_bfe_u32 v7, v3, 2, 5
	v_clz_i32_u32_e32 v5, v4
	s_delay_alu instid0(VALU_DEP_2) | instskip(NEXT) | instid1(VALU_DEP_2)
	v_cmp_eq_u32_e32 vcc_lo, 0, v7
	v_min_u32_e32 v5, 32, v5
	s_delay_alu instid0(VALU_DEP_1) | instskip(NEXT) | instid1(VALU_DEP_1)
	v_subrev_nc_u32_e32 v6, 29, v5
	v_dual_lshlrev_b32 v3, v6, v3 :: v_dual_sub_nc_u32 v5, 30, v5
	s_delay_alu instid0(VALU_DEP_1) | instskip(NEXT) | instid1(VALU_DEP_1)
	v_dual_lshlrev_b32 v2, 24, v2 :: v_dual_bitop2_b32 v3, 3, v3 bitop3:0x40
	v_dual_cndmask_b32 v5, v7, v5, vcc_lo :: v_dual_cndmask_b32 v3, v4, v3, vcc_lo
	s_delay_alu instid0(VALU_DEP_2) | instskip(NEXT) | instid1(VALU_DEP_2)
	v_and_b32_e32 v2, 0x80000000, v2
	v_lshl_add_u32 v4, v5, 23, 0x37800000
	s_delay_alu instid0(VALU_DEP_3) | instskip(NEXT) | instid1(VALU_DEP_1)
	v_lshlrev_b32_e32 v3, 21, v3
	v_or3_b32 v2, v2, v4, v3
	s_delay_alu instid0(VALU_DEP_1)
	v_cvt_i32_f32_e32 v24, v2
.LBB86_2972:
	s_or_b32 exec_lo, exec_lo, s4
	s_mov_b32 s4, 0
	s_branch .LBB86_2978
.LBB86_2973:
	s_mov_b32 s4, -1
                                        ; implicit-def: $vgpr24
	s_branch .LBB86_2984
.LBB86_2974:
	s_and_not1_saveexec_b32 s5, s5
	s_cbranch_execz .LBB86_2960
.LBB86_2975:
	v_cmp_ne_u16_e32 vcc_lo, 0, v2
	s_and_not1_b32 s6, s6, exec_lo
	s_and_b32 s7, vcc_lo, exec_lo
	s_delay_alu instid0(SALU_CYCLE_1)
	s_or_b32 s6, s6, s7
	s_or_b32 exec_lo, exec_lo, s5
	v_mov_b32_e32 v24, 0
	s_and_saveexec_b32 s5, s6
	s_cbranch_execnz .LBB86_2961
	s_branch .LBB86_2962
.LBB86_2976:
	s_mov_b32 s4, -1
                                        ; implicit-def: $vgpr24
	s_branch .LBB86_2981
.LBB86_2977:
	s_mov_b32 s4, -1
                                        ; implicit-def: $vgpr24
.LBB86_2978:
	s_delay_alu instid0(SALU_CYCLE_1)
	s_and_b32 vcc_lo, exec_lo, s4
	s_cbranch_vccz .LBB86_2980
; %bb.2979:
	global_load_u8 v2, v[0:1], off
	s_wait_loadcnt 0x0
	v_lshlrev_b32_e32 v2, 24, v2
	s_delay_alu instid0(VALU_DEP_1) | instskip(NEXT) | instid1(VALU_DEP_1)
	v_and_b32_e32 v3, 0x7f000000, v2
	v_clz_i32_u32_e32 v4, v3
	v_cmp_ne_u32_e32 vcc_lo, 0, v3
	v_add_nc_u32_e32 v6, 0x1000000, v3
	s_delay_alu instid0(VALU_DEP_3) | instskip(NEXT) | instid1(VALU_DEP_1)
	v_min_u32_e32 v4, 32, v4
	v_sub_nc_u32_e64 v4, v4, 4 clamp
	s_delay_alu instid0(VALU_DEP_1) | instskip(NEXT) | instid1(VALU_DEP_1)
	v_dual_lshlrev_b32 v5, v4, v3 :: v_dual_lshlrev_b32 v4, 23, v4
	v_lshrrev_b32_e32 v5, 4, v5
	s_delay_alu instid0(VALU_DEP_1) | instskip(NEXT) | instid1(VALU_DEP_1)
	v_dual_sub_nc_u32 v4, v5, v4 :: v_dual_ashrrev_i32 v5, 8, v6
	v_add_nc_u32_e32 v4, 0x3c000000, v4
	s_delay_alu instid0(VALU_DEP_1) | instskip(NEXT) | instid1(VALU_DEP_1)
	v_and_or_b32 v4, 0x7f800000, v5, v4
	v_cndmask_b32_e32 v3, 0, v4, vcc_lo
	s_delay_alu instid0(VALU_DEP_1) | instskip(NEXT) | instid1(VALU_DEP_1)
	v_and_or_b32 v2, 0x80000000, v2, v3
	v_cvt_i32_f32_e32 v24, v2
.LBB86_2980:
	s_mov_b32 s4, 0
.LBB86_2981:
	s_delay_alu instid0(SALU_CYCLE_1)
	s_and_not1_b32 vcc_lo, exec_lo, s4
	s_cbranch_vccnz .LBB86_2983
; %bb.2982:
	global_load_u8 v2, v[0:1], off
	s_wait_loadcnt 0x0
	v_lshlrev_b32_e32 v3, 25, v2
	v_lshlrev_b16 v2, 8, v2
	s_delay_alu instid0(VALU_DEP_1) | instskip(SKIP_1) | instid1(VALU_DEP_2)
	v_and_or_b32 v5, 0x7f00, v2, 0.5
	v_bfe_i32 v2, v2, 0, 16
	v_dual_add_f32 v5, -0.5, v5 :: v_dual_lshrrev_b32 v4, 4, v3
	v_cmp_gt_u32_e32 vcc_lo, 0x8000000, v3
	s_delay_alu instid0(VALU_DEP_2) | instskip(NEXT) | instid1(VALU_DEP_1)
	v_or_b32_e32 v4, 0x70000000, v4
	v_mul_f32_e32 v4, 0x7800000, v4
	s_delay_alu instid0(VALU_DEP_1) | instskip(NEXT) | instid1(VALU_DEP_1)
	v_cndmask_b32_e32 v3, v4, v5, vcc_lo
	v_and_or_b32 v2, 0x80000000, v2, v3
	s_delay_alu instid0(VALU_DEP_1)
	v_cvt_i32_f32_e32 v24, v2
.LBB86_2983:
	s_mov_b32 s4, 0
	s_mov_b32 s5, -1
.LBB86_2984:
	s_and_not1_b32 vcc_lo, exec_lo, s4
	s_mov_b32 s4, 0
	s_cbranch_vccnz .LBB86_2995
; %bb.2985:
	s_cmp_gt_i32 s0, 14
	s_cbranch_scc0 .LBB86_2988
; %bb.2986:
	s_cmp_eq_u32 s0, 15
	s_cbranch_scc0 .LBB86_2991
; %bb.2987:
	global_load_u16 v2, v[0:1], off
	s_mov_b32 s1, 0
	s_mov_b32 s5, -1
	s_wait_loadcnt 0x0
	v_lshlrev_b32_e32 v2, 16, v2
	s_delay_alu instid0(VALU_DEP_1)
	v_cvt_i32_f32_e32 v24, v2
	s_branch .LBB86_2993
.LBB86_2988:
	s_mov_b32 s4, -1
	s_branch .LBB86_2992
.LBB86_2989:
	s_and_not1_saveexec_b32 s4, s4
	s_cbranch_execz .LBB86_2970
.LBB86_2990:
	v_cmp_ne_u16_e32 vcc_lo, 0, v2
	s_and_not1_b32 s5, s5, exec_lo
	s_and_b32 s6, vcc_lo, exec_lo
	s_delay_alu instid0(SALU_CYCLE_1)
	s_or_b32 s5, s5, s6
	s_or_b32 exec_lo, exec_lo, s4
	v_mov_b32_e32 v24, 0
	s_and_saveexec_b32 s4, s5
	s_cbranch_execnz .LBB86_2971
	s_branch .LBB86_2972
.LBB86_2991:
	s_mov_b32 s1, -1
.LBB86_2992:
                                        ; implicit-def: $vgpr24
.LBB86_2993:
	s_and_b32 vcc_lo, exec_lo, s4
	s_mov_b32 s4, 0
	s_cbranch_vccz .LBB86_2995
; %bb.2994:
	s_cmp_lg_u32 s0, 11
	s_mov_b32 s4, -1
	s_cselect_b32 s1, -1, 0
.LBB86_2995:
	s_delay_alu instid0(SALU_CYCLE_1)
	s_and_b32 vcc_lo, exec_lo, s1
	s_cbranch_vccnz .LBB86_3058
; %bb.2996:
	s_and_not1_b32 vcc_lo, exec_lo, s4
	s_cbranch_vccnz .LBB86_2998
.LBB86_2997:
	global_load_u8 v2, v[0:1], off
	s_mov_b32 s5, -1
	s_wait_loadcnt 0x0
	v_cmp_ne_u16_e32 vcc_lo, 0, v2
	v_cndmask_b32_e64 v24, 0, 1, vcc_lo
.LBB86_2998:
	s_branch .LBB86_2930
.LBB86_2999:
	s_and_b32 s0, 0xffff, s35
	s_delay_alu instid0(SALU_CYCLE_1)
	s_cmp_lt_i32 s0, 5
	s_cbranch_scc1 .LBB86_3004
; %bb.3000:
	s_cmp_lt_i32 s0, 8
	s_cbranch_scc1 .LBB86_3005
; %bb.3001:
	;; [unrolled: 3-line block ×3, first 2 shown]
	s_cmp_gt_i32 s0, 9
	s_cbranch_scc0 .LBB86_3007
; %bb.3003:
	global_load_b64 v[2:3], v[0:1], off
	s_mov_b32 s1, 0
	s_wait_loadcnt 0x0
	v_cvt_i32_f64_e32 v24, v[2:3]
	s_branch .LBB86_3008
.LBB86_3004:
                                        ; implicit-def: $vgpr24
	s_branch .LBB86_3026
.LBB86_3005:
	s_mov_b32 s1, -1
                                        ; implicit-def: $vgpr24
	s_branch .LBB86_3014
.LBB86_3006:
	s_mov_b32 s1, -1
                                        ; implicit-def: $vgpr24
	s_branch .LBB86_3011
.LBB86_3007:
	s_mov_b32 s1, -1
                                        ; implicit-def: $vgpr24
.LBB86_3008:
	s_delay_alu instid0(SALU_CYCLE_1)
	s_and_not1_b32 vcc_lo, exec_lo, s1
	s_cbranch_vccnz .LBB86_3010
; %bb.3009:
	global_load_b32 v2, v[0:1], off
	s_wait_loadcnt 0x0
	v_cvt_i32_f32_e32 v24, v2
.LBB86_3010:
	s_mov_b32 s1, 0
.LBB86_3011:
	s_delay_alu instid0(SALU_CYCLE_1)
	s_and_not1_b32 vcc_lo, exec_lo, s1
	s_cbranch_vccnz .LBB86_3013
; %bb.3012:
	global_load_b32 v2, v[0:1], off
	s_wait_loadcnt 0x0
	v_cvt_f32_f16_e32 v2, v2
	s_delay_alu instid0(VALU_DEP_1)
	v_cvt_i32_f32_e32 v24, v2
.LBB86_3013:
	s_mov_b32 s1, 0
.LBB86_3014:
	s_delay_alu instid0(SALU_CYCLE_1)
	s_and_not1_b32 vcc_lo, exec_lo, s1
	s_cbranch_vccnz .LBB86_3025
; %bb.3015:
	s_cmp_lt_i32 s0, 6
	s_cbranch_scc1 .LBB86_3018
; %bb.3016:
	s_cmp_gt_i32 s0, 6
	s_cbranch_scc0 .LBB86_3019
; %bb.3017:
	global_load_b64 v[2:3], v[0:1], off
	s_mov_b32 s1, 0
	s_wait_loadcnt 0x0
	v_cvt_i32_f64_e32 v24, v[2:3]
	s_branch .LBB86_3020
.LBB86_3018:
	s_mov_b32 s1, -1
                                        ; implicit-def: $vgpr24
	s_branch .LBB86_3023
.LBB86_3019:
	s_mov_b32 s1, -1
                                        ; implicit-def: $vgpr24
.LBB86_3020:
	s_delay_alu instid0(SALU_CYCLE_1)
	s_and_not1_b32 vcc_lo, exec_lo, s1
	s_cbranch_vccnz .LBB86_3022
; %bb.3021:
	global_load_b32 v2, v[0:1], off
	s_wait_loadcnt 0x0
	v_cvt_i32_f32_e32 v24, v2
.LBB86_3022:
	s_mov_b32 s1, 0
.LBB86_3023:
	s_delay_alu instid0(SALU_CYCLE_1)
	s_and_not1_b32 vcc_lo, exec_lo, s1
	s_cbranch_vccnz .LBB86_3025
; %bb.3024:
	global_load_u16 v2, v[0:1], off
	s_wait_loadcnt 0x0
	v_cvt_f32_f16_e32 v2, v2
	s_delay_alu instid0(VALU_DEP_1)
	v_cvt_i32_f32_e32 v24, v2
.LBB86_3025:
	s_cbranch_execnz .LBB86_3045
.LBB86_3026:
	s_cmp_lt_i32 s0, 2
	s_cbranch_scc1 .LBB86_3030
; %bb.3027:
	s_cmp_lt_i32 s0, 3
	s_cbranch_scc1 .LBB86_3031
; %bb.3028:
	s_cmp_gt_i32 s0, 3
	s_cbranch_scc0 .LBB86_3032
; %bb.3029:
	s_wait_loadcnt 0x0
	global_load_b32 v24, v[0:1], off
	s_mov_b32 s1, 0
	s_branch .LBB86_3033
.LBB86_3030:
	s_mov_b32 s1, -1
                                        ; implicit-def: $vgpr24
	s_branch .LBB86_3039
.LBB86_3031:
	s_mov_b32 s1, -1
                                        ; implicit-def: $vgpr24
	s_branch .LBB86_3036
.LBB86_3032:
	s_mov_b32 s1, -1
                                        ; implicit-def: $vgpr24
.LBB86_3033:
	s_delay_alu instid0(SALU_CYCLE_1)
	s_and_not1_b32 vcc_lo, exec_lo, s1
	s_cbranch_vccnz .LBB86_3035
; %bb.3034:
	s_wait_loadcnt 0x0
	global_load_b32 v24, v[0:1], off
.LBB86_3035:
	s_mov_b32 s1, 0
.LBB86_3036:
	s_delay_alu instid0(SALU_CYCLE_1)
	s_and_not1_b32 vcc_lo, exec_lo, s1
	s_cbranch_vccnz .LBB86_3038
; %bb.3037:
	s_wait_loadcnt 0x0
	global_load_i16 v24, v[0:1], off
.LBB86_3038:
	s_mov_b32 s1, 0
.LBB86_3039:
	s_delay_alu instid0(SALU_CYCLE_1)
	s_and_not1_b32 vcc_lo, exec_lo, s1
	s_cbranch_vccnz .LBB86_3045
; %bb.3040:
	s_cmp_gt_i32 s0, 0
	s_mov_b32 s0, 0
	s_cbranch_scc0 .LBB86_3042
; %bb.3041:
	s_wait_loadcnt 0x0
	global_load_i8 v24, v[0:1], off
	s_branch .LBB86_3043
.LBB86_3042:
	s_mov_b32 s0, -1
                                        ; implicit-def: $vgpr24
.LBB86_3043:
	s_delay_alu instid0(SALU_CYCLE_1)
	s_and_not1_b32 vcc_lo, exec_lo, s0
	s_cbranch_vccnz .LBB86_3045
; %bb.3044:
	s_wait_loadcnt 0x0
	global_load_u8 v24, v[0:1], off
.LBB86_3045:
.LBB86_3046:
	s_wait_xcnt 0x0
	v_mov_b32_e32 v0, 0
	s_clause 0x1
	s_load_b32 s62, s[24:25], 0x3c
	s_load_b64 s[12:13], s[24:25], 0x18
	global_load_u8 v4, v0, s[24:25] offset:243
	s_wait_kmcnt 0x0
	v_mul_lo_u32 v0, s62, v22
	s_delay_alu instid0(VALU_DEP_1) | instskip(SKIP_3) | instid1(VALU_DEP_2)
	v_ashrrev_i32_e32 v1, 31, v0
	s_wait_loadcnt 0x0
	v_and_b32_e32 v2, 0xffff, v4
	v_readfirstlane_b32 s48, v4
	v_cmp_gt_i32_e32 vcc_lo, 11, v2
	v_add_nc_u64_e32 v[2:3], s[12:13], v[0:1]
	s_cbranch_vccnz .LBB86_3053
; %bb.3047:
	s_and_b32 s0, 0xffff, s48
	s_mov_b32 s4, 0
	s_cmp_gt_i32 s0, 25
	s_cbranch_scc0 .LBB86_3055
; %bb.3048:
	s_cmp_gt_i32 s0, 28
	s_cbranch_scc0 .LBB86_3056
; %bb.3049:
	;; [unrolled: 3-line block ×4, first 2 shown]
	s_cmp_eq_u32 s0, 46
	s_mov_b32 s6, 0
	s_cbranch_scc0 .LBB86_3060
; %bb.3052:
	global_load_b32 v0, v[2:3], off
	s_mov_b32 s1, 0
	s_mov_b32 s5, -1
	s_wait_loadcnt 0x0
	v_lshlrev_b32_e32 v0, 16, v0
	s_delay_alu instid0(VALU_DEP_1)
	v_cvt_i32_f32_e32 v0, v0
	s_branch .LBB86_3062
.LBB86_3053:
	s_mov_b32 s5, 0
                                        ; implicit-def: $vgpr0
	s_cbranch_execnz .LBB86_3124
.LBB86_3054:
	s_and_not1_b32 vcc_lo, exec_lo, s5
	s_cbranch_vccnz .LBB86_3434
	s_branch .LBB86_3172
.LBB86_3055:
	s_mov_b32 s6, -1
	s_mov_b32 s5, 0
	s_mov_b32 s1, 0
                                        ; implicit-def: $vgpr0
	s_branch .LBB86_3089
.LBB86_3056:
	s_mov_b32 s6, -1
	s_mov_b32 s5, 0
	s_mov_b32 s1, 0
                                        ; implicit-def: $vgpr0
	s_branch .LBB86_3072
.LBB86_3057:
	s_mov_b32 s6, -1
	s_mov_b32 s5, 0
	s_mov_b32 s1, 0
                                        ; implicit-def: $vgpr0
	s_branch .LBB86_3067
.LBB86_3058:
	s_or_b32 s38, s38, exec_lo
	s_trap 2
	s_cbranch_execz .LBB86_2997
	s_branch .LBB86_2998
.LBB86_3059:
	s_mov_b32 s6, -1
	s_mov_b32 s5, 0
	s_mov_b32 s1, 0
	s_branch .LBB86_3061
.LBB86_3060:
	s_mov_b32 s1, -1
	s_mov_b32 s5, 0
.LBB86_3061:
                                        ; implicit-def: $vgpr0
.LBB86_3062:
	s_and_b32 vcc_lo, exec_lo, s6
	s_cbranch_vccz .LBB86_3066
; %bb.3063:
	s_cmp_eq_u32 s0, 44
	s_cbranch_scc0 .LBB86_3065
; %bb.3064:
	global_load_u8 v0, v[2:3], off
	s_mov_b32 s1, 0
	s_mov_b32 s5, -1
	s_wait_loadcnt 0x0
	v_lshlrev_b32_e32 v1, 23, v0
	v_cmp_ne_u32_e32 vcc_lo, 0, v0
	s_delay_alu instid0(VALU_DEP_2) | instskip(NEXT) | instid1(VALU_DEP_1)
	v_cvt_i32_f32_e32 v1, v1
	v_cndmask_b32_e32 v0, 0, v1, vcc_lo
	s_branch .LBB86_3066
.LBB86_3065:
	s_mov_b32 s1, -1
                                        ; implicit-def: $vgpr0
.LBB86_3066:
	s_mov_b32 s6, 0
.LBB86_3067:
	s_delay_alu instid0(SALU_CYCLE_1)
	s_and_b32 vcc_lo, exec_lo, s6
	s_cbranch_vccz .LBB86_3071
; %bb.3068:
	s_cmp_eq_u32 s0, 29
	s_cbranch_scc0 .LBB86_3070
; %bb.3069:
	global_load_b32 v0, v[2:3], off
	s_mov_b32 s1, 0
	s_mov_b32 s5, -1
	s_branch .LBB86_3071
.LBB86_3070:
	s_mov_b32 s1, -1
                                        ; implicit-def: $vgpr0
.LBB86_3071:
	s_mov_b32 s6, 0
.LBB86_3072:
	s_delay_alu instid0(SALU_CYCLE_1)
	s_and_b32 vcc_lo, exec_lo, s6
	s_cbranch_vccz .LBB86_3088
; %bb.3073:
	s_cmp_lt_i32 s0, 27
	s_cbranch_scc1 .LBB86_3076
; %bb.3074:
	s_cmp_gt_i32 s0, 27
	s_cbranch_scc0 .LBB86_3077
; %bb.3075:
	s_wait_loadcnt 0x0
	global_load_b32 v0, v[2:3], off
	s_mov_b32 s5, 0
	s_branch .LBB86_3078
.LBB86_3076:
	s_mov_b32 s5, -1
                                        ; implicit-def: $vgpr0
	s_branch .LBB86_3081
.LBB86_3077:
	s_mov_b32 s5, -1
                                        ; implicit-def: $vgpr0
.LBB86_3078:
	s_delay_alu instid0(SALU_CYCLE_1)
	s_and_not1_b32 vcc_lo, exec_lo, s5
	s_cbranch_vccnz .LBB86_3080
; %bb.3079:
	s_wait_loadcnt 0x0
	global_load_u16 v0, v[2:3], off
.LBB86_3080:
	s_mov_b32 s5, 0
.LBB86_3081:
	s_delay_alu instid0(SALU_CYCLE_1)
	s_and_not1_b32 vcc_lo, exec_lo, s5
	s_cbranch_vccnz .LBB86_3087
; %bb.3082:
	global_load_u8 v1, v[2:3], off
	s_mov_b32 s6, 0
	s_mov_b32 s5, exec_lo
	s_wait_loadcnt 0x0
	v_cmpx_lt_i16_e32 0x7f, v1
	s_xor_b32 s5, exec_lo, s5
	s_cbranch_execz .LBB86_3099
; %bb.3083:
	v_cmp_ne_u16_e32 vcc_lo, 0x80, v1
	s_and_b32 s6, vcc_lo, exec_lo
	s_and_not1_saveexec_b32 s5, s5
	s_cbranch_execnz .LBB86_3100
.LBB86_3084:
	s_or_b32 exec_lo, exec_lo, s5
	v_mov_b32_e32 v0, 0
	s_and_saveexec_b32 s5, s6
	s_cbranch_execz .LBB86_3086
.LBB86_3085:
	v_and_b32_e32 v0, 0xffff, v1
	s_delay_alu instid0(VALU_DEP_1) | instskip(SKIP_1) | instid1(VALU_DEP_2)
	v_and_b32_e32 v4, 7, v0
	v_bfe_u32 v7, v0, 3, 4
	v_clz_i32_u32_e32 v5, v4
	s_delay_alu instid0(VALU_DEP_2) | instskip(NEXT) | instid1(VALU_DEP_2)
	v_cmp_eq_u32_e32 vcc_lo, 0, v7
	v_min_u32_e32 v5, 32, v5
	s_delay_alu instid0(VALU_DEP_1) | instskip(NEXT) | instid1(VALU_DEP_1)
	v_subrev_nc_u32_e32 v6, 28, v5
	v_dual_lshlrev_b32 v0, v6, v0 :: v_dual_sub_nc_u32 v5, 29, v5
	s_delay_alu instid0(VALU_DEP_1) | instskip(NEXT) | instid1(VALU_DEP_1)
	v_dual_lshlrev_b32 v1, 24, v1 :: v_dual_bitop2_b32 v0, 7, v0 bitop3:0x40
	v_dual_cndmask_b32 v0, v4, v0 :: v_dual_cndmask_b32 v5, v7, v5
	s_delay_alu instid0(VALU_DEP_2) | instskip(NEXT) | instid1(VALU_DEP_2)
	v_and_b32_e32 v1, 0x80000000, v1
	v_lshlrev_b32_e32 v0, 20, v0
	s_delay_alu instid0(VALU_DEP_3) | instskip(NEXT) | instid1(VALU_DEP_1)
	v_lshl_add_u32 v4, v5, 23, 0x3b800000
	v_or3_b32 v0, v1, v4, v0
	s_delay_alu instid0(VALU_DEP_1)
	v_cvt_i32_f32_e32 v0, v0
.LBB86_3086:
	s_or_b32 exec_lo, exec_lo, s5
.LBB86_3087:
	s_mov_b32 s5, -1
.LBB86_3088:
	s_mov_b32 s6, 0
.LBB86_3089:
	s_delay_alu instid0(SALU_CYCLE_1)
	s_and_b32 vcc_lo, exec_lo, s6
	s_cbranch_vccz .LBB86_3120
; %bb.3090:
	s_cmp_gt_i32 s0, 22
	s_cbranch_scc0 .LBB86_3098
; %bb.3091:
	s_cmp_lt_i32 s0, 24
	s_cbranch_scc1 .LBB86_3101
; %bb.3092:
	s_cmp_gt_i32 s0, 24
	s_cbranch_scc0 .LBB86_3102
; %bb.3093:
	global_load_u8 v1, v[2:3], off
	s_mov_b32 s5, 0
	s_mov_b32 s4, exec_lo
	s_wait_loadcnt 0x0
	v_cmpx_lt_i16_e32 0x7f, v1
	s_xor_b32 s4, exec_lo, s4
	s_cbranch_execz .LBB86_3114
; %bb.3094:
	v_cmp_ne_u16_e32 vcc_lo, 0x80, v1
	s_and_b32 s5, vcc_lo, exec_lo
	s_and_not1_saveexec_b32 s4, s4
	s_cbranch_execnz .LBB86_3115
.LBB86_3095:
	s_or_b32 exec_lo, exec_lo, s4
	v_mov_b32_e32 v0, 0
	s_and_saveexec_b32 s4, s5
	s_cbranch_execz .LBB86_3097
.LBB86_3096:
	v_and_b32_e32 v0, 0xffff, v1
	s_delay_alu instid0(VALU_DEP_1) | instskip(SKIP_1) | instid1(VALU_DEP_2)
	v_and_b32_e32 v4, 3, v0
	v_bfe_u32 v7, v0, 2, 5
	v_clz_i32_u32_e32 v5, v4
	s_delay_alu instid0(VALU_DEP_2) | instskip(NEXT) | instid1(VALU_DEP_2)
	v_cmp_eq_u32_e32 vcc_lo, 0, v7
	v_min_u32_e32 v5, 32, v5
	s_delay_alu instid0(VALU_DEP_1) | instskip(NEXT) | instid1(VALU_DEP_1)
	v_subrev_nc_u32_e32 v6, 29, v5
	v_dual_lshlrev_b32 v0, v6, v0 :: v_dual_sub_nc_u32 v5, 30, v5
	s_delay_alu instid0(VALU_DEP_1) | instskip(NEXT) | instid1(VALU_DEP_1)
	v_dual_lshlrev_b32 v1, 24, v1 :: v_dual_bitop2_b32 v0, 3, v0 bitop3:0x40
	v_dual_cndmask_b32 v0, v4, v0 :: v_dual_cndmask_b32 v5, v7, v5
	s_delay_alu instid0(VALU_DEP_2) | instskip(NEXT) | instid1(VALU_DEP_2)
	v_and_b32_e32 v1, 0x80000000, v1
	v_lshlrev_b32_e32 v0, 21, v0
	s_delay_alu instid0(VALU_DEP_3) | instskip(NEXT) | instid1(VALU_DEP_1)
	v_lshl_add_u32 v4, v5, 23, 0x37800000
	v_or3_b32 v0, v1, v4, v0
	s_delay_alu instid0(VALU_DEP_1)
	v_cvt_i32_f32_e32 v0, v0
.LBB86_3097:
	s_or_b32 exec_lo, exec_lo, s4
	s_mov_b32 s4, 0
	s_branch .LBB86_3103
.LBB86_3098:
	s_mov_b32 s4, -1
                                        ; implicit-def: $vgpr0
	s_branch .LBB86_3109
.LBB86_3099:
	s_and_not1_saveexec_b32 s5, s5
	s_cbranch_execz .LBB86_3084
.LBB86_3100:
	v_cmp_ne_u16_e32 vcc_lo, 0, v1
	s_and_not1_b32 s6, s6, exec_lo
	s_and_b32 s7, vcc_lo, exec_lo
	s_delay_alu instid0(SALU_CYCLE_1)
	s_or_b32 s6, s6, s7
	s_or_b32 exec_lo, exec_lo, s5
	v_mov_b32_e32 v0, 0
	s_and_saveexec_b32 s5, s6
	s_cbranch_execnz .LBB86_3085
	s_branch .LBB86_3086
.LBB86_3101:
	s_mov_b32 s4, -1
                                        ; implicit-def: $vgpr0
	s_branch .LBB86_3106
.LBB86_3102:
	s_mov_b32 s4, -1
                                        ; implicit-def: $vgpr0
.LBB86_3103:
	s_delay_alu instid0(SALU_CYCLE_1)
	s_and_b32 vcc_lo, exec_lo, s4
	s_cbranch_vccz .LBB86_3105
; %bb.3104:
	s_wait_loadcnt 0x0
	global_load_u8 v0, v[2:3], off
	s_wait_loadcnt 0x0
	v_lshlrev_b32_e32 v0, 24, v0
	s_delay_alu instid0(VALU_DEP_1) | instskip(NEXT) | instid1(VALU_DEP_1)
	v_and_b32_e32 v1, 0x7f000000, v0
	v_clz_i32_u32_e32 v4, v1
	v_cmp_ne_u32_e32 vcc_lo, 0, v1
	v_add_nc_u32_e32 v6, 0x1000000, v1
	s_delay_alu instid0(VALU_DEP_3) | instskip(NEXT) | instid1(VALU_DEP_1)
	v_min_u32_e32 v4, 32, v4
	v_sub_nc_u32_e64 v4, v4, 4 clamp
	s_delay_alu instid0(VALU_DEP_1) | instskip(NEXT) | instid1(VALU_DEP_1)
	v_dual_lshlrev_b32 v5, v4, v1 :: v_dual_lshlrev_b32 v4, 23, v4
	v_lshrrev_b32_e32 v5, 4, v5
	s_delay_alu instid0(VALU_DEP_1) | instskip(NEXT) | instid1(VALU_DEP_1)
	v_dual_sub_nc_u32 v4, v5, v4 :: v_dual_ashrrev_i32 v5, 8, v6
	v_add_nc_u32_e32 v4, 0x3c000000, v4
	s_delay_alu instid0(VALU_DEP_1) | instskip(NEXT) | instid1(VALU_DEP_1)
	v_and_or_b32 v4, 0x7f800000, v5, v4
	v_cndmask_b32_e32 v1, 0, v4, vcc_lo
	s_delay_alu instid0(VALU_DEP_1) | instskip(NEXT) | instid1(VALU_DEP_1)
	v_and_or_b32 v0, 0x80000000, v0, v1
	v_cvt_i32_f32_e32 v0, v0
.LBB86_3105:
	s_mov_b32 s4, 0
.LBB86_3106:
	s_delay_alu instid0(SALU_CYCLE_1)
	s_and_not1_b32 vcc_lo, exec_lo, s4
	s_cbranch_vccnz .LBB86_3108
; %bb.3107:
	s_wait_loadcnt 0x0
	global_load_u8 v0, v[2:3], off
	s_wait_loadcnt 0x0
	v_lshlrev_b32_e32 v1, 25, v0
	v_lshlrev_b16 v0, 8, v0
	s_delay_alu instid0(VALU_DEP_1) | instskip(SKIP_1) | instid1(VALU_DEP_2)
	v_and_or_b32 v5, 0x7f00, v0, 0.5
	v_bfe_i32 v0, v0, 0, 16
	v_add_f32_e32 v5, -0.5, v5
	v_lshrrev_b32_e32 v4, 4, v1
	v_cmp_gt_u32_e32 vcc_lo, 0x8000000, v1
	s_delay_alu instid0(VALU_DEP_2) | instskip(NEXT) | instid1(VALU_DEP_1)
	v_or_b32_e32 v4, 0x70000000, v4
	v_mul_f32_e32 v4, 0x7800000, v4
	s_delay_alu instid0(VALU_DEP_1) | instskip(NEXT) | instid1(VALU_DEP_1)
	v_cndmask_b32_e32 v1, v4, v5, vcc_lo
	v_and_or_b32 v0, 0x80000000, v0, v1
	s_delay_alu instid0(VALU_DEP_1)
	v_cvt_i32_f32_e32 v0, v0
.LBB86_3108:
	s_mov_b32 s4, 0
	s_mov_b32 s5, -1
.LBB86_3109:
	s_and_not1_b32 vcc_lo, exec_lo, s4
	s_mov_b32 s4, 0
	s_cbranch_vccnz .LBB86_3120
; %bb.3110:
	s_cmp_gt_i32 s0, 14
	s_cbranch_scc0 .LBB86_3113
; %bb.3111:
	s_cmp_eq_u32 s0, 15
	s_cbranch_scc0 .LBB86_3116
; %bb.3112:
	s_wait_loadcnt 0x0
	global_load_u16 v0, v[2:3], off
	s_mov_b32 s1, 0
	s_mov_b32 s5, -1
	s_wait_loadcnt 0x0
	v_lshlrev_b32_e32 v0, 16, v0
	s_delay_alu instid0(VALU_DEP_1)
	v_cvt_i32_f32_e32 v0, v0
	s_branch .LBB86_3118
.LBB86_3113:
	s_mov_b32 s4, -1
	s_branch .LBB86_3117
.LBB86_3114:
	s_and_not1_saveexec_b32 s4, s4
	s_cbranch_execz .LBB86_3095
.LBB86_3115:
	v_cmp_ne_u16_e32 vcc_lo, 0, v1
	s_and_not1_b32 s5, s5, exec_lo
	s_and_b32 s6, vcc_lo, exec_lo
	s_delay_alu instid0(SALU_CYCLE_1)
	s_or_b32 s5, s5, s6
	s_or_b32 exec_lo, exec_lo, s4
	v_mov_b32_e32 v0, 0
	s_and_saveexec_b32 s4, s5
	s_cbranch_execnz .LBB86_3096
	s_branch .LBB86_3097
.LBB86_3116:
	s_mov_b32 s1, -1
.LBB86_3117:
                                        ; implicit-def: $vgpr0
.LBB86_3118:
	s_and_b32 vcc_lo, exec_lo, s4
	s_mov_b32 s4, 0
	s_cbranch_vccz .LBB86_3120
; %bb.3119:
	s_cmp_lg_u32 s0, 11
	s_mov_b32 s4, -1
	s_cselect_b32 s1, -1, 0
.LBB86_3120:
	s_delay_alu instid0(SALU_CYCLE_1)
	s_and_b32 vcc_lo, exec_lo, s1
	s_cbranch_vccnz .LBB86_3183
; %bb.3121:
	s_and_not1_b32 vcc_lo, exec_lo, s4
	s_cbranch_vccnz .LBB86_3123
.LBB86_3122:
	s_wait_loadcnt 0x0
	global_load_u8 v0, v[2:3], off
	s_mov_b32 s5, -1
	s_wait_loadcnt 0x0
	v_cmp_ne_u16_e32 vcc_lo, 0, v0
	v_cndmask_b32_e64 v0, 0, 1, vcc_lo
.LBB86_3123:
	s_branch .LBB86_3054
.LBB86_3124:
	s_and_b32 s0, 0xffff, s48
	s_delay_alu instid0(SALU_CYCLE_1)
	s_cmp_lt_i32 s0, 5
	s_cbranch_scc1 .LBB86_3129
; %bb.3125:
	s_cmp_lt_i32 s0, 8
	s_cbranch_scc1 .LBB86_3130
; %bb.3126:
	;; [unrolled: 3-line block ×3, first 2 shown]
	s_cmp_gt_i32 s0, 9
	s_cbranch_scc0 .LBB86_3132
; %bb.3128:
	s_wait_loadcnt 0x0
	global_load_b64 v[0:1], v[2:3], off
	s_mov_b32 s1, 0
	s_wait_loadcnt 0x0
	v_cvt_i32_f64_e32 v0, v[0:1]
	s_branch .LBB86_3133
.LBB86_3129:
	s_mov_b32 s1, -1
                                        ; implicit-def: $vgpr0
	s_branch .LBB86_3151
.LBB86_3130:
	s_mov_b32 s1, -1
                                        ; implicit-def: $vgpr0
	s_branch .LBB86_3139
.LBB86_3131:
	s_mov_b32 s1, -1
                                        ; implicit-def: $vgpr0
	s_branch .LBB86_3136
.LBB86_3132:
	s_mov_b32 s1, -1
                                        ; implicit-def: $vgpr0
.LBB86_3133:
	s_delay_alu instid0(SALU_CYCLE_1)
	s_and_not1_b32 vcc_lo, exec_lo, s1
	s_cbranch_vccnz .LBB86_3135
; %bb.3134:
	s_wait_loadcnt 0x0
	global_load_b32 v0, v[2:3], off
	s_wait_loadcnt 0x0
	v_cvt_i32_f32_e32 v0, v0
.LBB86_3135:
	s_mov_b32 s1, 0
.LBB86_3136:
	s_delay_alu instid0(SALU_CYCLE_1)
	s_and_not1_b32 vcc_lo, exec_lo, s1
	s_cbranch_vccnz .LBB86_3138
; %bb.3137:
	s_wait_loadcnt 0x0
	global_load_b32 v0, v[2:3], off
	s_wait_loadcnt 0x0
	v_cvt_f32_f16_e32 v0, v0
	s_delay_alu instid0(VALU_DEP_1)
	v_cvt_i32_f32_e32 v0, v0
.LBB86_3138:
	s_mov_b32 s1, 0
.LBB86_3139:
	s_delay_alu instid0(SALU_CYCLE_1)
	s_and_not1_b32 vcc_lo, exec_lo, s1
	s_cbranch_vccnz .LBB86_3150
; %bb.3140:
	s_cmp_lt_i32 s0, 6
	s_cbranch_scc1 .LBB86_3143
; %bb.3141:
	s_cmp_gt_i32 s0, 6
	s_cbranch_scc0 .LBB86_3144
; %bb.3142:
	s_wait_loadcnt 0x0
	global_load_b64 v[0:1], v[2:3], off
	s_mov_b32 s1, 0
	s_wait_loadcnt 0x0
	v_cvt_i32_f64_e32 v0, v[0:1]
	s_branch .LBB86_3145
.LBB86_3143:
	s_mov_b32 s1, -1
                                        ; implicit-def: $vgpr0
	s_branch .LBB86_3148
.LBB86_3144:
	s_mov_b32 s1, -1
                                        ; implicit-def: $vgpr0
.LBB86_3145:
	s_delay_alu instid0(SALU_CYCLE_1)
	s_and_not1_b32 vcc_lo, exec_lo, s1
	s_cbranch_vccnz .LBB86_3147
; %bb.3146:
	s_wait_loadcnt 0x0
	global_load_b32 v0, v[2:3], off
	s_wait_loadcnt 0x0
	v_cvt_i32_f32_e32 v0, v0
.LBB86_3147:
	s_mov_b32 s1, 0
.LBB86_3148:
	s_delay_alu instid0(SALU_CYCLE_1)
	s_and_not1_b32 vcc_lo, exec_lo, s1
	s_cbranch_vccnz .LBB86_3150
; %bb.3149:
	s_wait_loadcnt 0x0
	global_load_u16 v0, v[2:3], off
	s_wait_loadcnt 0x0
	v_cvt_f32_f16_e32 v0, v0
	s_delay_alu instid0(VALU_DEP_1)
	v_cvt_i32_f32_e32 v0, v0
.LBB86_3150:
	s_mov_b32 s1, 0
.LBB86_3151:
	s_delay_alu instid0(SALU_CYCLE_1)
	s_and_not1_b32 vcc_lo, exec_lo, s1
	s_cbranch_vccnz .LBB86_3171
; %bb.3152:
	s_cmp_lt_i32 s0, 2
	s_cbranch_scc1 .LBB86_3156
; %bb.3153:
	s_cmp_lt_i32 s0, 3
	s_cbranch_scc1 .LBB86_3157
; %bb.3154:
	s_cmp_gt_i32 s0, 3
	s_cbranch_scc0 .LBB86_3158
; %bb.3155:
	s_wait_loadcnt 0x0
	global_load_b32 v0, v[2:3], off
	s_mov_b32 s1, 0
	s_branch .LBB86_3159
.LBB86_3156:
	s_mov_b32 s1, -1
                                        ; implicit-def: $vgpr0
	s_branch .LBB86_3165
.LBB86_3157:
	s_mov_b32 s1, -1
                                        ; implicit-def: $vgpr0
	s_branch .LBB86_3162
.LBB86_3158:
	s_mov_b32 s1, -1
                                        ; implicit-def: $vgpr0
.LBB86_3159:
	s_delay_alu instid0(SALU_CYCLE_1)
	s_and_not1_b32 vcc_lo, exec_lo, s1
	s_cbranch_vccnz .LBB86_3161
; %bb.3160:
	s_wait_loadcnt 0x0
	global_load_b32 v0, v[2:3], off
.LBB86_3161:
	s_mov_b32 s1, 0
.LBB86_3162:
	s_delay_alu instid0(SALU_CYCLE_1)
	s_and_not1_b32 vcc_lo, exec_lo, s1
	s_cbranch_vccnz .LBB86_3164
; %bb.3163:
	s_wait_loadcnt 0x0
	global_load_i16 v0, v[2:3], off
.LBB86_3164:
	s_mov_b32 s1, 0
.LBB86_3165:
	s_delay_alu instid0(SALU_CYCLE_1)
	s_and_not1_b32 vcc_lo, exec_lo, s1
	s_cbranch_vccnz .LBB86_3171
; %bb.3166:
	s_cmp_gt_i32 s0, 0
	s_mov_b32 s0, 0
	s_cbranch_scc0 .LBB86_3168
; %bb.3167:
	s_wait_loadcnt 0x0
	global_load_i8 v0, v[2:3], off
	s_branch .LBB86_3169
.LBB86_3168:
	s_mov_b32 s0, -1
                                        ; implicit-def: $vgpr0
.LBB86_3169:
	s_delay_alu instid0(SALU_CYCLE_1)
	s_and_not1_b32 vcc_lo, exec_lo, s0
	s_cbranch_vccnz .LBB86_3171
; %bb.3170:
	s_wait_loadcnt 0x0
	global_load_u8 v0, v[2:3], off
.LBB86_3171:
.LBB86_3172:
	s_clause 0x2
	s_load_b32 s49, s[24:25], 0x40
	s_load_b64 s[14:15], s[24:25], 0x20
	s_load_b32 s0, s[24:25], 0xf4
	s_wait_kmcnt 0x0
	v_mul_lo_u32 v6, s49, v22
	s_and_b32 s50, s0, 0xff
	s_delay_alu instid0(SALU_CYCLE_1) | instskip(NEXT) | instid1(VALU_DEP_1)
	s_cmp_lt_i32 s50, 11
	v_ashrrev_i32_e32 v7, 31, v6
	s_delay_alu instid0(VALU_DEP_1)
	v_add_nc_u64_e32 v[4:5], s[14:15], v[6:7]
	s_cbranch_scc1 .LBB86_3179
; %bb.3173:
	s_and_b32 s0, 0xffff, s50
	s_mov_b32 s4, 0
	s_cmp_gt_i32 s0, 25
	s_cbranch_scc0 .LBB86_3180
; %bb.3174:
	s_cmp_gt_i32 s0, 28
	s_cbranch_scc0 .LBB86_3181
; %bb.3175:
	;; [unrolled: 3-line block ×4, first 2 shown]
	s_cmp_eq_u32 s0, 46
	s_mov_b32 s6, 0
	s_cbranch_scc0 .LBB86_3185
; %bb.3178:
	global_load_b32 v1, v[4:5], off
	s_mov_b32 s1, 0
	s_mov_b32 s5, -1
	s_wait_loadcnt 0x0
	v_lshlrev_b32_e32 v1, 16, v1
	s_delay_alu instid0(VALU_DEP_1)
	v_cvt_i32_f32_e32 v2, v1
	s_branch .LBB86_3187
.LBB86_3179:
	s_mov_b32 s0, -1
	s_mov_b32 s5, 0
                                        ; implicit-def: $vgpr2
	s_branch .LBB86_3249
.LBB86_3180:
	s_mov_b32 s6, -1
	s_mov_b32 s5, 0
	s_mov_b32 s1, 0
                                        ; implicit-def: $vgpr2
	s_branch .LBB86_3214
.LBB86_3181:
	s_mov_b32 s6, -1
	s_mov_b32 s5, 0
	s_mov_b32 s1, 0
                                        ; implicit-def: $vgpr2
	s_branch .LBB86_3197
.LBB86_3182:
	s_mov_b32 s6, -1
	s_mov_b32 s5, 0
	s_mov_b32 s1, 0
                                        ; implicit-def: $vgpr2
	s_branch .LBB86_3192
.LBB86_3183:
	s_or_b32 s38, s38, exec_lo
	s_trap 2
	s_cbranch_execz .LBB86_3122
	s_branch .LBB86_3123
.LBB86_3184:
	s_mov_b32 s6, -1
	s_mov_b32 s5, 0
	s_mov_b32 s1, 0
	s_branch .LBB86_3186
.LBB86_3185:
	s_mov_b32 s1, -1
	s_mov_b32 s5, 0
.LBB86_3186:
                                        ; implicit-def: $vgpr2
.LBB86_3187:
	s_and_b32 vcc_lo, exec_lo, s6
	s_cbranch_vccz .LBB86_3191
; %bb.3188:
	s_cmp_eq_u32 s0, 44
	s_cbranch_scc0 .LBB86_3190
; %bb.3189:
	global_load_u8 v1, v[4:5], off
	s_mov_b32 s1, 0
	s_mov_b32 s5, -1
	s_wait_loadcnt 0x0
	v_lshlrev_b32_e32 v2, 23, v1
	v_cmp_ne_u32_e32 vcc_lo, 0, v1
	s_delay_alu instid0(VALU_DEP_2) | instskip(NEXT) | instid1(VALU_DEP_1)
	v_cvt_i32_f32_e32 v2, v2
	v_cndmask_b32_e32 v2, 0, v2, vcc_lo
	s_branch .LBB86_3191
.LBB86_3190:
	s_mov_b32 s1, -1
                                        ; implicit-def: $vgpr2
.LBB86_3191:
	s_mov_b32 s6, 0
.LBB86_3192:
	s_delay_alu instid0(SALU_CYCLE_1)
	s_and_b32 vcc_lo, exec_lo, s6
	s_cbranch_vccz .LBB86_3196
; %bb.3193:
	s_cmp_eq_u32 s0, 29
	s_cbranch_scc0 .LBB86_3195
; %bb.3194:
	global_load_b32 v2, v[4:5], off
	s_mov_b32 s1, 0
	s_mov_b32 s5, -1
	s_branch .LBB86_3196
.LBB86_3195:
	s_mov_b32 s1, -1
                                        ; implicit-def: $vgpr2
.LBB86_3196:
	s_mov_b32 s6, 0
.LBB86_3197:
	s_delay_alu instid0(SALU_CYCLE_1)
	s_and_b32 vcc_lo, exec_lo, s6
	s_cbranch_vccz .LBB86_3213
; %bb.3198:
	s_cmp_lt_i32 s0, 27
	s_cbranch_scc1 .LBB86_3201
; %bb.3199:
	s_cmp_gt_i32 s0, 27
	s_cbranch_scc0 .LBB86_3202
; %bb.3200:
	s_wait_loadcnt 0x0
	global_load_b32 v2, v[4:5], off
	s_mov_b32 s5, 0
	s_branch .LBB86_3203
.LBB86_3201:
	s_mov_b32 s5, -1
                                        ; implicit-def: $vgpr2
	s_branch .LBB86_3206
.LBB86_3202:
	s_mov_b32 s5, -1
                                        ; implicit-def: $vgpr2
.LBB86_3203:
	s_delay_alu instid0(SALU_CYCLE_1)
	s_and_not1_b32 vcc_lo, exec_lo, s5
	s_cbranch_vccnz .LBB86_3205
; %bb.3204:
	s_wait_loadcnt 0x0
	global_load_u16 v2, v[4:5], off
.LBB86_3205:
	s_mov_b32 s5, 0
.LBB86_3206:
	s_delay_alu instid0(SALU_CYCLE_1)
	s_and_not1_b32 vcc_lo, exec_lo, s5
	s_cbranch_vccnz .LBB86_3212
; %bb.3207:
	global_load_u8 v1, v[4:5], off
	s_mov_b32 s6, 0
	s_mov_b32 s5, exec_lo
	s_wait_loadcnt 0x0
	v_cmpx_lt_i16_e32 0x7f, v1
	s_xor_b32 s5, exec_lo, s5
	s_cbranch_execz .LBB86_3224
; %bb.3208:
	v_cmp_ne_u16_e32 vcc_lo, 0x80, v1
	s_and_b32 s6, vcc_lo, exec_lo
	s_and_not1_saveexec_b32 s5, s5
	s_cbranch_execnz .LBB86_3225
.LBB86_3209:
	s_or_b32 exec_lo, exec_lo, s5
	v_mov_b32_e32 v2, 0
	s_and_saveexec_b32 s5, s6
	s_cbranch_execz .LBB86_3211
.LBB86_3210:
	v_and_b32_e32 v2, 0xffff, v1
	s_delay_alu instid0(VALU_DEP_1) | instskip(SKIP_1) | instid1(VALU_DEP_2)
	v_and_b32_e32 v3, 7, v2
	v_bfe_u32 v9, v2, 3, 4
	v_clz_i32_u32_e32 v7, v3
	s_delay_alu instid0(VALU_DEP_2) | instskip(NEXT) | instid1(VALU_DEP_2)
	v_cmp_eq_u32_e32 vcc_lo, 0, v9
	v_min_u32_e32 v7, 32, v7
	s_delay_alu instid0(VALU_DEP_1) | instskip(NEXT) | instid1(VALU_DEP_1)
	v_subrev_nc_u32_e32 v8, 28, v7
	v_dual_lshlrev_b32 v2, v8, v2 :: v_dual_sub_nc_u32 v7, 29, v7
	s_delay_alu instid0(VALU_DEP_1) | instskip(NEXT) | instid1(VALU_DEP_1)
	v_dual_lshlrev_b32 v1, 24, v1 :: v_dual_bitop2_b32 v2, 7, v2 bitop3:0x40
	v_dual_cndmask_b32 v7, v9, v7 :: v_dual_cndmask_b32 v2, v3, v2
	s_delay_alu instid0(VALU_DEP_2) | instskip(NEXT) | instid1(VALU_DEP_2)
	v_and_b32_e32 v1, 0x80000000, v1
	v_lshl_add_u32 v3, v7, 23, 0x3b800000
	s_delay_alu instid0(VALU_DEP_3) | instskip(NEXT) | instid1(VALU_DEP_1)
	v_lshlrev_b32_e32 v2, 20, v2
	v_or3_b32 v1, v1, v3, v2
	s_delay_alu instid0(VALU_DEP_1)
	v_cvt_i32_f32_e32 v2, v1
.LBB86_3211:
	s_or_b32 exec_lo, exec_lo, s5
.LBB86_3212:
	s_mov_b32 s5, -1
.LBB86_3213:
	s_mov_b32 s6, 0
.LBB86_3214:
	s_delay_alu instid0(SALU_CYCLE_1)
	s_and_b32 vcc_lo, exec_lo, s6
	s_cbranch_vccz .LBB86_3245
; %bb.3215:
	s_cmp_gt_i32 s0, 22
	s_cbranch_scc0 .LBB86_3223
; %bb.3216:
	s_cmp_lt_i32 s0, 24
	s_cbranch_scc1 .LBB86_3226
; %bb.3217:
	s_cmp_gt_i32 s0, 24
	s_cbranch_scc0 .LBB86_3227
; %bb.3218:
	global_load_u8 v1, v[4:5], off
	s_mov_b32 s5, 0
	s_mov_b32 s4, exec_lo
	s_wait_loadcnt 0x0
	v_cmpx_lt_i16_e32 0x7f, v1
	s_xor_b32 s4, exec_lo, s4
	s_cbranch_execz .LBB86_3239
; %bb.3219:
	v_cmp_ne_u16_e32 vcc_lo, 0x80, v1
	s_and_b32 s5, vcc_lo, exec_lo
	s_and_not1_saveexec_b32 s4, s4
	s_cbranch_execnz .LBB86_3240
.LBB86_3220:
	s_or_b32 exec_lo, exec_lo, s4
	v_mov_b32_e32 v2, 0
	s_and_saveexec_b32 s4, s5
	s_cbranch_execz .LBB86_3222
.LBB86_3221:
	v_and_b32_e32 v2, 0xffff, v1
	s_delay_alu instid0(VALU_DEP_1) | instskip(SKIP_1) | instid1(VALU_DEP_2)
	v_and_b32_e32 v3, 3, v2
	v_bfe_u32 v9, v2, 2, 5
	v_clz_i32_u32_e32 v7, v3
	s_delay_alu instid0(VALU_DEP_2) | instskip(NEXT) | instid1(VALU_DEP_2)
	v_cmp_eq_u32_e32 vcc_lo, 0, v9
	v_min_u32_e32 v7, 32, v7
	s_delay_alu instid0(VALU_DEP_1) | instskip(NEXT) | instid1(VALU_DEP_1)
	v_subrev_nc_u32_e32 v8, 29, v7
	v_dual_lshlrev_b32 v2, v8, v2 :: v_dual_sub_nc_u32 v7, 30, v7
	s_delay_alu instid0(VALU_DEP_1) | instskip(NEXT) | instid1(VALU_DEP_1)
	v_dual_lshlrev_b32 v1, 24, v1 :: v_dual_bitop2_b32 v2, 3, v2 bitop3:0x40
	v_dual_cndmask_b32 v7, v9, v7 :: v_dual_cndmask_b32 v2, v3, v2
	s_delay_alu instid0(VALU_DEP_2) | instskip(NEXT) | instid1(VALU_DEP_2)
	v_and_b32_e32 v1, 0x80000000, v1
	v_lshl_add_u32 v3, v7, 23, 0x37800000
	s_delay_alu instid0(VALU_DEP_3) | instskip(NEXT) | instid1(VALU_DEP_1)
	v_lshlrev_b32_e32 v2, 21, v2
	v_or3_b32 v1, v1, v3, v2
	s_delay_alu instid0(VALU_DEP_1)
	v_cvt_i32_f32_e32 v2, v1
.LBB86_3222:
	s_or_b32 exec_lo, exec_lo, s4
	s_mov_b32 s4, 0
	s_branch .LBB86_3228
.LBB86_3223:
	s_mov_b32 s4, -1
                                        ; implicit-def: $vgpr2
	s_branch .LBB86_3234
.LBB86_3224:
	s_and_not1_saveexec_b32 s5, s5
	s_cbranch_execz .LBB86_3209
.LBB86_3225:
	v_cmp_ne_u16_e32 vcc_lo, 0, v1
	s_and_not1_b32 s6, s6, exec_lo
	s_and_b32 s7, vcc_lo, exec_lo
	s_delay_alu instid0(SALU_CYCLE_1)
	s_or_b32 s6, s6, s7
	s_or_b32 exec_lo, exec_lo, s5
	v_mov_b32_e32 v2, 0
	s_and_saveexec_b32 s5, s6
	s_cbranch_execnz .LBB86_3210
	s_branch .LBB86_3211
.LBB86_3226:
	s_mov_b32 s4, -1
                                        ; implicit-def: $vgpr2
	s_branch .LBB86_3231
.LBB86_3227:
	s_mov_b32 s4, -1
                                        ; implicit-def: $vgpr2
.LBB86_3228:
	s_delay_alu instid0(SALU_CYCLE_1)
	s_and_b32 vcc_lo, exec_lo, s4
	s_cbranch_vccz .LBB86_3230
; %bb.3229:
	global_load_u8 v1, v[4:5], off
	s_wait_loadcnt 0x0
	v_lshlrev_b32_e32 v1, 24, v1
	s_delay_alu instid0(VALU_DEP_1) | instskip(NEXT) | instid1(VALU_DEP_1)
	v_and_b32_e32 v2, 0x7f000000, v1
	v_clz_i32_u32_e32 v3, v2
	v_add_nc_u32_e32 v8, 0x1000000, v2
	v_cmp_ne_u32_e32 vcc_lo, 0, v2
	s_delay_alu instid0(VALU_DEP_3) | instskip(NEXT) | instid1(VALU_DEP_1)
	v_min_u32_e32 v3, 32, v3
	v_sub_nc_u32_e64 v3, v3, 4 clamp
	s_delay_alu instid0(VALU_DEP_1) | instskip(NEXT) | instid1(VALU_DEP_1)
	v_dual_lshlrev_b32 v7, v3, v2 :: v_dual_lshlrev_b32 v3, 23, v3
	v_lshrrev_b32_e32 v7, 4, v7
	s_delay_alu instid0(VALU_DEP_1) | instskip(NEXT) | instid1(VALU_DEP_1)
	v_dual_sub_nc_u32 v3, v7, v3 :: v_dual_ashrrev_i32 v7, 8, v8
	v_add_nc_u32_e32 v3, 0x3c000000, v3
	s_delay_alu instid0(VALU_DEP_1) | instskip(NEXT) | instid1(VALU_DEP_1)
	v_and_or_b32 v3, 0x7f800000, v7, v3
	v_cndmask_b32_e32 v2, 0, v3, vcc_lo
	s_delay_alu instid0(VALU_DEP_1) | instskip(NEXT) | instid1(VALU_DEP_1)
	v_and_or_b32 v1, 0x80000000, v1, v2
	v_cvt_i32_f32_e32 v2, v1
.LBB86_3230:
	s_mov_b32 s4, 0
.LBB86_3231:
	s_delay_alu instid0(SALU_CYCLE_1)
	s_and_not1_b32 vcc_lo, exec_lo, s4
	s_cbranch_vccnz .LBB86_3233
; %bb.3232:
	global_load_u8 v1, v[4:5], off
	s_wait_loadcnt 0x0
	v_lshlrev_b32_e32 v2, 25, v1
	v_lshlrev_b16 v1, 8, v1
	s_delay_alu instid0(VALU_DEP_1) | instskip(SKIP_1) | instid1(VALU_DEP_2)
	v_and_or_b32 v7, 0x7f00, v1, 0.5
	v_bfe_i32 v1, v1, 0, 16
	v_dual_add_f32 v7, -0.5, v7 :: v_dual_lshrrev_b32 v3, 4, v2
	v_cmp_gt_u32_e32 vcc_lo, 0x8000000, v2
	s_delay_alu instid0(VALU_DEP_2) | instskip(NEXT) | instid1(VALU_DEP_1)
	v_or_b32_e32 v3, 0x70000000, v3
	v_mul_f32_e32 v3, 0x7800000, v3
	s_delay_alu instid0(VALU_DEP_1) | instskip(NEXT) | instid1(VALU_DEP_1)
	v_cndmask_b32_e32 v2, v3, v7, vcc_lo
	v_and_or_b32 v1, 0x80000000, v1, v2
	s_delay_alu instid0(VALU_DEP_1)
	v_cvt_i32_f32_e32 v2, v1
.LBB86_3233:
	s_mov_b32 s4, 0
	s_mov_b32 s5, -1
.LBB86_3234:
	s_and_not1_b32 vcc_lo, exec_lo, s4
	s_mov_b32 s4, 0
	s_cbranch_vccnz .LBB86_3245
; %bb.3235:
	s_cmp_gt_i32 s0, 14
	s_cbranch_scc0 .LBB86_3238
; %bb.3236:
	s_cmp_eq_u32 s0, 15
	s_cbranch_scc0 .LBB86_3241
; %bb.3237:
	global_load_u16 v1, v[4:5], off
	s_mov_b32 s1, 0
	s_mov_b32 s5, -1
	s_wait_loadcnt 0x0
	v_lshlrev_b32_e32 v1, 16, v1
	s_delay_alu instid0(VALU_DEP_1)
	v_cvt_i32_f32_e32 v2, v1
	s_branch .LBB86_3243
.LBB86_3238:
	s_mov_b32 s4, -1
	s_branch .LBB86_3242
.LBB86_3239:
	s_and_not1_saveexec_b32 s4, s4
	s_cbranch_execz .LBB86_3220
.LBB86_3240:
	v_cmp_ne_u16_e32 vcc_lo, 0, v1
	s_and_not1_b32 s5, s5, exec_lo
	s_and_b32 s6, vcc_lo, exec_lo
	s_delay_alu instid0(SALU_CYCLE_1)
	s_or_b32 s5, s5, s6
	s_or_b32 exec_lo, exec_lo, s4
	v_mov_b32_e32 v2, 0
	s_and_saveexec_b32 s4, s5
	s_cbranch_execnz .LBB86_3221
	s_branch .LBB86_3222
.LBB86_3241:
	s_mov_b32 s1, -1
.LBB86_3242:
                                        ; implicit-def: $vgpr2
.LBB86_3243:
	s_and_b32 vcc_lo, exec_lo, s4
	s_mov_b32 s4, 0
	s_cbranch_vccz .LBB86_3245
; %bb.3244:
	s_cmp_lg_u32 s0, 11
	s_mov_b32 s4, -1
	s_cselect_b32 s1, -1, 0
.LBB86_3245:
	s_delay_alu instid0(SALU_CYCLE_1)
	s_and_b32 vcc_lo, exec_lo, s1
	s_cbranch_vccnz .LBB86_3310
; %bb.3246:
	s_and_not1_b32 vcc_lo, exec_lo, s4
	s_cbranch_vccnz .LBB86_3248
.LBB86_3247:
	global_load_u8 v1, v[4:5], off
	s_mov_b32 s5, -1
	s_wait_loadcnt 0x0
	v_cmp_ne_u16_e32 vcc_lo, 0, v1
	v_cndmask_b32_e64 v2, 0, 1, vcc_lo
.LBB86_3248:
	s_mov_b32 s0, 0
.LBB86_3249:
	s_delay_alu instid0(SALU_CYCLE_1)
	s_and_b32 vcc_lo, exec_lo, s0
	s_cbranch_vccz .LBB86_3298
; %bb.3250:
	s_and_b32 s0, 0xffff, s50
	s_delay_alu instid0(SALU_CYCLE_1)
	s_cmp_lt_i32 s0, 5
	s_cbranch_scc1 .LBB86_3255
; %bb.3251:
	s_cmp_lt_i32 s0, 8
	s_cbranch_scc1 .LBB86_3256
; %bb.3252:
	;; [unrolled: 3-line block ×3, first 2 shown]
	s_cmp_gt_i32 s0, 9
	s_cbranch_scc0 .LBB86_3258
; %bb.3254:
	s_wait_loadcnt 0x0
	global_load_b64 v[2:3], v[4:5], off
	s_mov_b32 s1, 0
	s_wait_loadcnt 0x0
	v_cvt_i32_f64_e32 v2, v[2:3]
	s_branch .LBB86_3259
.LBB86_3255:
	s_mov_b32 s1, -1
                                        ; implicit-def: $vgpr2
	s_branch .LBB86_3277
.LBB86_3256:
	s_mov_b32 s1, -1
                                        ; implicit-def: $vgpr2
	s_branch .LBB86_3265
.LBB86_3257:
	s_mov_b32 s1, -1
                                        ; implicit-def: $vgpr2
	s_branch .LBB86_3262
.LBB86_3258:
	s_mov_b32 s1, -1
                                        ; implicit-def: $vgpr2
.LBB86_3259:
	s_delay_alu instid0(SALU_CYCLE_1)
	s_and_not1_b32 vcc_lo, exec_lo, s1
	s_cbranch_vccnz .LBB86_3261
; %bb.3260:
	global_load_b32 v1, v[4:5], off
	s_wait_loadcnt 0x0
	v_cvt_i32_f32_e32 v2, v1
.LBB86_3261:
	s_mov_b32 s1, 0
.LBB86_3262:
	s_delay_alu instid0(SALU_CYCLE_1)
	s_and_not1_b32 vcc_lo, exec_lo, s1
	s_cbranch_vccnz .LBB86_3264
; %bb.3263:
	global_load_b32 v1, v[4:5], off
	s_wait_loadcnt 0x0
	v_cvt_f32_f16_e32 v1, v1
	s_delay_alu instid0(VALU_DEP_1)
	v_cvt_i32_f32_e32 v2, v1
.LBB86_3264:
	s_mov_b32 s1, 0
.LBB86_3265:
	s_delay_alu instid0(SALU_CYCLE_1)
	s_and_not1_b32 vcc_lo, exec_lo, s1
	s_cbranch_vccnz .LBB86_3276
; %bb.3266:
	s_cmp_lt_i32 s0, 6
	s_cbranch_scc1 .LBB86_3269
; %bb.3267:
	s_cmp_gt_i32 s0, 6
	s_cbranch_scc0 .LBB86_3270
; %bb.3268:
	s_wait_loadcnt 0x0
	global_load_b64 v[2:3], v[4:5], off
	s_mov_b32 s1, 0
	s_wait_loadcnt 0x0
	v_cvt_i32_f64_e32 v2, v[2:3]
	s_branch .LBB86_3271
.LBB86_3269:
	s_mov_b32 s1, -1
                                        ; implicit-def: $vgpr2
	s_branch .LBB86_3274
.LBB86_3270:
	s_mov_b32 s1, -1
                                        ; implicit-def: $vgpr2
.LBB86_3271:
	s_delay_alu instid0(SALU_CYCLE_1)
	s_and_not1_b32 vcc_lo, exec_lo, s1
	s_cbranch_vccnz .LBB86_3273
; %bb.3272:
	global_load_b32 v1, v[4:5], off
	s_wait_loadcnt 0x0
	v_cvt_i32_f32_e32 v2, v1
.LBB86_3273:
	s_mov_b32 s1, 0
.LBB86_3274:
	s_delay_alu instid0(SALU_CYCLE_1)
	s_and_not1_b32 vcc_lo, exec_lo, s1
	s_cbranch_vccnz .LBB86_3276
; %bb.3275:
	global_load_u16 v1, v[4:5], off
	s_wait_loadcnt 0x0
	v_cvt_f32_f16_e32 v1, v1
	s_delay_alu instid0(VALU_DEP_1)
	v_cvt_i32_f32_e32 v2, v1
.LBB86_3276:
	s_mov_b32 s1, 0
.LBB86_3277:
	s_delay_alu instid0(SALU_CYCLE_1)
	s_and_not1_b32 vcc_lo, exec_lo, s1
	s_cbranch_vccnz .LBB86_3297
; %bb.3278:
	s_cmp_lt_i32 s0, 2
	s_cbranch_scc1 .LBB86_3282
; %bb.3279:
	s_cmp_lt_i32 s0, 3
	s_cbranch_scc1 .LBB86_3283
; %bb.3280:
	s_cmp_gt_i32 s0, 3
	s_cbranch_scc0 .LBB86_3284
; %bb.3281:
	s_wait_loadcnt 0x0
	global_load_b32 v2, v[4:5], off
	s_mov_b32 s1, 0
	s_branch .LBB86_3285
.LBB86_3282:
	s_mov_b32 s1, -1
                                        ; implicit-def: $vgpr2
	s_branch .LBB86_3291
.LBB86_3283:
	s_mov_b32 s1, -1
                                        ; implicit-def: $vgpr2
	s_branch .LBB86_3288
.LBB86_3284:
	s_mov_b32 s1, -1
                                        ; implicit-def: $vgpr2
.LBB86_3285:
	s_delay_alu instid0(SALU_CYCLE_1)
	s_and_not1_b32 vcc_lo, exec_lo, s1
	s_cbranch_vccnz .LBB86_3287
; %bb.3286:
	s_wait_loadcnt 0x0
	global_load_b32 v2, v[4:5], off
.LBB86_3287:
	s_mov_b32 s1, 0
.LBB86_3288:
	s_delay_alu instid0(SALU_CYCLE_1)
	s_and_not1_b32 vcc_lo, exec_lo, s1
	s_cbranch_vccnz .LBB86_3290
; %bb.3289:
	s_wait_loadcnt 0x0
	global_load_i16 v2, v[4:5], off
.LBB86_3290:
	s_mov_b32 s1, 0
.LBB86_3291:
	s_delay_alu instid0(SALU_CYCLE_1)
	s_and_not1_b32 vcc_lo, exec_lo, s1
	s_cbranch_vccnz .LBB86_3297
; %bb.3292:
	s_cmp_gt_i32 s0, 0
	s_mov_b32 s0, 0
	s_cbranch_scc0 .LBB86_3294
; %bb.3293:
	s_wait_loadcnt 0x0
	global_load_i8 v2, v[4:5], off
	s_branch .LBB86_3295
.LBB86_3294:
	s_mov_b32 s0, -1
                                        ; implicit-def: $vgpr2
.LBB86_3295:
	s_delay_alu instid0(SALU_CYCLE_1)
	s_and_not1_b32 vcc_lo, exec_lo, s0
	s_cbranch_vccnz .LBB86_3297
; %bb.3296:
	s_wait_loadcnt 0x0
	global_load_u8 v2, v[4:5], off
.LBB86_3297:
	s_mov_b32 s5, -1
.LBB86_3298:
	s_delay_alu instid0(SALU_CYCLE_1)
	s_and_not1_b32 vcc_lo, exec_lo, s5
	s_cbranch_vccnz .LBB86_3434
; %bb.3299:
	s_clause 0x1
	s_load_b32 s51, s[24:25], 0x44
	s_load_b64 s[16:17], s[24:25], 0x28
	s_wait_kmcnt 0x0
	v_mul_lo_u32 v8, s51, v22
	s_delay_alu instid0(VALU_DEP_1)
	v_dual_mov_b32 v1, 0 :: v_dual_ashrrev_i32 v9, 31, v8
	global_load_u8 v1, v1, s[24:25] offset:245
	v_add_nc_u64_e32 v[4:5], s[16:17], v[8:9]
	s_wait_loadcnt 0x0
	v_and_b32_e32 v3, 0xffff, v1
	v_readfirstlane_b32 s52, v1
	s_delay_alu instid0(VALU_DEP_2)
	v_cmp_gt_i32_e32 vcc_lo, 11, v3
	s_cbranch_vccnz .LBB86_3306
; %bb.3300:
	s_and_b32 s0, 0xffff, s52
	s_mov_b32 s4, 0
	s_cmp_gt_i32 s0, 25
	s_cbranch_scc0 .LBB86_3307
; %bb.3301:
	s_cmp_gt_i32 s0, 28
	s_cbranch_scc0 .LBB86_3308
; %bb.3302:
	;; [unrolled: 3-line block ×4, first 2 shown]
	s_cmp_eq_u32 s0, 46
	s_mov_b32 s6, 0
	s_cbranch_scc0 .LBB86_3312
; %bb.3305:
	global_load_b32 v1, v[4:5], off
	s_mov_b32 s1, 0
	s_mov_b32 s5, -1
	s_wait_loadcnt 0x0
	v_lshlrev_b32_e32 v1, 16, v1
	s_delay_alu instid0(VALU_DEP_1)
	v_cvt_i32_f32_e32 v10, v1
	s_branch .LBB86_3314
.LBB86_3306:
	s_mov_b32 s0, -1
	s_mov_b32 s5, 0
                                        ; implicit-def: $vgpr10
	s_branch .LBB86_3376
.LBB86_3307:
	s_mov_b32 s6, -1
	s_mov_b32 s5, 0
	s_mov_b32 s1, 0
                                        ; implicit-def: $vgpr10
	s_branch .LBB86_3341
.LBB86_3308:
	s_mov_b32 s6, -1
	s_mov_b32 s5, 0
	s_mov_b32 s1, 0
                                        ; implicit-def: $vgpr10
	s_branch .LBB86_3324
.LBB86_3309:
	s_mov_b32 s6, -1
	s_mov_b32 s5, 0
	s_mov_b32 s1, 0
                                        ; implicit-def: $vgpr10
	s_branch .LBB86_3319
.LBB86_3310:
	s_or_b32 s38, s38, exec_lo
	s_trap 2
	s_cbranch_execz .LBB86_3247
	s_branch .LBB86_3248
.LBB86_3311:
	s_mov_b32 s6, -1
	s_mov_b32 s5, 0
	s_mov_b32 s1, 0
	s_branch .LBB86_3313
.LBB86_3312:
	s_mov_b32 s1, -1
	s_mov_b32 s5, 0
.LBB86_3313:
                                        ; implicit-def: $vgpr10
.LBB86_3314:
	s_and_b32 vcc_lo, exec_lo, s6
	s_cbranch_vccz .LBB86_3318
; %bb.3315:
	s_cmp_eq_u32 s0, 44
	s_cbranch_scc0 .LBB86_3317
; %bb.3316:
	global_load_u8 v1, v[4:5], off
	s_mov_b32 s1, 0
	s_mov_b32 s5, -1
	s_wait_loadcnt 0x0
	v_lshlrev_b32_e32 v3, 23, v1
	v_cmp_ne_u32_e32 vcc_lo, 0, v1
	s_delay_alu instid0(VALU_DEP_2) | instskip(NEXT) | instid1(VALU_DEP_1)
	v_cvt_i32_f32_e32 v3, v3
	v_cndmask_b32_e32 v10, 0, v3, vcc_lo
	s_branch .LBB86_3318
.LBB86_3317:
	s_mov_b32 s1, -1
                                        ; implicit-def: $vgpr10
.LBB86_3318:
	s_mov_b32 s6, 0
.LBB86_3319:
	s_delay_alu instid0(SALU_CYCLE_1)
	s_and_b32 vcc_lo, exec_lo, s6
	s_cbranch_vccz .LBB86_3323
; %bb.3320:
	s_cmp_eq_u32 s0, 29
	s_cbranch_scc0 .LBB86_3322
; %bb.3321:
	global_load_b32 v10, v[4:5], off
	s_mov_b32 s1, 0
	s_mov_b32 s5, -1
	s_branch .LBB86_3323
.LBB86_3322:
	s_mov_b32 s1, -1
                                        ; implicit-def: $vgpr10
.LBB86_3323:
	s_mov_b32 s6, 0
.LBB86_3324:
	s_delay_alu instid0(SALU_CYCLE_1)
	s_and_b32 vcc_lo, exec_lo, s6
	s_cbranch_vccz .LBB86_3340
; %bb.3325:
	s_cmp_lt_i32 s0, 27
	s_cbranch_scc1 .LBB86_3328
; %bb.3326:
	s_cmp_gt_i32 s0, 27
	s_cbranch_scc0 .LBB86_3329
; %bb.3327:
	s_wait_loadcnt 0x0
	global_load_b32 v10, v[4:5], off
	s_mov_b32 s5, 0
	s_branch .LBB86_3330
.LBB86_3328:
	s_mov_b32 s5, -1
                                        ; implicit-def: $vgpr10
	s_branch .LBB86_3333
.LBB86_3329:
	s_mov_b32 s5, -1
                                        ; implicit-def: $vgpr10
.LBB86_3330:
	s_delay_alu instid0(SALU_CYCLE_1)
	s_and_not1_b32 vcc_lo, exec_lo, s5
	s_cbranch_vccnz .LBB86_3332
; %bb.3331:
	s_wait_loadcnt 0x0
	global_load_u16 v10, v[4:5], off
.LBB86_3332:
	s_mov_b32 s5, 0
.LBB86_3333:
	s_delay_alu instid0(SALU_CYCLE_1)
	s_and_not1_b32 vcc_lo, exec_lo, s5
	s_cbranch_vccnz .LBB86_3339
; %bb.3334:
	global_load_u8 v1, v[4:5], off
	s_mov_b32 s6, 0
	s_mov_b32 s5, exec_lo
	s_wait_loadcnt 0x0
	v_cmpx_lt_i16_e32 0x7f, v1
	s_xor_b32 s5, exec_lo, s5
	s_cbranch_execz .LBB86_3351
; %bb.3335:
	v_cmp_ne_u16_e32 vcc_lo, 0x80, v1
	s_and_b32 s6, vcc_lo, exec_lo
	s_and_not1_saveexec_b32 s5, s5
	s_cbranch_execnz .LBB86_3352
.LBB86_3336:
	s_or_b32 exec_lo, exec_lo, s5
	v_mov_b32_e32 v10, 0
	s_and_saveexec_b32 s5, s6
	s_cbranch_execz .LBB86_3338
.LBB86_3337:
	v_and_b32_e32 v3, 0xffff, v1
	s_delay_alu instid0(VALU_DEP_1) | instskip(SKIP_1) | instid1(VALU_DEP_2)
	v_and_b32_e32 v7, 7, v3
	v_bfe_u32 v11, v3, 3, 4
	v_clz_i32_u32_e32 v9, v7
	s_delay_alu instid0(VALU_DEP_2) | instskip(NEXT) | instid1(VALU_DEP_2)
	v_cmp_eq_u32_e32 vcc_lo, 0, v11
	v_min_u32_e32 v9, 32, v9
	s_delay_alu instid0(VALU_DEP_1) | instskip(NEXT) | instid1(VALU_DEP_1)
	v_subrev_nc_u32_e32 v10, 28, v9
	v_dual_lshlrev_b32 v3, v10, v3 :: v_dual_sub_nc_u32 v9, 29, v9
	s_delay_alu instid0(VALU_DEP_1) | instskip(NEXT) | instid1(VALU_DEP_1)
	v_dual_lshlrev_b32 v1, 24, v1 :: v_dual_bitop2_b32 v3, 7, v3 bitop3:0x40
	v_cndmask_b32_e32 v3, v7, v3, vcc_lo
	s_delay_alu instid0(VALU_DEP_3) | instskip(NEXT) | instid1(VALU_DEP_3)
	v_cndmask_b32_e32 v9, v11, v9, vcc_lo
	v_and_b32_e32 v1, 0x80000000, v1
	s_delay_alu instid0(VALU_DEP_3) | instskip(NEXT) | instid1(VALU_DEP_3)
	v_lshlrev_b32_e32 v3, 20, v3
	v_lshl_add_u32 v7, v9, 23, 0x3b800000
	s_delay_alu instid0(VALU_DEP_1) | instskip(NEXT) | instid1(VALU_DEP_1)
	v_or3_b32 v1, v1, v7, v3
	v_cvt_i32_f32_e32 v10, v1
.LBB86_3338:
	s_or_b32 exec_lo, exec_lo, s5
.LBB86_3339:
	s_mov_b32 s5, -1
.LBB86_3340:
	s_mov_b32 s6, 0
.LBB86_3341:
	s_delay_alu instid0(SALU_CYCLE_1)
	s_and_b32 vcc_lo, exec_lo, s6
	s_cbranch_vccz .LBB86_3372
; %bb.3342:
	s_cmp_gt_i32 s0, 22
	s_cbranch_scc0 .LBB86_3350
; %bb.3343:
	s_cmp_lt_i32 s0, 24
	s_cbranch_scc1 .LBB86_3353
; %bb.3344:
	s_cmp_gt_i32 s0, 24
	s_cbranch_scc0 .LBB86_3354
; %bb.3345:
	global_load_u8 v1, v[4:5], off
	s_mov_b32 s5, 0
	s_mov_b32 s4, exec_lo
	s_wait_loadcnt 0x0
	v_cmpx_lt_i16_e32 0x7f, v1
	s_xor_b32 s4, exec_lo, s4
	s_cbranch_execz .LBB86_3366
; %bb.3346:
	v_cmp_ne_u16_e32 vcc_lo, 0x80, v1
	s_and_b32 s5, vcc_lo, exec_lo
	s_and_not1_saveexec_b32 s4, s4
	s_cbranch_execnz .LBB86_3367
.LBB86_3347:
	s_or_b32 exec_lo, exec_lo, s4
	v_mov_b32_e32 v10, 0
	s_and_saveexec_b32 s4, s5
	s_cbranch_execz .LBB86_3349
.LBB86_3348:
	v_and_b32_e32 v3, 0xffff, v1
	s_delay_alu instid0(VALU_DEP_1) | instskip(SKIP_1) | instid1(VALU_DEP_2)
	v_and_b32_e32 v7, 3, v3
	v_bfe_u32 v11, v3, 2, 5
	v_clz_i32_u32_e32 v9, v7
	s_delay_alu instid0(VALU_DEP_2) | instskip(NEXT) | instid1(VALU_DEP_2)
	v_cmp_eq_u32_e32 vcc_lo, 0, v11
	v_min_u32_e32 v9, 32, v9
	s_delay_alu instid0(VALU_DEP_1) | instskip(NEXT) | instid1(VALU_DEP_1)
	v_subrev_nc_u32_e32 v10, 29, v9
	v_dual_lshlrev_b32 v3, v10, v3 :: v_dual_sub_nc_u32 v9, 30, v9
	s_delay_alu instid0(VALU_DEP_1) | instskip(NEXT) | instid1(VALU_DEP_1)
	v_dual_lshlrev_b32 v1, 24, v1 :: v_dual_bitop2_b32 v3, 3, v3 bitop3:0x40
	v_cndmask_b32_e32 v3, v7, v3, vcc_lo
	s_delay_alu instid0(VALU_DEP_3) | instskip(NEXT) | instid1(VALU_DEP_3)
	v_cndmask_b32_e32 v9, v11, v9, vcc_lo
	v_and_b32_e32 v1, 0x80000000, v1
	s_delay_alu instid0(VALU_DEP_3) | instskip(NEXT) | instid1(VALU_DEP_3)
	v_lshlrev_b32_e32 v3, 21, v3
	v_lshl_add_u32 v7, v9, 23, 0x37800000
	s_delay_alu instid0(VALU_DEP_1) | instskip(NEXT) | instid1(VALU_DEP_1)
	v_or3_b32 v1, v1, v7, v3
	v_cvt_i32_f32_e32 v10, v1
.LBB86_3349:
	s_or_b32 exec_lo, exec_lo, s4
	s_mov_b32 s4, 0
	s_branch .LBB86_3355
.LBB86_3350:
	s_mov_b32 s4, -1
                                        ; implicit-def: $vgpr10
	s_branch .LBB86_3361
.LBB86_3351:
	s_and_not1_saveexec_b32 s5, s5
	s_cbranch_execz .LBB86_3336
.LBB86_3352:
	v_cmp_ne_u16_e32 vcc_lo, 0, v1
	s_and_not1_b32 s6, s6, exec_lo
	s_and_b32 s7, vcc_lo, exec_lo
	s_delay_alu instid0(SALU_CYCLE_1)
	s_or_b32 s6, s6, s7
	s_or_b32 exec_lo, exec_lo, s5
	v_mov_b32_e32 v10, 0
	s_and_saveexec_b32 s5, s6
	s_cbranch_execnz .LBB86_3337
	s_branch .LBB86_3338
.LBB86_3353:
	s_mov_b32 s4, -1
                                        ; implicit-def: $vgpr10
	s_branch .LBB86_3358
.LBB86_3354:
	s_mov_b32 s4, -1
                                        ; implicit-def: $vgpr10
.LBB86_3355:
	s_delay_alu instid0(SALU_CYCLE_1)
	s_and_b32 vcc_lo, exec_lo, s4
	s_cbranch_vccz .LBB86_3357
; %bb.3356:
	global_load_u8 v1, v[4:5], off
	s_wait_loadcnt 0x0
	v_lshlrev_b32_e32 v1, 24, v1
	s_delay_alu instid0(VALU_DEP_1) | instskip(NEXT) | instid1(VALU_DEP_1)
	v_and_b32_e32 v3, 0x7f000000, v1
	v_clz_i32_u32_e32 v7, v3
	v_add_nc_u32_e32 v10, 0x1000000, v3
	v_cmp_ne_u32_e32 vcc_lo, 0, v3
	s_delay_alu instid0(VALU_DEP_3) | instskip(NEXT) | instid1(VALU_DEP_1)
	v_min_u32_e32 v7, 32, v7
	v_sub_nc_u32_e64 v7, v7, 4 clamp
	s_delay_alu instid0(VALU_DEP_1) | instskip(NEXT) | instid1(VALU_DEP_1)
	v_lshlrev_b32_e32 v9, v7, v3
	v_dual_lshlrev_b32 v7, 23, v7 :: v_dual_lshrrev_b32 v9, 4, v9
	s_delay_alu instid0(VALU_DEP_1) | instskip(NEXT) | instid1(VALU_DEP_1)
	v_dual_sub_nc_u32 v7, v9, v7 :: v_dual_ashrrev_i32 v9, 8, v10
	v_add_nc_u32_e32 v7, 0x3c000000, v7
	s_delay_alu instid0(VALU_DEP_1) | instskip(NEXT) | instid1(VALU_DEP_1)
	v_and_or_b32 v7, 0x7f800000, v9, v7
	v_cndmask_b32_e32 v3, 0, v7, vcc_lo
	s_delay_alu instid0(VALU_DEP_1) | instskip(NEXT) | instid1(VALU_DEP_1)
	v_and_or_b32 v1, 0x80000000, v1, v3
	v_cvt_i32_f32_e32 v10, v1
.LBB86_3357:
	s_mov_b32 s4, 0
.LBB86_3358:
	s_delay_alu instid0(SALU_CYCLE_1)
	s_and_not1_b32 vcc_lo, exec_lo, s4
	s_cbranch_vccnz .LBB86_3360
; %bb.3359:
	global_load_u8 v1, v[4:5], off
	s_wait_loadcnt 0x0
	v_lshlrev_b32_e32 v3, 25, v1
	v_lshlrev_b16 v1, 8, v1
	s_delay_alu instid0(VALU_DEP_2) | instskip(NEXT) | instid1(VALU_DEP_2)
	v_cmp_gt_u32_e32 vcc_lo, 0x8000000, v3
	v_and_or_b32 v9, 0x7f00, v1, 0.5
	v_lshrrev_b32_e32 v7, 4, v3
	v_bfe_i32 v1, v1, 0, 16
	s_delay_alu instid0(VALU_DEP_3) | instskip(NEXT) | instid1(VALU_DEP_3)
	v_add_f32_e32 v9, -0.5, v9
	v_or_b32_e32 v7, 0x70000000, v7
	s_delay_alu instid0(VALU_DEP_1) | instskip(NEXT) | instid1(VALU_DEP_1)
	v_mul_f32_e32 v7, 0x7800000, v7
	v_cndmask_b32_e32 v3, v7, v9, vcc_lo
	s_delay_alu instid0(VALU_DEP_1) | instskip(NEXT) | instid1(VALU_DEP_1)
	v_and_or_b32 v1, 0x80000000, v1, v3
	v_cvt_i32_f32_e32 v10, v1
.LBB86_3360:
	s_mov_b32 s4, 0
	s_mov_b32 s5, -1
.LBB86_3361:
	s_and_not1_b32 vcc_lo, exec_lo, s4
	s_mov_b32 s4, 0
	s_cbranch_vccnz .LBB86_3372
; %bb.3362:
	s_cmp_gt_i32 s0, 14
	s_cbranch_scc0 .LBB86_3365
; %bb.3363:
	s_cmp_eq_u32 s0, 15
	s_cbranch_scc0 .LBB86_3368
; %bb.3364:
	global_load_u16 v1, v[4:5], off
	s_mov_b32 s1, 0
	s_mov_b32 s5, -1
	s_wait_loadcnt 0x0
	v_lshlrev_b32_e32 v1, 16, v1
	s_delay_alu instid0(VALU_DEP_1)
	v_cvt_i32_f32_e32 v10, v1
	s_branch .LBB86_3370
.LBB86_3365:
	s_mov_b32 s4, -1
	s_branch .LBB86_3369
.LBB86_3366:
	s_and_not1_saveexec_b32 s4, s4
	s_cbranch_execz .LBB86_3347
.LBB86_3367:
	v_cmp_ne_u16_e32 vcc_lo, 0, v1
	s_and_not1_b32 s5, s5, exec_lo
	s_and_b32 s6, vcc_lo, exec_lo
	s_delay_alu instid0(SALU_CYCLE_1)
	s_or_b32 s5, s5, s6
	s_or_b32 exec_lo, exec_lo, s4
	v_mov_b32_e32 v10, 0
	s_and_saveexec_b32 s4, s5
	s_cbranch_execnz .LBB86_3348
	s_branch .LBB86_3349
.LBB86_3368:
	s_mov_b32 s1, -1
.LBB86_3369:
                                        ; implicit-def: $vgpr10
.LBB86_3370:
	s_and_b32 vcc_lo, exec_lo, s4
	s_mov_b32 s4, 0
	s_cbranch_vccz .LBB86_3372
; %bb.3371:
	s_cmp_lg_u32 s0, 11
	s_mov_b32 s4, -1
	s_cselect_b32 s1, -1, 0
.LBB86_3372:
	s_delay_alu instid0(SALU_CYCLE_1)
	s_and_b32 vcc_lo, exec_lo, s1
	s_cbranch_vccnz .LBB86_3499
; %bb.3373:
	s_and_not1_b32 vcc_lo, exec_lo, s4
	s_cbranch_vccnz .LBB86_3375
.LBB86_3374:
	global_load_u8 v1, v[4:5], off
	s_mov_b32 s5, -1
	s_wait_loadcnt 0x0
	v_cmp_ne_u16_e32 vcc_lo, 0, v1
	v_cndmask_b32_e64 v10, 0, 1, vcc_lo
.LBB86_3375:
	s_mov_b32 s0, 0
.LBB86_3376:
	s_delay_alu instid0(SALU_CYCLE_1)
	s_and_b32 vcc_lo, exec_lo, s0
	s_cbranch_vccz .LBB86_3425
; %bb.3377:
	s_and_b32 s0, 0xffff, s52
	s_delay_alu instid0(SALU_CYCLE_1)
	s_cmp_lt_i32 s0, 5
	s_cbranch_scc1 .LBB86_3382
; %bb.3378:
	s_cmp_lt_i32 s0, 8
	s_cbranch_scc1 .LBB86_3383
; %bb.3379:
	;; [unrolled: 3-line block ×3, first 2 shown]
	s_cmp_gt_i32 s0, 9
	s_cbranch_scc0 .LBB86_3385
; %bb.3381:
	s_wait_loadcnt 0x0
	global_load_b64 v[10:11], v[4:5], off
	s_mov_b32 s1, 0
	s_wait_loadcnt 0x0
	v_cvt_i32_f64_e32 v10, v[10:11]
	s_branch .LBB86_3386
.LBB86_3382:
	s_mov_b32 s1, -1
                                        ; implicit-def: $vgpr10
	s_branch .LBB86_3404
.LBB86_3383:
	s_mov_b32 s1, -1
                                        ; implicit-def: $vgpr10
	s_branch .LBB86_3392
.LBB86_3384:
	s_mov_b32 s1, -1
                                        ; implicit-def: $vgpr10
	s_branch .LBB86_3389
.LBB86_3385:
	s_mov_b32 s1, -1
                                        ; implicit-def: $vgpr10
.LBB86_3386:
	s_delay_alu instid0(SALU_CYCLE_1)
	s_and_not1_b32 vcc_lo, exec_lo, s1
	s_cbranch_vccnz .LBB86_3388
; %bb.3387:
	global_load_b32 v1, v[4:5], off
	s_wait_loadcnt 0x0
	v_cvt_i32_f32_e32 v10, v1
.LBB86_3388:
	s_mov_b32 s1, 0
.LBB86_3389:
	s_delay_alu instid0(SALU_CYCLE_1)
	s_and_not1_b32 vcc_lo, exec_lo, s1
	s_cbranch_vccnz .LBB86_3391
; %bb.3390:
	global_load_b32 v1, v[4:5], off
	s_wait_loadcnt 0x0
	v_cvt_f32_f16_e32 v1, v1
	s_delay_alu instid0(VALU_DEP_1)
	v_cvt_i32_f32_e32 v10, v1
.LBB86_3391:
	s_mov_b32 s1, 0
.LBB86_3392:
	s_delay_alu instid0(SALU_CYCLE_1)
	s_and_not1_b32 vcc_lo, exec_lo, s1
	s_cbranch_vccnz .LBB86_3403
; %bb.3393:
	s_cmp_lt_i32 s0, 6
	s_cbranch_scc1 .LBB86_3396
; %bb.3394:
	s_cmp_gt_i32 s0, 6
	s_cbranch_scc0 .LBB86_3397
; %bb.3395:
	s_wait_loadcnt 0x0
	global_load_b64 v[10:11], v[4:5], off
	s_mov_b32 s1, 0
	s_wait_loadcnt 0x0
	v_cvt_i32_f64_e32 v10, v[10:11]
	s_branch .LBB86_3398
.LBB86_3396:
	s_mov_b32 s1, -1
                                        ; implicit-def: $vgpr10
	s_branch .LBB86_3401
.LBB86_3397:
	s_mov_b32 s1, -1
                                        ; implicit-def: $vgpr10
.LBB86_3398:
	s_delay_alu instid0(SALU_CYCLE_1)
	s_and_not1_b32 vcc_lo, exec_lo, s1
	s_cbranch_vccnz .LBB86_3400
; %bb.3399:
	global_load_b32 v1, v[4:5], off
	s_wait_loadcnt 0x0
	v_cvt_i32_f32_e32 v10, v1
.LBB86_3400:
	s_mov_b32 s1, 0
.LBB86_3401:
	s_delay_alu instid0(SALU_CYCLE_1)
	s_and_not1_b32 vcc_lo, exec_lo, s1
	s_cbranch_vccnz .LBB86_3403
; %bb.3402:
	global_load_u16 v1, v[4:5], off
	s_wait_loadcnt 0x0
	v_cvt_f32_f16_e32 v1, v1
	s_delay_alu instid0(VALU_DEP_1)
	v_cvt_i32_f32_e32 v10, v1
.LBB86_3403:
	s_mov_b32 s1, 0
.LBB86_3404:
	s_delay_alu instid0(SALU_CYCLE_1)
	s_and_not1_b32 vcc_lo, exec_lo, s1
	s_cbranch_vccnz .LBB86_3424
; %bb.3405:
	s_cmp_lt_i32 s0, 2
	s_cbranch_scc1 .LBB86_3409
; %bb.3406:
	s_cmp_lt_i32 s0, 3
	s_cbranch_scc1 .LBB86_3410
; %bb.3407:
	s_cmp_gt_i32 s0, 3
	s_cbranch_scc0 .LBB86_3411
; %bb.3408:
	s_wait_loadcnt 0x0
	global_load_b32 v10, v[4:5], off
	s_mov_b32 s1, 0
	s_branch .LBB86_3412
.LBB86_3409:
	s_mov_b32 s1, -1
                                        ; implicit-def: $vgpr10
	s_branch .LBB86_3418
.LBB86_3410:
	s_mov_b32 s1, -1
                                        ; implicit-def: $vgpr10
	s_branch .LBB86_3415
.LBB86_3411:
	s_mov_b32 s1, -1
                                        ; implicit-def: $vgpr10
.LBB86_3412:
	s_delay_alu instid0(SALU_CYCLE_1)
	s_and_not1_b32 vcc_lo, exec_lo, s1
	s_cbranch_vccnz .LBB86_3414
; %bb.3413:
	s_wait_loadcnt 0x0
	global_load_b32 v10, v[4:5], off
.LBB86_3414:
	s_mov_b32 s1, 0
.LBB86_3415:
	s_delay_alu instid0(SALU_CYCLE_1)
	s_and_not1_b32 vcc_lo, exec_lo, s1
	s_cbranch_vccnz .LBB86_3417
; %bb.3416:
	s_wait_loadcnt 0x0
	global_load_i16 v10, v[4:5], off
.LBB86_3417:
	s_mov_b32 s1, 0
.LBB86_3418:
	s_delay_alu instid0(SALU_CYCLE_1)
	s_and_not1_b32 vcc_lo, exec_lo, s1
	s_cbranch_vccnz .LBB86_3424
; %bb.3419:
	s_cmp_gt_i32 s0, 0
	s_mov_b32 s0, 0
	s_cbranch_scc0 .LBB86_3421
; %bb.3420:
	s_wait_loadcnt 0x0
	global_load_i8 v10, v[4:5], off
	s_branch .LBB86_3422
.LBB86_3421:
	s_mov_b32 s0, -1
                                        ; implicit-def: $vgpr10
.LBB86_3422:
	s_delay_alu instid0(SALU_CYCLE_1)
	s_and_not1_b32 vcc_lo, exec_lo, s0
	s_cbranch_vccnz .LBB86_3424
; %bb.3423:
	s_wait_loadcnt 0x0
	global_load_u8 v10, v[4:5], off
.LBB86_3424:
	s_mov_b32 s5, -1
.LBB86_3425:
	s_delay_alu instid0(SALU_CYCLE_1)
	s_and_not1_b32 vcc_lo, exec_lo, s5
	s_cbranch_vccnz .LBB86_3434
; %bb.3426:
	s_load_b32 s4, s[24:25], 0x48
	s_get_pc_i64 s[0:1]
	s_add_nc_u64 s[0:1], s[0:1], .str.6@rel64+4
	s_delay_alu instid0(SALU_CYCLE_1) | instskip(SKIP_4) | instid1(SALU_CYCLE_1)
	s_cmp_eq_u64 s[0:1], 0
	s_cselect_b32 s0, -1, 0
	s_wait_kmcnt 0x0
	v_cmp_ne_u32_e32 vcc_lo, s4, v23
	s_or_b32 s0, s0, vcc_lo
	s_and_saveexec_b32 s1, s0
	s_delay_alu instid0(SALU_CYCLE_1)
	s_xor_b32 s0, exec_lo, s1
	s_cbranch_execnz .LBB86_3809
.LBB86_3427:
	s_or_saveexec_b32 s39, s0
	s_mov_b32 s1, 0
	s_mov_b32 s4, 0
                                        ; implicit-def: $vgpr14_vgpr15
                                        ; implicit-def: $sgpr0
	s_xor_b32 exec_lo, exec_lo, s39
	s_cbranch_execz .LBB86_4323
; %bb.3428:
	s_load_b64 s[6:7], s[24:25], 0x58
	s_get_pc_i64 s[0:1]
	s_add_nc_u64 s[0:1], s[0:1], .str.7@rel64+4
	s_mov_b32 s40, s38
	s_cmp_eq_u64 s[0:1], 0
	s_cselect_b32 s0, -1, 0
	s_wait_kmcnt 0x0
	v_cmp_ne_u32_e32 vcc_lo, s6, v24
	s_or_b32 s0, s0, vcc_lo
	s_delay_alu instid0(SALU_CYCLE_1) | instskip(NEXT) | instid1(SALU_CYCLE_1)
	s_and_saveexec_b32 s1, s0
	s_xor_b32 s0, exec_lo, s1
	s_cbranch_execnz .LBB86_3938
; %bb.3429:
	s_or_saveexec_b32 s41, s0
	s_mov_b32 s1, 0
                                        ; implicit-def: $vgpr14_vgpr15
                                        ; implicit-def: $sgpr0
	s_xor_b32 exec_lo, exec_lo, s41
	s_cbranch_execz .LBB86_4322
.LBB86_3430:
	s_load_b64 s[18:19], s[24:25], 0x50
	v_sub_nc_u32_e32 v1, v2, v0
	s_get_pc_i64 s[4:5]
	s_add_nc_u64 s[4:5], s[4:5], .str.8@rel64+4
	s_wait_kmcnt 0x0
	s_mov_b32 s19, s40
	v_cmp_gt_i32_e32 vcc_lo, v23, v1
	v_cmp_lt_i32_e64 s0, s18, v1
	s_or_b32 s0, vcc_lo, s0
	s_cmp_eq_u64 s[4:5], 0
	s_cselect_b32 s1, -1, 0
	s_delay_alu instid0(SALU_CYCLE_1) | instskip(NEXT) | instid1(SALU_CYCLE_1)
	s_or_b32 s0, s1, s0
	s_and_saveexec_b32 s1, s0
	s_delay_alu instid0(SALU_CYCLE_1)
	s_xor_b32 s0, exec_lo, s1
	s_cbranch_execnz .LBB86_4067
.LBB86_3431:
	s_or_saveexec_b32 s42, s0
	s_mov_b32 s1, 0
	s_mov_b32 s4, 0
                                        ; implicit-def: $vgpr14_vgpr15
                                        ; implicit-def: $sgpr0
	s_xor_b32 exec_lo, exec_lo, s42
	s_cbranch_execz .LBB86_4321
; %bb.3432:
	s_load_b32 s46, s[24:25], 0x60
	v_cmp_gt_i64_e64 s0, s[6:7], 0
	v_mov_b64_e32 v[4:5], 0
	s_wait_kmcnt 0x0
	s_add_co_i32 s4, s46, -1
	s_delay_alu instid0(SALU_CYCLE_1) | instskip(SKIP_1) | instid1(SALU_CYCLE_1)
	s_cmp_gt_i32 s4, -1
	s_cselect_b32 s1, -1, 0
	s_and_b32 s0, s0, s1
	s_delay_alu instid0(SALU_CYCLE_1) | instskip(NEXT) | instid1(VALU_DEP_1)
	v_cndmask_b32_e64 v25, 0, 1, s0
	v_cmp_ne_u32_e32 vcc_lo, 1, v25
	s_cbranch_vccnz .LBB86_3484
; %bb.3433:
	s_wait_loadcnt 0x0
	v_ashrrev_i32_e32 v11, 31, v10
	s_mov_b32 s1, 0
	v_mov_b64_e32 v[4:5], 0
	s_mov_b32 s5, s1
	s_mov_b64 s[20:21], 0xffffffff
	v_mul_u64_e32 v[12:13], s[6:7], v[10:11]
	s_lshl_b64 s[22:23], s[4:5], 3
	v_mov_b32_e32 v10, 0
	s_add_nc_u64 s[22:23], s[24:25], s[22:23]
	s_mov_b32 s5, s46
	s_add_nc_u64 s[22:23], s[22:23], 0x68
	s_branch .LBB86_3480
.LBB86_3434:
	s_mov_b32 s1, 0
	s_mov_b32 s4, 0
                                        ; implicit-def: $vgpr14_vgpr15
                                        ; implicit-def: $sgpr0
.LBB86_3435:
	s_and_not1_b32 s2, s36, exec_lo
	s_and_b32 s3, s38, exec_lo
	s_and_b32 s4, s4, exec_lo
	;; [unrolled: 1-line block ×3, first 2 shown]
	s_or_b32 s36, s2, s3
.LBB86_3436:
	s_wait_xcnt 0x0
	s_or_b32 exec_lo, exec_lo, s37
	s_and_saveexec_b32 s1, s36
	s_cbranch_execz .LBB86_3439
; %bb.3437:
	; divergent unreachable
	s_or_b32 exec_lo, exec_lo, s1
	s_and_saveexec_b32 s1, s46
	s_delay_alu instid0(SALU_CYCLE_1)
	s_xor_b32 s1, exec_lo, s1
	s_cbranch_execnz .LBB86_3440
.LBB86_3438:
	s_or_b32 exec_lo, exec_lo, s1
	s_and_saveexec_b32 s1, s4
	s_cbranch_execnz .LBB86_3441
	s_branch .LBB86_3478
.LBB86_3439:
	s_or_b32 exec_lo, exec_lo, s1
	s_and_saveexec_b32 s1, s46
	s_delay_alu instid0(SALU_CYCLE_1)
	s_xor_b32 s1, exec_lo, s1
	s_cbranch_execz .LBB86_3438
.LBB86_3440:
	s_wait_loadcnt 0x0
	v_mov_b32_e32 v0, 0
	global_store_b8 v[14:15], v0, off
	s_wait_xcnt 0x0
	s_or_b32 exec_lo, exec_lo, s1
	s_and_saveexec_b32 s1, s4
	s_cbranch_execz .LBB86_3478
.LBB86_3441:
	s_sext_i32_i16 s2, s0
	s_mov_b32 s1, -1
	s_cmp_lt_i32 s2, 5
	s_cbranch_scc1 .LBB86_3462
; %bb.3442:
	s_cmp_lt_i32 s2, 8
	s_cbranch_scc1 .LBB86_3452
; %bb.3443:
	;; [unrolled: 3-line block ×3, first 2 shown]
	s_cmp_gt_i32 s2, 9
	s_cbranch_scc0 .LBB86_3446
; %bb.3445:
	s_wait_loadcnt 0x0
	v_mov_b32_e32 v0, 0
	s_mov_b32 s1, 0
	s_delay_alu instid0(VALU_DEP_1)
	v_dual_mov_b32 v1, v0 :: v_dual_mov_b32 v2, v0
	v_mov_b32_e32 v3, v0
	global_store_b128 v[14:15], v[0:3], off
.LBB86_3446:
	s_and_not1_b32 vcc_lo, exec_lo, s1
	s_cbranch_vccnz .LBB86_3448
; %bb.3447:
	s_wait_loadcnt 0x0
	v_mov_b64_e32 v[0:1], 0
	global_store_b64 v[14:15], v[0:1], off
.LBB86_3448:
	s_mov_b32 s1, 0
.LBB86_3449:
	s_delay_alu instid0(SALU_CYCLE_1)
	s_and_not1_b32 vcc_lo, exec_lo, s1
	s_cbranch_vccnz .LBB86_3451
; %bb.3450:
	s_wait_loadcnt 0x0
	v_mov_b32_e32 v0, 0
	global_store_b32 v[14:15], v0, off
.LBB86_3451:
	s_mov_b32 s1, 0
.LBB86_3452:
	s_delay_alu instid0(SALU_CYCLE_1)
	s_and_not1_b32 vcc_lo, exec_lo, s1
	s_cbranch_vccnz .LBB86_3461
; %bb.3453:
	s_sext_i32_i16 s2, s0
	s_mov_b32 s1, -1
	s_cmp_lt_i32 s2, 6
	s_cbranch_scc1 .LBB86_3459
; %bb.3454:
	s_cmp_gt_i32 s2, 6
	s_cbranch_scc0 .LBB86_3456
; %bb.3455:
	s_wait_loadcnt 0x0
	v_mov_b64_e32 v[0:1], 0
	s_mov_b32 s1, 0
	global_store_b64 v[14:15], v[0:1], off
.LBB86_3456:
	s_and_not1_b32 vcc_lo, exec_lo, s1
	s_cbranch_vccnz .LBB86_3458
; %bb.3457:
	s_wait_loadcnt 0x0
	v_mov_b32_e32 v0, 0
	global_store_b32 v[14:15], v0, off
.LBB86_3458:
	s_mov_b32 s1, 0
.LBB86_3459:
	s_delay_alu instid0(SALU_CYCLE_1)
	s_and_not1_b32 vcc_lo, exec_lo, s1
	s_cbranch_vccnz .LBB86_3461
; %bb.3460:
	s_wait_loadcnt 0x0
	v_mov_b32_e32 v0, 0
	global_store_b16 v[14:15], v0, off
.LBB86_3461:
	s_mov_b32 s1, 0
.LBB86_3462:
	s_delay_alu instid0(SALU_CYCLE_1)
	s_and_not1_b32 vcc_lo, exec_lo, s1
	s_cbranch_vccnz .LBB86_3478
; %bb.3463:
	s_sext_i32_i16 s2, s0
	s_mov_b32 s1, -1
	s_cmp_lt_i32 s2, 2
	s_cbranch_scc1 .LBB86_3473
; %bb.3464:
	s_cmp_lt_i32 s2, 3
	s_cbranch_scc1 .LBB86_3470
; %bb.3465:
	s_cmp_gt_i32 s2, 3
	s_cbranch_scc0 .LBB86_3467
; %bb.3466:
	s_wait_loadcnt 0x0
	v_mov_b64_e32 v[0:1], 0
	s_mov_b32 s1, 0
	global_store_b64 v[14:15], v[0:1], off
.LBB86_3467:
	s_and_not1_b32 vcc_lo, exec_lo, s1
	s_cbranch_vccnz .LBB86_3469
; %bb.3468:
	s_wait_loadcnt 0x0
	v_mov_b32_e32 v0, 0
	global_store_b32 v[14:15], v0, off
.LBB86_3469:
	s_mov_b32 s1, 0
.LBB86_3470:
	s_delay_alu instid0(SALU_CYCLE_1)
	s_and_not1_b32 vcc_lo, exec_lo, s1
	s_cbranch_vccnz .LBB86_3472
; %bb.3471:
	s_wait_loadcnt 0x0
	v_mov_b32_e32 v0, 0
	global_store_b16 v[14:15], v0, off
.LBB86_3472:
	s_mov_b32 s1, 0
.LBB86_3473:
	s_delay_alu instid0(SALU_CYCLE_1)
	s_and_not1_b32 vcc_lo, exec_lo, s1
	s_cbranch_vccnz .LBB86_3478
; %bb.3474:
	s_sext_i32_i16 s0, s0
	s_delay_alu instid0(SALU_CYCLE_1)
	s_cmp_gt_i32 s0, 0
	s_mov_b32 s0, -1
	s_cbranch_scc0 .LBB86_3476
; %bb.3475:
	s_wait_loadcnt 0x0
	v_mov_b32_e32 v0, 0
	s_mov_b32 s0, 0
	global_store_b8 v[14:15], v0, off
.LBB86_3476:
	s_and_not1_b32 vcc_lo, exec_lo, s0
	s_cbranch_vccnz .LBB86_3478
; %bb.3477:
	s_wait_loadcnt 0x0
	v_mov_b32_e32 v0, 0
	global_store_b8 v[14:15], v0, off
	s_endpgm
.LBB86_3478:
	s_endpgm
.LBB86_3479:                            ;   in Loop: Header=BB86_3480 Depth=1
	s_or_b32 exec_lo, exec_lo, s0
	s_delay_alu instid0(VALU_DEP_1)
	v_mul_u64_e32 v[16:17], s[26:27], v[14:15]
	s_load_b64 s[26:27], s[22:23], 0x40
	s_add_co_i32 s5, s5, -1
	s_wait_xcnt 0x0
	s_add_nc_u64 s[22:23], s[22:23], -8
	s_cmp_eq_u32 s5, 0
	s_delay_alu instid0(VALU_DEP_1) | instskip(SKIP_1) | instid1(VALU_DEP_1)
	v_sub_nc_u64_e32 v[12:13], v[12:13], v[16:17]
	s_wait_kmcnt 0x0
	v_mad_nc_u64_u32 v[4:5], v12, s26, v[4:5]
	s_delay_alu instid0(VALU_DEP_1) | instskip(NEXT) | instid1(VALU_DEP_1)
	v_mad_u32 v1, v13, s26, v5
	v_mad_u32 v5, v12, s27, v1
	v_mov_b64_e32 v[12:13], v[14:15]
	s_cbranch_scc1 .LBB86_3484
.LBB86_3480:                            ; =>This Inner Loop Header: Depth=1
	s_load_b64 s[26:27], s[22:23], 0x0
                                        ; implicit-def: $vgpr14_vgpr15
	s_mov_b32 s0, exec_lo
	s_wait_kmcnt 0x0
	s_delay_alu instid0(VALU_DEP_1) | instskip(NEXT) | instid1(VALU_DEP_1)
	v_or_b32_e32 v11, s27, v13
	v_cmpx_ne_u64_e32 0, v[10:11]
	s_xor_b32 s43, exec_lo, s0
	s_cbranch_execz .LBB86_3482
; %bb.3481:                             ;   in Loop: Header=BB86_3480 Depth=1
	s_ashr_i32 s28, s27, 31
	v_dual_mov_b32 v19, v10 :: v_dual_ashrrev_i32 v14, 31, v13
	s_mov_b32 s29, s28
	v_mov_b32_e32 v31, v10
	s_add_nc_u64 s[30:31], s[26:27], s[28:29]
	s_delay_alu instid0(VALU_DEP_2) | instskip(SKIP_1) | instid1(SALU_CYCLE_1)
	v_mov_b32_e32 v15, v14
	s_xor_b64 s[30:31], s[30:31], s[28:29]
	s_cvt_f32_u32 s0, s30
	s_cvt_f32_u32 s29, s31
	s_sub_nc_u64 s[56:57], 0, s[30:31]
	v_add_nc_u64_e32 v[16:17], v[12:13], v[14:15]
	v_mov_b32_e32 v27, v10
	s_fmamk_f32 s0, s29, 0x4f800000, s0
	s_delay_alu instid0(SALU_CYCLE_3) | instskip(NEXT) | instid1(VALU_DEP_2)
	v_s_rcp_f32 s0, s0
	v_xor_b32_e32 v18, v16, v14
	s_delay_alu instid0(VALU_DEP_3) | instskip(NEXT) | instid1(TRANS32_DEP_1)
	v_xor_b32_e32 v26, v17, v14
	s_mul_f32 s0, s0, 0x5f7ffffc
	s_delay_alu instid0(SALU_CYCLE_3) | instskip(NEXT) | instid1(SALU_CYCLE_3)
	s_mul_f32 s29, s0, 0x2f800000
	s_trunc_f32 s29, s29
	s_delay_alu instid0(SALU_CYCLE_3) | instskip(SKIP_1) | instid1(SALU_CYCLE_2)
	s_fmamk_f32 s0, s29, 0xcf800000, s0
	s_cvt_u32_f32 s45, s29
	s_cvt_u32_f32 s44, s0
	s_delay_alu instid0(SALU_CYCLE_3) | instskip(NEXT) | instid1(SALU_CYCLE_1)
	s_mul_u64 s[58:59], s[56:57], s[44:45]
	s_mul_hi_u32 s65, s44, s59
	s_mul_i32 s64, s44, s59
	s_mul_hi_u32 s0, s44, s58
	s_mul_i32 s47, s45, s58
	s_add_nc_u64 s[64:65], s[0:1], s[64:65]
	s_mul_hi_u32 s29, s45, s58
	s_mul_hi_u32 s53, s45, s59
	s_add_co_u32 s0, s64, s47
	s_add_co_ci_u32 s0, s65, s29
	s_mul_i32 s58, s45, s59
	s_add_co_ci_u32 s59, s53, 0
	s_delay_alu instid0(SALU_CYCLE_1) | instskip(NEXT) | instid1(SALU_CYCLE_1)
	s_add_nc_u64 s[58:59], s[0:1], s[58:59]
	s_add_co_u32 s44, s44, s58
	s_cselect_b32 s0, -1, 0
	s_delay_alu instid0(SALU_CYCLE_1) | instskip(SKIP_1) | instid1(SALU_CYCLE_1)
	s_cmp_lg_u32 s0, 0
	s_add_co_ci_u32 s45, s45, s59
	s_mul_u64 s[56:57], s[56:57], s[44:45]
	s_delay_alu instid0(SALU_CYCLE_1)
	s_mul_hi_u32 s59, s44, s57
	s_mul_i32 s58, s44, s57
	s_mul_hi_u32 s0, s44, s56
	s_mul_i32 s47, s45, s56
	s_add_nc_u64 s[58:59], s[0:1], s[58:59]
	s_mul_hi_u32 s29, s45, s56
	s_mul_hi_u32 s53, s45, s57
	s_add_co_u32 s0, s58, s47
	s_add_co_ci_u32 s0, s59, s29
	s_mul_i32 s56, s45, s57
	s_add_co_ci_u32 s57, s53, 0
	s_delay_alu instid0(SALU_CYCLE_1) | instskip(NEXT) | instid1(SALU_CYCLE_1)
	s_add_nc_u64 s[56:57], s[0:1], s[56:57]
	s_add_co_u32 s44, s44, s56
	s_cselect_b32 s0, -1, 0
	v_mul_hi_u32 v30, v18, s44
	s_cmp_lg_u32 s0, 0
	s_add_co_ci_u32 s0, s45, s57
	s_and_b64 s[56:57], s[44:45], s[20:21]
	v_mul_u64_e32 v[20:21], s[0:1], v[18:19]
	v_mul_u64_e32 v[16:17], s[56:57], v[26:27]
	v_mul_u64_e32 v[28:29], s[0:1], v[26:27]
	s_delay_alu instid0(VALU_DEP_3) | instskip(NEXT) | instid1(VALU_DEP_1)
	v_add_nc_u64_e32 v[20:21], v[30:31], v[20:21]
	v_add_co_u32 v1, vcc_lo, v20, v16
	s_delay_alu instid0(VALU_DEP_2) | instskip(NEXT) | instid1(VALU_DEP_4)
	v_add_co_ci_u32_e32 v30, vcc_lo, v21, v17, vcc_lo
	v_add_co_ci_u32_e32 v29, vcc_lo, 0, v29, vcc_lo
	s_delay_alu instid0(VALU_DEP_1) | instskip(NEXT) | instid1(VALU_DEP_1)
	v_add_nc_u64_e32 v[16:17], v[30:31], v[28:29]
	v_mul_u64_e32 v[20:21], s[30:31], v[16:17]
	s_delay_alu instid0(VALU_DEP_1) | instskip(NEXT) | instid1(VALU_DEP_2)
	v_sub_nc_u32_e32 v1, v26, v21
	v_sub_co_u32 v3, vcc_lo, v18, v20
	s_delay_alu instid0(VALU_DEP_1) | instskip(NEXT) | instid1(VALU_DEP_3)
	v_sub_co_ci_u32_e64 v9, null, v26, v21, vcc_lo
	v_subrev_co_ci_u32_e64 v1, null, s31, v1, vcc_lo
	s_delay_alu instid0(VALU_DEP_3) | instskip(SKIP_1) | instid1(VALU_DEP_3)
	v_sub_co_u32 v7, s0, v3, s30
	v_add_nc_u64_e32 v[18:19], 2, v[16:17]
	v_subrev_co_ci_u32_e64 v1, null, 0, v1, s0
	s_delay_alu instid0(VALU_DEP_3) | instskip(SKIP_2) | instid1(VALU_DEP_4)
	v_cmp_le_u32_e32 vcc_lo, s30, v7
	v_add_nc_u64_e32 v[20:21], 1, v[16:17]
	v_cndmask_b32_e64 v7, 0, -1, vcc_lo
	v_cmp_le_u32_e32 vcc_lo, s31, v1
	v_cndmask_b32_e64 v11, 0, -1, vcc_lo
	v_cmp_le_u32_e32 vcc_lo, s30, v3
	;; [unrolled: 2-line block ×3, first 2 shown]
	v_cndmask_b32_e64 v15, 0, -1, vcc_lo
	v_cmp_eq_u32_e32 vcc_lo, s31, v1
	v_cndmask_b32_e32 v1, v11, v7, vcc_lo
	v_cmp_eq_u32_e32 vcc_lo, s31, v9
	s_delay_alu instid0(VALU_DEP_4) | instskip(NEXT) | instid1(VALU_DEP_3)
	v_cndmask_b32_e32 v3, v15, v3, vcc_lo
	v_cmp_ne_u32_e32 vcc_lo, 0, v1
	s_delay_alu instid0(VALU_DEP_2) | instskip(SKIP_1) | instid1(VALU_DEP_1)
	v_cmp_ne_u32_e64 s0, 0, v3
	v_dual_cndmask_b32 v1, v21, v19, vcc_lo :: v_dual_cndmask_b32 v3, v20, v18, vcc_lo
	v_dual_cndmask_b32 v1, v17, v1, s0 :: v_dual_bitop2_b32 v14, s28, v14 bitop3:0x14
	s_delay_alu instid0(VALU_DEP_1) | instskip(NEXT) | instid1(VALU_DEP_2)
	v_dual_cndmask_b32 v3, v16, v3, s0 :: v_dual_mov_b32 v15, v14
	v_xor_b32_e32 v17, v1, v14
	s_delay_alu instid0(VALU_DEP_2) | instskip(NEXT) | instid1(VALU_DEP_1)
	v_xor_b32_e32 v16, v3, v14
	v_sub_nc_u64_e32 v[14:15], v[16:17], v[14:15]
.LBB86_3482:                            ;   in Loop: Header=BB86_3480 Depth=1
	s_and_not1_saveexec_b32 s0, s43
	s_cbranch_execz .LBB86_3479
; %bb.3483:                             ;   in Loop: Header=BB86_3480 Depth=1
	v_cvt_f32_u32_e32 v1, s26
	s_sub_co_i32 s28, 0, s26
	v_mov_b32_e32 v15, v10
	s_delay_alu instid0(VALU_DEP_2) | instskip(SKIP_1) | instid1(TRANS32_DEP_1)
	v_rcp_iflag_f32_e32 v1, v1
	v_nop
	v_mul_f32_e32 v1, 0x4f7ffffe, v1
	s_delay_alu instid0(VALU_DEP_1) | instskip(NEXT) | instid1(VALU_DEP_1)
	v_cvt_u32_f32_e32 v1, v1
	v_mul_lo_u32 v3, s28, v1
	s_delay_alu instid0(VALU_DEP_1) | instskip(NEXT) | instid1(VALU_DEP_1)
	v_mul_hi_u32 v3, v1, v3
	v_add_nc_u32_e32 v1, v1, v3
	s_delay_alu instid0(VALU_DEP_1) | instskip(NEXT) | instid1(VALU_DEP_1)
	v_mul_hi_u32 v1, v12, v1
	v_mul_lo_u32 v3, v1, s26
	s_delay_alu instid0(VALU_DEP_1) | instskip(NEXT) | instid1(VALU_DEP_1)
	v_dual_add_nc_u32 v7, 1, v1 :: v_dual_sub_nc_u32 v3, v12, v3
	v_subrev_nc_u32_e32 v9, s26, v3
	v_cmp_le_u32_e32 vcc_lo, s26, v3
	s_delay_alu instid0(VALU_DEP_2) | instskip(NEXT) | instid1(VALU_DEP_1)
	v_dual_cndmask_b32 v3, v3, v9, vcc_lo :: v_dual_cndmask_b32 v1, v1, v7, vcc_lo
	v_cmp_le_u32_e32 vcc_lo, s26, v3
	s_delay_alu instid0(VALU_DEP_2) | instskip(NEXT) | instid1(VALU_DEP_1)
	v_add_nc_u32_e32 v7, 1, v1
	v_cndmask_b32_e32 v14, v1, v7, vcc_lo
	s_branch .LBB86_3479
.LBB86_3484:
	s_load_b64 s[20:21], s[24:25], 0xe8
	s_get_pc_i64 s[0:1]
	s_add_nc_u64 s[0:1], s[0:1], .str.9@rel64+4
	s_mov_b32 s22, -1
	s_cmp_lg_u64 s[0:1], 0
	s_mov_b32 s43, s19
	s_cselect_b32 s47, -1, 0
	s_mov_b32 s0, exec_lo
	v_cmpx_gt_i32_e64 v2, v0
	s_cbranch_execz .LBB86_3491
; %bb.3485:
	v_lshlrev_b64_e32 v[4:5], 2, v[4:5]
	v_dual_ashrrev_i32 v1, 31, v0 :: v_dual_ashrrev_i32 v3, 31, v2
	s_mov_b32 s5, 0
	s_xor_b32 s22, s47, -1
                                        ; implicit-def: $sgpr1
                                        ; implicit-def: $sgpr26
                                        ; implicit-def: $sgpr23
	s_delay_alu instid0(VALU_DEP_1) | instskip(SKIP_2) | instid1(VALU_DEP_2)
	v_lshl_add_u64 v[0:1], v[0:1], 2, v[4:5]
	s_wait_kmcnt 0x0
	v_add_nc_u64_e32 v[4:5], s[20:21], v[4:5]
	v_add_nc_u64_e32 v[0:1], s[20:21], v[0:1]
	s_delay_alu instid0(VALU_DEP_2) | instskip(NEXT) | instid1(VALU_DEP_2)
	v_lshl_add_u64 v[2:3], v[2:3], 2, v[4:5]
	v_add_nc_u64_e32 v[0:1], 4, v[0:1]
	s_branch .LBB86_3487
.LBB86_3486:                            ;   in Loop: Header=BB86_3487 Depth=1
	s_or_b32 exec_lo, exec_lo, s27
	s_xor_b32 s27, s23, -1
	s_and_b32 s28, exec_lo, s26
	s_delay_alu instid0(SALU_CYCLE_1) | instskip(SKIP_2) | instid1(SALU_CYCLE_1)
	s_or_b32 s5, s28, s5
	s_and_not1_b32 s1, s1, exec_lo
	s_and_b32 s27, s27, exec_lo
	s_or_b32 s1, s1, s27
	s_and_not1_b32 exec_lo, exec_lo, s5
	s_cbranch_execz .LBB86_3489
.LBB86_3487:                            ; =>This Inner Loop Header: Depth=1
	s_or_b32 s23, s23, exec_lo
	s_or_b32 s26, s26, exec_lo
	s_mov_b32 s27, exec_lo
	s_delay_alu instid0(VALU_DEP_1)
	v_cmpx_lt_u64_e64 v[0:1], v[2:3]
	s_cbranch_execz .LBB86_3486
; %bb.3488:                             ;   in Loop: Header=BB86_3487 Depth=1
	global_load_b64 v[4:5], v[0:1], off offset:-4
	s_wait_xcnt 0x0
	v_add_nc_u64_e32 v[0:1], 4, v[0:1]
	s_and_not1_b32 s26, s26, exec_lo
	s_and_not1_b32 s23, s23, exec_lo
	s_wait_loadcnt 0x0
	v_cmp_ge_i32_e32 vcc_lo, v4, v5
	s_or_b32 s28, s22, vcc_lo
	s_delay_alu instid0(SALU_CYCLE_1) | instskip(NEXT) | instid1(SALU_CYCLE_1)
	s_and_b32 s28, s28, exec_lo
	s_or_b32 s26, s26, s28
	s_branch .LBB86_3486
.LBB86_3489:
	s_or_b32 exec_lo, exec_lo, s5
	s_mov_b32 s5, -1
	s_mov_b32 s22, s19
	s_and_saveexec_b32 s23, s1
	s_delay_alu instid0(SALU_CYCLE_1)
	s_xor_b32 s1, exec_lo, s23
	s_cbranch_execnz .LBB86_3594
.LBB86_3490:
	s_or_b32 exec_lo, exec_lo, s1
	s_delay_alu instid0(SALU_CYCLE_1) | instskip(SKIP_1) | instid1(SALU_CYCLE_1)
	s_and_not1_b32 s1, s19, exec_lo
	s_and_b32 s22, s22, exec_lo
	s_or_b32 s43, s1, s22
	s_or_not1_b32 s22, s5, exec_lo
.LBB86_3491:
	s_or_b32 exec_lo, exec_lo, s0
	s_mov_b32 s1, 0
	s_mov_b32 s5, 0
                                        ; implicit-def: $vgpr14_vgpr15
                                        ; implicit-def: $sgpr0
	s_and_saveexec_b32 s44, s22
	s_cbranch_execz .LBB86_4320
; %bb.3492:
	v_add_nc_u32_e32 v7, 0x80, v22
	s_and_b32 s56, 0xffff, s34
	s_delay_alu instid0(SALU_CYCLE_1) | instskip(NEXT) | instid1(VALU_DEP_1)
	s_cmp_lt_i32 s56, 11
	v_mul_lo_u32 v0, s55, v7
	s_delay_alu instid0(VALU_DEP_1) | instskip(NEXT) | instid1(VALU_DEP_1)
	v_ashrrev_i32_e32 v1, 31, v0
	v_add_nc_u64_e32 v[2:3], s[8:9], v[0:1]
	s_cbranch_scc1 .LBB86_3500
; %bb.3493:
	s_cmp_gt_i32 s56, 25
	s_cbranch_scc0 .LBB86_3502
; %bb.3494:
	s_cmp_gt_i32 s56, 28
	s_cbranch_scc0 .LBB86_3504
	;; [unrolled: 3-line block ×4, first 2 shown]
; %bb.3497:
	s_cmp_eq_u32 s56, 46
	s_mov_b32 s22, 0
	s_cbranch_scc0 .LBB86_3682
; %bb.3498:
	global_load_b32 v1, v[2:3], off
	s_mov_b32 s0, 0
	s_mov_b32 s5, -1
	s_wait_loadcnt 0x0
	v_lshlrev_b32_e32 v1, 16, v1
	s_delay_alu instid0(VALU_DEP_1)
	v_cvt_i32_f32_e32 v1, v1
	s_branch .LBB86_3684
.LBB86_3499:
	s_or_b32 s38, s38, exec_lo
	s_trap 2
	s_cbranch_execz .LBB86_3374
	s_branch .LBB86_3375
.LBB86_3500:
	s_mov_b32 s0, -1
	s_mov_b32 s45, s43
                                        ; implicit-def: $vgpr1
	s_branch .LBB86_3746
.LBB86_3501:
	s_mov_b32 s37, -1
	s_mov_b32 s38, 0
	s_mov_b32 s27, s74
	s_branch .LBB86_3636
.LBB86_3502:
	s_mov_b32 s22, -1
	s_mov_b32 s0, 0
                                        ; implicit-def: $vgpr1
	s_branch .LBB86_3711
.LBB86_3503:
	s_mov_b32 s39, -1
	s_mov_b32 s38, 0
	s_mov_b32 s27, s74
	s_branch .LBB86_3616
.LBB86_3504:
	s_mov_b32 s22, -1
	s_mov_b32 s0, 0
                                        ; implicit-def: $vgpr1
	s_branch .LBB86_3694
.LBB86_3505:
	s_mov_b32 s39, -1
	s_mov_b32 s38, 0
	s_mov_b32 s27, s74
	s_branch .LBB86_3605
.LBB86_3506:
	s_mov_b32 s22, -1
	s_mov_b32 s0, 0
                                        ; implicit-def: $vgpr1
	s_branch .LBB86_3689
.LBB86_3507:
	s_mov_b32 s39, -1
	s_mov_b32 s38, 0
	s_mov_b32 s27, s54
.LBB86_3508:
	s_and_b32 vcc_lo, exec_lo, s39
	s_cbranch_vccz .LBB86_3511
; %bb.3509:
	s_cmp_eq_u32 s37, 44
	s_mov_b32 s27, -1
	s_cbranch_scc0 .LBB86_3511
; %bb.3510:
	s_wait_xcnt 0x0
	v_mov_b32_e32 v2, 0
	s_mov_b32 s38, -1
	s_mov_b32 s27, 0
	global_store_b8 v[0:1], v2, off
.LBB86_3511:
	s_mov_b32 s39, 0
.LBB86_3512:
	s_delay_alu instid0(SALU_CYCLE_1)
	s_and_b32 vcc_lo, exec_lo, s39
	s_cbranch_vccz .LBB86_3515
; %bb.3513:
	s_cmp_eq_u32 s37, 29
	s_mov_b32 s27, -1
	s_cbranch_scc0 .LBB86_3515
; %bb.3514:
	s_wait_xcnt 0x0
	v_mov_b64_e32 v[2:3], 0
	s_mov_b32 s38, -1
	s_mov_b32 s27, 0
	s_mov_b32 s39, 0
	global_store_b64 v[0:1], v[2:3], off
	s_branch .LBB86_3516
.LBB86_3515:
	s_mov_b32 s39, 0
.LBB86_3516:
	s_delay_alu instid0(SALU_CYCLE_1)
	s_and_b32 vcc_lo, exec_lo, s39
	s_cbranch_vccz .LBB86_3526
; %bb.3517:
	s_cmp_lt_i32 s37, 27
	s_mov_b32 s38, -1
	s_cbranch_scc1 .LBB86_3523
; %bb.3518:
	s_cmp_gt_i32 s37, 27
	s_cbranch_scc0 .LBB86_3520
; %bb.3519:
	s_wait_xcnt 0x0
	v_mov_b32_e32 v2, 0
	s_mov_b32 s38, 0
	global_store_b32 v[0:1], v2, off
.LBB86_3520:
	s_and_not1_b32 vcc_lo, exec_lo, s38
	s_cbranch_vccnz .LBB86_3522
; %bb.3521:
	s_wait_xcnt 0x0
	v_mov_b32_e32 v2, 0
	global_store_b16 v[0:1], v2, off
.LBB86_3522:
	s_mov_b32 s38, 0
.LBB86_3523:
	s_delay_alu instid0(SALU_CYCLE_1)
	s_and_not1_b32 vcc_lo, exec_lo, s38
	s_cbranch_vccnz .LBB86_3525
; %bb.3524:
	s_wait_xcnt 0x0
	v_mov_b32_e32 v2, 0
	global_store_b8 v[0:1], v2, off
.LBB86_3525:
	s_mov_b32 s38, -1
.LBB86_3526:
	s_mov_b32 s39, 0
.LBB86_3527:
	s_delay_alu instid0(SALU_CYCLE_1)
	s_and_b32 vcc_lo, exec_lo, s39
	s_cbranch_vccz .LBB86_3546
; %bb.3528:
	s_cmp_gt_i32 s37, 22
	s_mov_b32 s39, -1
	s_cbranch_scc0 .LBB86_3538
; %bb.3529:
	s_cmp_lt_i32 s37, 24
	s_mov_b32 s38, -1
	s_cbranch_scc1 .LBB86_3535
; %bb.3530:
	s_cmp_gt_i32 s37, 24
	s_cbranch_scc0 .LBB86_3532
; %bb.3531:
	s_wait_xcnt 0x0
	v_mov_b32_e32 v2, 0
	s_mov_b32 s38, 0
	global_store_b8 v[0:1], v2, off
.LBB86_3532:
	s_and_not1_b32 vcc_lo, exec_lo, s38
	s_cbranch_vccnz .LBB86_3534
; %bb.3533:
	s_wait_xcnt 0x0
	v_mov_b32_e32 v2, 0
	global_store_b8 v[0:1], v2, off
.LBB86_3534:
	s_mov_b32 s38, 0
.LBB86_3535:
	s_delay_alu instid0(SALU_CYCLE_1)
	s_and_not1_b32 vcc_lo, exec_lo, s38
	s_cbranch_vccnz .LBB86_3537
; %bb.3536:
	s_wait_xcnt 0x0
	v_mov_b32_e32 v2, 0
	global_store_b8 v[0:1], v2, off
.LBB86_3537:
	s_mov_b32 s39, 0
	s_mov_b32 s38, -1
.LBB86_3538:
	s_and_not1_b32 vcc_lo, exec_lo, s39
	s_cbranch_vccnz .LBB86_3546
; %bb.3539:
	s_cmp_gt_i32 s37, 14
	s_mov_b32 s39, -1
	s_cbranch_scc0 .LBB86_3543
; %bb.3540:
	s_cmp_eq_u32 s37, 15
	s_mov_b32 s27, -1
	s_cbranch_scc0 .LBB86_3542
; %bb.3541:
	s_wait_xcnt 0x0
	v_mov_b32_e32 v2, 0
	s_mov_b32 s38, -1
	s_mov_b32 s27, 0
	global_store_b16 v[0:1], v2, off
.LBB86_3542:
	s_mov_b32 s39, 0
.LBB86_3543:
	s_delay_alu instid0(SALU_CYCLE_1)
	s_and_b32 vcc_lo, exec_lo, s39
	s_cbranch_vccz .LBB86_3546
; %bb.3544:
	s_cmp_eq_u32 s37, 11
	s_mov_b32 s27, -1
	s_cbranch_scc0 .LBB86_3546
; %bb.3545:
	s_wait_xcnt 0x0
	v_mov_b32_e32 v2, 0
	s_mov_b32 s38, -1
	s_mov_b32 s27, 0
	global_store_b8 v[0:1], v2, off
.LBB86_3546:
	s_mov_b32 s37, 0
.LBB86_3547:
	s_delay_alu instid0(SALU_CYCLE_1)
	s_and_b32 vcc_lo, exec_lo, s37
	s_cbranch_vccz .LBB86_3586
; %bb.3548:
	s_and_b32 s36, 0xffff, s36
	s_mov_b32 s37, -1
	s_cmp_lt_i32 s36, 5
	s_cbranch_scc1 .LBB86_3569
; %bb.3549:
	s_cmp_lt_i32 s36, 8
	s_cbranch_scc1 .LBB86_3559
; %bb.3550:
	;; [unrolled: 3-line block ×3, first 2 shown]
	s_cmp_gt_i32 s36, 9
	s_cbranch_scc0 .LBB86_3553
; %bb.3552:
	s_wait_xcnt 0x0
	v_mov_b32_e32 v2, 0
	s_mov_b32 s37, 0
	s_delay_alu instid0(VALU_DEP_1)
	v_dual_mov_b32 v3, v2 :: v_dual_mov_b32 v4, v2
	v_mov_b32_e32 v5, v2
	global_store_b128 v[0:1], v[2:5], off
.LBB86_3553:
	s_and_not1_b32 vcc_lo, exec_lo, s37
	s_cbranch_vccnz .LBB86_3555
; %bb.3554:
	s_wait_xcnt 0x0
	v_mov_b64_e32 v[2:3], 0
	global_store_b64 v[0:1], v[2:3], off
.LBB86_3555:
	s_mov_b32 s37, 0
.LBB86_3556:
	s_delay_alu instid0(SALU_CYCLE_1)
	s_and_not1_b32 vcc_lo, exec_lo, s37
	s_cbranch_vccnz .LBB86_3558
; %bb.3557:
	s_wait_xcnt 0x0
	v_mov_b32_e32 v2, 0
	global_store_b32 v[0:1], v2, off
.LBB86_3558:
	s_mov_b32 s37, 0
.LBB86_3559:
	s_delay_alu instid0(SALU_CYCLE_1)
	s_and_not1_b32 vcc_lo, exec_lo, s37
	s_cbranch_vccnz .LBB86_3568
; %bb.3560:
	s_cmp_lt_i32 s36, 6
	s_mov_b32 s37, -1
	s_cbranch_scc1 .LBB86_3566
; %bb.3561:
	s_cmp_gt_i32 s36, 6
	s_cbranch_scc0 .LBB86_3563
; %bb.3562:
	s_wait_xcnt 0x0
	v_mov_b64_e32 v[2:3], 0
	s_mov_b32 s37, 0
	global_store_b64 v[0:1], v[2:3], off
.LBB86_3563:
	s_and_not1_b32 vcc_lo, exec_lo, s37
	s_cbranch_vccnz .LBB86_3565
; %bb.3564:
	s_wait_xcnt 0x0
	v_mov_b32_e32 v2, 0
	global_store_b32 v[0:1], v2, off
.LBB86_3565:
	s_mov_b32 s37, 0
.LBB86_3566:
	s_delay_alu instid0(SALU_CYCLE_1)
	s_and_not1_b32 vcc_lo, exec_lo, s37
	s_cbranch_vccnz .LBB86_3568
; %bb.3567:
	s_wait_xcnt 0x0
	v_mov_b32_e32 v2, 0
	global_store_b16 v[0:1], v2, off
.LBB86_3568:
	s_mov_b32 s37, 0
.LBB86_3569:
	s_delay_alu instid0(SALU_CYCLE_1)
	s_and_not1_b32 vcc_lo, exec_lo, s37
	s_cbranch_vccnz .LBB86_3585
; %bb.3570:
	s_cmp_lt_i32 s36, 2
	s_mov_b32 s37, -1
	s_cbranch_scc1 .LBB86_3580
; %bb.3571:
	s_cmp_lt_i32 s36, 3
	s_cbranch_scc1 .LBB86_3577
; %bb.3572:
	s_cmp_gt_i32 s36, 3
	s_cbranch_scc0 .LBB86_3574
; %bb.3573:
	s_wait_xcnt 0x0
	v_mov_b64_e32 v[2:3], 0
	s_mov_b32 s37, 0
	global_store_b64 v[0:1], v[2:3], off
.LBB86_3574:
	s_and_not1_b32 vcc_lo, exec_lo, s37
	s_cbranch_vccnz .LBB86_3576
; %bb.3575:
	s_wait_xcnt 0x0
	v_mov_b32_e32 v2, 0
	global_store_b32 v[0:1], v2, off
.LBB86_3576:
	s_mov_b32 s37, 0
.LBB86_3577:
	s_delay_alu instid0(SALU_CYCLE_1)
	s_and_not1_b32 vcc_lo, exec_lo, s37
	s_cbranch_vccnz .LBB86_3579
; %bb.3578:
	s_wait_xcnt 0x0
	v_mov_b32_e32 v2, 0
	global_store_b16 v[0:1], v2, off
.LBB86_3579:
	s_mov_b32 s37, 0
.LBB86_3580:
	s_delay_alu instid0(SALU_CYCLE_1)
	s_and_not1_b32 vcc_lo, exec_lo, s37
	s_cbranch_vccnz .LBB86_3585
; %bb.3581:
	s_cmp_gt_i32 s36, 0
	s_mov_b32 s36, -1
	s_cbranch_scc0 .LBB86_3583
; %bb.3582:
	s_wait_xcnt 0x0
	v_mov_b32_e32 v2, 0
	s_mov_b32 s36, 0
	global_store_b8 v[0:1], v2, off
.LBB86_3583:
	s_and_not1_b32 vcc_lo, exec_lo, s36
	s_cbranch_vccnz .LBB86_3585
; %bb.3584:
	s_wait_xcnt 0x0
	v_mov_b32_e32 v2, 0
	global_store_b8 v[0:1], v2, off
.LBB86_3585:
	s_mov_b32 s38, -1
.LBB86_3586:
	s_delay_alu instid0(SALU_CYCLE_1)
	s_and_not1_b32 vcc_lo, exec_lo, s38
	s_cbranch_vccnz .LBB86_3588
; %bb.3587:
	v_add_nc_u32_e32 v22, 0x80, v22
	s_mov_b32 s36, -1
	s_branch .LBB86_3589
.LBB86_3588:
	s_mov_b32 s36, 0
                                        ; implicit-def: $vgpr22
.LBB86_3589:
	s_and_not1_b32 s37, s54, exec_lo
	s_and_b32 s27, s27, exec_lo
	s_and_not1_b32 s0, s0, exec_lo
	s_or_b32 s27, s37, s27
	s_and_b32 s36, s36, exec_lo
.LBB86_3590:
	s_wait_xcnt 0x0
	s_or_b32 exec_lo, exec_lo, s1
	s_delay_alu instid0(SALU_CYCLE_1)
	s_and_not1_b32 s1, s54, exec_lo
	s_and_b32 s27, s27, exec_lo
	s_and_not1_b32 s38, s57, exec_lo
	s_and_b32 s0, s0, exec_lo
	s_or_b32 s37, s1, s27
	s_or_b32 s0, s38, s0
	s_xor_b32 s27, exec_lo, -1
	s_and_b32 s1, s36, exec_lo
.LBB86_3591:
	s_or_b32 exec_lo, exec_lo, s74
	s_delay_alu instid0(SALU_CYCLE_1)
	s_and_not1_b32 s36, s54, exec_lo
	s_and_b32 s37, s37, exec_lo
	s_and_b32 s0, s0, exec_lo
	s_or_b32 s38, s36, s37
	s_and_not1_b32 s36, s57, exec_lo
	s_and_not1_b32 s37, s58, exec_lo
	s_and_b32 s39, s27, exec_lo
	s_or_b32 s27, s36, s0
	s_or_b32 s37, s37, s39
	s_xor_b32 s36, exec_lo, -1
	s_and_b32 s0, s1, exec_lo
.LBB86_3592:
	s_or_b32 exec_lo, exec_lo, s73
	s_delay_alu instid0(SALU_CYCLE_1)
	s_and_not1_b32 s1, s54, exec_lo
	s_and_b32 s38, s38, exec_lo
	s_and_not1_b32 s39, s57, exec_lo
	s_and_b32 s27, s27, exec_lo
	s_or_b32 s1, s1, s38
	s_or_b32 s27, s39, s27
	s_and_not1_b32 s38, s58, exec_lo
	s_and_b32 s37, s37, exec_lo
	s_and_not1_b32 s39, s59, exec_lo
	s_and_b32 s40, s36, exec_lo
	s_or_b32 s36, s38, s37
	s_or_b32 s38, s39, s40
	s_xor_b32 s37, exec_lo, -1
	s_and_b32 s0, s0, exec_lo
	s_or_b32 exec_lo, exec_lo, s72
	s_branch .LBB86_1298
.LBB86_3593:
	s_mov_b32 s39, -1
	s_mov_b32 s38, 0
	s_mov_b32 s27, s74
	s_branch .LBB86_3601
.LBB86_3594:
	s_or_b32 s22, s19, exec_lo
	s_xor_b32 s5, exec_lo, -1
	s_trap 2
	s_branch .LBB86_3490
.LBB86_3595:
	s_mov_b32 s22, -1
	s_mov_b32 s0, 0
	s_branch .LBB86_3683
.LBB86_3596:
	s_mov_b32 s39, -1
	s_mov_b32 s38, 0
	s_mov_b32 s27, s74
.LBB86_3597:
	s_and_b32 vcc_lo, exec_lo, s39
	s_cbranch_vccz .LBB86_3600
; %bb.3598:
	s_cmp_eq_u32 s37, 44
	s_mov_b32 s27, -1
	s_cbranch_scc0 .LBB86_3600
; %bb.3599:
	s_wait_xcnt 0x0
	v_mov_b32_e32 v2, 0
	s_mov_b32 s38, -1
	s_mov_b32 s27, 0
	global_store_b8 v[0:1], v2, off
.LBB86_3600:
	s_mov_b32 s39, 0
.LBB86_3601:
	s_delay_alu instid0(SALU_CYCLE_1)
	s_and_b32 vcc_lo, exec_lo, s39
	s_cbranch_vccz .LBB86_3604
; %bb.3602:
	s_cmp_eq_u32 s37, 29
	s_mov_b32 s27, -1
	s_cbranch_scc0 .LBB86_3604
; %bb.3603:
	s_wait_xcnt 0x0
	v_mov_b64_e32 v[2:3], 0
	s_mov_b32 s38, -1
	s_mov_b32 s27, 0
	s_mov_b32 s39, 0
	global_store_b64 v[0:1], v[2:3], off
	s_branch .LBB86_3605
.LBB86_3604:
	s_mov_b32 s39, 0
.LBB86_3605:
	s_delay_alu instid0(SALU_CYCLE_1)
	s_and_b32 vcc_lo, exec_lo, s39
	s_cbranch_vccz .LBB86_3615
; %bb.3606:
	s_cmp_lt_i32 s37, 27
	s_mov_b32 s38, -1
	s_cbranch_scc1 .LBB86_3612
; %bb.3607:
	s_cmp_gt_i32 s37, 27
	s_cbranch_scc0 .LBB86_3609
; %bb.3608:
	s_wait_xcnt 0x0
	v_mov_b32_e32 v2, 0
	s_mov_b32 s38, 0
	global_store_b32 v[0:1], v2, off
.LBB86_3609:
	s_and_not1_b32 vcc_lo, exec_lo, s38
	s_cbranch_vccnz .LBB86_3611
; %bb.3610:
	s_wait_xcnt 0x0
	v_mov_b32_e32 v2, 0
	global_store_b16 v[0:1], v2, off
.LBB86_3611:
	s_mov_b32 s38, 0
.LBB86_3612:
	s_delay_alu instid0(SALU_CYCLE_1)
	s_and_not1_b32 vcc_lo, exec_lo, s38
	s_cbranch_vccnz .LBB86_3614
; %bb.3613:
	s_wait_xcnt 0x0
	v_mov_b32_e32 v2, 0
	global_store_b8 v[0:1], v2, off
.LBB86_3614:
	s_mov_b32 s38, -1
.LBB86_3615:
	s_mov_b32 s39, 0
.LBB86_3616:
	s_delay_alu instid0(SALU_CYCLE_1)
	s_and_b32 vcc_lo, exec_lo, s39
	s_cbranch_vccz .LBB86_3635
; %bb.3617:
	s_cmp_gt_i32 s37, 22
	s_mov_b32 s39, -1
	s_cbranch_scc0 .LBB86_3627
; %bb.3618:
	s_cmp_lt_i32 s37, 24
	s_mov_b32 s38, -1
	s_cbranch_scc1 .LBB86_3624
; %bb.3619:
	s_cmp_gt_i32 s37, 24
	s_cbranch_scc0 .LBB86_3621
; %bb.3620:
	s_wait_xcnt 0x0
	v_mov_b32_e32 v2, 0
	s_mov_b32 s38, 0
	global_store_b8 v[0:1], v2, off
.LBB86_3621:
	s_and_not1_b32 vcc_lo, exec_lo, s38
	s_cbranch_vccnz .LBB86_3623
; %bb.3622:
	s_wait_xcnt 0x0
	v_mov_b32_e32 v2, 0
	global_store_b8 v[0:1], v2, off
.LBB86_3623:
	s_mov_b32 s38, 0
.LBB86_3624:
	s_delay_alu instid0(SALU_CYCLE_1)
	s_and_not1_b32 vcc_lo, exec_lo, s38
	s_cbranch_vccnz .LBB86_3626
; %bb.3625:
	s_wait_xcnt 0x0
	v_mov_b32_e32 v2, 0
	global_store_b8 v[0:1], v2, off
.LBB86_3626:
	s_mov_b32 s39, 0
	s_mov_b32 s38, -1
.LBB86_3627:
	s_and_not1_b32 vcc_lo, exec_lo, s39
	s_cbranch_vccnz .LBB86_3635
; %bb.3628:
	s_cmp_gt_i32 s37, 14
	s_mov_b32 s39, -1
	s_cbranch_scc0 .LBB86_3632
; %bb.3629:
	s_cmp_eq_u32 s37, 15
	s_mov_b32 s27, -1
	s_cbranch_scc0 .LBB86_3631
; %bb.3630:
	s_wait_xcnt 0x0
	v_mov_b32_e32 v2, 0
	s_mov_b32 s38, -1
	s_mov_b32 s27, 0
	global_store_b16 v[0:1], v2, off
.LBB86_3631:
	s_mov_b32 s39, 0
.LBB86_3632:
	s_delay_alu instid0(SALU_CYCLE_1)
	s_and_b32 vcc_lo, exec_lo, s39
	s_cbranch_vccz .LBB86_3635
; %bb.3633:
	s_cmp_eq_u32 s37, 11
	s_mov_b32 s27, -1
	s_cbranch_scc0 .LBB86_3635
; %bb.3634:
	s_wait_xcnt 0x0
	v_mov_b32_e32 v2, 0
	s_mov_b32 s38, -1
	s_mov_b32 s27, 0
	global_store_b8 v[0:1], v2, off
.LBB86_3635:
	s_mov_b32 s37, 0
.LBB86_3636:
	s_delay_alu instid0(SALU_CYCLE_1)
	s_and_b32 vcc_lo, exec_lo, s37
	s_cbranch_vccz .LBB86_3675
; %bb.3637:
	s_and_b32 s36, 0xffff, s36
	s_mov_b32 s37, -1
	s_cmp_lt_i32 s36, 5
	s_cbranch_scc1 .LBB86_3658
; %bb.3638:
	s_cmp_lt_i32 s36, 8
	s_cbranch_scc1 .LBB86_3648
; %bb.3639:
	;; [unrolled: 3-line block ×3, first 2 shown]
	s_cmp_gt_i32 s36, 9
	s_cbranch_scc0 .LBB86_3642
; %bb.3641:
	s_wait_xcnt 0x0
	v_mov_b32_e32 v2, 0
	s_mov_b32 s37, 0
	s_delay_alu instid0(VALU_DEP_1)
	v_dual_mov_b32 v3, v2 :: v_dual_mov_b32 v4, v2
	v_mov_b32_e32 v5, v2
	global_store_b128 v[0:1], v[2:5], off
.LBB86_3642:
	s_and_not1_b32 vcc_lo, exec_lo, s37
	s_cbranch_vccnz .LBB86_3644
; %bb.3643:
	s_wait_xcnt 0x0
	v_mov_b64_e32 v[2:3], 0
	global_store_b64 v[0:1], v[2:3], off
.LBB86_3644:
	s_mov_b32 s37, 0
.LBB86_3645:
	s_delay_alu instid0(SALU_CYCLE_1)
	s_and_not1_b32 vcc_lo, exec_lo, s37
	s_cbranch_vccnz .LBB86_3647
; %bb.3646:
	s_wait_xcnt 0x0
	v_mov_b32_e32 v2, 0
	global_store_b32 v[0:1], v2, off
.LBB86_3647:
	s_mov_b32 s37, 0
.LBB86_3648:
	s_delay_alu instid0(SALU_CYCLE_1)
	s_and_not1_b32 vcc_lo, exec_lo, s37
	s_cbranch_vccnz .LBB86_3657
; %bb.3649:
	s_cmp_lt_i32 s36, 6
	s_mov_b32 s37, -1
	s_cbranch_scc1 .LBB86_3655
; %bb.3650:
	s_cmp_gt_i32 s36, 6
	s_cbranch_scc0 .LBB86_3652
; %bb.3651:
	s_wait_xcnt 0x0
	v_mov_b64_e32 v[2:3], 0
	s_mov_b32 s37, 0
	global_store_b64 v[0:1], v[2:3], off
.LBB86_3652:
	s_and_not1_b32 vcc_lo, exec_lo, s37
	s_cbranch_vccnz .LBB86_3654
; %bb.3653:
	s_wait_xcnt 0x0
	v_mov_b32_e32 v2, 0
	global_store_b32 v[0:1], v2, off
.LBB86_3654:
	s_mov_b32 s37, 0
.LBB86_3655:
	s_delay_alu instid0(SALU_CYCLE_1)
	s_and_not1_b32 vcc_lo, exec_lo, s37
	s_cbranch_vccnz .LBB86_3657
; %bb.3656:
	s_wait_xcnt 0x0
	v_mov_b32_e32 v2, 0
	global_store_b16 v[0:1], v2, off
.LBB86_3657:
	s_mov_b32 s37, 0
.LBB86_3658:
	s_delay_alu instid0(SALU_CYCLE_1)
	s_and_not1_b32 vcc_lo, exec_lo, s37
	s_cbranch_vccnz .LBB86_3674
; %bb.3659:
	s_cmp_lt_i32 s36, 2
	s_mov_b32 s37, -1
	s_cbranch_scc1 .LBB86_3669
; %bb.3660:
	s_cmp_lt_i32 s36, 3
	s_cbranch_scc1 .LBB86_3666
; %bb.3661:
	s_cmp_gt_i32 s36, 3
	s_cbranch_scc0 .LBB86_3663
; %bb.3662:
	s_wait_xcnt 0x0
	v_mov_b64_e32 v[2:3], 0
	s_mov_b32 s37, 0
	global_store_b64 v[0:1], v[2:3], off
.LBB86_3663:
	s_and_not1_b32 vcc_lo, exec_lo, s37
	s_cbranch_vccnz .LBB86_3665
; %bb.3664:
	s_wait_xcnt 0x0
	v_mov_b32_e32 v2, 0
	global_store_b32 v[0:1], v2, off
.LBB86_3665:
	s_mov_b32 s37, 0
.LBB86_3666:
	s_delay_alu instid0(SALU_CYCLE_1)
	s_and_not1_b32 vcc_lo, exec_lo, s37
	s_cbranch_vccnz .LBB86_3668
; %bb.3667:
	s_wait_xcnt 0x0
	v_mov_b32_e32 v2, 0
	global_store_b16 v[0:1], v2, off
.LBB86_3668:
	s_mov_b32 s37, 0
.LBB86_3669:
	s_delay_alu instid0(SALU_CYCLE_1)
	s_and_not1_b32 vcc_lo, exec_lo, s37
	s_cbranch_vccnz .LBB86_3674
; %bb.3670:
	s_cmp_gt_i32 s36, 0
	s_mov_b32 s36, -1
	s_cbranch_scc0 .LBB86_3672
; %bb.3671:
	s_wait_xcnt 0x0
	v_mov_b32_e32 v2, 0
	s_mov_b32 s36, 0
	global_store_b8 v[0:1], v2, off
.LBB86_3672:
	s_and_not1_b32 vcc_lo, exec_lo, s36
	s_cbranch_vccnz .LBB86_3674
; %bb.3673:
	s_wait_xcnt 0x0
	v_mov_b32_e32 v2, 0
	global_store_b8 v[0:1], v2, off
.LBB86_3674:
	s_mov_b32 s38, -1
.LBB86_3675:
	s_delay_alu instid0(SALU_CYCLE_1)
	s_and_not1_b32 vcc_lo, exec_lo, s38
	s_cbranch_vccnz .LBB86_3677
; %bb.3676:
	v_add_nc_u32_e32 v22, 0x80, v22
	s_mov_b32 s36, -1
	s_branch .LBB86_3678
.LBB86_3677:
	s_mov_b32 s36, 0
                                        ; implicit-def: $vgpr22
.LBB86_3678:
	s_and_not1_b32 s37, s74, exec_lo
	s_and_b32 s27, s27, exec_lo
	s_and_not1_b32 s0, s0, exec_lo
	s_or_b32 s27, s37, s27
	s_and_b32 s36, s36, exec_lo
.LBB86_3679:
	s_wait_xcnt 0x0
	s_or_b32 exec_lo, exec_lo, s1
	s_delay_alu instid0(SALU_CYCLE_1)
	s_and_not1_b32 s1, s74, exec_lo
	s_and_b32 s27, s27, exec_lo
	s_and_not1_b32 s38, s75, exec_lo
	s_and_b32 s0, s0, exec_lo
	s_or_b32 s37, s1, s27
	s_or_b32 s0, s38, s0
	s_xor_b32 s27, exec_lo, -1
	s_and_b32 s1, s36, exec_lo
.LBB86_3680:
	s_or_b32 exec_lo, exec_lo, s86
	s_delay_alu instid0(SALU_CYCLE_1)
	s_and_not1_b32 s36, s74, exec_lo
	s_and_b32 s37, s37, exec_lo
	s_and_b32 s0, s0, exec_lo
	s_or_b32 s38, s36, s37
	s_and_not1_b32 s36, s75, exec_lo
	s_and_not1_b32 s37, s76, exec_lo
	s_and_b32 s39, s27, exec_lo
	s_or_b32 s27, s36, s0
	s_or_b32 s37, s37, s39
	s_xor_b32 s36, exec_lo, -1
	s_and_b32 s0, s1, exec_lo
.LBB86_3681:
	s_or_b32 exec_lo, exec_lo, s85
	s_delay_alu instid0(SALU_CYCLE_1)
	s_and_not1_b32 s1, s74, exec_lo
	s_and_b32 s38, s38, exec_lo
	s_and_not1_b32 s39, s75, exec_lo
	s_and_b32 s27, s27, exec_lo
	s_or_b32 s1, s1, s38
	s_or_b32 s27, s39, s27
	s_and_not1_b32 s38, s76, exec_lo
	s_and_b32 s37, s37, exec_lo
	s_and_not1_b32 s39, s72, exec_lo
	s_and_b32 s40, s36, exec_lo
	s_or_b32 s36, s38, s37
	s_or_b32 s38, s39, s40
	s_xor_b32 s37, exec_lo, -1
	s_and_b32 s0, s0, exec_lo
	s_or_b32 exec_lo, exec_lo, s84
	s_branch .LBB86_2046
.LBB86_3682:
	s_mov_b32 s0, -1
.LBB86_3683:
                                        ; implicit-def: $vgpr1
.LBB86_3684:
	s_and_b32 vcc_lo, exec_lo, s22
	s_cbranch_vccz .LBB86_3688
; %bb.3685:
	s_cmp_eq_u32 s56, 44
	s_cbranch_scc0 .LBB86_3687
; %bb.3686:
	global_load_u8 v1, v[2:3], off
	s_mov_b32 s0, 0
	s_mov_b32 s5, -1
	s_wait_loadcnt 0x0
	v_lshlrev_b32_e32 v4, 23, v1
	v_cmp_ne_u32_e32 vcc_lo, 0, v1
	s_delay_alu instid0(VALU_DEP_2) | instskip(NEXT) | instid1(VALU_DEP_1)
	v_cvt_i32_f32_e32 v4, v4
	v_cndmask_b32_e32 v1, 0, v4, vcc_lo
	s_branch .LBB86_3688
.LBB86_3687:
	s_mov_b32 s0, -1
                                        ; implicit-def: $vgpr1
.LBB86_3688:
	s_mov_b32 s22, 0
.LBB86_3689:
	s_delay_alu instid0(SALU_CYCLE_1)
	s_and_b32 vcc_lo, exec_lo, s22
	s_cbranch_vccz .LBB86_3693
; %bb.3690:
	s_cmp_eq_u32 s56, 29
	s_cbranch_scc0 .LBB86_3692
; %bb.3691:
	global_load_b32 v1, v[2:3], off
	s_mov_b32 s0, 0
	s_mov_b32 s5, -1
	s_branch .LBB86_3693
.LBB86_3692:
	s_mov_b32 s0, -1
                                        ; implicit-def: $vgpr1
.LBB86_3693:
	s_mov_b32 s22, 0
.LBB86_3694:
	s_delay_alu instid0(SALU_CYCLE_1)
	s_and_b32 vcc_lo, exec_lo, s22
	s_cbranch_vccz .LBB86_3710
; %bb.3695:
	s_cmp_lt_i32 s56, 27
	s_cbranch_scc1 .LBB86_3698
; %bb.3696:
	s_cmp_gt_i32 s56, 27
	s_cbranch_scc0 .LBB86_3699
; %bb.3697:
	s_wait_loadcnt 0x0
	global_load_b32 v1, v[2:3], off
	s_mov_b32 s5, 0
	s_branch .LBB86_3700
.LBB86_3698:
	s_mov_b32 s5, -1
                                        ; implicit-def: $vgpr1
	s_branch .LBB86_3703
.LBB86_3699:
	s_mov_b32 s5, -1
                                        ; implicit-def: $vgpr1
.LBB86_3700:
	s_delay_alu instid0(SALU_CYCLE_1)
	s_and_not1_b32 vcc_lo, exec_lo, s5
	s_cbranch_vccnz .LBB86_3702
; %bb.3701:
	s_wait_loadcnt 0x0
	global_load_u16 v1, v[2:3], off
.LBB86_3702:
	s_mov_b32 s5, 0
.LBB86_3703:
	s_delay_alu instid0(SALU_CYCLE_1)
	s_and_not1_b32 vcc_lo, exec_lo, s5
	s_cbranch_vccnz .LBB86_3709
; %bb.3704:
	global_load_u8 v4, v[2:3], off
	s_mov_b32 s22, 0
	s_mov_b32 s5, exec_lo
	s_wait_loadcnt 0x0
	v_cmpx_lt_i16_e32 0x7f, v4
	s_xor_b32 s5, exec_lo, s5
	s_cbranch_execz .LBB86_3721
; %bb.3705:
	v_cmp_ne_u16_e32 vcc_lo, 0x80, v4
	s_and_b32 s22, vcc_lo, exec_lo
	s_and_not1_saveexec_b32 s5, s5
	s_cbranch_execnz .LBB86_3722
.LBB86_3706:
	s_or_b32 exec_lo, exec_lo, s5
	v_mov_b32_e32 v1, 0
	s_and_saveexec_b32 s5, s22
	s_cbranch_execz .LBB86_3708
.LBB86_3707:
	v_and_b32_e32 v1, 0xffff, v4
	s_delay_alu instid0(VALU_DEP_1) | instskip(SKIP_1) | instid1(VALU_DEP_2)
	v_dual_lshlrev_b32 v4, 24, v4 :: v_dual_bitop2_b32 v5, 7, v1 bitop3:0x40
	v_bfe_u32 v11, v1, 3, 4
	v_and_b32_e32 v4, 0x80000000, v4
	s_delay_alu instid0(VALU_DEP_3) | instskip(NEXT) | instid1(VALU_DEP_3)
	v_clz_i32_u32_e32 v9, v5
	v_cmp_eq_u32_e32 vcc_lo, 0, v11
	s_delay_alu instid0(VALU_DEP_2) | instskip(NEXT) | instid1(VALU_DEP_1)
	v_min_u32_e32 v9, 32, v9
	v_subrev_nc_u32_e32 v10, 28, v9
	v_sub_nc_u32_e32 v9, 29, v9
	s_delay_alu instid0(VALU_DEP_2) | instskip(NEXT) | instid1(VALU_DEP_2)
	v_lshlrev_b32_e32 v1, v10, v1
	v_cndmask_b32_e32 v9, v11, v9, vcc_lo
	s_delay_alu instid0(VALU_DEP_2) | instskip(NEXT) | instid1(VALU_DEP_1)
	v_and_b32_e32 v1, 7, v1
	v_cndmask_b32_e32 v1, v5, v1, vcc_lo
	s_delay_alu instid0(VALU_DEP_3) | instskip(NEXT) | instid1(VALU_DEP_2)
	v_lshl_add_u32 v5, v9, 23, 0x3b800000
	v_lshlrev_b32_e32 v1, 20, v1
	s_delay_alu instid0(VALU_DEP_1) | instskip(NEXT) | instid1(VALU_DEP_1)
	v_or3_b32 v1, v4, v5, v1
	v_cvt_i32_f32_e32 v1, v1
.LBB86_3708:
	s_or_b32 exec_lo, exec_lo, s5
.LBB86_3709:
	s_mov_b32 s5, -1
.LBB86_3710:
	s_mov_b32 s22, 0
.LBB86_3711:
	s_delay_alu instid0(SALU_CYCLE_1)
	s_and_b32 vcc_lo, exec_lo, s22
	s_cbranch_vccz .LBB86_3742
; %bb.3712:
	s_cmp_gt_i32 s56, 22
	s_cbranch_scc0 .LBB86_3720
; %bb.3713:
	s_cmp_lt_i32 s56, 24
	s_cbranch_scc1 .LBB86_3723
; %bb.3714:
	s_cmp_gt_i32 s56, 24
	s_cbranch_scc0 .LBB86_3724
; %bb.3715:
	global_load_u8 v4, v[2:3], off
	s_mov_b32 s5, 0
	s_mov_b32 s1, exec_lo
	s_wait_loadcnt 0x0
	v_cmpx_lt_i16_e32 0x7f, v4
	s_xor_b32 s1, exec_lo, s1
	s_cbranch_execz .LBB86_3736
; %bb.3716:
	v_cmp_ne_u16_e32 vcc_lo, 0x80, v4
	s_and_b32 s5, vcc_lo, exec_lo
	s_and_not1_saveexec_b32 s1, s1
	s_cbranch_execnz .LBB86_3737
.LBB86_3717:
	s_or_b32 exec_lo, exec_lo, s1
	v_mov_b32_e32 v1, 0
	s_and_saveexec_b32 s1, s5
	s_cbranch_execz .LBB86_3719
.LBB86_3718:
	v_and_b32_e32 v1, 0xffff, v4
	s_delay_alu instid0(VALU_DEP_1) | instskip(SKIP_1) | instid1(VALU_DEP_2)
	v_dual_lshlrev_b32 v4, 24, v4 :: v_dual_bitop2_b32 v5, 3, v1 bitop3:0x40
	v_bfe_u32 v11, v1, 2, 5
	v_and_b32_e32 v4, 0x80000000, v4
	s_delay_alu instid0(VALU_DEP_3) | instskip(NEXT) | instid1(VALU_DEP_3)
	v_clz_i32_u32_e32 v9, v5
	v_cmp_eq_u32_e32 vcc_lo, 0, v11
	s_delay_alu instid0(VALU_DEP_2) | instskip(NEXT) | instid1(VALU_DEP_1)
	v_min_u32_e32 v9, 32, v9
	v_subrev_nc_u32_e32 v10, 29, v9
	v_sub_nc_u32_e32 v9, 30, v9
	s_delay_alu instid0(VALU_DEP_2) | instskip(NEXT) | instid1(VALU_DEP_2)
	v_lshlrev_b32_e32 v1, v10, v1
	v_cndmask_b32_e32 v9, v11, v9, vcc_lo
	s_delay_alu instid0(VALU_DEP_2) | instskip(NEXT) | instid1(VALU_DEP_1)
	v_and_b32_e32 v1, 3, v1
	v_cndmask_b32_e32 v1, v5, v1, vcc_lo
	s_delay_alu instid0(VALU_DEP_3) | instskip(NEXT) | instid1(VALU_DEP_2)
	v_lshl_add_u32 v5, v9, 23, 0x37800000
	v_lshlrev_b32_e32 v1, 21, v1
	s_delay_alu instid0(VALU_DEP_1) | instskip(NEXT) | instid1(VALU_DEP_1)
	v_or3_b32 v1, v4, v5, v1
	v_cvt_i32_f32_e32 v1, v1
.LBB86_3719:
	s_or_b32 exec_lo, exec_lo, s1
	s_mov_b32 s1, 0
	s_branch .LBB86_3725
.LBB86_3720:
	s_mov_b32 s1, -1
                                        ; implicit-def: $vgpr1
	s_branch .LBB86_3731
.LBB86_3721:
	s_and_not1_saveexec_b32 s5, s5
	s_cbranch_execz .LBB86_3706
.LBB86_3722:
	v_cmp_ne_u16_e32 vcc_lo, 0, v4
	s_and_not1_b32 s22, s22, exec_lo
	s_and_b32 s23, vcc_lo, exec_lo
	s_delay_alu instid0(SALU_CYCLE_1)
	s_or_b32 s22, s22, s23
	s_or_b32 exec_lo, exec_lo, s5
	v_mov_b32_e32 v1, 0
	s_and_saveexec_b32 s5, s22
	s_cbranch_execnz .LBB86_3707
	s_branch .LBB86_3708
.LBB86_3723:
	s_mov_b32 s1, -1
                                        ; implicit-def: $vgpr1
	s_branch .LBB86_3728
.LBB86_3724:
	s_mov_b32 s1, -1
                                        ; implicit-def: $vgpr1
.LBB86_3725:
	s_delay_alu instid0(SALU_CYCLE_1)
	s_and_b32 vcc_lo, exec_lo, s1
	s_cbranch_vccz .LBB86_3727
; %bb.3726:
	s_wait_loadcnt 0x0
	global_load_u8 v1, v[2:3], off
	s_wait_loadcnt 0x0
	v_lshlrev_b32_e32 v1, 24, v1
	s_delay_alu instid0(VALU_DEP_1) | instskip(NEXT) | instid1(VALU_DEP_1)
	v_and_b32_e32 v4, 0x7f000000, v1
	v_clz_i32_u32_e32 v5, v4
	v_add_nc_u32_e32 v10, 0x1000000, v4
	v_cmp_ne_u32_e32 vcc_lo, 0, v4
	s_delay_alu instid0(VALU_DEP_3) | instskip(NEXT) | instid1(VALU_DEP_1)
	v_min_u32_e32 v5, 32, v5
	v_sub_nc_u32_e64 v5, v5, 4 clamp
	s_delay_alu instid0(VALU_DEP_1) | instskip(NEXT) | instid1(VALU_DEP_1)
	v_dual_lshlrev_b32 v9, v5, v4 :: v_dual_lshlrev_b32 v5, 23, v5
	v_lshrrev_b32_e32 v9, 4, v9
	s_delay_alu instid0(VALU_DEP_1) | instskip(NEXT) | instid1(VALU_DEP_1)
	v_dual_sub_nc_u32 v5, v9, v5 :: v_dual_ashrrev_i32 v9, 8, v10
	v_add_nc_u32_e32 v5, 0x3c000000, v5
	s_delay_alu instid0(VALU_DEP_1) | instskip(NEXT) | instid1(VALU_DEP_1)
	v_and_or_b32 v5, 0x7f800000, v9, v5
	v_cndmask_b32_e32 v4, 0, v5, vcc_lo
	s_delay_alu instid0(VALU_DEP_1) | instskip(NEXT) | instid1(VALU_DEP_1)
	v_and_or_b32 v1, 0x80000000, v1, v4
	v_cvt_i32_f32_e32 v1, v1
.LBB86_3727:
	s_mov_b32 s1, 0
.LBB86_3728:
	s_delay_alu instid0(SALU_CYCLE_1)
	s_and_not1_b32 vcc_lo, exec_lo, s1
	s_cbranch_vccnz .LBB86_3730
; %bb.3729:
	s_wait_loadcnt 0x0
	global_load_u8 v1, v[2:3], off
	s_wait_loadcnt 0x0
	v_lshlrev_b32_e32 v4, 25, v1
	v_lshlrev_b16 v1, 8, v1
	s_delay_alu instid0(VALU_DEP_2) | instskip(NEXT) | instid1(VALU_DEP_2)
	v_cmp_gt_u32_e32 vcc_lo, 0x8000000, v4
	v_and_or_b32 v9, 0x7f00, v1, 0.5
	v_lshrrev_b32_e32 v5, 4, v4
	v_bfe_i32 v1, v1, 0, 16
	s_delay_alu instid0(VALU_DEP_3) | instskip(NEXT) | instid1(VALU_DEP_3)
	v_add_f32_e32 v9, -0.5, v9
	v_or_b32_e32 v5, 0x70000000, v5
	s_delay_alu instid0(VALU_DEP_1) | instskip(NEXT) | instid1(VALU_DEP_1)
	v_mul_f32_e32 v5, 0x7800000, v5
	v_cndmask_b32_e32 v4, v5, v9, vcc_lo
	s_delay_alu instid0(VALU_DEP_1) | instskip(NEXT) | instid1(VALU_DEP_1)
	v_and_or_b32 v1, 0x80000000, v1, v4
	v_cvt_i32_f32_e32 v1, v1
.LBB86_3730:
	s_mov_b32 s1, 0
	s_mov_b32 s5, -1
.LBB86_3731:
	s_and_not1_b32 vcc_lo, exec_lo, s1
	s_mov_b32 s1, 0
	s_cbranch_vccnz .LBB86_3742
; %bb.3732:
	s_cmp_gt_i32 s56, 14
	s_cbranch_scc0 .LBB86_3735
; %bb.3733:
	s_cmp_eq_u32 s56, 15
	s_cbranch_scc0 .LBB86_3738
; %bb.3734:
	s_wait_loadcnt 0x0
	global_load_u16 v1, v[2:3], off
	s_mov_b32 s0, 0
	s_mov_b32 s5, -1
	s_wait_loadcnt 0x0
	v_lshlrev_b32_e32 v1, 16, v1
	s_delay_alu instid0(VALU_DEP_1)
	v_cvt_i32_f32_e32 v1, v1
	s_branch .LBB86_3740
.LBB86_3735:
	s_mov_b32 s1, -1
	s_branch .LBB86_3739
.LBB86_3736:
	s_and_not1_saveexec_b32 s1, s1
	s_cbranch_execz .LBB86_3717
.LBB86_3737:
	v_cmp_ne_u16_e32 vcc_lo, 0, v4
	s_and_not1_b32 s5, s5, exec_lo
	s_and_b32 s22, vcc_lo, exec_lo
	s_delay_alu instid0(SALU_CYCLE_1)
	s_or_b32 s5, s5, s22
	s_or_b32 exec_lo, exec_lo, s1
	v_mov_b32_e32 v1, 0
	s_and_saveexec_b32 s1, s5
	s_cbranch_execnz .LBB86_3718
	s_branch .LBB86_3719
.LBB86_3738:
	s_mov_b32 s0, -1
.LBB86_3739:
                                        ; implicit-def: $vgpr1
.LBB86_3740:
	s_and_b32 vcc_lo, exec_lo, s1
	s_mov_b32 s1, 0
	s_cbranch_vccz .LBB86_3742
; %bb.3741:
	s_cmp_lg_u32 s56, 11
	s_mov_b32 s1, -1
	s_cselect_b32 s0, -1, 0
.LBB86_3742:
	s_delay_alu instid0(SALU_CYCLE_1)
	s_and_b32 vcc_lo, exec_lo, s0
	s_mov_b32 s45, s43
	s_cbranch_vccnz .LBB86_3807
; %bb.3743:
	s_and_not1_b32 vcc_lo, exec_lo, s1
	s_cbranch_vccnz .LBB86_3745
.LBB86_3744:
	s_wait_loadcnt 0x0
	global_load_u8 v1, v[2:3], off
	s_mov_b32 s5, -1
	s_wait_loadcnt 0x0
	v_cmp_ne_u16_e32 vcc_lo, 0, v1
	v_cndmask_b32_e64 v1, 0, 1, vcc_lo
.LBB86_3745:
	s_mov_b32 s0, 0
.LBB86_3746:
	s_delay_alu instid0(SALU_CYCLE_1)
	s_and_b32 vcc_lo, exec_lo, s0
	s_cbranch_vccz .LBB86_3795
; %bb.3747:
	s_cmp_lt_i32 s56, 5
	s_cbranch_scc1 .LBB86_3752
; %bb.3748:
	s_cmp_lt_i32 s56, 8
	s_cbranch_scc1 .LBB86_3753
	;; [unrolled: 3-line block ×3, first 2 shown]
; %bb.3750:
	s_cmp_gt_i32 s56, 9
	s_cbranch_scc0 .LBB86_3755
; %bb.3751:
	global_load_b64 v[4:5], v[2:3], off
	s_mov_b32 s0, 0
	s_wait_loadcnt 0x0
	v_cvt_i32_f64_e32 v1, v[4:5]
	s_branch .LBB86_3756
.LBB86_3752:
	s_mov_b32 s0, -1
                                        ; implicit-def: $vgpr1
	s_branch .LBB86_3774
.LBB86_3753:
	s_mov_b32 s0, -1
                                        ; implicit-def: $vgpr1
	s_branch .LBB86_3762
.LBB86_3754:
	s_mov_b32 s0, -1
                                        ; implicit-def: $vgpr1
	s_branch .LBB86_3759
.LBB86_3755:
	s_mov_b32 s0, -1
                                        ; implicit-def: $vgpr1
.LBB86_3756:
	s_delay_alu instid0(SALU_CYCLE_1)
	s_and_not1_b32 vcc_lo, exec_lo, s0
	s_cbranch_vccnz .LBB86_3758
; %bb.3757:
	s_wait_loadcnt 0x0
	global_load_b32 v1, v[2:3], off
	s_wait_loadcnt 0x0
	v_cvt_i32_f32_e32 v1, v1
.LBB86_3758:
	s_mov_b32 s0, 0
.LBB86_3759:
	s_delay_alu instid0(SALU_CYCLE_1)
	s_and_not1_b32 vcc_lo, exec_lo, s0
	s_cbranch_vccnz .LBB86_3761
; %bb.3760:
	s_wait_loadcnt 0x0
	global_load_b32 v1, v[2:3], off
	s_wait_loadcnt 0x0
	v_cvt_f32_f16_e32 v1, v1
	s_delay_alu instid0(VALU_DEP_1)
	v_cvt_i32_f32_e32 v1, v1
.LBB86_3761:
	s_mov_b32 s0, 0
.LBB86_3762:
	s_delay_alu instid0(SALU_CYCLE_1)
	s_and_not1_b32 vcc_lo, exec_lo, s0
	s_cbranch_vccnz .LBB86_3773
; %bb.3763:
	s_cmp_lt_i32 s56, 6
	s_cbranch_scc1 .LBB86_3766
; %bb.3764:
	s_cmp_gt_i32 s56, 6
	s_cbranch_scc0 .LBB86_3767
; %bb.3765:
	global_load_b64 v[4:5], v[2:3], off
	s_mov_b32 s0, 0
	s_wait_loadcnt 0x0
	v_cvt_i32_f64_e32 v1, v[4:5]
	s_branch .LBB86_3768
.LBB86_3766:
	s_mov_b32 s0, -1
                                        ; implicit-def: $vgpr1
	s_branch .LBB86_3771
.LBB86_3767:
	s_mov_b32 s0, -1
                                        ; implicit-def: $vgpr1
.LBB86_3768:
	s_delay_alu instid0(SALU_CYCLE_1)
	s_and_not1_b32 vcc_lo, exec_lo, s0
	s_cbranch_vccnz .LBB86_3770
; %bb.3769:
	s_wait_loadcnt 0x0
	global_load_b32 v1, v[2:3], off
	s_wait_loadcnt 0x0
	v_cvt_i32_f32_e32 v1, v1
.LBB86_3770:
	s_mov_b32 s0, 0
.LBB86_3771:
	s_delay_alu instid0(SALU_CYCLE_1)
	s_and_not1_b32 vcc_lo, exec_lo, s0
	s_cbranch_vccnz .LBB86_3773
; %bb.3772:
	s_wait_loadcnt 0x0
	global_load_u16 v1, v[2:3], off
	s_wait_loadcnt 0x0
	v_cvt_f32_f16_e32 v1, v1
	s_delay_alu instid0(VALU_DEP_1)
	v_cvt_i32_f32_e32 v1, v1
.LBB86_3773:
	s_mov_b32 s0, 0
.LBB86_3774:
	s_delay_alu instid0(SALU_CYCLE_1)
	s_and_not1_b32 vcc_lo, exec_lo, s0
	s_cbranch_vccnz .LBB86_3794
; %bb.3775:
	s_cmp_lt_i32 s56, 2
	s_cbranch_scc1 .LBB86_3779
; %bb.3776:
	s_cmp_lt_i32 s56, 3
	s_cbranch_scc1 .LBB86_3780
; %bb.3777:
	s_cmp_gt_i32 s56, 3
	s_cbranch_scc0 .LBB86_3781
; %bb.3778:
	s_wait_loadcnt 0x0
	global_load_b32 v1, v[2:3], off
	s_mov_b32 s0, 0
	s_branch .LBB86_3782
.LBB86_3779:
	s_mov_b32 s0, -1
                                        ; implicit-def: $vgpr1
	s_branch .LBB86_3788
.LBB86_3780:
	s_mov_b32 s0, -1
                                        ; implicit-def: $vgpr1
	s_branch .LBB86_3785
.LBB86_3781:
	s_mov_b32 s0, -1
                                        ; implicit-def: $vgpr1
.LBB86_3782:
	s_delay_alu instid0(SALU_CYCLE_1)
	s_and_not1_b32 vcc_lo, exec_lo, s0
	s_cbranch_vccnz .LBB86_3784
; %bb.3783:
	s_wait_loadcnt 0x0
	global_load_b32 v1, v[2:3], off
.LBB86_3784:
	s_mov_b32 s0, 0
.LBB86_3785:
	s_delay_alu instid0(SALU_CYCLE_1)
	s_and_not1_b32 vcc_lo, exec_lo, s0
	s_cbranch_vccnz .LBB86_3787
; %bb.3786:
	s_wait_loadcnt 0x0
	global_load_i16 v1, v[2:3], off
.LBB86_3787:
	s_mov_b32 s0, 0
.LBB86_3788:
	s_delay_alu instid0(SALU_CYCLE_1)
	s_and_not1_b32 vcc_lo, exec_lo, s0
	s_cbranch_vccnz .LBB86_3794
; %bb.3789:
	s_cmp_gt_i32 s56, 0
	s_mov_b32 s0, 0
	s_cbranch_scc0 .LBB86_3791
; %bb.3790:
	s_wait_loadcnt 0x0
	global_load_i8 v1, v[2:3], off
	s_branch .LBB86_3792
.LBB86_3791:
	s_mov_b32 s0, -1
                                        ; implicit-def: $vgpr1
.LBB86_3792:
	s_delay_alu instid0(SALU_CYCLE_1)
	s_and_not1_b32 vcc_lo, exec_lo, s0
	s_cbranch_vccnz .LBB86_3794
; %bb.3793:
	s_wait_loadcnt 0x0
	global_load_u8 v1, v[2:3], off
.LBB86_3794:
	s_mov_b32 s5, -1
.LBB86_3795:
	s_delay_alu instid0(SALU_CYCLE_1)
	s_and_not1_b32 vcc_lo, exec_lo, s5
	s_cbranch_vccnz .LBB86_4318
; %bb.3796:
	s_wait_xcnt 0x0
	v_mul_lo_u32 v2, s61, v7
	s_and_b32 s57, 0xffff, s35
	s_delay_alu instid0(SALU_CYCLE_1) | instskip(NEXT) | instid1(VALU_DEP_1)
	s_cmp_lt_i32 s57, 11
	v_ashrrev_i32_e32 v3, 31, v2
	s_delay_alu instid0(VALU_DEP_1)
	v_add_nc_u64_e32 v[4:5], s[10:11], v[2:3]
	s_cbranch_scc1 .LBB86_3803
; %bb.3797:
	s_cmp_gt_i32 s57, 25
	s_mov_b32 s1, 0
	s_cbranch_scc0 .LBB86_3804
; %bb.3798:
	s_cmp_gt_i32 s57, 28
	s_cbranch_scc0 .LBB86_3805
; %bb.3799:
	s_cmp_gt_i32 s57, 43
	;; [unrolled: 3-line block ×3, first 2 shown]
	s_cbranch_scc0 .LBB86_3808
; %bb.3801:
	s_cmp_eq_u32 s57, 46
	s_mov_b32 s22, 0
	s_cbranch_scc0 .LBB86_3810
; %bb.3802:
	global_load_b32 v3, v[4:5], off
	s_mov_b32 s0, 0
	s_mov_b32 s5, -1
	s_wait_loadcnt 0x0
	v_lshlrev_b32_e32 v3, 16, v3
	s_delay_alu instid0(VALU_DEP_1)
	v_cvt_i32_f32_e32 v3, v3
	s_branch .LBB86_3812
.LBB86_3803:
	s_mov_b32 s0, -1
	s_mov_b32 s5, 0
                                        ; implicit-def: $vgpr3
	s_branch .LBB86_3874
.LBB86_3804:
	s_mov_b32 s22, -1
	s_mov_b32 s5, 0
	s_mov_b32 s0, 0
                                        ; implicit-def: $vgpr3
	s_branch .LBB86_3839
.LBB86_3805:
	s_mov_b32 s22, -1
	s_mov_b32 s5, 0
	s_mov_b32 s0, 0
                                        ; implicit-def: $vgpr3
	s_branch .LBB86_3822
.LBB86_3806:
	s_mov_b32 s22, -1
	s_mov_b32 s5, 0
	s_mov_b32 s0, 0
                                        ; implicit-def: $vgpr3
	s_branch .LBB86_3817
.LBB86_3807:
	s_or_b32 s45, s43, exec_lo
	s_trap 2
	s_cbranch_execz .LBB86_3744
	s_branch .LBB86_3745
.LBB86_3808:
	s_mov_b32 s22, -1
	s_mov_b32 s5, 0
	s_mov_b32 s0, 0
	s_branch .LBB86_3811
.LBB86_3809:
	s_or_b32 s38, s38, exec_lo
	s_trap 2
                                        ; implicit-def: $vgpr24
                                        ; implicit-def: $vgpr2
                                        ; implicit-def: $vgpr0
                                        ; implicit-def: $vgpr23
                                        ; implicit-def: $vgpr22
                                        ; implicit-def: $vgpr10
                                        ; implicit-def: $vgpr6
                                        ; implicit-def: $vgpr8
	s_branch .LBB86_3427
.LBB86_3810:
	s_mov_b32 s0, -1
	s_mov_b32 s5, 0
.LBB86_3811:
                                        ; implicit-def: $vgpr3
.LBB86_3812:
	s_and_b32 vcc_lo, exec_lo, s22
	s_cbranch_vccz .LBB86_3816
; %bb.3813:
	s_cmp_eq_u32 s57, 44
	s_cbranch_scc0 .LBB86_3815
; %bb.3814:
	global_load_u8 v3, v[4:5], off
	s_mov_b32 s0, 0
	s_mov_b32 s5, -1
	s_wait_loadcnt 0x0
	v_lshlrev_b32_e32 v9, 23, v3
	v_cmp_ne_u32_e32 vcc_lo, 0, v3
	s_delay_alu instid0(VALU_DEP_2) | instskip(NEXT) | instid1(VALU_DEP_1)
	v_cvt_i32_f32_e32 v9, v9
	v_cndmask_b32_e32 v3, 0, v9, vcc_lo
	s_branch .LBB86_3816
.LBB86_3815:
	s_mov_b32 s0, -1
                                        ; implicit-def: $vgpr3
.LBB86_3816:
	s_mov_b32 s22, 0
.LBB86_3817:
	s_delay_alu instid0(SALU_CYCLE_1)
	s_and_b32 vcc_lo, exec_lo, s22
	s_cbranch_vccz .LBB86_3821
; %bb.3818:
	s_cmp_eq_u32 s57, 29
	s_cbranch_scc0 .LBB86_3820
; %bb.3819:
	global_load_b32 v3, v[4:5], off
	s_mov_b32 s0, 0
	s_mov_b32 s5, -1
	s_branch .LBB86_3821
.LBB86_3820:
	s_mov_b32 s0, -1
                                        ; implicit-def: $vgpr3
.LBB86_3821:
	s_mov_b32 s22, 0
.LBB86_3822:
	s_delay_alu instid0(SALU_CYCLE_1)
	s_and_b32 vcc_lo, exec_lo, s22
	s_cbranch_vccz .LBB86_3838
; %bb.3823:
	s_cmp_lt_i32 s57, 27
	s_cbranch_scc1 .LBB86_3826
; %bb.3824:
	s_cmp_gt_i32 s57, 27
	s_cbranch_scc0 .LBB86_3827
; %bb.3825:
	s_wait_loadcnt 0x0
	global_load_b32 v3, v[4:5], off
	s_mov_b32 s5, 0
	s_branch .LBB86_3828
.LBB86_3826:
	s_mov_b32 s5, -1
                                        ; implicit-def: $vgpr3
	s_branch .LBB86_3831
.LBB86_3827:
	s_mov_b32 s5, -1
                                        ; implicit-def: $vgpr3
.LBB86_3828:
	s_delay_alu instid0(SALU_CYCLE_1)
	s_and_not1_b32 vcc_lo, exec_lo, s5
	s_cbranch_vccnz .LBB86_3830
; %bb.3829:
	s_wait_loadcnt 0x0
	global_load_u16 v3, v[4:5], off
.LBB86_3830:
	s_mov_b32 s5, 0
.LBB86_3831:
	s_delay_alu instid0(SALU_CYCLE_1)
	s_and_not1_b32 vcc_lo, exec_lo, s5
	s_cbranch_vccnz .LBB86_3837
; %bb.3832:
	global_load_u8 v9, v[4:5], off
	s_mov_b32 s22, 0
	s_mov_b32 s5, exec_lo
	s_wait_loadcnt 0x0
	v_cmpx_lt_i16_e32 0x7f, v9
	s_xor_b32 s5, exec_lo, s5
	s_cbranch_execz .LBB86_3849
; %bb.3833:
	v_cmp_ne_u16_e32 vcc_lo, 0x80, v9
	s_and_b32 s22, vcc_lo, exec_lo
	s_and_not1_saveexec_b32 s5, s5
	s_cbranch_execnz .LBB86_3850
.LBB86_3834:
	s_or_b32 exec_lo, exec_lo, s5
	v_mov_b32_e32 v3, 0
	s_and_saveexec_b32 s5, s22
	s_cbranch_execz .LBB86_3836
.LBB86_3835:
	v_and_b32_e32 v3, 0xffff, v9
	s_delay_alu instid0(VALU_DEP_1) | instskip(SKIP_1) | instid1(VALU_DEP_2)
	v_dual_lshlrev_b32 v9, 24, v9 :: v_dual_bitop2_b32 v10, 7, v3 bitop3:0x40
	v_bfe_u32 v13, v3, 3, 4
	v_and_b32_e32 v9, 0x80000000, v9
	s_delay_alu instid0(VALU_DEP_3) | instskip(NEXT) | instid1(VALU_DEP_3)
	v_clz_i32_u32_e32 v11, v10
	v_cmp_eq_u32_e32 vcc_lo, 0, v13
	s_delay_alu instid0(VALU_DEP_2) | instskip(NEXT) | instid1(VALU_DEP_1)
	v_min_u32_e32 v11, 32, v11
	v_subrev_nc_u32_e32 v12, 28, v11
	v_sub_nc_u32_e32 v11, 29, v11
	s_delay_alu instid0(VALU_DEP_2) | instskip(NEXT) | instid1(VALU_DEP_2)
	v_lshlrev_b32_e32 v3, v12, v3
	v_cndmask_b32_e32 v11, v13, v11, vcc_lo
	s_delay_alu instid0(VALU_DEP_2) | instskip(NEXT) | instid1(VALU_DEP_1)
	v_and_b32_e32 v3, 7, v3
	v_cndmask_b32_e32 v3, v10, v3, vcc_lo
	s_delay_alu instid0(VALU_DEP_3) | instskip(NEXT) | instid1(VALU_DEP_2)
	v_lshl_add_u32 v10, v11, 23, 0x3b800000
	v_lshlrev_b32_e32 v3, 20, v3
	s_delay_alu instid0(VALU_DEP_1) | instskip(NEXT) | instid1(VALU_DEP_1)
	v_or3_b32 v3, v9, v10, v3
	v_cvt_i32_f32_e32 v3, v3
.LBB86_3836:
	s_or_b32 exec_lo, exec_lo, s5
.LBB86_3837:
	s_mov_b32 s5, -1
.LBB86_3838:
	s_mov_b32 s22, 0
.LBB86_3839:
	s_delay_alu instid0(SALU_CYCLE_1)
	s_and_b32 vcc_lo, exec_lo, s22
	s_cbranch_vccz .LBB86_3870
; %bb.3840:
	s_cmp_gt_i32 s57, 22
	s_cbranch_scc0 .LBB86_3848
; %bb.3841:
	s_cmp_lt_i32 s57, 24
	s_cbranch_scc1 .LBB86_3851
; %bb.3842:
	s_cmp_gt_i32 s57, 24
	s_cbranch_scc0 .LBB86_3852
; %bb.3843:
	global_load_u8 v9, v[4:5], off
	s_mov_b32 s5, 0
	s_mov_b32 s1, exec_lo
	s_wait_loadcnt 0x0
	v_cmpx_lt_i16_e32 0x7f, v9
	s_xor_b32 s1, exec_lo, s1
	s_cbranch_execz .LBB86_3864
; %bb.3844:
	v_cmp_ne_u16_e32 vcc_lo, 0x80, v9
	s_and_b32 s5, vcc_lo, exec_lo
	s_and_not1_saveexec_b32 s1, s1
	s_cbranch_execnz .LBB86_3865
.LBB86_3845:
	s_or_b32 exec_lo, exec_lo, s1
	v_mov_b32_e32 v3, 0
	s_and_saveexec_b32 s1, s5
	s_cbranch_execz .LBB86_3847
.LBB86_3846:
	v_and_b32_e32 v3, 0xffff, v9
	s_delay_alu instid0(VALU_DEP_1) | instskip(SKIP_1) | instid1(VALU_DEP_2)
	v_dual_lshlrev_b32 v9, 24, v9 :: v_dual_bitop2_b32 v10, 3, v3 bitop3:0x40
	v_bfe_u32 v13, v3, 2, 5
	v_and_b32_e32 v9, 0x80000000, v9
	s_delay_alu instid0(VALU_DEP_3) | instskip(NEXT) | instid1(VALU_DEP_3)
	v_clz_i32_u32_e32 v11, v10
	v_cmp_eq_u32_e32 vcc_lo, 0, v13
	s_delay_alu instid0(VALU_DEP_2) | instskip(NEXT) | instid1(VALU_DEP_1)
	v_min_u32_e32 v11, 32, v11
	v_subrev_nc_u32_e32 v12, 29, v11
	v_sub_nc_u32_e32 v11, 30, v11
	s_delay_alu instid0(VALU_DEP_2) | instskip(NEXT) | instid1(VALU_DEP_2)
	v_lshlrev_b32_e32 v3, v12, v3
	v_cndmask_b32_e32 v11, v13, v11, vcc_lo
	s_delay_alu instid0(VALU_DEP_2) | instskip(NEXT) | instid1(VALU_DEP_1)
	v_and_b32_e32 v3, 3, v3
	v_cndmask_b32_e32 v3, v10, v3, vcc_lo
	s_delay_alu instid0(VALU_DEP_3) | instskip(NEXT) | instid1(VALU_DEP_2)
	v_lshl_add_u32 v10, v11, 23, 0x37800000
	v_lshlrev_b32_e32 v3, 21, v3
	s_delay_alu instid0(VALU_DEP_1) | instskip(NEXT) | instid1(VALU_DEP_1)
	v_or3_b32 v3, v9, v10, v3
	v_cvt_i32_f32_e32 v3, v3
.LBB86_3847:
	s_or_b32 exec_lo, exec_lo, s1
	s_mov_b32 s1, 0
	s_branch .LBB86_3853
.LBB86_3848:
	s_mov_b32 s1, -1
                                        ; implicit-def: $vgpr3
	s_branch .LBB86_3859
.LBB86_3849:
	s_and_not1_saveexec_b32 s5, s5
	s_cbranch_execz .LBB86_3834
.LBB86_3850:
	v_cmp_ne_u16_e32 vcc_lo, 0, v9
	s_and_not1_b32 s22, s22, exec_lo
	s_and_b32 s23, vcc_lo, exec_lo
	s_delay_alu instid0(SALU_CYCLE_1)
	s_or_b32 s22, s22, s23
	s_or_b32 exec_lo, exec_lo, s5
	v_mov_b32_e32 v3, 0
	s_and_saveexec_b32 s5, s22
	s_cbranch_execnz .LBB86_3835
	s_branch .LBB86_3836
.LBB86_3851:
	s_mov_b32 s1, -1
                                        ; implicit-def: $vgpr3
	s_branch .LBB86_3856
.LBB86_3852:
	s_mov_b32 s1, -1
                                        ; implicit-def: $vgpr3
.LBB86_3853:
	s_delay_alu instid0(SALU_CYCLE_1)
	s_and_b32 vcc_lo, exec_lo, s1
	s_cbranch_vccz .LBB86_3855
; %bb.3854:
	s_wait_loadcnt 0x0
	global_load_u8 v3, v[4:5], off
	s_wait_loadcnt 0x0
	v_lshlrev_b32_e32 v3, 24, v3
	s_delay_alu instid0(VALU_DEP_1) | instskip(NEXT) | instid1(VALU_DEP_1)
	v_and_b32_e32 v9, 0x7f000000, v3
	v_clz_i32_u32_e32 v10, v9
	v_cmp_ne_u32_e32 vcc_lo, 0, v9
	v_add_nc_u32_e32 v12, 0x1000000, v9
	s_delay_alu instid0(VALU_DEP_3) | instskip(NEXT) | instid1(VALU_DEP_1)
	v_min_u32_e32 v10, 32, v10
	v_sub_nc_u32_e64 v10, v10, 4 clamp
	s_delay_alu instid0(VALU_DEP_1) | instskip(NEXT) | instid1(VALU_DEP_1)
	v_dual_lshlrev_b32 v11, v10, v9 :: v_dual_lshlrev_b32 v10, 23, v10
	v_lshrrev_b32_e32 v11, 4, v11
	s_delay_alu instid0(VALU_DEP_1) | instskip(NEXT) | instid1(VALU_DEP_1)
	v_dual_sub_nc_u32 v10, v11, v10 :: v_dual_ashrrev_i32 v11, 8, v12
	v_add_nc_u32_e32 v10, 0x3c000000, v10
	s_delay_alu instid0(VALU_DEP_1) | instskip(NEXT) | instid1(VALU_DEP_1)
	v_and_or_b32 v10, 0x7f800000, v11, v10
	v_cndmask_b32_e32 v9, 0, v10, vcc_lo
	s_delay_alu instid0(VALU_DEP_1) | instskip(NEXT) | instid1(VALU_DEP_1)
	v_and_or_b32 v3, 0x80000000, v3, v9
	v_cvt_i32_f32_e32 v3, v3
.LBB86_3855:
	s_mov_b32 s1, 0
.LBB86_3856:
	s_delay_alu instid0(SALU_CYCLE_1)
	s_and_not1_b32 vcc_lo, exec_lo, s1
	s_cbranch_vccnz .LBB86_3858
; %bb.3857:
	s_wait_loadcnt 0x0
	global_load_u8 v3, v[4:5], off
	s_wait_loadcnt 0x0
	v_lshlrev_b32_e32 v9, 25, v3
	v_lshlrev_b16 v3, 8, v3
	s_delay_alu instid0(VALU_DEP_1) | instskip(NEXT) | instid1(VALU_DEP_3)
	v_and_or_b32 v11, 0x7f00, v3, 0.5
	v_lshrrev_b32_e32 v10, 4, v9
	v_bfe_i32 v3, v3, 0, 16
	s_delay_alu instid0(VALU_DEP_3) | instskip(NEXT) | instid1(VALU_DEP_3)
	v_add_f32_e32 v11, -0.5, v11
	v_or_b32_e32 v10, 0x70000000, v10
	s_delay_alu instid0(VALU_DEP_1) | instskip(SKIP_1) | instid1(VALU_DEP_2)
	v_mul_f32_e32 v10, 0x7800000, v10
	v_cmp_gt_u32_e32 vcc_lo, 0x8000000, v9
	v_cndmask_b32_e32 v9, v10, v11, vcc_lo
	s_delay_alu instid0(VALU_DEP_1) | instskip(NEXT) | instid1(VALU_DEP_1)
	v_and_or_b32 v3, 0x80000000, v3, v9
	v_cvt_i32_f32_e32 v3, v3
.LBB86_3858:
	s_mov_b32 s1, 0
	s_mov_b32 s5, -1
.LBB86_3859:
	s_and_not1_b32 vcc_lo, exec_lo, s1
	s_mov_b32 s1, 0
	s_cbranch_vccnz .LBB86_3870
; %bb.3860:
	s_cmp_gt_i32 s57, 14
	s_cbranch_scc0 .LBB86_3863
; %bb.3861:
	s_cmp_eq_u32 s57, 15
	s_cbranch_scc0 .LBB86_3866
; %bb.3862:
	s_wait_loadcnt 0x0
	global_load_u16 v3, v[4:5], off
	s_mov_b32 s0, 0
	s_mov_b32 s5, -1
	s_wait_loadcnt 0x0
	v_lshlrev_b32_e32 v3, 16, v3
	s_delay_alu instid0(VALU_DEP_1)
	v_cvt_i32_f32_e32 v3, v3
	s_branch .LBB86_3868
.LBB86_3863:
	s_mov_b32 s1, -1
	s_branch .LBB86_3867
.LBB86_3864:
	s_and_not1_saveexec_b32 s1, s1
	s_cbranch_execz .LBB86_3845
.LBB86_3865:
	v_cmp_ne_u16_e32 vcc_lo, 0, v9
	s_and_not1_b32 s5, s5, exec_lo
	s_and_b32 s22, vcc_lo, exec_lo
	s_delay_alu instid0(SALU_CYCLE_1)
	s_or_b32 s5, s5, s22
	s_or_b32 exec_lo, exec_lo, s1
	v_mov_b32_e32 v3, 0
	s_and_saveexec_b32 s1, s5
	s_cbranch_execnz .LBB86_3846
	s_branch .LBB86_3847
.LBB86_3866:
	s_mov_b32 s0, -1
.LBB86_3867:
                                        ; implicit-def: $vgpr3
.LBB86_3868:
	s_and_b32 vcc_lo, exec_lo, s1
	s_mov_b32 s1, 0
	s_cbranch_vccz .LBB86_3870
; %bb.3869:
	s_cmp_lg_u32 s57, 11
	s_mov_b32 s1, -1
	s_cselect_b32 s0, -1, 0
.LBB86_3870:
	s_delay_alu instid0(SALU_CYCLE_1)
	s_and_b32 vcc_lo, exec_lo, s0
	s_cbranch_vccnz .LBB86_3935
; %bb.3871:
	s_and_not1_b32 vcc_lo, exec_lo, s1
	s_cbranch_vccnz .LBB86_3873
.LBB86_3872:
	s_wait_loadcnt 0x0
	global_load_u8 v3, v[4:5], off
	s_mov_b32 s5, -1
	s_wait_loadcnt 0x0
	v_cmp_ne_u16_e32 vcc_lo, 0, v3
	v_cndmask_b32_e64 v3, 0, 1, vcc_lo
.LBB86_3873:
	s_mov_b32 s0, 0
.LBB86_3874:
	s_delay_alu instid0(SALU_CYCLE_1)
	s_and_b32 vcc_lo, exec_lo, s0
	s_cbranch_vccz .LBB86_3923
; %bb.3875:
	s_cmp_lt_i32 s57, 5
	s_cbranch_scc1 .LBB86_3880
; %bb.3876:
	s_cmp_lt_i32 s57, 8
	s_cbranch_scc1 .LBB86_3881
; %bb.3877:
	s_cmp_lt_i32 s57, 9
	s_cbranch_scc1 .LBB86_3882
; %bb.3878:
	s_cmp_gt_i32 s57, 9
	s_cbranch_scc0 .LBB86_3883
; %bb.3879:
	s_wait_loadcnt 0x0
	global_load_b64 v[10:11], v[4:5], off
	s_mov_b32 s0, 0
	s_wait_loadcnt 0x0
	v_cvt_i32_f64_e32 v3, v[10:11]
	s_branch .LBB86_3884
.LBB86_3880:
	s_mov_b32 s0, -1
                                        ; implicit-def: $vgpr3
	s_branch .LBB86_3902
.LBB86_3881:
	s_mov_b32 s0, -1
                                        ; implicit-def: $vgpr3
	s_branch .LBB86_3890
.LBB86_3882:
	s_mov_b32 s0, -1
                                        ; implicit-def: $vgpr3
	s_branch .LBB86_3887
.LBB86_3883:
	s_mov_b32 s0, -1
                                        ; implicit-def: $vgpr3
.LBB86_3884:
	s_delay_alu instid0(SALU_CYCLE_1)
	s_and_not1_b32 vcc_lo, exec_lo, s0
	s_cbranch_vccnz .LBB86_3886
; %bb.3885:
	s_wait_loadcnt 0x0
	global_load_b32 v3, v[4:5], off
	s_wait_loadcnt 0x0
	v_cvt_i32_f32_e32 v3, v3
.LBB86_3886:
	s_mov_b32 s0, 0
.LBB86_3887:
	s_delay_alu instid0(SALU_CYCLE_1)
	s_and_not1_b32 vcc_lo, exec_lo, s0
	s_cbranch_vccnz .LBB86_3889
; %bb.3888:
	s_wait_loadcnt 0x0
	global_load_b32 v3, v[4:5], off
	s_wait_loadcnt 0x0
	v_cvt_f32_f16_e32 v3, v3
	s_delay_alu instid0(VALU_DEP_1)
	v_cvt_i32_f32_e32 v3, v3
.LBB86_3889:
	s_mov_b32 s0, 0
.LBB86_3890:
	s_delay_alu instid0(SALU_CYCLE_1)
	s_and_not1_b32 vcc_lo, exec_lo, s0
	s_cbranch_vccnz .LBB86_3901
; %bb.3891:
	s_cmp_lt_i32 s57, 6
	s_cbranch_scc1 .LBB86_3894
; %bb.3892:
	s_cmp_gt_i32 s57, 6
	s_cbranch_scc0 .LBB86_3895
; %bb.3893:
	s_wait_loadcnt 0x0
	global_load_b64 v[10:11], v[4:5], off
	s_mov_b32 s0, 0
	s_wait_loadcnt 0x0
	v_cvt_i32_f64_e32 v3, v[10:11]
	s_branch .LBB86_3896
.LBB86_3894:
	s_mov_b32 s0, -1
                                        ; implicit-def: $vgpr3
	s_branch .LBB86_3899
.LBB86_3895:
	s_mov_b32 s0, -1
                                        ; implicit-def: $vgpr3
.LBB86_3896:
	s_delay_alu instid0(SALU_CYCLE_1)
	s_and_not1_b32 vcc_lo, exec_lo, s0
	s_cbranch_vccnz .LBB86_3898
; %bb.3897:
	s_wait_loadcnt 0x0
	global_load_b32 v3, v[4:5], off
	s_wait_loadcnt 0x0
	v_cvt_i32_f32_e32 v3, v3
.LBB86_3898:
	s_mov_b32 s0, 0
.LBB86_3899:
	s_delay_alu instid0(SALU_CYCLE_1)
	s_and_not1_b32 vcc_lo, exec_lo, s0
	s_cbranch_vccnz .LBB86_3901
; %bb.3900:
	s_wait_loadcnt 0x0
	global_load_u16 v3, v[4:5], off
	s_wait_loadcnt 0x0
	v_cvt_f32_f16_e32 v3, v3
	s_delay_alu instid0(VALU_DEP_1)
	v_cvt_i32_f32_e32 v3, v3
.LBB86_3901:
	s_mov_b32 s0, 0
.LBB86_3902:
	s_delay_alu instid0(SALU_CYCLE_1)
	s_and_not1_b32 vcc_lo, exec_lo, s0
	s_cbranch_vccnz .LBB86_3922
; %bb.3903:
	s_cmp_lt_i32 s57, 2
	s_cbranch_scc1 .LBB86_3907
; %bb.3904:
	s_cmp_lt_i32 s57, 3
	s_cbranch_scc1 .LBB86_3908
; %bb.3905:
	s_cmp_gt_i32 s57, 3
	s_cbranch_scc0 .LBB86_3909
; %bb.3906:
	s_wait_loadcnt 0x0
	global_load_b32 v3, v[4:5], off
	s_mov_b32 s0, 0
	s_branch .LBB86_3910
.LBB86_3907:
	s_mov_b32 s0, -1
                                        ; implicit-def: $vgpr3
	s_branch .LBB86_3916
.LBB86_3908:
	s_mov_b32 s0, -1
                                        ; implicit-def: $vgpr3
	s_branch .LBB86_3913
.LBB86_3909:
	s_mov_b32 s0, -1
                                        ; implicit-def: $vgpr3
.LBB86_3910:
	s_delay_alu instid0(SALU_CYCLE_1)
	s_and_not1_b32 vcc_lo, exec_lo, s0
	s_cbranch_vccnz .LBB86_3912
; %bb.3911:
	s_wait_loadcnt 0x0
	global_load_b32 v3, v[4:5], off
.LBB86_3912:
	s_mov_b32 s0, 0
.LBB86_3913:
	s_delay_alu instid0(SALU_CYCLE_1)
	s_and_not1_b32 vcc_lo, exec_lo, s0
	s_cbranch_vccnz .LBB86_3915
; %bb.3914:
	s_wait_loadcnt 0x0
	global_load_i16 v3, v[4:5], off
.LBB86_3915:
	s_mov_b32 s0, 0
.LBB86_3916:
	s_delay_alu instid0(SALU_CYCLE_1)
	s_and_not1_b32 vcc_lo, exec_lo, s0
	s_cbranch_vccnz .LBB86_3922
; %bb.3917:
	s_cmp_gt_i32 s57, 0
	s_mov_b32 s0, 0
	s_cbranch_scc0 .LBB86_3919
; %bb.3918:
	s_wait_loadcnt 0x0
	global_load_i8 v3, v[4:5], off
	s_branch .LBB86_3920
.LBB86_3919:
	s_mov_b32 s0, -1
                                        ; implicit-def: $vgpr3
.LBB86_3920:
	s_delay_alu instid0(SALU_CYCLE_1)
	s_and_not1_b32 vcc_lo, exec_lo, s0
	s_cbranch_vccnz .LBB86_3922
; %bb.3921:
	s_wait_loadcnt 0x0
	global_load_u8 v3, v[4:5], off
.LBB86_3922:
	s_mov_b32 s5, -1
.LBB86_3923:
	s_delay_alu instid0(SALU_CYCLE_1)
	s_and_not1_b32 vcc_lo, exec_lo, s5
	s_cbranch_vccnz .LBB86_4318
; %bb.3924:
	s_wait_xcnt 0x0
	v_mul_lo_u32 v4, s62, v7
	s_and_b32 s58, 0xffff, s48
	s_delay_alu instid0(SALU_CYCLE_1) | instskip(NEXT) | instid1(VALU_DEP_1)
	s_cmp_lt_i32 s58, 11
	v_ashrrev_i32_e32 v5, 31, v4
	s_delay_alu instid0(VALU_DEP_1)
	v_add_nc_u64_e32 v[12:13], s[12:13], v[4:5]
	s_cbranch_scc1 .LBB86_3931
; %bb.3925:
	s_cmp_gt_i32 s58, 25
	s_mov_b32 s1, 0
	s_cbranch_scc0 .LBB86_3932
; %bb.3926:
	s_cmp_gt_i32 s58, 28
	s_cbranch_scc0 .LBB86_3933
; %bb.3927:
	s_cmp_gt_i32 s58, 43
	;; [unrolled: 3-line block ×3, first 2 shown]
	s_cbranch_scc0 .LBB86_3936
; %bb.3929:
	s_cmp_eq_u32 s58, 46
	s_mov_b32 s22, 0
	s_cbranch_scc0 .LBB86_3939
; %bb.3930:
	global_load_b32 v5, v[12:13], off
	s_mov_b32 s0, 0
	s_mov_b32 s5, -1
	s_wait_loadcnt 0x0
	v_lshlrev_b32_e32 v5, 16, v5
	s_delay_alu instid0(VALU_DEP_1)
	v_cvt_i32_f32_e32 v10, v5
	s_branch .LBB86_3941
.LBB86_3931:
	s_mov_b32 s0, -1
	s_mov_b32 s5, 0
                                        ; implicit-def: $vgpr10
	s_branch .LBB86_4003
.LBB86_3932:
	s_mov_b32 s22, -1
	s_mov_b32 s5, 0
	s_mov_b32 s0, 0
                                        ; implicit-def: $vgpr10
	s_branch .LBB86_3968
.LBB86_3933:
	s_mov_b32 s22, -1
	s_mov_b32 s5, 0
	s_mov_b32 s0, 0
                                        ; implicit-def: $vgpr10
	s_branch .LBB86_3951
.LBB86_3934:
	s_mov_b32 s22, -1
	s_mov_b32 s5, 0
	s_mov_b32 s0, 0
                                        ; implicit-def: $vgpr10
	s_branch .LBB86_3946
.LBB86_3935:
	s_or_b32 s45, s45, exec_lo
	s_trap 2
	s_cbranch_execz .LBB86_3872
	s_branch .LBB86_3873
.LBB86_3936:
	s_mov_b32 s22, -1
	s_mov_b32 s5, 0
	s_mov_b32 s0, 0
	s_branch .LBB86_3940
.LBB86_3937:
	s_or_b32 exec_lo, exec_lo, s54
	s_branch .LBB86_629
.LBB86_3938:
	s_or_b32 s40, s38, exec_lo
	s_trap 2
                                        ; implicit-def: $vgpr2
                                        ; implicit-def: $vgpr0
                                        ; implicit-def: $vgpr23
                                        ; implicit-def: $vgpr22
                                        ; implicit-def: $vgpr10
                                        ; implicit-def: $vgpr24
                                        ; implicit-def: $vgpr6
                                        ; implicit-def: $vgpr8
	s_or_saveexec_b32 s41, s0
	s_mov_b32 s1, 0
                                        ; implicit-def: $vgpr14_vgpr15
                                        ; implicit-def: $sgpr0
	s_xor_b32 exec_lo, exec_lo, s41
	s_cbranch_execz .LBB86_4322
	s_branch .LBB86_3430
.LBB86_3939:
	s_mov_b32 s0, -1
	s_mov_b32 s5, 0
.LBB86_3940:
                                        ; implicit-def: $vgpr10
.LBB86_3941:
	s_and_b32 vcc_lo, exec_lo, s22
	s_cbranch_vccz .LBB86_3945
; %bb.3942:
	s_cmp_eq_u32 s58, 44
	s_cbranch_scc0 .LBB86_3944
; %bb.3943:
	global_load_u8 v5, v[12:13], off
	s_mov_b32 s0, 0
	s_mov_b32 s5, -1
	s_wait_loadcnt 0x0
	v_lshlrev_b32_e32 v7, 23, v5
	v_cmp_ne_u32_e32 vcc_lo, 0, v5
	s_delay_alu instid0(VALU_DEP_2) | instskip(NEXT) | instid1(VALU_DEP_1)
	v_cvt_i32_f32_e32 v7, v7
	v_cndmask_b32_e32 v10, 0, v7, vcc_lo
	s_branch .LBB86_3945
.LBB86_3944:
	s_mov_b32 s0, -1
                                        ; implicit-def: $vgpr10
.LBB86_3945:
	s_mov_b32 s22, 0
.LBB86_3946:
	s_delay_alu instid0(SALU_CYCLE_1)
	s_and_b32 vcc_lo, exec_lo, s22
	s_cbranch_vccz .LBB86_3950
; %bb.3947:
	s_cmp_eq_u32 s58, 29
	s_cbranch_scc0 .LBB86_3949
; %bb.3948:
	s_wait_loadcnt 0x0
	global_load_b32 v10, v[12:13], off
	s_mov_b32 s0, 0
	s_mov_b32 s5, -1
	s_branch .LBB86_3950
.LBB86_3949:
	s_mov_b32 s0, -1
                                        ; implicit-def: $vgpr10
.LBB86_3950:
	s_mov_b32 s22, 0
.LBB86_3951:
	s_delay_alu instid0(SALU_CYCLE_1)
	s_and_b32 vcc_lo, exec_lo, s22
	s_cbranch_vccz .LBB86_3967
; %bb.3952:
	s_cmp_lt_i32 s58, 27
	s_cbranch_scc1 .LBB86_3955
; %bb.3953:
	s_cmp_gt_i32 s58, 27
	s_cbranch_scc0 .LBB86_3956
; %bb.3954:
	s_wait_loadcnt 0x0
	global_load_b32 v10, v[12:13], off
	s_mov_b32 s5, 0
	s_branch .LBB86_3957
.LBB86_3955:
	s_mov_b32 s5, -1
                                        ; implicit-def: $vgpr10
	s_branch .LBB86_3960
.LBB86_3956:
	s_mov_b32 s5, -1
                                        ; implicit-def: $vgpr10
.LBB86_3957:
	s_delay_alu instid0(SALU_CYCLE_1)
	s_and_not1_b32 vcc_lo, exec_lo, s5
	s_cbranch_vccnz .LBB86_3959
; %bb.3958:
	s_wait_loadcnt 0x0
	global_load_u16 v10, v[12:13], off
.LBB86_3959:
	s_mov_b32 s5, 0
.LBB86_3960:
	s_delay_alu instid0(SALU_CYCLE_1)
	s_and_not1_b32 vcc_lo, exec_lo, s5
	s_cbranch_vccnz .LBB86_3966
; %bb.3961:
	global_load_u8 v5, v[12:13], off
	s_mov_b32 s22, 0
	s_mov_b32 s5, exec_lo
	s_wait_loadcnt 0x0
	v_cmpx_lt_i16_e32 0x7f, v5
	s_xor_b32 s5, exec_lo, s5
	s_cbranch_execz .LBB86_3978
; %bb.3962:
	v_cmp_ne_u16_e32 vcc_lo, 0x80, v5
	s_and_b32 s22, vcc_lo, exec_lo
	s_and_not1_saveexec_b32 s5, s5
	s_cbranch_execnz .LBB86_3979
.LBB86_3963:
	s_or_b32 exec_lo, exec_lo, s5
	v_mov_b32_e32 v10, 0
	s_and_saveexec_b32 s5, s22
	s_cbranch_execz .LBB86_3965
.LBB86_3964:
	v_and_b32_e32 v7, 0xffff, v5
	s_delay_alu instid0(VALU_DEP_1) | instskip(SKIP_1) | instid1(VALU_DEP_2)
	v_and_b32_e32 v9, 7, v7
	v_bfe_u32 v14, v7, 3, 4
	v_clz_i32_u32_e32 v10, v9
	s_delay_alu instid0(VALU_DEP_2) | instskip(NEXT) | instid1(VALU_DEP_2)
	v_cmp_eq_u32_e32 vcc_lo, 0, v14
	v_min_u32_e32 v10, 32, v10
	s_delay_alu instid0(VALU_DEP_1) | instskip(NEXT) | instid1(VALU_DEP_1)
	v_subrev_nc_u32_e32 v11, 28, v10
	v_dual_lshlrev_b32 v7, v11, v7 :: v_dual_sub_nc_u32 v10, 29, v10
	s_delay_alu instid0(VALU_DEP_1) | instskip(NEXT) | instid1(VALU_DEP_1)
	v_dual_lshlrev_b32 v5, 24, v5 :: v_dual_bitop2_b32 v7, 7, v7 bitop3:0x40
	v_dual_cndmask_b32 v10, v14, v10 :: v_dual_cndmask_b32 v7, v9, v7
	s_delay_alu instid0(VALU_DEP_2) | instskip(NEXT) | instid1(VALU_DEP_2)
	v_and_b32_e32 v5, 0x80000000, v5
	v_lshl_add_u32 v9, v10, 23, 0x3b800000
	s_delay_alu instid0(VALU_DEP_3) | instskip(NEXT) | instid1(VALU_DEP_1)
	v_lshlrev_b32_e32 v7, 20, v7
	v_or3_b32 v5, v5, v9, v7
	s_delay_alu instid0(VALU_DEP_1)
	v_cvt_i32_f32_e32 v10, v5
.LBB86_3965:
	s_or_b32 exec_lo, exec_lo, s5
.LBB86_3966:
	s_mov_b32 s5, -1
.LBB86_3967:
	s_mov_b32 s22, 0
.LBB86_3968:
	s_delay_alu instid0(SALU_CYCLE_1)
	s_and_b32 vcc_lo, exec_lo, s22
	s_cbranch_vccz .LBB86_3999
; %bb.3969:
	s_cmp_gt_i32 s58, 22
	s_cbranch_scc0 .LBB86_3977
; %bb.3970:
	s_cmp_lt_i32 s58, 24
	s_cbranch_scc1 .LBB86_3980
; %bb.3971:
	s_cmp_gt_i32 s58, 24
	s_cbranch_scc0 .LBB86_3981
; %bb.3972:
	global_load_u8 v5, v[12:13], off
	s_mov_b32 s5, 0
	s_mov_b32 s1, exec_lo
	s_wait_loadcnt 0x0
	v_cmpx_lt_i16_e32 0x7f, v5
	s_xor_b32 s1, exec_lo, s1
	s_cbranch_execz .LBB86_3993
; %bb.3973:
	v_cmp_ne_u16_e32 vcc_lo, 0x80, v5
	s_and_b32 s5, vcc_lo, exec_lo
	s_and_not1_saveexec_b32 s1, s1
	s_cbranch_execnz .LBB86_3994
.LBB86_3974:
	s_or_b32 exec_lo, exec_lo, s1
	v_mov_b32_e32 v10, 0
	s_and_saveexec_b32 s1, s5
	s_cbranch_execz .LBB86_3976
.LBB86_3975:
	v_and_b32_e32 v7, 0xffff, v5
	s_delay_alu instid0(VALU_DEP_1) | instskip(SKIP_1) | instid1(VALU_DEP_2)
	v_and_b32_e32 v9, 3, v7
	v_bfe_u32 v14, v7, 2, 5
	v_clz_i32_u32_e32 v10, v9
	s_delay_alu instid0(VALU_DEP_2) | instskip(NEXT) | instid1(VALU_DEP_2)
	v_cmp_eq_u32_e32 vcc_lo, 0, v14
	v_min_u32_e32 v10, 32, v10
	s_delay_alu instid0(VALU_DEP_1) | instskip(NEXT) | instid1(VALU_DEP_1)
	v_subrev_nc_u32_e32 v11, 29, v10
	v_dual_lshlrev_b32 v7, v11, v7 :: v_dual_sub_nc_u32 v10, 30, v10
	s_delay_alu instid0(VALU_DEP_1) | instskip(NEXT) | instid1(VALU_DEP_1)
	v_dual_lshlrev_b32 v5, 24, v5 :: v_dual_bitop2_b32 v7, 3, v7 bitop3:0x40
	v_dual_cndmask_b32 v10, v14, v10 :: v_dual_cndmask_b32 v7, v9, v7
	s_delay_alu instid0(VALU_DEP_2) | instskip(NEXT) | instid1(VALU_DEP_2)
	v_and_b32_e32 v5, 0x80000000, v5
	v_lshl_add_u32 v9, v10, 23, 0x37800000
	s_delay_alu instid0(VALU_DEP_3) | instskip(NEXT) | instid1(VALU_DEP_1)
	v_lshlrev_b32_e32 v7, 21, v7
	v_or3_b32 v5, v5, v9, v7
	s_delay_alu instid0(VALU_DEP_1)
	v_cvt_i32_f32_e32 v10, v5
.LBB86_3976:
	s_or_b32 exec_lo, exec_lo, s1
	s_mov_b32 s1, 0
	s_branch .LBB86_3982
.LBB86_3977:
	s_mov_b32 s1, -1
                                        ; implicit-def: $vgpr10
	s_branch .LBB86_3988
.LBB86_3978:
	s_and_not1_saveexec_b32 s5, s5
	s_cbranch_execz .LBB86_3963
.LBB86_3979:
	v_cmp_ne_u16_e32 vcc_lo, 0, v5
	s_and_not1_b32 s22, s22, exec_lo
	s_and_b32 s23, vcc_lo, exec_lo
	s_delay_alu instid0(SALU_CYCLE_1)
	s_or_b32 s22, s22, s23
	s_or_b32 exec_lo, exec_lo, s5
	v_mov_b32_e32 v10, 0
	s_and_saveexec_b32 s5, s22
	s_cbranch_execnz .LBB86_3964
	s_branch .LBB86_3965
.LBB86_3980:
	s_mov_b32 s1, -1
                                        ; implicit-def: $vgpr10
	s_branch .LBB86_3985
.LBB86_3981:
	s_mov_b32 s1, -1
                                        ; implicit-def: $vgpr10
.LBB86_3982:
	s_delay_alu instid0(SALU_CYCLE_1)
	s_and_b32 vcc_lo, exec_lo, s1
	s_cbranch_vccz .LBB86_3984
; %bb.3983:
	global_load_u8 v5, v[12:13], off
	s_wait_loadcnt 0x0
	v_lshlrev_b32_e32 v5, 24, v5
	s_delay_alu instid0(VALU_DEP_1) | instskip(NEXT) | instid1(VALU_DEP_1)
	v_and_b32_e32 v7, 0x7f000000, v5
	v_clz_i32_u32_e32 v9, v7
	v_add_nc_u32_e32 v11, 0x1000000, v7
	v_cmp_ne_u32_e32 vcc_lo, 0, v7
	s_delay_alu instid0(VALU_DEP_3) | instskip(NEXT) | instid1(VALU_DEP_1)
	v_min_u32_e32 v9, 32, v9
	v_sub_nc_u32_e64 v9, v9, 4 clamp
	s_delay_alu instid0(VALU_DEP_1) | instskip(NEXT) | instid1(VALU_DEP_1)
	v_dual_lshlrev_b32 v10, v9, v7 :: v_dual_lshlrev_b32 v9, 23, v9
	v_lshrrev_b32_e32 v10, 4, v10
	s_delay_alu instid0(VALU_DEP_1) | instskip(NEXT) | instid1(VALU_DEP_1)
	v_dual_sub_nc_u32 v9, v10, v9 :: v_dual_ashrrev_i32 v10, 8, v11
	v_add_nc_u32_e32 v9, 0x3c000000, v9
	s_delay_alu instid0(VALU_DEP_1) | instskip(NEXT) | instid1(VALU_DEP_1)
	v_and_or_b32 v9, 0x7f800000, v10, v9
	v_cndmask_b32_e32 v7, 0, v9, vcc_lo
	s_delay_alu instid0(VALU_DEP_1) | instskip(NEXT) | instid1(VALU_DEP_1)
	v_and_or_b32 v5, 0x80000000, v5, v7
	v_cvt_i32_f32_e32 v10, v5
.LBB86_3984:
	s_mov_b32 s1, 0
.LBB86_3985:
	s_delay_alu instid0(SALU_CYCLE_1)
	s_and_not1_b32 vcc_lo, exec_lo, s1
	s_cbranch_vccnz .LBB86_3987
; %bb.3986:
	global_load_u8 v5, v[12:13], off
	s_wait_loadcnt 0x0
	v_lshlrev_b32_e32 v7, 25, v5
	v_lshlrev_b16 v5, 8, v5
	s_delay_alu instid0(VALU_DEP_1) | instskip(SKIP_1) | instid1(VALU_DEP_2)
	v_and_or_b32 v10, 0x7f00, v5, 0.5
	v_bfe_i32 v5, v5, 0, 16
	v_dual_add_f32 v10, -0.5, v10 :: v_dual_lshrrev_b32 v9, 4, v7
	v_cmp_gt_u32_e32 vcc_lo, 0x8000000, v7
	s_delay_alu instid0(VALU_DEP_2) | instskip(NEXT) | instid1(VALU_DEP_1)
	v_or_b32_e32 v9, 0x70000000, v9
	v_mul_f32_e32 v9, 0x7800000, v9
	s_delay_alu instid0(VALU_DEP_1) | instskip(NEXT) | instid1(VALU_DEP_1)
	v_cndmask_b32_e32 v7, v9, v10, vcc_lo
	v_and_or_b32 v5, 0x80000000, v5, v7
	s_delay_alu instid0(VALU_DEP_1)
	v_cvt_i32_f32_e32 v10, v5
.LBB86_3987:
	s_mov_b32 s1, 0
	s_mov_b32 s5, -1
.LBB86_3988:
	s_and_not1_b32 vcc_lo, exec_lo, s1
	s_mov_b32 s1, 0
	s_cbranch_vccnz .LBB86_3999
; %bb.3989:
	s_cmp_gt_i32 s58, 14
	s_cbranch_scc0 .LBB86_3992
; %bb.3990:
	s_cmp_eq_u32 s58, 15
	s_cbranch_scc0 .LBB86_3995
; %bb.3991:
	global_load_u16 v5, v[12:13], off
	s_mov_b32 s0, 0
	s_mov_b32 s5, -1
	s_wait_loadcnt 0x0
	v_lshlrev_b32_e32 v5, 16, v5
	s_delay_alu instid0(VALU_DEP_1)
	v_cvt_i32_f32_e32 v10, v5
	s_branch .LBB86_3997
.LBB86_3992:
	s_mov_b32 s1, -1
	s_branch .LBB86_3996
.LBB86_3993:
	s_and_not1_saveexec_b32 s1, s1
	s_cbranch_execz .LBB86_3974
.LBB86_3994:
	v_cmp_ne_u16_e32 vcc_lo, 0, v5
	s_and_not1_b32 s5, s5, exec_lo
	s_and_b32 s22, vcc_lo, exec_lo
	s_delay_alu instid0(SALU_CYCLE_1)
	s_or_b32 s5, s5, s22
	s_or_b32 exec_lo, exec_lo, s1
	v_mov_b32_e32 v10, 0
	s_and_saveexec_b32 s1, s5
	s_cbranch_execnz .LBB86_3975
	s_branch .LBB86_3976
.LBB86_3995:
	s_mov_b32 s0, -1
.LBB86_3996:
                                        ; implicit-def: $vgpr10
.LBB86_3997:
	s_and_b32 vcc_lo, exec_lo, s1
	s_mov_b32 s1, 0
	s_cbranch_vccz .LBB86_3999
; %bb.3998:
	s_cmp_lg_u32 s58, 11
	s_mov_b32 s1, -1
	s_cselect_b32 s0, -1, 0
.LBB86_3999:
	s_delay_alu instid0(SALU_CYCLE_1)
	s_and_b32 vcc_lo, exec_lo, s0
	s_cbranch_vccnz .LBB86_4064
; %bb.4000:
	s_and_not1_b32 vcc_lo, exec_lo, s1
	s_cbranch_vccnz .LBB86_4002
.LBB86_4001:
	global_load_u8 v5, v[12:13], off
	s_mov_b32 s5, -1
	s_wait_loadcnt 0x0
	v_cmp_ne_u16_e32 vcc_lo, 0, v5
	v_cndmask_b32_e64 v10, 0, 1, vcc_lo
.LBB86_4002:
	s_mov_b32 s0, 0
.LBB86_4003:
	s_delay_alu instid0(SALU_CYCLE_1)
	s_and_b32 vcc_lo, exec_lo, s0
	s_cbranch_vccz .LBB86_4052
; %bb.4004:
	s_cmp_lt_i32 s58, 5
	s_cbranch_scc1 .LBB86_4009
; %bb.4005:
	s_cmp_lt_i32 s58, 8
	s_cbranch_scc1 .LBB86_4010
	;; [unrolled: 3-line block ×3, first 2 shown]
; %bb.4007:
	s_cmp_gt_i32 s58, 9
	s_cbranch_scc0 .LBB86_4012
; %bb.4008:
	s_wait_loadcnt 0x0
	global_load_b64 v[10:11], v[12:13], off
	s_mov_b32 s0, 0
	s_wait_loadcnt 0x0
	v_cvt_i32_f64_e32 v10, v[10:11]
	s_branch .LBB86_4013
.LBB86_4009:
	s_mov_b32 s0, -1
                                        ; implicit-def: $vgpr10
	s_branch .LBB86_4031
.LBB86_4010:
	s_mov_b32 s0, -1
                                        ; implicit-def: $vgpr10
	s_branch .LBB86_4019
.LBB86_4011:
	s_mov_b32 s0, -1
                                        ; implicit-def: $vgpr10
	s_branch .LBB86_4016
.LBB86_4012:
	s_mov_b32 s0, -1
                                        ; implicit-def: $vgpr10
.LBB86_4013:
	s_delay_alu instid0(SALU_CYCLE_1)
	s_and_not1_b32 vcc_lo, exec_lo, s0
	s_cbranch_vccnz .LBB86_4015
; %bb.4014:
	global_load_b32 v5, v[12:13], off
	s_wait_loadcnt 0x0
	v_cvt_i32_f32_e32 v10, v5
.LBB86_4015:
	s_mov_b32 s0, 0
.LBB86_4016:
	s_delay_alu instid0(SALU_CYCLE_1)
	s_and_not1_b32 vcc_lo, exec_lo, s0
	s_cbranch_vccnz .LBB86_4018
; %bb.4017:
	global_load_b32 v5, v[12:13], off
	s_wait_loadcnt 0x0
	v_cvt_f32_f16_e32 v5, v5
	s_delay_alu instid0(VALU_DEP_1)
	v_cvt_i32_f32_e32 v10, v5
.LBB86_4018:
	s_mov_b32 s0, 0
.LBB86_4019:
	s_delay_alu instid0(SALU_CYCLE_1)
	s_and_not1_b32 vcc_lo, exec_lo, s0
	s_cbranch_vccnz .LBB86_4030
; %bb.4020:
	s_cmp_lt_i32 s58, 6
	s_cbranch_scc1 .LBB86_4023
; %bb.4021:
	s_cmp_gt_i32 s58, 6
	s_cbranch_scc0 .LBB86_4024
; %bb.4022:
	s_wait_loadcnt 0x0
	global_load_b64 v[10:11], v[12:13], off
	s_mov_b32 s0, 0
	s_wait_loadcnt 0x0
	v_cvt_i32_f64_e32 v10, v[10:11]
	s_branch .LBB86_4025
.LBB86_4023:
	s_mov_b32 s0, -1
                                        ; implicit-def: $vgpr10
	s_branch .LBB86_4028
.LBB86_4024:
	s_mov_b32 s0, -1
                                        ; implicit-def: $vgpr10
.LBB86_4025:
	s_delay_alu instid0(SALU_CYCLE_1)
	s_and_not1_b32 vcc_lo, exec_lo, s0
	s_cbranch_vccnz .LBB86_4027
; %bb.4026:
	global_load_b32 v5, v[12:13], off
	s_wait_loadcnt 0x0
	v_cvt_i32_f32_e32 v10, v5
.LBB86_4027:
	s_mov_b32 s0, 0
.LBB86_4028:
	s_delay_alu instid0(SALU_CYCLE_1)
	s_and_not1_b32 vcc_lo, exec_lo, s0
	s_cbranch_vccnz .LBB86_4030
; %bb.4029:
	global_load_u16 v5, v[12:13], off
	s_wait_loadcnt 0x0
	v_cvt_f32_f16_e32 v5, v5
	s_delay_alu instid0(VALU_DEP_1)
	v_cvt_i32_f32_e32 v10, v5
.LBB86_4030:
	s_mov_b32 s0, 0
.LBB86_4031:
	s_delay_alu instid0(SALU_CYCLE_1)
	s_and_not1_b32 vcc_lo, exec_lo, s0
	s_cbranch_vccnz .LBB86_4051
; %bb.4032:
	s_cmp_lt_i32 s58, 2
	s_cbranch_scc1 .LBB86_4036
; %bb.4033:
	s_cmp_lt_i32 s58, 3
	s_cbranch_scc1 .LBB86_4037
; %bb.4034:
	s_cmp_gt_i32 s58, 3
	s_cbranch_scc0 .LBB86_4038
; %bb.4035:
	s_wait_loadcnt 0x0
	global_load_b32 v10, v[12:13], off
	s_mov_b32 s0, 0
	s_branch .LBB86_4039
.LBB86_4036:
	s_mov_b32 s0, -1
                                        ; implicit-def: $vgpr10
	s_branch .LBB86_4045
.LBB86_4037:
	s_mov_b32 s0, -1
                                        ; implicit-def: $vgpr10
	s_branch .LBB86_4042
.LBB86_4038:
	s_mov_b32 s0, -1
                                        ; implicit-def: $vgpr10
.LBB86_4039:
	s_delay_alu instid0(SALU_CYCLE_1)
	s_and_not1_b32 vcc_lo, exec_lo, s0
	s_cbranch_vccnz .LBB86_4041
; %bb.4040:
	s_wait_loadcnt 0x0
	global_load_b32 v10, v[12:13], off
.LBB86_4041:
	s_mov_b32 s0, 0
.LBB86_4042:
	s_delay_alu instid0(SALU_CYCLE_1)
	s_and_not1_b32 vcc_lo, exec_lo, s0
	s_cbranch_vccnz .LBB86_4044
; %bb.4043:
	s_wait_loadcnt 0x0
	global_load_i16 v10, v[12:13], off
.LBB86_4044:
	s_mov_b32 s0, 0
.LBB86_4045:
	s_delay_alu instid0(SALU_CYCLE_1)
	s_and_not1_b32 vcc_lo, exec_lo, s0
	s_cbranch_vccnz .LBB86_4051
; %bb.4046:
	s_cmp_gt_i32 s58, 0
	s_mov_b32 s0, 0
	s_cbranch_scc0 .LBB86_4048
; %bb.4047:
	s_wait_loadcnt 0x0
	global_load_i8 v10, v[12:13], off
	s_branch .LBB86_4049
.LBB86_4048:
	s_mov_b32 s0, -1
                                        ; implicit-def: $vgpr10
.LBB86_4049:
	s_delay_alu instid0(SALU_CYCLE_1)
	s_and_not1_b32 vcc_lo, exec_lo, s0
	s_cbranch_vccnz .LBB86_4051
; %bb.4050:
	s_wait_loadcnt 0x0
	global_load_u8 v10, v[12:13], off
.LBB86_4051:
	s_mov_b32 s5, -1
.LBB86_4052:
	s_delay_alu instid0(SALU_CYCLE_1)
	s_and_not1_b32 vcc_lo, exec_lo, s5
	s_cbranch_vccnz .LBB86_4318
; %bb.4053:
	s_lshl_b32 s63, s49, 7
	s_and_b32 s59, 0xffff, s50
	v_add_nc_u32_e32 v6, s63, v6
	s_cmp_lt_i32 s59, 11
	s_delay_alu instid0(VALU_DEP_1) | instskip(NEXT) | instid1(VALU_DEP_1)
	v_ashrrev_i32_e32 v7, 31, v6
	v_add_nc_u64_e32 v[14:15], s[14:15], v[6:7]
	s_cbranch_scc1 .LBB86_4060
; %bb.4054:
	s_cmp_gt_i32 s59, 25
	s_mov_b32 s1, 0
	s_cbranch_scc0 .LBB86_4061
; %bb.4055:
	s_cmp_gt_i32 s59, 28
	s_cbranch_scc0 .LBB86_4062
; %bb.4056:
	s_cmp_gt_i32 s59, 43
	;; [unrolled: 3-line block ×3, first 2 shown]
	s_cbranch_scc0 .LBB86_4065
; %bb.4058:
	s_cmp_eq_u32 s59, 46
	s_mov_b32 s22, 0
	s_cbranch_scc0 .LBB86_4068
; %bb.4059:
	global_load_b32 v5, v[14:15], off
	s_mov_b32 s0, 0
	s_mov_b32 s5, -1
	s_wait_loadcnt 0x0
	v_lshlrev_b32_e32 v5, 16, v5
	s_wait_xcnt 0x1
	s_delay_alu instid0(VALU_DEP_1)
	v_cvt_i32_f32_e32 v12, v5
	s_branch .LBB86_4070
.LBB86_4060:
	s_mov_b32 s0, -1
	s_mov_b32 s5, 0
                                        ; implicit-def: $vgpr12
	s_branch .LBB86_4132
.LBB86_4061:
	s_mov_b32 s22, -1
	s_mov_b32 s5, 0
	s_mov_b32 s0, 0
                                        ; implicit-def: $vgpr12
	s_branch .LBB86_4097
.LBB86_4062:
	s_mov_b32 s22, -1
	s_mov_b32 s5, 0
	s_mov_b32 s0, 0
                                        ; implicit-def: $vgpr12
	s_branch .LBB86_4080
.LBB86_4063:
	s_mov_b32 s22, -1
	s_mov_b32 s5, 0
	s_mov_b32 s0, 0
                                        ; implicit-def: $vgpr12
	s_branch .LBB86_4075
.LBB86_4064:
	s_or_b32 s45, s45, exec_lo
	s_trap 2
	s_cbranch_execz .LBB86_4001
	s_branch .LBB86_4002
.LBB86_4065:
	s_mov_b32 s22, -1
	s_mov_b32 s5, 0
	s_mov_b32 s0, 0
	s_branch .LBB86_4069
.LBB86_4066:
	s_or_b32 exec_lo, exec_lo, s72
	s_branch .LBB86_1298
.LBB86_4067:
	s_or_b32 s19, s40, exec_lo
	s_trap 2
                                        ; implicit-def: $vgpr2
                                        ; implicit-def: $vgpr0
                                        ; implicit-def: $vgpr22
                                        ; implicit-def: $vgpr10
                                        ; implicit-def: $vgpr23
                                        ; implicit-def: $vgpr24
                                        ; implicit-def: $vgpr6
                                        ; implicit-def: $vgpr8
	s_branch .LBB86_3431
.LBB86_4068:
	s_mov_b32 s0, -1
	s_mov_b32 s5, 0
.LBB86_4069:
                                        ; implicit-def: $vgpr12
.LBB86_4070:
	s_and_b32 vcc_lo, exec_lo, s22
	s_cbranch_vccz .LBB86_4074
; %bb.4071:
	s_cmp_eq_u32 s59, 44
	s_cbranch_scc0 .LBB86_4073
; %bb.4072:
	global_load_u8 v5, v[14:15], off
	s_mov_b32 s0, 0
	s_mov_b32 s5, -1
	s_wait_loadcnt 0x0
	v_lshlrev_b32_e32 v7, 23, v5
	v_cmp_ne_u32_e32 vcc_lo, 0, v5
	s_delay_alu instid0(VALU_DEP_2) | instskip(SKIP_1) | instid1(VALU_DEP_1)
	v_cvt_i32_f32_e32 v7, v7
	s_wait_xcnt 0x1
	v_cndmask_b32_e32 v12, 0, v7, vcc_lo
	s_branch .LBB86_4074
.LBB86_4073:
	s_mov_b32 s0, -1
                                        ; implicit-def: $vgpr12
.LBB86_4074:
	s_mov_b32 s22, 0
.LBB86_4075:
	s_delay_alu instid0(SALU_CYCLE_1)
	s_and_b32 vcc_lo, exec_lo, s22
	s_cbranch_vccz .LBB86_4079
; %bb.4076:
	s_cmp_eq_u32 s59, 29
	s_cbranch_scc0 .LBB86_4078
; %bb.4077:
	global_load_b32 v12, v[14:15], off
	s_mov_b32 s0, 0
	s_mov_b32 s5, -1
	s_branch .LBB86_4079
.LBB86_4078:
	s_mov_b32 s0, -1
                                        ; implicit-def: $vgpr12
.LBB86_4079:
	s_mov_b32 s22, 0
.LBB86_4080:
	s_delay_alu instid0(SALU_CYCLE_1)
	s_and_b32 vcc_lo, exec_lo, s22
	s_cbranch_vccz .LBB86_4096
; %bb.4081:
	s_cmp_lt_i32 s59, 27
	s_cbranch_scc1 .LBB86_4084
; %bb.4082:
	s_cmp_gt_i32 s59, 27
	s_cbranch_scc0 .LBB86_4085
; %bb.4083:
	s_wait_loadcnt 0x0
	global_load_b32 v12, v[14:15], off
	s_mov_b32 s5, 0
	s_branch .LBB86_4086
.LBB86_4084:
	s_mov_b32 s5, -1
                                        ; implicit-def: $vgpr12
	s_branch .LBB86_4089
.LBB86_4085:
	s_mov_b32 s5, -1
                                        ; implicit-def: $vgpr12
.LBB86_4086:
	s_delay_alu instid0(SALU_CYCLE_1)
	s_and_not1_b32 vcc_lo, exec_lo, s5
	s_cbranch_vccnz .LBB86_4088
; %bb.4087:
	s_wait_loadcnt 0x0
	global_load_u16 v12, v[14:15], off
.LBB86_4088:
	s_mov_b32 s5, 0
.LBB86_4089:
	s_delay_alu instid0(SALU_CYCLE_1)
	s_and_not1_b32 vcc_lo, exec_lo, s5
	s_cbranch_vccnz .LBB86_4095
; %bb.4090:
	global_load_u8 v5, v[14:15], off
	s_mov_b32 s22, 0
	s_mov_b32 s5, exec_lo
	s_wait_loadcnt 0x0
	v_cmpx_lt_i16_e32 0x7f, v5
	s_xor_b32 s5, exec_lo, s5
	s_cbranch_execz .LBB86_4107
; %bb.4091:
	v_cmp_ne_u16_e32 vcc_lo, 0x80, v5
	s_and_b32 s22, vcc_lo, exec_lo
	s_and_not1_saveexec_b32 s5, s5
	s_cbranch_execnz .LBB86_4108
.LBB86_4092:
	s_or_b32 exec_lo, exec_lo, s5
	v_mov_b32_e32 v12, 0
	s_and_saveexec_b32 s5, s22
	s_cbranch_execz .LBB86_4094
.LBB86_4093:
	v_and_b32_e32 v7, 0xffff, v5
	s_delay_alu instid0(VALU_DEP_1) | instskip(SKIP_1) | instid1(VALU_DEP_2)
	v_dual_lshlrev_b32 v5, 24, v5 :: v_dual_bitop2_b32 v9, 7, v7 bitop3:0x40
	v_bfe_u32 v13, v7, 3, 4
	v_and_b32_e32 v5, 0x80000000, v5
	s_delay_alu instid0(VALU_DEP_3) | instskip(NEXT) | instid1(VALU_DEP_3)
	v_clz_i32_u32_e32 v11, v9
	v_cmp_eq_u32_e32 vcc_lo, 0, v13
	s_delay_alu instid0(VALU_DEP_2) | instskip(NEXT) | instid1(VALU_DEP_1)
	v_min_u32_e32 v11, 32, v11
	v_subrev_nc_u32_e32 v12, 28, v11
	v_sub_nc_u32_e32 v11, 29, v11
	s_delay_alu instid0(VALU_DEP_2) | instskip(NEXT) | instid1(VALU_DEP_2)
	v_lshlrev_b32_e32 v7, v12, v7
	v_cndmask_b32_e32 v11, v13, v11, vcc_lo
	s_delay_alu instid0(VALU_DEP_2) | instskip(NEXT) | instid1(VALU_DEP_1)
	v_and_b32_e32 v7, 7, v7
	v_cndmask_b32_e32 v7, v9, v7, vcc_lo
	s_delay_alu instid0(VALU_DEP_3) | instskip(NEXT) | instid1(VALU_DEP_2)
	v_lshl_add_u32 v9, v11, 23, 0x3b800000
	v_lshlrev_b32_e32 v7, 20, v7
	s_delay_alu instid0(VALU_DEP_1) | instskip(NEXT) | instid1(VALU_DEP_1)
	v_or3_b32 v5, v5, v9, v7
	v_cvt_i32_f32_e32 v12, v5
.LBB86_4094:
	s_or_b32 exec_lo, exec_lo, s5
.LBB86_4095:
	s_mov_b32 s5, -1
.LBB86_4096:
	s_mov_b32 s22, 0
.LBB86_4097:
	s_delay_alu instid0(SALU_CYCLE_1)
	s_and_b32 vcc_lo, exec_lo, s22
	s_cbranch_vccz .LBB86_4128
; %bb.4098:
	s_cmp_gt_i32 s59, 22
	s_cbranch_scc0 .LBB86_4106
; %bb.4099:
	s_cmp_lt_i32 s59, 24
	s_cbranch_scc1 .LBB86_4109
; %bb.4100:
	s_cmp_gt_i32 s59, 24
	s_cbranch_scc0 .LBB86_4110
; %bb.4101:
	global_load_u8 v5, v[14:15], off
	s_mov_b32 s5, 0
	s_mov_b32 s1, exec_lo
	s_wait_loadcnt 0x0
	v_cmpx_lt_i16_e32 0x7f, v5
	s_xor_b32 s1, exec_lo, s1
	s_cbranch_execz .LBB86_4122
; %bb.4102:
	v_cmp_ne_u16_e32 vcc_lo, 0x80, v5
	s_and_b32 s5, vcc_lo, exec_lo
	s_and_not1_saveexec_b32 s1, s1
	s_cbranch_execnz .LBB86_4123
.LBB86_4103:
	s_or_b32 exec_lo, exec_lo, s1
	v_mov_b32_e32 v12, 0
	s_and_saveexec_b32 s1, s5
	s_cbranch_execz .LBB86_4105
.LBB86_4104:
	v_and_b32_e32 v7, 0xffff, v5
	s_delay_alu instid0(VALU_DEP_1) | instskip(SKIP_1) | instid1(VALU_DEP_2)
	v_dual_lshlrev_b32 v5, 24, v5 :: v_dual_bitop2_b32 v9, 3, v7 bitop3:0x40
	v_bfe_u32 v13, v7, 2, 5
	v_and_b32_e32 v5, 0x80000000, v5
	s_delay_alu instid0(VALU_DEP_3) | instskip(NEXT) | instid1(VALU_DEP_3)
	v_clz_i32_u32_e32 v11, v9
	v_cmp_eq_u32_e32 vcc_lo, 0, v13
	s_delay_alu instid0(VALU_DEP_2) | instskip(NEXT) | instid1(VALU_DEP_1)
	v_min_u32_e32 v11, 32, v11
	v_subrev_nc_u32_e32 v12, 29, v11
	v_sub_nc_u32_e32 v11, 30, v11
	s_delay_alu instid0(VALU_DEP_2) | instskip(NEXT) | instid1(VALU_DEP_2)
	v_lshlrev_b32_e32 v7, v12, v7
	v_cndmask_b32_e32 v11, v13, v11, vcc_lo
	s_delay_alu instid0(VALU_DEP_2) | instskip(NEXT) | instid1(VALU_DEP_1)
	v_and_b32_e32 v7, 3, v7
	v_cndmask_b32_e32 v7, v9, v7, vcc_lo
	s_delay_alu instid0(VALU_DEP_3) | instskip(NEXT) | instid1(VALU_DEP_2)
	v_lshl_add_u32 v9, v11, 23, 0x37800000
	v_lshlrev_b32_e32 v7, 21, v7
	s_delay_alu instid0(VALU_DEP_1) | instskip(NEXT) | instid1(VALU_DEP_1)
	v_or3_b32 v5, v5, v9, v7
	v_cvt_i32_f32_e32 v12, v5
.LBB86_4105:
	s_or_b32 exec_lo, exec_lo, s1
	s_mov_b32 s1, 0
	s_branch .LBB86_4111
.LBB86_4106:
	s_mov_b32 s1, -1
                                        ; implicit-def: $vgpr12
	s_branch .LBB86_4117
.LBB86_4107:
	s_and_not1_saveexec_b32 s5, s5
	s_cbranch_execz .LBB86_4092
.LBB86_4108:
	v_cmp_ne_u16_e32 vcc_lo, 0, v5
	s_and_not1_b32 s22, s22, exec_lo
	s_and_b32 s23, vcc_lo, exec_lo
	s_delay_alu instid0(SALU_CYCLE_1)
	s_or_b32 s22, s22, s23
	s_or_b32 exec_lo, exec_lo, s5
	v_mov_b32_e32 v12, 0
	s_and_saveexec_b32 s5, s22
	s_cbranch_execnz .LBB86_4093
	s_branch .LBB86_4094
.LBB86_4109:
	s_mov_b32 s1, -1
                                        ; implicit-def: $vgpr12
	s_branch .LBB86_4114
.LBB86_4110:
	s_mov_b32 s1, -1
                                        ; implicit-def: $vgpr12
.LBB86_4111:
	s_delay_alu instid0(SALU_CYCLE_1)
	s_and_b32 vcc_lo, exec_lo, s1
	s_cbranch_vccz .LBB86_4113
; %bb.4112:
	global_load_u8 v5, v[14:15], off
	s_wait_loadcnt 0x0
	v_lshlrev_b32_e32 v5, 24, v5
	s_delay_alu instid0(VALU_DEP_1) | instskip(NEXT) | instid1(VALU_DEP_1)
	v_and_b32_e32 v7, 0x7f000000, v5
	v_clz_i32_u32_e32 v9, v7
	v_cmp_ne_u32_e32 vcc_lo, 0, v7
	s_wait_xcnt 0x1
	v_add_nc_u32_e32 v12, 0x1000000, v7
	s_delay_alu instid0(VALU_DEP_3) | instskip(NEXT) | instid1(VALU_DEP_1)
	v_min_u32_e32 v9, 32, v9
	v_sub_nc_u32_e64 v9, v9, 4 clamp
	s_delay_alu instid0(VALU_DEP_1) | instskip(NEXT) | instid1(VALU_DEP_1)
	v_dual_lshlrev_b32 v11, v9, v7 :: v_dual_lshlrev_b32 v9, 23, v9
	v_lshrrev_b32_e32 v11, 4, v11
	s_delay_alu instid0(VALU_DEP_1) | instskip(NEXT) | instid1(VALU_DEP_1)
	v_dual_sub_nc_u32 v9, v11, v9 :: v_dual_ashrrev_i32 v11, 8, v12
	v_add_nc_u32_e32 v9, 0x3c000000, v9
	s_delay_alu instid0(VALU_DEP_1) | instskip(NEXT) | instid1(VALU_DEP_1)
	v_and_or_b32 v9, 0x7f800000, v11, v9
	v_cndmask_b32_e32 v7, 0, v9, vcc_lo
	s_delay_alu instid0(VALU_DEP_1) | instskip(NEXT) | instid1(VALU_DEP_1)
	v_and_or_b32 v5, 0x80000000, v5, v7
	v_cvt_i32_f32_e32 v12, v5
.LBB86_4113:
	s_mov_b32 s1, 0
.LBB86_4114:
	s_delay_alu instid0(SALU_CYCLE_1)
	s_and_not1_b32 vcc_lo, exec_lo, s1
	s_cbranch_vccnz .LBB86_4116
; %bb.4115:
	global_load_u8 v5, v[14:15], off
	s_wait_loadcnt 0x0
	v_lshlrev_b32_e32 v7, 25, v5
	v_lshlrev_b16 v5, 8, v5
	s_delay_alu instid0(VALU_DEP_1) | instskip(SKIP_1) | instid1(VALU_DEP_2)
	v_and_or_b32 v11, 0x7f00, v5, 0.5
	v_bfe_i32 v5, v5, 0, 16
	v_add_f32_e32 v11, -0.5, v11
	v_lshrrev_b32_e32 v9, 4, v7
	v_cmp_gt_u32_e32 vcc_lo, 0x8000000, v7
	s_delay_alu instid0(VALU_DEP_2) | instskip(NEXT) | instid1(VALU_DEP_1)
	v_or_b32_e32 v9, 0x70000000, v9
	v_mul_f32_e32 v9, 0x7800000, v9
	s_delay_alu instid0(VALU_DEP_1) | instskip(NEXT) | instid1(VALU_DEP_1)
	v_cndmask_b32_e32 v7, v9, v11, vcc_lo
	v_and_or_b32 v5, 0x80000000, v5, v7
	s_wait_xcnt 0x1
	s_delay_alu instid0(VALU_DEP_1)
	v_cvt_i32_f32_e32 v12, v5
.LBB86_4116:
	s_mov_b32 s1, 0
	s_mov_b32 s5, -1
.LBB86_4117:
	s_and_not1_b32 vcc_lo, exec_lo, s1
	s_mov_b32 s1, 0
	s_cbranch_vccnz .LBB86_4128
; %bb.4118:
	s_cmp_gt_i32 s59, 14
	s_cbranch_scc0 .LBB86_4121
; %bb.4119:
	s_cmp_eq_u32 s59, 15
	s_cbranch_scc0 .LBB86_4124
; %bb.4120:
	global_load_u16 v5, v[14:15], off
	s_mov_b32 s0, 0
	s_mov_b32 s5, -1
	s_wait_loadcnt 0x0
	v_lshlrev_b32_e32 v5, 16, v5
	s_wait_xcnt 0x1
	s_delay_alu instid0(VALU_DEP_1)
	v_cvt_i32_f32_e32 v12, v5
	s_branch .LBB86_4126
.LBB86_4121:
	s_mov_b32 s1, -1
	s_branch .LBB86_4125
.LBB86_4122:
	s_and_not1_saveexec_b32 s1, s1
	s_cbranch_execz .LBB86_4103
.LBB86_4123:
	v_cmp_ne_u16_e32 vcc_lo, 0, v5
	s_and_not1_b32 s5, s5, exec_lo
	s_and_b32 s22, vcc_lo, exec_lo
	s_delay_alu instid0(SALU_CYCLE_1)
	s_or_b32 s5, s5, s22
	s_or_b32 exec_lo, exec_lo, s1
	v_mov_b32_e32 v12, 0
	s_and_saveexec_b32 s1, s5
	s_cbranch_execnz .LBB86_4104
	s_branch .LBB86_4105
.LBB86_4124:
	s_mov_b32 s0, -1
.LBB86_4125:
                                        ; implicit-def: $vgpr12
.LBB86_4126:
	s_and_b32 vcc_lo, exec_lo, s1
	s_mov_b32 s1, 0
	s_cbranch_vccz .LBB86_4128
; %bb.4127:
	s_cmp_lg_u32 s59, 11
	s_mov_b32 s1, -1
	s_cselect_b32 s0, -1, 0
.LBB86_4128:
	s_delay_alu instid0(SALU_CYCLE_1)
	s_and_b32 vcc_lo, exec_lo, s0
	s_cbranch_vccnz .LBB86_4193
; %bb.4129:
	s_and_not1_b32 vcc_lo, exec_lo, s1
	s_cbranch_vccnz .LBB86_4131
.LBB86_4130:
	global_load_u8 v5, v[14:15], off
	s_mov_b32 s5, -1
	s_wait_loadcnt 0x0
	v_cmp_ne_u16_e32 vcc_lo, 0, v5
	s_wait_xcnt 0x1
	v_cndmask_b32_e64 v12, 0, 1, vcc_lo
.LBB86_4131:
	s_mov_b32 s0, 0
.LBB86_4132:
	s_delay_alu instid0(SALU_CYCLE_1)
	s_and_b32 vcc_lo, exec_lo, s0
	s_cbranch_vccz .LBB86_4181
; %bb.4133:
	s_cmp_lt_i32 s59, 5
	s_cbranch_scc1 .LBB86_4138
; %bb.4134:
	s_cmp_lt_i32 s59, 8
	s_cbranch_scc1 .LBB86_4139
	;; [unrolled: 3-line block ×3, first 2 shown]
; %bb.4136:
	s_cmp_gt_i32 s59, 9
	s_cbranch_scc0 .LBB86_4141
; %bb.4137:
	s_wait_loadcnt 0x0
	global_load_b64 v[12:13], v[14:15], off
	s_mov_b32 s0, 0
	s_wait_loadcnt 0x0
	v_cvt_i32_f64_e32 v12, v[12:13]
	s_branch .LBB86_4142
.LBB86_4138:
	s_mov_b32 s0, -1
                                        ; implicit-def: $vgpr12
	s_branch .LBB86_4160
.LBB86_4139:
	s_mov_b32 s0, -1
                                        ; implicit-def: $vgpr12
	s_branch .LBB86_4148
.LBB86_4140:
	s_mov_b32 s0, -1
                                        ; implicit-def: $vgpr12
	s_branch .LBB86_4145
.LBB86_4141:
	s_mov_b32 s0, -1
                                        ; implicit-def: $vgpr12
.LBB86_4142:
	s_delay_alu instid0(SALU_CYCLE_1)
	s_and_not1_b32 vcc_lo, exec_lo, s0
	s_cbranch_vccnz .LBB86_4144
; %bb.4143:
	global_load_b32 v5, v[14:15], off
	s_wait_loadcnt 0x0
	s_wait_xcnt 0x1
	v_cvt_i32_f32_e32 v12, v5
.LBB86_4144:
	s_mov_b32 s0, 0
.LBB86_4145:
	s_delay_alu instid0(SALU_CYCLE_1)
	s_and_not1_b32 vcc_lo, exec_lo, s0
	s_cbranch_vccnz .LBB86_4147
; %bb.4146:
	global_load_b32 v5, v[14:15], off
	s_wait_loadcnt 0x0
	v_cvt_f32_f16_e32 v5, v5
	s_wait_xcnt 0x1
	s_delay_alu instid0(VALU_DEP_1)
	v_cvt_i32_f32_e32 v12, v5
.LBB86_4147:
	s_mov_b32 s0, 0
.LBB86_4148:
	s_delay_alu instid0(SALU_CYCLE_1)
	s_and_not1_b32 vcc_lo, exec_lo, s0
	s_cbranch_vccnz .LBB86_4159
; %bb.4149:
	s_cmp_lt_i32 s59, 6
	s_cbranch_scc1 .LBB86_4152
; %bb.4150:
	s_cmp_gt_i32 s59, 6
	s_cbranch_scc0 .LBB86_4153
; %bb.4151:
	s_wait_loadcnt 0x0
	global_load_b64 v[12:13], v[14:15], off
	s_mov_b32 s0, 0
	s_wait_loadcnt 0x0
	v_cvt_i32_f64_e32 v12, v[12:13]
	s_branch .LBB86_4154
.LBB86_4152:
	s_mov_b32 s0, -1
                                        ; implicit-def: $vgpr12
	s_branch .LBB86_4157
.LBB86_4153:
	s_mov_b32 s0, -1
                                        ; implicit-def: $vgpr12
.LBB86_4154:
	s_delay_alu instid0(SALU_CYCLE_1)
	s_and_not1_b32 vcc_lo, exec_lo, s0
	s_cbranch_vccnz .LBB86_4156
; %bb.4155:
	global_load_b32 v5, v[14:15], off
	s_wait_loadcnt 0x0
	s_wait_xcnt 0x1
	v_cvt_i32_f32_e32 v12, v5
.LBB86_4156:
	s_mov_b32 s0, 0
.LBB86_4157:
	s_delay_alu instid0(SALU_CYCLE_1)
	s_and_not1_b32 vcc_lo, exec_lo, s0
	s_cbranch_vccnz .LBB86_4159
; %bb.4158:
	global_load_u16 v5, v[14:15], off
	s_wait_loadcnt 0x0
	v_cvt_f32_f16_e32 v5, v5
	s_wait_xcnt 0x1
	s_delay_alu instid0(VALU_DEP_1)
	v_cvt_i32_f32_e32 v12, v5
.LBB86_4159:
	s_mov_b32 s0, 0
.LBB86_4160:
	s_delay_alu instid0(SALU_CYCLE_1)
	s_and_not1_b32 vcc_lo, exec_lo, s0
	s_cbranch_vccnz .LBB86_4180
; %bb.4161:
	s_cmp_lt_i32 s59, 2
	s_cbranch_scc1 .LBB86_4165
; %bb.4162:
	s_cmp_lt_i32 s59, 3
	s_cbranch_scc1 .LBB86_4166
; %bb.4163:
	s_cmp_gt_i32 s59, 3
	s_cbranch_scc0 .LBB86_4167
; %bb.4164:
	s_wait_loadcnt 0x0
	global_load_b32 v12, v[14:15], off
	s_mov_b32 s0, 0
	s_branch .LBB86_4168
.LBB86_4165:
	s_mov_b32 s0, -1
                                        ; implicit-def: $vgpr12
	s_branch .LBB86_4174
.LBB86_4166:
	s_mov_b32 s0, -1
                                        ; implicit-def: $vgpr12
	s_branch .LBB86_4171
.LBB86_4167:
	s_mov_b32 s0, -1
                                        ; implicit-def: $vgpr12
.LBB86_4168:
	s_delay_alu instid0(SALU_CYCLE_1)
	s_and_not1_b32 vcc_lo, exec_lo, s0
	s_cbranch_vccnz .LBB86_4170
; %bb.4169:
	s_wait_loadcnt 0x0
	global_load_b32 v12, v[14:15], off
.LBB86_4170:
	s_mov_b32 s0, 0
.LBB86_4171:
	s_delay_alu instid0(SALU_CYCLE_1)
	s_and_not1_b32 vcc_lo, exec_lo, s0
	s_cbranch_vccnz .LBB86_4173
; %bb.4172:
	s_wait_loadcnt 0x0
	global_load_i16 v12, v[14:15], off
.LBB86_4173:
	s_mov_b32 s0, 0
.LBB86_4174:
	s_delay_alu instid0(SALU_CYCLE_1)
	s_and_not1_b32 vcc_lo, exec_lo, s0
	s_cbranch_vccnz .LBB86_4180
; %bb.4175:
	s_cmp_gt_i32 s59, 0
	s_mov_b32 s0, 0
	s_cbranch_scc0 .LBB86_4177
; %bb.4176:
	s_wait_loadcnt 0x0
	global_load_i8 v12, v[14:15], off
	s_branch .LBB86_4178
.LBB86_4177:
	s_mov_b32 s0, -1
                                        ; implicit-def: $vgpr12
.LBB86_4178:
	s_delay_alu instid0(SALU_CYCLE_1)
	s_and_not1_b32 vcc_lo, exec_lo, s0
	s_cbranch_vccnz .LBB86_4180
; %bb.4179:
	s_wait_loadcnt 0x0
	global_load_u8 v12, v[14:15], off
.LBB86_4180:
	s_mov_b32 s5, -1
.LBB86_4181:
	s_delay_alu instid0(SALU_CYCLE_1)
	s_and_not1_b32 vcc_lo, exec_lo, s5
	s_cbranch_vccnz .LBB86_4318
; %bb.4182:
	s_lshl_b32 s64, s51, 7
	s_and_b32 s60, 0xffff, s52
	v_add_nc_u32_e32 v8, s64, v8
	s_cmp_lt_i32 s60, 11
	s_delay_alu instid0(VALU_DEP_1) | instskip(SKIP_1) | instid1(VALU_DEP_1)
	v_ashrrev_i32_e32 v9, 31, v8
	s_wait_xcnt 0x0
	v_add_nc_u64_e32 v[14:15], s[16:17], v[8:9]
	s_cbranch_scc1 .LBB86_4189
; %bb.4183:
	s_cmp_gt_i32 s60, 25
	s_mov_b32 s1, 0
	s_cbranch_scc0 .LBB86_4190
; %bb.4184:
	s_cmp_gt_i32 s60, 28
	s_cbranch_scc0 .LBB86_4191
; %bb.4185:
	s_cmp_gt_i32 s60, 43
	;; [unrolled: 3-line block ×3, first 2 shown]
	s_cbranch_scc0 .LBB86_4194
; %bb.4187:
	s_cmp_eq_u32 s60, 46
	s_mov_b32 s22, 0
	s_cbranch_scc0 .LBB86_4196
; %bb.4188:
	global_load_b32 v5, v[14:15], off
	s_mov_b32 s0, 0
	s_mov_b32 s5, -1
	s_wait_loadcnt 0x0
	v_lshlrev_b32_e32 v5, 16, v5
	s_delay_alu instid0(VALU_DEP_1)
	v_cvt_i32_f32_e32 v16, v5
	s_branch .LBB86_4198
.LBB86_4189:
	s_mov_b32 s0, -1
	s_mov_b32 s5, 0
                                        ; implicit-def: $vgpr16
	s_branch .LBB86_4260
.LBB86_4190:
	s_mov_b32 s22, -1
	s_mov_b32 s5, 0
	s_mov_b32 s0, 0
                                        ; implicit-def: $vgpr16
	s_branch .LBB86_4225
.LBB86_4191:
	s_mov_b32 s22, -1
	s_mov_b32 s5, 0
	s_mov_b32 s0, 0
                                        ; implicit-def: $vgpr16
	s_branch .LBB86_4208
.LBB86_4192:
	s_mov_b32 s22, -1
	s_mov_b32 s5, 0
	s_mov_b32 s0, 0
                                        ; implicit-def: $vgpr16
	s_branch .LBB86_4203
.LBB86_4193:
	s_or_b32 s45, s45, exec_lo
	s_trap 2
	s_cbranch_execz .LBB86_4130
	s_branch .LBB86_4131
.LBB86_4194:
	s_mov_b32 s22, -1
	s_mov_b32 s5, 0
	s_mov_b32 s0, 0
	s_branch .LBB86_4197
.LBB86_4195:
	s_or_b32 exec_lo, exec_lo, s84
	s_branch .LBB86_2046
.LBB86_4196:
	s_mov_b32 s0, -1
	s_mov_b32 s5, 0
.LBB86_4197:
                                        ; implicit-def: $vgpr16
.LBB86_4198:
	s_and_b32 vcc_lo, exec_lo, s22
	s_cbranch_vccz .LBB86_4202
; %bb.4199:
	s_cmp_eq_u32 s60, 44
	s_cbranch_scc0 .LBB86_4201
; %bb.4200:
	global_load_u8 v5, v[14:15], off
	s_mov_b32 s0, 0
	s_mov_b32 s5, -1
	s_wait_loadcnt 0x0
	v_lshlrev_b32_e32 v7, 23, v5
	v_cmp_ne_u32_e32 vcc_lo, 0, v5
	s_delay_alu instid0(VALU_DEP_2) | instskip(NEXT) | instid1(VALU_DEP_1)
	v_cvt_i32_f32_e32 v7, v7
	v_cndmask_b32_e32 v16, 0, v7, vcc_lo
	s_branch .LBB86_4202
.LBB86_4201:
	s_mov_b32 s0, -1
                                        ; implicit-def: $vgpr16
.LBB86_4202:
	s_mov_b32 s22, 0
.LBB86_4203:
	s_delay_alu instid0(SALU_CYCLE_1)
	s_and_b32 vcc_lo, exec_lo, s22
	s_cbranch_vccz .LBB86_4207
; %bb.4204:
	s_cmp_eq_u32 s60, 29
	s_cbranch_scc0 .LBB86_4206
; %bb.4205:
	global_load_b32 v16, v[14:15], off
	s_mov_b32 s0, 0
	s_mov_b32 s5, -1
	s_branch .LBB86_4207
.LBB86_4206:
	s_mov_b32 s0, -1
                                        ; implicit-def: $vgpr16
.LBB86_4207:
	s_mov_b32 s22, 0
.LBB86_4208:
	s_delay_alu instid0(SALU_CYCLE_1)
	s_and_b32 vcc_lo, exec_lo, s22
	s_cbranch_vccz .LBB86_4224
; %bb.4209:
	s_cmp_lt_i32 s60, 27
	s_cbranch_scc1 .LBB86_4212
; %bb.4210:
	s_cmp_gt_i32 s60, 27
	s_cbranch_scc0 .LBB86_4213
; %bb.4211:
	s_wait_loadcnt 0x0
	global_load_b32 v16, v[14:15], off
	s_mov_b32 s5, 0
	s_branch .LBB86_4214
.LBB86_4212:
	s_mov_b32 s5, -1
                                        ; implicit-def: $vgpr16
	s_branch .LBB86_4217
.LBB86_4213:
	s_mov_b32 s5, -1
                                        ; implicit-def: $vgpr16
.LBB86_4214:
	s_delay_alu instid0(SALU_CYCLE_1)
	s_and_not1_b32 vcc_lo, exec_lo, s5
	s_cbranch_vccnz .LBB86_4216
; %bb.4215:
	s_wait_loadcnt 0x0
	global_load_u16 v16, v[14:15], off
.LBB86_4216:
	s_mov_b32 s5, 0
.LBB86_4217:
	s_delay_alu instid0(SALU_CYCLE_1)
	s_and_not1_b32 vcc_lo, exec_lo, s5
	s_cbranch_vccnz .LBB86_4223
; %bb.4218:
	global_load_u8 v5, v[14:15], off
	s_mov_b32 s22, 0
	s_mov_b32 s5, exec_lo
	s_wait_loadcnt 0x0
	v_cmpx_lt_i16_e32 0x7f, v5
	s_xor_b32 s5, exec_lo, s5
	s_cbranch_execz .LBB86_4235
; %bb.4219:
	v_cmp_ne_u16_e32 vcc_lo, 0x80, v5
	s_and_b32 s22, vcc_lo, exec_lo
	s_and_not1_saveexec_b32 s5, s5
	s_cbranch_execnz .LBB86_4236
.LBB86_4220:
	s_or_b32 exec_lo, exec_lo, s5
	v_mov_b32_e32 v16, 0
	s_and_saveexec_b32 s5, s22
	s_cbranch_execz .LBB86_4222
.LBB86_4221:
	v_and_b32_e32 v7, 0xffff, v5
	s_delay_alu instid0(VALU_DEP_1) | instskip(SKIP_1) | instid1(VALU_DEP_2)
	v_dual_lshlrev_b32 v5, 24, v5 :: v_dual_bitop2_b32 v9, 7, v7 bitop3:0x40
	v_bfe_u32 v16, v7, 3, 4
	v_and_b32_e32 v5, 0x80000000, v5
	s_delay_alu instid0(VALU_DEP_3) | instskip(NEXT) | instid1(VALU_DEP_3)
	v_clz_i32_u32_e32 v11, v9
	v_cmp_eq_u32_e32 vcc_lo, 0, v16
	s_delay_alu instid0(VALU_DEP_2) | instskip(NEXT) | instid1(VALU_DEP_1)
	v_min_u32_e32 v11, 32, v11
	v_subrev_nc_u32_e32 v13, 28, v11
	v_sub_nc_u32_e32 v11, 29, v11
	s_delay_alu instid0(VALU_DEP_2) | instskip(NEXT) | instid1(VALU_DEP_2)
	v_lshlrev_b32_e32 v7, v13, v7
	v_cndmask_b32_e32 v11, v16, v11, vcc_lo
	s_delay_alu instid0(VALU_DEP_2) | instskip(NEXT) | instid1(VALU_DEP_1)
	v_and_b32_e32 v7, 7, v7
	v_cndmask_b32_e32 v7, v9, v7, vcc_lo
	s_delay_alu instid0(VALU_DEP_3) | instskip(NEXT) | instid1(VALU_DEP_2)
	v_lshl_add_u32 v9, v11, 23, 0x3b800000
	v_lshlrev_b32_e32 v7, 20, v7
	s_delay_alu instid0(VALU_DEP_1) | instskip(NEXT) | instid1(VALU_DEP_1)
	v_or3_b32 v5, v5, v9, v7
	v_cvt_i32_f32_e32 v16, v5
.LBB86_4222:
	s_or_b32 exec_lo, exec_lo, s5
.LBB86_4223:
	s_mov_b32 s5, -1
.LBB86_4224:
	s_mov_b32 s22, 0
.LBB86_4225:
	s_delay_alu instid0(SALU_CYCLE_1)
	s_and_b32 vcc_lo, exec_lo, s22
	s_cbranch_vccz .LBB86_4256
; %bb.4226:
	s_cmp_gt_i32 s60, 22
	s_cbranch_scc0 .LBB86_4234
; %bb.4227:
	s_cmp_lt_i32 s60, 24
	s_cbranch_scc1 .LBB86_4237
; %bb.4228:
	s_cmp_gt_i32 s60, 24
	s_cbranch_scc0 .LBB86_4238
; %bb.4229:
	global_load_u8 v5, v[14:15], off
	s_mov_b32 s5, 0
	s_mov_b32 s1, exec_lo
	s_wait_loadcnt 0x0
	v_cmpx_lt_i16_e32 0x7f, v5
	s_xor_b32 s1, exec_lo, s1
	s_cbranch_execz .LBB86_4250
; %bb.4230:
	v_cmp_ne_u16_e32 vcc_lo, 0x80, v5
	s_and_b32 s5, vcc_lo, exec_lo
	s_and_not1_saveexec_b32 s1, s1
	s_cbranch_execnz .LBB86_4251
.LBB86_4231:
	s_or_b32 exec_lo, exec_lo, s1
	v_mov_b32_e32 v16, 0
	s_and_saveexec_b32 s1, s5
	s_cbranch_execz .LBB86_4233
.LBB86_4232:
	v_and_b32_e32 v7, 0xffff, v5
	s_delay_alu instid0(VALU_DEP_1) | instskip(SKIP_1) | instid1(VALU_DEP_2)
	v_dual_lshlrev_b32 v5, 24, v5 :: v_dual_bitop2_b32 v9, 3, v7 bitop3:0x40
	v_bfe_u32 v16, v7, 2, 5
	v_and_b32_e32 v5, 0x80000000, v5
	s_delay_alu instid0(VALU_DEP_3) | instskip(NEXT) | instid1(VALU_DEP_3)
	v_clz_i32_u32_e32 v11, v9
	v_cmp_eq_u32_e32 vcc_lo, 0, v16
	s_delay_alu instid0(VALU_DEP_2) | instskip(NEXT) | instid1(VALU_DEP_1)
	v_min_u32_e32 v11, 32, v11
	v_subrev_nc_u32_e32 v13, 29, v11
	v_sub_nc_u32_e32 v11, 30, v11
	s_delay_alu instid0(VALU_DEP_2) | instskip(NEXT) | instid1(VALU_DEP_2)
	v_lshlrev_b32_e32 v7, v13, v7
	v_cndmask_b32_e32 v11, v16, v11, vcc_lo
	s_delay_alu instid0(VALU_DEP_2) | instskip(NEXT) | instid1(VALU_DEP_1)
	v_and_b32_e32 v7, 3, v7
	v_cndmask_b32_e32 v7, v9, v7, vcc_lo
	s_delay_alu instid0(VALU_DEP_3) | instskip(NEXT) | instid1(VALU_DEP_2)
	v_lshl_add_u32 v9, v11, 23, 0x37800000
	v_lshlrev_b32_e32 v7, 21, v7
	s_delay_alu instid0(VALU_DEP_1) | instskip(NEXT) | instid1(VALU_DEP_1)
	v_or3_b32 v5, v5, v9, v7
	v_cvt_i32_f32_e32 v16, v5
.LBB86_4233:
	s_or_b32 exec_lo, exec_lo, s1
	s_mov_b32 s1, 0
	s_branch .LBB86_4239
.LBB86_4234:
	s_mov_b32 s1, -1
                                        ; implicit-def: $vgpr16
	s_branch .LBB86_4245
.LBB86_4235:
	s_and_not1_saveexec_b32 s5, s5
	s_cbranch_execz .LBB86_4220
.LBB86_4236:
	v_cmp_ne_u16_e32 vcc_lo, 0, v5
	s_and_not1_b32 s22, s22, exec_lo
	s_and_b32 s23, vcc_lo, exec_lo
	s_delay_alu instid0(SALU_CYCLE_1)
	s_or_b32 s22, s22, s23
	s_or_b32 exec_lo, exec_lo, s5
	v_mov_b32_e32 v16, 0
	s_and_saveexec_b32 s5, s22
	s_cbranch_execnz .LBB86_4221
	s_branch .LBB86_4222
.LBB86_4237:
	s_mov_b32 s1, -1
                                        ; implicit-def: $vgpr16
	s_branch .LBB86_4242
.LBB86_4238:
	s_mov_b32 s1, -1
                                        ; implicit-def: $vgpr16
.LBB86_4239:
	s_delay_alu instid0(SALU_CYCLE_1)
	s_and_b32 vcc_lo, exec_lo, s1
	s_cbranch_vccz .LBB86_4241
; %bb.4240:
	global_load_u8 v5, v[14:15], off
	s_wait_loadcnt 0x0
	v_lshlrev_b32_e32 v5, 24, v5
	s_delay_alu instid0(VALU_DEP_1) | instskip(NEXT) | instid1(VALU_DEP_1)
	v_and_b32_e32 v7, 0x7f000000, v5
	v_clz_i32_u32_e32 v9, v7
	v_add_nc_u32_e32 v13, 0x1000000, v7
	v_cmp_ne_u32_e32 vcc_lo, 0, v7
	s_delay_alu instid0(VALU_DEP_3) | instskip(NEXT) | instid1(VALU_DEP_1)
	v_min_u32_e32 v9, 32, v9
	v_sub_nc_u32_e64 v9, v9, 4 clamp
	s_delay_alu instid0(VALU_DEP_1) | instskip(NEXT) | instid1(VALU_DEP_1)
	v_dual_lshlrev_b32 v11, v9, v7 :: v_dual_lshlrev_b32 v9, 23, v9
	v_lshrrev_b32_e32 v11, 4, v11
	s_delay_alu instid0(VALU_DEP_1) | instskip(SKIP_1) | instid1(VALU_DEP_2)
	v_sub_nc_u32_e32 v9, v11, v9
	v_ashrrev_i32_e32 v11, 8, v13
	v_add_nc_u32_e32 v9, 0x3c000000, v9
	s_delay_alu instid0(VALU_DEP_1) | instskip(NEXT) | instid1(VALU_DEP_1)
	v_and_or_b32 v9, 0x7f800000, v11, v9
	v_cndmask_b32_e32 v7, 0, v9, vcc_lo
	s_delay_alu instid0(VALU_DEP_1) | instskip(NEXT) | instid1(VALU_DEP_1)
	v_and_or_b32 v5, 0x80000000, v5, v7
	v_cvt_i32_f32_e32 v16, v5
.LBB86_4241:
	s_mov_b32 s1, 0
.LBB86_4242:
	s_delay_alu instid0(SALU_CYCLE_1)
	s_and_not1_b32 vcc_lo, exec_lo, s1
	s_cbranch_vccnz .LBB86_4244
; %bb.4243:
	global_load_u8 v5, v[14:15], off
	s_wait_loadcnt 0x0
	v_lshlrev_b32_e32 v7, 25, v5
	v_lshlrev_b16 v5, 8, v5
	s_delay_alu instid0(VALU_DEP_1) | instskip(SKIP_1) | instid1(VALU_DEP_2)
	v_and_or_b32 v11, 0x7f00, v5, 0.5
	v_bfe_i32 v5, v5, 0, 16
	v_add_f32_e32 v11, -0.5, v11
	v_lshrrev_b32_e32 v9, 4, v7
	v_cmp_gt_u32_e32 vcc_lo, 0x8000000, v7
	s_delay_alu instid0(VALU_DEP_2) | instskip(NEXT) | instid1(VALU_DEP_1)
	v_or_b32_e32 v9, 0x70000000, v9
	v_mul_f32_e32 v9, 0x7800000, v9
	s_delay_alu instid0(VALU_DEP_1) | instskip(NEXT) | instid1(VALU_DEP_1)
	v_cndmask_b32_e32 v7, v9, v11, vcc_lo
	v_and_or_b32 v5, 0x80000000, v5, v7
	s_delay_alu instid0(VALU_DEP_1)
	v_cvt_i32_f32_e32 v16, v5
.LBB86_4244:
	s_mov_b32 s1, 0
	s_mov_b32 s5, -1
.LBB86_4245:
	s_and_not1_b32 vcc_lo, exec_lo, s1
	s_mov_b32 s1, 0
	s_cbranch_vccnz .LBB86_4256
; %bb.4246:
	s_cmp_gt_i32 s60, 14
	s_cbranch_scc0 .LBB86_4249
; %bb.4247:
	s_cmp_eq_u32 s60, 15
	s_cbranch_scc0 .LBB86_4252
; %bb.4248:
	global_load_u16 v5, v[14:15], off
	s_mov_b32 s0, 0
	s_mov_b32 s5, -1
	s_wait_loadcnt 0x0
	v_lshlrev_b32_e32 v5, 16, v5
	s_delay_alu instid0(VALU_DEP_1)
	v_cvt_i32_f32_e32 v16, v5
	s_branch .LBB86_4254
.LBB86_4249:
	s_mov_b32 s1, -1
	s_branch .LBB86_4253
.LBB86_4250:
	s_and_not1_saveexec_b32 s1, s1
	s_cbranch_execz .LBB86_4231
.LBB86_4251:
	v_cmp_ne_u16_e32 vcc_lo, 0, v5
	s_and_not1_b32 s5, s5, exec_lo
	s_and_b32 s22, vcc_lo, exec_lo
	s_delay_alu instid0(SALU_CYCLE_1)
	s_or_b32 s5, s5, s22
	s_or_b32 exec_lo, exec_lo, s1
	v_mov_b32_e32 v16, 0
	s_and_saveexec_b32 s1, s5
	s_cbranch_execnz .LBB86_4232
	s_branch .LBB86_4233
.LBB86_4252:
	s_mov_b32 s0, -1
.LBB86_4253:
                                        ; implicit-def: $vgpr16
.LBB86_4254:
	s_and_b32 vcc_lo, exec_lo, s1
	s_mov_b32 s1, 0
	s_cbranch_vccz .LBB86_4256
; %bb.4255:
	s_cmp_lg_u32 s60, 11
	s_mov_b32 s1, -1
	s_cselect_b32 s0, -1, 0
.LBB86_4256:
	s_delay_alu instid0(SALU_CYCLE_1)
	s_and_b32 vcc_lo, exec_lo, s0
	s_cbranch_vccnz .LBB86_4344
; %bb.4257:
	s_and_not1_b32 vcc_lo, exec_lo, s1
	s_cbranch_vccnz .LBB86_4259
.LBB86_4258:
	global_load_u8 v5, v[14:15], off
	s_mov_b32 s5, -1
	s_wait_loadcnt 0x0
	v_cmp_ne_u16_e32 vcc_lo, 0, v5
	v_cndmask_b32_e64 v16, 0, 1, vcc_lo
.LBB86_4259:
	s_mov_b32 s0, 0
.LBB86_4260:
	s_delay_alu instid0(SALU_CYCLE_1)
	s_and_b32 vcc_lo, exec_lo, s0
	s_cbranch_vccz .LBB86_4309
; %bb.4261:
	s_cmp_lt_i32 s60, 5
	s_cbranch_scc1 .LBB86_4266
; %bb.4262:
	s_cmp_lt_i32 s60, 8
	s_cbranch_scc1 .LBB86_4267
	;; [unrolled: 3-line block ×3, first 2 shown]
; %bb.4264:
	s_cmp_gt_i32 s60, 9
	s_cbranch_scc0 .LBB86_4269
; %bb.4265:
	s_wait_loadcnt 0x0
	global_load_b64 v[16:17], v[14:15], off
	s_mov_b32 s0, 0
	s_wait_loadcnt 0x0
	v_cvt_i32_f64_e32 v16, v[16:17]
	s_branch .LBB86_4270
.LBB86_4266:
	s_mov_b32 s0, -1
                                        ; implicit-def: $vgpr16
	s_branch .LBB86_4288
.LBB86_4267:
	s_mov_b32 s0, -1
                                        ; implicit-def: $vgpr16
	s_branch .LBB86_4276
.LBB86_4268:
	s_mov_b32 s0, -1
                                        ; implicit-def: $vgpr16
	s_branch .LBB86_4273
.LBB86_4269:
	s_mov_b32 s0, -1
                                        ; implicit-def: $vgpr16
.LBB86_4270:
	s_delay_alu instid0(SALU_CYCLE_1)
	s_and_not1_b32 vcc_lo, exec_lo, s0
	s_cbranch_vccnz .LBB86_4272
; %bb.4271:
	global_load_b32 v5, v[14:15], off
	s_wait_loadcnt 0x0
	v_cvt_i32_f32_e32 v16, v5
.LBB86_4272:
	s_mov_b32 s0, 0
.LBB86_4273:
	s_delay_alu instid0(SALU_CYCLE_1)
	s_and_not1_b32 vcc_lo, exec_lo, s0
	s_cbranch_vccnz .LBB86_4275
; %bb.4274:
	global_load_b32 v5, v[14:15], off
	s_wait_loadcnt 0x0
	v_cvt_f32_f16_e32 v5, v5
	s_delay_alu instid0(VALU_DEP_1)
	v_cvt_i32_f32_e32 v16, v5
.LBB86_4275:
	s_mov_b32 s0, 0
.LBB86_4276:
	s_delay_alu instid0(SALU_CYCLE_1)
	s_and_not1_b32 vcc_lo, exec_lo, s0
	s_cbranch_vccnz .LBB86_4287
; %bb.4277:
	s_cmp_lt_i32 s60, 6
	s_cbranch_scc1 .LBB86_4280
; %bb.4278:
	s_cmp_gt_i32 s60, 6
	s_cbranch_scc0 .LBB86_4281
; %bb.4279:
	s_wait_loadcnt 0x0
	global_load_b64 v[16:17], v[14:15], off
	s_mov_b32 s0, 0
	s_wait_loadcnt 0x0
	v_cvt_i32_f64_e32 v16, v[16:17]
	s_branch .LBB86_4282
.LBB86_4280:
	s_mov_b32 s0, -1
                                        ; implicit-def: $vgpr16
	s_branch .LBB86_4285
.LBB86_4281:
	s_mov_b32 s0, -1
                                        ; implicit-def: $vgpr16
.LBB86_4282:
	s_delay_alu instid0(SALU_CYCLE_1)
	s_and_not1_b32 vcc_lo, exec_lo, s0
	s_cbranch_vccnz .LBB86_4284
; %bb.4283:
	global_load_b32 v5, v[14:15], off
	s_wait_loadcnt 0x0
	v_cvt_i32_f32_e32 v16, v5
.LBB86_4284:
	s_mov_b32 s0, 0
.LBB86_4285:
	s_delay_alu instid0(SALU_CYCLE_1)
	s_and_not1_b32 vcc_lo, exec_lo, s0
	s_cbranch_vccnz .LBB86_4287
; %bb.4286:
	global_load_u16 v5, v[14:15], off
	s_wait_loadcnt 0x0
	v_cvt_f32_f16_e32 v5, v5
	s_delay_alu instid0(VALU_DEP_1)
	v_cvt_i32_f32_e32 v16, v5
.LBB86_4287:
	s_mov_b32 s0, 0
.LBB86_4288:
	s_delay_alu instid0(SALU_CYCLE_1)
	s_and_not1_b32 vcc_lo, exec_lo, s0
	s_cbranch_vccnz .LBB86_4308
; %bb.4289:
	s_cmp_lt_i32 s60, 2
	s_cbranch_scc1 .LBB86_4293
; %bb.4290:
	s_cmp_lt_i32 s60, 3
	s_cbranch_scc1 .LBB86_4294
; %bb.4291:
	s_cmp_gt_i32 s60, 3
	s_cbranch_scc0 .LBB86_4295
; %bb.4292:
	s_wait_loadcnt 0x0
	global_load_b32 v16, v[14:15], off
	s_mov_b32 s0, 0
	s_branch .LBB86_4296
.LBB86_4293:
	s_mov_b32 s0, -1
                                        ; implicit-def: $vgpr16
	s_branch .LBB86_4302
.LBB86_4294:
	s_mov_b32 s0, -1
                                        ; implicit-def: $vgpr16
	s_branch .LBB86_4299
.LBB86_4295:
	s_mov_b32 s0, -1
                                        ; implicit-def: $vgpr16
.LBB86_4296:
	s_delay_alu instid0(SALU_CYCLE_1)
	s_and_not1_b32 vcc_lo, exec_lo, s0
	s_cbranch_vccnz .LBB86_4298
; %bb.4297:
	s_wait_loadcnt 0x0
	global_load_b32 v16, v[14:15], off
.LBB86_4298:
	s_mov_b32 s0, 0
.LBB86_4299:
	s_delay_alu instid0(SALU_CYCLE_1)
	s_and_not1_b32 vcc_lo, exec_lo, s0
	s_cbranch_vccnz .LBB86_4301
; %bb.4300:
	s_wait_loadcnt 0x0
	global_load_i16 v16, v[14:15], off
.LBB86_4301:
	s_mov_b32 s0, 0
.LBB86_4302:
	s_delay_alu instid0(SALU_CYCLE_1)
	s_and_not1_b32 vcc_lo, exec_lo, s0
	s_cbranch_vccnz .LBB86_4308
; %bb.4303:
	s_cmp_gt_i32 s60, 0
	s_mov_b32 s0, 0
	s_cbranch_scc0 .LBB86_4305
; %bb.4304:
	s_wait_loadcnt 0x0
	global_load_i8 v16, v[14:15], off
	s_branch .LBB86_4306
.LBB86_4305:
	s_mov_b32 s0, -1
                                        ; implicit-def: $vgpr16
.LBB86_4306:
	s_delay_alu instid0(SALU_CYCLE_1)
	s_and_not1_b32 vcc_lo, exec_lo, s0
	s_cbranch_vccnz .LBB86_4308
; %bb.4307:
	s_wait_loadcnt 0x0
	global_load_u8 v16, v[14:15], off
.LBB86_4308:
	s_mov_b32 s5, -1
.LBB86_4309:
	s_delay_alu instid0(SALU_CYCLE_1)
	s_and_not1_b32 vcc_lo, exec_lo, s5
	s_cbranch_vccnz .LBB86_4318
; %bb.4310:
	s_mov_b32 s0, exec_lo
	s_wait_loadcnt 0x0
	v_cmpx_ne_u32_e64 v1, v23
	s_xor_b32 s0, exec_lo, s0
	s_cbranch_execnz .LBB86_4478
.LBB86_4311:
	s_or_saveexec_b32 s48, s0
	s_mov_b32 s1, 0
	s_mov_b32 s5, 0
                                        ; implicit-def: $vgpr14_vgpr15
                                        ; implicit-def: $sgpr0
	s_xor_b32 exec_lo, exec_lo, s48
	s_cbranch_execz .LBB86_4989
; %bb.4312:
	s_mov_b32 s49, s45
	s_mov_b32 s0, exec_lo
	v_cmpx_ne_u32_e64 v3, v24
	s_xor_b32 s0, exec_lo, s0
	s_cbranch_execnz .LBB86_4606
; %bb.4313:
	s_or_saveexec_b32 s50, s0
                                        ; implicit-def: $vgpr14_vgpr15
                                        ; implicit-def: $sgpr0
	s_delay_alu instid0(SALU_CYCLE_1)
	s_xor_b32 exec_lo, exec_lo, s50
	s_cbranch_execz .LBB86_4988
.LBB86_4314:
	v_sub_nc_u32_e32 v1, v12, v10
	s_mov_b32 s51, s49
	s_delay_alu instid0(VALU_DEP_1) | instskip(SKIP_2) | instid1(SALU_CYCLE_1)
	v_cmp_gt_i32_e32 vcc_lo, v23, v1
	v_cmp_lt_i32_e64 s0, s18, v1
	s_or_b32 s0, vcc_lo, s0
	s_and_saveexec_b32 s1, s0
	s_delay_alu instid0(SALU_CYCLE_1)
	s_xor_b32 s0, exec_lo, s1
	s_cbranch_execnz .LBB86_4734
; %bb.4315:
	s_or_saveexec_b32 s52, s0
	s_mov_b32 s1, 0
                                        ; implicit-def: $vgpr14_vgpr15
                                        ; implicit-def: $sgpr0
	s_xor_b32 exec_lo, exec_lo, s52
	s_cbranch_execz .LBB86_4987
.LBB86_4316:
	v_cmp_ne_u32_e32 vcc_lo, 1, v25
	v_mov_b64_e32 v[14:15], 0
	s_cbranch_vccnz .LBB86_4329
; %bb.4317:
	v_ashrrev_i32_e32 v17, 31, v16
	s_mov_b32 s5, s1
	v_mov_b64_e32 v[14:15], 0
	s_lshl_b64 s[26:27], s[4:5], 3
	s_mov_b64 s[22:23], 0xffffffff
	v_mul_u64_e32 v[18:19], s[6:7], v[16:17]
	v_mov_b32_e32 v16, 0
	s_add_nc_u64 s[26:27], s[24:25], s[26:27]
	s_mov_b32 s5, s46
	s_add_nc_u64 s[26:27], s[26:27], 0x68
	s_branch .LBB86_4325
.LBB86_4318:
	s_mov_b32 s1, 0
	s_mov_b32 s5, 0
                                        ; implicit-def: $vgpr14_vgpr15
                                        ; implicit-def: $sgpr0
.LBB86_4319:
	s_and_not1_b32 s2, s43, exec_lo
	s_and_b32 s3, s45, exec_lo
	s_and_b32 s5, s5, exec_lo
	;; [unrolled: 1-line block ×3, first 2 shown]
	s_or_b32 s43, s2, s3
.LBB86_4320:
	s_wait_xcnt 0x0
	s_or_b32 exec_lo, exec_lo, s44
	s_delay_alu instid0(SALU_CYCLE_1)
	s_and_not1_b32 s2, s19, exec_lo
	s_and_b32 s3, s43, exec_lo
	s_and_b32 s4, s5, exec_lo
	s_and_b32 s1, s1, exec_lo
	s_or_b32 s19, s2, s3
.LBB86_4321:
	s_or_b32 exec_lo, exec_lo, s42
	s_delay_alu instid0(SALU_CYCLE_1)
	s_and_not1_b32 s2, s40, exec_lo
	s_and_b32 s3, s19, exec_lo
	s_and_b32 s4, s4, exec_lo
	;; [unrolled: 1-line block ×3, first 2 shown]
	s_or_b32 s40, s2, s3
.LBB86_4322:
	s_or_b32 exec_lo, exec_lo, s41
	s_delay_alu instid0(SALU_CYCLE_1)
	s_and_not1_b32 s2, s38, exec_lo
	s_and_b32 s3, s40, exec_lo
	s_and_b32 s4, s4, exec_lo
	;; [unrolled: 1-line block ×3, first 2 shown]
	s_or_b32 s38, s2, s3
.LBB86_4323:
	s_or_b32 exec_lo, exec_lo, s39
	s_branch .LBB86_3435
.LBB86_4324:                            ;   in Loop: Header=BB86_4325 Depth=1
	s_or_b32 exec_lo, exec_lo, s0
	s_delay_alu instid0(VALU_DEP_1)
	v_mul_u64_e32 v[26:27], s[28:29], v[20:21]
	s_load_b64 s[28:29], s[26:27], 0x40
	s_add_co_i32 s5, s5, -1
	s_wait_xcnt 0x0
	s_add_nc_u64 s[26:27], s[26:27], -8
	s_cmp_eq_u32 s5, 0
	s_delay_alu instid0(VALU_DEP_1) | instskip(SKIP_1) | instid1(VALU_DEP_1)
	v_sub_nc_u64_e32 v[18:19], v[18:19], v[26:27]
	s_wait_kmcnt 0x0
	v_mad_nc_u64_u32 v[14:15], v18, s28, v[14:15]
	s_delay_alu instid0(VALU_DEP_1) | instskip(NEXT) | instid1(VALU_DEP_1)
	v_mad_u32 v1, v19, s28, v15
	v_mad_u32 v15, v18, s29, v1
	v_mov_b64_e32 v[18:19], v[20:21]
	s_cbranch_scc1 .LBB86_4329
.LBB86_4325:                            ; =>This Inner Loop Header: Depth=1
	s_load_b64 s[28:29], s[26:27], 0x0
                                        ; implicit-def: $vgpr20_vgpr21
	s_mov_b32 s0, exec_lo
	s_wait_kmcnt 0x0
	s_delay_alu instid0(VALU_DEP_1) | instskip(NEXT) | instid1(VALU_DEP_1)
	v_or_b32_e32 v17, s29, v19
	v_cmpx_ne_u64_e32 0, v[16:17]
	s_xor_b32 s53, exec_lo, s0
	s_cbranch_execz .LBB86_4327
; %bb.4326:                             ;   in Loop: Header=BB86_4325 Depth=1
	s_ashr_i32 s30, s29, 31
	v_dual_mov_b32 v29, v16 :: v_dual_ashrrev_i32 v20, 31, v19
	s_mov_b32 s31, s30
	v_mov_b32_e32 v37, v16
	s_add_nc_u64 s[34:35], s[28:29], s[30:31]
	s_delay_alu instid0(VALU_DEP_2) | instskip(SKIP_1) | instid1(SALU_CYCLE_1)
	v_mov_b32_e32 v21, v20
	s_xor_b64 s[34:35], s[34:35], s[30:31]
	s_cvt_f32_u32 s0, s34
	s_cvt_f32_u32 s31, s35
	s_sub_nc_u64 s[68:69], 0, s[34:35]
	v_add_nc_u64_e32 v[26:27], v[18:19], v[20:21]
	v_mov_b32_e32 v33, v16
	s_fmamk_f32 s0, s31, 0x4f800000, s0
	s_delay_alu instid0(SALU_CYCLE_3) | instskip(NEXT) | instid1(VALU_DEP_2)
	v_s_rcp_f32 s0, s0
	v_xor_b32_e32 v28, v26, v20
	s_delay_alu instid0(VALU_DEP_3) | instskip(SKIP_1) | instid1(TRANS32_DEP_1)
	v_xor_b32_e32 v32, v27, v20
	v_xor_b32_e32 v20, s30, v20
	s_mul_f32 s0, s0, 0x5f7ffffc
	s_delay_alu instid0(VALU_DEP_1) | instskip(NEXT) | instid1(SALU_CYCLE_2)
	v_mov_b32_e32 v21, v20
	s_mul_f32 s31, s0, 0x2f800000
	s_delay_alu instid0(SALU_CYCLE_3) | instskip(NEXT) | instid1(SALU_CYCLE_3)
	s_trunc_f32 s31, s31
	s_fmamk_f32 s0, s31, 0xcf800000, s0
	s_cvt_u32_f32 s67, s31
	s_delay_alu instid0(SALU_CYCLE_2) | instskip(NEXT) | instid1(SALU_CYCLE_3)
	s_cvt_u32_f32 s66, s0
	s_mul_u64 s[70:71], s[68:69], s[66:67]
	s_delay_alu instid0(SALU_CYCLE_1)
	s_mul_hi_u32 s73, s66, s71
	s_mul_i32 s72, s66, s71
	s_mul_hi_u32 s0, s66, s70
	s_mul_i32 s54, s67, s70
	s_add_nc_u64 s[72:73], s[0:1], s[72:73]
	s_mul_hi_u32 s31, s67, s70
	s_mul_hi_u32 s65, s67, s71
	s_add_co_u32 s0, s72, s54
	s_add_co_ci_u32 s0, s73, s31
	s_mul_i32 s70, s67, s71
	s_add_co_ci_u32 s71, s65, 0
	s_delay_alu instid0(SALU_CYCLE_1) | instskip(NEXT) | instid1(SALU_CYCLE_1)
	s_add_nc_u64 s[70:71], s[0:1], s[70:71]
	s_add_co_u32 s66, s66, s70
	s_cselect_b32 s0, -1, 0
	s_delay_alu instid0(SALU_CYCLE_1) | instskip(SKIP_1) | instid1(SALU_CYCLE_1)
	s_cmp_lg_u32 s0, 0
	s_add_co_ci_u32 s67, s67, s71
	s_mul_u64 s[68:69], s[68:69], s[66:67]
	s_delay_alu instid0(SALU_CYCLE_1)
	s_mul_hi_u32 s71, s66, s69
	s_mul_i32 s70, s66, s69
	s_mul_hi_u32 s0, s66, s68
	s_mul_i32 s54, s67, s68
	s_add_nc_u64 s[70:71], s[0:1], s[70:71]
	s_mul_hi_u32 s31, s67, s68
	s_mul_hi_u32 s65, s67, s69
	s_add_co_u32 s0, s70, s54
	s_add_co_ci_u32 s0, s71, s31
	s_mul_i32 s68, s67, s69
	s_add_co_ci_u32 s69, s65, 0
	s_delay_alu instid0(SALU_CYCLE_1) | instskip(NEXT) | instid1(SALU_CYCLE_1)
	s_add_nc_u64 s[68:69], s[0:1], s[68:69]
	s_add_co_u32 s54, s66, s68
	s_cselect_b32 s0, -1, 0
	v_mul_hi_u32 v36, v28, s54
	s_cmp_lg_u32 s0, 0
	s_add_co_ci_u32 s0, s67, s69
	s_and_b64 s[66:67], s[54:55], s[22:23]
	v_mul_u64_e32 v[30:31], s[0:1], v[28:29]
	v_mul_u64_e32 v[26:27], s[66:67], v[32:33]
	;; [unrolled: 1-line block ×3, first 2 shown]
	s_delay_alu instid0(VALU_DEP_3) | instskip(NEXT) | instid1(VALU_DEP_1)
	v_add_nc_u64_e32 v[30:31], v[36:37], v[30:31]
	v_add_co_u32 v1, vcc_lo, v30, v26
	s_delay_alu instid0(VALU_DEP_2) | instskip(NEXT) | instid1(VALU_DEP_4)
	v_add_co_ci_u32_e32 v36, vcc_lo, v31, v27, vcc_lo
	v_add_co_ci_u32_e32 v35, vcc_lo, 0, v35, vcc_lo
	s_delay_alu instid0(VALU_DEP_1) | instskip(NEXT) | instid1(VALU_DEP_1)
	v_add_nc_u64_e32 v[26:27], v[36:37], v[34:35]
	v_mul_u64_e32 v[30:31], s[34:35], v[26:27]
	s_delay_alu instid0(VALU_DEP_1) | instskip(SKIP_1) | instid1(VALU_DEP_3)
	v_sub_co_u32 v3, vcc_lo, v28, v30
	v_add_nc_u64_e32 v[28:29], 2, v[26:27]
	v_sub_nc_u32_e32 v1, v32, v31
	v_sub_co_ci_u32_e64 v7, null, v32, v31, vcc_lo
	s_delay_alu instid0(VALU_DEP_4) | instskip(NEXT) | instid1(VALU_DEP_3)
	v_sub_co_u32 v5, s0, v3, s34
	v_subrev_co_ci_u32_e64 v1, null, s35, v1, vcc_lo
	v_add_nc_u64_e32 v[30:31], 1, v[26:27]
	s_delay_alu instid0(VALU_DEP_3) | instskip(NEXT) | instid1(VALU_DEP_3)
	v_cmp_le_u32_e32 vcc_lo, s34, v5
	v_subrev_co_ci_u32_e64 v1, null, 0, v1, s0
	v_cndmask_b32_e64 v5, 0, -1, vcc_lo
	s_delay_alu instid0(VALU_DEP_2)
	v_cmp_le_u32_e32 vcc_lo, s35, v1
	v_cndmask_b32_e64 v9, 0, -1, vcc_lo
	v_cmp_le_u32_e32 vcc_lo, s34, v3
	v_cndmask_b32_e64 v3, 0, -1, vcc_lo
	;; [unrolled: 2-line block ×3, first 2 shown]
	v_cmp_eq_u32_e32 vcc_lo, s35, v1
	v_cndmask_b32_e32 v1, v9, v5, vcc_lo
	v_cmp_eq_u32_e32 vcc_lo, s35, v7
	s_delay_alu instid0(VALU_DEP_4) | instskip(NEXT) | instid1(VALU_DEP_3)
	v_cndmask_b32_e32 v3, v11, v3, vcc_lo
	v_cmp_ne_u32_e32 vcc_lo, 0, v1
	s_delay_alu instid0(VALU_DEP_2) | instskip(SKIP_1) | instid1(VALU_DEP_1)
	v_cmp_ne_u32_e64 s0, 0, v3
	v_dual_cndmask_b32 v3, v30, v28, vcc_lo :: v_dual_cndmask_b32 v1, v31, v29, vcc_lo
	v_dual_cndmask_b32 v3, v26, v3, s0 :: v_dual_cndmask_b32 v1, v27, v1, s0
	s_delay_alu instid0(VALU_DEP_1) | instskip(NEXT) | instid1(VALU_DEP_2)
	v_xor_b32_e32 v26, v3, v20
	v_xor_b32_e32 v27, v1, v20
	s_delay_alu instid0(VALU_DEP_1)
	v_sub_nc_u64_e32 v[20:21], v[26:27], v[20:21]
.LBB86_4327:                            ;   in Loop: Header=BB86_4325 Depth=1
	s_and_not1_saveexec_b32 s0, s53
	s_cbranch_execz .LBB86_4324
; %bb.4328:                             ;   in Loop: Header=BB86_4325 Depth=1
	v_cvt_f32_u32_e32 v1, s28
	s_sub_co_i32 s30, 0, s28
	v_mov_b32_e32 v21, v16
	s_delay_alu instid0(VALU_DEP_2) | instskip(SKIP_1) | instid1(TRANS32_DEP_1)
	v_rcp_iflag_f32_e32 v1, v1
	v_nop
	v_mul_f32_e32 v1, 0x4f7ffffe, v1
	s_delay_alu instid0(VALU_DEP_1) | instskip(NEXT) | instid1(VALU_DEP_1)
	v_cvt_u32_f32_e32 v1, v1
	v_mul_lo_u32 v3, s30, v1
	s_delay_alu instid0(VALU_DEP_1) | instskip(NEXT) | instid1(VALU_DEP_1)
	v_mul_hi_u32 v3, v1, v3
	v_add_nc_u32_e32 v1, v1, v3
	s_delay_alu instid0(VALU_DEP_1) | instskip(NEXT) | instid1(VALU_DEP_1)
	v_mul_hi_u32 v1, v18, v1
	v_mul_lo_u32 v3, v1, s28
	s_delay_alu instid0(VALU_DEP_1) | instskip(NEXT) | instid1(VALU_DEP_1)
	v_sub_nc_u32_e32 v3, v18, v3
	v_subrev_nc_u32_e32 v7, s28, v3
	v_cmp_le_u32_e32 vcc_lo, s28, v3
	s_delay_alu instid0(VALU_DEP_2) | instskip(NEXT) | instid1(VALU_DEP_1)
	v_dual_add_nc_u32 v5, 1, v1 :: v_dual_cndmask_b32 v3, v3, v7, vcc_lo
	v_cndmask_b32_e32 v1, v1, v5, vcc_lo
	s_delay_alu instid0(VALU_DEP_2) | instskip(NEXT) | instid1(VALU_DEP_2)
	v_cmp_le_u32_e32 vcc_lo, s28, v3
	v_add_nc_u32_e32 v5, 1, v1
	s_delay_alu instid0(VALU_DEP_1)
	v_cndmask_b32_e32 v20, v1, v5, vcc_lo
	s_branch .LBB86_4324
.LBB86_4329:
	s_mov_b32 s22, -1
	s_mov_b32 s53, s51
	s_mov_b32 s0, exec_lo
	v_cmpx_gt_i32_e64 v12, v10
	s_cbranch_execz .LBB86_4336
; %bb.4330:
	s_delay_alu instid0(VALU_DEP_2) | instskip(SKIP_3) | instid1(VALU_DEP_1)
	v_lshlrev_b64_e32 v[14:15], 2, v[14:15]
	v_dual_ashrrev_i32 v11, 31, v10 :: v_dual_ashrrev_i32 v13, 31, v12
	s_mov_b32 s5, 0
	s_xor_b32 s22, s47, -1
                                        ; implicit-def: $sgpr1
                                        ; implicit-def: $sgpr26
                                        ; implicit-def: $sgpr23
	v_lshl_add_u64 v[10:11], v[10:11], 2, v[14:15]
	s_wait_kmcnt 0x0
	v_add_nc_u64_e32 v[14:15], s[20:21], v[14:15]
	s_delay_alu instid0(VALU_DEP_2) | instskip(NEXT) | instid1(VALU_DEP_2)
	v_add_nc_u64_e32 v[10:11], s[20:21], v[10:11]
	v_lshl_add_u64 v[12:13], v[12:13], 2, v[14:15]
	s_delay_alu instid0(VALU_DEP_2)
	v_add_nc_u64_e32 v[10:11], 4, v[10:11]
	s_branch .LBB86_4332
.LBB86_4331:                            ;   in Loop: Header=BB86_4332 Depth=1
	s_or_b32 exec_lo, exec_lo, s27
	s_xor_b32 s27, s23, -1
	s_and_b32 s28, exec_lo, s26
	s_delay_alu instid0(SALU_CYCLE_1) | instskip(SKIP_2) | instid1(SALU_CYCLE_1)
	s_or_b32 s5, s28, s5
	s_and_not1_b32 s1, s1, exec_lo
	s_and_b32 s27, s27, exec_lo
	s_or_b32 s1, s1, s27
	s_and_not1_b32 exec_lo, exec_lo, s5
	s_cbranch_execz .LBB86_4334
.LBB86_4332:                            ; =>This Inner Loop Header: Depth=1
	s_or_b32 s23, s23, exec_lo
	s_or_b32 s26, s26, exec_lo
	s_mov_b32 s27, exec_lo
	s_delay_alu instid0(VALU_DEP_1)
	v_cmpx_lt_u64_e64 v[10:11], v[12:13]
	s_cbranch_execz .LBB86_4331
; %bb.4333:                             ;   in Loop: Header=BB86_4332 Depth=1
	global_load_b64 v[14:15], v[10:11], off offset:-4
	s_wait_xcnt 0x0
	v_add_nc_u64_e32 v[10:11], 4, v[10:11]
	s_and_not1_b32 s26, s26, exec_lo
	s_and_not1_b32 s23, s23, exec_lo
	s_wait_loadcnt 0x0
	v_cmp_ge_i32_e32 vcc_lo, v14, v15
	s_or_b32 s28, s22, vcc_lo
	s_delay_alu instid0(SALU_CYCLE_1) | instskip(NEXT) | instid1(SALU_CYCLE_1)
	s_and_b32 s28, s28, exec_lo
	s_or_b32 s26, s26, s28
	s_branch .LBB86_4331
.LBB86_4334:
	s_or_b32 exec_lo, exec_lo, s5
	s_mov_b32 s5, -1
	s_mov_b32 s22, s51
	s_and_saveexec_b32 s23, s1
	s_delay_alu instid0(SALU_CYCLE_1)
	s_xor_b32 s1, exec_lo, s23
	s_cbranch_execnz .LBB86_4349
.LBB86_4335:
	s_or_b32 exec_lo, exec_lo, s1
	s_delay_alu instid0(SALU_CYCLE_1) | instskip(SKIP_1) | instid1(SALU_CYCLE_1)
	s_and_not1_b32 s1, s51, exec_lo
	s_and_b32 s22, s22, exec_lo
	s_or_b32 s53, s1, s22
	s_or_not1_b32 s22, s5, exec_lo
.LBB86_4336:
	s_or_b32 exec_lo, exec_lo, s0
	s_mov_b32 s1, 0
	s_mov_b32 s5, 0
                                        ; implicit-def: $vgpr14_vgpr15
                                        ; implicit-def: $sgpr0
	s_and_saveexec_b32 s54, s22
	s_cbranch_execz .LBB86_4986
; %bb.4337:
	s_lshl_b32 s68, s55, 7
	s_cmp_lt_i32 s56, 11
	v_add_nc_u32_e32 v0, s68, v0
	s_delay_alu instid0(VALU_DEP_1) | instskip(NEXT) | instid1(VALU_DEP_1)
	v_ashrrev_i32_e32 v1, 31, v0
	v_add_nc_u64_e32 v[10:11], s[8:9], v[0:1]
	s_cbranch_scc1 .LBB86_4345
; %bb.4338:
	s_cmp_gt_i32 s56, 25
	s_cbranch_scc0 .LBB86_4346
; %bb.4339:
	s_cmp_gt_i32 s56, 28
	s_cbranch_scc0 .LBB86_4347
	;; [unrolled: 3-line block ×4, first 2 shown]
; %bb.4342:
	s_cmp_eq_u32 s56, 46
	s_mov_b32 s22, 0
	s_cbranch_scc0 .LBB86_4351
; %bb.4343:
	global_load_b32 v1, v[10:11], off
	s_mov_b32 s0, 0
	s_mov_b32 s5, -1
	s_wait_loadcnt 0x0
	v_lshlrev_b32_e32 v1, 16, v1
	s_delay_alu instid0(VALU_DEP_1)
	v_cvt_i32_f32_e32 v1, v1
	s_branch .LBB86_4353
.LBB86_4344:
	s_or_b32 s45, s45, exec_lo
	s_trap 2
	s_cbranch_execz .LBB86_4258
	s_branch .LBB86_4259
.LBB86_4345:
	s_mov_b32 s0, -1
	s_mov_b32 s55, s53
                                        ; implicit-def: $vgpr1
	s_branch .LBB86_4415
.LBB86_4346:
	s_mov_b32 s22, -1
	s_mov_b32 s0, 0
                                        ; implicit-def: $vgpr1
	s_branch .LBB86_4380
.LBB86_4347:
	s_mov_b32 s22, -1
	s_mov_b32 s0, 0
                                        ; implicit-def: $vgpr1
	s_branch .LBB86_4363
.LBB86_4348:
	s_mov_b32 s22, -1
	s_mov_b32 s0, 0
                                        ; implicit-def: $vgpr1
	s_branch .LBB86_4358
.LBB86_4349:
	s_or_b32 s22, s51, exec_lo
	s_xor_b32 s5, exec_lo, -1
	s_trap 2
	s_branch .LBB86_4335
.LBB86_4350:
	s_mov_b32 s22, -1
	s_mov_b32 s0, 0
	s_branch .LBB86_4352
.LBB86_4351:
	s_mov_b32 s0, -1
.LBB86_4352:
                                        ; implicit-def: $vgpr1
.LBB86_4353:
	s_and_b32 vcc_lo, exec_lo, s22
	s_cbranch_vccz .LBB86_4357
; %bb.4354:
	s_cmp_eq_u32 s56, 44
	s_cbranch_scc0 .LBB86_4356
; %bb.4355:
	global_load_u8 v1, v[10:11], off
	s_mov_b32 s0, 0
	s_mov_b32 s5, -1
	s_wait_loadcnt 0x0
	v_lshlrev_b32_e32 v3, 23, v1
	v_cmp_ne_u32_e32 vcc_lo, 0, v1
	s_delay_alu instid0(VALU_DEP_2) | instskip(NEXT) | instid1(VALU_DEP_1)
	v_cvt_i32_f32_e32 v3, v3
	v_cndmask_b32_e32 v1, 0, v3, vcc_lo
	s_branch .LBB86_4357
.LBB86_4356:
	s_mov_b32 s0, -1
                                        ; implicit-def: $vgpr1
.LBB86_4357:
	s_mov_b32 s22, 0
.LBB86_4358:
	s_delay_alu instid0(SALU_CYCLE_1)
	s_and_b32 vcc_lo, exec_lo, s22
	s_cbranch_vccz .LBB86_4362
; %bb.4359:
	s_cmp_eq_u32 s56, 29
	s_cbranch_scc0 .LBB86_4361
; %bb.4360:
	global_load_b32 v1, v[10:11], off
	s_mov_b32 s0, 0
	s_mov_b32 s5, -1
	s_branch .LBB86_4362
.LBB86_4361:
	s_mov_b32 s0, -1
                                        ; implicit-def: $vgpr1
.LBB86_4362:
	s_mov_b32 s22, 0
.LBB86_4363:
	s_delay_alu instid0(SALU_CYCLE_1)
	s_and_b32 vcc_lo, exec_lo, s22
	s_cbranch_vccz .LBB86_4379
; %bb.4364:
	s_cmp_lt_i32 s56, 27
	s_cbranch_scc1 .LBB86_4367
; %bb.4365:
	s_cmp_gt_i32 s56, 27
	s_cbranch_scc0 .LBB86_4368
; %bb.4366:
	s_wait_loadcnt 0x0
	global_load_b32 v1, v[10:11], off
	s_mov_b32 s5, 0
	s_branch .LBB86_4369
.LBB86_4367:
	s_mov_b32 s5, -1
                                        ; implicit-def: $vgpr1
	s_branch .LBB86_4372
.LBB86_4368:
	s_mov_b32 s5, -1
                                        ; implicit-def: $vgpr1
.LBB86_4369:
	s_delay_alu instid0(SALU_CYCLE_1)
	s_and_not1_b32 vcc_lo, exec_lo, s5
	s_cbranch_vccnz .LBB86_4371
; %bb.4370:
	s_wait_loadcnt 0x0
	global_load_u16 v1, v[10:11], off
.LBB86_4371:
	s_mov_b32 s5, 0
.LBB86_4372:
	s_delay_alu instid0(SALU_CYCLE_1)
	s_and_not1_b32 vcc_lo, exec_lo, s5
	s_cbranch_vccnz .LBB86_4378
; %bb.4373:
	global_load_u8 v3, v[10:11], off
	s_mov_b32 s22, 0
	s_mov_b32 s5, exec_lo
	s_wait_loadcnt 0x0
	v_cmpx_lt_i16_e32 0x7f, v3
	s_xor_b32 s5, exec_lo, s5
	s_cbranch_execz .LBB86_4390
; %bb.4374:
	v_cmp_ne_u16_e32 vcc_lo, 0x80, v3
	s_and_b32 s22, vcc_lo, exec_lo
	s_and_not1_saveexec_b32 s5, s5
	s_cbranch_execnz .LBB86_4391
.LBB86_4375:
	s_or_b32 exec_lo, exec_lo, s5
	v_mov_b32_e32 v1, 0
	s_and_saveexec_b32 s5, s22
	s_cbranch_execz .LBB86_4377
.LBB86_4376:
	v_and_b32_e32 v1, 0xffff, v3
	s_delay_alu instid0(VALU_DEP_1) | instskip(SKIP_1) | instid1(VALU_DEP_2)
	v_and_b32_e32 v5, 7, v1
	v_bfe_u32 v12, v1, 3, 4
	v_clz_i32_u32_e32 v7, v5
	s_delay_alu instid0(VALU_DEP_2) | instskip(NEXT) | instid1(VALU_DEP_2)
	v_cmp_eq_u32_e32 vcc_lo, 0, v12
	v_min_u32_e32 v7, 32, v7
	s_delay_alu instid0(VALU_DEP_1) | instskip(NEXT) | instid1(VALU_DEP_1)
	v_subrev_nc_u32_e32 v9, 28, v7
	v_dual_lshlrev_b32 v1, v9, v1 :: v_dual_sub_nc_u32 v7, 29, v7
	s_delay_alu instid0(VALU_DEP_1) | instskip(NEXT) | instid1(VALU_DEP_1)
	v_dual_lshlrev_b32 v3, 24, v3 :: v_dual_bitop2_b32 v1, 7, v1 bitop3:0x40
	v_dual_cndmask_b32 v1, v5, v1, vcc_lo :: v_dual_cndmask_b32 v7, v12, v7, vcc_lo
	s_delay_alu instid0(VALU_DEP_2) | instskip(NEXT) | instid1(VALU_DEP_2)
	v_and_b32_e32 v3, 0x80000000, v3
	v_lshlrev_b32_e32 v1, 20, v1
	s_delay_alu instid0(VALU_DEP_3) | instskip(NEXT) | instid1(VALU_DEP_1)
	v_lshl_add_u32 v5, v7, 23, 0x3b800000
	v_or3_b32 v1, v3, v5, v1
	s_delay_alu instid0(VALU_DEP_1)
	v_cvt_i32_f32_e32 v1, v1
.LBB86_4377:
	s_or_b32 exec_lo, exec_lo, s5
.LBB86_4378:
	s_mov_b32 s5, -1
.LBB86_4379:
	s_mov_b32 s22, 0
.LBB86_4380:
	s_delay_alu instid0(SALU_CYCLE_1)
	s_and_b32 vcc_lo, exec_lo, s22
	s_cbranch_vccz .LBB86_4411
; %bb.4381:
	s_cmp_gt_i32 s56, 22
	s_cbranch_scc0 .LBB86_4389
; %bb.4382:
	s_cmp_lt_i32 s56, 24
	s_cbranch_scc1 .LBB86_4392
; %bb.4383:
	s_cmp_gt_i32 s56, 24
	s_cbranch_scc0 .LBB86_4393
; %bb.4384:
	global_load_u8 v3, v[10:11], off
	s_mov_b32 s5, 0
	s_mov_b32 s1, exec_lo
	s_wait_loadcnt 0x0
	v_cmpx_lt_i16_e32 0x7f, v3
	s_xor_b32 s1, exec_lo, s1
	s_cbranch_execz .LBB86_4405
; %bb.4385:
	v_cmp_ne_u16_e32 vcc_lo, 0x80, v3
	s_and_b32 s5, vcc_lo, exec_lo
	s_and_not1_saveexec_b32 s1, s1
	s_cbranch_execnz .LBB86_4406
.LBB86_4386:
	s_or_b32 exec_lo, exec_lo, s1
	v_mov_b32_e32 v1, 0
	s_and_saveexec_b32 s1, s5
	s_cbranch_execz .LBB86_4388
.LBB86_4387:
	v_and_b32_e32 v1, 0xffff, v3
	s_delay_alu instid0(VALU_DEP_1) | instskip(SKIP_1) | instid1(VALU_DEP_2)
	v_and_b32_e32 v5, 3, v1
	v_bfe_u32 v12, v1, 2, 5
	v_clz_i32_u32_e32 v7, v5
	s_delay_alu instid0(VALU_DEP_2) | instskip(NEXT) | instid1(VALU_DEP_2)
	v_cmp_eq_u32_e32 vcc_lo, 0, v12
	v_min_u32_e32 v7, 32, v7
	s_delay_alu instid0(VALU_DEP_1) | instskip(NEXT) | instid1(VALU_DEP_1)
	v_subrev_nc_u32_e32 v9, 29, v7
	v_dual_lshlrev_b32 v1, v9, v1 :: v_dual_sub_nc_u32 v7, 30, v7
	s_delay_alu instid0(VALU_DEP_1) | instskip(NEXT) | instid1(VALU_DEP_1)
	v_dual_lshlrev_b32 v3, 24, v3 :: v_dual_bitop2_b32 v1, 3, v1 bitop3:0x40
	v_dual_cndmask_b32 v1, v5, v1, vcc_lo :: v_dual_cndmask_b32 v7, v12, v7, vcc_lo
	s_delay_alu instid0(VALU_DEP_2) | instskip(NEXT) | instid1(VALU_DEP_2)
	v_and_b32_e32 v3, 0x80000000, v3
	v_lshlrev_b32_e32 v1, 21, v1
	s_delay_alu instid0(VALU_DEP_3) | instskip(NEXT) | instid1(VALU_DEP_1)
	v_lshl_add_u32 v5, v7, 23, 0x37800000
	v_or3_b32 v1, v3, v5, v1
	s_delay_alu instid0(VALU_DEP_1)
	v_cvt_i32_f32_e32 v1, v1
.LBB86_4388:
	s_or_b32 exec_lo, exec_lo, s1
	s_mov_b32 s1, 0
	s_branch .LBB86_4394
.LBB86_4389:
	s_mov_b32 s1, -1
                                        ; implicit-def: $vgpr1
	s_branch .LBB86_4400
.LBB86_4390:
	s_and_not1_saveexec_b32 s5, s5
	s_cbranch_execz .LBB86_4375
.LBB86_4391:
	v_cmp_ne_u16_e32 vcc_lo, 0, v3
	s_and_not1_b32 s22, s22, exec_lo
	s_and_b32 s23, vcc_lo, exec_lo
	s_delay_alu instid0(SALU_CYCLE_1)
	s_or_b32 s22, s22, s23
	s_or_b32 exec_lo, exec_lo, s5
	v_mov_b32_e32 v1, 0
	s_and_saveexec_b32 s5, s22
	s_cbranch_execnz .LBB86_4376
	s_branch .LBB86_4377
.LBB86_4392:
	s_mov_b32 s1, -1
                                        ; implicit-def: $vgpr1
	s_branch .LBB86_4397
.LBB86_4393:
	s_mov_b32 s1, -1
                                        ; implicit-def: $vgpr1
.LBB86_4394:
	s_delay_alu instid0(SALU_CYCLE_1)
	s_and_b32 vcc_lo, exec_lo, s1
	s_cbranch_vccz .LBB86_4396
; %bb.4395:
	s_wait_loadcnt 0x0
	global_load_u8 v1, v[10:11], off
	s_wait_loadcnt 0x0
	v_lshlrev_b32_e32 v1, 24, v1
	s_delay_alu instid0(VALU_DEP_1) | instskip(NEXT) | instid1(VALU_DEP_1)
	v_and_b32_e32 v3, 0x7f000000, v1
	v_clz_i32_u32_e32 v5, v3
	v_add_nc_u32_e32 v9, 0x1000000, v3
	v_cmp_ne_u32_e32 vcc_lo, 0, v3
	s_delay_alu instid0(VALU_DEP_3) | instskip(NEXT) | instid1(VALU_DEP_1)
	v_min_u32_e32 v5, 32, v5
	v_sub_nc_u32_e64 v5, v5, 4 clamp
	s_delay_alu instid0(VALU_DEP_1) | instskip(NEXT) | instid1(VALU_DEP_1)
	v_dual_lshlrev_b32 v7, v5, v3 :: v_dual_lshlrev_b32 v5, 23, v5
	v_lshrrev_b32_e32 v7, 4, v7
	s_delay_alu instid0(VALU_DEP_1) | instskip(SKIP_1) | instid1(VALU_DEP_2)
	v_sub_nc_u32_e32 v5, v7, v5
	v_ashrrev_i32_e32 v7, 8, v9
	v_add_nc_u32_e32 v5, 0x3c000000, v5
	s_delay_alu instid0(VALU_DEP_1) | instskip(NEXT) | instid1(VALU_DEP_1)
	v_and_or_b32 v5, 0x7f800000, v7, v5
	v_cndmask_b32_e32 v3, 0, v5, vcc_lo
	s_delay_alu instid0(VALU_DEP_1) | instskip(NEXT) | instid1(VALU_DEP_1)
	v_and_or_b32 v1, 0x80000000, v1, v3
	v_cvt_i32_f32_e32 v1, v1
.LBB86_4396:
	s_mov_b32 s1, 0
.LBB86_4397:
	s_delay_alu instid0(SALU_CYCLE_1)
	s_and_not1_b32 vcc_lo, exec_lo, s1
	s_cbranch_vccnz .LBB86_4399
; %bb.4398:
	s_wait_loadcnt 0x0
	global_load_u8 v1, v[10:11], off
	s_wait_loadcnt 0x0
	v_lshlrev_b32_e32 v3, 25, v1
	v_lshlrev_b16 v1, 8, v1
	s_delay_alu instid0(VALU_DEP_1) | instskip(SKIP_1) | instid1(VALU_DEP_2)
	v_and_or_b32 v7, 0x7f00, v1, 0.5
	v_bfe_i32 v1, v1, 0, 16
	v_add_f32_e32 v7, -0.5, v7
	v_lshrrev_b32_e32 v5, 4, v3
	v_cmp_gt_u32_e32 vcc_lo, 0x8000000, v3
	s_delay_alu instid0(VALU_DEP_2) | instskip(NEXT) | instid1(VALU_DEP_1)
	v_or_b32_e32 v5, 0x70000000, v5
	v_mul_f32_e32 v5, 0x7800000, v5
	s_delay_alu instid0(VALU_DEP_1) | instskip(NEXT) | instid1(VALU_DEP_1)
	v_cndmask_b32_e32 v3, v5, v7, vcc_lo
	v_and_or_b32 v1, 0x80000000, v1, v3
	s_delay_alu instid0(VALU_DEP_1)
	v_cvt_i32_f32_e32 v1, v1
.LBB86_4399:
	s_mov_b32 s1, 0
	s_mov_b32 s5, -1
.LBB86_4400:
	s_and_not1_b32 vcc_lo, exec_lo, s1
	s_mov_b32 s1, 0
	s_cbranch_vccnz .LBB86_4411
; %bb.4401:
	s_cmp_gt_i32 s56, 14
	s_cbranch_scc0 .LBB86_4404
; %bb.4402:
	s_cmp_eq_u32 s56, 15
	s_cbranch_scc0 .LBB86_4407
; %bb.4403:
	s_wait_loadcnt 0x0
	global_load_u16 v1, v[10:11], off
	s_mov_b32 s0, 0
	s_mov_b32 s5, -1
	s_wait_loadcnt 0x0
	v_lshlrev_b32_e32 v1, 16, v1
	s_delay_alu instid0(VALU_DEP_1)
	v_cvt_i32_f32_e32 v1, v1
	s_branch .LBB86_4409
.LBB86_4404:
	s_mov_b32 s1, -1
	s_branch .LBB86_4408
.LBB86_4405:
	s_and_not1_saveexec_b32 s1, s1
	s_cbranch_execz .LBB86_4386
.LBB86_4406:
	v_cmp_ne_u16_e32 vcc_lo, 0, v3
	s_and_not1_b32 s5, s5, exec_lo
	s_and_b32 s22, vcc_lo, exec_lo
	s_delay_alu instid0(SALU_CYCLE_1)
	s_or_b32 s5, s5, s22
	s_or_b32 exec_lo, exec_lo, s1
	v_mov_b32_e32 v1, 0
	s_and_saveexec_b32 s1, s5
	s_cbranch_execnz .LBB86_4387
	s_branch .LBB86_4388
.LBB86_4407:
	s_mov_b32 s0, -1
.LBB86_4408:
                                        ; implicit-def: $vgpr1
.LBB86_4409:
	s_and_b32 vcc_lo, exec_lo, s1
	s_mov_b32 s1, 0
	s_cbranch_vccz .LBB86_4411
; %bb.4410:
	s_cmp_lg_u32 s56, 11
	s_mov_b32 s1, -1
	s_cselect_b32 s0, -1, 0
.LBB86_4411:
	s_delay_alu instid0(SALU_CYCLE_1)
	s_and_b32 vcc_lo, exec_lo, s0
	s_mov_b32 s55, s53
	s_cbranch_vccnz .LBB86_4476
; %bb.4412:
	s_and_not1_b32 vcc_lo, exec_lo, s1
	s_cbranch_vccnz .LBB86_4414
.LBB86_4413:
	s_wait_loadcnt 0x0
	global_load_u8 v1, v[10:11], off
	s_mov_b32 s5, -1
	s_wait_loadcnt 0x0
	v_cmp_ne_u16_e32 vcc_lo, 0, v1
	v_cndmask_b32_e64 v1, 0, 1, vcc_lo
.LBB86_4414:
	s_mov_b32 s0, 0
.LBB86_4415:
	s_delay_alu instid0(SALU_CYCLE_1)
	s_and_b32 vcc_lo, exec_lo, s0
	s_cbranch_vccz .LBB86_4464
; %bb.4416:
	s_cmp_lt_i32 s56, 5
	s_cbranch_scc1 .LBB86_4421
; %bb.4417:
	s_cmp_lt_i32 s56, 8
	s_cbranch_scc1 .LBB86_4422
	;; [unrolled: 3-line block ×3, first 2 shown]
; %bb.4419:
	s_cmp_gt_i32 s56, 9
	s_cbranch_scc0 .LBB86_4424
; %bb.4420:
	global_load_b64 v[12:13], v[10:11], off
	s_mov_b32 s0, 0
	s_wait_loadcnt 0x0
	v_cvt_i32_f64_e32 v1, v[12:13]
	s_branch .LBB86_4425
.LBB86_4421:
	s_mov_b32 s0, -1
                                        ; implicit-def: $vgpr1
	s_branch .LBB86_4443
.LBB86_4422:
	s_mov_b32 s0, -1
                                        ; implicit-def: $vgpr1
	s_branch .LBB86_4431
.LBB86_4423:
	s_mov_b32 s0, -1
                                        ; implicit-def: $vgpr1
	s_branch .LBB86_4428
.LBB86_4424:
	s_mov_b32 s0, -1
                                        ; implicit-def: $vgpr1
.LBB86_4425:
	s_delay_alu instid0(SALU_CYCLE_1)
	s_and_not1_b32 vcc_lo, exec_lo, s0
	s_cbranch_vccnz .LBB86_4427
; %bb.4426:
	s_wait_loadcnt 0x0
	global_load_b32 v1, v[10:11], off
	s_wait_loadcnt 0x0
	v_cvt_i32_f32_e32 v1, v1
.LBB86_4427:
	s_mov_b32 s0, 0
.LBB86_4428:
	s_delay_alu instid0(SALU_CYCLE_1)
	s_and_not1_b32 vcc_lo, exec_lo, s0
	s_cbranch_vccnz .LBB86_4430
; %bb.4429:
	s_wait_loadcnt 0x0
	global_load_b32 v1, v[10:11], off
	s_wait_loadcnt 0x0
	v_cvt_f32_f16_e32 v1, v1
	s_delay_alu instid0(VALU_DEP_1)
	v_cvt_i32_f32_e32 v1, v1
.LBB86_4430:
	s_mov_b32 s0, 0
.LBB86_4431:
	s_delay_alu instid0(SALU_CYCLE_1)
	s_and_not1_b32 vcc_lo, exec_lo, s0
	s_cbranch_vccnz .LBB86_4442
; %bb.4432:
	s_cmp_lt_i32 s56, 6
	s_cbranch_scc1 .LBB86_4435
; %bb.4433:
	s_cmp_gt_i32 s56, 6
	s_cbranch_scc0 .LBB86_4436
; %bb.4434:
	global_load_b64 v[12:13], v[10:11], off
	s_mov_b32 s0, 0
	s_wait_loadcnt 0x0
	v_cvt_i32_f64_e32 v1, v[12:13]
	s_branch .LBB86_4437
.LBB86_4435:
	s_mov_b32 s0, -1
                                        ; implicit-def: $vgpr1
	s_branch .LBB86_4440
.LBB86_4436:
	s_mov_b32 s0, -1
                                        ; implicit-def: $vgpr1
.LBB86_4437:
	s_delay_alu instid0(SALU_CYCLE_1)
	s_and_not1_b32 vcc_lo, exec_lo, s0
	s_cbranch_vccnz .LBB86_4439
; %bb.4438:
	s_wait_loadcnt 0x0
	global_load_b32 v1, v[10:11], off
	s_wait_loadcnt 0x0
	v_cvt_i32_f32_e32 v1, v1
.LBB86_4439:
	s_mov_b32 s0, 0
.LBB86_4440:
	s_delay_alu instid0(SALU_CYCLE_1)
	s_and_not1_b32 vcc_lo, exec_lo, s0
	s_cbranch_vccnz .LBB86_4442
; %bb.4441:
	s_wait_loadcnt 0x0
	global_load_u16 v1, v[10:11], off
	s_wait_loadcnt 0x0
	v_cvt_f32_f16_e32 v1, v1
	s_delay_alu instid0(VALU_DEP_1)
	v_cvt_i32_f32_e32 v1, v1
.LBB86_4442:
	s_mov_b32 s0, 0
.LBB86_4443:
	s_delay_alu instid0(SALU_CYCLE_1)
	s_and_not1_b32 vcc_lo, exec_lo, s0
	s_cbranch_vccnz .LBB86_4463
; %bb.4444:
	s_cmp_lt_i32 s56, 2
	s_cbranch_scc1 .LBB86_4448
; %bb.4445:
	s_cmp_lt_i32 s56, 3
	s_cbranch_scc1 .LBB86_4449
; %bb.4446:
	s_cmp_gt_i32 s56, 3
	s_cbranch_scc0 .LBB86_4450
; %bb.4447:
	s_wait_loadcnt 0x0
	global_load_b32 v1, v[10:11], off
	s_mov_b32 s0, 0
	s_branch .LBB86_4451
.LBB86_4448:
	s_mov_b32 s0, -1
                                        ; implicit-def: $vgpr1
	s_branch .LBB86_4457
.LBB86_4449:
	s_mov_b32 s0, -1
                                        ; implicit-def: $vgpr1
	s_branch .LBB86_4454
.LBB86_4450:
	s_mov_b32 s0, -1
                                        ; implicit-def: $vgpr1
.LBB86_4451:
	s_delay_alu instid0(SALU_CYCLE_1)
	s_and_not1_b32 vcc_lo, exec_lo, s0
	s_cbranch_vccnz .LBB86_4453
; %bb.4452:
	s_wait_loadcnt 0x0
	global_load_b32 v1, v[10:11], off
.LBB86_4453:
	s_mov_b32 s0, 0
.LBB86_4454:
	s_delay_alu instid0(SALU_CYCLE_1)
	s_and_not1_b32 vcc_lo, exec_lo, s0
	s_cbranch_vccnz .LBB86_4456
; %bb.4455:
	s_wait_loadcnt 0x0
	global_load_i16 v1, v[10:11], off
.LBB86_4456:
	s_mov_b32 s0, 0
.LBB86_4457:
	s_delay_alu instid0(SALU_CYCLE_1)
	s_and_not1_b32 vcc_lo, exec_lo, s0
	s_cbranch_vccnz .LBB86_4463
; %bb.4458:
	s_cmp_gt_i32 s56, 0
	s_mov_b32 s0, 0
	s_cbranch_scc0 .LBB86_4460
; %bb.4459:
	s_wait_loadcnt 0x0
	global_load_i8 v1, v[10:11], off
	s_branch .LBB86_4461
.LBB86_4460:
	s_mov_b32 s0, -1
                                        ; implicit-def: $vgpr1
.LBB86_4461:
	s_delay_alu instid0(SALU_CYCLE_1)
	s_and_not1_b32 vcc_lo, exec_lo, s0
	s_cbranch_vccnz .LBB86_4463
; %bb.4462:
	s_wait_loadcnt 0x0
	global_load_u8 v1, v[10:11], off
.LBB86_4463:
	s_mov_b32 s5, -1
.LBB86_4464:
	s_delay_alu instid0(SALU_CYCLE_1)
	s_and_not1_b32 vcc_lo, exec_lo, s5
	s_cbranch_vccnz .LBB86_4984
; %bb.4465:
	s_lshl_b32 s69, s61, 7
	s_cmp_lt_i32 s57, 11
	v_add_nc_u32_e32 v2, s69, v2
	s_delay_alu instid0(VALU_DEP_1) | instskip(SKIP_1) | instid1(VALU_DEP_1)
	v_ashrrev_i32_e32 v3, 31, v2
	s_wait_xcnt 0x0
	v_add_nc_u64_e32 v[10:11], s[10:11], v[2:3]
	s_cbranch_scc1 .LBB86_4472
; %bb.4466:
	s_cmp_gt_i32 s57, 25
	s_mov_b32 s1, 0
	s_cbranch_scc0 .LBB86_4473
; %bb.4467:
	s_cmp_gt_i32 s57, 28
	s_cbranch_scc0 .LBB86_4474
; %bb.4468:
	s_cmp_gt_i32 s57, 43
	s_cbranch_scc0 .LBB86_4475
; %bb.4469:
	s_cmp_gt_i32 s57, 45
	s_cbranch_scc0 .LBB86_4477
; %bb.4470:
	s_cmp_eq_u32 s57, 46
	s_mov_b32 s22, 0
	s_cbranch_scc0 .LBB86_4479
; %bb.4471:
	global_load_b32 v3, v[10:11], off
	s_mov_b32 s0, 0
	s_mov_b32 s5, -1
	s_wait_loadcnt 0x0
	v_lshlrev_b32_e32 v3, 16, v3
	s_delay_alu instid0(VALU_DEP_1)
	v_cvt_i32_f32_e32 v3, v3
	s_branch .LBB86_4481
.LBB86_4472:
	s_mov_b32 s0, -1
	s_mov_b32 s5, 0
                                        ; implicit-def: $vgpr3
	s_branch .LBB86_4543
.LBB86_4473:
	s_mov_b32 s22, -1
	s_mov_b32 s5, 0
	s_mov_b32 s0, 0
                                        ; implicit-def: $vgpr3
	s_branch .LBB86_4508
.LBB86_4474:
	s_mov_b32 s22, -1
	s_mov_b32 s5, 0
	s_mov_b32 s0, 0
                                        ; implicit-def: $vgpr3
	s_branch .LBB86_4491
.LBB86_4475:
	s_mov_b32 s22, -1
	s_mov_b32 s5, 0
	s_mov_b32 s0, 0
                                        ; implicit-def: $vgpr3
	s_branch .LBB86_4486
.LBB86_4476:
	s_or_b32 s55, s53, exec_lo
	s_trap 2
	s_cbranch_execz .LBB86_4413
	s_branch .LBB86_4414
.LBB86_4477:
	s_mov_b32 s22, -1
	s_mov_b32 s5, 0
	s_mov_b32 s0, 0
	s_branch .LBB86_4480
.LBB86_4478:
	s_or_b32 s45, s45, exec_lo
	s_trap 2
                                        ; implicit-def: $vgpr0
                                        ; implicit-def: $vgpr2
                                        ; implicit-def: $vgpr3
                                        ; implicit-def: $vgpr4
                                        ; implicit-def: $vgpr10
                                        ; implicit-def: $vgpr6
                                        ; implicit-def: $vgpr12
                                        ; implicit-def: $vgpr8
                                        ; implicit-def: $vgpr16
                                        ; implicit-def: $vgpr25
                                        ; implicit-def: $vgpr22
                                        ; implicit-def: $vgpr23
                                        ; implicit-def: $vgpr24
	s_branch .LBB86_4311
.LBB86_4479:
	s_mov_b32 s0, -1
	s_mov_b32 s5, 0
.LBB86_4480:
                                        ; implicit-def: $vgpr3
.LBB86_4481:
	s_and_b32 vcc_lo, exec_lo, s22
	s_cbranch_vccz .LBB86_4485
; %bb.4482:
	s_cmp_eq_u32 s57, 44
	s_cbranch_scc0 .LBB86_4484
; %bb.4483:
	global_load_u8 v3, v[10:11], off
	s_mov_b32 s0, 0
	s_mov_b32 s5, -1
	s_wait_loadcnt 0x0
	v_lshlrev_b32_e32 v5, 23, v3
	v_cmp_ne_u32_e32 vcc_lo, 0, v3
	s_delay_alu instid0(VALU_DEP_2) | instskip(NEXT) | instid1(VALU_DEP_1)
	v_cvt_i32_f32_e32 v5, v5
	v_cndmask_b32_e32 v3, 0, v5, vcc_lo
	s_branch .LBB86_4485
.LBB86_4484:
	s_mov_b32 s0, -1
                                        ; implicit-def: $vgpr3
.LBB86_4485:
	s_mov_b32 s22, 0
.LBB86_4486:
	s_delay_alu instid0(SALU_CYCLE_1)
	s_and_b32 vcc_lo, exec_lo, s22
	s_cbranch_vccz .LBB86_4490
; %bb.4487:
	s_cmp_eq_u32 s57, 29
	s_cbranch_scc0 .LBB86_4489
; %bb.4488:
	global_load_b32 v3, v[10:11], off
	s_mov_b32 s0, 0
	s_mov_b32 s5, -1
	s_branch .LBB86_4490
.LBB86_4489:
	s_mov_b32 s0, -1
                                        ; implicit-def: $vgpr3
.LBB86_4490:
	s_mov_b32 s22, 0
.LBB86_4491:
	s_delay_alu instid0(SALU_CYCLE_1)
	s_and_b32 vcc_lo, exec_lo, s22
	s_cbranch_vccz .LBB86_4507
; %bb.4492:
	s_cmp_lt_i32 s57, 27
	s_cbranch_scc1 .LBB86_4495
; %bb.4493:
	s_cmp_gt_i32 s57, 27
	s_cbranch_scc0 .LBB86_4496
; %bb.4494:
	s_wait_loadcnt 0x0
	global_load_b32 v3, v[10:11], off
	s_mov_b32 s5, 0
	s_branch .LBB86_4497
.LBB86_4495:
	s_mov_b32 s5, -1
                                        ; implicit-def: $vgpr3
	s_branch .LBB86_4500
.LBB86_4496:
	s_mov_b32 s5, -1
                                        ; implicit-def: $vgpr3
.LBB86_4497:
	s_delay_alu instid0(SALU_CYCLE_1)
	s_and_not1_b32 vcc_lo, exec_lo, s5
	s_cbranch_vccnz .LBB86_4499
; %bb.4498:
	s_wait_loadcnt 0x0
	global_load_u16 v3, v[10:11], off
.LBB86_4499:
	s_mov_b32 s5, 0
.LBB86_4500:
	s_delay_alu instid0(SALU_CYCLE_1)
	s_and_not1_b32 vcc_lo, exec_lo, s5
	s_cbranch_vccnz .LBB86_4506
; %bb.4501:
	global_load_u8 v5, v[10:11], off
	s_mov_b32 s22, 0
	s_mov_b32 s5, exec_lo
	s_wait_loadcnt 0x0
	v_cmpx_lt_i16_e32 0x7f, v5
	s_xor_b32 s5, exec_lo, s5
	s_cbranch_execz .LBB86_4518
; %bb.4502:
	v_cmp_ne_u16_e32 vcc_lo, 0x80, v5
	s_and_b32 s22, vcc_lo, exec_lo
	s_and_not1_saveexec_b32 s5, s5
	s_cbranch_execnz .LBB86_4519
.LBB86_4503:
	s_or_b32 exec_lo, exec_lo, s5
	v_mov_b32_e32 v3, 0
	s_and_saveexec_b32 s5, s22
	s_cbranch_execz .LBB86_4505
.LBB86_4504:
	v_and_b32_e32 v3, 0xffff, v5
	s_delay_alu instid0(VALU_DEP_1) | instskip(SKIP_1) | instid1(VALU_DEP_2)
	v_and_b32_e32 v7, 7, v3
	v_bfe_u32 v13, v3, 3, 4
	v_clz_i32_u32_e32 v9, v7
	s_delay_alu instid0(VALU_DEP_2) | instskip(NEXT) | instid1(VALU_DEP_2)
	v_cmp_eq_u32_e32 vcc_lo, 0, v13
	v_min_u32_e32 v9, 32, v9
	s_delay_alu instid0(VALU_DEP_1) | instskip(NEXT) | instid1(VALU_DEP_1)
	v_subrev_nc_u32_e32 v12, 28, v9
	v_dual_lshlrev_b32 v3, v12, v3 :: v_dual_sub_nc_u32 v9, 29, v9
	s_delay_alu instid0(VALU_DEP_1) | instskip(NEXT) | instid1(VALU_DEP_1)
	v_dual_lshlrev_b32 v5, 24, v5 :: v_dual_bitop2_b32 v3, 7, v3 bitop3:0x40
	v_dual_cndmask_b32 v3, v7, v3, vcc_lo :: v_dual_cndmask_b32 v9, v13, v9, vcc_lo
	s_delay_alu instid0(VALU_DEP_2) | instskip(NEXT) | instid1(VALU_DEP_2)
	v_and_b32_e32 v5, 0x80000000, v5
	v_lshlrev_b32_e32 v3, 20, v3
	s_delay_alu instid0(VALU_DEP_3) | instskip(NEXT) | instid1(VALU_DEP_1)
	v_lshl_add_u32 v7, v9, 23, 0x3b800000
	v_or3_b32 v3, v5, v7, v3
	s_delay_alu instid0(VALU_DEP_1)
	v_cvt_i32_f32_e32 v3, v3
.LBB86_4505:
	s_or_b32 exec_lo, exec_lo, s5
.LBB86_4506:
	s_mov_b32 s5, -1
.LBB86_4507:
	s_mov_b32 s22, 0
.LBB86_4508:
	s_delay_alu instid0(SALU_CYCLE_1)
	s_and_b32 vcc_lo, exec_lo, s22
	s_cbranch_vccz .LBB86_4539
; %bb.4509:
	s_cmp_gt_i32 s57, 22
	s_cbranch_scc0 .LBB86_4517
; %bb.4510:
	s_cmp_lt_i32 s57, 24
	s_cbranch_scc1 .LBB86_4520
; %bb.4511:
	s_cmp_gt_i32 s57, 24
	s_cbranch_scc0 .LBB86_4521
; %bb.4512:
	global_load_u8 v5, v[10:11], off
	s_mov_b32 s5, 0
	s_mov_b32 s1, exec_lo
	s_wait_loadcnt 0x0
	v_cmpx_lt_i16_e32 0x7f, v5
	s_xor_b32 s1, exec_lo, s1
	s_cbranch_execz .LBB86_4533
; %bb.4513:
	v_cmp_ne_u16_e32 vcc_lo, 0x80, v5
	s_and_b32 s5, vcc_lo, exec_lo
	s_and_not1_saveexec_b32 s1, s1
	s_cbranch_execnz .LBB86_4534
.LBB86_4514:
	s_or_b32 exec_lo, exec_lo, s1
	v_mov_b32_e32 v3, 0
	s_and_saveexec_b32 s1, s5
	s_cbranch_execz .LBB86_4516
.LBB86_4515:
	v_and_b32_e32 v3, 0xffff, v5
	s_delay_alu instid0(VALU_DEP_1) | instskip(SKIP_1) | instid1(VALU_DEP_2)
	v_and_b32_e32 v7, 3, v3
	v_bfe_u32 v13, v3, 2, 5
	v_clz_i32_u32_e32 v9, v7
	s_delay_alu instid0(VALU_DEP_2) | instskip(NEXT) | instid1(VALU_DEP_2)
	v_cmp_eq_u32_e32 vcc_lo, 0, v13
	v_min_u32_e32 v9, 32, v9
	s_delay_alu instid0(VALU_DEP_1) | instskip(NEXT) | instid1(VALU_DEP_1)
	v_subrev_nc_u32_e32 v12, 29, v9
	v_dual_lshlrev_b32 v3, v12, v3 :: v_dual_sub_nc_u32 v9, 30, v9
	s_delay_alu instid0(VALU_DEP_1) | instskip(NEXT) | instid1(VALU_DEP_1)
	v_dual_lshlrev_b32 v5, 24, v5 :: v_dual_bitop2_b32 v3, 3, v3 bitop3:0x40
	v_dual_cndmask_b32 v3, v7, v3, vcc_lo :: v_dual_cndmask_b32 v9, v13, v9, vcc_lo
	s_delay_alu instid0(VALU_DEP_2) | instskip(NEXT) | instid1(VALU_DEP_2)
	v_and_b32_e32 v5, 0x80000000, v5
	v_lshlrev_b32_e32 v3, 21, v3
	s_delay_alu instid0(VALU_DEP_3) | instskip(NEXT) | instid1(VALU_DEP_1)
	v_lshl_add_u32 v7, v9, 23, 0x37800000
	v_or3_b32 v3, v5, v7, v3
	s_delay_alu instid0(VALU_DEP_1)
	v_cvt_i32_f32_e32 v3, v3
.LBB86_4516:
	s_or_b32 exec_lo, exec_lo, s1
	s_mov_b32 s1, 0
	s_branch .LBB86_4522
.LBB86_4517:
	s_mov_b32 s1, -1
                                        ; implicit-def: $vgpr3
	s_branch .LBB86_4528
.LBB86_4518:
	s_and_not1_saveexec_b32 s5, s5
	s_cbranch_execz .LBB86_4503
.LBB86_4519:
	v_cmp_ne_u16_e32 vcc_lo, 0, v5
	s_and_not1_b32 s22, s22, exec_lo
	s_and_b32 s23, vcc_lo, exec_lo
	s_delay_alu instid0(SALU_CYCLE_1)
	s_or_b32 s22, s22, s23
	s_or_b32 exec_lo, exec_lo, s5
	v_mov_b32_e32 v3, 0
	s_and_saveexec_b32 s5, s22
	s_cbranch_execnz .LBB86_4504
	s_branch .LBB86_4505
.LBB86_4520:
	s_mov_b32 s1, -1
                                        ; implicit-def: $vgpr3
	s_branch .LBB86_4525
.LBB86_4521:
	s_mov_b32 s1, -1
                                        ; implicit-def: $vgpr3
.LBB86_4522:
	s_delay_alu instid0(SALU_CYCLE_1)
	s_and_b32 vcc_lo, exec_lo, s1
	s_cbranch_vccz .LBB86_4524
; %bb.4523:
	s_wait_loadcnt 0x0
	global_load_u8 v3, v[10:11], off
	s_wait_loadcnt 0x0
	v_lshlrev_b32_e32 v3, 24, v3
	s_delay_alu instid0(VALU_DEP_1) | instskip(NEXT) | instid1(VALU_DEP_1)
	v_and_b32_e32 v5, 0x7f000000, v3
	v_clz_i32_u32_e32 v7, v5
	v_cmp_ne_u32_e32 vcc_lo, 0, v5
	v_add_nc_u32_e32 v12, 0x1000000, v5
	s_delay_alu instid0(VALU_DEP_3) | instskip(NEXT) | instid1(VALU_DEP_1)
	v_min_u32_e32 v7, 32, v7
	v_sub_nc_u32_e64 v7, v7, 4 clamp
	s_delay_alu instid0(VALU_DEP_1) | instskip(NEXT) | instid1(VALU_DEP_1)
	v_dual_lshlrev_b32 v9, v7, v5 :: v_dual_lshlrev_b32 v7, 23, v7
	v_lshrrev_b32_e32 v9, 4, v9
	s_delay_alu instid0(VALU_DEP_1) | instskip(NEXT) | instid1(VALU_DEP_1)
	v_dual_sub_nc_u32 v7, v9, v7 :: v_dual_ashrrev_i32 v9, 8, v12
	v_add_nc_u32_e32 v7, 0x3c000000, v7
	s_delay_alu instid0(VALU_DEP_1) | instskip(NEXT) | instid1(VALU_DEP_1)
	v_and_or_b32 v7, 0x7f800000, v9, v7
	v_cndmask_b32_e32 v5, 0, v7, vcc_lo
	s_delay_alu instid0(VALU_DEP_1) | instskip(NEXT) | instid1(VALU_DEP_1)
	v_and_or_b32 v3, 0x80000000, v3, v5
	v_cvt_i32_f32_e32 v3, v3
.LBB86_4524:
	s_mov_b32 s1, 0
.LBB86_4525:
	s_delay_alu instid0(SALU_CYCLE_1)
	s_and_not1_b32 vcc_lo, exec_lo, s1
	s_cbranch_vccnz .LBB86_4527
; %bb.4526:
	s_wait_loadcnt 0x0
	global_load_u8 v3, v[10:11], off
	s_wait_loadcnt 0x0
	v_lshlrev_b32_e32 v5, 25, v3
	v_lshlrev_b16 v3, 8, v3
	s_delay_alu instid0(VALU_DEP_1) | instskip(SKIP_1) | instid1(VALU_DEP_2)
	v_and_or_b32 v9, 0x7f00, v3, 0.5
	v_bfe_i32 v3, v3, 0, 16
	v_add_f32_e32 v9, -0.5, v9
	v_lshrrev_b32_e32 v7, 4, v5
	v_cmp_gt_u32_e32 vcc_lo, 0x8000000, v5
	s_delay_alu instid0(VALU_DEP_2) | instskip(NEXT) | instid1(VALU_DEP_1)
	v_or_b32_e32 v7, 0x70000000, v7
	v_mul_f32_e32 v7, 0x7800000, v7
	s_delay_alu instid0(VALU_DEP_1) | instskip(NEXT) | instid1(VALU_DEP_1)
	v_cndmask_b32_e32 v5, v7, v9, vcc_lo
	v_and_or_b32 v3, 0x80000000, v3, v5
	s_delay_alu instid0(VALU_DEP_1)
	v_cvt_i32_f32_e32 v3, v3
.LBB86_4527:
	s_mov_b32 s1, 0
	s_mov_b32 s5, -1
.LBB86_4528:
	s_and_not1_b32 vcc_lo, exec_lo, s1
	s_mov_b32 s1, 0
	s_cbranch_vccnz .LBB86_4539
; %bb.4529:
	s_cmp_gt_i32 s57, 14
	s_cbranch_scc0 .LBB86_4532
; %bb.4530:
	s_cmp_eq_u32 s57, 15
	s_cbranch_scc0 .LBB86_4535
; %bb.4531:
	s_wait_loadcnt 0x0
	global_load_u16 v3, v[10:11], off
	s_mov_b32 s0, 0
	s_mov_b32 s5, -1
	s_wait_loadcnt 0x0
	v_lshlrev_b32_e32 v3, 16, v3
	s_delay_alu instid0(VALU_DEP_1)
	v_cvt_i32_f32_e32 v3, v3
	s_branch .LBB86_4537
.LBB86_4532:
	s_mov_b32 s1, -1
	s_branch .LBB86_4536
.LBB86_4533:
	s_and_not1_saveexec_b32 s1, s1
	s_cbranch_execz .LBB86_4514
.LBB86_4534:
	v_cmp_ne_u16_e32 vcc_lo, 0, v5
	s_and_not1_b32 s5, s5, exec_lo
	s_and_b32 s22, vcc_lo, exec_lo
	s_delay_alu instid0(SALU_CYCLE_1)
	s_or_b32 s5, s5, s22
	s_or_b32 exec_lo, exec_lo, s1
	v_mov_b32_e32 v3, 0
	s_and_saveexec_b32 s1, s5
	s_cbranch_execnz .LBB86_4515
	s_branch .LBB86_4516
.LBB86_4535:
	s_mov_b32 s0, -1
.LBB86_4536:
                                        ; implicit-def: $vgpr3
.LBB86_4537:
	s_and_b32 vcc_lo, exec_lo, s1
	s_mov_b32 s1, 0
	s_cbranch_vccz .LBB86_4539
; %bb.4538:
	s_cmp_lg_u32 s57, 11
	s_mov_b32 s1, -1
	s_cselect_b32 s0, -1, 0
.LBB86_4539:
	s_delay_alu instid0(SALU_CYCLE_1)
	s_and_b32 vcc_lo, exec_lo, s0
	s_cbranch_vccnz .LBB86_4604
; %bb.4540:
	s_and_not1_b32 vcc_lo, exec_lo, s1
	s_cbranch_vccnz .LBB86_4542
.LBB86_4541:
	s_wait_loadcnt 0x0
	global_load_u8 v3, v[10:11], off
	s_mov_b32 s5, -1
	s_wait_loadcnt 0x0
	v_cmp_ne_u16_e32 vcc_lo, 0, v3
	v_cndmask_b32_e64 v3, 0, 1, vcc_lo
.LBB86_4542:
	s_mov_b32 s0, 0
.LBB86_4543:
	s_delay_alu instid0(SALU_CYCLE_1)
	s_and_b32 vcc_lo, exec_lo, s0
	s_cbranch_vccz .LBB86_4592
; %bb.4544:
	s_cmp_lt_i32 s57, 5
	s_cbranch_scc1 .LBB86_4549
; %bb.4545:
	s_cmp_lt_i32 s57, 8
	s_cbranch_scc1 .LBB86_4550
	;; [unrolled: 3-line block ×3, first 2 shown]
; %bb.4547:
	s_cmp_gt_i32 s57, 9
	s_cbranch_scc0 .LBB86_4552
; %bb.4548:
	global_load_b64 v[12:13], v[10:11], off
	s_mov_b32 s0, 0
	s_wait_loadcnt 0x0
	v_cvt_i32_f64_e32 v3, v[12:13]
	s_branch .LBB86_4553
.LBB86_4549:
	s_mov_b32 s0, -1
                                        ; implicit-def: $vgpr3
	s_branch .LBB86_4571
.LBB86_4550:
	s_mov_b32 s0, -1
                                        ; implicit-def: $vgpr3
	s_branch .LBB86_4559
.LBB86_4551:
	s_mov_b32 s0, -1
                                        ; implicit-def: $vgpr3
	s_branch .LBB86_4556
.LBB86_4552:
	s_mov_b32 s0, -1
                                        ; implicit-def: $vgpr3
.LBB86_4553:
	s_delay_alu instid0(SALU_CYCLE_1)
	s_and_not1_b32 vcc_lo, exec_lo, s0
	s_cbranch_vccnz .LBB86_4555
; %bb.4554:
	s_wait_loadcnt 0x0
	global_load_b32 v3, v[10:11], off
	s_wait_loadcnt 0x0
	v_cvt_i32_f32_e32 v3, v3
.LBB86_4555:
	s_mov_b32 s0, 0
.LBB86_4556:
	s_delay_alu instid0(SALU_CYCLE_1)
	s_and_not1_b32 vcc_lo, exec_lo, s0
	s_cbranch_vccnz .LBB86_4558
; %bb.4557:
	s_wait_loadcnt 0x0
	global_load_b32 v3, v[10:11], off
	s_wait_loadcnt 0x0
	v_cvt_f32_f16_e32 v3, v3
	s_delay_alu instid0(VALU_DEP_1)
	v_cvt_i32_f32_e32 v3, v3
.LBB86_4558:
	s_mov_b32 s0, 0
.LBB86_4559:
	s_delay_alu instid0(SALU_CYCLE_1)
	s_and_not1_b32 vcc_lo, exec_lo, s0
	s_cbranch_vccnz .LBB86_4570
; %bb.4560:
	s_cmp_lt_i32 s57, 6
	s_cbranch_scc1 .LBB86_4563
; %bb.4561:
	s_cmp_gt_i32 s57, 6
	s_cbranch_scc0 .LBB86_4564
; %bb.4562:
	global_load_b64 v[12:13], v[10:11], off
	s_mov_b32 s0, 0
	s_wait_loadcnt 0x0
	v_cvt_i32_f64_e32 v3, v[12:13]
	s_branch .LBB86_4565
.LBB86_4563:
	s_mov_b32 s0, -1
                                        ; implicit-def: $vgpr3
	s_branch .LBB86_4568
.LBB86_4564:
	s_mov_b32 s0, -1
                                        ; implicit-def: $vgpr3
.LBB86_4565:
	s_delay_alu instid0(SALU_CYCLE_1)
	s_and_not1_b32 vcc_lo, exec_lo, s0
	s_cbranch_vccnz .LBB86_4567
; %bb.4566:
	s_wait_loadcnt 0x0
	global_load_b32 v3, v[10:11], off
	s_wait_loadcnt 0x0
	v_cvt_i32_f32_e32 v3, v3
.LBB86_4567:
	s_mov_b32 s0, 0
.LBB86_4568:
	s_delay_alu instid0(SALU_CYCLE_1)
	s_and_not1_b32 vcc_lo, exec_lo, s0
	s_cbranch_vccnz .LBB86_4570
; %bb.4569:
	s_wait_loadcnt 0x0
	global_load_u16 v3, v[10:11], off
	s_wait_loadcnt 0x0
	v_cvt_f32_f16_e32 v3, v3
	s_delay_alu instid0(VALU_DEP_1)
	v_cvt_i32_f32_e32 v3, v3
.LBB86_4570:
	s_mov_b32 s0, 0
.LBB86_4571:
	s_delay_alu instid0(SALU_CYCLE_1)
	s_and_not1_b32 vcc_lo, exec_lo, s0
	s_cbranch_vccnz .LBB86_4591
; %bb.4572:
	s_cmp_lt_i32 s57, 2
	s_cbranch_scc1 .LBB86_4576
; %bb.4573:
	s_cmp_lt_i32 s57, 3
	s_cbranch_scc1 .LBB86_4577
; %bb.4574:
	s_cmp_gt_i32 s57, 3
	s_cbranch_scc0 .LBB86_4578
; %bb.4575:
	s_wait_loadcnt 0x0
	global_load_b32 v3, v[10:11], off
	s_mov_b32 s0, 0
	s_branch .LBB86_4579
.LBB86_4576:
	s_mov_b32 s0, -1
                                        ; implicit-def: $vgpr3
	s_branch .LBB86_4585
.LBB86_4577:
	s_mov_b32 s0, -1
                                        ; implicit-def: $vgpr3
	s_branch .LBB86_4582
.LBB86_4578:
	s_mov_b32 s0, -1
                                        ; implicit-def: $vgpr3
.LBB86_4579:
	s_delay_alu instid0(SALU_CYCLE_1)
	s_and_not1_b32 vcc_lo, exec_lo, s0
	s_cbranch_vccnz .LBB86_4581
; %bb.4580:
	s_wait_loadcnt 0x0
	global_load_b32 v3, v[10:11], off
.LBB86_4581:
	s_mov_b32 s0, 0
.LBB86_4582:
	s_delay_alu instid0(SALU_CYCLE_1)
	s_and_not1_b32 vcc_lo, exec_lo, s0
	s_cbranch_vccnz .LBB86_4584
; %bb.4583:
	s_wait_loadcnt 0x0
	global_load_i16 v3, v[10:11], off
.LBB86_4584:
	s_mov_b32 s0, 0
.LBB86_4585:
	s_delay_alu instid0(SALU_CYCLE_1)
	s_and_not1_b32 vcc_lo, exec_lo, s0
	s_cbranch_vccnz .LBB86_4591
; %bb.4586:
	s_cmp_gt_i32 s57, 0
	s_mov_b32 s0, 0
	s_cbranch_scc0 .LBB86_4588
; %bb.4587:
	s_wait_loadcnt 0x0
	global_load_i8 v3, v[10:11], off
	s_branch .LBB86_4589
.LBB86_4588:
	s_mov_b32 s0, -1
                                        ; implicit-def: $vgpr3
.LBB86_4589:
	s_delay_alu instid0(SALU_CYCLE_1)
	s_and_not1_b32 vcc_lo, exec_lo, s0
	s_cbranch_vccnz .LBB86_4591
; %bb.4590:
	s_wait_loadcnt 0x0
	global_load_u8 v3, v[10:11], off
.LBB86_4591:
	s_mov_b32 s5, -1
.LBB86_4592:
	s_delay_alu instid0(SALU_CYCLE_1)
	s_and_not1_b32 vcc_lo, exec_lo, s5
	s_cbranch_vccnz .LBB86_4984
; %bb.4593:
	s_lshl_b32 s70, s62, 7
	s_cmp_lt_i32 s58, 11
	v_add_nc_u32_e32 v4, s70, v4
	s_delay_alu instid0(VALU_DEP_1) | instskip(NEXT) | instid1(VALU_DEP_1)
	v_ashrrev_i32_e32 v5, 31, v4
	v_add_nc_u64_e32 v[12:13], s[12:13], v[4:5]
	s_cbranch_scc1 .LBB86_4600
; %bb.4594:
	s_cmp_gt_i32 s58, 25
	s_mov_b32 s1, 0
	s_cbranch_scc0 .LBB86_4601
; %bb.4595:
	s_cmp_gt_i32 s58, 28
	s_cbranch_scc0 .LBB86_4602
; %bb.4596:
	s_cmp_gt_i32 s58, 43
	;; [unrolled: 3-line block ×3, first 2 shown]
	s_cbranch_scc0 .LBB86_4605
; %bb.4598:
	s_cmp_eq_u32 s58, 46
	s_mov_b32 s22, 0
	s_cbranch_scc0 .LBB86_4607
; %bb.4599:
	global_load_b32 v5, v[12:13], off
	s_mov_b32 s0, 0
	s_mov_b32 s5, -1
	s_wait_loadcnt 0x0
	v_lshlrev_b32_e32 v5, 16, v5
	s_wait_xcnt 0x1
	s_delay_alu instid0(VALU_DEP_1)
	v_cvt_i32_f32_e32 v10, v5
	s_branch .LBB86_4609
.LBB86_4600:
	s_mov_b32 s0, -1
	s_mov_b32 s5, 0
                                        ; implicit-def: $vgpr10
	s_branch .LBB86_4671
.LBB86_4601:
	s_mov_b32 s22, -1
	s_mov_b32 s5, 0
	s_mov_b32 s0, 0
                                        ; implicit-def: $vgpr10
	s_branch .LBB86_4636
.LBB86_4602:
	s_mov_b32 s22, -1
	s_mov_b32 s5, 0
	s_mov_b32 s0, 0
                                        ; implicit-def: $vgpr10
	s_branch .LBB86_4619
.LBB86_4603:
	s_mov_b32 s22, -1
	s_mov_b32 s5, 0
	s_mov_b32 s0, 0
                                        ; implicit-def: $vgpr10
	s_branch .LBB86_4614
.LBB86_4604:
	s_or_b32 s55, s55, exec_lo
	s_trap 2
	s_cbranch_execz .LBB86_4541
	s_branch .LBB86_4542
.LBB86_4605:
	s_mov_b32 s22, -1
	s_mov_b32 s5, 0
	s_mov_b32 s0, 0
	s_branch .LBB86_4608
.LBB86_4606:
	s_or_b32 s49, s45, exec_lo
	s_trap 2
                                        ; implicit-def: $vgpr0
                                        ; implicit-def: $vgpr2
                                        ; implicit-def: $vgpr4
                                        ; implicit-def: $vgpr10
                                        ; implicit-def: $vgpr6
                                        ; implicit-def: $vgpr12
                                        ; implicit-def: $vgpr8
                                        ; implicit-def: $vgpr16
                                        ; implicit-def: $vgpr25
                                        ; implicit-def: $vgpr22
                                        ; implicit-def: $vgpr23
                                        ; implicit-def: $vgpr24
	s_or_saveexec_b32 s50, s0
                                        ; implicit-def: $vgpr14_vgpr15
                                        ; implicit-def: $sgpr0
	s_delay_alu instid0(SALU_CYCLE_1)
	s_xor_b32 exec_lo, exec_lo, s50
	s_cbranch_execz .LBB86_4988
	s_branch .LBB86_4314
.LBB86_4607:
	s_mov_b32 s0, -1
	s_mov_b32 s5, 0
.LBB86_4608:
                                        ; implicit-def: $vgpr10
.LBB86_4609:
	s_and_b32 vcc_lo, exec_lo, s22
	s_cbranch_vccz .LBB86_4613
; %bb.4610:
	s_cmp_eq_u32 s58, 44
	s_cbranch_scc0 .LBB86_4612
; %bb.4611:
	global_load_u8 v5, v[12:13], off
	s_mov_b32 s0, 0
	s_mov_b32 s5, -1
	s_wait_loadcnt 0x0
	v_lshlrev_b32_e32 v7, 23, v5
	v_cmp_ne_u32_e32 vcc_lo, 0, v5
	s_delay_alu instid0(VALU_DEP_2) | instskip(SKIP_1) | instid1(VALU_DEP_1)
	v_cvt_i32_f32_e32 v7, v7
	s_wait_xcnt 0x1
	v_cndmask_b32_e32 v10, 0, v7, vcc_lo
	s_branch .LBB86_4613
.LBB86_4612:
	s_mov_b32 s0, -1
                                        ; implicit-def: $vgpr10
.LBB86_4613:
	s_mov_b32 s22, 0
.LBB86_4614:
	s_delay_alu instid0(SALU_CYCLE_1)
	s_and_b32 vcc_lo, exec_lo, s22
	s_cbranch_vccz .LBB86_4618
; %bb.4615:
	s_cmp_eq_u32 s58, 29
	s_cbranch_scc0 .LBB86_4617
; %bb.4616:
	global_load_b32 v10, v[12:13], off
	s_mov_b32 s0, 0
	s_mov_b32 s5, -1
	s_branch .LBB86_4618
.LBB86_4617:
	s_mov_b32 s0, -1
                                        ; implicit-def: $vgpr10
.LBB86_4618:
	s_mov_b32 s22, 0
.LBB86_4619:
	s_delay_alu instid0(SALU_CYCLE_1)
	s_and_b32 vcc_lo, exec_lo, s22
	s_cbranch_vccz .LBB86_4635
; %bb.4620:
	s_cmp_lt_i32 s58, 27
	s_cbranch_scc1 .LBB86_4623
; %bb.4621:
	s_cmp_gt_i32 s58, 27
	s_cbranch_scc0 .LBB86_4624
; %bb.4622:
	s_wait_loadcnt 0x0
	global_load_b32 v10, v[12:13], off
	s_mov_b32 s5, 0
	s_branch .LBB86_4625
.LBB86_4623:
	s_mov_b32 s5, -1
                                        ; implicit-def: $vgpr10
	s_branch .LBB86_4628
.LBB86_4624:
	s_mov_b32 s5, -1
                                        ; implicit-def: $vgpr10
.LBB86_4625:
	s_delay_alu instid0(SALU_CYCLE_1)
	s_and_not1_b32 vcc_lo, exec_lo, s5
	s_cbranch_vccnz .LBB86_4627
; %bb.4626:
	s_wait_loadcnt 0x0
	global_load_u16 v10, v[12:13], off
.LBB86_4627:
	s_mov_b32 s5, 0
.LBB86_4628:
	s_delay_alu instid0(SALU_CYCLE_1)
	s_and_not1_b32 vcc_lo, exec_lo, s5
	s_cbranch_vccnz .LBB86_4634
; %bb.4629:
	global_load_u8 v5, v[12:13], off
	s_mov_b32 s22, 0
	s_mov_b32 s5, exec_lo
	s_wait_loadcnt 0x0
	v_cmpx_lt_i16_e32 0x7f, v5
	s_xor_b32 s5, exec_lo, s5
	s_cbranch_execz .LBB86_4646
; %bb.4630:
	v_cmp_ne_u16_e32 vcc_lo, 0x80, v5
	s_and_b32 s22, vcc_lo, exec_lo
	s_and_not1_saveexec_b32 s5, s5
	s_cbranch_execnz .LBB86_4647
.LBB86_4631:
	s_or_b32 exec_lo, exec_lo, s5
	v_mov_b32_e32 v10, 0
	s_and_saveexec_b32 s5, s22
	s_cbranch_execz .LBB86_4633
.LBB86_4632:
	v_and_b32_e32 v7, 0xffff, v5
	s_delay_alu instid0(VALU_DEP_1) | instskip(SKIP_1) | instid1(VALU_DEP_2)
	v_and_b32_e32 v9, 7, v7
	v_bfe_u32 v14, v7, 3, 4
	v_clz_i32_u32_e32 v10, v9
	s_delay_alu instid0(VALU_DEP_2) | instskip(NEXT) | instid1(VALU_DEP_2)
	v_cmp_eq_u32_e32 vcc_lo, 0, v14
	v_min_u32_e32 v10, 32, v10
	s_delay_alu instid0(VALU_DEP_1) | instskip(NEXT) | instid1(VALU_DEP_1)
	v_subrev_nc_u32_e32 v11, 28, v10
	v_dual_lshlrev_b32 v7, v11, v7 :: v_dual_sub_nc_u32 v10, 29, v10
	s_delay_alu instid0(VALU_DEP_1) | instskip(NEXT) | instid1(VALU_DEP_1)
	v_dual_lshlrev_b32 v5, 24, v5 :: v_dual_bitop2_b32 v7, 7, v7 bitop3:0x40
	v_dual_cndmask_b32 v10, v14, v10 :: v_dual_cndmask_b32 v7, v9, v7
	s_delay_alu instid0(VALU_DEP_2) | instskip(NEXT) | instid1(VALU_DEP_2)
	v_and_b32_e32 v5, 0x80000000, v5
	v_lshl_add_u32 v9, v10, 23, 0x3b800000
	s_delay_alu instid0(VALU_DEP_3) | instskip(NEXT) | instid1(VALU_DEP_1)
	v_lshlrev_b32_e32 v7, 20, v7
	v_or3_b32 v5, v5, v9, v7
	s_delay_alu instid0(VALU_DEP_1)
	v_cvt_i32_f32_e32 v10, v5
.LBB86_4633:
	s_or_b32 exec_lo, exec_lo, s5
.LBB86_4634:
	s_mov_b32 s5, -1
.LBB86_4635:
	s_mov_b32 s22, 0
.LBB86_4636:
	s_delay_alu instid0(SALU_CYCLE_1)
	s_and_b32 vcc_lo, exec_lo, s22
	s_cbranch_vccz .LBB86_4667
; %bb.4637:
	s_cmp_gt_i32 s58, 22
	s_cbranch_scc0 .LBB86_4645
; %bb.4638:
	s_cmp_lt_i32 s58, 24
	s_cbranch_scc1 .LBB86_4648
; %bb.4639:
	s_cmp_gt_i32 s58, 24
	s_cbranch_scc0 .LBB86_4649
; %bb.4640:
	global_load_u8 v5, v[12:13], off
	s_mov_b32 s5, 0
	s_mov_b32 s1, exec_lo
	s_wait_loadcnt 0x0
	v_cmpx_lt_i16_e32 0x7f, v5
	s_xor_b32 s1, exec_lo, s1
	s_cbranch_execz .LBB86_4661
; %bb.4641:
	v_cmp_ne_u16_e32 vcc_lo, 0x80, v5
	s_and_b32 s5, vcc_lo, exec_lo
	s_and_not1_saveexec_b32 s1, s1
	s_cbranch_execnz .LBB86_4662
.LBB86_4642:
	s_or_b32 exec_lo, exec_lo, s1
	v_mov_b32_e32 v10, 0
	s_and_saveexec_b32 s1, s5
	s_cbranch_execz .LBB86_4644
.LBB86_4643:
	v_and_b32_e32 v7, 0xffff, v5
	s_delay_alu instid0(VALU_DEP_1) | instskip(SKIP_1) | instid1(VALU_DEP_2)
	v_and_b32_e32 v9, 3, v7
	v_bfe_u32 v14, v7, 2, 5
	v_clz_i32_u32_e32 v10, v9
	s_delay_alu instid0(VALU_DEP_2) | instskip(NEXT) | instid1(VALU_DEP_2)
	v_cmp_eq_u32_e32 vcc_lo, 0, v14
	v_min_u32_e32 v10, 32, v10
	s_delay_alu instid0(VALU_DEP_1) | instskip(NEXT) | instid1(VALU_DEP_1)
	v_subrev_nc_u32_e32 v11, 29, v10
	v_dual_lshlrev_b32 v7, v11, v7 :: v_dual_sub_nc_u32 v10, 30, v10
	s_delay_alu instid0(VALU_DEP_1) | instskip(NEXT) | instid1(VALU_DEP_1)
	v_dual_lshlrev_b32 v5, 24, v5 :: v_dual_bitop2_b32 v7, 3, v7 bitop3:0x40
	v_dual_cndmask_b32 v10, v14, v10 :: v_dual_cndmask_b32 v7, v9, v7
	s_delay_alu instid0(VALU_DEP_2) | instskip(NEXT) | instid1(VALU_DEP_2)
	v_and_b32_e32 v5, 0x80000000, v5
	v_lshl_add_u32 v9, v10, 23, 0x37800000
	s_delay_alu instid0(VALU_DEP_3) | instskip(NEXT) | instid1(VALU_DEP_1)
	v_lshlrev_b32_e32 v7, 21, v7
	v_or3_b32 v5, v5, v9, v7
	s_delay_alu instid0(VALU_DEP_1)
	v_cvt_i32_f32_e32 v10, v5
.LBB86_4644:
	s_or_b32 exec_lo, exec_lo, s1
	s_mov_b32 s1, 0
	s_branch .LBB86_4650
.LBB86_4645:
	s_mov_b32 s1, -1
                                        ; implicit-def: $vgpr10
	s_branch .LBB86_4656
.LBB86_4646:
	s_and_not1_saveexec_b32 s5, s5
	s_cbranch_execz .LBB86_4631
.LBB86_4647:
	v_cmp_ne_u16_e32 vcc_lo, 0, v5
	s_and_not1_b32 s22, s22, exec_lo
	s_and_b32 s23, vcc_lo, exec_lo
	s_delay_alu instid0(SALU_CYCLE_1)
	s_or_b32 s22, s22, s23
	s_or_b32 exec_lo, exec_lo, s5
	v_mov_b32_e32 v10, 0
	s_and_saveexec_b32 s5, s22
	s_cbranch_execnz .LBB86_4632
	s_branch .LBB86_4633
.LBB86_4648:
	s_mov_b32 s1, -1
                                        ; implicit-def: $vgpr10
	s_branch .LBB86_4653
.LBB86_4649:
	s_mov_b32 s1, -1
                                        ; implicit-def: $vgpr10
.LBB86_4650:
	s_delay_alu instid0(SALU_CYCLE_1)
	s_and_b32 vcc_lo, exec_lo, s1
	s_cbranch_vccz .LBB86_4652
; %bb.4651:
	global_load_u8 v5, v[12:13], off
	s_wait_loadcnt 0x0
	v_lshlrev_b32_e32 v5, 24, v5
	s_delay_alu instid0(VALU_DEP_1) | instskip(NEXT) | instid1(VALU_DEP_1)
	v_and_b32_e32 v7, 0x7f000000, v5
	v_clz_i32_u32_e32 v9, v7
	s_wait_xcnt 0x1
	v_add_nc_u32_e32 v11, 0x1000000, v7
	v_cmp_ne_u32_e32 vcc_lo, 0, v7
	s_delay_alu instid0(VALU_DEP_3) | instskip(NEXT) | instid1(VALU_DEP_1)
	v_min_u32_e32 v9, 32, v9
	v_sub_nc_u32_e64 v9, v9, 4 clamp
	s_delay_alu instid0(VALU_DEP_1) | instskip(NEXT) | instid1(VALU_DEP_1)
	v_dual_lshlrev_b32 v10, v9, v7 :: v_dual_lshlrev_b32 v9, 23, v9
	v_lshrrev_b32_e32 v10, 4, v10
	s_delay_alu instid0(VALU_DEP_1) | instskip(NEXT) | instid1(VALU_DEP_1)
	v_dual_sub_nc_u32 v9, v10, v9 :: v_dual_ashrrev_i32 v10, 8, v11
	v_add_nc_u32_e32 v9, 0x3c000000, v9
	s_delay_alu instid0(VALU_DEP_1) | instskip(NEXT) | instid1(VALU_DEP_1)
	v_and_or_b32 v9, 0x7f800000, v10, v9
	v_cndmask_b32_e32 v7, 0, v9, vcc_lo
	s_delay_alu instid0(VALU_DEP_1) | instskip(NEXT) | instid1(VALU_DEP_1)
	v_and_or_b32 v5, 0x80000000, v5, v7
	v_cvt_i32_f32_e32 v10, v5
.LBB86_4652:
	s_mov_b32 s1, 0
.LBB86_4653:
	s_delay_alu instid0(SALU_CYCLE_1)
	s_and_not1_b32 vcc_lo, exec_lo, s1
	s_cbranch_vccnz .LBB86_4655
; %bb.4654:
	global_load_u8 v5, v[12:13], off
	s_wait_loadcnt 0x0
	v_lshlrev_b32_e32 v7, 25, v5
	v_lshlrev_b16 v5, 8, v5
	s_wait_xcnt 0x1
	s_delay_alu instid0(VALU_DEP_1) | instskip(SKIP_1) | instid1(VALU_DEP_2)
	v_and_or_b32 v10, 0x7f00, v5, 0.5
	v_bfe_i32 v5, v5, 0, 16
	v_dual_add_f32 v10, -0.5, v10 :: v_dual_lshrrev_b32 v9, 4, v7
	v_cmp_gt_u32_e32 vcc_lo, 0x8000000, v7
	s_delay_alu instid0(VALU_DEP_2) | instskip(NEXT) | instid1(VALU_DEP_1)
	v_or_b32_e32 v9, 0x70000000, v9
	v_mul_f32_e32 v9, 0x7800000, v9
	s_delay_alu instid0(VALU_DEP_1) | instskip(NEXT) | instid1(VALU_DEP_1)
	v_cndmask_b32_e32 v7, v9, v10, vcc_lo
	v_and_or_b32 v5, 0x80000000, v5, v7
	s_delay_alu instid0(VALU_DEP_1)
	v_cvt_i32_f32_e32 v10, v5
.LBB86_4655:
	s_mov_b32 s1, 0
	s_mov_b32 s5, -1
.LBB86_4656:
	s_and_not1_b32 vcc_lo, exec_lo, s1
	s_mov_b32 s1, 0
	s_cbranch_vccnz .LBB86_4667
; %bb.4657:
	s_cmp_gt_i32 s58, 14
	s_cbranch_scc0 .LBB86_4660
; %bb.4658:
	s_cmp_eq_u32 s58, 15
	s_cbranch_scc0 .LBB86_4663
; %bb.4659:
	global_load_u16 v5, v[12:13], off
	s_mov_b32 s0, 0
	s_mov_b32 s5, -1
	s_wait_loadcnt 0x0
	v_lshlrev_b32_e32 v5, 16, v5
	s_wait_xcnt 0x1
	s_delay_alu instid0(VALU_DEP_1)
	v_cvt_i32_f32_e32 v10, v5
	s_branch .LBB86_4665
.LBB86_4660:
	s_mov_b32 s1, -1
	s_branch .LBB86_4664
.LBB86_4661:
	s_and_not1_saveexec_b32 s1, s1
	s_cbranch_execz .LBB86_4642
.LBB86_4662:
	v_cmp_ne_u16_e32 vcc_lo, 0, v5
	s_and_not1_b32 s5, s5, exec_lo
	s_and_b32 s22, vcc_lo, exec_lo
	s_delay_alu instid0(SALU_CYCLE_1)
	s_or_b32 s5, s5, s22
	s_or_b32 exec_lo, exec_lo, s1
	v_mov_b32_e32 v10, 0
	s_and_saveexec_b32 s1, s5
	s_cbranch_execnz .LBB86_4643
	s_branch .LBB86_4644
.LBB86_4663:
	s_mov_b32 s0, -1
.LBB86_4664:
                                        ; implicit-def: $vgpr10
.LBB86_4665:
	s_and_b32 vcc_lo, exec_lo, s1
	s_mov_b32 s1, 0
	s_cbranch_vccz .LBB86_4667
; %bb.4666:
	s_cmp_lg_u32 s58, 11
	s_mov_b32 s1, -1
	s_cselect_b32 s0, -1, 0
.LBB86_4667:
	s_delay_alu instid0(SALU_CYCLE_1)
	s_and_b32 vcc_lo, exec_lo, s0
	s_cbranch_vccnz .LBB86_4732
; %bb.4668:
	s_and_not1_b32 vcc_lo, exec_lo, s1
	s_cbranch_vccnz .LBB86_4670
.LBB86_4669:
	global_load_u8 v5, v[12:13], off
	s_mov_b32 s5, -1
	s_wait_loadcnt 0x0
	v_cmp_ne_u16_e32 vcc_lo, 0, v5
	s_wait_xcnt 0x1
	v_cndmask_b32_e64 v10, 0, 1, vcc_lo
.LBB86_4670:
	s_mov_b32 s0, 0
.LBB86_4671:
	s_delay_alu instid0(SALU_CYCLE_1)
	s_and_b32 vcc_lo, exec_lo, s0
	s_cbranch_vccz .LBB86_4720
; %bb.4672:
	s_cmp_lt_i32 s58, 5
	s_cbranch_scc1 .LBB86_4677
; %bb.4673:
	s_cmp_lt_i32 s58, 8
	s_cbranch_scc1 .LBB86_4678
	;; [unrolled: 3-line block ×3, first 2 shown]
; %bb.4675:
	s_cmp_gt_i32 s58, 9
	s_cbranch_scc0 .LBB86_4680
; %bb.4676:
	s_wait_loadcnt 0x0
	global_load_b64 v[10:11], v[12:13], off
	s_mov_b32 s0, 0
	s_wait_loadcnt 0x0
	v_cvt_i32_f64_e32 v10, v[10:11]
	s_branch .LBB86_4681
.LBB86_4677:
	s_mov_b32 s0, -1
                                        ; implicit-def: $vgpr10
	s_branch .LBB86_4699
.LBB86_4678:
	s_mov_b32 s0, -1
                                        ; implicit-def: $vgpr10
	s_branch .LBB86_4687
.LBB86_4679:
	s_mov_b32 s0, -1
                                        ; implicit-def: $vgpr10
	s_branch .LBB86_4684
.LBB86_4680:
	s_mov_b32 s0, -1
                                        ; implicit-def: $vgpr10
.LBB86_4681:
	s_delay_alu instid0(SALU_CYCLE_1)
	s_and_not1_b32 vcc_lo, exec_lo, s0
	s_cbranch_vccnz .LBB86_4683
; %bb.4682:
	global_load_b32 v5, v[12:13], off
	s_wait_loadcnt 0x0
	s_wait_xcnt 0x1
	v_cvt_i32_f32_e32 v10, v5
.LBB86_4683:
	s_mov_b32 s0, 0
.LBB86_4684:
	s_delay_alu instid0(SALU_CYCLE_1)
	s_and_not1_b32 vcc_lo, exec_lo, s0
	s_cbranch_vccnz .LBB86_4686
; %bb.4685:
	global_load_b32 v5, v[12:13], off
	s_wait_loadcnt 0x0
	v_cvt_f32_f16_e32 v5, v5
	s_wait_xcnt 0x1
	s_delay_alu instid0(VALU_DEP_1)
	v_cvt_i32_f32_e32 v10, v5
.LBB86_4686:
	s_mov_b32 s0, 0
.LBB86_4687:
	s_delay_alu instid0(SALU_CYCLE_1)
	s_and_not1_b32 vcc_lo, exec_lo, s0
	s_cbranch_vccnz .LBB86_4698
; %bb.4688:
	s_cmp_lt_i32 s58, 6
	s_cbranch_scc1 .LBB86_4691
; %bb.4689:
	s_cmp_gt_i32 s58, 6
	s_cbranch_scc0 .LBB86_4692
; %bb.4690:
	s_wait_loadcnt 0x0
	global_load_b64 v[10:11], v[12:13], off
	s_mov_b32 s0, 0
	s_wait_loadcnt 0x0
	v_cvt_i32_f64_e32 v10, v[10:11]
	s_branch .LBB86_4693
.LBB86_4691:
	s_mov_b32 s0, -1
                                        ; implicit-def: $vgpr10
	s_branch .LBB86_4696
.LBB86_4692:
	s_mov_b32 s0, -1
                                        ; implicit-def: $vgpr10
.LBB86_4693:
	s_delay_alu instid0(SALU_CYCLE_1)
	s_and_not1_b32 vcc_lo, exec_lo, s0
	s_cbranch_vccnz .LBB86_4695
; %bb.4694:
	global_load_b32 v5, v[12:13], off
	s_wait_loadcnt 0x0
	s_wait_xcnt 0x1
	v_cvt_i32_f32_e32 v10, v5
.LBB86_4695:
	s_mov_b32 s0, 0
.LBB86_4696:
	s_delay_alu instid0(SALU_CYCLE_1)
	s_and_not1_b32 vcc_lo, exec_lo, s0
	s_cbranch_vccnz .LBB86_4698
; %bb.4697:
	global_load_u16 v5, v[12:13], off
	s_wait_loadcnt 0x0
	v_cvt_f32_f16_e32 v5, v5
	s_wait_xcnt 0x1
	s_delay_alu instid0(VALU_DEP_1)
	v_cvt_i32_f32_e32 v10, v5
.LBB86_4698:
	s_mov_b32 s0, 0
.LBB86_4699:
	s_delay_alu instid0(SALU_CYCLE_1)
	s_and_not1_b32 vcc_lo, exec_lo, s0
	s_cbranch_vccnz .LBB86_4719
; %bb.4700:
	s_cmp_lt_i32 s58, 2
	s_cbranch_scc1 .LBB86_4704
; %bb.4701:
	s_cmp_lt_i32 s58, 3
	s_cbranch_scc1 .LBB86_4705
; %bb.4702:
	s_cmp_gt_i32 s58, 3
	s_cbranch_scc0 .LBB86_4706
; %bb.4703:
	s_wait_loadcnt 0x0
	global_load_b32 v10, v[12:13], off
	s_mov_b32 s0, 0
	s_branch .LBB86_4707
.LBB86_4704:
	s_mov_b32 s0, -1
                                        ; implicit-def: $vgpr10
	s_branch .LBB86_4713
.LBB86_4705:
	s_mov_b32 s0, -1
                                        ; implicit-def: $vgpr10
	s_branch .LBB86_4710
.LBB86_4706:
	s_mov_b32 s0, -1
                                        ; implicit-def: $vgpr10
.LBB86_4707:
	s_delay_alu instid0(SALU_CYCLE_1)
	s_and_not1_b32 vcc_lo, exec_lo, s0
	s_cbranch_vccnz .LBB86_4709
; %bb.4708:
	s_wait_loadcnt 0x0
	global_load_b32 v10, v[12:13], off
.LBB86_4709:
	s_mov_b32 s0, 0
.LBB86_4710:
	s_delay_alu instid0(SALU_CYCLE_1)
	s_and_not1_b32 vcc_lo, exec_lo, s0
	s_cbranch_vccnz .LBB86_4712
; %bb.4711:
	s_wait_loadcnt 0x0
	global_load_i16 v10, v[12:13], off
.LBB86_4712:
	s_mov_b32 s0, 0
.LBB86_4713:
	s_delay_alu instid0(SALU_CYCLE_1)
	s_and_not1_b32 vcc_lo, exec_lo, s0
	s_cbranch_vccnz .LBB86_4719
; %bb.4714:
	s_cmp_gt_i32 s58, 0
	s_mov_b32 s0, 0
	s_cbranch_scc0 .LBB86_4716
; %bb.4715:
	s_wait_loadcnt 0x0
	global_load_i8 v10, v[12:13], off
	s_branch .LBB86_4717
.LBB86_4716:
	s_mov_b32 s0, -1
                                        ; implicit-def: $vgpr10
.LBB86_4717:
	s_delay_alu instid0(SALU_CYCLE_1)
	s_and_not1_b32 vcc_lo, exec_lo, s0
	s_cbranch_vccnz .LBB86_4719
; %bb.4718:
	s_wait_loadcnt 0x0
	global_load_u8 v10, v[12:13], off
.LBB86_4719:
	s_mov_b32 s5, -1
.LBB86_4720:
	s_delay_alu instid0(SALU_CYCLE_1)
	s_and_not1_b32 vcc_lo, exec_lo, s5
	s_cbranch_vccnz .LBB86_4984
; %bb.4721:
	v_add_nc_u32_e32 v6, s63, v6
	s_cmp_lt_i32 s59, 11
	s_delay_alu instid0(VALU_DEP_1) | instskip(NEXT) | instid1(VALU_DEP_1)
	v_ashrrev_i32_e32 v7, 31, v6
	v_add_nc_u64_e32 v[14:15], s[14:15], v[6:7]
	s_cbranch_scc1 .LBB86_4728
; %bb.4722:
	s_cmp_gt_i32 s59, 25
	s_mov_b32 s1, 0
	s_cbranch_scc0 .LBB86_4729
; %bb.4723:
	s_cmp_gt_i32 s59, 28
	s_cbranch_scc0 .LBB86_4730
; %bb.4724:
	s_cmp_gt_i32 s59, 43
	;; [unrolled: 3-line block ×3, first 2 shown]
	s_cbranch_scc0 .LBB86_4733
; %bb.4726:
	s_cmp_eq_u32 s59, 46
	s_mov_b32 s22, 0
	s_cbranch_scc0 .LBB86_4735
; %bb.4727:
	global_load_b32 v5, v[14:15], off
	s_mov_b32 s0, 0
	s_mov_b32 s5, -1
	s_wait_loadcnt 0x0
	v_lshlrev_b32_e32 v5, 16, v5
	s_wait_xcnt 0x1
	s_delay_alu instid0(VALU_DEP_1)
	v_cvt_i32_f32_e32 v12, v5
	s_branch .LBB86_4737
.LBB86_4728:
	s_mov_b32 s0, -1
	s_mov_b32 s5, 0
                                        ; implicit-def: $vgpr12
	s_branch .LBB86_4799
.LBB86_4729:
	s_mov_b32 s22, -1
	s_mov_b32 s5, 0
	s_mov_b32 s0, 0
                                        ; implicit-def: $vgpr12
	s_branch .LBB86_4764
.LBB86_4730:
	s_mov_b32 s22, -1
	s_mov_b32 s5, 0
	s_mov_b32 s0, 0
                                        ; implicit-def: $vgpr12
	s_branch .LBB86_4747
.LBB86_4731:
	s_mov_b32 s22, -1
	s_mov_b32 s5, 0
	s_mov_b32 s0, 0
                                        ; implicit-def: $vgpr12
	s_branch .LBB86_4742
.LBB86_4732:
	s_or_b32 s55, s55, exec_lo
	s_trap 2
	s_cbranch_execz .LBB86_4669
	s_branch .LBB86_4670
.LBB86_4733:
	s_mov_b32 s22, -1
	s_mov_b32 s5, 0
	s_mov_b32 s0, 0
	s_branch .LBB86_4736
.LBB86_4734:
	s_or_b32 s51, s49, exec_lo
	s_trap 2
                                        ; implicit-def: $vgpr0
                                        ; implicit-def: $vgpr2
                                        ; implicit-def: $vgpr4
                                        ; implicit-def: $vgpr10
                                        ; implicit-def: $vgpr6
                                        ; implicit-def: $vgpr12
                                        ; implicit-def: $vgpr8
                                        ; implicit-def: $vgpr16
                                        ; implicit-def: $vgpr25
                                        ; implicit-def: $vgpr22
                                        ; implicit-def: $vgpr23
                                        ; implicit-def: $vgpr24
	s_or_saveexec_b32 s52, s0
	s_mov_b32 s1, 0
                                        ; implicit-def: $vgpr14_vgpr15
                                        ; implicit-def: $sgpr0
	s_xor_b32 exec_lo, exec_lo, s52
	s_cbranch_execz .LBB86_4987
	s_branch .LBB86_4316
.LBB86_4735:
	s_mov_b32 s0, -1
	s_mov_b32 s5, 0
.LBB86_4736:
                                        ; implicit-def: $vgpr12
.LBB86_4737:
	s_and_b32 vcc_lo, exec_lo, s22
	s_cbranch_vccz .LBB86_4741
; %bb.4738:
	s_cmp_eq_u32 s59, 44
	s_cbranch_scc0 .LBB86_4740
; %bb.4739:
	global_load_u8 v5, v[14:15], off
	s_mov_b32 s0, 0
	s_mov_b32 s5, -1
	s_wait_loadcnt 0x0
	v_lshlrev_b32_e32 v7, 23, v5
	v_cmp_ne_u32_e32 vcc_lo, 0, v5
	s_delay_alu instid0(VALU_DEP_2) | instskip(SKIP_1) | instid1(VALU_DEP_1)
	v_cvt_i32_f32_e32 v7, v7
	s_wait_xcnt 0x1
	v_cndmask_b32_e32 v12, 0, v7, vcc_lo
	s_branch .LBB86_4741
.LBB86_4740:
	s_mov_b32 s0, -1
                                        ; implicit-def: $vgpr12
.LBB86_4741:
	s_mov_b32 s22, 0
.LBB86_4742:
	s_delay_alu instid0(SALU_CYCLE_1)
	s_and_b32 vcc_lo, exec_lo, s22
	s_cbranch_vccz .LBB86_4746
; %bb.4743:
	s_cmp_eq_u32 s59, 29
	s_cbranch_scc0 .LBB86_4745
; %bb.4744:
	global_load_b32 v12, v[14:15], off
	s_mov_b32 s0, 0
	s_mov_b32 s5, -1
	s_branch .LBB86_4746
.LBB86_4745:
	s_mov_b32 s0, -1
                                        ; implicit-def: $vgpr12
.LBB86_4746:
	s_mov_b32 s22, 0
.LBB86_4747:
	s_delay_alu instid0(SALU_CYCLE_1)
	s_and_b32 vcc_lo, exec_lo, s22
	s_cbranch_vccz .LBB86_4763
; %bb.4748:
	s_cmp_lt_i32 s59, 27
	s_cbranch_scc1 .LBB86_4751
; %bb.4749:
	s_cmp_gt_i32 s59, 27
	s_cbranch_scc0 .LBB86_4752
; %bb.4750:
	s_wait_loadcnt 0x0
	global_load_b32 v12, v[14:15], off
	s_mov_b32 s5, 0
	s_branch .LBB86_4753
.LBB86_4751:
	s_mov_b32 s5, -1
                                        ; implicit-def: $vgpr12
	s_branch .LBB86_4756
.LBB86_4752:
	s_mov_b32 s5, -1
                                        ; implicit-def: $vgpr12
.LBB86_4753:
	s_delay_alu instid0(SALU_CYCLE_1)
	s_and_not1_b32 vcc_lo, exec_lo, s5
	s_cbranch_vccnz .LBB86_4755
; %bb.4754:
	s_wait_loadcnt 0x0
	global_load_u16 v12, v[14:15], off
.LBB86_4755:
	s_mov_b32 s5, 0
.LBB86_4756:
	s_delay_alu instid0(SALU_CYCLE_1)
	s_and_not1_b32 vcc_lo, exec_lo, s5
	s_cbranch_vccnz .LBB86_4762
; %bb.4757:
	global_load_u8 v5, v[14:15], off
	s_mov_b32 s22, 0
	s_mov_b32 s5, exec_lo
	s_wait_loadcnt 0x0
	v_cmpx_lt_i16_e32 0x7f, v5
	s_xor_b32 s5, exec_lo, s5
	s_cbranch_execz .LBB86_4774
; %bb.4758:
	v_cmp_ne_u16_e32 vcc_lo, 0x80, v5
	s_and_b32 s22, vcc_lo, exec_lo
	s_and_not1_saveexec_b32 s5, s5
	s_cbranch_execnz .LBB86_4775
.LBB86_4759:
	s_or_b32 exec_lo, exec_lo, s5
	v_mov_b32_e32 v12, 0
	s_and_saveexec_b32 s5, s22
	s_cbranch_execz .LBB86_4761
.LBB86_4760:
	v_and_b32_e32 v7, 0xffff, v5
	s_delay_alu instid0(VALU_DEP_1) | instskip(SKIP_1) | instid1(VALU_DEP_2)
	v_dual_lshlrev_b32 v5, 24, v5 :: v_dual_bitop2_b32 v9, 7, v7 bitop3:0x40
	v_bfe_u32 v13, v7, 3, 4
	v_and_b32_e32 v5, 0x80000000, v5
	s_delay_alu instid0(VALU_DEP_3) | instskip(NEXT) | instid1(VALU_DEP_3)
	v_clz_i32_u32_e32 v11, v9
	v_cmp_eq_u32_e32 vcc_lo, 0, v13
	s_delay_alu instid0(VALU_DEP_2) | instskip(NEXT) | instid1(VALU_DEP_1)
	v_min_u32_e32 v11, 32, v11
	v_subrev_nc_u32_e32 v12, 28, v11
	v_sub_nc_u32_e32 v11, 29, v11
	s_delay_alu instid0(VALU_DEP_2) | instskip(NEXT) | instid1(VALU_DEP_2)
	v_lshlrev_b32_e32 v7, v12, v7
	v_cndmask_b32_e32 v11, v13, v11, vcc_lo
	s_delay_alu instid0(VALU_DEP_2) | instskip(NEXT) | instid1(VALU_DEP_1)
	v_and_b32_e32 v7, 7, v7
	v_cndmask_b32_e32 v7, v9, v7, vcc_lo
	s_delay_alu instid0(VALU_DEP_3) | instskip(NEXT) | instid1(VALU_DEP_2)
	v_lshl_add_u32 v9, v11, 23, 0x3b800000
	v_lshlrev_b32_e32 v7, 20, v7
	s_delay_alu instid0(VALU_DEP_1) | instskip(NEXT) | instid1(VALU_DEP_1)
	v_or3_b32 v5, v5, v9, v7
	v_cvt_i32_f32_e32 v12, v5
.LBB86_4761:
	s_or_b32 exec_lo, exec_lo, s5
.LBB86_4762:
	s_mov_b32 s5, -1
.LBB86_4763:
	s_mov_b32 s22, 0
.LBB86_4764:
	s_delay_alu instid0(SALU_CYCLE_1)
	s_and_b32 vcc_lo, exec_lo, s22
	s_cbranch_vccz .LBB86_4795
; %bb.4765:
	s_cmp_gt_i32 s59, 22
	s_cbranch_scc0 .LBB86_4773
; %bb.4766:
	s_cmp_lt_i32 s59, 24
	s_cbranch_scc1 .LBB86_4776
; %bb.4767:
	s_cmp_gt_i32 s59, 24
	s_cbranch_scc0 .LBB86_4777
; %bb.4768:
	global_load_u8 v5, v[14:15], off
	s_mov_b32 s5, 0
	s_mov_b32 s1, exec_lo
	s_wait_loadcnt 0x0
	v_cmpx_lt_i16_e32 0x7f, v5
	s_xor_b32 s1, exec_lo, s1
	s_cbranch_execz .LBB86_4789
; %bb.4769:
	v_cmp_ne_u16_e32 vcc_lo, 0x80, v5
	s_and_b32 s5, vcc_lo, exec_lo
	s_and_not1_saveexec_b32 s1, s1
	s_cbranch_execnz .LBB86_4790
.LBB86_4770:
	s_or_b32 exec_lo, exec_lo, s1
	v_mov_b32_e32 v12, 0
	s_and_saveexec_b32 s1, s5
	s_cbranch_execz .LBB86_4772
.LBB86_4771:
	v_and_b32_e32 v7, 0xffff, v5
	s_delay_alu instid0(VALU_DEP_1) | instskip(SKIP_1) | instid1(VALU_DEP_2)
	v_dual_lshlrev_b32 v5, 24, v5 :: v_dual_bitop2_b32 v9, 3, v7 bitop3:0x40
	v_bfe_u32 v13, v7, 2, 5
	v_and_b32_e32 v5, 0x80000000, v5
	s_delay_alu instid0(VALU_DEP_3) | instskip(NEXT) | instid1(VALU_DEP_3)
	v_clz_i32_u32_e32 v11, v9
	v_cmp_eq_u32_e32 vcc_lo, 0, v13
	s_delay_alu instid0(VALU_DEP_2) | instskip(NEXT) | instid1(VALU_DEP_1)
	v_min_u32_e32 v11, 32, v11
	v_subrev_nc_u32_e32 v12, 29, v11
	v_sub_nc_u32_e32 v11, 30, v11
	s_delay_alu instid0(VALU_DEP_2) | instskip(NEXT) | instid1(VALU_DEP_2)
	v_lshlrev_b32_e32 v7, v12, v7
	v_cndmask_b32_e32 v11, v13, v11, vcc_lo
	s_delay_alu instid0(VALU_DEP_2) | instskip(NEXT) | instid1(VALU_DEP_1)
	v_and_b32_e32 v7, 3, v7
	v_cndmask_b32_e32 v7, v9, v7, vcc_lo
	s_delay_alu instid0(VALU_DEP_3) | instskip(NEXT) | instid1(VALU_DEP_2)
	v_lshl_add_u32 v9, v11, 23, 0x37800000
	v_lshlrev_b32_e32 v7, 21, v7
	s_delay_alu instid0(VALU_DEP_1) | instskip(NEXT) | instid1(VALU_DEP_1)
	v_or3_b32 v5, v5, v9, v7
	v_cvt_i32_f32_e32 v12, v5
.LBB86_4772:
	s_or_b32 exec_lo, exec_lo, s1
	s_mov_b32 s1, 0
	s_branch .LBB86_4778
.LBB86_4773:
	s_mov_b32 s1, -1
                                        ; implicit-def: $vgpr12
	s_branch .LBB86_4784
.LBB86_4774:
	s_and_not1_saveexec_b32 s5, s5
	s_cbranch_execz .LBB86_4759
.LBB86_4775:
	v_cmp_ne_u16_e32 vcc_lo, 0, v5
	s_and_not1_b32 s22, s22, exec_lo
	s_and_b32 s23, vcc_lo, exec_lo
	s_delay_alu instid0(SALU_CYCLE_1)
	s_or_b32 s22, s22, s23
	s_or_b32 exec_lo, exec_lo, s5
	v_mov_b32_e32 v12, 0
	s_and_saveexec_b32 s5, s22
	s_cbranch_execnz .LBB86_4760
	s_branch .LBB86_4761
.LBB86_4776:
	s_mov_b32 s1, -1
                                        ; implicit-def: $vgpr12
	s_branch .LBB86_4781
.LBB86_4777:
	s_mov_b32 s1, -1
                                        ; implicit-def: $vgpr12
.LBB86_4778:
	s_delay_alu instid0(SALU_CYCLE_1)
	s_and_b32 vcc_lo, exec_lo, s1
	s_cbranch_vccz .LBB86_4780
; %bb.4779:
	global_load_u8 v5, v[14:15], off
	s_wait_loadcnt 0x0
	v_lshlrev_b32_e32 v5, 24, v5
	s_delay_alu instid0(VALU_DEP_1) | instskip(NEXT) | instid1(VALU_DEP_1)
	v_and_b32_e32 v7, 0x7f000000, v5
	v_clz_i32_u32_e32 v9, v7
	v_cmp_ne_u32_e32 vcc_lo, 0, v7
	s_wait_xcnt 0x1
	v_add_nc_u32_e32 v12, 0x1000000, v7
	s_delay_alu instid0(VALU_DEP_3) | instskip(NEXT) | instid1(VALU_DEP_1)
	v_min_u32_e32 v9, 32, v9
	v_sub_nc_u32_e64 v9, v9, 4 clamp
	s_delay_alu instid0(VALU_DEP_1) | instskip(NEXT) | instid1(VALU_DEP_1)
	v_dual_lshlrev_b32 v11, v9, v7 :: v_dual_lshlrev_b32 v9, 23, v9
	v_lshrrev_b32_e32 v11, 4, v11
	s_delay_alu instid0(VALU_DEP_1) | instskip(NEXT) | instid1(VALU_DEP_1)
	v_dual_sub_nc_u32 v9, v11, v9 :: v_dual_ashrrev_i32 v11, 8, v12
	v_add_nc_u32_e32 v9, 0x3c000000, v9
	s_delay_alu instid0(VALU_DEP_1) | instskip(NEXT) | instid1(VALU_DEP_1)
	v_and_or_b32 v9, 0x7f800000, v11, v9
	v_cndmask_b32_e32 v7, 0, v9, vcc_lo
	s_delay_alu instid0(VALU_DEP_1) | instskip(NEXT) | instid1(VALU_DEP_1)
	v_and_or_b32 v5, 0x80000000, v5, v7
	v_cvt_i32_f32_e32 v12, v5
.LBB86_4780:
	s_mov_b32 s1, 0
.LBB86_4781:
	s_delay_alu instid0(SALU_CYCLE_1)
	s_and_not1_b32 vcc_lo, exec_lo, s1
	s_cbranch_vccnz .LBB86_4783
; %bb.4782:
	global_load_u8 v5, v[14:15], off
	s_wait_loadcnt 0x0
	v_lshlrev_b32_e32 v7, 25, v5
	v_lshlrev_b16 v5, 8, v5
	s_wait_xcnt 0x1
	s_delay_alu instid0(VALU_DEP_1) | instskip(SKIP_1) | instid1(VALU_DEP_2)
	v_and_or_b32 v11, 0x7f00, v5, 0.5
	v_bfe_i32 v5, v5, 0, 16
	v_add_f32_e32 v11, -0.5, v11
	v_lshrrev_b32_e32 v9, 4, v7
	v_cmp_gt_u32_e32 vcc_lo, 0x8000000, v7
	s_delay_alu instid0(VALU_DEP_2) | instskip(NEXT) | instid1(VALU_DEP_1)
	v_or_b32_e32 v9, 0x70000000, v9
	v_mul_f32_e32 v9, 0x7800000, v9
	s_delay_alu instid0(VALU_DEP_1) | instskip(NEXT) | instid1(VALU_DEP_1)
	v_cndmask_b32_e32 v7, v9, v11, vcc_lo
	v_and_or_b32 v5, 0x80000000, v5, v7
	s_delay_alu instid0(VALU_DEP_1)
	v_cvt_i32_f32_e32 v12, v5
.LBB86_4783:
	s_mov_b32 s1, 0
	s_mov_b32 s5, -1
.LBB86_4784:
	s_and_not1_b32 vcc_lo, exec_lo, s1
	s_mov_b32 s1, 0
	s_cbranch_vccnz .LBB86_4795
; %bb.4785:
	s_cmp_gt_i32 s59, 14
	s_cbranch_scc0 .LBB86_4788
; %bb.4786:
	s_cmp_eq_u32 s59, 15
	s_cbranch_scc0 .LBB86_4791
; %bb.4787:
	global_load_u16 v5, v[14:15], off
	s_mov_b32 s0, 0
	s_mov_b32 s5, -1
	s_wait_loadcnt 0x0
	v_lshlrev_b32_e32 v5, 16, v5
	s_wait_xcnt 0x1
	s_delay_alu instid0(VALU_DEP_1)
	v_cvt_i32_f32_e32 v12, v5
	s_branch .LBB86_4793
.LBB86_4788:
	s_mov_b32 s1, -1
	s_branch .LBB86_4792
.LBB86_4789:
	s_and_not1_saveexec_b32 s1, s1
	s_cbranch_execz .LBB86_4770
.LBB86_4790:
	v_cmp_ne_u16_e32 vcc_lo, 0, v5
	s_and_not1_b32 s5, s5, exec_lo
	s_and_b32 s22, vcc_lo, exec_lo
	s_delay_alu instid0(SALU_CYCLE_1)
	s_or_b32 s5, s5, s22
	s_or_b32 exec_lo, exec_lo, s1
	v_mov_b32_e32 v12, 0
	s_and_saveexec_b32 s1, s5
	s_cbranch_execnz .LBB86_4771
	s_branch .LBB86_4772
.LBB86_4791:
	s_mov_b32 s0, -1
.LBB86_4792:
                                        ; implicit-def: $vgpr12
.LBB86_4793:
	s_and_b32 vcc_lo, exec_lo, s1
	s_mov_b32 s1, 0
	s_cbranch_vccz .LBB86_4795
; %bb.4794:
	s_cmp_lg_u32 s59, 11
	s_mov_b32 s1, -1
	s_cselect_b32 s0, -1, 0
.LBB86_4795:
	s_delay_alu instid0(SALU_CYCLE_1)
	s_and_b32 vcc_lo, exec_lo, s0
	s_cbranch_vccnz .LBB86_4860
; %bb.4796:
	s_and_not1_b32 vcc_lo, exec_lo, s1
	s_cbranch_vccnz .LBB86_4798
.LBB86_4797:
	global_load_u8 v5, v[14:15], off
	s_mov_b32 s5, -1
	s_wait_loadcnt 0x0
	v_cmp_ne_u16_e32 vcc_lo, 0, v5
	s_wait_xcnt 0x1
	v_cndmask_b32_e64 v12, 0, 1, vcc_lo
.LBB86_4798:
	s_mov_b32 s0, 0
.LBB86_4799:
	s_delay_alu instid0(SALU_CYCLE_1)
	s_and_b32 vcc_lo, exec_lo, s0
	s_cbranch_vccz .LBB86_4848
; %bb.4800:
	s_cmp_lt_i32 s59, 5
	s_cbranch_scc1 .LBB86_4805
; %bb.4801:
	s_cmp_lt_i32 s59, 8
	s_cbranch_scc1 .LBB86_4806
	;; [unrolled: 3-line block ×3, first 2 shown]
; %bb.4803:
	s_cmp_gt_i32 s59, 9
	s_cbranch_scc0 .LBB86_4808
; %bb.4804:
	s_wait_loadcnt 0x0
	global_load_b64 v[12:13], v[14:15], off
	s_mov_b32 s0, 0
	s_wait_loadcnt 0x0
	v_cvt_i32_f64_e32 v12, v[12:13]
	s_branch .LBB86_4809
.LBB86_4805:
	s_mov_b32 s0, -1
                                        ; implicit-def: $vgpr12
	s_branch .LBB86_4827
.LBB86_4806:
	s_mov_b32 s0, -1
                                        ; implicit-def: $vgpr12
	s_branch .LBB86_4815
.LBB86_4807:
	s_mov_b32 s0, -1
                                        ; implicit-def: $vgpr12
	s_branch .LBB86_4812
.LBB86_4808:
	s_mov_b32 s0, -1
                                        ; implicit-def: $vgpr12
.LBB86_4809:
	s_delay_alu instid0(SALU_CYCLE_1)
	s_and_not1_b32 vcc_lo, exec_lo, s0
	s_cbranch_vccnz .LBB86_4811
; %bb.4810:
	global_load_b32 v5, v[14:15], off
	s_wait_loadcnt 0x0
	s_wait_xcnt 0x1
	v_cvt_i32_f32_e32 v12, v5
.LBB86_4811:
	s_mov_b32 s0, 0
.LBB86_4812:
	s_delay_alu instid0(SALU_CYCLE_1)
	s_and_not1_b32 vcc_lo, exec_lo, s0
	s_cbranch_vccnz .LBB86_4814
; %bb.4813:
	global_load_b32 v5, v[14:15], off
	s_wait_loadcnt 0x0
	v_cvt_f32_f16_e32 v5, v5
	s_wait_xcnt 0x1
	s_delay_alu instid0(VALU_DEP_1)
	v_cvt_i32_f32_e32 v12, v5
.LBB86_4814:
	s_mov_b32 s0, 0
.LBB86_4815:
	s_delay_alu instid0(SALU_CYCLE_1)
	s_and_not1_b32 vcc_lo, exec_lo, s0
	s_cbranch_vccnz .LBB86_4826
; %bb.4816:
	s_cmp_lt_i32 s59, 6
	s_cbranch_scc1 .LBB86_4819
; %bb.4817:
	s_cmp_gt_i32 s59, 6
	s_cbranch_scc0 .LBB86_4820
; %bb.4818:
	s_wait_loadcnt 0x0
	global_load_b64 v[12:13], v[14:15], off
	s_mov_b32 s0, 0
	s_wait_loadcnt 0x0
	v_cvt_i32_f64_e32 v12, v[12:13]
	s_branch .LBB86_4821
.LBB86_4819:
	s_mov_b32 s0, -1
                                        ; implicit-def: $vgpr12
	s_branch .LBB86_4824
.LBB86_4820:
	s_mov_b32 s0, -1
                                        ; implicit-def: $vgpr12
.LBB86_4821:
	s_delay_alu instid0(SALU_CYCLE_1)
	s_and_not1_b32 vcc_lo, exec_lo, s0
	s_cbranch_vccnz .LBB86_4823
; %bb.4822:
	global_load_b32 v5, v[14:15], off
	s_wait_loadcnt 0x0
	s_wait_xcnt 0x1
	v_cvt_i32_f32_e32 v12, v5
.LBB86_4823:
	s_mov_b32 s0, 0
.LBB86_4824:
	s_delay_alu instid0(SALU_CYCLE_1)
	s_and_not1_b32 vcc_lo, exec_lo, s0
	s_cbranch_vccnz .LBB86_4826
; %bb.4825:
	global_load_u16 v5, v[14:15], off
	s_wait_loadcnt 0x0
	v_cvt_f32_f16_e32 v5, v5
	s_wait_xcnt 0x1
	s_delay_alu instid0(VALU_DEP_1)
	v_cvt_i32_f32_e32 v12, v5
.LBB86_4826:
	s_mov_b32 s0, 0
.LBB86_4827:
	s_delay_alu instid0(SALU_CYCLE_1)
	s_and_not1_b32 vcc_lo, exec_lo, s0
	s_cbranch_vccnz .LBB86_4847
; %bb.4828:
	s_cmp_lt_i32 s59, 2
	s_cbranch_scc1 .LBB86_4832
; %bb.4829:
	s_cmp_lt_i32 s59, 3
	s_cbranch_scc1 .LBB86_4833
; %bb.4830:
	s_cmp_gt_i32 s59, 3
	s_cbranch_scc0 .LBB86_4834
; %bb.4831:
	s_wait_loadcnt 0x0
	global_load_b32 v12, v[14:15], off
	s_mov_b32 s0, 0
	s_branch .LBB86_4835
.LBB86_4832:
	s_mov_b32 s0, -1
                                        ; implicit-def: $vgpr12
	s_branch .LBB86_4841
.LBB86_4833:
	s_mov_b32 s0, -1
                                        ; implicit-def: $vgpr12
	s_branch .LBB86_4838
.LBB86_4834:
	s_mov_b32 s0, -1
                                        ; implicit-def: $vgpr12
.LBB86_4835:
	s_delay_alu instid0(SALU_CYCLE_1)
	s_and_not1_b32 vcc_lo, exec_lo, s0
	s_cbranch_vccnz .LBB86_4837
; %bb.4836:
	s_wait_loadcnt 0x0
	global_load_b32 v12, v[14:15], off
.LBB86_4837:
	s_mov_b32 s0, 0
.LBB86_4838:
	s_delay_alu instid0(SALU_CYCLE_1)
	s_and_not1_b32 vcc_lo, exec_lo, s0
	s_cbranch_vccnz .LBB86_4840
; %bb.4839:
	s_wait_loadcnt 0x0
	global_load_i16 v12, v[14:15], off
.LBB86_4840:
	s_mov_b32 s0, 0
.LBB86_4841:
	s_delay_alu instid0(SALU_CYCLE_1)
	s_and_not1_b32 vcc_lo, exec_lo, s0
	s_cbranch_vccnz .LBB86_4847
; %bb.4842:
	s_cmp_gt_i32 s59, 0
	s_mov_b32 s0, 0
	s_cbranch_scc0 .LBB86_4844
; %bb.4843:
	s_wait_loadcnt 0x0
	global_load_i8 v12, v[14:15], off
	s_branch .LBB86_4845
.LBB86_4844:
	s_mov_b32 s0, -1
                                        ; implicit-def: $vgpr12
.LBB86_4845:
	s_delay_alu instid0(SALU_CYCLE_1)
	s_and_not1_b32 vcc_lo, exec_lo, s0
	s_cbranch_vccnz .LBB86_4847
; %bb.4846:
	s_wait_loadcnt 0x0
	global_load_u8 v12, v[14:15], off
.LBB86_4847:
	s_mov_b32 s5, -1
.LBB86_4848:
	s_delay_alu instid0(SALU_CYCLE_1)
	s_and_not1_b32 vcc_lo, exec_lo, s5
	s_cbranch_vccnz .LBB86_4984
; %bb.4849:
	v_add_nc_u32_e32 v8, s64, v8
	s_cmp_lt_i32 s60, 11
	s_delay_alu instid0(VALU_DEP_1) | instskip(SKIP_1) | instid1(VALU_DEP_1)
	v_ashrrev_i32_e32 v9, 31, v8
	s_wait_xcnt 0x0
	v_add_nc_u64_e32 v[14:15], s[16:17], v[8:9]
	s_cbranch_scc1 .LBB86_4856
; %bb.4850:
	s_cmp_gt_i32 s60, 25
	s_mov_b32 s1, 0
	s_cbranch_scc0 .LBB86_4857
; %bb.4851:
	s_cmp_gt_i32 s60, 28
	s_cbranch_scc0 .LBB86_4858
; %bb.4852:
	s_cmp_gt_i32 s60, 43
	;; [unrolled: 3-line block ×3, first 2 shown]
	s_cbranch_scc0 .LBB86_4861
; %bb.4854:
	s_cmp_eq_u32 s60, 46
	s_mov_b32 s22, 0
	s_cbranch_scc0 .LBB86_4862
; %bb.4855:
	global_load_b32 v5, v[14:15], off
	s_mov_b32 s0, 0
	s_mov_b32 s5, -1
	s_wait_loadcnt 0x0
	v_lshlrev_b32_e32 v5, 16, v5
	s_delay_alu instid0(VALU_DEP_1)
	v_cvt_i32_f32_e32 v16, v5
	s_branch .LBB86_4864
.LBB86_4856:
	s_mov_b32 s0, -1
	s_mov_b32 s5, 0
                                        ; implicit-def: $vgpr16
	s_branch .LBB86_4926
.LBB86_4857:
	s_mov_b32 s22, -1
	s_mov_b32 s5, 0
	s_mov_b32 s0, 0
                                        ; implicit-def: $vgpr16
	s_branch .LBB86_4891
.LBB86_4858:
	s_mov_b32 s22, -1
	s_mov_b32 s5, 0
	s_mov_b32 s0, 0
                                        ; implicit-def: $vgpr16
	s_branch .LBB86_4874
.LBB86_4859:
	s_mov_b32 s22, -1
	s_mov_b32 s5, 0
	s_mov_b32 s0, 0
                                        ; implicit-def: $vgpr16
	s_branch .LBB86_4869
.LBB86_4860:
	s_or_b32 s55, s55, exec_lo
	s_trap 2
	s_cbranch_execz .LBB86_4797
	s_branch .LBB86_4798
.LBB86_4861:
	s_mov_b32 s22, -1
	s_mov_b32 s5, 0
	s_mov_b32 s0, 0
	s_branch .LBB86_4863
.LBB86_4862:
	s_mov_b32 s0, -1
	s_mov_b32 s5, 0
.LBB86_4863:
                                        ; implicit-def: $vgpr16
.LBB86_4864:
	s_and_b32 vcc_lo, exec_lo, s22
	s_cbranch_vccz .LBB86_4868
; %bb.4865:
	s_cmp_eq_u32 s60, 44
	s_cbranch_scc0 .LBB86_4867
; %bb.4866:
	global_load_u8 v5, v[14:15], off
	s_mov_b32 s0, 0
	s_mov_b32 s5, -1
	s_wait_loadcnt 0x0
	v_lshlrev_b32_e32 v7, 23, v5
	v_cmp_ne_u32_e32 vcc_lo, 0, v5
	s_delay_alu instid0(VALU_DEP_2) | instskip(NEXT) | instid1(VALU_DEP_1)
	v_cvt_i32_f32_e32 v7, v7
	v_cndmask_b32_e32 v16, 0, v7, vcc_lo
	s_branch .LBB86_4868
.LBB86_4867:
	s_mov_b32 s0, -1
                                        ; implicit-def: $vgpr16
.LBB86_4868:
	s_mov_b32 s22, 0
.LBB86_4869:
	s_delay_alu instid0(SALU_CYCLE_1)
	s_and_b32 vcc_lo, exec_lo, s22
	s_cbranch_vccz .LBB86_4873
; %bb.4870:
	s_cmp_eq_u32 s60, 29
	s_cbranch_scc0 .LBB86_4872
; %bb.4871:
	global_load_b32 v16, v[14:15], off
	s_mov_b32 s0, 0
	s_mov_b32 s5, -1
	s_branch .LBB86_4873
.LBB86_4872:
	s_mov_b32 s0, -1
                                        ; implicit-def: $vgpr16
.LBB86_4873:
	s_mov_b32 s22, 0
.LBB86_4874:
	s_delay_alu instid0(SALU_CYCLE_1)
	s_and_b32 vcc_lo, exec_lo, s22
	s_cbranch_vccz .LBB86_4890
; %bb.4875:
	s_cmp_lt_i32 s60, 27
	s_cbranch_scc1 .LBB86_4878
; %bb.4876:
	s_cmp_gt_i32 s60, 27
	s_cbranch_scc0 .LBB86_4879
; %bb.4877:
	s_wait_loadcnt 0x0
	global_load_b32 v16, v[14:15], off
	s_mov_b32 s5, 0
	s_branch .LBB86_4880
.LBB86_4878:
	s_mov_b32 s5, -1
                                        ; implicit-def: $vgpr16
	s_branch .LBB86_4883
.LBB86_4879:
	s_mov_b32 s5, -1
                                        ; implicit-def: $vgpr16
.LBB86_4880:
	s_delay_alu instid0(SALU_CYCLE_1)
	s_and_not1_b32 vcc_lo, exec_lo, s5
	s_cbranch_vccnz .LBB86_4882
; %bb.4881:
	s_wait_loadcnt 0x0
	global_load_u16 v16, v[14:15], off
.LBB86_4882:
	s_mov_b32 s5, 0
.LBB86_4883:
	s_delay_alu instid0(SALU_CYCLE_1)
	s_and_not1_b32 vcc_lo, exec_lo, s5
	s_cbranch_vccnz .LBB86_4889
; %bb.4884:
	global_load_u8 v5, v[14:15], off
	s_mov_b32 s22, 0
	s_mov_b32 s5, exec_lo
	s_wait_loadcnt 0x0
	v_cmpx_lt_i16_e32 0x7f, v5
	s_xor_b32 s5, exec_lo, s5
	s_cbranch_execz .LBB86_4901
; %bb.4885:
	v_cmp_ne_u16_e32 vcc_lo, 0x80, v5
	s_and_b32 s22, vcc_lo, exec_lo
	s_and_not1_saveexec_b32 s5, s5
	s_cbranch_execnz .LBB86_4902
.LBB86_4886:
	s_or_b32 exec_lo, exec_lo, s5
	v_mov_b32_e32 v16, 0
	s_and_saveexec_b32 s5, s22
	s_cbranch_execz .LBB86_4888
.LBB86_4887:
	v_and_b32_e32 v7, 0xffff, v5
	s_delay_alu instid0(VALU_DEP_1) | instskip(SKIP_1) | instid1(VALU_DEP_2)
	v_dual_lshlrev_b32 v5, 24, v5 :: v_dual_bitop2_b32 v9, 7, v7 bitop3:0x40
	v_bfe_u32 v16, v7, 3, 4
	v_and_b32_e32 v5, 0x80000000, v5
	s_delay_alu instid0(VALU_DEP_3) | instskip(NEXT) | instid1(VALU_DEP_3)
	v_clz_i32_u32_e32 v11, v9
	v_cmp_eq_u32_e32 vcc_lo, 0, v16
	s_delay_alu instid0(VALU_DEP_2) | instskip(NEXT) | instid1(VALU_DEP_1)
	v_min_u32_e32 v11, 32, v11
	v_subrev_nc_u32_e32 v13, 28, v11
	v_sub_nc_u32_e32 v11, 29, v11
	s_delay_alu instid0(VALU_DEP_2) | instskip(NEXT) | instid1(VALU_DEP_2)
	v_lshlrev_b32_e32 v7, v13, v7
	v_cndmask_b32_e32 v11, v16, v11, vcc_lo
	s_delay_alu instid0(VALU_DEP_2) | instskip(NEXT) | instid1(VALU_DEP_1)
	v_and_b32_e32 v7, 7, v7
	v_cndmask_b32_e32 v7, v9, v7, vcc_lo
	s_delay_alu instid0(VALU_DEP_3) | instskip(NEXT) | instid1(VALU_DEP_2)
	v_lshl_add_u32 v9, v11, 23, 0x3b800000
	v_lshlrev_b32_e32 v7, 20, v7
	s_delay_alu instid0(VALU_DEP_1) | instskip(NEXT) | instid1(VALU_DEP_1)
	v_or3_b32 v5, v5, v9, v7
	v_cvt_i32_f32_e32 v16, v5
.LBB86_4888:
	s_or_b32 exec_lo, exec_lo, s5
.LBB86_4889:
	s_mov_b32 s5, -1
.LBB86_4890:
	s_mov_b32 s22, 0
.LBB86_4891:
	s_delay_alu instid0(SALU_CYCLE_1)
	s_and_b32 vcc_lo, exec_lo, s22
	s_cbranch_vccz .LBB86_4922
; %bb.4892:
	s_cmp_gt_i32 s60, 22
	s_cbranch_scc0 .LBB86_4900
; %bb.4893:
	s_cmp_lt_i32 s60, 24
	s_cbranch_scc1 .LBB86_4903
; %bb.4894:
	s_cmp_gt_i32 s60, 24
	s_cbranch_scc0 .LBB86_4904
; %bb.4895:
	global_load_u8 v5, v[14:15], off
	s_mov_b32 s5, 0
	s_mov_b32 s1, exec_lo
	s_wait_loadcnt 0x0
	v_cmpx_lt_i16_e32 0x7f, v5
	s_xor_b32 s1, exec_lo, s1
	s_cbranch_execz .LBB86_4916
; %bb.4896:
	v_cmp_ne_u16_e32 vcc_lo, 0x80, v5
	s_and_b32 s5, vcc_lo, exec_lo
	s_and_not1_saveexec_b32 s1, s1
	s_cbranch_execnz .LBB86_4917
.LBB86_4897:
	s_or_b32 exec_lo, exec_lo, s1
	v_mov_b32_e32 v16, 0
	s_and_saveexec_b32 s1, s5
	s_cbranch_execz .LBB86_4899
.LBB86_4898:
	v_and_b32_e32 v7, 0xffff, v5
	s_delay_alu instid0(VALU_DEP_1) | instskip(SKIP_1) | instid1(VALU_DEP_2)
	v_dual_lshlrev_b32 v5, 24, v5 :: v_dual_bitop2_b32 v9, 3, v7 bitop3:0x40
	v_bfe_u32 v16, v7, 2, 5
	v_and_b32_e32 v5, 0x80000000, v5
	s_delay_alu instid0(VALU_DEP_3) | instskip(NEXT) | instid1(VALU_DEP_3)
	v_clz_i32_u32_e32 v11, v9
	v_cmp_eq_u32_e32 vcc_lo, 0, v16
	s_delay_alu instid0(VALU_DEP_2) | instskip(NEXT) | instid1(VALU_DEP_1)
	v_min_u32_e32 v11, 32, v11
	v_subrev_nc_u32_e32 v13, 29, v11
	v_sub_nc_u32_e32 v11, 30, v11
	s_delay_alu instid0(VALU_DEP_2) | instskip(NEXT) | instid1(VALU_DEP_2)
	v_lshlrev_b32_e32 v7, v13, v7
	v_cndmask_b32_e32 v11, v16, v11, vcc_lo
	s_delay_alu instid0(VALU_DEP_2) | instskip(NEXT) | instid1(VALU_DEP_1)
	v_and_b32_e32 v7, 3, v7
	v_cndmask_b32_e32 v7, v9, v7, vcc_lo
	s_delay_alu instid0(VALU_DEP_3) | instskip(NEXT) | instid1(VALU_DEP_2)
	v_lshl_add_u32 v9, v11, 23, 0x37800000
	v_lshlrev_b32_e32 v7, 21, v7
	s_delay_alu instid0(VALU_DEP_1) | instskip(NEXT) | instid1(VALU_DEP_1)
	v_or3_b32 v5, v5, v9, v7
	v_cvt_i32_f32_e32 v16, v5
.LBB86_4899:
	s_or_b32 exec_lo, exec_lo, s1
	s_mov_b32 s1, 0
	s_branch .LBB86_4905
.LBB86_4900:
	s_mov_b32 s1, -1
                                        ; implicit-def: $vgpr16
	s_branch .LBB86_4911
.LBB86_4901:
	s_and_not1_saveexec_b32 s5, s5
	s_cbranch_execz .LBB86_4886
.LBB86_4902:
	v_cmp_ne_u16_e32 vcc_lo, 0, v5
	s_and_not1_b32 s22, s22, exec_lo
	s_and_b32 s23, vcc_lo, exec_lo
	s_delay_alu instid0(SALU_CYCLE_1)
	s_or_b32 s22, s22, s23
	s_or_b32 exec_lo, exec_lo, s5
	v_mov_b32_e32 v16, 0
	s_and_saveexec_b32 s5, s22
	s_cbranch_execnz .LBB86_4887
	s_branch .LBB86_4888
.LBB86_4903:
	s_mov_b32 s1, -1
                                        ; implicit-def: $vgpr16
	s_branch .LBB86_4908
.LBB86_4904:
	s_mov_b32 s1, -1
                                        ; implicit-def: $vgpr16
.LBB86_4905:
	s_delay_alu instid0(SALU_CYCLE_1)
	s_and_b32 vcc_lo, exec_lo, s1
	s_cbranch_vccz .LBB86_4907
; %bb.4906:
	global_load_u8 v5, v[14:15], off
	s_wait_loadcnt 0x0
	v_lshlrev_b32_e32 v5, 24, v5
	s_delay_alu instid0(VALU_DEP_1) | instskip(NEXT) | instid1(VALU_DEP_1)
	v_and_b32_e32 v7, 0x7f000000, v5
	v_clz_i32_u32_e32 v9, v7
	v_add_nc_u32_e32 v13, 0x1000000, v7
	v_cmp_ne_u32_e32 vcc_lo, 0, v7
	s_delay_alu instid0(VALU_DEP_3) | instskip(NEXT) | instid1(VALU_DEP_1)
	v_min_u32_e32 v9, 32, v9
	v_sub_nc_u32_e64 v9, v9, 4 clamp
	s_delay_alu instid0(VALU_DEP_1) | instskip(NEXT) | instid1(VALU_DEP_1)
	v_dual_lshlrev_b32 v11, v9, v7 :: v_dual_lshlrev_b32 v9, 23, v9
	v_lshrrev_b32_e32 v11, 4, v11
	s_delay_alu instid0(VALU_DEP_1) | instskip(SKIP_1) | instid1(VALU_DEP_2)
	v_sub_nc_u32_e32 v9, v11, v9
	v_ashrrev_i32_e32 v11, 8, v13
	v_add_nc_u32_e32 v9, 0x3c000000, v9
	s_delay_alu instid0(VALU_DEP_1) | instskip(NEXT) | instid1(VALU_DEP_1)
	v_and_or_b32 v9, 0x7f800000, v11, v9
	v_cndmask_b32_e32 v7, 0, v9, vcc_lo
	s_delay_alu instid0(VALU_DEP_1) | instskip(NEXT) | instid1(VALU_DEP_1)
	v_and_or_b32 v5, 0x80000000, v5, v7
	v_cvt_i32_f32_e32 v16, v5
.LBB86_4907:
	s_mov_b32 s1, 0
.LBB86_4908:
	s_delay_alu instid0(SALU_CYCLE_1)
	s_and_not1_b32 vcc_lo, exec_lo, s1
	s_cbranch_vccnz .LBB86_4910
; %bb.4909:
	global_load_u8 v5, v[14:15], off
	s_wait_loadcnt 0x0
	v_lshlrev_b32_e32 v7, 25, v5
	v_lshlrev_b16 v5, 8, v5
	s_delay_alu instid0(VALU_DEP_1) | instskip(SKIP_1) | instid1(VALU_DEP_2)
	v_and_or_b32 v11, 0x7f00, v5, 0.5
	v_bfe_i32 v5, v5, 0, 16
	v_add_f32_e32 v11, -0.5, v11
	v_lshrrev_b32_e32 v9, 4, v7
	v_cmp_gt_u32_e32 vcc_lo, 0x8000000, v7
	s_delay_alu instid0(VALU_DEP_2) | instskip(NEXT) | instid1(VALU_DEP_1)
	v_or_b32_e32 v9, 0x70000000, v9
	v_mul_f32_e32 v9, 0x7800000, v9
	s_delay_alu instid0(VALU_DEP_1) | instskip(NEXT) | instid1(VALU_DEP_1)
	v_cndmask_b32_e32 v7, v9, v11, vcc_lo
	v_and_or_b32 v5, 0x80000000, v5, v7
	s_delay_alu instid0(VALU_DEP_1)
	v_cvt_i32_f32_e32 v16, v5
.LBB86_4910:
	s_mov_b32 s1, 0
	s_mov_b32 s5, -1
.LBB86_4911:
	s_and_not1_b32 vcc_lo, exec_lo, s1
	s_mov_b32 s1, 0
	s_cbranch_vccnz .LBB86_4922
; %bb.4912:
	s_cmp_gt_i32 s60, 14
	s_cbranch_scc0 .LBB86_4915
; %bb.4913:
	s_cmp_eq_u32 s60, 15
	s_cbranch_scc0 .LBB86_4918
; %bb.4914:
	global_load_u16 v5, v[14:15], off
	s_mov_b32 s0, 0
	s_mov_b32 s5, -1
	s_wait_loadcnt 0x0
	v_lshlrev_b32_e32 v5, 16, v5
	s_delay_alu instid0(VALU_DEP_1)
	v_cvt_i32_f32_e32 v16, v5
	s_branch .LBB86_4920
.LBB86_4915:
	s_mov_b32 s1, -1
	s_branch .LBB86_4919
.LBB86_4916:
	s_and_not1_saveexec_b32 s1, s1
	s_cbranch_execz .LBB86_4897
.LBB86_4917:
	v_cmp_ne_u16_e32 vcc_lo, 0, v5
	s_and_not1_b32 s5, s5, exec_lo
	s_and_b32 s22, vcc_lo, exec_lo
	s_delay_alu instid0(SALU_CYCLE_1)
	s_or_b32 s5, s5, s22
	s_or_b32 exec_lo, exec_lo, s1
	v_mov_b32_e32 v16, 0
	s_and_saveexec_b32 s1, s5
	s_cbranch_execnz .LBB86_4898
	s_branch .LBB86_4899
.LBB86_4918:
	s_mov_b32 s0, -1
.LBB86_4919:
                                        ; implicit-def: $vgpr16
.LBB86_4920:
	s_and_b32 vcc_lo, exec_lo, s1
	s_mov_b32 s1, 0
	s_cbranch_vccz .LBB86_4922
; %bb.4921:
	s_cmp_lg_u32 s60, 11
	s_mov_b32 s1, -1
	s_cselect_b32 s0, -1, 0
.LBB86_4922:
	s_delay_alu instid0(SALU_CYCLE_1)
	s_and_b32 vcc_lo, exec_lo, s0
	s_cbranch_vccnz .LBB86_5010
; %bb.4923:
	s_and_not1_b32 vcc_lo, exec_lo, s1
	s_cbranch_vccnz .LBB86_4925
.LBB86_4924:
	global_load_u8 v5, v[14:15], off
	s_mov_b32 s5, -1
	s_wait_loadcnt 0x0
	v_cmp_ne_u16_e32 vcc_lo, 0, v5
	v_cndmask_b32_e64 v16, 0, 1, vcc_lo
.LBB86_4925:
	s_mov_b32 s0, 0
.LBB86_4926:
	s_delay_alu instid0(SALU_CYCLE_1)
	s_and_b32 vcc_lo, exec_lo, s0
	s_cbranch_vccz .LBB86_4975
; %bb.4927:
	s_cmp_lt_i32 s60, 5
	s_cbranch_scc1 .LBB86_4932
; %bb.4928:
	s_cmp_lt_i32 s60, 8
	s_cbranch_scc1 .LBB86_4933
	;; [unrolled: 3-line block ×3, first 2 shown]
; %bb.4930:
	s_cmp_gt_i32 s60, 9
	s_cbranch_scc0 .LBB86_4935
; %bb.4931:
	s_wait_loadcnt 0x0
	global_load_b64 v[16:17], v[14:15], off
	s_mov_b32 s0, 0
	s_wait_loadcnt 0x0
	v_cvt_i32_f64_e32 v16, v[16:17]
	s_branch .LBB86_4936
.LBB86_4932:
	s_mov_b32 s0, -1
                                        ; implicit-def: $vgpr16
	s_branch .LBB86_4954
.LBB86_4933:
	s_mov_b32 s0, -1
                                        ; implicit-def: $vgpr16
	s_branch .LBB86_4942
.LBB86_4934:
	s_mov_b32 s0, -1
                                        ; implicit-def: $vgpr16
	s_branch .LBB86_4939
.LBB86_4935:
	s_mov_b32 s0, -1
                                        ; implicit-def: $vgpr16
.LBB86_4936:
	s_delay_alu instid0(SALU_CYCLE_1)
	s_and_not1_b32 vcc_lo, exec_lo, s0
	s_cbranch_vccnz .LBB86_4938
; %bb.4937:
	global_load_b32 v5, v[14:15], off
	s_wait_loadcnt 0x0
	v_cvt_i32_f32_e32 v16, v5
.LBB86_4938:
	s_mov_b32 s0, 0
.LBB86_4939:
	s_delay_alu instid0(SALU_CYCLE_1)
	s_and_not1_b32 vcc_lo, exec_lo, s0
	s_cbranch_vccnz .LBB86_4941
; %bb.4940:
	global_load_b32 v5, v[14:15], off
	s_wait_loadcnt 0x0
	v_cvt_f32_f16_e32 v5, v5
	s_delay_alu instid0(VALU_DEP_1)
	v_cvt_i32_f32_e32 v16, v5
.LBB86_4941:
	s_mov_b32 s0, 0
.LBB86_4942:
	s_delay_alu instid0(SALU_CYCLE_1)
	s_and_not1_b32 vcc_lo, exec_lo, s0
	s_cbranch_vccnz .LBB86_4953
; %bb.4943:
	s_cmp_lt_i32 s60, 6
	s_cbranch_scc1 .LBB86_4946
; %bb.4944:
	s_cmp_gt_i32 s60, 6
	s_cbranch_scc0 .LBB86_4947
; %bb.4945:
	s_wait_loadcnt 0x0
	global_load_b64 v[16:17], v[14:15], off
	s_mov_b32 s0, 0
	s_wait_loadcnt 0x0
	v_cvt_i32_f64_e32 v16, v[16:17]
	s_branch .LBB86_4948
.LBB86_4946:
	s_mov_b32 s0, -1
                                        ; implicit-def: $vgpr16
	s_branch .LBB86_4951
.LBB86_4947:
	s_mov_b32 s0, -1
                                        ; implicit-def: $vgpr16
.LBB86_4948:
	s_delay_alu instid0(SALU_CYCLE_1)
	s_and_not1_b32 vcc_lo, exec_lo, s0
	s_cbranch_vccnz .LBB86_4950
; %bb.4949:
	global_load_b32 v5, v[14:15], off
	s_wait_loadcnt 0x0
	v_cvt_i32_f32_e32 v16, v5
.LBB86_4950:
	s_mov_b32 s0, 0
.LBB86_4951:
	s_delay_alu instid0(SALU_CYCLE_1)
	s_and_not1_b32 vcc_lo, exec_lo, s0
	s_cbranch_vccnz .LBB86_4953
; %bb.4952:
	global_load_u16 v5, v[14:15], off
	s_wait_loadcnt 0x0
	v_cvt_f32_f16_e32 v5, v5
	s_delay_alu instid0(VALU_DEP_1)
	v_cvt_i32_f32_e32 v16, v5
.LBB86_4953:
	s_mov_b32 s0, 0
.LBB86_4954:
	s_delay_alu instid0(SALU_CYCLE_1)
	s_and_not1_b32 vcc_lo, exec_lo, s0
	s_cbranch_vccnz .LBB86_4974
; %bb.4955:
	s_cmp_lt_i32 s60, 2
	s_cbranch_scc1 .LBB86_4959
; %bb.4956:
	s_cmp_lt_i32 s60, 3
	s_cbranch_scc1 .LBB86_4960
; %bb.4957:
	s_cmp_gt_i32 s60, 3
	s_cbranch_scc0 .LBB86_4961
; %bb.4958:
	s_wait_loadcnt 0x0
	global_load_b32 v16, v[14:15], off
	s_mov_b32 s0, 0
	s_branch .LBB86_4962
.LBB86_4959:
	s_mov_b32 s0, -1
                                        ; implicit-def: $vgpr16
	s_branch .LBB86_4968
.LBB86_4960:
	s_mov_b32 s0, -1
                                        ; implicit-def: $vgpr16
	s_branch .LBB86_4965
.LBB86_4961:
	s_mov_b32 s0, -1
                                        ; implicit-def: $vgpr16
.LBB86_4962:
	s_delay_alu instid0(SALU_CYCLE_1)
	s_and_not1_b32 vcc_lo, exec_lo, s0
	s_cbranch_vccnz .LBB86_4964
; %bb.4963:
	s_wait_loadcnt 0x0
	global_load_b32 v16, v[14:15], off
.LBB86_4964:
	s_mov_b32 s0, 0
.LBB86_4965:
	s_delay_alu instid0(SALU_CYCLE_1)
	s_and_not1_b32 vcc_lo, exec_lo, s0
	s_cbranch_vccnz .LBB86_4967
; %bb.4966:
	s_wait_loadcnt 0x0
	global_load_i16 v16, v[14:15], off
.LBB86_4967:
	s_mov_b32 s0, 0
.LBB86_4968:
	s_delay_alu instid0(SALU_CYCLE_1)
	s_and_not1_b32 vcc_lo, exec_lo, s0
	s_cbranch_vccnz .LBB86_4974
; %bb.4969:
	s_cmp_gt_i32 s60, 0
	s_mov_b32 s0, 0
	s_cbranch_scc0 .LBB86_4971
; %bb.4970:
	s_wait_loadcnt 0x0
	global_load_i8 v16, v[14:15], off
	s_branch .LBB86_4972
.LBB86_4971:
	s_mov_b32 s0, -1
                                        ; implicit-def: $vgpr16
.LBB86_4972:
	s_delay_alu instid0(SALU_CYCLE_1)
	s_and_not1_b32 vcc_lo, exec_lo, s0
	s_cbranch_vccnz .LBB86_4974
; %bb.4973:
	s_wait_loadcnt 0x0
	global_load_u8 v16, v[14:15], off
.LBB86_4974:
	s_mov_b32 s5, -1
.LBB86_4975:
	s_delay_alu instid0(SALU_CYCLE_1)
	s_and_not1_b32 vcc_lo, exec_lo, s5
	s_cbranch_vccnz .LBB86_4984
; %bb.4976:
	s_mov_b32 s0, exec_lo
	s_wait_loadcnt 0x0
	v_cmpx_ne_u32_e64 v1, v23
	s_xor_b32 s0, exec_lo, s0
	s_cbranch_execnz .LBB86_5144
.LBB86_4977:
	s_or_saveexec_b32 s61, s0
	s_mov_b32 s1, 0
	s_mov_b32 s5, 0
                                        ; implicit-def: $vgpr14_vgpr15
                                        ; implicit-def: $sgpr0
	s_xor_b32 exec_lo, exec_lo, s61
	s_cbranch_execz .LBB86_5655
; %bb.4978:
	s_mov_b32 s62, s55
	s_mov_b32 s0, exec_lo
	v_cmpx_ne_u32_e64 v3, v24
	s_xor_b32 s0, exec_lo, s0
	s_cbranch_execnz .LBB86_5272
; %bb.4979:
	s_or_saveexec_b32 s65, s0
                                        ; implicit-def: $vgpr14_vgpr15
                                        ; implicit-def: $sgpr0
	s_delay_alu instid0(SALU_CYCLE_1)
	s_xor_b32 exec_lo, exec_lo, s65
	s_cbranch_execz .LBB86_5654
.LBB86_4980:
	v_sub_nc_u32_e32 v1, v12, v10
	s_mov_b32 s66, s62
	s_delay_alu instid0(VALU_DEP_1) | instskip(SKIP_2) | instid1(SALU_CYCLE_1)
	v_cmp_gt_i32_e32 vcc_lo, v23, v1
	v_cmp_lt_i32_e64 s0, s18, v1
	s_or_b32 s0, vcc_lo, s0
	s_and_saveexec_b32 s1, s0
	s_delay_alu instid0(SALU_CYCLE_1)
	s_xor_b32 s0, exec_lo, s1
	s_cbranch_execnz .LBB86_5400
.LBB86_4981:
	s_or_saveexec_b32 s67, s0
	s_mov_b32 s1, 0
	s_mov_b32 s22, 0
                                        ; implicit-def: $vgpr14_vgpr15
                                        ; implicit-def: $sgpr0
	s_xor_b32 exec_lo, exec_lo, s67
	s_cbranch_execz .LBB86_5653
; %bb.4982:
	v_cmp_ne_u32_e32 vcc_lo, 1, v25
	v_mov_b64_e32 v[14:15], 0
	s_cbranch_vccnz .LBB86_4995
; %bb.4983:
	v_ashrrev_i32_e32 v17, 31, v16
	s_mov_b32 s5, s1
	v_mov_b64_e32 v[14:15], 0
	s_lshl_b64 s[26:27], s[4:5], 3
	s_mov_b64 s[22:23], 0xffffffff
	v_mul_u64_e32 v[18:19], s[6:7], v[16:17]
	v_mov_b32_e32 v16, 0
	s_add_nc_u64 s[26:27], s[24:25], s[26:27]
	s_mov_b32 s5, s46
	s_add_nc_u64 s[26:27], s[26:27], 0x68
	s_branch .LBB86_4991
.LBB86_4984:
	s_mov_b32 s1, 0
	s_mov_b32 s5, 0
                                        ; implicit-def: $vgpr14_vgpr15
                                        ; implicit-def: $sgpr0
.LBB86_4985:
	s_and_not1_b32 s2, s53, exec_lo
	s_and_b32 s3, s55, exec_lo
	s_and_b32 s5, s5, exec_lo
	;; [unrolled: 1-line block ×3, first 2 shown]
	s_or_b32 s53, s2, s3
.LBB86_4986:
	s_wait_xcnt 0x0
	s_or_b32 exec_lo, exec_lo, s54
	s_delay_alu instid0(SALU_CYCLE_1)
	s_and_not1_b32 s2, s51, exec_lo
	s_and_b32 s3, s53, exec_lo
	s_and_b32 s5, s5, exec_lo
	;; [unrolled: 1-line block ×3, first 2 shown]
	s_or_b32 s51, s2, s3
.LBB86_4987:
	s_or_b32 exec_lo, exec_lo, s52
	s_delay_alu instid0(SALU_CYCLE_1)
	s_and_not1_b32 s2, s49, exec_lo
	s_and_b32 s3, s51, exec_lo
	s_and_b32 s5, s5, exec_lo
	;; [unrolled: 1-line block ×3, first 2 shown]
	s_or_b32 s49, s2, s3
.LBB86_4988:
	s_or_b32 exec_lo, exec_lo, s50
	s_delay_alu instid0(SALU_CYCLE_1)
	s_and_not1_b32 s2, s45, exec_lo
	s_and_b32 s3, s49, exec_lo
	s_and_b32 s5, s5, exec_lo
	;; [unrolled: 1-line block ×3, first 2 shown]
	s_or_b32 s45, s2, s3
.LBB86_4989:
	s_or_b32 exec_lo, exec_lo, s48
	s_branch .LBB86_4319
.LBB86_4990:                            ;   in Loop: Header=BB86_4991 Depth=1
	s_or_b32 exec_lo, exec_lo, s0
	s_delay_alu instid0(VALU_DEP_1)
	v_mul_u64_e32 v[26:27], s[28:29], v[20:21]
	s_load_b64 s[28:29], s[26:27], 0x40
	s_add_co_i32 s5, s5, -1
	s_wait_xcnt 0x0
	s_add_nc_u64 s[26:27], s[26:27], -8
	s_cmp_eq_u32 s5, 0
	s_delay_alu instid0(VALU_DEP_1) | instskip(SKIP_1) | instid1(VALU_DEP_1)
	v_sub_nc_u64_e32 v[18:19], v[18:19], v[26:27]
	s_wait_kmcnt 0x0
	v_mad_nc_u64_u32 v[14:15], v18, s28, v[14:15]
	s_delay_alu instid0(VALU_DEP_1) | instskip(NEXT) | instid1(VALU_DEP_1)
	v_mad_u32 v1, v19, s28, v15
	v_mad_u32 v15, v18, s29, v1
	v_mov_b64_e32 v[18:19], v[20:21]
	s_cbranch_scc1 .LBB86_4995
.LBB86_4991:                            ; =>This Inner Loop Header: Depth=1
	s_load_b64 s[28:29], s[26:27], 0x0
                                        ; implicit-def: $vgpr20_vgpr21
	s_mov_b32 s0, exec_lo
	s_wait_kmcnt 0x0
	s_delay_alu instid0(VALU_DEP_1) | instskip(NEXT) | instid1(VALU_DEP_1)
	v_or_b32_e32 v17, s29, v19
	v_cmpx_ne_u64_e32 0, v[16:17]
	s_xor_b32 s71, exec_lo, s0
	s_cbranch_execz .LBB86_4993
; %bb.4992:                             ;   in Loop: Header=BB86_4991 Depth=1
	s_ashr_i32 s30, s29, 31
	v_dual_mov_b32 v29, v16 :: v_dual_ashrrev_i32 v20, 31, v19
	s_mov_b32 s31, s30
	v_mov_b32_e32 v37, v16
	s_add_nc_u64 s[34:35], s[28:29], s[30:31]
	s_delay_alu instid0(VALU_DEP_2) | instskip(SKIP_1) | instid1(SALU_CYCLE_1)
	v_mov_b32_e32 v21, v20
	s_xor_b64 s[34:35], s[34:35], s[30:31]
	s_cvt_f32_u32 s0, s34
	s_cvt_f32_u32 s31, s35
	s_sub_nc_u64 s[74:75], 0, s[34:35]
	v_add_nc_u64_e32 v[26:27], v[18:19], v[20:21]
	v_mov_b32_e32 v33, v16
	s_fmamk_f32 s0, s31, 0x4f800000, s0
	s_delay_alu instid0(SALU_CYCLE_3) | instskip(NEXT) | instid1(VALU_DEP_2)
	v_s_rcp_f32 s0, s0
	v_xor_b32_e32 v28, v26, v20
	s_delay_alu instid0(VALU_DEP_3) | instskip(SKIP_1) | instid1(TRANS32_DEP_1)
	v_xor_b32_e32 v32, v27, v20
	v_xor_b32_e32 v20, s30, v20
	s_mul_f32 s0, s0, 0x5f7ffffc
	s_delay_alu instid0(VALU_DEP_1) | instskip(NEXT) | instid1(SALU_CYCLE_2)
	v_mov_b32_e32 v21, v20
	s_mul_f32 s31, s0, 0x2f800000
	s_delay_alu instid0(SALU_CYCLE_3) | instskip(NEXT) | instid1(SALU_CYCLE_3)
	s_trunc_f32 s31, s31
	s_fmamk_f32 s0, s31, 0xcf800000, s0
	s_cvt_u32_f32 s73, s31
	s_delay_alu instid0(SALU_CYCLE_2) | instskip(NEXT) | instid1(SALU_CYCLE_3)
	s_cvt_u32_f32 s72, s0
	s_mul_u64 s[76:77], s[74:75], s[72:73]
	s_delay_alu instid0(SALU_CYCLE_1)
	s_mul_hi_u32 s79, s72, s77
	s_mul_i32 s78, s72, s77
	s_mul_hi_u32 s0, s72, s76
	s_mul_i32 s80, s73, s76
	s_add_nc_u64 s[78:79], s[0:1], s[78:79]
	s_mul_hi_u32 s31, s73, s76
	s_mul_hi_u32 s81, s73, s77
	s_add_co_u32 s0, s78, s80
	s_add_co_ci_u32 s0, s79, s31
	s_mul_i32 s76, s73, s77
	s_add_co_ci_u32 s77, s81, 0
	s_delay_alu instid0(SALU_CYCLE_1) | instskip(NEXT) | instid1(SALU_CYCLE_1)
	s_add_nc_u64 s[76:77], s[0:1], s[76:77]
	s_add_co_u32 s72, s72, s76
	s_cselect_b32 s0, -1, 0
	s_delay_alu instid0(SALU_CYCLE_1) | instskip(SKIP_1) | instid1(SALU_CYCLE_1)
	s_cmp_lg_u32 s0, 0
	s_add_co_ci_u32 s73, s73, s77
	s_mul_u64 s[74:75], s[74:75], s[72:73]
	s_delay_alu instid0(SALU_CYCLE_1)
	s_mul_hi_u32 s77, s72, s75
	s_mul_i32 s76, s72, s75
	s_mul_hi_u32 s0, s72, s74
	s_mul_i32 s78, s73, s74
	s_add_nc_u64 s[76:77], s[0:1], s[76:77]
	s_mul_hi_u32 s31, s73, s74
	s_mul_hi_u32 s79, s73, s75
	s_add_co_u32 s0, s76, s78
	s_add_co_ci_u32 s0, s77, s31
	s_mul_i32 s74, s73, s75
	s_add_co_ci_u32 s75, s79, 0
	s_delay_alu instid0(SALU_CYCLE_1) | instskip(NEXT) | instid1(SALU_CYCLE_1)
	s_add_nc_u64 s[74:75], s[0:1], s[74:75]
	s_add_co_u32 s72, s72, s74
	s_cselect_b32 s0, -1, 0
	v_mul_hi_u32 v36, v28, s72
	s_cmp_lg_u32 s0, 0
	s_add_co_ci_u32 s0, s73, s75
	s_and_b64 s[74:75], s[72:73], s[22:23]
	v_mul_u64_e32 v[30:31], s[0:1], v[28:29]
	v_mul_u64_e32 v[26:27], s[74:75], v[32:33]
	;; [unrolled: 1-line block ×3, first 2 shown]
	s_delay_alu instid0(VALU_DEP_3) | instskip(NEXT) | instid1(VALU_DEP_1)
	v_add_nc_u64_e32 v[30:31], v[36:37], v[30:31]
	v_add_co_u32 v1, vcc_lo, v30, v26
	s_delay_alu instid0(VALU_DEP_2) | instskip(NEXT) | instid1(VALU_DEP_4)
	v_add_co_ci_u32_e32 v36, vcc_lo, v31, v27, vcc_lo
	v_add_co_ci_u32_e32 v35, vcc_lo, 0, v35, vcc_lo
	s_delay_alu instid0(VALU_DEP_1) | instskip(NEXT) | instid1(VALU_DEP_1)
	v_add_nc_u64_e32 v[26:27], v[36:37], v[34:35]
	v_mul_u64_e32 v[30:31], s[34:35], v[26:27]
	s_delay_alu instid0(VALU_DEP_1) | instskip(SKIP_1) | instid1(VALU_DEP_3)
	v_sub_co_u32 v3, vcc_lo, v28, v30
	v_add_nc_u64_e32 v[28:29], 2, v[26:27]
	v_sub_nc_u32_e32 v1, v32, v31
	v_sub_co_ci_u32_e64 v7, null, v32, v31, vcc_lo
	s_delay_alu instid0(VALU_DEP_4) | instskip(NEXT) | instid1(VALU_DEP_3)
	v_sub_co_u32 v5, s0, v3, s34
	v_subrev_co_ci_u32_e64 v1, null, s35, v1, vcc_lo
	v_add_nc_u64_e32 v[30:31], 1, v[26:27]
	s_delay_alu instid0(VALU_DEP_3) | instskip(NEXT) | instid1(VALU_DEP_3)
	v_cmp_le_u32_e32 vcc_lo, s34, v5
	v_subrev_co_ci_u32_e64 v1, null, 0, v1, s0
	v_cndmask_b32_e64 v5, 0, -1, vcc_lo
	s_delay_alu instid0(VALU_DEP_2)
	v_cmp_le_u32_e32 vcc_lo, s35, v1
	v_cndmask_b32_e64 v9, 0, -1, vcc_lo
	v_cmp_le_u32_e32 vcc_lo, s34, v3
	v_cndmask_b32_e64 v3, 0, -1, vcc_lo
	;; [unrolled: 2-line block ×3, first 2 shown]
	v_cmp_eq_u32_e32 vcc_lo, s35, v1
	v_cndmask_b32_e32 v1, v9, v5, vcc_lo
	v_cmp_eq_u32_e32 vcc_lo, s35, v7
	s_delay_alu instid0(VALU_DEP_4) | instskip(NEXT) | instid1(VALU_DEP_3)
	v_cndmask_b32_e32 v3, v11, v3, vcc_lo
	v_cmp_ne_u32_e32 vcc_lo, 0, v1
	s_delay_alu instid0(VALU_DEP_2) | instskip(SKIP_1) | instid1(VALU_DEP_1)
	v_cmp_ne_u32_e64 s0, 0, v3
	v_dual_cndmask_b32 v3, v30, v28, vcc_lo :: v_dual_cndmask_b32 v1, v31, v29, vcc_lo
	v_dual_cndmask_b32 v3, v26, v3, s0 :: v_dual_cndmask_b32 v1, v27, v1, s0
	s_delay_alu instid0(VALU_DEP_1) | instskip(NEXT) | instid1(VALU_DEP_2)
	v_xor_b32_e32 v26, v3, v20
	v_xor_b32_e32 v27, v1, v20
	s_delay_alu instid0(VALU_DEP_1)
	v_sub_nc_u64_e32 v[20:21], v[26:27], v[20:21]
.LBB86_4993:                            ;   in Loop: Header=BB86_4991 Depth=1
	s_and_not1_saveexec_b32 s0, s71
	s_cbranch_execz .LBB86_4990
; %bb.4994:                             ;   in Loop: Header=BB86_4991 Depth=1
	v_cvt_f32_u32_e32 v1, s28
	s_sub_co_i32 s30, 0, s28
	v_mov_b32_e32 v21, v16
	s_delay_alu instid0(VALU_DEP_2) | instskip(SKIP_1) | instid1(TRANS32_DEP_1)
	v_rcp_iflag_f32_e32 v1, v1
	v_nop
	v_mul_f32_e32 v1, 0x4f7ffffe, v1
	s_delay_alu instid0(VALU_DEP_1) | instskip(NEXT) | instid1(VALU_DEP_1)
	v_cvt_u32_f32_e32 v1, v1
	v_mul_lo_u32 v3, s30, v1
	s_delay_alu instid0(VALU_DEP_1) | instskip(NEXT) | instid1(VALU_DEP_1)
	v_mul_hi_u32 v3, v1, v3
	v_add_nc_u32_e32 v1, v1, v3
	s_delay_alu instid0(VALU_DEP_1) | instskip(NEXT) | instid1(VALU_DEP_1)
	v_mul_hi_u32 v1, v18, v1
	v_mul_lo_u32 v3, v1, s28
	s_delay_alu instid0(VALU_DEP_1) | instskip(NEXT) | instid1(VALU_DEP_1)
	v_sub_nc_u32_e32 v3, v18, v3
	v_subrev_nc_u32_e32 v7, s28, v3
	v_cmp_le_u32_e32 vcc_lo, s28, v3
	s_delay_alu instid0(VALU_DEP_2) | instskip(NEXT) | instid1(VALU_DEP_1)
	v_dual_add_nc_u32 v5, 1, v1 :: v_dual_cndmask_b32 v3, v3, v7, vcc_lo
	v_cndmask_b32_e32 v1, v1, v5, vcc_lo
	s_delay_alu instid0(VALU_DEP_2) | instskip(NEXT) | instid1(VALU_DEP_2)
	v_cmp_le_u32_e32 vcc_lo, s28, v3
	v_add_nc_u32_e32 v5, 1, v1
	s_delay_alu instid0(VALU_DEP_1)
	v_cndmask_b32_e32 v20, v1, v5, vcc_lo
	s_branch .LBB86_4990
.LBB86_4995:
	s_mov_b32 s23, -1
	s_mov_b32 s1, s66
	s_mov_b32 s0, exec_lo
	v_cmpx_gt_i32_e64 v12, v10
	s_cbranch_execz .LBB86_5002
; %bb.4996:
	s_delay_alu instid0(VALU_DEP_2) | instskip(SKIP_3) | instid1(VALU_DEP_1)
	v_lshlrev_b64_e32 v[14:15], 2, v[14:15]
	v_dual_ashrrev_i32 v11, 31, v10 :: v_dual_ashrrev_i32 v13, 31, v12
	s_mov_b32 s5, 0
	s_xor_b32 s22, s47, -1
                                        ; implicit-def: $sgpr1
                                        ; implicit-def: $sgpr26
                                        ; implicit-def: $sgpr23
	v_lshl_add_u64 v[10:11], v[10:11], 2, v[14:15]
	s_wait_kmcnt 0x0
	v_add_nc_u64_e32 v[14:15], s[20:21], v[14:15]
	s_delay_alu instid0(VALU_DEP_2) | instskip(NEXT) | instid1(VALU_DEP_2)
	v_add_nc_u64_e32 v[10:11], s[20:21], v[10:11]
	v_lshl_add_u64 v[12:13], v[12:13], 2, v[14:15]
	s_delay_alu instid0(VALU_DEP_2)
	v_add_nc_u64_e32 v[10:11], 4, v[10:11]
	s_branch .LBB86_4998
.LBB86_4997:                            ;   in Loop: Header=BB86_4998 Depth=1
	s_or_b32 exec_lo, exec_lo, s27
	s_xor_b32 s27, s23, -1
	s_and_b32 s28, exec_lo, s26
	s_delay_alu instid0(SALU_CYCLE_1) | instskip(SKIP_2) | instid1(SALU_CYCLE_1)
	s_or_b32 s5, s28, s5
	s_and_not1_b32 s1, s1, exec_lo
	s_and_b32 s27, s27, exec_lo
	s_or_b32 s1, s1, s27
	s_and_not1_b32 exec_lo, exec_lo, s5
	s_cbranch_execz .LBB86_5000
.LBB86_4998:                            ; =>This Inner Loop Header: Depth=1
	s_or_b32 s23, s23, exec_lo
	s_or_b32 s26, s26, exec_lo
	s_mov_b32 s27, exec_lo
	s_delay_alu instid0(VALU_DEP_1)
	v_cmpx_lt_u64_e64 v[10:11], v[12:13]
	s_cbranch_execz .LBB86_4997
; %bb.4999:                             ;   in Loop: Header=BB86_4998 Depth=1
	global_load_b64 v[14:15], v[10:11], off offset:-4
	s_wait_xcnt 0x0
	v_add_nc_u64_e32 v[10:11], 4, v[10:11]
	s_and_not1_b32 s26, s26, exec_lo
	s_and_not1_b32 s23, s23, exec_lo
	s_wait_loadcnt 0x0
	v_cmp_ge_i32_e32 vcc_lo, v14, v15
	s_or_b32 s28, s22, vcc_lo
	s_delay_alu instid0(SALU_CYCLE_1) | instskip(NEXT) | instid1(SALU_CYCLE_1)
	s_and_b32 s28, s28, exec_lo
	s_or_b32 s26, s26, s28
	s_branch .LBB86_4997
.LBB86_5000:
	s_or_b32 exec_lo, exec_lo, s5
	s_mov_b32 s5, -1
	s_mov_b32 s22, s66
	s_and_saveexec_b32 s23, s1
	s_delay_alu instid0(SALU_CYCLE_1)
	s_xor_b32 s1, exec_lo, s23
	s_cbranch_execnz .LBB86_5015
.LBB86_5001:
	s_or_b32 exec_lo, exec_lo, s1
	s_delay_alu instid0(SALU_CYCLE_1)
	s_and_not1_b32 s1, s66, exec_lo
	s_and_b32 s22, s22, exec_lo
	s_or_not1_b32 s23, s5, exec_lo
	s_or_b32 s1, s1, s22
.LBB86_5002:
	s_or_b32 exec_lo, exec_lo, s0
	s_mov_b32 s5, 0
	s_mov_b32 s26, 0
                                        ; implicit-def: $vgpr14_vgpr15
                                        ; implicit-def: $sgpr0
	s_and_saveexec_b32 s22, s23
	s_cbranch_execz .LBB86_5652
; %bb.5003:
	v_add_nc_u32_e32 v0, s68, v0
	s_cmp_lt_i32 s56, 11
	s_delay_alu instid0(VALU_DEP_1) | instskip(NEXT) | instid1(VALU_DEP_1)
	v_ashrrev_i32_e32 v1, 31, v0
	v_add_nc_u64_e32 v[0:1], s[8:9], v[0:1]
	s_cbranch_scc1 .LBB86_5011
; %bb.5004:
	s_cmp_gt_i32 s56, 25
	s_cbranch_scc0 .LBB86_5012
; %bb.5005:
	s_cmp_gt_i32 s56, 28
	s_cbranch_scc0 .LBB86_5013
	;; [unrolled: 3-line block ×4, first 2 shown]
; %bb.5008:
	s_cmp_eq_u32 s56, 46
	s_mov_b32 s9, 0
	s_cbranch_scc0 .LBB86_5017
; %bb.5009:
	global_load_b32 v3, v[0:1], off
	s_mov_b32 s0, 0
	s_mov_b32 s8, -1
	s_wait_loadcnt 0x0
	v_lshlrev_b32_e32 v3, 16, v3
	s_delay_alu instid0(VALU_DEP_1)
	v_cvt_i32_f32_e32 v7, v3
	s_branch .LBB86_5019
.LBB86_5010:
	s_or_b32 s55, s55, exec_lo
	s_trap 2
	s_cbranch_execz .LBB86_4924
	s_branch .LBB86_4925
.LBB86_5011:
	s_mov_b32 s0, -1
	s_mov_b32 s8, 0
	s_mov_b32 s23, s1
                                        ; implicit-def: $vgpr7
	s_branch .LBB86_5081
.LBB86_5012:
	s_mov_b32 s9, -1
	s_mov_b32 s8, 0
	s_mov_b32 s0, 0
                                        ; implicit-def: $vgpr7
	s_branch .LBB86_5046
.LBB86_5013:
	s_mov_b32 s9, -1
	s_mov_b32 s8, 0
	s_mov_b32 s0, 0
                                        ; implicit-def: $vgpr7
	s_branch .LBB86_5029
.LBB86_5014:
	s_mov_b32 s9, -1
	s_mov_b32 s8, 0
	s_mov_b32 s0, 0
                                        ; implicit-def: $vgpr7
	s_branch .LBB86_5024
.LBB86_5015:
	s_or_b32 s22, s66, exec_lo
	s_xor_b32 s5, exec_lo, -1
	s_trap 2
	s_branch .LBB86_5001
.LBB86_5016:
	s_mov_b32 s9, -1
	s_mov_b32 s8, 0
	s_mov_b32 s0, 0
	s_branch .LBB86_5018
.LBB86_5017:
	s_mov_b32 s0, -1
	s_mov_b32 s8, 0
.LBB86_5018:
                                        ; implicit-def: $vgpr7
.LBB86_5019:
	s_and_b32 vcc_lo, exec_lo, s9
	s_cbranch_vccz .LBB86_5023
; %bb.5020:
	s_cmp_eq_u32 s56, 44
	s_cbranch_scc0 .LBB86_5022
; %bb.5021:
	global_load_u8 v3, v[0:1], off
	s_mov_b32 s0, 0
	s_mov_b32 s8, -1
	s_wait_loadcnt 0x0
	v_lshlrev_b32_e32 v5, 23, v3
	v_cmp_ne_u32_e32 vcc_lo, 0, v3
	s_delay_alu instid0(VALU_DEP_2) | instskip(NEXT) | instid1(VALU_DEP_1)
	v_cvt_i32_f32_e32 v5, v5
	v_cndmask_b32_e32 v7, 0, v5, vcc_lo
	s_branch .LBB86_5023
.LBB86_5022:
	s_mov_b32 s0, -1
                                        ; implicit-def: $vgpr7
.LBB86_5023:
	s_mov_b32 s9, 0
.LBB86_5024:
	s_delay_alu instid0(SALU_CYCLE_1)
	s_and_b32 vcc_lo, exec_lo, s9
	s_cbranch_vccz .LBB86_5028
; %bb.5025:
	s_cmp_eq_u32 s56, 29
	s_cbranch_scc0 .LBB86_5027
; %bb.5026:
	global_load_b32 v7, v[0:1], off
	s_mov_b32 s0, 0
	s_mov_b32 s8, -1
	s_branch .LBB86_5028
.LBB86_5027:
	s_mov_b32 s0, -1
                                        ; implicit-def: $vgpr7
.LBB86_5028:
	s_mov_b32 s9, 0
.LBB86_5029:
	s_delay_alu instid0(SALU_CYCLE_1)
	s_and_b32 vcc_lo, exec_lo, s9
	s_cbranch_vccz .LBB86_5045
; %bb.5030:
	s_cmp_lt_i32 s56, 27
	s_cbranch_scc1 .LBB86_5033
; %bb.5031:
	s_cmp_gt_i32 s56, 27
	s_cbranch_scc0 .LBB86_5034
; %bb.5032:
	s_wait_loadcnt 0x0
	global_load_b32 v7, v[0:1], off
	s_mov_b32 s8, 0
	s_branch .LBB86_5035
.LBB86_5033:
	s_mov_b32 s8, -1
                                        ; implicit-def: $vgpr7
	s_branch .LBB86_5038
.LBB86_5034:
	s_mov_b32 s8, -1
                                        ; implicit-def: $vgpr7
.LBB86_5035:
	s_delay_alu instid0(SALU_CYCLE_1)
	s_and_not1_b32 vcc_lo, exec_lo, s8
	s_cbranch_vccnz .LBB86_5037
; %bb.5036:
	s_wait_loadcnt 0x0
	global_load_u16 v7, v[0:1], off
.LBB86_5037:
	s_mov_b32 s8, 0
.LBB86_5038:
	s_delay_alu instid0(SALU_CYCLE_1)
	s_and_not1_b32 vcc_lo, exec_lo, s8
	s_cbranch_vccnz .LBB86_5044
; %bb.5039:
	global_load_u8 v3, v[0:1], off
	s_mov_b32 s9, 0
	s_mov_b32 s8, exec_lo
	s_wait_loadcnt 0x0
	v_cmpx_lt_i16_e32 0x7f, v3
	s_xor_b32 s8, exec_lo, s8
	s_cbranch_execz .LBB86_5056
; %bb.5040:
	v_cmp_ne_u16_e32 vcc_lo, 0x80, v3
	s_and_b32 s9, vcc_lo, exec_lo
	s_and_not1_saveexec_b32 s8, s8
	s_cbranch_execnz .LBB86_5057
.LBB86_5041:
	s_or_b32 exec_lo, exec_lo, s8
	v_mov_b32_e32 v7, 0
	s_and_saveexec_b32 s8, s9
	s_cbranch_execz .LBB86_5043
.LBB86_5042:
	v_and_b32_e32 v5, 0xffff, v3
	s_delay_alu instid0(VALU_DEP_1) | instskip(SKIP_1) | instid1(VALU_DEP_2)
	v_dual_lshlrev_b32 v3, 24, v3 :: v_dual_bitop2_b32 v7, 7, v5 bitop3:0x40
	v_bfe_u32 v11, v5, 3, 4
	v_and_b32_e32 v3, 0x80000000, v3
	s_delay_alu instid0(VALU_DEP_3) | instskip(NEXT) | instid1(VALU_DEP_3)
	v_clz_i32_u32_e32 v9, v7
	v_cmp_eq_u32_e32 vcc_lo, 0, v11
	s_delay_alu instid0(VALU_DEP_2) | instskip(NEXT) | instid1(VALU_DEP_1)
	v_min_u32_e32 v9, 32, v9
	v_subrev_nc_u32_e32 v10, 28, v9
	v_sub_nc_u32_e32 v9, 29, v9
	s_delay_alu instid0(VALU_DEP_2) | instskip(NEXT) | instid1(VALU_DEP_2)
	v_lshlrev_b32_e32 v5, v10, v5
	v_cndmask_b32_e32 v9, v11, v9, vcc_lo
	s_delay_alu instid0(VALU_DEP_2) | instskip(NEXT) | instid1(VALU_DEP_1)
	v_and_b32_e32 v5, 7, v5
	v_cndmask_b32_e32 v5, v7, v5, vcc_lo
	s_delay_alu instid0(VALU_DEP_3) | instskip(NEXT) | instid1(VALU_DEP_2)
	v_lshl_add_u32 v7, v9, 23, 0x3b800000
	v_lshlrev_b32_e32 v5, 20, v5
	s_delay_alu instid0(VALU_DEP_1) | instskip(NEXT) | instid1(VALU_DEP_1)
	v_or3_b32 v3, v3, v7, v5
	v_cvt_i32_f32_e32 v7, v3
.LBB86_5043:
	s_or_b32 exec_lo, exec_lo, s8
.LBB86_5044:
	s_mov_b32 s8, -1
.LBB86_5045:
	s_mov_b32 s9, 0
.LBB86_5046:
	s_delay_alu instid0(SALU_CYCLE_1)
	s_and_b32 vcc_lo, exec_lo, s9
	s_cbranch_vccz .LBB86_5077
; %bb.5047:
	s_cmp_gt_i32 s56, 22
	s_cbranch_scc0 .LBB86_5055
; %bb.5048:
	s_cmp_lt_i32 s56, 24
	s_cbranch_scc1 .LBB86_5058
; %bb.5049:
	s_cmp_gt_i32 s56, 24
	s_cbranch_scc0 .LBB86_5059
; %bb.5050:
	global_load_u8 v3, v[0:1], off
	s_mov_b32 s8, 0
	s_mov_b32 s5, exec_lo
	s_wait_loadcnt 0x0
	v_cmpx_lt_i16_e32 0x7f, v3
	s_xor_b32 s5, exec_lo, s5
	s_cbranch_execz .LBB86_5071
; %bb.5051:
	v_cmp_ne_u16_e32 vcc_lo, 0x80, v3
	s_and_b32 s8, vcc_lo, exec_lo
	s_and_not1_saveexec_b32 s5, s5
	s_cbranch_execnz .LBB86_5072
.LBB86_5052:
	s_or_b32 exec_lo, exec_lo, s5
	v_mov_b32_e32 v7, 0
	s_and_saveexec_b32 s5, s8
	s_cbranch_execz .LBB86_5054
.LBB86_5053:
	v_and_b32_e32 v5, 0xffff, v3
	s_delay_alu instid0(VALU_DEP_1) | instskip(SKIP_1) | instid1(VALU_DEP_2)
	v_dual_lshlrev_b32 v3, 24, v3 :: v_dual_bitop2_b32 v7, 3, v5 bitop3:0x40
	v_bfe_u32 v11, v5, 2, 5
	v_and_b32_e32 v3, 0x80000000, v3
	s_delay_alu instid0(VALU_DEP_3) | instskip(NEXT) | instid1(VALU_DEP_3)
	v_clz_i32_u32_e32 v9, v7
	v_cmp_eq_u32_e32 vcc_lo, 0, v11
	s_delay_alu instid0(VALU_DEP_2) | instskip(NEXT) | instid1(VALU_DEP_1)
	v_min_u32_e32 v9, 32, v9
	v_subrev_nc_u32_e32 v10, 29, v9
	v_sub_nc_u32_e32 v9, 30, v9
	s_delay_alu instid0(VALU_DEP_2) | instskip(NEXT) | instid1(VALU_DEP_2)
	v_lshlrev_b32_e32 v5, v10, v5
	v_cndmask_b32_e32 v9, v11, v9, vcc_lo
	s_delay_alu instid0(VALU_DEP_2) | instskip(NEXT) | instid1(VALU_DEP_1)
	v_and_b32_e32 v5, 3, v5
	v_cndmask_b32_e32 v5, v7, v5, vcc_lo
	s_delay_alu instid0(VALU_DEP_3) | instskip(NEXT) | instid1(VALU_DEP_2)
	v_lshl_add_u32 v7, v9, 23, 0x37800000
	v_lshlrev_b32_e32 v5, 21, v5
	s_delay_alu instid0(VALU_DEP_1) | instskip(NEXT) | instid1(VALU_DEP_1)
	v_or3_b32 v3, v3, v7, v5
	v_cvt_i32_f32_e32 v7, v3
.LBB86_5054:
	s_or_b32 exec_lo, exec_lo, s5
	s_mov_b32 s5, 0
	s_branch .LBB86_5060
.LBB86_5055:
	s_mov_b32 s5, -1
                                        ; implicit-def: $vgpr7
	s_branch .LBB86_5066
.LBB86_5056:
	s_and_not1_saveexec_b32 s8, s8
	s_cbranch_execz .LBB86_5041
.LBB86_5057:
	v_cmp_ne_u16_e32 vcc_lo, 0, v3
	s_and_not1_b32 s9, s9, exec_lo
	s_and_b32 s23, vcc_lo, exec_lo
	s_delay_alu instid0(SALU_CYCLE_1)
	s_or_b32 s9, s9, s23
	s_or_b32 exec_lo, exec_lo, s8
	v_mov_b32_e32 v7, 0
	s_and_saveexec_b32 s8, s9
	s_cbranch_execnz .LBB86_5042
	s_branch .LBB86_5043
.LBB86_5058:
	s_mov_b32 s5, -1
                                        ; implicit-def: $vgpr7
	s_branch .LBB86_5063
.LBB86_5059:
	s_mov_b32 s5, -1
                                        ; implicit-def: $vgpr7
.LBB86_5060:
	s_delay_alu instid0(SALU_CYCLE_1)
	s_and_b32 vcc_lo, exec_lo, s5
	s_cbranch_vccz .LBB86_5062
; %bb.5061:
	global_load_u8 v3, v[0:1], off
	s_wait_loadcnt 0x0
	v_lshlrev_b32_e32 v3, 24, v3
	s_delay_alu instid0(VALU_DEP_1) | instskip(NEXT) | instid1(VALU_DEP_1)
	v_and_b32_e32 v5, 0x7f000000, v3
	v_clz_i32_u32_e32 v7, v5
	v_cmp_ne_u32_e32 vcc_lo, 0, v5
	v_add_nc_u32_e32 v10, 0x1000000, v5
	s_delay_alu instid0(VALU_DEP_3) | instskip(NEXT) | instid1(VALU_DEP_1)
	v_min_u32_e32 v7, 32, v7
	v_sub_nc_u32_e64 v7, v7, 4 clamp
	s_delay_alu instid0(VALU_DEP_1) | instskip(NEXT) | instid1(VALU_DEP_1)
	v_dual_lshlrev_b32 v9, v7, v5 :: v_dual_lshlrev_b32 v7, 23, v7
	v_lshrrev_b32_e32 v9, 4, v9
	s_delay_alu instid0(VALU_DEP_1) | instskip(NEXT) | instid1(VALU_DEP_1)
	v_dual_sub_nc_u32 v7, v9, v7 :: v_dual_ashrrev_i32 v9, 8, v10
	v_add_nc_u32_e32 v7, 0x3c000000, v7
	s_delay_alu instid0(VALU_DEP_1) | instskip(NEXT) | instid1(VALU_DEP_1)
	v_and_or_b32 v7, 0x7f800000, v9, v7
	v_cndmask_b32_e32 v5, 0, v7, vcc_lo
	s_delay_alu instid0(VALU_DEP_1) | instskip(NEXT) | instid1(VALU_DEP_1)
	v_and_or_b32 v3, 0x80000000, v3, v5
	v_cvt_i32_f32_e32 v7, v3
.LBB86_5062:
	s_mov_b32 s5, 0
.LBB86_5063:
	s_delay_alu instid0(SALU_CYCLE_1)
	s_and_not1_b32 vcc_lo, exec_lo, s5
	s_cbranch_vccnz .LBB86_5065
; %bb.5064:
	global_load_u8 v3, v[0:1], off
	s_wait_loadcnt 0x0
	v_lshlrev_b32_e32 v5, 25, v3
	v_lshlrev_b16 v3, 8, v3
	s_delay_alu instid0(VALU_DEP_1) | instskip(SKIP_1) | instid1(VALU_DEP_2)
	v_and_or_b32 v9, 0x7f00, v3, 0.5
	v_bfe_i32 v3, v3, 0, 16
	v_add_f32_e32 v9, -0.5, v9
	v_lshrrev_b32_e32 v7, 4, v5
	v_cmp_gt_u32_e32 vcc_lo, 0x8000000, v5
	s_delay_alu instid0(VALU_DEP_2) | instskip(NEXT) | instid1(VALU_DEP_1)
	v_or_b32_e32 v7, 0x70000000, v7
	v_mul_f32_e32 v7, 0x7800000, v7
	s_delay_alu instid0(VALU_DEP_1) | instskip(NEXT) | instid1(VALU_DEP_1)
	v_cndmask_b32_e32 v5, v7, v9, vcc_lo
	v_and_or_b32 v3, 0x80000000, v3, v5
	s_delay_alu instid0(VALU_DEP_1)
	v_cvt_i32_f32_e32 v7, v3
.LBB86_5065:
	s_mov_b32 s5, 0
	s_mov_b32 s8, -1
.LBB86_5066:
	s_and_not1_b32 vcc_lo, exec_lo, s5
	s_mov_b32 s5, 0
	s_cbranch_vccnz .LBB86_5077
; %bb.5067:
	s_cmp_gt_i32 s56, 14
	s_cbranch_scc0 .LBB86_5070
; %bb.5068:
	s_cmp_eq_u32 s56, 15
	s_cbranch_scc0 .LBB86_5073
; %bb.5069:
	global_load_u16 v3, v[0:1], off
	s_mov_b32 s0, 0
	s_mov_b32 s8, -1
	s_wait_loadcnt 0x0
	v_lshlrev_b32_e32 v3, 16, v3
	s_delay_alu instid0(VALU_DEP_1)
	v_cvt_i32_f32_e32 v7, v3
	s_branch .LBB86_5075
.LBB86_5070:
	s_mov_b32 s5, -1
	s_branch .LBB86_5074
.LBB86_5071:
	s_and_not1_saveexec_b32 s5, s5
	s_cbranch_execz .LBB86_5052
.LBB86_5072:
	v_cmp_ne_u16_e32 vcc_lo, 0, v3
	s_and_not1_b32 s8, s8, exec_lo
	s_and_b32 s9, vcc_lo, exec_lo
	s_delay_alu instid0(SALU_CYCLE_1)
	s_or_b32 s8, s8, s9
	s_or_b32 exec_lo, exec_lo, s5
	v_mov_b32_e32 v7, 0
	s_and_saveexec_b32 s5, s8
	s_cbranch_execnz .LBB86_5053
	s_branch .LBB86_5054
.LBB86_5073:
	s_mov_b32 s0, -1
.LBB86_5074:
                                        ; implicit-def: $vgpr7
.LBB86_5075:
	s_and_b32 vcc_lo, exec_lo, s5
	s_mov_b32 s5, 0
	s_cbranch_vccz .LBB86_5077
; %bb.5076:
	s_cmp_lg_u32 s56, 11
	s_mov_b32 s5, -1
	s_cselect_b32 s0, -1, 0
.LBB86_5077:
	s_delay_alu instid0(SALU_CYCLE_1)
	s_and_b32 vcc_lo, exec_lo, s0
	s_mov_b32 s23, s1
	s_cbranch_vccnz .LBB86_5142
; %bb.5078:
	s_and_not1_b32 vcc_lo, exec_lo, s5
	s_cbranch_vccnz .LBB86_5080
.LBB86_5079:
	global_load_u8 v3, v[0:1], off
	s_mov_b32 s8, -1
	s_wait_loadcnt 0x0
	v_cmp_ne_u16_e32 vcc_lo, 0, v3
	v_cndmask_b32_e64 v7, 0, 1, vcc_lo
.LBB86_5080:
	s_mov_b32 s0, 0
.LBB86_5081:
	s_delay_alu instid0(SALU_CYCLE_1)
	s_and_b32 vcc_lo, exec_lo, s0
	s_cbranch_vccz .LBB86_5130
; %bb.5082:
	s_cmp_lt_i32 s56, 5
	s_cbranch_scc1 .LBB86_5087
; %bb.5083:
	s_cmp_lt_i32 s56, 8
	s_cbranch_scc1 .LBB86_5088
	;; [unrolled: 3-line block ×3, first 2 shown]
; %bb.5085:
	s_cmp_gt_i32 s56, 9
	s_cbranch_scc0 .LBB86_5090
; %bb.5086:
	global_load_b64 v[10:11], v[0:1], off
	s_mov_b32 s0, 0
	s_wait_loadcnt 0x0
	v_cvt_i32_f64_e32 v7, v[10:11]
	s_branch .LBB86_5091
.LBB86_5087:
	s_mov_b32 s0, -1
                                        ; implicit-def: $vgpr7
	s_branch .LBB86_5109
.LBB86_5088:
	s_mov_b32 s0, -1
                                        ; implicit-def: $vgpr7
	s_branch .LBB86_5097
.LBB86_5089:
	s_mov_b32 s0, -1
                                        ; implicit-def: $vgpr7
	s_branch .LBB86_5094
.LBB86_5090:
	s_mov_b32 s0, -1
                                        ; implicit-def: $vgpr7
.LBB86_5091:
	s_delay_alu instid0(SALU_CYCLE_1)
	s_and_not1_b32 vcc_lo, exec_lo, s0
	s_cbranch_vccnz .LBB86_5093
; %bb.5092:
	global_load_b32 v3, v[0:1], off
	s_wait_loadcnt 0x0
	v_cvt_i32_f32_e32 v7, v3
.LBB86_5093:
	s_mov_b32 s0, 0
.LBB86_5094:
	s_delay_alu instid0(SALU_CYCLE_1)
	s_and_not1_b32 vcc_lo, exec_lo, s0
	s_cbranch_vccnz .LBB86_5096
; %bb.5095:
	global_load_b32 v3, v[0:1], off
	s_wait_loadcnt 0x0
	v_cvt_f32_f16_e32 v3, v3
	s_delay_alu instid0(VALU_DEP_1)
	v_cvt_i32_f32_e32 v7, v3
.LBB86_5096:
	s_mov_b32 s0, 0
.LBB86_5097:
	s_delay_alu instid0(SALU_CYCLE_1)
	s_and_not1_b32 vcc_lo, exec_lo, s0
	s_cbranch_vccnz .LBB86_5108
; %bb.5098:
	s_cmp_lt_i32 s56, 6
	s_cbranch_scc1 .LBB86_5101
; %bb.5099:
	s_cmp_gt_i32 s56, 6
	s_cbranch_scc0 .LBB86_5102
; %bb.5100:
	global_load_b64 v[10:11], v[0:1], off
	s_mov_b32 s0, 0
	s_wait_loadcnt 0x0
	v_cvt_i32_f64_e32 v7, v[10:11]
	s_branch .LBB86_5103
.LBB86_5101:
	s_mov_b32 s0, -1
                                        ; implicit-def: $vgpr7
	s_branch .LBB86_5106
.LBB86_5102:
	s_mov_b32 s0, -1
                                        ; implicit-def: $vgpr7
.LBB86_5103:
	s_delay_alu instid0(SALU_CYCLE_1)
	s_and_not1_b32 vcc_lo, exec_lo, s0
	s_cbranch_vccnz .LBB86_5105
; %bb.5104:
	global_load_b32 v3, v[0:1], off
	s_wait_loadcnt 0x0
	v_cvt_i32_f32_e32 v7, v3
.LBB86_5105:
	s_mov_b32 s0, 0
.LBB86_5106:
	s_delay_alu instid0(SALU_CYCLE_1)
	s_and_not1_b32 vcc_lo, exec_lo, s0
	s_cbranch_vccnz .LBB86_5108
; %bb.5107:
	global_load_u16 v3, v[0:1], off
	s_wait_loadcnt 0x0
	v_cvt_f32_f16_e32 v3, v3
	s_delay_alu instid0(VALU_DEP_1)
	v_cvt_i32_f32_e32 v7, v3
.LBB86_5108:
	s_mov_b32 s0, 0
.LBB86_5109:
	s_delay_alu instid0(SALU_CYCLE_1)
	s_and_not1_b32 vcc_lo, exec_lo, s0
	s_cbranch_vccnz .LBB86_5129
; %bb.5110:
	s_cmp_lt_i32 s56, 2
	s_cbranch_scc1 .LBB86_5114
; %bb.5111:
	s_cmp_lt_i32 s56, 3
	s_cbranch_scc1 .LBB86_5115
; %bb.5112:
	s_cmp_gt_i32 s56, 3
	s_cbranch_scc0 .LBB86_5116
; %bb.5113:
	s_wait_loadcnt 0x0
	global_load_b32 v7, v[0:1], off
	s_mov_b32 s0, 0
	s_branch .LBB86_5117
.LBB86_5114:
	s_mov_b32 s0, -1
                                        ; implicit-def: $vgpr7
	s_branch .LBB86_5123
.LBB86_5115:
	s_mov_b32 s0, -1
                                        ; implicit-def: $vgpr7
	s_branch .LBB86_5120
.LBB86_5116:
	s_mov_b32 s0, -1
                                        ; implicit-def: $vgpr7
.LBB86_5117:
	s_delay_alu instid0(SALU_CYCLE_1)
	s_and_not1_b32 vcc_lo, exec_lo, s0
	s_cbranch_vccnz .LBB86_5119
; %bb.5118:
	s_wait_loadcnt 0x0
	global_load_b32 v7, v[0:1], off
.LBB86_5119:
	s_mov_b32 s0, 0
.LBB86_5120:
	s_delay_alu instid0(SALU_CYCLE_1)
	s_and_not1_b32 vcc_lo, exec_lo, s0
	s_cbranch_vccnz .LBB86_5122
; %bb.5121:
	s_wait_loadcnt 0x0
	global_load_i16 v7, v[0:1], off
.LBB86_5122:
	s_mov_b32 s0, 0
.LBB86_5123:
	s_delay_alu instid0(SALU_CYCLE_1)
	s_and_not1_b32 vcc_lo, exec_lo, s0
	s_cbranch_vccnz .LBB86_5129
; %bb.5124:
	s_cmp_gt_i32 s56, 0
	s_mov_b32 s0, 0
	s_cbranch_scc0 .LBB86_5126
; %bb.5125:
	s_wait_loadcnt 0x0
	global_load_i8 v7, v[0:1], off
	s_branch .LBB86_5127
.LBB86_5126:
	s_mov_b32 s0, -1
                                        ; implicit-def: $vgpr7
.LBB86_5127:
	s_delay_alu instid0(SALU_CYCLE_1)
	s_and_not1_b32 vcc_lo, exec_lo, s0
	s_cbranch_vccnz .LBB86_5129
; %bb.5128:
	s_wait_loadcnt 0x0
	global_load_u8 v7, v[0:1], off
.LBB86_5129:
	s_mov_b32 s8, -1
.LBB86_5130:
	s_delay_alu instid0(SALU_CYCLE_1)
	s_and_not1_b32 vcc_lo, exec_lo, s8
	s_cbranch_vccnz .LBB86_5650
; %bb.5131:
	s_wait_xcnt 0x0
	v_add_nc_u32_e32 v0, s69, v2
	s_cmp_lt_i32 s57, 11
	s_delay_alu instid0(VALU_DEP_1) | instskip(NEXT) | instid1(VALU_DEP_1)
	v_ashrrev_i32_e32 v1, 31, v0
	v_add_nc_u64_e32 v[0:1], s[10:11], v[0:1]
	s_cbranch_scc1 .LBB86_5138
; %bb.5132:
	s_cmp_gt_i32 s57, 25
	s_mov_b32 s5, 0
	s_cbranch_scc0 .LBB86_5139
; %bb.5133:
	s_cmp_gt_i32 s57, 28
	s_cbranch_scc0 .LBB86_5140
; %bb.5134:
	s_cmp_gt_i32 s57, 43
	;; [unrolled: 3-line block ×3, first 2 shown]
	s_cbranch_scc0 .LBB86_5143
; %bb.5136:
	s_cmp_eq_u32 s57, 46
	s_mov_b32 s9, 0
	s_cbranch_scc0 .LBB86_5145
; %bb.5137:
	global_load_b32 v2, v[0:1], off
	s_mov_b32 s0, 0
	s_mov_b32 s8, -1
	s_wait_loadcnt 0x0
	v_lshlrev_b32_e32 v2, 16, v2
	s_delay_alu instid0(VALU_DEP_1)
	v_cvt_i32_f32_e32 v9, v2
	s_branch .LBB86_5147
.LBB86_5138:
	s_mov_b32 s0, -1
	s_mov_b32 s8, 0
                                        ; implicit-def: $vgpr9
	s_branch .LBB86_5209
.LBB86_5139:
	s_mov_b32 s9, -1
	s_mov_b32 s8, 0
	s_mov_b32 s0, 0
                                        ; implicit-def: $vgpr9
	s_branch .LBB86_5174
.LBB86_5140:
	s_mov_b32 s9, -1
	s_mov_b32 s8, 0
	s_mov_b32 s0, 0
                                        ; implicit-def: $vgpr9
	s_branch .LBB86_5157
.LBB86_5141:
	s_mov_b32 s9, -1
	s_mov_b32 s8, 0
	s_mov_b32 s0, 0
                                        ; implicit-def: $vgpr9
	s_branch .LBB86_5152
.LBB86_5142:
	s_or_b32 s23, s1, exec_lo
	s_trap 2
	s_cbranch_execz .LBB86_5079
	s_branch .LBB86_5080
.LBB86_5143:
	s_mov_b32 s9, -1
	s_mov_b32 s8, 0
	s_mov_b32 s0, 0
	s_branch .LBB86_5146
.LBB86_5144:
	s_or_b32 s55, s55, exec_lo
	s_trap 2
                                        ; implicit-def: $vgpr0
                                        ; implicit-def: $vgpr2
                                        ; implicit-def: $vgpr3
                                        ; implicit-def: $vgpr4
                                        ; implicit-def: $vgpr10
                                        ; implicit-def: $vgpr6
                                        ; implicit-def: $vgpr12
                                        ; implicit-def: $vgpr8
                                        ; implicit-def: $vgpr16
                                        ; implicit-def: $vgpr25
                                        ; implicit-def: $vgpr22
                                        ; implicit-def: $vgpr23
                                        ; implicit-def: $vgpr24
	s_branch .LBB86_4977
.LBB86_5145:
	s_mov_b32 s0, -1
	s_mov_b32 s8, 0
.LBB86_5146:
                                        ; implicit-def: $vgpr9
.LBB86_5147:
	s_and_b32 vcc_lo, exec_lo, s9
	s_cbranch_vccz .LBB86_5151
; %bb.5148:
	s_cmp_eq_u32 s57, 44
	s_cbranch_scc0 .LBB86_5150
; %bb.5149:
	global_load_u8 v2, v[0:1], off
	s_mov_b32 s0, 0
	s_mov_b32 s8, -1
	s_wait_loadcnt 0x0
	v_lshlrev_b32_e32 v3, 23, v2
	v_cmp_ne_u32_e32 vcc_lo, 0, v2
	s_delay_alu instid0(VALU_DEP_2) | instskip(NEXT) | instid1(VALU_DEP_1)
	v_cvt_i32_f32_e32 v3, v3
	v_cndmask_b32_e32 v9, 0, v3, vcc_lo
	s_branch .LBB86_5151
.LBB86_5150:
	s_mov_b32 s0, -1
                                        ; implicit-def: $vgpr9
.LBB86_5151:
	s_mov_b32 s9, 0
.LBB86_5152:
	s_delay_alu instid0(SALU_CYCLE_1)
	s_and_b32 vcc_lo, exec_lo, s9
	s_cbranch_vccz .LBB86_5156
; %bb.5153:
	s_cmp_eq_u32 s57, 29
	s_cbranch_scc0 .LBB86_5155
; %bb.5154:
	global_load_b32 v9, v[0:1], off
	s_mov_b32 s0, 0
	s_mov_b32 s8, -1
	s_branch .LBB86_5156
.LBB86_5155:
	s_mov_b32 s0, -1
                                        ; implicit-def: $vgpr9
.LBB86_5156:
	s_mov_b32 s9, 0
.LBB86_5157:
	s_delay_alu instid0(SALU_CYCLE_1)
	s_and_b32 vcc_lo, exec_lo, s9
	s_cbranch_vccz .LBB86_5173
; %bb.5158:
	s_cmp_lt_i32 s57, 27
	s_cbranch_scc1 .LBB86_5161
; %bb.5159:
	s_cmp_gt_i32 s57, 27
	s_cbranch_scc0 .LBB86_5162
; %bb.5160:
	s_wait_loadcnt 0x0
	global_load_b32 v9, v[0:1], off
	s_mov_b32 s8, 0
	s_branch .LBB86_5163
.LBB86_5161:
	s_mov_b32 s8, -1
                                        ; implicit-def: $vgpr9
	s_branch .LBB86_5166
.LBB86_5162:
	s_mov_b32 s8, -1
                                        ; implicit-def: $vgpr9
.LBB86_5163:
	s_delay_alu instid0(SALU_CYCLE_1)
	s_and_not1_b32 vcc_lo, exec_lo, s8
	s_cbranch_vccnz .LBB86_5165
; %bb.5164:
	s_wait_loadcnt 0x0
	global_load_u16 v9, v[0:1], off
.LBB86_5165:
	s_mov_b32 s8, 0
.LBB86_5166:
	s_delay_alu instid0(SALU_CYCLE_1)
	s_and_not1_b32 vcc_lo, exec_lo, s8
	s_cbranch_vccnz .LBB86_5172
; %bb.5167:
	global_load_u8 v2, v[0:1], off
	s_mov_b32 s9, 0
	s_mov_b32 s8, exec_lo
	s_wait_loadcnt 0x0
	v_cmpx_lt_i16_e32 0x7f, v2
	s_xor_b32 s8, exec_lo, s8
	s_cbranch_execz .LBB86_5184
; %bb.5168:
	v_cmp_ne_u16_e32 vcc_lo, 0x80, v2
	s_and_b32 s9, vcc_lo, exec_lo
	s_and_not1_saveexec_b32 s8, s8
	s_cbranch_execnz .LBB86_5185
.LBB86_5169:
	s_or_b32 exec_lo, exec_lo, s8
	v_mov_b32_e32 v9, 0
	s_and_saveexec_b32 s8, s9
	s_cbranch_execz .LBB86_5171
.LBB86_5170:
	v_and_b32_e32 v3, 0xffff, v2
	s_delay_alu instid0(VALU_DEP_1) | instskip(SKIP_1) | instid1(VALU_DEP_2)
	v_and_b32_e32 v5, 7, v3
	v_bfe_u32 v11, v3, 3, 4
	v_clz_i32_u32_e32 v9, v5
	s_delay_alu instid0(VALU_DEP_2) | instskip(NEXT) | instid1(VALU_DEP_2)
	v_cmp_eq_u32_e32 vcc_lo, 0, v11
	v_min_u32_e32 v9, 32, v9
	s_delay_alu instid0(VALU_DEP_1) | instskip(NEXT) | instid1(VALU_DEP_1)
	v_subrev_nc_u32_e32 v10, 28, v9
	v_dual_lshlrev_b32 v3, v10, v3 :: v_dual_sub_nc_u32 v9, 29, v9
	s_delay_alu instid0(VALU_DEP_1) | instskip(NEXT) | instid1(VALU_DEP_1)
	v_dual_lshlrev_b32 v2, 24, v2 :: v_dual_bitop2_b32 v3, 7, v3 bitop3:0x40
	v_dual_cndmask_b32 v9, v11, v9, vcc_lo :: v_dual_cndmask_b32 v3, v5, v3, vcc_lo
	s_delay_alu instid0(VALU_DEP_2) | instskip(NEXT) | instid1(VALU_DEP_2)
	v_and_b32_e32 v2, 0x80000000, v2
	v_lshl_add_u32 v5, v9, 23, 0x3b800000
	s_delay_alu instid0(VALU_DEP_3) | instskip(NEXT) | instid1(VALU_DEP_1)
	v_lshlrev_b32_e32 v3, 20, v3
	v_or3_b32 v2, v2, v5, v3
	s_delay_alu instid0(VALU_DEP_1)
	v_cvt_i32_f32_e32 v9, v2
.LBB86_5171:
	s_or_b32 exec_lo, exec_lo, s8
.LBB86_5172:
	s_mov_b32 s8, -1
.LBB86_5173:
	s_mov_b32 s9, 0
.LBB86_5174:
	s_delay_alu instid0(SALU_CYCLE_1)
	s_and_b32 vcc_lo, exec_lo, s9
	s_cbranch_vccz .LBB86_5205
; %bb.5175:
	s_cmp_gt_i32 s57, 22
	s_cbranch_scc0 .LBB86_5183
; %bb.5176:
	s_cmp_lt_i32 s57, 24
	s_cbranch_scc1 .LBB86_5186
; %bb.5177:
	s_cmp_gt_i32 s57, 24
	s_cbranch_scc0 .LBB86_5187
; %bb.5178:
	global_load_u8 v2, v[0:1], off
	s_mov_b32 s8, 0
	s_mov_b32 s5, exec_lo
	s_wait_loadcnt 0x0
	v_cmpx_lt_i16_e32 0x7f, v2
	s_xor_b32 s5, exec_lo, s5
	s_cbranch_execz .LBB86_5199
; %bb.5179:
	v_cmp_ne_u16_e32 vcc_lo, 0x80, v2
	s_and_b32 s8, vcc_lo, exec_lo
	s_and_not1_saveexec_b32 s5, s5
	s_cbranch_execnz .LBB86_5200
.LBB86_5180:
	s_or_b32 exec_lo, exec_lo, s5
	v_mov_b32_e32 v9, 0
	s_and_saveexec_b32 s5, s8
	s_cbranch_execz .LBB86_5182
.LBB86_5181:
	v_and_b32_e32 v3, 0xffff, v2
	s_delay_alu instid0(VALU_DEP_1) | instskip(SKIP_1) | instid1(VALU_DEP_2)
	v_and_b32_e32 v5, 3, v3
	v_bfe_u32 v11, v3, 2, 5
	v_clz_i32_u32_e32 v9, v5
	s_delay_alu instid0(VALU_DEP_2) | instskip(NEXT) | instid1(VALU_DEP_2)
	v_cmp_eq_u32_e32 vcc_lo, 0, v11
	v_min_u32_e32 v9, 32, v9
	s_delay_alu instid0(VALU_DEP_1) | instskip(NEXT) | instid1(VALU_DEP_1)
	v_subrev_nc_u32_e32 v10, 29, v9
	v_dual_lshlrev_b32 v3, v10, v3 :: v_dual_sub_nc_u32 v9, 30, v9
	s_delay_alu instid0(VALU_DEP_1) | instskip(NEXT) | instid1(VALU_DEP_1)
	v_dual_lshlrev_b32 v2, 24, v2 :: v_dual_bitop2_b32 v3, 3, v3 bitop3:0x40
	v_dual_cndmask_b32 v9, v11, v9, vcc_lo :: v_dual_cndmask_b32 v3, v5, v3, vcc_lo
	s_delay_alu instid0(VALU_DEP_2) | instskip(NEXT) | instid1(VALU_DEP_2)
	v_and_b32_e32 v2, 0x80000000, v2
	v_lshl_add_u32 v5, v9, 23, 0x37800000
	s_delay_alu instid0(VALU_DEP_3) | instskip(NEXT) | instid1(VALU_DEP_1)
	v_lshlrev_b32_e32 v3, 21, v3
	v_or3_b32 v2, v2, v5, v3
	s_delay_alu instid0(VALU_DEP_1)
	v_cvt_i32_f32_e32 v9, v2
.LBB86_5182:
	s_or_b32 exec_lo, exec_lo, s5
	s_mov_b32 s5, 0
	s_branch .LBB86_5188
.LBB86_5183:
	s_mov_b32 s5, -1
                                        ; implicit-def: $vgpr9
	s_branch .LBB86_5194
.LBB86_5184:
	s_and_not1_saveexec_b32 s8, s8
	s_cbranch_execz .LBB86_5169
.LBB86_5185:
	v_cmp_ne_u16_e32 vcc_lo, 0, v2
	s_and_not1_b32 s9, s9, exec_lo
	s_and_b32 s10, vcc_lo, exec_lo
	s_delay_alu instid0(SALU_CYCLE_1)
	s_or_b32 s9, s9, s10
	s_or_b32 exec_lo, exec_lo, s8
	v_mov_b32_e32 v9, 0
	s_and_saveexec_b32 s8, s9
	s_cbranch_execnz .LBB86_5170
	s_branch .LBB86_5171
.LBB86_5186:
	s_mov_b32 s5, -1
                                        ; implicit-def: $vgpr9
	s_branch .LBB86_5191
.LBB86_5187:
	s_mov_b32 s5, -1
                                        ; implicit-def: $vgpr9
.LBB86_5188:
	s_delay_alu instid0(SALU_CYCLE_1)
	s_and_b32 vcc_lo, exec_lo, s5
	s_cbranch_vccz .LBB86_5190
; %bb.5189:
	global_load_u8 v2, v[0:1], off
	s_wait_loadcnt 0x0
	v_lshlrev_b32_e32 v2, 24, v2
	s_delay_alu instid0(VALU_DEP_1) | instskip(NEXT) | instid1(VALU_DEP_1)
	v_and_b32_e32 v3, 0x7f000000, v2
	v_clz_i32_u32_e32 v5, v3
	v_cmp_ne_u32_e32 vcc_lo, 0, v3
	v_add_nc_u32_e32 v10, 0x1000000, v3
	s_delay_alu instid0(VALU_DEP_3) | instskip(NEXT) | instid1(VALU_DEP_1)
	v_min_u32_e32 v5, 32, v5
	v_sub_nc_u32_e64 v5, v5, 4 clamp
	s_delay_alu instid0(VALU_DEP_1) | instskip(NEXT) | instid1(VALU_DEP_1)
	v_dual_lshlrev_b32 v9, v5, v3 :: v_dual_lshlrev_b32 v5, 23, v5
	v_lshrrev_b32_e32 v9, 4, v9
	s_delay_alu instid0(VALU_DEP_1) | instskip(NEXT) | instid1(VALU_DEP_1)
	v_dual_sub_nc_u32 v5, v9, v5 :: v_dual_ashrrev_i32 v9, 8, v10
	v_add_nc_u32_e32 v5, 0x3c000000, v5
	s_delay_alu instid0(VALU_DEP_1) | instskip(NEXT) | instid1(VALU_DEP_1)
	v_and_or_b32 v5, 0x7f800000, v9, v5
	v_cndmask_b32_e32 v3, 0, v5, vcc_lo
	s_delay_alu instid0(VALU_DEP_1) | instskip(NEXT) | instid1(VALU_DEP_1)
	v_and_or_b32 v2, 0x80000000, v2, v3
	v_cvt_i32_f32_e32 v9, v2
.LBB86_5190:
	s_mov_b32 s5, 0
.LBB86_5191:
	s_delay_alu instid0(SALU_CYCLE_1)
	s_and_not1_b32 vcc_lo, exec_lo, s5
	s_cbranch_vccnz .LBB86_5193
; %bb.5192:
	global_load_u8 v2, v[0:1], off
	s_wait_loadcnt 0x0
	v_lshlrev_b32_e32 v3, 25, v2
	v_lshlrev_b16 v2, 8, v2
	s_delay_alu instid0(VALU_DEP_1) | instskip(SKIP_1) | instid1(VALU_DEP_2)
	v_and_or_b32 v9, 0x7f00, v2, 0.5
	v_bfe_i32 v2, v2, 0, 16
	v_dual_add_f32 v9, -0.5, v9 :: v_dual_lshrrev_b32 v5, 4, v3
	v_cmp_gt_u32_e32 vcc_lo, 0x8000000, v3
	s_delay_alu instid0(VALU_DEP_2) | instskip(NEXT) | instid1(VALU_DEP_1)
	v_or_b32_e32 v5, 0x70000000, v5
	v_mul_f32_e32 v5, 0x7800000, v5
	s_delay_alu instid0(VALU_DEP_1) | instskip(NEXT) | instid1(VALU_DEP_1)
	v_cndmask_b32_e32 v3, v5, v9, vcc_lo
	v_and_or_b32 v2, 0x80000000, v2, v3
	s_delay_alu instid0(VALU_DEP_1)
	v_cvt_i32_f32_e32 v9, v2
.LBB86_5193:
	s_mov_b32 s5, 0
	s_mov_b32 s8, -1
.LBB86_5194:
	s_and_not1_b32 vcc_lo, exec_lo, s5
	s_mov_b32 s5, 0
	s_cbranch_vccnz .LBB86_5205
; %bb.5195:
	s_cmp_gt_i32 s57, 14
	s_cbranch_scc0 .LBB86_5198
; %bb.5196:
	s_cmp_eq_u32 s57, 15
	s_cbranch_scc0 .LBB86_5201
; %bb.5197:
	global_load_u16 v2, v[0:1], off
	s_mov_b32 s0, 0
	s_mov_b32 s8, -1
	s_wait_loadcnt 0x0
	v_lshlrev_b32_e32 v2, 16, v2
	s_delay_alu instid0(VALU_DEP_1)
	v_cvt_i32_f32_e32 v9, v2
	s_branch .LBB86_5203
.LBB86_5198:
	s_mov_b32 s5, -1
	s_branch .LBB86_5202
.LBB86_5199:
	s_and_not1_saveexec_b32 s5, s5
	s_cbranch_execz .LBB86_5180
.LBB86_5200:
	v_cmp_ne_u16_e32 vcc_lo, 0, v2
	s_and_not1_b32 s8, s8, exec_lo
	s_and_b32 s9, vcc_lo, exec_lo
	s_delay_alu instid0(SALU_CYCLE_1)
	s_or_b32 s8, s8, s9
	s_or_b32 exec_lo, exec_lo, s5
	v_mov_b32_e32 v9, 0
	s_and_saveexec_b32 s5, s8
	s_cbranch_execnz .LBB86_5181
	s_branch .LBB86_5182
.LBB86_5201:
	s_mov_b32 s0, -1
.LBB86_5202:
                                        ; implicit-def: $vgpr9
.LBB86_5203:
	s_and_b32 vcc_lo, exec_lo, s5
	s_mov_b32 s5, 0
	s_cbranch_vccz .LBB86_5205
; %bb.5204:
	s_cmp_lg_u32 s57, 11
	s_mov_b32 s5, -1
	s_cselect_b32 s0, -1, 0
.LBB86_5205:
	s_delay_alu instid0(SALU_CYCLE_1)
	s_and_b32 vcc_lo, exec_lo, s0
	s_cbranch_vccnz .LBB86_5270
; %bb.5206:
	s_and_not1_b32 vcc_lo, exec_lo, s5
	s_cbranch_vccnz .LBB86_5208
.LBB86_5207:
	global_load_u8 v2, v[0:1], off
	s_mov_b32 s8, -1
	s_wait_loadcnt 0x0
	v_cmp_ne_u16_e32 vcc_lo, 0, v2
	v_cndmask_b32_e64 v9, 0, 1, vcc_lo
.LBB86_5208:
	s_mov_b32 s0, 0
.LBB86_5209:
	s_delay_alu instid0(SALU_CYCLE_1)
	s_and_b32 vcc_lo, exec_lo, s0
	s_cbranch_vccz .LBB86_5258
; %bb.5210:
	s_cmp_lt_i32 s57, 5
	s_cbranch_scc1 .LBB86_5215
; %bb.5211:
	s_cmp_lt_i32 s57, 8
	s_cbranch_scc1 .LBB86_5216
	;; [unrolled: 3-line block ×3, first 2 shown]
; %bb.5213:
	s_cmp_gt_i32 s57, 9
	s_cbranch_scc0 .LBB86_5218
; %bb.5214:
	global_load_b64 v[2:3], v[0:1], off
	s_mov_b32 s0, 0
	s_wait_loadcnt 0x0
	v_cvt_i32_f64_e32 v9, v[2:3]
	s_branch .LBB86_5219
.LBB86_5215:
	s_mov_b32 s0, -1
                                        ; implicit-def: $vgpr9
	s_branch .LBB86_5237
.LBB86_5216:
	s_mov_b32 s0, -1
                                        ; implicit-def: $vgpr9
	s_branch .LBB86_5225
.LBB86_5217:
	s_mov_b32 s0, -1
                                        ; implicit-def: $vgpr9
	s_branch .LBB86_5222
.LBB86_5218:
	s_mov_b32 s0, -1
                                        ; implicit-def: $vgpr9
.LBB86_5219:
	s_delay_alu instid0(SALU_CYCLE_1)
	s_and_not1_b32 vcc_lo, exec_lo, s0
	s_cbranch_vccnz .LBB86_5221
; %bb.5220:
	global_load_b32 v2, v[0:1], off
	s_wait_loadcnt 0x0
	v_cvt_i32_f32_e32 v9, v2
.LBB86_5221:
	s_mov_b32 s0, 0
.LBB86_5222:
	s_delay_alu instid0(SALU_CYCLE_1)
	s_and_not1_b32 vcc_lo, exec_lo, s0
	s_cbranch_vccnz .LBB86_5224
; %bb.5223:
	global_load_b32 v2, v[0:1], off
	s_wait_loadcnt 0x0
	v_cvt_f32_f16_e32 v2, v2
	s_delay_alu instid0(VALU_DEP_1)
	v_cvt_i32_f32_e32 v9, v2
.LBB86_5224:
	s_mov_b32 s0, 0
.LBB86_5225:
	s_delay_alu instid0(SALU_CYCLE_1)
	s_and_not1_b32 vcc_lo, exec_lo, s0
	s_cbranch_vccnz .LBB86_5236
; %bb.5226:
	s_cmp_lt_i32 s57, 6
	s_cbranch_scc1 .LBB86_5229
; %bb.5227:
	s_cmp_gt_i32 s57, 6
	s_cbranch_scc0 .LBB86_5230
; %bb.5228:
	global_load_b64 v[2:3], v[0:1], off
	s_mov_b32 s0, 0
	s_wait_loadcnt 0x0
	v_cvt_i32_f64_e32 v9, v[2:3]
	s_branch .LBB86_5231
.LBB86_5229:
	s_mov_b32 s0, -1
                                        ; implicit-def: $vgpr9
	s_branch .LBB86_5234
.LBB86_5230:
	s_mov_b32 s0, -1
                                        ; implicit-def: $vgpr9
.LBB86_5231:
	s_delay_alu instid0(SALU_CYCLE_1)
	s_and_not1_b32 vcc_lo, exec_lo, s0
	s_cbranch_vccnz .LBB86_5233
; %bb.5232:
	global_load_b32 v2, v[0:1], off
	s_wait_loadcnt 0x0
	v_cvt_i32_f32_e32 v9, v2
.LBB86_5233:
	s_mov_b32 s0, 0
.LBB86_5234:
	s_delay_alu instid0(SALU_CYCLE_1)
	s_and_not1_b32 vcc_lo, exec_lo, s0
	s_cbranch_vccnz .LBB86_5236
; %bb.5235:
	global_load_u16 v2, v[0:1], off
	s_wait_loadcnt 0x0
	v_cvt_f32_f16_e32 v2, v2
	s_delay_alu instid0(VALU_DEP_1)
	v_cvt_i32_f32_e32 v9, v2
.LBB86_5236:
	s_mov_b32 s0, 0
.LBB86_5237:
	s_delay_alu instid0(SALU_CYCLE_1)
	s_and_not1_b32 vcc_lo, exec_lo, s0
	s_cbranch_vccnz .LBB86_5257
; %bb.5238:
	s_cmp_lt_i32 s57, 2
	s_cbranch_scc1 .LBB86_5242
; %bb.5239:
	s_cmp_lt_i32 s57, 3
	s_cbranch_scc1 .LBB86_5243
; %bb.5240:
	s_cmp_gt_i32 s57, 3
	s_cbranch_scc0 .LBB86_5244
; %bb.5241:
	s_wait_loadcnt 0x0
	global_load_b32 v9, v[0:1], off
	s_mov_b32 s0, 0
	s_branch .LBB86_5245
.LBB86_5242:
	s_mov_b32 s0, -1
                                        ; implicit-def: $vgpr9
	s_branch .LBB86_5251
.LBB86_5243:
	s_mov_b32 s0, -1
                                        ; implicit-def: $vgpr9
	s_branch .LBB86_5248
.LBB86_5244:
	s_mov_b32 s0, -1
                                        ; implicit-def: $vgpr9
.LBB86_5245:
	s_delay_alu instid0(SALU_CYCLE_1)
	s_and_not1_b32 vcc_lo, exec_lo, s0
	s_cbranch_vccnz .LBB86_5247
; %bb.5246:
	s_wait_loadcnt 0x0
	global_load_b32 v9, v[0:1], off
.LBB86_5247:
	s_mov_b32 s0, 0
.LBB86_5248:
	s_delay_alu instid0(SALU_CYCLE_1)
	s_and_not1_b32 vcc_lo, exec_lo, s0
	s_cbranch_vccnz .LBB86_5250
; %bb.5249:
	s_wait_loadcnt 0x0
	global_load_i16 v9, v[0:1], off
.LBB86_5250:
	s_mov_b32 s0, 0
.LBB86_5251:
	s_delay_alu instid0(SALU_CYCLE_1)
	s_and_not1_b32 vcc_lo, exec_lo, s0
	s_cbranch_vccnz .LBB86_5257
; %bb.5252:
	s_cmp_gt_i32 s57, 0
	s_mov_b32 s0, 0
	s_cbranch_scc0 .LBB86_5254
; %bb.5253:
	s_wait_loadcnt 0x0
	global_load_i8 v9, v[0:1], off
	s_branch .LBB86_5255
.LBB86_5254:
	s_mov_b32 s0, -1
                                        ; implicit-def: $vgpr9
.LBB86_5255:
	s_delay_alu instid0(SALU_CYCLE_1)
	s_and_not1_b32 vcc_lo, exec_lo, s0
	s_cbranch_vccnz .LBB86_5257
; %bb.5256:
	s_wait_loadcnt 0x0
	global_load_u8 v9, v[0:1], off
.LBB86_5257:
	s_mov_b32 s8, -1
.LBB86_5258:
	s_delay_alu instid0(SALU_CYCLE_1)
	s_and_not1_b32 vcc_lo, exec_lo, s8
	s_cbranch_vccnz .LBB86_5650
; %bb.5259:
	s_wait_xcnt 0x0
	v_add_nc_u32_e32 v0, s70, v4
	s_cmp_lt_i32 s58, 11
	s_delay_alu instid0(VALU_DEP_1) | instskip(NEXT) | instid1(VALU_DEP_1)
	v_ashrrev_i32_e32 v1, 31, v0
	v_add_nc_u64_e32 v[2:3], s[12:13], v[0:1]
	s_cbranch_scc1 .LBB86_5266
; %bb.5260:
	s_cmp_gt_i32 s58, 25
	s_mov_b32 s5, 0
	s_cbranch_scc0 .LBB86_5267
; %bb.5261:
	s_cmp_gt_i32 s58, 28
	s_cbranch_scc0 .LBB86_5268
; %bb.5262:
	s_cmp_gt_i32 s58, 43
	;; [unrolled: 3-line block ×3, first 2 shown]
	s_cbranch_scc0 .LBB86_5271
; %bb.5264:
	s_cmp_eq_u32 s58, 46
	s_mov_b32 s9, 0
	s_cbranch_scc0 .LBB86_5273
; %bb.5265:
	global_load_b32 v0, v[2:3], off
	s_mov_b32 s0, 0
	s_mov_b32 s8, -1
	s_wait_loadcnt 0x0
	v_lshlrev_b32_e32 v0, 16, v0
	s_delay_alu instid0(VALU_DEP_1)
	v_cvt_i32_f32_e32 v0, v0
	s_branch .LBB86_5275
.LBB86_5266:
	s_mov_b32 s0, -1
	s_mov_b32 s8, 0
                                        ; implicit-def: $vgpr0
	s_branch .LBB86_5337
.LBB86_5267:
	s_mov_b32 s9, -1
	s_mov_b32 s8, 0
	s_mov_b32 s0, 0
                                        ; implicit-def: $vgpr0
	s_branch .LBB86_5302
.LBB86_5268:
	s_mov_b32 s9, -1
	s_mov_b32 s8, 0
	s_mov_b32 s0, 0
                                        ; implicit-def: $vgpr0
	s_branch .LBB86_5285
.LBB86_5269:
	s_mov_b32 s9, -1
	s_mov_b32 s8, 0
	s_mov_b32 s0, 0
                                        ; implicit-def: $vgpr0
	s_branch .LBB86_5280
.LBB86_5270:
	s_or_b32 s23, s23, exec_lo
	s_trap 2
	s_cbranch_execz .LBB86_5207
	s_branch .LBB86_5208
.LBB86_5271:
	s_mov_b32 s9, -1
	s_mov_b32 s8, 0
	s_mov_b32 s0, 0
	s_branch .LBB86_5274
.LBB86_5272:
	s_or_b32 s62, s55, exec_lo
	s_trap 2
                                        ; implicit-def: $vgpr0
                                        ; implicit-def: $vgpr2
                                        ; implicit-def: $vgpr4
                                        ; implicit-def: $vgpr10
                                        ; implicit-def: $vgpr6
                                        ; implicit-def: $vgpr12
                                        ; implicit-def: $vgpr8
                                        ; implicit-def: $vgpr16
                                        ; implicit-def: $vgpr25
                                        ; implicit-def: $vgpr22
                                        ; implicit-def: $vgpr23
                                        ; implicit-def: $vgpr24
	s_or_saveexec_b32 s65, s0
                                        ; implicit-def: $vgpr14_vgpr15
                                        ; implicit-def: $sgpr0
	s_delay_alu instid0(SALU_CYCLE_1)
	s_xor_b32 exec_lo, exec_lo, s65
	s_cbranch_execz .LBB86_5654
	s_branch .LBB86_4980
.LBB86_5273:
	s_mov_b32 s0, -1
	s_mov_b32 s8, 0
.LBB86_5274:
                                        ; implicit-def: $vgpr0
.LBB86_5275:
	s_and_b32 vcc_lo, exec_lo, s9
	s_cbranch_vccz .LBB86_5279
; %bb.5276:
	s_cmp_eq_u32 s58, 44
	s_cbranch_scc0 .LBB86_5278
; %bb.5277:
	global_load_u8 v0, v[2:3], off
	s_mov_b32 s0, 0
	s_mov_b32 s8, -1
	s_wait_loadcnt 0x0
	v_lshlrev_b32_e32 v1, 23, v0
	v_cmp_ne_u32_e32 vcc_lo, 0, v0
	s_delay_alu instid0(VALU_DEP_2) | instskip(NEXT) | instid1(VALU_DEP_1)
	v_cvt_i32_f32_e32 v1, v1
	v_cndmask_b32_e32 v0, 0, v1, vcc_lo
	s_branch .LBB86_5279
.LBB86_5278:
	s_mov_b32 s0, -1
                                        ; implicit-def: $vgpr0
.LBB86_5279:
	s_mov_b32 s9, 0
.LBB86_5280:
	s_delay_alu instid0(SALU_CYCLE_1)
	s_and_b32 vcc_lo, exec_lo, s9
	s_cbranch_vccz .LBB86_5284
; %bb.5281:
	s_cmp_eq_u32 s58, 29
	s_cbranch_scc0 .LBB86_5283
; %bb.5282:
	global_load_b32 v0, v[2:3], off
	s_mov_b32 s0, 0
	s_mov_b32 s8, -1
	s_branch .LBB86_5284
.LBB86_5283:
	s_mov_b32 s0, -1
                                        ; implicit-def: $vgpr0
.LBB86_5284:
	s_mov_b32 s9, 0
.LBB86_5285:
	s_delay_alu instid0(SALU_CYCLE_1)
	s_and_b32 vcc_lo, exec_lo, s9
	s_cbranch_vccz .LBB86_5301
; %bb.5286:
	s_cmp_lt_i32 s58, 27
	s_cbranch_scc1 .LBB86_5289
; %bb.5287:
	s_cmp_gt_i32 s58, 27
	s_cbranch_scc0 .LBB86_5290
; %bb.5288:
	s_wait_loadcnt 0x0
	global_load_b32 v0, v[2:3], off
	s_mov_b32 s8, 0
	s_branch .LBB86_5291
.LBB86_5289:
	s_mov_b32 s8, -1
                                        ; implicit-def: $vgpr0
	s_branch .LBB86_5294
.LBB86_5290:
	s_mov_b32 s8, -1
                                        ; implicit-def: $vgpr0
.LBB86_5291:
	s_delay_alu instid0(SALU_CYCLE_1)
	s_and_not1_b32 vcc_lo, exec_lo, s8
	s_cbranch_vccnz .LBB86_5293
; %bb.5292:
	s_wait_loadcnt 0x0
	global_load_u16 v0, v[2:3], off
.LBB86_5293:
	s_mov_b32 s8, 0
.LBB86_5294:
	s_delay_alu instid0(SALU_CYCLE_1)
	s_and_not1_b32 vcc_lo, exec_lo, s8
	s_cbranch_vccnz .LBB86_5300
; %bb.5295:
	global_load_u8 v1, v[2:3], off
	s_mov_b32 s9, 0
	s_mov_b32 s8, exec_lo
	s_wait_loadcnt 0x0
	v_cmpx_lt_i16_e32 0x7f, v1
	s_xor_b32 s8, exec_lo, s8
	s_cbranch_execz .LBB86_5312
; %bb.5296:
	v_cmp_ne_u16_e32 vcc_lo, 0x80, v1
	s_and_b32 s9, vcc_lo, exec_lo
	s_and_not1_saveexec_b32 s8, s8
	s_cbranch_execnz .LBB86_5313
.LBB86_5297:
	s_or_b32 exec_lo, exec_lo, s8
	v_mov_b32_e32 v0, 0
	s_and_saveexec_b32 s8, s9
	s_cbranch_execz .LBB86_5299
.LBB86_5298:
	v_and_b32_e32 v0, 0xffff, v1
	s_delay_alu instid0(VALU_DEP_1) | instskip(SKIP_1) | instid1(VALU_DEP_2)
	v_and_b32_e32 v4, 7, v0
	v_bfe_u32 v11, v0, 3, 4
	v_clz_i32_u32_e32 v5, v4
	s_delay_alu instid0(VALU_DEP_2) | instskip(NEXT) | instid1(VALU_DEP_2)
	v_cmp_eq_u32_e32 vcc_lo, 0, v11
	v_min_u32_e32 v5, 32, v5
	s_delay_alu instid0(VALU_DEP_1) | instskip(NEXT) | instid1(VALU_DEP_1)
	v_subrev_nc_u32_e32 v10, 28, v5
	v_dual_lshlrev_b32 v0, v10, v0 :: v_dual_sub_nc_u32 v5, 29, v5
	s_delay_alu instid0(VALU_DEP_1) | instskip(NEXT) | instid1(VALU_DEP_1)
	v_dual_lshlrev_b32 v1, 24, v1 :: v_dual_bitop2_b32 v0, 7, v0 bitop3:0x40
	v_dual_cndmask_b32 v0, v4, v0 :: v_dual_cndmask_b32 v5, v11, v5
	s_delay_alu instid0(VALU_DEP_2) | instskip(NEXT) | instid1(VALU_DEP_2)
	v_and_b32_e32 v1, 0x80000000, v1
	v_lshlrev_b32_e32 v0, 20, v0
	s_delay_alu instid0(VALU_DEP_3) | instskip(NEXT) | instid1(VALU_DEP_1)
	v_lshl_add_u32 v4, v5, 23, 0x3b800000
	v_or3_b32 v0, v1, v4, v0
	s_delay_alu instid0(VALU_DEP_1)
	v_cvt_i32_f32_e32 v0, v0
.LBB86_5299:
	s_or_b32 exec_lo, exec_lo, s8
.LBB86_5300:
	s_mov_b32 s8, -1
.LBB86_5301:
	s_mov_b32 s9, 0
.LBB86_5302:
	s_delay_alu instid0(SALU_CYCLE_1)
	s_and_b32 vcc_lo, exec_lo, s9
	s_cbranch_vccz .LBB86_5333
; %bb.5303:
	s_cmp_gt_i32 s58, 22
	s_cbranch_scc0 .LBB86_5311
; %bb.5304:
	s_cmp_lt_i32 s58, 24
	s_cbranch_scc1 .LBB86_5314
; %bb.5305:
	s_cmp_gt_i32 s58, 24
	s_cbranch_scc0 .LBB86_5315
; %bb.5306:
	global_load_u8 v1, v[2:3], off
	s_mov_b32 s8, 0
	s_mov_b32 s5, exec_lo
	s_wait_loadcnt 0x0
	v_cmpx_lt_i16_e32 0x7f, v1
	s_xor_b32 s5, exec_lo, s5
	s_cbranch_execz .LBB86_5327
; %bb.5307:
	v_cmp_ne_u16_e32 vcc_lo, 0x80, v1
	s_and_b32 s8, vcc_lo, exec_lo
	s_and_not1_saveexec_b32 s5, s5
	s_cbranch_execnz .LBB86_5328
.LBB86_5308:
	s_or_b32 exec_lo, exec_lo, s5
	v_mov_b32_e32 v0, 0
	s_and_saveexec_b32 s5, s8
	s_cbranch_execz .LBB86_5310
.LBB86_5309:
	v_and_b32_e32 v0, 0xffff, v1
	s_delay_alu instid0(VALU_DEP_1) | instskip(SKIP_1) | instid1(VALU_DEP_2)
	v_and_b32_e32 v4, 3, v0
	v_bfe_u32 v11, v0, 2, 5
	v_clz_i32_u32_e32 v5, v4
	s_delay_alu instid0(VALU_DEP_2) | instskip(NEXT) | instid1(VALU_DEP_2)
	v_cmp_eq_u32_e32 vcc_lo, 0, v11
	v_min_u32_e32 v5, 32, v5
	s_delay_alu instid0(VALU_DEP_1) | instskip(NEXT) | instid1(VALU_DEP_1)
	v_subrev_nc_u32_e32 v10, 29, v5
	v_dual_lshlrev_b32 v0, v10, v0 :: v_dual_sub_nc_u32 v5, 30, v5
	s_delay_alu instid0(VALU_DEP_1) | instskip(NEXT) | instid1(VALU_DEP_1)
	v_dual_lshlrev_b32 v1, 24, v1 :: v_dual_bitop2_b32 v0, 3, v0 bitop3:0x40
	v_dual_cndmask_b32 v0, v4, v0 :: v_dual_cndmask_b32 v5, v11, v5
	s_delay_alu instid0(VALU_DEP_2) | instskip(NEXT) | instid1(VALU_DEP_2)
	v_and_b32_e32 v1, 0x80000000, v1
	v_lshlrev_b32_e32 v0, 21, v0
	s_delay_alu instid0(VALU_DEP_3) | instskip(NEXT) | instid1(VALU_DEP_1)
	v_lshl_add_u32 v4, v5, 23, 0x37800000
	v_or3_b32 v0, v1, v4, v0
	s_delay_alu instid0(VALU_DEP_1)
	v_cvt_i32_f32_e32 v0, v0
.LBB86_5310:
	s_or_b32 exec_lo, exec_lo, s5
	s_mov_b32 s5, 0
	s_branch .LBB86_5316
.LBB86_5311:
	s_mov_b32 s5, -1
                                        ; implicit-def: $vgpr0
	s_branch .LBB86_5322
.LBB86_5312:
	s_and_not1_saveexec_b32 s8, s8
	s_cbranch_execz .LBB86_5297
.LBB86_5313:
	v_cmp_ne_u16_e32 vcc_lo, 0, v1
	s_and_not1_b32 s9, s9, exec_lo
	s_and_b32 s10, vcc_lo, exec_lo
	s_delay_alu instid0(SALU_CYCLE_1)
	s_or_b32 s9, s9, s10
	s_or_b32 exec_lo, exec_lo, s8
	v_mov_b32_e32 v0, 0
	s_and_saveexec_b32 s8, s9
	s_cbranch_execnz .LBB86_5298
	s_branch .LBB86_5299
.LBB86_5314:
	s_mov_b32 s5, -1
                                        ; implicit-def: $vgpr0
	s_branch .LBB86_5319
.LBB86_5315:
	s_mov_b32 s5, -1
                                        ; implicit-def: $vgpr0
.LBB86_5316:
	s_delay_alu instid0(SALU_CYCLE_1)
	s_and_b32 vcc_lo, exec_lo, s5
	s_cbranch_vccz .LBB86_5318
; %bb.5317:
	s_wait_loadcnt 0x0
	global_load_u8 v0, v[2:3], off
	s_wait_loadcnt 0x0
	v_lshlrev_b32_e32 v0, 24, v0
	s_delay_alu instid0(VALU_DEP_1) | instskip(NEXT) | instid1(VALU_DEP_1)
	v_and_b32_e32 v1, 0x7f000000, v0
	v_clz_i32_u32_e32 v4, v1
	v_cmp_ne_u32_e32 vcc_lo, 0, v1
	v_add_nc_u32_e32 v10, 0x1000000, v1
	s_delay_alu instid0(VALU_DEP_3) | instskip(NEXT) | instid1(VALU_DEP_1)
	v_min_u32_e32 v4, 32, v4
	v_sub_nc_u32_e64 v4, v4, 4 clamp
	s_delay_alu instid0(VALU_DEP_1) | instskip(NEXT) | instid1(VALU_DEP_1)
	v_dual_lshlrev_b32 v5, v4, v1 :: v_dual_lshlrev_b32 v4, 23, v4
	v_lshrrev_b32_e32 v5, 4, v5
	s_delay_alu instid0(VALU_DEP_1) | instskip(NEXT) | instid1(VALU_DEP_1)
	v_dual_sub_nc_u32 v4, v5, v4 :: v_dual_ashrrev_i32 v5, 8, v10
	v_add_nc_u32_e32 v4, 0x3c000000, v4
	s_delay_alu instid0(VALU_DEP_1) | instskip(NEXT) | instid1(VALU_DEP_1)
	v_and_or_b32 v4, 0x7f800000, v5, v4
	v_cndmask_b32_e32 v1, 0, v4, vcc_lo
	s_delay_alu instid0(VALU_DEP_1) | instskip(NEXT) | instid1(VALU_DEP_1)
	v_and_or_b32 v0, 0x80000000, v0, v1
	v_cvt_i32_f32_e32 v0, v0
.LBB86_5318:
	s_mov_b32 s5, 0
.LBB86_5319:
	s_delay_alu instid0(SALU_CYCLE_1)
	s_and_not1_b32 vcc_lo, exec_lo, s5
	s_cbranch_vccnz .LBB86_5321
; %bb.5320:
	s_wait_loadcnt 0x0
	global_load_u8 v0, v[2:3], off
	s_wait_loadcnt 0x0
	v_lshlrev_b32_e32 v1, 25, v0
	v_lshlrev_b16 v0, 8, v0
	s_delay_alu instid0(VALU_DEP_1) | instskip(SKIP_1) | instid1(VALU_DEP_2)
	v_and_or_b32 v5, 0x7f00, v0, 0.5
	v_bfe_i32 v0, v0, 0, 16
	v_add_f32_e32 v5, -0.5, v5
	v_lshrrev_b32_e32 v4, 4, v1
	v_cmp_gt_u32_e32 vcc_lo, 0x8000000, v1
	s_delay_alu instid0(VALU_DEP_2) | instskip(NEXT) | instid1(VALU_DEP_1)
	v_or_b32_e32 v4, 0x70000000, v4
	v_mul_f32_e32 v4, 0x7800000, v4
	s_delay_alu instid0(VALU_DEP_1) | instskip(NEXT) | instid1(VALU_DEP_1)
	v_cndmask_b32_e32 v1, v4, v5, vcc_lo
	v_and_or_b32 v0, 0x80000000, v0, v1
	s_delay_alu instid0(VALU_DEP_1)
	v_cvt_i32_f32_e32 v0, v0
.LBB86_5321:
	s_mov_b32 s5, 0
	s_mov_b32 s8, -1
.LBB86_5322:
	s_and_not1_b32 vcc_lo, exec_lo, s5
	s_mov_b32 s5, 0
	s_cbranch_vccnz .LBB86_5333
; %bb.5323:
	s_cmp_gt_i32 s58, 14
	s_cbranch_scc0 .LBB86_5326
; %bb.5324:
	s_cmp_eq_u32 s58, 15
	s_cbranch_scc0 .LBB86_5329
; %bb.5325:
	s_wait_loadcnt 0x0
	global_load_u16 v0, v[2:3], off
	s_mov_b32 s0, 0
	s_mov_b32 s8, -1
	s_wait_loadcnt 0x0
	v_lshlrev_b32_e32 v0, 16, v0
	s_delay_alu instid0(VALU_DEP_1)
	v_cvt_i32_f32_e32 v0, v0
	s_branch .LBB86_5331
.LBB86_5326:
	s_mov_b32 s5, -1
	s_branch .LBB86_5330
.LBB86_5327:
	s_and_not1_saveexec_b32 s5, s5
	s_cbranch_execz .LBB86_5308
.LBB86_5328:
	v_cmp_ne_u16_e32 vcc_lo, 0, v1
	s_and_not1_b32 s8, s8, exec_lo
	s_and_b32 s9, vcc_lo, exec_lo
	s_delay_alu instid0(SALU_CYCLE_1)
	s_or_b32 s8, s8, s9
	s_or_b32 exec_lo, exec_lo, s5
	v_mov_b32_e32 v0, 0
	s_and_saveexec_b32 s5, s8
	s_cbranch_execnz .LBB86_5309
	s_branch .LBB86_5310
.LBB86_5329:
	s_mov_b32 s0, -1
.LBB86_5330:
                                        ; implicit-def: $vgpr0
.LBB86_5331:
	s_and_b32 vcc_lo, exec_lo, s5
	s_mov_b32 s5, 0
	s_cbranch_vccz .LBB86_5333
; %bb.5332:
	s_cmp_lg_u32 s58, 11
	s_mov_b32 s5, -1
	s_cselect_b32 s0, -1, 0
.LBB86_5333:
	s_delay_alu instid0(SALU_CYCLE_1)
	s_and_b32 vcc_lo, exec_lo, s0
	s_cbranch_vccnz .LBB86_5398
; %bb.5334:
	s_and_not1_b32 vcc_lo, exec_lo, s5
	s_cbranch_vccnz .LBB86_5336
.LBB86_5335:
	s_wait_loadcnt 0x0
	global_load_u8 v0, v[2:3], off
	s_mov_b32 s8, -1
	s_wait_loadcnt 0x0
	v_cmp_ne_u16_e32 vcc_lo, 0, v0
	v_cndmask_b32_e64 v0, 0, 1, vcc_lo
.LBB86_5336:
	s_mov_b32 s0, 0
.LBB86_5337:
	s_delay_alu instid0(SALU_CYCLE_1)
	s_and_b32 vcc_lo, exec_lo, s0
	s_cbranch_vccz .LBB86_5386
; %bb.5338:
	s_cmp_lt_i32 s58, 5
	s_cbranch_scc1 .LBB86_5343
; %bb.5339:
	s_cmp_lt_i32 s58, 8
	s_cbranch_scc1 .LBB86_5344
	;; [unrolled: 3-line block ×3, first 2 shown]
; %bb.5341:
	s_cmp_gt_i32 s58, 9
	s_cbranch_scc0 .LBB86_5346
; %bb.5342:
	s_wait_loadcnt 0x0
	global_load_b64 v[0:1], v[2:3], off
	s_mov_b32 s0, 0
	s_wait_loadcnt 0x0
	v_cvt_i32_f64_e32 v0, v[0:1]
	s_branch .LBB86_5347
.LBB86_5343:
	s_mov_b32 s0, -1
                                        ; implicit-def: $vgpr0
	s_branch .LBB86_5365
.LBB86_5344:
	s_mov_b32 s0, -1
                                        ; implicit-def: $vgpr0
	s_branch .LBB86_5353
.LBB86_5345:
	s_mov_b32 s0, -1
                                        ; implicit-def: $vgpr0
	s_branch .LBB86_5350
.LBB86_5346:
	s_mov_b32 s0, -1
                                        ; implicit-def: $vgpr0
.LBB86_5347:
	s_delay_alu instid0(SALU_CYCLE_1)
	s_and_not1_b32 vcc_lo, exec_lo, s0
	s_cbranch_vccnz .LBB86_5349
; %bb.5348:
	s_wait_loadcnt 0x0
	global_load_b32 v0, v[2:3], off
	s_wait_loadcnt 0x0
	v_cvt_i32_f32_e32 v0, v0
.LBB86_5349:
	s_mov_b32 s0, 0
.LBB86_5350:
	s_delay_alu instid0(SALU_CYCLE_1)
	s_and_not1_b32 vcc_lo, exec_lo, s0
	s_cbranch_vccnz .LBB86_5352
; %bb.5351:
	s_wait_loadcnt 0x0
	global_load_b32 v0, v[2:3], off
	s_wait_loadcnt 0x0
	v_cvt_f32_f16_e32 v0, v0
	s_delay_alu instid0(VALU_DEP_1)
	v_cvt_i32_f32_e32 v0, v0
.LBB86_5352:
	s_mov_b32 s0, 0
.LBB86_5353:
	s_delay_alu instid0(SALU_CYCLE_1)
	s_and_not1_b32 vcc_lo, exec_lo, s0
	s_cbranch_vccnz .LBB86_5364
; %bb.5354:
	s_cmp_lt_i32 s58, 6
	s_cbranch_scc1 .LBB86_5357
; %bb.5355:
	s_cmp_gt_i32 s58, 6
	s_cbranch_scc0 .LBB86_5358
; %bb.5356:
	s_wait_loadcnt 0x0
	global_load_b64 v[0:1], v[2:3], off
	s_mov_b32 s0, 0
	s_wait_loadcnt 0x0
	v_cvt_i32_f64_e32 v0, v[0:1]
	s_branch .LBB86_5359
.LBB86_5357:
	s_mov_b32 s0, -1
                                        ; implicit-def: $vgpr0
	s_branch .LBB86_5362
.LBB86_5358:
	s_mov_b32 s0, -1
                                        ; implicit-def: $vgpr0
.LBB86_5359:
	s_delay_alu instid0(SALU_CYCLE_1)
	s_and_not1_b32 vcc_lo, exec_lo, s0
	s_cbranch_vccnz .LBB86_5361
; %bb.5360:
	s_wait_loadcnt 0x0
	global_load_b32 v0, v[2:3], off
	s_wait_loadcnt 0x0
	v_cvt_i32_f32_e32 v0, v0
.LBB86_5361:
	s_mov_b32 s0, 0
.LBB86_5362:
	s_delay_alu instid0(SALU_CYCLE_1)
	s_and_not1_b32 vcc_lo, exec_lo, s0
	s_cbranch_vccnz .LBB86_5364
; %bb.5363:
	s_wait_loadcnt 0x0
	global_load_u16 v0, v[2:3], off
	s_wait_loadcnt 0x0
	v_cvt_f32_f16_e32 v0, v0
	s_delay_alu instid0(VALU_DEP_1)
	v_cvt_i32_f32_e32 v0, v0
.LBB86_5364:
	s_mov_b32 s0, 0
.LBB86_5365:
	s_delay_alu instid0(SALU_CYCLE_1)
	s_and_not1_b32 vcc_lo, exec_lo, s0
	s_cbranch_vccnz .LBB86_5385
; %bb.5366:
	s_cmp_lt_i32 s58, 2
	s_cbranch_scc1 .LBB86_5370
; %bb.5367:
	s_cmp_lt_i32 s58, 3
	s_cbranch_scc1 .LBB86_5371
; %bb.5368:
	s_cmp_gt_i32 s58, 3
	s_cbranch_scc0 .LBB86_5372
; %bb.5369:
	s_wait_loadcnt 0x0
	global_load_b32 v0, v[2:3], off
	s_mov_b32 s0, 0
	s_branch .LBB86_5373
.LBB86_5370:
	s_mov_b32 s0, -1
                                        ; implicit-def: $vgpr0
	s_branch .LBB86_5379
.LBB86_5371:
	s_mov_b32 s0, -1
                                        ; implicit-def: $vgpr0
	s_branch .LBB86_5376
.LBB86_5372:
	s_mov_b32 s0, -1
                                        ; implicit-def: $vgpr0
.LBB86_5373:
	s_delay_alu instid0(SALU_CYCLE_1)
	s_and_not1_b32 vcc_lo, exec_lo, s0
	s_cbranch_vccnz .LBB86_5375
; %bb.5374:
	s_wait_loadcnt 0x0
	global_load_b32 v0, v[2:3], off
.LBB86_5375:
	s_mov_b32 s0, 0
.LBB86_5376:
	s_delay_alu instid0(SALU_CYCLE_1)
	s_and_not1_b32 vcc_lo, exec_lo, s0
	s_cbranch_vccnz .LBB86_5378
; %bb.5377:
	s_wait_loadcnt 0x0
	global_load_i16 v0, v[2:3], off
.LBB86_5378:
	s_mov_b32 s0, 0
.LBB86_5379:
	s_delay_alu instid0(SALU_CYCLE_1)
	s_and_not1_b32 vcc_lo, exec_lo, s0
	s_cbranch_vccnz .LBB86_5385
; %bb.5380:
	s_cmp_gt_i32 s58, 0
	s_mov_b32 s0, 0
	s_cbranch_scc0 .LBB86_5382
; %bb.5381:
	s_wait_loadcnt 0x0
	global_load_i8 v0, v[2:3], off
	s_branch .LBB86_5383
.LBB86_5382:
	s_mov_b32 s0, -1
                                        ; implicit-def: $vgpr0
.LBB86_5383:
	s_delay_alu instid0(SALU_CYCLE_1)
	s_and_not1_b32 vcc_lo, exec_lo, s0
	s_cbranch_vccnz .LBB86_5385
; %bb.5384:
	s_wait_loadcnt 0x0
	global_load_u8 v0, v[2:3], off
.LBB86_5385:
	s_mov_b32 s8, -1
.LBB86_5386:
	s_delay_alu instid0(SALU_CYCLE_1)
	s_and_not1_b32 vcc_lo, exec_lo, s8
	s_cbranch_vccnz .LBB86_5650
; %bb.5387:
	s_wait_xcnt 0x0
	v_add_nc_u32_e32 v2, s63, v6
	s_cmp_lt_i32 s59, 11
	s_delay_alu instid0(VALU_DEP_1) | instskip(NEXT) | instid1(VALU_DEP_1)
	v_ashrrev_i32_e32 v3, 31, v2
	v_add_nc_u64_e32 v[4:5], s[14:15], v[2:3]
	s_cbranch_scc1 .LBB86_5394
; %bb.5388:
	s_cmp_gt_i32 s59, 25
	s_mov_b32 s5, 0
	s_cbranch_scc0 .LBB86_5395
; %bb.5389:
	s_cmp_gt_i32 s59, 28
	s_cbranch_scc0 .LBB86_5396
; %bb.5390:
	s_cmp_gt_i32 s59, 43
	;; [unrolled: 3-line block ×3, first 2 shown]
	s_cbranch_scc0 .LBB86_5399
; %bb.5392:
	s_cmp_eq_u32 s59, 46
	s_mov_b32 s9, 0
	s_cbranch_scc0 .LBB86_5401
; %bb.5393:
	global_load_b32 v1, v[4:5], off
	s_mov_b32 s0, 0
	s_mov_b32 s8, -1
	s_wait_loadcnt 0x0
	v_lshlrev_b32_e32 v1, 16, v1
	s_delay_alu instid0(VALU_DEP_1)
	v_cvt_i32_f32_e32 v2, v1
	s_branch .LBB86_5403
.LBB86_5394:
	s_mov_b32 s0, -1
	s_mov_b32 s8, 0
                                        ; implicit-def: $vgpr2
	s_branch .LBB86_5465
.LBB86_5395:
	s_mov_b32 s9, -1
	s_mov_b32 s8, 0
	s_mov_b32 s0, 0
                                        ; implicit-def: $vgpr2
	s_branch .LBB86_5430
.LBB86_5396:
	s_mov_b32 s9, -1
	s_mov_b32 s8, 0
	s_mov_b32 s0, 0
                                        ; implicit-def: $vgpr2
	s_branch .LBB86_5413
.LBB86_5397:
	s_mov_b32 s9, -1
	s_mov_b32 s8, 0
	s_mov_b32 s0, 0
                                        ; implicit-def: $vgpr2
	s_branch .LBB86_5408
.LBB86_5398:
	s_or_b32 s23, s23, exec_lo
	s_trap 2
	s_cbranch_execz .LBB86_5335
	s_branch .LBB86_5336
.LBB86_5399:
	s_mov_b32 s9, -1
	s_mov_b32 s8, 0
	s_mov_b32 s0, 0
	s_branch .LBB86_5402
.LBB86_5400:
	s_or_b32 s66, s62, exec_lo
	s_trap 2
                                        ; implicit-def: $vgpr0
                                        ; implicit-def: $vgpr2
                                        ; implicit-def: $vgpr4
                                        ; implicit-def: $vgpr10
                                        ; implicit-def: $vgpr6
                                        ; implicit-def: $vgpr12
                                        ; implicit-def: $vgpr8
                                        ; implicit-def: $vgpr16
                                        ; implicit-def: $vgpr25
                                        ; implicit-def: $vgpr22
                                        ; implicit-def: $vgpr23
                                        ; implicit-def: $vgpr24
	s_branch .LBB86_4981
.LBB86_5401:
	s_mov_b32 s0, -1
	s_mov_b32 s8, 0
.LBB86_5402:
                                        ; implicit-def: $vgpr2
.LBB86_5403:
	s_and_b32 vcc_lo, exec_lo, s9
	s_cbranch_vccz .LBB86_5407
; %bb.5404:
	s_cmp_eq_u32 s59, 44
	s_cbranch_scc0 .LBB86_5406
; %bb.5405:
	global_load_u8 v1, v[4:5], off
	s_mov_b32 s0, 0
	s_mov_b32 s8, -1
	s_wait_loadcnt 0x0
	v_lshlrev_b32_e32 v2, 23, v1
	v_cmp_ne_u32_e32 vcc_lo, 0, v1
	s_delay_alu instid0(VALU_DEP_2) | instskip(NEXT) | instid1(VALU_DEP_1)
	v_cvt_i32_f32_e32 v2, v2
	v_cndmask_b32_e32 v2, 0, v2, vcc_lo
	s_branch .LBB86_5407
.LBB86_5406:
	s_mov_b32 s0, -1
                                        ; implicit-def: $vgpr2
.LBB86_5407:
	s_mov_b32 s9, 0
.LBB86_5408:
	s_delay_alu instid0(SALU_CYCLE_1)
	s_and_b32 vcc_lo, exec_lo, s9
	s_cbranch_vccz .LBB86_5412
; %bb.5409:
	s_cmp_eq_u32 s59, 29
	s_cbranch_scc0 .LBB86_5411
; %bb.5410:
	global_load_b32 v2, v[4:5], off
	s_mov_b32 s0, 0
	s_mov_b32 s8, -1
	s_branch .LBB86_5412
.LBB86_5411:
	s_mov_b32 s0, -1
                                        ; implicit-def: $vgpr2
.LBB86_5412:
	s_mov_b32 s9, 0
.LBB86_5413:
	s_delay_alu instid0(SALU_CYCLE_1)
	s_and_b32 vcc_lo, exec_lo, s9
	s_cbranch_vccz .LBB86_5429
; %bb.5414:
	s_cmp_lt_i32 s59, 27
	s_cbranch_scc1 .LBB86_5417
; %bb.5415:
	s_cmp_gt_i32 s59, 27
	s_cbranch_scc0 .LBB86_5418
; %bb.5416:
	s_wait_loadcnt 0x0
	global_load_b32 v2, v[4:5], off
	s_mov_b32 s8, 0
	s_branch .LBB86_5419
.LBB86_5417:
	s_mov_b32 s8, -1
                                        ; implicit-def: $vgpr2
	s_branch .LBB86_5422
.LBB86_5418:
	s_mov_b32 s8, -1
                                        ; implicit-def: $vgpr2
.LBB86_5419:
	s_delay_alu instid0(SALU_CYCLE_1)
	s_and_not1_b32 vcc_lo, exec_lo, s8
	s_cbranch_vccnz .LBB86_5421
; %bb.5420:
	s_wait_loadcnt 0x0
	global_load_u16 v2, v[4:5], off
.LBB86_5421:
	s_mov_b32 s8, 0
.LBB86_5422:
	s_delay_alu instid0(SALU_CYCLE_1)
	s_and_not1_b32 vcc_lo, exec_lo, s8
	s_cbranch_vccnz .LBB86_5428
; %bb.5423:
	global_load_u8 v1, v[4:5], off
	s_mov_b32 s9, 0
	s_mov_b32 s8, exec_lo
	s_wait_loadcnt 0x0
	v_cmpx_lt_i16_e32 0x7f, v1
	s_xor_b32 s8, exec_lo, s8
	s_cbranch_execz .LBB86_5440
; %bb.5424:
	v_cmp_ne_u16_e32 vcc_lo, 0x80, v1
	s_and_b32 s9, vcc_lo, exec_lo
	s_and_not1_saveexec_b32 s8, s8
	s_cbranch_execnz .LBB86_5441
.LBB86_5425:
	s_or_b32 exec_lo, exec_lo, s8
	v_mov_b32_e32 v2, 0
	s_and_saveexec_b32 s8, s9
	s_cbranch_execz .LBB86_5427
.LBB86_5426:
	v_and_b32_e32 v2, 0xffff, v1
	s_delay_alu instid0(VALU_DEP_1) | instskip(SKIP_1) | instid1(VALU_DEP_2)
	v_dual_lshlrev_b32 v1, 24, v1 :: v_dual_bitop2_b32 v3, 7, v2 bitop3:0x40
	v_bfe_u32 v11, v2, 3, 4
	v_and_b32_e32 v1, 0x80000000, v1
	s_delay_alu instid0(VALU_DEP_3) | instskip(NEXT) | instid1(VALU_DEP_3)
	v_clz_i32_u32_e32 v6, v3
	v_cmp_eq_u32_e32 vcc_lo, 0, v11
	s_delay_alu instid0(VALU_DEP_2) | instskip(NEXT) | instid1(VALU_DEP_1)
	v_min_u32_e32 v6, 32, v6
	v_subrev_nc_u32_e32 v10, 28, v6
	v_sub_nc_u32_e32 v6, 29, v6
	s_delay_alu instid0(VALU_DEP_2) | instskip(NEXT) | instid1(VALU_DEP_2)
	v_lshlrev_b32_e32 v2, v10, v2
	v_cndmask_b32_e32 v6, v11, v6, vcc_lo
	s_delay_alu instid0(VALU_DEP_2) | instskip(NEXT) | instid1(VALU_DEP_1)
	v_and_b32_e32 v2, 7, v2
	v_cndmask_b32_e32 v2, v3, v2, vcc_lo
	s_delay_alu instid0(VALU_DEP_3) | instskip(NEXT) | instid1(VALU_DEP_2)
	v_lshl_add_u32 v3, v6, 23, 0x3b800000
	v_lshlrev_b32_e32 v2, 20, v2
	s_delay_alu instid0(VALU_DEP_1) | instskip(NEXT) | instid1(VALU_DEP_1)
	v_or3_b32 v1, v1, v3, v2
	v_cvt_i32_f32_e32 v2, v1
.LBB86_5427:
	s_or_b32 exec_lo, exec_lo, s8
.LBB86_5428:
	s_mov_b32 s8, -1
.LBB86_5429:
	s_mov_b32 s9, 0
.LBB86_5430:
	s_delay_alu instid0(SALU_CYCLE_1)
	s_and_b32 vcc_lo, exec_lo, s9
	s_cbranch_vccz .LBB86_5461
; %bb.5431:
	s_cmp_gt_i32 s59, 22
	s_cbranch_scc0 .LBB86_5439
; %bb.5432:
	s_cmp_lt_i32 s59, 24
	s_cbranch_scc1 .LBB86_5442
; %bb.5433:
	s_cmp_gt_i32 s59, 24
	s_cbranch_scc0 .LBB86_5443
; %bb.5434:
	global_load_u8 v1, v[4:5], off
	s_mov_b32 s8, 0
	s_mov_b32 s5, exec_lo
	s_wait_loadcnt 0x0
	v_cmpx_lt_i16_e32 0x7f, v1
	s_xor_b32 s5, exec_lo, s5
	s_cbranch_execz .LBB86_5455
; %bb.5435:
	v_cmp_ne_u16_e32 vcc_lo, 0x80, v1
	s_and_b32 s8, vcc_lo, exec_lo
	s_and_not1_saveexec_b32 s5, s5
	s_cbranch_execnz .LBB86_5456
.LBB86_5436:
	s_or_b32 exec_lo, exec_lo, s5
	v_mov_b32_e32 v2, 0
	s_and_saveexec_b32 s5, s8
	s_cbranch_execz .LBB86_5438
.LBB86_5437:
	v_and_b32_e32 v2, 0xffff, v1
	s_delay_alu instid0(VALU_DEP_1) | instskip(SKIP_1) | instid1(VALU_DEP_2)
	v_dual_lshlrev_b32 v1, 24, v1 :: v_dual_bitop2_b32 v3, 3, v2 bitop3:0x40
	v_bfe_u32 v11, v2, 2, 5
	v_and_b32_e32 v1, 0x80000000, v1
	s_delay_alu instid0(VALU_DEP_3) | instskip(NEXT) | instid1(VALU_DEP_3)
	v_clz_i32_u32_e32 v6, v3
	v_cmp_eq_u32_e32 vcc_lo, 0, v11
	s_delay_alu instid0(VALU_DEP_2) | instskip(NEXT) | instid1(VALU_DEP_1)
	v_min_u32_e32 v6, 32, v6
	v_subrev_nc_u32_e32 v10, 29, v6
	v_sub_nc_u32_e32 v6, 30, v6
	s_delay_alu instid0(VALU_DEP_2) | instskip(NEXT) | instid1(VALU_DEP_2)
	v_lshlrev_b32_e32 v2, v10, v2
	v_cndmask_b32_e32 v6, v11, v6, vcc_lo
	s_delay_alu instid0(VALU_DEP_2) | instskip(NEXT) | instid1(VALU_DEP_1)
	v_and_b32_e32 v2, 3, v2
	v_cndmask_b32_e32 v2, v3, v2, vcc_lo
	s_delay_alu instid0(VALU_DEP_3) | instskip(NEXT) | instid1(VALU_DEP_2)
	v_lshl_add_u32 v3, v6, 23, 0x37800000
	v_lshlrev_b32_e32 v2, 21, v2
	s_delay_alu instid0(VALU_DEP_1) | instskip(NEXT) | instid1(VALU_DEP_1)
	v_or3_b32 v1, v1, v3, v2
	v_cvt_i32_f32_e32 v2, v1
.LBB86_5438:
	s_or_b32 exec_lo, exec_lo, s5
	s_mov_b32 s5, 0
	s_branch .LBB86_5444
.LBB86_5439:
	s_mov_b32 s5, -1
                                        ; implicit-def: $vgpr2
	s_branch .LBB86_5450
.LBB86_5440:
	s_and_not1_saveexec_b32 s8, s8
	s_cbranch_execz .LBB86_5425
.LBB86_5441:
	v_cmp_ne_u16_e32 vcc_lo, 0, v1
	s_and_not1_b32 s9, s9, exec_lo
	s_and_b32 s10, vcc_lo, exec_lo
	s_delay_alu instid0(SALU_CYCLE_1)
	s_or_b32 s9, s9, s10
	s_or_b32 exec_lo, exec_lo, s8
	v_mov_b32_e32 v2, 0
	s_and_saveexec_b32 s8, s9
	s_cbranch_execnz .LBB86_5426
	s_branch .LBB86_5427
.LBB86_5442:
	s_mov_b32 s5, -1
                                        ; implicit-def: $vgpr2
	s_branch .LBB86_5447
.LBB86_5443:
	s_mov_b32 s5, -1
                                        ; implicit-def: $vgpr2
.LBB86_5444:
	s_delay_alu instid0(SALU_CYCLE_1)
	s_and_b32 vcc_lo, exec_lo, s5
	s_cbranch_vccz .LBB86_5446
; %bb.5445:
	global_load_u8 v1, v[4:5], off
	s_wait_loadcnt 0x0
	v_lshlrev_b32_e32 v1, 24, v1
	s_delay_alu instid0(VALU_DEP_1) | instskip(NEXT) | instid1(VALU_DEP_1)
	v_and_b32_e32 v2, 0x7f000000, v1
	v_clz_i32_u32_e32 v3, v2
	v_add_nc_u32_e32 v10, 0x1000000, v2
	v_cmp_ne_u32_e32 vcc_lo, 0, v2
	s_delay_alu instid0(VALU_DEP_3) | instskip(NEXT) | instid1(VALU_DEP_1)
	v_min_u32_e32 v3, 32, v3
	v_sub_nc_u32_e64 v3, v3, 4 clamp
	s_delay_alu instid0(VALU_DEP_1) | instskip(NEXT) | instid1(VALU_DEP_1)
	v_dual_lshlrev_b32 v6, v3, v2 :: v_dual_lshlrev_b32 v3, 23, v3
	v_lshrrev_b32_e32 v6, 4, v6
	s_delay_alu instid0(VALU_DEP_1) | instskip(NEXT) | instid1(VALU_DEP_1)
	v_dual_sub_nc_u32 v3, v6, v3 :: v_dual_ashrrev_i32 v6, 8, v10
	v_add_nc_u32_e32 v3, 0x3c000000, v3
	s_delay_alu instid0(VALU_DEP_1) | instskip(NEXT) | instid1(VALU_DEP_1)
	v_and_or_b32 v3, 0x7f800000, v6, v3
	v_cndmask_b32_e32 v2, 0, v3, vcc_lo
	s_delay_alu instid0(VALU_DEP_1) | instskip(NEXT) | instid1(VALU_DEP_1)
	v_and_or_b32 v1, 0x80000000, v1, v2
	v_cvt_i32_f32_e32 v2, v1
.LBB86_5446:
	s_mov_b32 s5, 0
.LBB86_5447:
	s_delay_alu instid0(SALU_CYCLE_1)
	s_and_not1_b32 vcc_lo, exec_lo, s5
	s_cbranch_vccnz .LBB86_5449
; %bb.5448:
	global_load_u8 v1, v[4:5], off
	s_wait_loadcnt 0x0
	v_lshlrev_b32_e32 v2, 25, v1
	v_lshlrev_b16 v1, 8, v1
	s_delay_alu instid0(VALU_DEP_1) | instskip(SKIP_1) | instid1(VALU_DEP_2)
	v_and_or_b32 v6, 0x7f00, v1, 0.5
	v_bfe_i32 v1, v1, 0, 16
	v_add_f32_e32 v6, -0.5, v6
	v_lshrrev_b32_e32 v3, 4, v2
	v_cmp_gt_u32_e32 vcc_lo, 0x8000000, v2
	s_delay_alu instid0(VALU_DEP_2) | instskip(NEXT) | instid1(VALU_DEP_1)
	v_or_b32_e32 v3, 0x70000000, v3
	v_mul_f32_e32 v3, 0x7800000, v3
	s_delay_alu instid0(VALU_DEP_1) | instskip(NEXT) | instid1(VALU_DEP_1)
	v_cndmask_b32_e32 v2, v3, v6, vcc_lo
	v_and_or_b32 v1, 0x80000000, v1, v2
	s_delay_alu instid0(VALU_DEP_1)
	v_cvt_i32_f32_e32 v2, v1
.LBB86_5449:
	s_mov_b32 s5, 0
	s_mov_b32 s8, -1
.LBB86_5450:
	s_and_not1_b32 vcc_lo, exec_lo, s5
	s_mov_b32 s5, 0
	s_cbranch_vccnz .LBB86_5461
; %bb.5451:
	s_cmp_gt_i32 s59, 14
	s_cbranch_scc0 .LBB86_5454
; %bb.5452:
	s_cmp_eq_u32 s59, 15
	s_cbranch_scc0 .LBB86_5457
; %bb.5453:
	global_load_u16 v1, v[4:5], off
	s_mov_b32 s0, 0
	s_mov_b32 s8, -1
	s_wait_loadcnt 0x0
	v_lshlrev_b32_e32 v1, 16, v1
	s_delay_alu instid0(VALU_DEP_1)
	v_cvt_i32_f32_e32 v2, v1
	s_branch .LBB86_5459
.LBB86_5454:
	s_mov_b32 s5, -1
	s_branch .LBB86_5458
.LBB86_5455:
	s_and_not1_saveexec_b32 s5, s5
	s_cbranch_execz .LBB86_5436
.LBB86_5456:
	v_cmp_ne_u16_e32 vcc_lo, 0, v1
	s_and_not1_b32 s8, s8, exec_lo
	s_and_b32 s9, vcc_lo, exec_lo
	s_delay_alu instid0(SALU_CYCLE_1)
	s_or_b32 s8, s8, s9
	s_or_b32 exec_lo, exec_lo, s5
	v_mov_b32_e32 v2, 0
	s_and_saveexec_b32 s5, s8
	s_cbranch_execnz .LBB86_5437
	s_branch .LBB86_5438
.LBB86_5457:
	s_mov_b32 s0, -1
.LBB86_5458:
                                        ; implicit-def: $vgpr2
.LBB86_5459:
	s_and_b32 vcc_lo, exec_lo, s5
	s_mov_b32 s5, 0
	s_cbranch_vccz .LBB86_5461
; %bb.5460:
	s_cmp_lg_u32 s59, 11
	s_mov_b32 s5, -1
	s_cselect_b32 s0, -1, 0
.LBB86_5461:
	s_delay_alu instid0(SALU_CYCLE_1)
	s_and_b32 vcc_lo, exec_lo, s0
	s_cbranch_vccnz .LBB86_5526
; %bb.5462:
	s_and_not1_b32 vcc_lo, exec_lo, s5
	s_cbranch_vccnz .LBB86_5464
.LBB86_5463:
	global_load_u8 v1, v[4:5], off
	s_mov_b32 s8, -1
	s_wait_loadcnt 0x0
	v_cmp_ne_u16_e32 vcc_lo, 0, v1
	v_cndmask_b32_e64 v2, 0, 1, vcc_lo
.LBB86_5464:
	s_mov_b32 s0, 0
.LBB86_5465:
	s_delay_alu instid0(SALU_CYCLE_1)
	s_and_b32 vcc_lo, exec_lo, s0
	s_cbranch_vccz .LBB86_5514
; %bb.5466:
	s_cmp_lt_i32 s59, 5
	s_cbranch_scc1 .LBB86_5471
; %bb.5467:
	s_cmp_lt_i32 s59, 8
	s_cbranch_scc1 .LBB86_5472
	;; [unrolled: 3-line block ×3, first 2 shown]
; %bb.5469:
	s_cmp_gt_i32 s59, 9
	s_cbranch_scc0 .LBB86_5474
; %bb.5470:
	s_wait_loadcnt 0x0
	global_load_b64 v[2:3], v[4:5], off
	s_mov_b32 s0, 0
	s_wait_loadcnt 0x0
	v_cvt_i32_f64_e32 v2, v[2:3]
	s_branch .LBB86_5475
.LBB86_5471:
	s_mov_b32 s0, -1
                                        ; implicit-def: $vgpr2
	s_branch .LBB86_5493
.LBB86_5472:
	s_mov_b32 s0, -1
                                        ; implicit-def: $vgpr2
	s_branch .LBB86_5481
.LBB86_5473:
	s_mov_b32 s0, -1
                                        ; implicit-def: $vgpr2
	s_branch .LBB86_5478
.LBB86_5474:
	s_mov_b32 s0, -1
                                        ; implicit-def: $vgpr2
.LBB86_5475:
	s_delay_alu instid0(SALU_CYCLE_1)
	s_and_not1_b32 vcc_lo, exec_lo, s0
	s_cbranch_vccnz .LBB86_5477
; %bb.5476:
	global_load_b32 v1, v[4:5], off
	s_wait_loadcnt 0x0
	v_cvt_i32_f32_e32 v2, v1
.LBB86_5477:
	s_mov_b32 s0, 0
.LBB86_5478:
	s_delay_alu instid0(SALU_CYCLE_1)
	s_and_not1_b32 vcc_lo, exec_lo, s0
	s_cbranch_vccnz .LBB86_5480
; %bb.5479:
	global_load_b32 v1, v[4:5], off
	s_wait_loadcnt 0x0
	v_cvt_f32_f16_e32 v1, v1
	s_delay_alu instid0(VALU_DEP_1)
	v_cvt_i32_f32_e32 v2, v1
.LBB86_5480:
	s_mov_b32 s0, 0
.LBB86_5481:
	s_delay_alu instid0(SALU_CYCLE_1)
	s_and_not1_b32 vcc_lo, exec_lo, s0
	s_cbranch_vccnz .LBB86_5492
; %bb.5482:
	s_cmp_lt_i32 s59, 6
	s_cbranch_scc1 .LBB86_5485
; %bb.5483:
	s_cmp_gt_i32 s59, 6
	s_cbranch_scc0 .LBB86_5486
; %bb.5484:
	s_wait_loadcnt 0x0
	global_load_b64 v[2:3], v[4:5], off
	s_mov_b32 s0, 0
	s_wait_loadcnt 0x0
	v_cvt_i32_f64_e32 v2, v[2:3]
	s_branch .LBB86_5487
.LBB86_5485:
	s_mov_b32 s0, -1
                                        ; implicit-def: $vgpr2
	s_branch .LBB86_5490
.LBB86_5486:
	s_mov_b32 s0, -1
                                        ; implicit-def: $vgpr2
.LBB86_5487:
	s_delay_alu instid0(SALU_CYCLE_1)
	s_and_not1_b32 vcc_lo, exec_lo, s0
	s_cbranch_vccnz .LBB86_5489
; %bb.5488:
	global_load_b32 v1, v[4:5], off
	s_wait_loadcnt 0x0
	v_cvt_i32_f32_e32 v2, v1
.LBB86_5489:
	s_mov_b32 s0, 0
.LBB86_5490:
	s_delay_alu instid0(SALU_CYCLE_1)
	s_and_not1_b32 vcc_lo, exec_lo, s0
	s_cbranch_vccnz .LBB86_5492
; %bb.5491:
	global_load_u16 v1, v[4:5], off
	s_wait_loadcnt 0x0
	v_cvt_f32_f16_e32 v1, v1
	s_delay_alu instid0(VALU_DEP_1)
	v_cvt_i32_f32_e32 v2, v1
.LBB86_5492:
	s_mov_b32 s0, 0
.LBB86_5493:
	s_delay_alu instid0(SALU_CYCLE_1)
	s_and_not1_b32 vcc_lo, exec_lo, s0
	s_cbranch_vccnz .LBB86_5513
; %bb.5494:
	s_cmp_lt_i32 s59, 2
	s_cbranch_scc1 .LBB86_5498
; %bb.5495:
	s_cmp_lt_i32 s59, 3
	s_cbranch_scc1 .LBB86_5499
; %bb.5496:
	s_cmp_gt_i32 s59, 3
	s_cbranch_scc0 .LBB86_5500
; %bb.5497:
	s_wait_loadcnt 0x0
	global_load_b32 v2, v[4:5], off
	s_mov_b32 s0, 0
	s_branch .LBB86_5501
.LBB86_5498:
	s_mov_b32 s0, -1
                                        ; implicit-def: $vgpr2
	s_branch .LBB86_5507
.LBB86_5499:
	s_mov_b32 s0, -1
                                        ; implicit-def: $vgpr2
	s_branch .LBB86_5504
.LBB86_5500:
	s_mov_b32 s0, -1
                                        ; implicit-def: $vgpr2
.LBB86_5501:
	s_delay_alu instid0(SALU_CYCLE_1)
	s_and_not1_b32 vcc_lo, exec_lo, s0
	s_cbranch_vccnz .LBB86_5503
; %bb.5502:
	s_wait_loadcnt 0x0
	global_load_b32 v2, v[4:5], off
.LBB86_5503:
	s_mov_b32 s0, 0
.LBB86_5504:
	s_delay_alu instid0(SALU_CYCLE_1)
	s_and_not1_b32 vcc_lo, exec_lo, s0
	s_cbranch_vccnz .LBB86_5506
; %bb.5505:
	s_wait_loadcnt 0x0
	global_load_i16 v2, v[4:5], off
.LBB86_5506:
	s_mov_b32 s0, 0
.LBB86_5507:
	s_delay_alu instid0(SALU_CYCLE_1)
	s_and_not1_b32 vcc_lo, exec_lo, s0
	s_cbranch_vccnz .LBB86_5513
; %bb.5508:
	s_cmp_gt_i32 s59, 0
	s_mov_b32 s0, 0
	s_cbranch_scc0 .LBB86_5510
; %bb.5509:
	s_wait_loadcnt 0x0
	global_load_i8 v2, v[4:5], off
	s_branch .LBB86_5511
.LBB86_5510:
	s_mov_b32 s0, -1
                                        ; implicit-def: $vgpr2
.LBB86_5511:
	s_delay_alu instid0(SALU_CYCLE_1)
	s_and_not1_b32 vcc_lo, exec_lo, s0
	s_cbranch_vccnz .LBB86_5513
; %bb.5512:
	s_wait_loadcnt 0x0
	global_load_u8 v2, v[4:5], off
.LBB86_5513:
	s_mov_b32 s8, -1
.LBB86_5514:
	s_delay_alu instid0(SALU_CYCLE_1)
	s_and_not1_b32 vcc_lo, exec_lo, s8
	s_cbranch_vccnz .LBB86_5650
; %bb.5515:
	s_wait_xcnt 0x0
	v_add_nc_u32_e32 v4, s64, v8
	s_cmp_lt_i32 s60, 11
	s_delay_alu instid0(VALU_DEP_1) | instskip(NEXT) | instid1(VALU_DEP_1)
	v_ashrrev_i32_e32 v5, 31, v4
	v_add_nc_u64_e32 v[4:5], s[16:17], v[4:5]
	s_cbranch_scc1 .LBB86_5522
; %bb.5516:
	s_cmp_gt_i32 s60, 25
	s_mov_b32 s5, 0
	s_cbranch_scc0 .LBB86_5523
; %bb.5517:
	s_cmp_gt_i32 s60, 28
	s_cbranch_scc0 .LBB86_5524
; %bb.5518:
	s_cmp_gt_i32 s60, 43
	;; [unrolled: 3-line block ×3, first 2 shown]
	s_cbranch_scc0 .LBB86_5527
; %bb.5520:
	s_cmp_eq_u32 s60, 46
	s_mov_b32 s9, 0
	s_cbranch_scc0 .LBB86_5528
; %bb.5521:
	global_load_b32 v1, v[4:5], off
	s_mov_b32 s0, 0
	s_mov_b32 s8, -1
	s_wait_loadcnt 0x0
	v_lshlrev_b32_e32 v1, 16, v1
	s_delay_alu instid0(VALU_DEP_1)
	v_cvt_i32_f32_e32 v6, v1
	s_branch .LBB86_5530
.LBB86_5522:
	s_mov_b32 s0, -1
	s_mov_b32 s8, 0
                                        ; implicit-def: $vgpr6
	s_branch .LBB86_5592
.LBB86_5523:
	s_mov_b32 s9, -1
	s_mov_b32 s8, 0
	s_mov_b32 s0, 0
                                        ; implicit-def: $vgpr6
	s_branch .LBB86_5557
.LBB86_5524:
	s_mov_b32 s9, -1
	s_mov_b32 s8, 0
	s_mov_b32 s0, 0
                                        ; implicit-def: $vgpr6
	s_branch .LBB86_5540
.LBB86_5525:
	s_mov_b32 s9, -1
	s_mov_b32 s8, 0
	s_mov_b32 s0, 0
                                        ; implicit-def: $vgpr6
	s_branch .LBB86_5535
.LBB86_5526:
	s_or_b32 s23, s23, exec_lo
	s_trap 2
	s_cbranch_execz .LBB86_5463
	s_branch .LBB86_5464
.LBB86_5527:
	s_mov_b32 s9, -1
	s_mov_b32 s8, 0
	s_mov_b32 s0, 0
	s_branch .LBB86_5529
.LBB86_5528:
	s_mov_b32 s0, -1
	s_mov_b32 s8, 0
.LBB86_5529:
                                        ; implicit-def: $vgpr6
.LBB86_5530:
	s_and_b32 vcc_lo, exec_lo, s9
	s_cbranch_vccz .LBB86_5534
; %bb.5531:
	s_cmp_eq_u32 s60, 44
	s_cbranch_scc0 .LBB86_5533
; %bb.5532:
	global_load_u8 v1, v[4:5], off
	s_mov_b32 s0, 0
	s_mov_b32 s8, -1
	s_wait_loadcnt 0x0
	v_lshlrev_b32_e32 v3, 23, v1
	v_cmp_ne_u32_e32 vcc_lo, 0, v1
	s_delay_alu instid0(VALU_DEP_2) | instskip(NEXT) | instid1(VALU_DEP_1)
	v_cvt_i32_f32_e32 v3, v3
	v_cndmask_b32_e32 v6, 0, v3, vcc_lo
	s_branch .LBB86_5534
.LBB86_5533:
	s_mov_b32 s0, -1
                                        ; implicit-def: $vgpr6
.LBB86_5534:
	s_mov_b32 s9, 0
.LBB86_5535:
	s_delay_alu instid0(SALU_CYCLE_1)
	s_and_b32 vcc_lo, exec_lo, s9
	s_cbranch_vccz .LBB86_5539
; %bb.5536:
	s_cmp_eq_u32 s60, 29
	s_cbranch_scc0 .LBB86_5538
; %bb.5537:
	global_load_b32 v6, v[4:5], off
	s_mov_b32 s0, 0
	s_mov_b32 s8, -1
	s_branch .LBB86_5539
.LBB86_5538:
	s_mov_b32 s0, -1
                                        ; implicit-def: $vgpr6
.LBB86_5539:
	s_mov_b32 s9, 0
.LBB86_5540:
	s_delay_alu instid0(SALU_CYCLE_1)
	s_and_b32 vcc_lo, exec_lo, s9
	s_cbranch_vccz .LBB86_5556
; %bb.5541:
	s_cmp_lt_i32 s60, 27
	s_cbranch_scc1 .LBB86_5544
; %bb.5542:
	s_cmp_gt_i32 s60, 27
	s_cbranch_scc0 .LBB86_5545
; %bb.5543:
	s_wait_loadcnt 0x0
	global_load_b32 v6, v[4:5], off
	s_mov_b32 s8, 0
	s_branch .LBB86_5546
.LBB86_5544:
	s_mov_b32 s8, -1
                                        ; implicit-def: $vgpr6
	s_branch .LBB86_5549
.LBB86_5545:
	s_mov_b32 s8, -1
                                        ; implicit-def: $vgpr6
.LBB86_5546:
	s_delay_alu instid0(SALU_CYCLE_1)
	s_and_not1_b32 vcc_lo, exec_lo, s8
	s_cbranch_vccnz .LBB86_5548
; %bb.5547:
	s_wait_loadcnt 0x0
	global_load_u16 v6, v[4:5], off
.LBB86_5548:
	s_mov_b32 s8, 0
.LBB86_5549:
	s_delay_alu instid0(SALU_CYCLE_1)
	s_and_not1_b32 vcc_lo, exec_lo, s8
	s_cbranch_vccnz .LBB86_5555
; %bb.5550:
	global_load_u8 v1, v[4:5], off
	s_mov_b32 s9, 0
	s_mov_b32 s8, exec_lo
	s_wait_loadcnt 0x0
	v_cmpx_lt_i16_e32 0x7f, v1
	s_xor_b32 s8, exec_lo, s8
	s_cbranch_execz .LBB86_5567
; %bb.5551:
	v_cmp_ne_u16_e32 vcc_lo, 0x80, v1
	s_and_b32 s9, vcc_lo, exec_lo
	s_and_not1_saveexec_b32 s8, s8
	s_cbranch_execnz .LBB86_5568
.LBB86_5552:
	s_or_b32 exec_lo, exec_lo, s8
	v_mov_b32_e32 v6, 0
	s_and_saveexec_b32 s8, s9
	s_cbranch_execz .LBB86_5554
.LBB86_5553:
	v_and_b32_e32 v3, 0xffff, v1
	s_delay_alu instid0(VALU_DEP_1) | instskip(SKIP_1) | instid1(VALU_DEP_2)
	v_and_b32_e32 v6, 7, v3
	v_bfe_u32 v11, v3, 3, 4
	v_clz_i32_u32_e32 v8, v6
	s_delay_alu instid0(VALU_DEP_2) | instskip(NEXT) | instid1(VALU_DEP_2)
	v_cmp_eq_u32_e32 vcc_lo, 0, v11
	v_min_u32_e32 v8, 32, v8
	s_delay_alu instid0(VALU_DEP_1) | instskip(NEXT) | instid1(VALU_DEP_1)
	v_subrev_nc_u32_e32 v10, 28, v8
	v_dual_lshlrev_b32 v3, v10, v3 :: v_dual_sub_nc_u32 v8, 29, v8
	s_delay_alu instid0(VALU_DEP_1) | instskip(NEXT) | instid1(VALU_DEP_1)
	v_dual_lshlrev_b32 v1, 24, v1 :: v_dual_bitop2_b32 v3, 7, v3 bitop3:0x40
	v_dual_cndmask_b32 v8, v11, v8 :: v_dual_cndmask_b32 v3, v6, v3
	s_delay_alu instid0(VALU_DEP_2) | instskip(NEXT) | instid1(VALU_DEP_2)
	v_and_b32_e32 v1, 0x80000000, v1
	v_lshl_add_u32 v6, v8, 23, 0x3b800000
	s_delay_alu instid0(VALU_DEP_3) | instskip(NEXT) | instid1(VALU_DEP_1)
	v_lshlrev_b32_e32 v3, 20, v3
	v_or3_b32 v1, v1, v6, v3
	s_delay_alu instid0(VALU_DEP_1)
	v_cvt_i32_f32_e32 v6, v1
.LBB86_5554:
	s_or_b32 exec_lo, exec_lo, s8
.LBB86_5555:
	s_mov_b32 s8, -1
.LBB86_5556:
	s_mov_b32 s9, 0
.LBB86_5557:
	s_delay_alu instid0(SALU_CYCLE_1)
	s_and_b32 vcc_lo, exec_lo, s9
	s_cbranch_vccz .LBB86_5588
; %bb.5558:
	s_cmp_gt_i32 s60, 22
	s_cbranch_scc0 .LBB86_5566
; %bb.5559:
	s_cmp_lt_i32 s60, 24
	s_cbranch_scc1 .LBB86_5569
; %bb.5560:
	s_cmp_gt_i32 s60, 24
	s_cbranch_scc0 .LBB86_5570
; %bb.5561:
	global_load_u8 v1, v[4:5], off
	s_mov_b32 s8, 0
	s_mov_b32 s5, exec_lo
	s_wait_loadcnt 0x0
	v_cmpx_lt_i16_e32 0x7f, v1
	s_xor_b32 s5, exec_lo, s5
	s_cbranch_execz .LBB86_5582
; %bb.5562:
	v_cmp_ne_u16_e32 vcc_lo, 0x80, v1
	s_and_b32 s8, vcc_lo, exec_lo
	s_and_not1_saveexec_b32 s5, s5
	s_cbranch_execnz .LBB86_5583
.LBB86_5563:
	s_or_b32 exec_lo, exec_lo, s5
	v_mov_b32_e32 v6, 0
	s_and_saveexec_b32 s5, s8
	s_cbranch_execz .LBB86_5565
.LBB86_5564:
	v_and_b32_e32 v3, 0xffff, v1
	s_delay_alu instid0(VALU_DEP_1) | instskip(SKIP_1) | instid1(VALU_DEP_2)
	v_and_b32_e32 v6, 3, v3
	v_bfe_u32 v11, v3, 2, 5
	v_clz_i32_u32_e32 v8, v6
	s_delay_alu instid0(VALU_DEP_2) | instskip(NEXT) | instid1(VALU_DEP_2)
	v_cmp_eq_u32_e32 vcc_lo, 0, v11
	v_min_u32_e32 v8, 32, v8
	s_delay_alu instid0(VALU_DEP_1) | instskip(NEXT) | instid1(VALU_DEP_1)
	v_subrev_nc_u32_e32 v10, 29, v8
	v_dual_lshlrev_b32 v3, v10, v3 :: v_dual_sub_nc_u32 v8, 30, v8
	s_delay_alu instid0(VALU_DEP_1) | instskip(NEXT) | instid1(VALU_DEP_1)
	v_dual_lshlrev_b32 v1, 24, v1 :: v_dual_bitop2_b32 v3, 3, v3 bitop3:0x40
	v_dual_cndmask_b32 v8, v11, v8 :: v_dual_cndmask_b32 v3, v6, v3
	s_delay_alu instid0(VALU_DEP_2) | instskip(NEXT) | instid1(VALU_DEP_2)
	v_and_b32_e32 v1, 0x80000000, v1
	v_lshl_add_u32 v6, v8, 23, 0x37800000
	s_delay_alu instid0(VALU_DEP_3) | instskip(NEXT) | instid1(VALU_DEP_1)
	v_lshlrev_b32_e32 v3, 21, v3
	v_or3_b32 v1, v1, v6, v3
	s_delay_alu instid0(VALU_DEP_1)
	v_cvt_i32_f32_e32 v6, v1
.LBB86_5565:
	s_or_b32 exec_lo, exec_lo, s5
	s_mov_b32 s5, 0
	s_branch .LBB86_5571
.LBB86_5566:
	s_mov_b32 s5, -1
                                        ; implicit-def: $vgpr6
	s_branch .LBB86_5577
.LBB86_5567:
	s_and_not1_saveexec_b32 s8, s8
	s_cbranch_execz .LBB86_5552
.LBB86_5568:
	v_cmp_ne_u16_e32 vcc_lo, 0, v1
	s_and_not1_b32 s9, s9, exec_lo
	s_and_b32 s10, vcc_lo, exec_lo
	s_delay_alu instid0(SALU_CYCLE_1)
	s_or_b32 s9, s9, s10
	s_or_b32 exec_lo, exec_lo, s8
	v_mov_b32_e32 v6, 0
	s_and_saveexec_b32 s8, s9
	s_cbranch_execnz .LBB86_5553
	s_branch .LBB86_5554
.LBB86_5569:
	s_mov_b32 s5, -1
                                        ; implicit-def: $vgpr6
	s_branch .LBB86_5574
.LBB86_5570:
	s_mov_b32 s5, -1
                                        ; implicit-def: $vgpr6
.LBB86_5571:
	s_delay_alu instid0(SALU_CYCLE_1)
	s_and_b32 vcc_lo, exec_lo, s5
	s_cbranch_vccz .LBB86_5573
; %bb.5572:
	global_load_u8 v1, v[4:5], off
	s_wait_loadcnt 0x0
	v_lshlrev_b32_e32 v1, 24, v1
	s_delay_alu instid0(VALU_DEP_1) | instskip(NEXT) | instid1(VALU_DEP_1)
	v_and_b32_e32 v3, 0x7f000000, v1
	v_clz_i32_u32_e32 v6, v3
	v_cmp_ne_u32_e32 vcc_lo, 0, v3
	v_add_nc_u32_e32 v10, 0x1000000, v3
	s_delay_alu instid0(VALU_DEP_3) | instskip(NEXT) | instid1(VALU_DEP_1)
	v_min_u32_e32 v6, 32, v6
	v_sub_nc_u32_e64 v6, v6, 4 clamp
	s_delay_alu instid0(VALU_DEP_1) | instskip(NEXT) | instid1(VALU_DEP_1)
	v_dual_lshlrev_b32 v8, v6, v3 :: v_dual_lshlrev_b32 v6, 23, v6
	v_lshrrev_b32_e32 v8, 4, v8
	s_delay_alu instid0(VALU_DEP_1) | instskip(SKIP_1) | instid1(VALU_DEP_2)
	v_sub_nc_u32_e32 v6, v8, v6
	v_ashrrev_i32_e32 v8, 8, v10
	v_add_nc_u32_e32 v6, 0x3c000000, v6
	s_delay_alu instid0(VALU_DEP_1) | instskip(NEXT) | instid1(VALU_DEP_1)
	v_and_or_b32 v6, 0x7f800000, v8, v6
	v_cndmask_b32_e32 v3, 0, v6, vcc_lo
	s_delay_alu instid0(VALU_DEP_1) | instskip(NEXT) | instid1(VALU_DEP_1)
	v_and_or_b32 v1, 0x80000000, v1, v3
	v_cvt_i32_f32_e32 v6, v1
.LBB86_5573:
	s_mov_b32 s5, 0
.LBB86_5574:
	s_delay_alu instid0(SALU_CYCLE_1)
	s_and_not1_b32 vcc_lo, exec_lo, s5
	s_cbranch_vccnz .LBB86_5576
; %bb.5575:
	global_load_u8 v1, v[4:5], off
	s_wait_loadcnt 0x0
	v_lshlrev_b32_e32 v3, 25, v1
	v_lshlrev_b16 v1, 8, v1
	s_delay_alu instid0(VALU_DEP_1) | instskip(SKIP_1) | instid1(VALU_DEP_2)
	v_and_or_b32 v8, 0x7f00, v1, 0.5
	v_bfe_i32 v1, v1, 0, 16
	v_dual_add_f32 v8, -0.5, v8 :: v_dual_lshrrev_b32 v6, 4, v3
	v_cmp_gt_u32_e32 vcc_lo, 0x8000000, v3
	s_delay_alu instid0(VALU_DEP_2) | instskip(NEXT) | instid1(VALU_DEP_1)
	v_or_b32_e32 v6, 0x70000000, v6
	v_mul_f32_e32 v6, 0x7800000, v6
	s_delay_alu instid0(VALU_DEP_1) | instskip(NEXT) | instid1(VALU_DEP_1)
	v_cndmask_b32_e32 v3, v6, v8, vcc_lo
	v_and_or_b32 v1, 0x80000000, v1, v3
	s_delay_alu instid0(VALU_DEP_1)
	v_cvt_i32_f32_e32 v6, v1
.LBB86_5576:
	s_mov_b32 s5, 0
	s_mov_b32 s8, -1
.LBB86_5577:
	s_and_not1_b32 vcc_lo, exec_lo, s5
	s_mov_b32 s5, 0
	s_cbranch_vccnz .LBB86_5588
; %bb.5578:
	s_cmp_gt_i32 s60, 14
	s_cbranch_scc0 .LBB86_5581
; %bb.5579:
	s_cmp_eq_u32 s60, 15
	s_cbranch_scc0 .LBB86_5584
; %bb.5580:
	global_load_u16 v1, v[4:5], off
	s_mov_b32 s0, 0
	s_mov_b32 s8, -1
	s_wait_loadcnt 0x0
	v_lshlrev_b32_e32 v1, 16, v1
	s_delay_alu instid0(VALU_DEP_1)
	v_cvt_i32_f32_e32 v6, v1
	s_branch .LBB86_5586
.LBB86_5581:
	s_mov_b32 s5, -1
	s_branch .LBB86_5585
.LBB86_5582:
	s_and_not1_saveexec_b32 s5, s5
	s_cbranch_execz .LBB86_5563
.LBB86_5583:
	v_cmp_ne_u16_e32 vcc_lo, 0, v1
	s_and_not1_b32 s8, s8, exec_lo
	s_and_b32 s9, vcc_lo, exec_lo
	s_delay_alu instid0(SALU_CYCLE_1)
	s_or_b32 s8, s8, s9
	s_or_b32 exec_lo, exec_lo, s5
	v_mov_b32_e32 v6, 0
	s_and_saveexec_b32 s5, s8
	s_cbranch_execnz .LBB86_5564
	s_branch .LBB86_5565
.LBB86_5584:
	s_mov_b32 s0, -1
.LBB86_5585:
                                        ; implicit-def: $vgpr6
.LBB86_5586:
	s_and_b32 vcc_lo, exec_lo, s5
	s_mov_b32 s5, 0
	s_cbranch_vccz .LBB86_5588
; %bb.5587:
	s_cmp_lg_u32 s60, 11
	s_mov_b32 s5, -1
	s_cselect_b32 s0, -1, 0
.LBB86_5588:
	s_delay_alu instid0(SALU_CYCLE_1)
	s_and_b32 vcc_lo, exec_lo, s0
	s_cbranch_vccnz .LBB86_5717
; %bb.5589:
	s_and_not1_b32 vcc_lo, exec_lo, s5
	s_cbranch_vccnz .LBB86_5591
.LBB86_5590:
	global_load_u8 v1, v[4:5], off
	s_mov_b32 s8, -1
	s_wait_loadcnt 0x0
	v_cmp_ne_u16_e32 vcc_lo, 0, v1
	v_cndmask_b32_e64 v6, 0, 1, vcc_lo
.LBB86_5591:
	s_mov_b32 s0, 0
.LBB86_5592:
	s_delay_alu instid0(SALU_CYCLE_1)
	s_and_b32 vcc_lo, exec_lo, s0
	s_cbranch_vccz .LBB86_5641
; %bb.5593:
	s_cmp_lt_i32 s60, 5
	s_cbranch_scc1 .LBB86_5598
; %bb.5594:
	s_cmp_lt_i32 s60, 8
	s_cbranch_scc1 .LBB86_5599
	;; [unrolled: 3-line block ×3, first 2 shown]
; %bb.5596:
	s_cmp_gt_i32 s60, 9
	s_cbranch_scc0 .LBB86_5601
; %bb.5597:
	global_load_b64 v[10:11], v[4:5], off
	s_mov_b32 s0, 0
	s_wait_loadcnt 0x0
	v_cvt_i32_f64_e32 v6, v[10:11]
	s_branch .LBB86_5602
.LBB86_5598:
	s_mov_b32 s0, -1
                                        ; implicit-def: $vgpr6
	s_branch .LBB86_5620
.LBB86_5599:
	s_mov_b32 s0, -1
                                        ; implicit-def: $vgpr6
	s_branch .LBB86_5608
.LBB86_5600:
	s_mov_b32 s0, -1
                                        ; implicit-def: $vgpr6
	s_branch .LBB86_5605
.LBB86_5601:
	s_mov_b32 s0, -1
                                        ; implicit-def: $vgpr6
.LBB86_5602:
	s_delay_alu instid0(SALU_CYCLE_1)
	s_and_not1_b32 vcc_lo, exec_lo, s0
	s_cbranch_vccnz .LBB86_5604
; %bb.5603:
	global_load_b32 v1, v[4:5], off
	s_wait_loadcnt 0x0
	v_cvt_i32_f32_e32 v6, v1
.LBB86_5604:
	s_mov_b32 s0, 0
.LBB86_5605:
	s_delay_alu instid0(SALU_CYCLE_1)
	s_and_not1_b32 vcc_lo, exec_lo, s0
	s_cbranch_vccnz .LBB86_5607
; %bb.5606:
	global_load_b32 v1, v[4:5], off
	s_wait_loadcnt 0x0
	v_cvt_f32_f16_e32 v1, v1
	s_delay_alu instid0(VALU_DEP_1)
	v_cvt_i32_f32_e32 v6, v1
.LBB86_5607:
	s_mov_b32 s0, 0
.LBB86_5608:
	s_delay_alu instid0(SALU_CYCLE_1)
	s_and_not1_b32 vcc_lo, exec_lo, s0
	s_cbranch_vccnz .LBB86_5619
; %bb.5609:
	s_cmp_lt_i32 s60, 6
	s_cbranch_scc1 .LBB86_5612
; %bb.5610:
	s_cmp_gt_i32 s60, 6
	s_cbranch_scc0 .LBB86_5613
; %bb.5611:
	global_load_b64 v[10:11], v[4:5], off
	s_mov_b32 s0, 0
	s_wait_loadcnt 0x0
	v_cvt_i32_f64_e32 v6, v[10:11]
	s_branch .LBB86_5614
.LBB86_5612:
	s_mov_b32 s0, -1
                                        ; implicit-def: $vgpr6
	s_branch .LBB86_5617
.LBB86_5613:
	s_mov_b32 s0, -1
                                        ; implicit-def: $vgpr6
.LBB86_5614:
	s_delay_alu instid0(SALU_CYCLE_1)
	s_and_not1_b32 vcc_lo, exec_lo, s0
	s_cbranch_vccnz .LBB86_5616
; %bb.5615:
	global_load_b32 v1, v[4:5], off
	s_wait_loadcnt 0x0
	v_cvt_i32_f32_e32 v6, v1
.LBB86_5616:
	s_mov_b32 s0, 0
.LBB86_5617:
	s_delay_alu instid0(SALU_CYCLE_1)
	s_and_not1_b32 vcc_lo, exec_lo, s0
	s_cbranch_vccnz .LBB86_5619
; %bb.5618:
	global_load_u16 v1, v[4:5], off
	s_wait_loadcnt 0x0
	v_cvt_f32_f16_e32 v1, v1
	s_delay_alu instid0(VALU_DEP_1)
	v_cvt_i32_f32_e32 v6, v1
.LBB86_5619:
	s_mov_b32 s0, 0
.LBB86_5620:
	s_delay_alu instid0(SALU_CYCLE_1)
	s_and_not1_b32 vcc_lo, exec_lo, s0
	s_cbranch_vccnz .LBB86_5640
; %bb.5621:
	s_cmp_lt_i32 s60, 2
	s_cbranch_scc1 .LBB86_5625
; %bb.5622:
	s_cmp_lt_i32 s60, 3
	s_cbranch_scc1 .LBB86_5626
; %bb.5623:
	s_cmp_gt_i32 s60, 3
	s_cbranch_scc0 .LBB86_5627
; %bb.5624:
	s_wait_loadcnt 0x0
	global_load_b32 v6, v[4:5], off
	s_mov_b32 s0, 0
	s_branch .LBB86_5628
.LBB86_5625:
	s_mov_b32 s0, -1
                                        ; implicit-def: $vgpr6
	s_branch .LBB86_5634
.LBB86_5626:
	s_mov_b32 s0, -1
                                        ; implicit-def: $vgpr6
	s_branch .LBB86_5631
.LBB86_5627:
	s_mov_b32 s0, -1
                                        ; implicit-def: $vgpr6
.LBB86_5628:
	s_delay_alu instid0(SALU_CYCLE_1)
	s_and_not1_b32 vcc_lo, exec_lo, s0
	s_cbranch_vccnz .LBB86_5630
; %bb.5629:
	s_wait_loadcnt 0x0
	global_load_b32 v6, v[4:5], off
.LBB86_5630:
	s_mov_b32 s0, 0
.LBB86_5631:
	s_delay_alu instid0(SALU_CYCLE_1)
	s_and_not1_b32 vcc_lo, exec_lo, s0
	s_cbranch_vccnz .LBB86_5633
; %bb.5632:
	s_wait_loadcnt 0x0
	global_load_i16 v6, v[4:5], off
.LBB86_5633:
	s_mov_b32 s0, 0
.LBB86_5634:
	s_delay_alu instid0(SALU_CYCLE_1)
	s_and_not1_b32 vcc_lo, exec_lo, s0
	s_cbranch_vccnz .LBB86_5640
; %bb.5635:
	s_cmp_gt_i32 s60, 0
	s_mov_b32 s0, 0
	s_cbranch_scc0 .LBB86_5637
; %bb.5636:
	s_wait_loadcnt 0x0
	global_load_i8 v6, v[4:5], off
	s_branch .LBB86_5638
.LBB86_5637:
	s_mov_b32 s0, -1
                                        ; implicit-def: $vgpr6
.LBB86_5638:
	s_delay_alu instid0(SALU_CYCLE_1)
	s_and_not1_b32 vcc_lo, exec_lo, s0
	s_cbranch_vccnz .LBB86_5640
; %bb.5639:
	s_wait_loadcnt 0x0
	global_load_u8 v6, v[4:5], off
.LBB86_5640:
	s_mov_b32 s8, -1
.LBB86_5641:
	s_delay_alu instid0(SALU_CYCLE_1)
	s_and_not1_b32 vcc_lo, exec_lo, s8
	s_cbranch_vccnz .LBB86_5650
; %bb.5642:
	s_mov_b32 s0, exec_lo
	s_wait_loadcnt 0x0
	v_cmpx_ne_u32_e64 v7, v23
	s_xor_b32 s0, exec_lo, s0
	s_cbranch_execnz .LBB86_5993
.LBB86_5643:
	s_or_saveexec_b32 s16, s0
	s_mov_b32 s5, 0
	s_mov_b32 s8, 0
                                        ; implicit-def: $vgpr14_vgpr15
                                        ; implicit-def: $sgpr0
	s_xor_b32 exec_lo, exec_lo, s16
	s_cbranch_execz .LBB86_5988
; %bb.5644:
	s_mov_b32 s17, s23
	s_mov_b32 s0, exec_lo
	v_cmpx_ne_u32_e64 v9, v24
	s_xor_b32 s0, exec_lo, s0
	s_cbranch_execnz .LBB86_5995
; %bb.5645:
	s_or_saveexec_b32 s26, s0
                                        ; implicit-def: $vgpr14_vgpr15
                                        ; implicit-def: $sgpr0
	s_delay_alu instid0(SALU_CYCLE_1)
	s_xor_b32 exec_lo, exec_lo, s26
	s_cbranch_execz .LBB86_5987
.LBB86_5646:
	v_sub_nc_u32_e32 v1, v2, v0
	s_delay_alu instid0(VALU_DEP_1) | instskip(SKIP_3) | instid1(SALU_CYCLE_1)
	v_cmp_gt_i32_e32 vcc_lo, v23, v1
	v_cmp_lt_i32_e64 s0, s18, v1
	s_mov_b32 s18, s17
	s_or_b32 s0, vcc_lo, s0
	s_and_saveexec_b32 s5, s0
	s_delay_alu instid0(SALU_CYCLE_1)
	s_xor_b32 s0, exec_lo, s5
	s_cbranch_execnz .LBB86_5997
; %bb.5647:
	s_or_saveexec_b32 s27, s0
	s_mov_b32 s5, 0
                                        ; implicit-def: $vgpr14_vgpr15
                                        ; implicit-def: $sgpr0
	s_xor_b32 exec_lo, exec_lo, s27
	s_cbranch_execz .LBB86_5986
.LBB86_5648:
	v_cmp_ne_u32_e32 vcc_lo, 1, v25
	v_mov_b64_e32 v[4:5], 0
	s_cbranch_vccnz .LBB86_5661
; %bb.5649:
	v_ashrrev_i32_e32 v7, 31, v6
	v_mov_b64_e32 v[4:5], 0
	s_lshl_b64 s[8:9], s[4:5], 3
	s_delay_alu instid0(SALU_CYCLE_1) | instskip(NEXT) | instid1(VALU_DEP_2)
	s_add_nc_u64 s[8:9], s[24:25], s[8:9]
	v_mul_u64_e32 v[8:9], s[6:7], v[6:7]
	v_mov_b32_e32 v6, 0
	s_mov_b64 s[6:7], 0xffffffff
	s_add_nc_u64 s[8:9], s[8:9], 0x68
	s_branch .LBB86_5657
.LBB86_5650:
	s_mov_b32 s5, 0
	s_mov_b32 s8, 0
                                        ; implicit-def: $vgpr14_vgpr15
                                        ; implicit-def: $sgpr0
.LBB86_5651:
	s_and_not1_b32 s1, s1, exec_lo
	s_and_b32 s2, s23, exec_lo
	s_and_b32 s26, s8, exec_lo
	;; [unrolled: 1-line block ×3, first 2 shown]
	s_or_b32 s1, s1, s2
.LBB86_5652:
	s_wait_xcnt 0x0
	s_or_b32 exec_lo, exec_lo, s22
	s_delay_alu instid0(SALU_CYCLE_1)
	s_and_not1_b32 s2, s66, exec_lo
	s_and_b32 s3, s1, exec_lo
	s_and_b32 s22, s26, exec_lo
	;; [unrolled: 1-line block ×3, first 2 shown]
	s_or_b32 s66, s2, s3
.LBB86_5653:
	s_or_b32 exec_lo, exec_lo, s67
	s_delay_alu instid0(SALU_CYCLE_1)
	s_and_not1_b32 s2, s62, exec_lo
	s_and_b32 s3, s66, exec_lo
	s_and_b32 s5, s22, exec_lo
	;; [unrolled: 1-line block ×3, first 2 shown]
	s_or_b32 s62, s2, s3
.LBB86_5654:
	s_or_b32 exec_lo, exec_lo, s65
	s_delay_alu instid0(SALU_CYCLE_1)
	s_and_not1_b32 s2, s55, exec_lo
	s_and_b32 s3, s62, exec_lo
	s_and_b32 s5, s5, exec_lo
	;; [unrolled: 1-line block ×3, first 2 shown]
	s_or_b32 s55, s2, s3
.LBB86_5655:
	s_or_b32 exec_lo, exec_lo, s61
	s_branch .LBB86_4985
.LBB86_5656:                            ;   in Loop: Header=BB86_5657 Depth=1
	s_or_b32 exec_lo, exec_lo, s0
	s_delay_alu instid0(VALU_DEP_1)
	v_mul_u64_e32 v[12:13], s[10:11], v[10:11]
	s_load_b64 s[10:11], s[8:9], 0x40
	s_add_co_i32 s46, s46, -1
	s_wait_xcnt 0x0
	s_add_nc_u64 s[8:9], s[8:9], -8
	s_cmp_eq_u32 s46, 0
	s_delay_alu instid0(VALU_DEP_1) | instskip(SKIP_1) | instid1(VALU_DEP_1)
	v_sub_nc_u64_e32 v[8:9], v[8:9], v[12:13]
	s_wait_kmcnt 0x0
	v_mad_nc_u64_u32 v[4:5], v8, s10, v[4:5]
	s_delay_alu instid0(VALU_DEP_1) | instskip(NEXT) | instid1(VALU_DEP_1)
	v_mad_u32 v1, v9, s10, v5
	v_mad_u32 v5, v8, s11, v1
	v_mov_b64_e32 v[8:9], v[10:11]
	s_cbranch_scc1 .LBB86_5661
.LBB86_5657:                            ; =>This Inner Loop Header: Depth=1
	s_load_b64 s[10:11], s[8:9], 0x0
                                        ; implicit-def: $vgpr10_vgpr11
	s_mov_b32 s0, exec_lo
	s_wait_kmcnt 0x0
	s_delay_alu instid0(VALU_DEP_1) | instskip(NEXT) | instid1(VALU_DEP_1)
	v_or_b32_e32 v7, s11, v9
	v_cmpx_ne_u64_e32 0, v[6:7]
	s_xor_b32 s28, exec_lo, s0
	s_cbranch_execz .LBB86_5659
; %bb.5658:                             ;   in Loop: Header=BB86_5657 Depth=1
	s_ashr_i32 s12, s11, 31
	v_dual_mov_b32 v15, v6 :: v_dual_ashrrev_i32 v10, 31, v9
	s_mov_b32 s13, s12
	v_mov_b32_e32 v25, v6
	s_add_nc_u64 s[14:15], s[10:11], s[12:13]
	s_delay_alu instid0(VALU_DEP_2) | instskip(SKIP_1) | instid1(SALU_CYCLE_1)
	v_mov_b32_e32 v11, v10
	s_xor_b64 s[14:15], s[14:15], s[12:13]
	s_cvt_f32_u32 s0, s14
	s_cvt_f32_u32 s4, s15
	s_sub_nc_u64 s[34:35], 0, s[14:15]
	v_add_nc_u64_e32 v[12:13], v[8:9], v[10:11]
	v_mov_b32_e32 v19, v6
	s_fmamk_f32 s0, s4, 0x4f800000, s0
	s_delay_alu instid0(SALU_CYCLE_3) | instskip(NEXT) | instid1(VALU_DEP_2)
	v_s_rcp_f32 s0, s0
	v_xor_b32_e32 v14, v12, v10
	s_delay_alu instid0(VALU_DEP_3) | instskip(NEXT) | instid1(TRANS32_DEP_1)
	v_xor_b32_e32 v18, v13, v10
	s_mul_f32 s0, s0, 0x5f7ffffc
	s_delay_alu instid0(SALU_CYCLE_3) | instskip(NEXT) | instid1(SALU_CYCLE_3)
	s_mul_f32 s4, s0, 0x2f800000
	s_trunc_f32 s4, s4
	s_delay_alu instid0(SALU_CYCLE_3) | instskip(SKIP_1) | instid1(SALU_CYCLE_2)
	s_fmamk_f32 s0, s4, 0xcf800000, s0
	s_cvt_u32_f32 s31, s4
	s_cvt_u32_f32 s30, s0
	s_delay_alu instid0(SALU_CYCLE_3) | instskip(NEXT) | instid1(SALU_CYCLE_1)
	s_mul_u64 s[56:57], s[34:35], s[30:31]
	s_mul_hi_u32 s59, s30, s57
	s_mul_i32 s58, s30, s57
	s_mul_hi_u32 s4, s30, s56
	s_mul_i32 s13, s31, s56
	s_add_nc_u64 s[58:59], s[4:5], s[58:59]
	s_mul_hi_u32 s0, s31, s56
	s_mul_hi_u32 s29, s31, s57
	s_add_co_u32 s4, s58, s13
	s_add_co_ci_u32 s4, s59, s0
	s_mul_i32 s56, s31, s57
	s_add_co_ci_u32 s57, s29, 0
	s_delay_alu instid0(SALU_CYCLE_1) | instskip(NEXT) | instid1(SALU_CYCLE_1)
	s_add_nc_u64 s[56:57], s[4:5], s[56:57]
	s_add_co_u32 s30, s30, s56
	s_cselect_b32 s0, -1, 0
	s_delay_alu instid0(SALU_CYCLE_1) | instskip(SKIP_1) | instid1(SALU_CYCLE_1)
	s_cmp_lg_u32 s0, 0
	s_add_co_ci_u32 s31, s31, s57
	s_mul_u64 s[34:35], s[34:35], s[30:31]
	s_delay_alu instid0(SALU_CYCLE_1)
	s_mul_hi_u32 s57, s30, s35
	s_mul_i32 s56, s30, s35
	s_mul_hi_u32 s4, s30, s34
	s_mul_i32 s13, s31, s34
	s_add_nc_u64 s[56:57], s[4:5], s[56:57]
	s_mul_hi_u32 s0, s31, s34
	s_mul_hi_u32 s29, s31, s35
	s_add_co_u32 s4, s56, s13
	s_add_co_ci_u32 s4, s57, s0
	s_mul_i32 s34, s31, s35
	s_add_co_ci_u32 s35, s29, 0
	s_delay_alu instid0(SALU_CYCLE_1) | instskip(NEXT) | instid1(SALU_CYCLE_1)
	s_add_nc_u64 s[34:35], s[4:5], s[34:35]
	s_add_co_u32 s0, s30, s34
	s_cselect_b32 s4, -1, 0
	v_mul_hi_u32 v24, v14, s0
	s_cmp_lg_u32 s4, 0
	s_add_co_ci_u32 s4, s31, s35
	s_and_b64 s[30:31], s[0:1], s[6:7]
	v_mul_u64_e32 v[16:17], s[4:5], v[14:15]
	v_mul_u64_e32 v[12:13], s[30:31], v[18:19]
	v_mul_u64_e32 v[20:21], s[4:5], v[18:19]
	s_delay_alu instid0(VALU_DEP_3) | instskip(NEXT) | instid1(VALU_DEP_1)
	v_add_nc_u64_e32 v[16:17], v[24:25], v[16:17]
	v_add_co_u32 v1, vcc_lo, v16, v12
	s_delay_alu instid0(VALU_DEP_2) | instskip(NEXT) | instid1(VALU_DEP_4)
	v_add_co_ci_u32_e32 v24, vcc_lo, v17, v13, vcc_lo
	v_add_co_ci_u32_e32 v21, vcc_lo, 0, v21, vcc_lo
	s_delay_alu instid0(VALU_DEP_1) | instskip(NEXT) | instid1(VALU_DEP_1)
	v_add_nc_u64_e32 v[12:13], v[24:25], v[20:21]
	v_mul_u64_e32 v[16:17], s[14:15], v[12:13]
	s_delay_alu instid0(VALU_DEP_1) | instskip(NEXT) | instid1(VALU_DEP_2)
	v_sub_nc_u32_e32 v1, v18, v17
	v_sub_co_u32 v3, vcc_lo, v14, v16
	s_delay_alu instid0(VALU_DEP_1) | instskip(NEXT) | instid1(VALU_DEP_3)
	v_sub_co_ci_u32_e64 v11, null, v18, v17, vcc_lo
	v_subrev_co_ci_u32_e64 v1, null, s15, v1, vcc_lo
	s_delay_alu instid0(VALU_DEP_3) | instskip(SKIP_1) | instid1(VALU_DEP_3)
	v_sub_co_u32 v7, s0, v3, s14
	v_add_nc_u64_e32 v[16:17], 1, v[12:13]
	v_subrev_co_ci_u32_e64 v1, null, 0, v1, s0
	s_delay_alu instid0(VALU_DEP_3) | instskip(SKIP_1) | instid1(VALU_DEP_3)
	v_cmp_le_u32_e32 vcc_lo, s14, v7
	v_cndmask_b32_e64 v7, 0, -1, vcc_lo
	v_cmp_le_u32_e32 vcc_lo, s15, v1
	v_cndmask_b32_e64 v14, 0, -1, vcc_lo
	;; [unrolled: 2-line block ×4, first 2 shown]
	v_cmp_eq_u32_e32 vcc_lo, s15, v1
	v_cndmask_b32_e32 v1, v14, v7, vcc_lo
	v_cmp_eq_u32_e32 vcc_lo, s15, v11
	v_add_nc_u64_e32 v[14:15], 2, v[12:13]
	v_cndmask_b32_e32 v3, v18, v3, vcc_lo
	s_delay_alu instid0(VALU_DEP_4) | instskip(NEXT) | instid1(VALU_DEP_2)
	v_cmp_ne_u32_e32 vcc_lo, 0, v1
	v_cmp_ne_u32_e64 s0, 0, v3
	s_delay_alu instid0(VALU_DEP_4) | instskip(NEXT) | instid1(VALU_DEP_1)
	v_dual_cndmask_b32 v1, v17, v15, vcc_lo :: v_dual_cndmask_b32 v3, v16, v14, vcc_lo
	v_dual_cndmask_b32 v1, v13, v1, s0 :: v_dual_bitop2_b32 v10, s12, v10 bitop3:0x14
	s_delay_alu instid0(VALU_DEP_1) | instskip(NEXT) | instid1(VALU_DEP_2)
	v_dual_cndmask_b32 v3, v12, v3, s0 :: v_dual_mov_b32 v11, v10
	v_xor_b32_e32 v13, v1, v10
	s_delay_alu instid0(VALU_DEP_2) | instskip(NEXT) | instid1(VALU_DEP_1)
	v_xor_b32_e32 v12, v3, v10
	v_sub_nc_u64_e32 v[10:11], v[12:13], v[10:11]
.LBB86_5659:                            ;   in Loop: Header=BB86_5657 Depth=1
	s_and_not1_saveexec_b32 s0, s28
	s_cbranch_execz .LBB86_5656
; %bb.5660:                             ;   in Loop: Header=BB86_5657 Depth=1
	v_cvt_f32_u32_e32 v1, s10
	s_sub_co_i32 s4, 0, s10
	v_mov_b32_e32 v11, v6
	s_delay_alu instid0(VALU_DEP_2) | instskip(SKIP_1) | instid1(TRANS32_DEP_1)
	v_rcp_iflag_f32_e32 v1, v1
	v_nop
	v_mul_f32_e32 v1, 0x4f7ffffe, v1
	s_delay_alu instid0(VALU_DEP_1) | instskip(NEXT) | instid1(VALU_DEP_1)
	v_cvt_u32_f32_e32 v1, v1
	v_mul_lo_u32 v3, s4, v1
	s_delay_alu instid0(VALU_DEP_1) | instskip(NEXT) | instid1(VALU_DEP_1)
	v_mul_hi_u32 v3, v1, v3
	v_add_nc_u32_e32 v1, v1, v3
	s_delay_alu instid0(VALU_DEP_1) | instskip(NEXT) | instid1(VALU_DEP_1)
	v_mul_hi_u32 v1, v8, v1
	v_mul_lo_u32 v3, v1, s10
	s_delay_alu instid0(VALU_DEP_1) | instskip(NEXT) | instid1(VALU_DEP_1)
	v_sub_nc_u32_e32 v3, v8, v3
	v_subrev_nc_u32_e32 v10, s10, v3
	v_cmp_le_u32_e32 vcc_lo, s10, v3
	s_delay_alu instid0(VALU_DEP_2) | instskip(NEXT) | instid1(VALU_DEP_1)
	v_dual_add_nc_u32 v7, 1, v1 :: v_dual_cndmask_b32 v3, v3, v10, vcc_lo
	v_cndmask_b32_e32 v1, v1, v7, vcc_lo
	s_delay_alu instid0(VALU_DEP_2) | instskip(NEXT) | instid1(VALU_DEP_2)
	v_cmp_le_u32_e32 vcc_lo, s10, v3
	v_add_nc_u32_e32 v7, 1, v1
	s_delay_alu instid0(VALU_DEP_1)
	v_cndmask_b32_e32 v10, v1, v7, vcc_lo
	s_branch .LBB86_5656
.LBB86_5661:
	s_mov_b32 s8, -1
	s_mov_b32 s4, s18
	s_mov_b32 s0, exec_lo
	v_cmpx_gt_i32_e64 v2, v0
	s_cbranch_execz .LBB86_5668
; %bb.5662:
	s_delay_alu instid0(VALU_DEP_2) | instskip(SKIP_3) | instid1(VALU_DEP_1)
	v_lshlrev_b64_e32 v[4:5], 2, v[4:5]
	v_dual_ashrrev_i32 v1, 31, v0 :: v_dual_ashrrev_i32 v3, 31, v2
	s_mov_b32 s5, 0
	s_xor_b32 s6, s47, -1
                                        ; implicit-def: $sgpr4
                                        ; implicit-def: $sgpr8
                                        ; implicit-def: $sgpr7
	v_lshl_add_u64 v[0:1], v[0:1], 2, v[4:5]
	s_wait_kmcnt 0x0
	v_add_nc_u64_e32 v[4:5], s[20:21], v[4:5]
	s_delay_alu instid0(VALU_DEP_2) | instskip(NEXT) | instid1(VALU_DEP_2)
	v_add_nc_u64_e32 v[0:1], s[20:21], v[0:1]
	v_lshl_add_u64 v[2:3], v[2:3], 2, v[4:5]
	s_delay_alu instid0(VALU_DEP_2)
	v_add_nc_u64_e32 v[0:1], 4, v[0:1]
	s_branch .LBB86_5664
.LBB86_5663:                            ;   in Loop: Header=BB86_5664 Depth=1
	s_or_b32 exec_lo, exec_lo, s9
	s_xor_b32 s9, s7, -1
	s_and_b32 s10, exec_lo, s8
	s_delay_alu instid0(SALU_CYCLE_1) | instskip(SKIP_2) | instid1(SALU_CYCLE_1)
	s_or_b32 s5, s10, s5
	s_and_not1_b32 s4, s4, exec_lo
	s_and_b32 s9, s9, exec_lo
	s_or_b32 s4, s4, s9
	s_and_not1_b32 exec_lo, exec_lo, s5
	s_cbranch_execz .LBB86_5666
.LBB86_5664:                            ; =>This Inner Loop Header: Depth=1
	s_or_b32 s7, s7, exec_lo
	s_or_b32 s8, s8, exec_lo
	s_mov_b32 s9, exec_lo
	s_delay_alu instid0(VALU_DEP_1)
	v_cmpx_lt_u64_e64 v[0:1], v[2:3]
	s_cbranch_execz .LBB86_5663
; %bb.5665:                             ;   in Loop: Header=BB86_5664 Depth=1
	global_load_b64 v[4:5], v[0:1], off offset:-4
	s_wait_xcnt 0x0
	v_add_nc_u64_e32 v[0:1], 4, v[0:1]
	s_and_not1_b32 s8, s8, exec_lo
	s_and_not1_b32 s7, s7, exec_lo
	s_wait_loadcnt 0x0
	v_cmp_ge_i32_e32 vcc_lo, v4, v5
	s_or_b32 s10, s6, vcc_lo
	s_delay_alu instid0(SALU_CYCLE_1) | instskip(NEXT) | instid1(SALU_CYCLE_1)
	s_and_b32 s10, s10, exec_lo
	s_or_b32 s8, s8, s10
	s_branch .LBB86_5663
.LBB86_5666:
	s_or_b32 exec_lo, exec_lo, s5
	s_mov_b32 s5, -1
	s_mov_b32 s6, s18
	s_and_saveexec_b32 s7, s4
	s_delay_alu instid0(SALU_CYCLE_1)
	s_xor_b32 s4, exec_lo, s7
	s_cbranch_execnz .LBB86_5990
.LBB86_5667:
	s_or_b32 exec_lo, exec_lo, s4
	s_delay_alu instid0(SALU_CYCLE_1)
	s_and_not1_b32 s4, s18, exec_lo
	s_and_b32 s6, s6, exec_lo
	s_or_not1_b32 s8, s5, exec_lo
	s_or_b32 s4, s4, s6
.LBB86_5668:
	s_or_b32 exec_lo, exec_lo, s0
	s_mov_b32 s6, 0
	s_mov_b32 s7, 0
                                        ; implicit-def: $vgpr14_vgpr15
                                        ; implicit-def: $sgpr0
	s_and_saveexec_b32 s5, s8
	s_cbranch_execz .LBB86_5985
; %bb.5669:
	s_load_b32 s0, s[24:25], 0xf0
	v_mul_lo_u32 v0, s33, v22
	s_delay_alu instid0(VALU_DEP_1) | instskip(NEXT) | instid1(VALU_DEP_1)
	v_ashrrev_i32_e32 v1, 31, v0
	v_add_nc_u64_e32 v[2:3], s[2:3], v[0:1]
	s_wait_kmcnt 0x0
	s_and_b32 s0, s0, 0xff
	s_delay_alu instid0(SALU_CYCLE_1)
	s_cmp_lt_i32 s0, 11
	s_cbranch_scc1 .LBB86_5718
; %bb.5670:
	s_and_b32 s6, 0xffff, s0
	s_mov_b32 s10, -1
	s_mov_b32 s9, 0
	s_cmp_gt_i32 s6, 25
	s_mov_b32 s8, 0
	s_cbranch_scc0 .LBB86_5695
; %bb.5671:
	s_cmp_gt_i32 s6, 28
	s_cbranch_scc0 .LBB86_5684
; %bb.5672:
	s_cmp_gt_i32 s6, 43
	;; [unrolled: 3-line block ×3, first 2 shown]
	s_cbranch_scc0 .LBB86_5676
; %bb.5674:
	s_mov_b32 s7, -1
	s_mov_b32 s10, 0
	s_cmp_eq_u32 s6, 46
	s_cbranch_scc0 .LBB86_5676
; %bb.5675:
	v_mov_b32_e32 v1, 0
	s_mov_b32 s7, 0
	s_mov_b32 s8, -1
	global_store_b32 v[2:3], v1, off
.LBB86_5676:
	s_and_b32 vcc_lo, exec_lo, s10
	s_cbranch_vccz .LBB86_5679
; %bb.5677:
	s_cmp_eq_u32 s6, 44
	s_mov_b32 s7, -1
	s_cbranch_scc0 .LBB86_5679
; %bb.5678:
	s_wait_xcnt 0x0
	v_mov_b32_e32 v1, 0
	s_mov_b32 s7, 0
	s_mov_b32 s8, -1
	global_store_b8 v[2:3], v1, off
.LBB86_5679:
	s_mov_b32 s10, 0
.LBB86_5680:
	s_delay_alu instid0(SALU_CYCLE_1)
	s_and_b32 vcc_lo, exec_lo, s10
	s_cbranch_vccz .LBB86_5683
; %bb.5681:
	s_cmp_eq_u32 s6, 29
	s_mov_b32 s7, -1
	s_cbranch_scc0 .LBB86_5683
; %bb.5682:
	v_mov_b64_e32 v[4:5], 0
	s_mov_b32 s7, 0
	s_mov_b32 s8, -1
	global_store_b64 v[2:3], v[4:5], off
.LBB86_5683:
	s_mov_b32 s10, 0
.LBB86_5684:
	s_delay_alu instid0(SALU_CYCLE_1)
	s_and_b32 vcc_lo, exec_lo, s10
	s_cbranch_vccz .LBB86_5694
; %bb.5685:
	s_cmp_lt_i32 s6, 27
	s_mov_b32 s8, -1
	s_cbranch_scc1 .LBB86_5691
; %bb.5686:
	s_cmp_gt_i32 s6, 27
	s_cbranch_scc0 .LBB86_5688
; %bb.5687:
	s_wait_xcnt 0x0
	v_mov_b32_e32 v1, 0
	s_mov_b32 s8, 0
	global_store_b32 v[2:3], v1, off
.LBB86_5688:
	s_and_not1_b32 vcc_lo, exec_lo, s8
	s_cbranch_vccnz .LBB86_5690
; %bb.5689:
	s_wait_xcnt 0x0
	v_mov_b32_e32 v1, 0
	global_store_b16 v[2:3], v1, off
.LBB86_5690:
	s_mov_b32 s8, 0
.LBB86_5691:
	s_delay_alu instid0(SALU_CYCLE_1)
	s_and_not1_b32 vcc_lo, exec_lo, s8
	s_cbranch_vccnz .LBB86_5693
; %bb.5692:
	s_wait_xcnt 0x0
	v_mov_b32_e32 v1, 0
	global_store_b8 v[2:3], v1, off
.LBB86_5693:
	s_mov_b32 s8, -1
.LBB86_5694:
	s_mov_b32 s10, 0
.LBB86_5695:
	s_delay_alu instid0(SALU_CYCLE_1)
	s_and_b32 vcc_lo, exec_lo, s10
	s_cbranch_vccz .LBB86_5713
; %bb.5696:
	s_cmp_gt_i32 s6, 22
	s_mov_b32 s9, -1
	s_cbranch_scc0 .LBB86_5706
; %bb.5697:
	s_cmp_lt_i32 s6, 24
	s_mov_b32 s8, -1
	s_cbranch_scc1 .LBB86_5703
; %bb.5698:
	s_cmp_gt_i32 s6, 24
	s_cbranch_scc0 .LBB86_5700
; %bb.5699:
	s_wait_xcnt 0x0
	v_mov_b32_e32 v1, 0
	s_mov_b32 s8, 0
	global_store_b8 v[2:3], v1, off
.LBB86_5700:
	s_and_not1_b32 vcc_lo, exec_lo, s8
	s_cbranch_vccnz .LBB86_5702
; %bb.5701:
	s_wait_xcnt 0x0
	v_mov_b32_e32 v1, 0
	global_store_b8 v[2:3], v1, off
.LBB86_5702:
	s_mov_b32 s8, 0
.LBB86_5703:
	s_delay_alu instid0(SALU_CYCLE_1)
	s_and_not1_b32 vcc_lo, exec_lo, s8
	s_cbranch_vccnz .LBB86_5705
; %bb.5704:
	s_wait_xcnt 0x0
	v_mov_b32_e32 v1, 0
	global_store_b8 v[2:3], v1, off
.LBB86_5705:
	s_mov_b32 s9, 0
	s_mov_b32 s8, -1
.LBB86_5706:
	s_and_not1_b32 vcc_lo, exec_lo, s9
	s_mov_b32 s9, 0
	s_cbranch_vccnz .LBB86_5713
; %bb.5707:
	s_cmp_gt_i32 s6, 14
	s_mov_b32 s9, -1
	s_cbranch_scc0 .LBB86_5711
; %bb.5708:
	s_cmp_eq_u32 s6, 15
	s_mov_b32 s7, -1
	s_cbranch_scc0 .LBB86_5710
; %bb.5709:
	s_wait_xcnt 0x0
	v_mov_b32_e32 v1, 0
	s_mov_b32 s7, 0
	s_mov_b32 s8, -1
	global_store_b16 v[2:3], v1, off
.LBB86_5710:
	s_mov_b32 s9, 0
.LBB86_5711:
	s_delay_alu instid0(SALU_CYCLE_1)
	s_and_b32 vcc_lo, exec_lo, s9
	s_mov_b32 s9, 0
	s_cbranch_vccz .LBB86_5713
; %bb.5712:
	s_cmp_lg_u32 s6, 11
	s_mov_b32 s9, -1
	s_cselect_b32 s7, -1, 0
.LBB86_5713:
	s_delay_alu instid0(SALU_CYCLE_1)
	s_and_b32 vcc_lo, exec_lo, s7
	s_mov_b32 s6, s4
	s_cbranch_vccnz .LBB86_5991
; %bb.5714:
	s_and_not1_b32 vcc_lo, exec_lo, s9
	s_cbranch_vccnz .LBB86_5716
.LBB86_5715:
	s_wait_xcnt 0x0
	v_mov_b32_e32 v1, 0
	s_mov_b32 s8, -1
	global_store_b8 v[2:3], v1, off
.LBB86_5716:
	s_mov_b32 s7, 0
	s_branch .LBB86_5719
.LBB86_5717:
	s_or_b32 s23, s23, exec_lo
	s_trap 2
	s_cbranch_execz .LBB86_5590
	s_branch .LBB86_5591
.LBB86_5718:
	s_mov_b32 s7, -1
	s_mov_b32 s8, 0
	s_mov_b32 s6, s4
.LBB86_5719:
	s_and_b32 vcc_lo, exec_lo, s7
	s_cbranch_vccz .LBB86_5758
; %bb.5720:
	s_and_b32 s7, 0xffff, s0
	s_mov_b32 s8, -1
	s_cmp_lt_i32 s7, 5
	s_cbranch_scc1 .LBB86_5741
; %bb.5721:
	s_cmp_lt_i32 s7, 8
	s_cbranch_scc1 .LBB86_5731
; %bb.5722:
	;; [unrolled: 3-line block ×3, first 2 shown]
	s_cmp_gt_i32 s7, 9
	s_cbranch_scc0 .LBB86_5725
; %bb.5724:
	s_wait_xcnt 0x0
	v_mov_b32_e32 v4, 0
	s_mov_b32 s8, 0
	s_delay_alu instid0(VALU_DEP_1)
	v_dual_mov_b32 v5, v4 :: v_dual_mov_b32 v6, v4
	v_mov_b32_e32 v7, v4
	global_store_b128 v[2:3], v[4:7], off
.LBB86_5725:
	s_and_not1_b32 vcc_lo, exec_lo, s8
	s_cbranch_vccnz .LBB86_5727
; %bb.5726:
	s_wait_xcnt 0x0
	v_mov_b64_e32 v[4:5], 0
	global_store_b64 v[2:3], v[4:5], off
.LBB86_5727:
	s_mov_b32 s8, 0
.LBB86_5728:
	s_delay_alu instid0(SALU_CYCLE_1)
	s_and_not1_b32 vcc_lo, exec_lo, s8
	s_cbranch_vccnz .LBB86_5730
; %bb.5729:
	s_wait_xcnt 0x0
	v_mov_b32_e32 v1, 0
	global_store_b32 v[2:3], v1, off
.LBB86_5730:
	s_mov_b32 s8, 0
.LBB86_5731:
	s_delay_alu instid0(SALU_CYCLE_1)
	s_and_not1_b32 vcc_lo, exec_lo, s8
	s_cbranch_vccnz .LBB86_5740
; %bb.5732:
	s_cmp_lt_i32 s7, 6
	s_mov_b32 s8, -1
	s_cbranch_scc1 .LBB86_5738
; %bb.5733:
	s_cmp_gt_i32 s7, 6
	s_cbranch_scc0 .LBB86_5735
; %bb.5734:
	s_wait_xcnt 0x0
	v_mov_b64_e32 v[4:5], 0
	s_mov_b32 s8, 0
	global_store_b64 v[2:3], v[4:5], off
.LBB86_5735:
	s_and_not1_b32 vcc_lo, exec_lo, s8
	s_cbranch_vccnz .LBB86_5737
; %bb.5736:
	s_wait_xcnt 0x0
	v_mov_b32_e32 v1, 0
	global_store_b32 v[2:3], v1, off
.LBB86_5737:
	s_mov_b32 s8, 0
.LBB86_5738:
	s_delay_alu instid0(SALU_CYCLE_1)
	s_and_not1_b32 vcc_lo, exec_lo, s8
	s_cbranch_vccnz .LBB86_5740
; %bb.5739:
	s_wait_xcnt 0x0
	v_mov_b32_e32 v1, 0
	global_store_b16 v[2:3], v1, off
.LBB86_5740:
	s_mov_b32 s8, 0
.LBB86_5741:
	s_delay_alu instid0(SALU_CYCLE_1)
	s_and_not1_b32 vcc_lo, exec_lo, s8
	s_cbranch_vccnz .LBB86_5757
; %bb.5742:
	s_cmp_lt_i32 s7, 2
	s_mov_b32 s8, -1
	s_cbranch_scc1 .LBB86_5752
; %bb.5743:
	s_cmp_lt_i32 s7, 3
	s_cbranch_scc1 .LBB86_5749
; %bb.5744:
	s_cmp_gt_i32 s7, 3
	s_cbranch_scc0 .LBB86_5746
; %bb.5745:
	s_wait_xcnt 0x0
	v_mov_b64_e32 v[4:5], 0
	s_mov_b32 s8, 0
	global_store_b64 v[2:3], v[4:5], off
.LBB86_5746:
	s_and_not1_b32 vcc_lo, exec_lo, s8
	s_cbranch_vccnz .LBB86_5748
; %bb.5747:
	s_wait_xcnt 0x0
	v_mov_b32_e32 v1, 0
	global_store_b32 v[2:3], v1, off
.LBB86_5748:
	s_mov_b32 s8, 0
.LBB86_5749:
	s_delay_alu instid0(SALU_CYCLE_1)
	s_and_not1_b32 vcc_lo, exec_lo, s8
	s_cbranch_vccnz .LBB86_5751
; %bb.5750:
	s_wait_xcnt 0x0
	v_mov_b32_e32 v1, 0
	global_store_b16 v[2:3], v1, off
.LBB86_5751:
	s_mov_b32 s8, 0
.LBB86_5752:
	s_delay_alu instid0(SALU_CYCLE_1)
	s_and_not1_b32 vcc_lo, exec_lo, s8
	s_cbranch_vccnz .LBB86_5757
; %bb.5753:
	s_cmp_gt_i32 s7, 0
	s_mov_b32 s7, -1
	s_cbranch_scc0 .LBB86_5755
; %bb.5754:
	s_wait_xcnt 0x0
	v_mov_b32_e32 v1, 0
	s_mov_b32 s7, 0
	global_store_b8 v[2:3], v1, off
.LBB86_5755:
	s_and_not1_b32 vcc_lo, exec_lo, s7
	s_cbranch_vccnz .LBB86_5757
; %bb.5756:
	s_wait_xcnt 0x0
	v_mov_b32_e32 v1, 0
	global_store_b8 v[2:3], v1, off
.LBB86_5757:
	s_mov_b32 s8, -1
.LBB86_5758:
	s_delay_alu instid0(SALU_CYCLE_1)
	s_and_not1_b32 vcc_lo, exec_lo, s8
	s_cbranch_vccnz .LBB86_5983
; %bb.5759:
	s_lshl_b32 s8, s33, 7
	s_and_b32 s7, 0xffff, s0
	v_add_nc_u32_e32 v0, s8, v0
	s_cmp_lt_i32 s7, 11
	s_wait_xcnt 0x0
	s_delay_alu instid0(VALU_DEP_1) | instskip(NEXT) | instid1(VALU_DEP_1)
	v_ashrrev_i32_e32 v1, 31, v0
	v_add_nc_u64_e32 v[2:3], s[2:3], v[0:1]
	s_cbranch_scc1 .LBB86_5807
; %bb.5760:
	s_mov_b32 s12, -1
	s_mov_b32 s11, 0
	s_cmp_gt_i32 s7, 25
	s_mov_b32 s10, 0
	s_mov_b32 s9, 0
	s_cbranch_scc0 .LBB86_5785
; %bb.5761:
	s_cmp_gt_i32 s7, 28
	s_cbranch_scc0 .LBB86_5774
; %bb.5762:
	s_cmp_gt_i32 s7, 43
	;; [unrolled: 3-line block ×3, first 2 shown]
	s_cbranch_scc0 .LBB86_5766
; %bb.5764:
	s_mov_b32 s9, -1
	s_mov_b32 s12, 0
	s_cmp_eq_u32 s7, 46
	s_cbranch_scc0 .LBB86_5766
; %bb.5765:
	v_mov_b32_e32 v1, 0
	s_mov_b32 s9, 0
	s_mov_b32 s10, -1
	global_store_b32 v[2:3], v1, off
.LBB86_5766:
	s_and_b32 vcc_lo, exec_lo, s12
	s_cbranch_vccz .LBB86_5769
; %bb.5767:
	s_cmp_eq_u32 s7, 44
	s_mov_b32 s9, -1
	s_cbranch_scc0 .LBB86_5769
; %bb.5768:
	s_wait_xcnt 0x0
	v_mov_b32_e32 v1, 0
	s_mov_b32 s9, 0
	s_mov_b32 s10, -1
	global_store_b8 v[2:3], v1, off
.LBB86_5769:
	s_mov_b32 s12, 0
.LBB86_5770:
	s_delay_alu instid0(SALU_CYCLE_1)
	s_and_b32 vcc_lo, exec_lo, s12
	s_cbranch_vccz .LBB86_5773
; %bb.5771:
	s_cmp_eq_u32 s7, 29
	s_mov_b32 s9, -1
	s_cbranch_scc0 .LBB86_5773
; %bb.5772:
	v_mov_b64_e32 v[4:5], 0
	s_mov_b32 s9, 0
	s_mov_b32 s10, -1
	global_store_b64 v[2:3], v[4:5], off
.LBB86_5773:
	s_mov_b32 s12, 0
.LBB86_5774:
	s_delay_alu instid0(SALU_CYCLE_1)
	s_and_b32 vcc_lo, exec_lo, s12
	s_cbranch_vccz .LBB86_5784
; %bb.5775:
	s_cmp_lt_i32 s7, 27
	s_mov_b32 s10, -1
	s_cbranch_scc1 .LBB86_5781
; %bb.5776:
	s_cmp_gt_i32 s7, 27
	s_cbranch_scc0 .LBB86_5778
; %bb.5777:
	s_wait_xcnt 0x0
	v_mov_b32_e32 v1, 0
	s_mov_b32 s10, 0
	global_store_b32 v[2:3], v1, off
.LBB86_5778:
	s_and_not1_b32 vcc_lo, exec_lo, s10
	s_cbranch_vccnz .LBB86_5780
; %bb.5779:
	s_wait_xcnt 0x0
	v_mov_b32_e32 v1, 0
	global_store_b16 v[2:3], v1, off
.LBB86_5780:
	s_mov_b32 s10, 0
.LBB86_5781:
	s_delay_alu instid0(SALU_CYCLE_1)
	s_and_not1_b32 vcc_lo, exec_lo, s10
	s_cbranch_vccnz .LBB86_5783
; %bb.5782:
	s_wait_xcnt 0x0
	v_mov_b32_e32 v1, 0
	global_store_b8 v[2:3], v1, off
.LBB86_5783:
	s_mov_b32 s10, -1
.LBB86_5784:
	s_mov_b32 s12, 0
.LBB86_5785:
	s_delay_alu instid0(SALU_CYCLE_1)
	s_and_b32 vcc_lo, exec_lo, s12
	s_cbranch_vccz .LBB86_5803
; %bb.5786:
	s_cmp_gt_i32 s7, 22
	s_mov_b32 s11, -1
	s_cbranch_scc0 .LBB86_5796
; %bb.5787:
	s_cmp_lt_i32 s7, 24
	s_mov_b32 s10, -1
	s_cbranch_scc1 .LBB86_5793
; %bb.5788:
	s_cmp_gt_i32 s7, 24
	s_cbranch_scc0 .LBB86_5790
; %bb.5789:
	s_wait_xcnt 0x0
	v_mov_b32_e32 v1, 0
	s_mov_b32 s10, 0
	global_store_b8 v[2:3], v1, off
.LBB86_5790:
	s_and_not1_b32 vcc_lo, exec_lo, s10
	s_cbranch_vccnz .LBB86_5792
; %bb.5791:
	s_wait_xcnt 0x0
	v_mov_b32_e32 v1, 0
	global_store_b8 v[2:3], v1, off
.LBB86_5792:
	s_mov_b32 s10, 0
.LBB86_5793:
	s_delay_alu instid0(SALU_CYCLE_1)
	s_and_not1_b32 vcc_lo, exec_lo, s10
	s_cbranch_vccnz .LBB86_5795
; %bb.5794:
	s_wait_xcnt 0x0
	v_mov_b32_e32 v1, 0
	global_store_b8 v[2:3], v1, off
.LBB86_5795:
	s_mov_b32 s11, 0
	s_mov_b32 s10, -1
.LBB86_5796:
	s_and_not1_b32 vcc_lo, exec_lo, s11
	s_mov_b32 s11, 0
	s_cbranch_vccnz .LBB86_5803
; %bb.5797:
	s_cmp_gt_i32 s7, 14
	s_mov_b32 s11, -1
	s_cbranch_scc0 .LBB86_5801
; %bb.5798:
	s_cmp_eq_u32 s7, 15
	s_mov_b32 s9, -1
	s_cbranch_scc0 .LBB86_5800
; %bb.5799:
	s_wait_xcnt 0x0
	v_mov_b32_e32 v1, 0
	s_mov_b32 s9, 0
	s_mov_b32 s10, -1
	global_store_b16 v[2:3], v1, off
.LBB86_5800:
	s_mov_b32 s11, 0
.LBB86_5801:
	s_delay_alu instid0(SALU_CYCLE_1)
	s_and_b32 vcc_lo, exec_lo, s11
	s_mov_b32 s11, 0
	s_cbranch_vccz .LBB86_5803
; %bb.5802:
	s_cmp_lg_u32 s7, 11
	s_mov_b32 s11, -1
	s_cselect_b32 s9, -1, 0
.LBB86_5803:
	s_delay_alu instid0(SALU_CYCLE_1)
	s_and_b32 vcc_lo, exec_lo, s9
	s_cbranch_vccnz .LBB86_5992
; %bb.5804:
	s_and_not1_b32 vcc_lo, exec_lo, s11
	s_cbranch_vccnz .LBB86_5806
.LBB86_5805:
	s_wait_xcnt 0x0
	v_mov_b32_e32 v1, 0
	s_mov_b32 s10, -1
	global_store_b8 v[2:3], v1, off
.LBB86_5806:
	s_mov_b32 s9, 0
	s_branch .LBB86_5808
.LBB86_5807:
	s_mov_b32 s9, -1
	s_mov_b32 s10, 0
.LBB86_5808:
	s_and_b32 vcc_lo, exec_lo, s9
	s_cbranch_vccz .LBB86_5847
; %bb.5809:
	s_cmp_lt_i32 s7, 5
	s_mov_b32 s9, -1
	s_cbranch_scc1 .LBB86_5830
; %bb.5810:
	s_cmp_lt_i32 s7, 8
	s_cbranch_scc1 .LBB86_5820
; %bb.5811:
	s_cmp_lt_i32 s7, 9
	s_cbranch_scc1 .LBB86_5817
; %bb.5812:
	s_cmp_gt_i32 s7, 9
	s_cbranch_scc0 .LBB86_5814
; %bb.5813:
	s_wait_xcnt 0x0
	v_mov_b32_e32 v4, 0
	s_mov_b32 s9, 0
	s_delay_alu instid0(VALU_DEP_1)
	v_dual_mov_b32 v5, v4 :: v_dual_mov_b32 v6, v4
	v_mov_b32_e32 v7, v4
	global_store_b128 v[2:3], v[4:7], off
.LBB86_5814:
	s_and_not1_b32 vcc_lo, exec_lo, s9
	s_cbranch_vccnz .LBB86_5816
; %bb.5815:
	s_wait_xcnt 0x0
	v_mov_b64_e32 v[4:5], 0
	global_store_b64 v[2:3], v[4:5], off
.LBB86_5816:
	s_mov_b32 s9, 0
.LBB86_5817:
	s_delay_alu instid0(SALU_CYCLE_1)
	s_and_not1_b32 vcc_lo, exec_lo, s9
	s_cbranch_vccnz .LBB86_5819
; %bb.5818:
	s_wait_xcnt 0x0
	v_mov_b32_e32 v1, 0
	global_store_b32 v[2:3], v1, off
.LBB86_5819:
	s_mov_b32 s9, 0
.LBB86_5820:
	s_delay_alu instid0(SALU_CYCLE_1)
	s_and_not1_b32 vcc_lo, exec_lo, s9
	s_cbranch_vccnz .LBB86_5829
; %bb.5821:
	s_cmp_lt_i32 s7, 6
	s_mov_b32 s9, -1
	s_cbranch_scc1 .LBB86_5827
; %bb.5822:
	s_cmp_gt_i32 s7, 6
	s_cbranch_scc0 .LBB86_5824
; %bb.5823:
	s_wait_xcnt 0x0
	v_mov_b64_e32 v[4:5], 0
	s_mov_b32 s9, 0
	global_store_b64 v[2:3], v[4:5], off
.LBB86_5824:
	s_and_not1_b32 vcc_lo, exec_lo, s9
	s_cbranch_vccnz .LBB86_5826
; %bb.5825:
	s_wait_xcnt 0x0
	v_mov_b32_e32 v1, 0
	global_store_b32 v[2:3], v1, off
.LBB86_5826:
	s_mov_b32 s9, 0
.LBB86_5827:
	s_delay_alu instid0(SALU_CYCLE_1)
	s_and_not1_b32 vcc_lo, exec_lo, s9
	s_cbranch_vccnz .LBB86_5829
; %bb.5828:
	s_wait_xcnt 0x0
	v_mov_b32_e32 v1, 0
	global_store_b16 v[2:3], v1, off
.LBB86_5829:
	s_mov_b32 s9, 0
.LBB86_5830:
	s_delay_alu instid0(SALU_CYCLE_1)
	s_and_not1_b32 vcc_lo, exec_lo, s9
	s_cbranch_vccnz .LBB86_5846
; %bb.5831:
	s_cmp_lt_i32 s7, 2
	s_mov_b32 s9, -1
	s_cbranch_scc1 .LBB86_5841
; %bb.5832:
	s_cmp_lt_i32 s7, 3
	s_cbranch_scc1 .LBB86_5838
; %bb.5833:
	s_cmp_gt_i32 s7, 3
	s_cbranch_scc0 .LBB86_5835
; %bb.5834:
	s_wait_xcnt 0x0
	v_mov_b64_e32 v[4:5], 0
	s_mov_b32 s9, 0
	global_store_b64 v[2:3], v[4:5], off
.LBB86_5835:
	s_and_not1_b32 vcc_lo, exec_lo, s9
	s_cbranch_vccnz .LBB86_5837
; %bb.5836:
	s_wait_xcnt 0x0
	v_mov_b32_e32 v1, 0
	global_store_b32 v[2:3], v1, off
.LBB86_5837:
	s_mov_b32 s9, 0
.LBB86_5838:
	s_delay_alu instid0(SALU_CYCLE_1)
	s_and_not1_b32 vcc_lo, exec_lo, s9
	s_cbranch_vccnz .LBB86_5840
; %bb.5839:
	s_wait_xcnt 0x0
	v_mov_b32_e32 v1, 0
	global_store_b16 v[2:3], v1, off
.LBB86_5840:
	s_mov_b32 s9, 0
.LBB86_5841:
	s_delay_alu instid0(SALU_CYCLE_1)
	s_and_not1_b32 vcc_lo, exec_lo, s9
	s_cbranch_vccnz .LBB86_5846
; %bb.5842:
	s_cmp_gt_i32 s7, 0
	s_mov_b32 s9, -1
	s_cbranch_scc0 .LBB86_5844
; %bb.5843:
	s_wait_xcnt 0x0
	v_mov_b32_e32 v1, 0
	s_mov_b32 s9, 0
	global_store_b8 v[2:3], v1, off
.LBB86_5844:
	s_and_not1_b32 vcc_lo, exec_lo, s9
	s_cbranch_vccnz .LBB86_5846
; %bb.5845:
	s_wait_xcnt 0x0
	v_mov_b32_e32 v1, 0
	global_store_b8 v[2:3], v1, off
.LBB86_5846:
	s_mov_b32 s10, -1
.LBB86_5847:
	s_delay_alu instid0(SALU_CYCLE_1)
	s_and_not1_b32 vcc_lo, exec_lo, s10
	s_cbranch_vccnz .LBB86_5983
; %bb.5848:
	v_add_nc_u32_e32 v0, s8, v0
	s_cmp_lt_i32 s7, 11
	s_wait_xcnt 0x0
	s_delay_alu instid0(VALU_DEP_1) | instskip(NEXT) | instid1(VALU_DEP_1)
	v_ashrrev_i32_e32 v1, 31, v0
	v_add_nc_u64_e32 v[2:3], s[2:3], v[0:1]
	s_cbranch_scc1 .LBB86_5896
; %bb.5849:
	s_mov_b32 s12, -1
	s_mov_b32 s11, 0
	s_cmp_gt_i32 s7, 25
	s_mov_b32 s10, 0
	s_mov_b32 s9, 0
	s_cbranch_scc0 .LBB86_5874
; %bb.5850:
	s_cmp_gt_i32 s7, 28
	s_cbranch_scc0 .LBB86_5863
; %bb.5851:
	s_cmp_gt_i32 s7, 43
	;; [unrolled: 3-line block ×3, first 2 shown]
	s_cbranch_scc0 .LBB86_5855
; %bb.5853:
	s_mov_b32 s9, -1
	s_mov_b32 s12, 0
	s_cmp_eq_u32 s7, 46
	s_cbranch_scc0 .LBB86_5855
; %bb.5854:
	v_mov_b32_e32 v1, 0
	s_mov_b32 s9, 0
	s_mov_b32 s10, -1
	global_store_b32 v[2:3], v1, off
.LBB86_5855:
	s_and_b32 vcc_lo, exec_lo, s12
	s_cbranch_vccz .LBB86_5858
; %bb.5856:
	s_cmp_eq_u32 s7, 44
	s_mov_b32 s9, -1
	s_cbranch_scc0 .LBB86_5858
; %bb.5857:
	s_wait_xcnt 0x0
	v_mov_b32_e32 v1, 0
	s_mov_b32 s9, 0
	s_mov_b32 s10, -1
	global_store_b8 v[2:3], v1, off
.LBB86_5858:
	s_mov_b32 s12, 0
.LBB86_5859:
	s_delay_alu instid0(SALU_CYCLE_1)
	s_and_b32 vcc_lo, exec_lo, s12
	s_cbranch_vccz .LBB86_5862
; %bb.5860:
	s_cmp_eq_u32 s7, 29
	s_mov_b32 s9, -1
	s_cbranch_scc0 .LBB86_5862
; %bb.5861:
	v_mov_b64_e32 v[4:5], 0
	s_mov_b32 s9, 0
	s_mov_b32 s10, -1
	global_store_b64 v[2:3], v[4:5], off
.LBB86_5862:
	s_mov_b32 s12, 0
.LBB86_5863:
	s_delay_alu instid0(SALU_CYCLE_1)
	s_and_b32 vcc_lo, exec_lo, s12
	s_cbranch_vccz .LBB86_5873
; %bb.5864:
	s_cmp_lt_i32 s7, 27
	s_mov_b32 s10, -1
	s_cbranch_scc1 .LBB86_5870
; %bb.5865:
	s_cmp_gt_i32 s7, 27
	s_cbranch_scc0 .LBB86_5867
; %bb.5866:
	s_wait_xcnt 0x0
	v_mov_b32_e32 v1, 0
	s_mov_b32 s10, 0
	global_store_b32 v[2:3], v1, off
.LBB86_5867:
	s_and_not1_b32 vcc_lo, exec_lo, s10
	s_cbranch_vccnz .LBB86_5869
; %bb.5868:
	s_wait_xcnt 0x0
	v_mov_b32_e32 v1, 0
	global_store_b16 v[2:3], v1, off
.LBB86_5869:
	s_mov_b32 s10, 0
.LBB86_5870:
	s_delay_alu instid0(SALU_CYCLE_1)
	s_and_not1_b32 vcc_lo, exec_lo, s10
	s_cbranch_vccnz .LBB86_5872
; %bb.5871:
	s_wait_xcnt 0x0
	v_mov_b32_e32 v1, 0
	global_store_b8 v[2:3], v1, off
.LBB86_5872:
	s_mov_b32 s10, -1
.LBB86_5873:
	s_mov_b32 s12, 0
.LBB86_5874:
	s_delay_alu instid0(SALU_CYCLE_1)
	s_and_b32 vcc_lo, exec_lo, s12
	s_cbranch_vccz .LBB86_5892
; %bb.5875:
	s_cmp_gt_i32 s7, 22
	s_mov_b32 s11, -1
	s_cbranch_scc0 .LBB86_5885
; %bb.5876:
	s_cmp_lt_i32 s7, 24
	s_mov_b32 s10, -1
	s_cbranch_scc1 .LBB86_5882
; %bb.5877:
	s_cmp_gt_i32 s7, 24
	s_cbranch_scc0 .LBB86_5879
; %bb.5878:
	s_wait_xcnt 0x0
	v_mov_b32_e32 v1, 0
	s_mov_b32 s10, 0
	global_store_b8 v[2:3], v1, off
.LBB86_5879:
	s_and_not1_b32 vcc_lo, exec_lo, s10
	s_cbranch_vccnz .LBB86_5881
; %bb.5880:
	s_wait_xcnt 0x0
	v_mov_b32_e32 v1, 0
	global_store_b8 v[2:3], v1, off
.LBB86_5881:
	s_mov_b32 s10, 0
.LBB86_5882:
	s_delay_alu instid0(SALU_CYCLE_1)
	s_and_not1_b32 vcc_lo, exec_lo, s10
	s_cbranch_vccnz .LBB86_5884
; %bb.5883:
	s_wait_xcnt 0x0
	v_mov_b32_e32 v1, 0
	global_store_b8 v[2:3], v1, off
.LBB86_5884:
	s_mov_b32 s11, 0
	s_mov_b32 s10, -1
.LBB86_5885:
	s_and_not1_b32 vcc_lo, exec_lo, s11
	s_mov_b32 s11, 0
	s_cbranch_vccnz .LBB86_5892
; %bb.5886:
	s_cmp_gt_i32 s7, 14
	s_mov_b32 s11, -1
	s_cbranch_scc0 .LBB86_5890
; %bb.5887:
	s_cmp_eq_u32 s7, 15
	s_mov_b32 s9, -1
	s_cbranch_scc0 .LBB86_5889
; %bb.5888:
	s_wait_xcnt 0x0
	v_mov_b32_e32 v1, 0
	s_mov_b32 s9, 0
	s_mov_b32 s10, -1
	global_store_b16 v[2:3], v1, off
.LBB86_5889:
	s_mov_b32 s11, 0
.LBB86_5890:
	s_delay_alu instid0(SALU_CYCLE_1)
	s_and_b32 vcc_lo, exec_lo, s11
	s_mov_b32 s11, 0
	s_cbranch_vccz .LBB86_5892
; %bb.5891:
	s_cmp_lg_u32 s7, 11
	s_mov_b32 s11, -1
	s_cselect_b32 s9, -1, 0
.LBB86_5892:
	s_delay_alu instid0(SALU_CYCLE_1)
	s_and_b32 vcc_lo, exec_lo, s9
	s_cbranch_vccnz .LBB86_5994
; %bb.5893:
	s_and_not1_b32 vcc_lo, exec_lo, s11
	s_cbranch_vccnz .LBB86_5895
.LBB86_5894:
	s_wait_xcnt 0x0
	v_mov_b32_e32 v1, 0
	s_mov_b32 s10, -1
	global_store_b8 v[2:3], v1, off
.LBB86_5895:
	s_mov_b32 s9, 0
	s_branch .LBB86_5897
.LBB86_5896:
	s_mov_b32 s9, -1
	s_mov_b32 s10, 0
.LBB86_5897:
	s_and_b32 vcc_lo, exec_lo, s9
	s_cbranch_vccz .LBB86_5936
; %bb.5898:
	s_cmp_lt_i32 s7, 5
	s_mov_b32 s9, -1
	s_cbranch_scc1 .LBB86_5919
; %bb.5899:
	s_cmp_lt_i32 s7, 8
	s_cbranch_scc1 .LBB86_5909
; %bb.5900:
	s_cmp_lt_i32 s7, 9
	s_cbranch_scc1 .LBB86_5906
; %bb.5901:
	s_cmp_gt_i32 s7, 9
	s_cbranch_scc0 .LBB86_5903
; %bb.5902:
	s_wait_xcnt 0x0
	v_mov_b32_e32 v4, 0
	s_mov_b32 s9, 0
	s_delay_alu instid0(VALU_DEP_1)
	v_dual_mov_b32 v5, v4 :: v_dual_mov_b32 v6, v4
	v_mov_b32_e32 v7, v4
	global_store_b128 v[2:3], v[4:7], off
.LBB86_5903:
	s_and_not1_b32 vcc_lo, exec_lo, s9
	s_cbranch_vccnz .LBB86_5905
; %bb.5904:
	s_wait_xcnt 0x0
	v_mov_b64_e32 v[4:5], 0
	global_store_b64 v[2:3], v[4:5], off
.LBB86_5905:
	s_mov_b32 s9, 0
.LBB86_5906:
	s_delay_alu instid0(SALU_CYCLE_1)
	s_and_not1_b32 vcc_lo, exec_lo, s9
	s_cbranch_vccnz .LBB86_5908
; %bb.5907:
	s_wait_xcnt 0x0
	v_mov_b32_e32 v1, 0
	global_store_b32 v[2:3], v1, off
.LBB86_5908:
	s_mov_b32 s9, 0
.LBB86_5909:
	s_delay_alu instid0(SALU_CYCLE_1)
	s_and_not1_b32 vcc_lo, exec_lo, s9
	s_cbranch_vccnz .LBB86_5918
; %bb.5910:
	s_cmp_lt_i32 s7, 6
	s_mov_b32 s9, -1
	s_cbranch_scc1 .LBB86_5916
; %bb.5911:
	s_cmp_gt_i32 s7, 6
	s_cbranch_scc0 .LBB86_5913
; %bb.5912:
	s_wait_xcnt 0x0
	v_mov_b64_e32 v[4:5], 0
	s_mov_b32 s9, 0
	global_store_b64 v[2:3], v[4:5], off
.LBB86_5913:
	s_and_not1_b32 vcc_lo, exec_lo, s9
	s_cbranch_vccnz .LBB86_5915
; %bb.5914:
	s_wait_xcnt 0x0
	v_mov_b32_e32 v1, 0
	global_store_b32 v[2:3], v1, off
.LBB86_5915:
	s_mov_b32 s9, 0
.LBB86_5916:
	s_delay_alu instid0(SALU_CYCLE_1)
	s_and_not1_b32 vcc_lo, exec_lo, s9
	s_cbranch_vccnz .LBB86_5918
; %bb.5917:
	s_wait_xcnt 0x0
	v_mov_b32_e32 v1, 0
	global_store_b16 v[2:3], v1, off
.LBB86_5918:
	s_mov_b32 s9, 0
.LBB86_5919:
	s_delay_alu instid0(SALU_CYCLE_1)
	s_and_not1_b32 vcc_lo, exec_lo, s9
	s_cbranch_vccnz .LBB86_5935
; %bb.5920:
	s_cmp_lt_i32 s7, 2
	s_mov_b32 s9, -1
	s_cbranch_scc1 .LBB86_5930
; %bb.5921:
	s_cmp_lt_i32 s7, 3
	s_cbranch_scc1 .LBB86_5927
; %bb.5922:
	s_cmp_gt_i32 s7, 3
	s_cbranch_scc0 .LBB86_5924
; %bb.5923:
	s_wait_xcnt 0x0
	v_mov_b64_e32 v[4:5], 0
	s_mov_b32 s9, 0
	global_store_b64 v[2:3], v[4:5], off
.LBB86_5924:
	s_and_not1_b32 vcc_lo, exec_lo, s9
	s_cbranch_vccnz .LBB86_5926
; %bb.5925:
	s_wait_xcnt 0x0
	v_mov_b32_e32 v1, 0
	global_store_b32 v[2:3], v1, off
.LBB86_5926:
	s_mov_b32 s9, 0
.LBB86_5927:
	s_delay_alu instid0(SALU_CYCLE_1)
	s_and_not1_b32 vcc_lo, exec_lo, s9
	s_cbranch_vccnz .LBB86_5929
; %bb.5928:
	s_wait_xcnt 0x0
	v_mov_b32_e32 v1, 0
	global_store_b16 v[2:3], v1, off
.LBB86_5929:
	s_mov_b32 s9, 0
.LBB86_5930:
	s_delay_alu instid0(SALU_CYCLE_1)
	s_and_not1_b32 vcc_lo, exec_lo, s9
	s_cbranch_vccnz .LBB86_5935
; %bb.5931:
	s_cmp_gt_i32 s7, 0
	s_mov_b32 s9, -1
	s_cbranch_scc0 .LBB86_5933
; %bb.5932:
	s_wait_xcnt 0x0
	v_mov_b32_e32 v1, 0
	s_mov_b32 s9, 0
	global_store_b8 v[2:3], v1, off
.LBB86_5933:
	s_and_not1_b32 vcc_lo, exec_lo, s9
	s_cbranch_vccnz .LBB86_5935
; %bb.5934:
	s_wait_xcnt 0x0
	v_mov_b32_e32 v1, 0
	global_store_b8 v[2:3], v1, off
.LBB86_5935:
	s_mov_b32 s10, -1
.LBB86_5936:
	s_delay_alu instid0(SALU_CYCLE_1)
	s_and_not1_b32 vcc_lo, exec_lo, s10
	s_cbranch_vccnz .LBB86_5983
; %bb.5937:
	v_add_nc_u32_e32 v0, s8, v0
	s_cmp_lt_i32 s7, 11
	s_wait_xcnt 0x0
	s_delay_alu instid0(VALU_DEP_1) | instskip(NEXT) | instid1(VALU_DEP_1)
	v_ashrrev_i32_e32 v1, 31, v0
	v_add_nc_u64_e32 v[14:15], s[2:3], v[0:1]
	s_cbranch_scc1 .LBB86_5989
; %bb.5938:
	s_mov_b32 s8, -1
	s_mov_b32 s2, 0
	s_cmp_gt_i32 s7, 25
	s_mov_b32 s3, 0
	s_cbranch_scc0 .LBB86_5963
; %bb.5939:
	s_cmp_gt_i32 s7, 28
	s_cbranch_scc0 .LBB86_5953
; %bb.5940:
	s_cmp_gt_i32 s7, 43
	;; [unrolled: 3-line block ×3, first 2 shown]
	s_cbranch_scc0 .LBB86_5945
; %bb.5942:
	s_cmp_eq_u32 s7, 46
	s_mov_b32 s3, -1
	s_cbranch_scc0 .LBB86_5944
; %bb.5943:
	v_mov_b32_e32 v0, 0
	s_mov_b32 s3, 0
	global_store_b32 v[14:15], v0, off
.LBB86_5944:
	s_mov_b32 s8, 0
.LBB86_5945:
	s_delay_alu instid0(SALU_CYCLE_1)
	s_and_b32 vcc_lo, exec_lo, s8
	s_cbranch_vccz .LBB86_5948
; %bb.5946:
	s_cmp_eq_u32 s7, 44
	s_mov_b32 s3, -1
	s_cbranch_scc0 .LBB86_5948
; %bb.5947:
	s_wait_xcnt 0x0
	v_mov_b32_e32 v0, 0
	s_mov_b32 s3, 0
	global_store_b8 v[14:15], v0, off
.LBB86_5948:
	s_mov_b32 s8, 0
.LBB86_5949:
	s_delay_alu instid0(SALU_CYCLE_1)
	s_and_b32 vcc_lo, exec_lo, s8
	s_cbranch_vccz .LBB86_5952
; %bb.5950:
	s_cmp_eq_u32 s7, 29
	s_mov_b32 s3, -1
	s_cbranch_scc0 .LBB86_5952
; %bb.5951:
	s_wait_xcnt 0x0
	v_mov_b64_e32 v[0:1], 0
	s_mov_b32 s3, 0
	global_store_b64 v[14:15], v[0:1], off
.LBB86_5952:
	s_mov_b32 s8, 0
.LBB86_5953:
	s_delay_alu instid0(SALU_CYCLE_1)
	s_and_b32 vcc_lo, exec_lo, s8
	s_cbranch_vccz .LBB86_5962
; %bb.5954:
	s_cmp_lt_i32 s7, 27
	s_mov_b32 s8, -1
	s_cbranch_scc1 .LBB86_5960
; %bb.5955:
	s_cmp_gt_i32 s7, 27
	s_cbranch_scc0 .LBB86_5957
; %bb.5956:
	s_wait_xcnt 0x0
	v_mov_b32_e32 v0, 0
	s_mov_b32 s8, 0
	global_store_b32 v[14:15], v0, off
.LBB86_5957:
	s_and_not1_b32 vcc_lo, exec_lo, s8
	s_cbranch_vccnz .LBB86_5959
; %bb.5958:
	s_wait_xcnt 0x0
	v_mov_b32_e32 v0, 0
	global_store_b16 v[14:15], v0, off
.LBB86_5959:
	s_mov_b32 s8, 0
.LBB86_5960:
	s_delay_alu instid0(SALU_CYCLE_1)
	s_and_not1_b32 vcc_lo, exec_lo, s8
	s_cbranch_vccnz .LBB86_5962
; %bb.5961:
	s_wait_xcnt 0x0
	v_mov_b32_e32 v0, 0
	global_store_b8 v[14:15], v0, off
.LBB86_5962:
	s_mov_b32 s8, 0
.LBB86_5963:
	s_delay_alu instid0(SALU_CYCLE_1)
	s_and_b32 vcc_lo, exec_lo, s8
	s_cbranch_vccz .LBB86_5981
; %bb.5964:
	s_cmp_gt_i32 s7, 22
	s_mov_b32 s2, -1
	s_cbranch_scc0 .LBB86_5974
; %bb.5965:
	s_cmp_lt_i32 s7, 24
	s_cbranch_scc1 .LBB86_5971
; %bb.5966:
	s_cmp_gt_i32 s7, 24
	s_cbranch_scc0 .LBB86_5968
; %bb.5967:
	s_wait_xcnt 0x0
	v_mov_b32_e32 v0, 0
	s_mov_b32 s2, 0
	global_store_b8 v[14:15], v0, off
.LBB86_5968:
	s_and_not1_b32 vcc_lo, exec_lo, s2
	s_cbranch_vccnz .LBB86_5970
; %bb.5969:
	s_wait_xcnt 0x0
	v_mov_b32_e32 v0, 0
	global_store_b8 v[14:15], v0, off
.LBB86_5970:
	s_mov_b32 s2, 0
.LBB86_5971:
	s_delay_alu instid0(SALU_CYCLE_1)
	s_and_not1_b32 vcc_lo, exec_lo, s2
	s_cbranch_vccnz .LBB86_5973
; %bb.5972:
	s_wait_xcnt 0x0
	v_mov_b32_e32 v0, 0
	global_store_b8 v[14:15], v0, off
.LBB86_5973:
	s_mov_b32 s2, 0
.LBB86_5974:
	s_delay_alu instid0(SALU_CYCLE_1)
	s_and_not1_b32 vcc_lo, exec_lo, s2
	s_mov_b32 s2, 0
	s_cbranch_vccnz .LBB86_5981
; %bb.5975:
	s_cmp_gt_i32 s7, 14
	s_mov_b32 s2, -1
	s_cbranch_scc0 .LBB86_5979
; %bb.5976:
	s_cmp_eq_u32 s7, 15
	s_mov_b32 s3, -1
	s_cbranch_scc0 .LBB86_5978
; %bb.5977:
	s_wait_xcnt 0x0
	v_mov_b32_e32 v0, 0
	s_mov_b32 s3, 0
	global_store_b16 v[14:15], v0, off
.LBB86_5978:
	s_mov_b32 s2, 0
.LBB86_5979:
	s_delay_alu instid0(SALU_CYCLE_1)
	s_and_b32 vcc_lo, exec_lo, s2
	s_mov_b32 s2, 0
	s_cbranch_vccz .LBB86_5981
; %bb.5980:
	s_cmp_lg_u32 s7, 11
	s_mov_b32 s2, -1
	s_cselect_b32 s3, -1, 0
.LBB86_5981:
	s_delay_alu instid0(SALU_CYCLE_1)
	s_and_b32 vcc_lo, exec_lo, s3
	s_cbranch_vccnz .LBB86_5996
.LBB86_5982:
	s_mov_b32 s3, 0
	s_branch .LBB86_5984
.LBB86_5983:
	s_mov_b32 s3, 0
	s_mov_b32 s2, 0
                                        ; implicit-def: $vgpr14_vgpr15
                                        ; implicit-def: $sgpr0
.LBB86_5984:
	s_and_b32 s7, s3, exec_lo
	s_and_not1_b32 s3, s4, exec_lo
	s_and_b32 s4, s6, exec_lo
	s_and_b32 s6, s2, exec_lo
	s_or_b32 s4, s3, s4
.LBB86_5985:
	s_wait_xcnt 0x0
	s_or_b32 exec_lo, exec_lo, s5
	s_delay_alu instid0(SALU_CYCLE_1)
	s_and_not1_b32 s2, s18, exec_lo
	s_and_b32 s3, s4, exec_lo
	s_and_b32 s8, s7, exec_lo
	;; [unrolled: 1-line block ×3, first 2 shown]
	s_or_b32 s18, s2, s3
.LBB86_5986:
	s_or_b32 exec_lo, exec_lo, s27
	s_delay_alu instid0(SALU_CYCLE_1)
	s_and_not1_b32 s2, s17, exec_lo
	s_and_b32 s3, s18, exec_lo
	s_and_b32 s8, s8, exec_lo
	;; [unrolled: 1-line block ×3, first 2 shown]
	s_or_b32 s17, s2, s3
.LBB86_5987:
	s_or_b32 exec_lo, exec_lo, s26
	s_delay_alu instid0(SALU_CYCLE_1)
	s_and_not1_b32 s2, s23, exec_lo
	s_and_b32 s3, s17, exec_lo
	s_and_b32 s8, s8, exec_lo
	;; [unrolled: 1-line block ×3, first 2 shown]
	s_or_b32 s23, s2, s3
.LBB86_5988:
	s_or_b32 exec_lo, exec_lo, s16
	s_branch .LBB86_5651
.LBB86_5989:
	s_mov_b32 s2, 0
	s_mov_b32 s3, -1
	s_branch .LBB86_5984
.LBB86_5990:
	s_or_b32 s6, s18, exec_lo
	s_xor_b32 s5, exec_lo, -1
	s_trap 2
	s_branch .LBB86_5667
.LBB86_5991:
	s_or_b32 s6, s4, exec_lo
	s_trap 2
	s_cbranch_execz .LBB86_5715
	s_branch .LBB86_5716
.LBB86_5992:
	s_or_b32 s6, s6, exec_lo
	s_trap 2
	s_cbranch_execz .LBB86_5805
	s_branch .LBB86_5806
.LBB86_5993:
	s_or_b32 s23, s23, exec_lo
	s_trap 2
                                        ; implicit-def: $vgpr9
                                        ; implicit-def: $vgpr24
                                        ; implicit-def: $vgpr2
                                        ; implicit-def: $vgpr0
                                        ; implicit-def: $vgpr23
                                        ; implicit-def: $vgpr25
                                        ; implicit-def: $vgpr22
                                        ; implicit-def: $vgpr6
	s_branch .LBB86_5643
.LBB86_5994:
	s_or_b32 s6, s6, exec_lo
	s_trap 2
	s_cbranch_execz .LBB86_5894
	s_branch .LBB86_5895
.LBB86_5995:
	s_or_b32 s17, s23, exec_lo
	s_trap 2
                                        ; implicit-def: $vgpr2
                                        ; implicit-def: $vgpr0
                                        ; implicit-def: $vgpr23
                                        ; implicit-def: $vgpr25
                                        ; implicit-def: $vgpr22
                                        ; implicit-def: $vgpr6
	s_or_saveexec_b32 s26, s0
                                        ; implicit-def: $vgpr14_vgpr15
                                        ; implicit-def: $sgpr0
	s_delay_alu instid0(SALU_CYCLE_1)
	s_xor_b32 exec_lo, exec_lo, s26
	s_cbranch_execz .LBB86_5987
	s_branch .LBB86_5646
.LBB86_5996:
	s_mov_b32 s2, 0
	s_or_b32 s6, s6, exec_lo
	s_trap 2
	s_branch .LBB86_5982
.LBB86_5997:
	s_or_b32 s18, s17, exec_lo
	s_trap 2
                                        ; implicit-def: $vgpr2
                                        ; implicit-def: $vgpr0
                                        ; implicit-def: $vgpr25
                                        ; implicit-def: $vgpr22
                                        ; implicit-def: $vgpr6
	s_or_saveexec_b32 s27, s0
	s_mov_b32 s5, 0
                                        ; implicit-def: $vgpr14_vgpr15
                                        ; implicit-def: $sgpr0
	s_xor_b32 exec_lo, exec_lo, s27
	s_cbranch_execz .LBB86_5986
	s_branch .LBB86_5648
	.section	.rodata,"a",@progbits
	.p2align	6, 0x0
	.amdhsa_kernel _ZN2at6native32elementwise_kernel_manual_unrollILi128ELi4EZNS0_15gpu_kernel_implIZZZNS0_12_GLOBAL__N_142_validate_compressed_sparse_indices_kernelILNS3_8CDimNameE1ENS3_18CUDAKernelLauncherENS3_14EmptyVecKernelENS3_8DummyVecELm8EEEvRKNS_6TensorESB_lllENKUlvE1_clEvENKUlvE_clEvEUliiiiiE_EEvRNS_18TensorIteratorBaseERKT_EUlibE_EEviT1_
		.amdhsa_group_segment_fixed_size 0
		.amdhsa_private_segment_fixed_size 0
		.amdhsa_kernarg_size 256
		.amdhsa_user_sgpr_count 2
		.amdhsa_user_sgpr_dispatch_ptr 0
		.amdhsa_user_sgpr_queue_ptr 0
		.amdhsa_user_sgpr_kernarg_segment_ptr 1
		.amdhsa_user_sgpr_dispatch_id 0
		.amdhsa_user_sgpr_kernarg_preload_length 0
		.amdhsa_user_sgpr_kernarg_preload_offset 0
		.amdhsa_user_sgpr_private_segment_size 0
		.amdhsa_wavefront_size32 1
		.amdhsa_uses_dynamic_stack 0
		.amdhsa_enable_private_segment 0
		.amdhsa_system_sgpr_workgroup_id_x 1
		.amdhsa_system_sgpr_workgroup_id_y 0
		.amdhsa_system_sgpr_workgroup_id_z 0
		.amdhsa_system_sgpr_workgroup_info 0
		.amdhsa_system_vgpr_workitem_id 0
		.amdhsa_next_free_vgpr 38
		.amdhsa_next_free_sgpr 98
		.amdhsa_named_barrier_count 0
		.amdhsa_reserve_vcc 1
		.amdhsa_float_round_mode_32 0
		.amdhsa_float_round_mode_16_64 0
		.amdhsa_float_denorm_mode_32 3
		.amdhsa_float_denorm_mode_16_64 3
		.amdhsa_fp16_overflow 0
		.amdhsa_memory_ordered 1
		.amdhsa_forward_progress 1
		.amdhsa_inst_pref_size 255
		.amdhsa_round_robin_scheduling 0
		.amdhsa_exception_fp_ieee_invalid_op 0
		.amdhsa_exception_fp_denorm_src 0
		.amdhsa_exception_fp_ieee_div_zero 0
		.amdhsa_exception_fp_ieee_overflow 0
		.amdhsa_exception_fp_ieee_underflow 0
		.amdhsa_exception_fp_ieee_inexact 0
		.amdhsa_exception_int_div_zero 0
	.end_amdhsa_kernel
	.section	.text._ZN2at6native32elementwise_kernel_manual_unrollILi128ELi4EZNS0_15gpu_kernel_implIZZZNS0_12_GLOBAL__N_142_validate_compressed_sparse_indices_kernelILNS3_8CDimNameE1ENS3_18CUDAKernelLauncherENS3_14EmptyVecKernelENS3_8DummyVecELm8EEEvRKNS_6TensorESB_lllENKUlvE1_clEvENKUlvE_clEvEUliiiiiE_EEvRNS_18TensorIteratorBaseERKT_EUlibE_EEviT1_,"axG",@progbits,_ZN2at6native32elementwise_kernel_manual_unrollILi128ELi4EZNS0_15gpu_kernel_implIZZZNS0_12_GLOBAL__N_142_validate_compressed_sparse_indices_kernelILNS3_8CDimNameE1ENS3_18CUDAKernelLauncherENS3_14EmptyVecKernelENS3_8DummyVecELm8EEEvRKNS_6TensorESB_lllENKUlvE1_clEvENKUlvE_clEvEUliiiiiE_EEvRNS_18TensorIteratorBaseERKT_EUlibE_EEviT1_,comdat
.Lfunc_end86:
	.size	_ZN2at6native32elementwise_kernel_manual_unrollILi128ELi4EZNS0_15gpu_kernel_implIZZZNS0_12_GLOBAL__N_142_validate_compressed_sparse_indices_kernelILNS3_8CDimNameE1ENS3_18CUDAKernelLauncherENS3_14EmptyVecKernelENS3_8DummyVecELm8EEEvRKNS_6TensorESB_lllENKUlvE1_clEvENKUlvE_clEvEUliiiiiE_EEvRNS_18TensorIteratorBaseERKT_EUlibE_EEviT1_, .Lfunc_end86-_ZN2at6native32elementwise_kernel_manual_unrollILi128ELi4EZNS0_15gpu_kernel_implIZZZNS0_12_GLOBAL__N_142_validate_compressed_sparse_indices_kernelILNS3_8CDimNameE1ENS3_18CUDAKernelLauncherENS3_14EmptyVecKernelENS3_8DummyVecELm8EEEvRKNS_6TensorESB_lllENKUlvE1_clEvENKUlvE_clEvEUliiiiiE_EEvRNS_18TensorIteratorBaseERKT_EUlibE_EEviT1_
                                        ; -- End function
	.set _ZN2at6native32elementwise_kernel_manual_unrollILi128ELi4EZNS0_15gpu_kernel_implIZZZNS0_12_GLOBAL__N_142_validate_compressed_sparse_indices_kernelILNS3_8CDimNameE1ENS3_18CUDAKernelLauncherENS3_14EmptyVecKernelENS3_8DummyVecELm8EEEvRKNS_6TensorESB_lllENKUlvE1_clEvENKUlvE_clEvEUliiiiiE_EEvRNS_18TensorIteratorBaseERKT_EUlibE_EEviT1_.num_vgpr, 38
	.set _ZN2at6native32elementwise_kernel_manual_unrollILi128ELi4EZNS0_15gpu_kernel_implIZZZNS0_12_GLOBAL__N_142_validate_compressed_sparse_indices_kernelILNS3_8CDimNameE1ENS3_18CUDAKernelLauncherENS3_14EmptyVecKernelENS3_8DummyVecELm8EEEvRKNS_6TensorESB_lllENKUlvE1_clEvENKUlvE_clEvEUliiiiiE_EEvRNS_18TensorIteratorBaseERKT_EUlibE_EEviT1_.num_agpr, 0
	.set _ZN2at6native32elementwise_kernel_manual_unrollILi128ELi4EZNS0_15gpu_kernel_implIZZZNS0_12_GLOBAL__N_142_validate_compressed_sparse_indices_kernelILNS3_8CDimNameE1ENS3_18CUDAKernelLauncherENS3_14EmptyVecKernelENS3_8DummyVecELm8EEEvRKNS_6TensorESB_lllENKUlvE1_clEvENKUlvE_clEvEUliiiiiE_EEvRNS_18TensorIteratorBaseERKT_EUlibE_EEviT1_.numbered_sgpr, 98
	.set _ZN2at6native32elementwise_kernel_manual_unrollILi128ELi4EZNS0_15gpu_kernel_implIZZZNS0_12_GLOBAL__N_142_validate_compressed_sparse_indices_kernelILNS3_8CDimNameE1ENS3_18CUDAKernelLauncherENS3_14EmptyVecKernelENS3_8DummyVecELm8EEEvRKNS_6TensorESB_lllENKUlvE1_clEvENKUlvE_clEvEUliiiiiE_EEvRNS_18TensorIteratorBaseERKT_EUlibE_EEviT1_.num_named_barrier, 0
	.set _ZN2at6native32elementwise_kernel_manual_unrollILi128ELi4EZNS0_15gpu_kernel_implIZZZNS0_12_GLOBAL__N_142_validate_compressed_sparse_indices_kernelILNS3_8CDimNameE1ENS3_18CUDAKernelLauncherENS3_14EmptyVecKernelENS3_8DummyVecELm8EEEvRKNS_6TensorESB_lllENKUlvE1_clEvENKUlvE_clEvEUliiiiiE_EEvRNS_18TensorIteratorBaseERKT_EUlibE_EEviT1_.private_seg_size, 0
	.set _ZN2at6native32elementwise_kernel_manual_unrollILi128ELi4EZNS0_15gpu_kernel_implIZZZNS0_12_GLOBAL__N_142_validate_compressed_sparse_indices_kernelILNS3_8CDimNameE1ENS3_18CUDAKernelLauncherENS3_14EmptyVecKernelENS3_8DummyVecELm8EEEvRKNS_6TensorESB_lllENKUlvE1_clEvENKUlvE_clEvEUliiiiiE_EEvRNS_18TensorIteratorBaseERKT_EUlibE_EEviT1_.uses_vcc, 1
	.set _ZN2at6native32elementwise_kernel_manual_unrollILi128ELi4EZNS0_15gpu_kernel_implIZZZNS0_12_GLOBAL__N_142_validate_compressed_sparse_indices_kernelILNS3_8CDimNameE1ENS3_18CUDAKernelLauncherENS3_14EmptyVecKernelENS3_8DummyVecELm8EEEvRKNS_6TensorESB_lllENKUlvE1_clEvENKUlvE_clEvEUliiiiiE_EEvRNS_18TensorIteratorBaseERKT_EUlibE_EEviT1_.uses_flat_scratch, 0
	.set _ZN2at6native32elementwise_kernel_manual_unrollILi128ELi4EZNS0_15gpu_kernel_implIZZZNS0_12_GLOBAL__N_142_validate_compressed_sparse_indices_kernelILNS3_8CDimNameE1ENS3_18CUDAKernelLauncherENS3_14EmptyVecKernelENS3_8DummyVecELm8EEEvRKNS_6TensorESB_lllENKUlvE1_clEvENKUlvE_clEvEUliiiiiE_EEvRNS_18TensorIteratorBaseERKT_EUlibE_EEviT1_.has_dyn_sized_stack, 0
	.set _ZN2at6native32elementwise_kernel_manual_unrollILi128ELi4EZNS0_15gpu_kernel_implIZZZNS0_12_GLOBAL__N_142_validate_compressed_sparse_indices_kernelILNS3_8CDimNameE1ENS3_18CUDAKernelLauncherENS3_14EmptyVecKernelENS3_8DummyVecELm8EEEvRKNS_6TensorESB_lllENKUlvE1_clEvENKUlvE_clEvEUliiiiiE_EEvRNS_18TensorIteratorBaseERKT_EUlibE_EEviT1_.has_recursion, 0
	.set _ZN2at6native32elementwise_kernel_manual_unrollILi128ELi4EZNS0_15gpu_kernel_implIZZZNS0_12_GLOBAL__N_142_validate_compressed_sparse_indices_kernelILNS3_8CDimNameE1ENS3_18CUDAKernelLauncherENS3_14EmptyVecKernelENS3_8DummyVecELm8EEEvRKNS_6TensorESB_lllENKUlvE1_clEvENKUlvE_clEvEUliiiiiE_EEvRNS_18TensorIteratorBaseERKT_EUlibE_EEviT1_.has_indirect_call, 0
	.section	.AMDGPU.csdata,"",@progbits
; Kernel info:
; codeLenInByte = 107596
; TotalNumSgprs: 100
; NumVgprs: 38
; ScratchSize: 0
; MemoryBound: 1
; FloatMode: 240
; IeeeMode: 1
; LDSByteSize: 0 bytes/workgroup (compile time only)
; SGPRBlocks: 0
; VGPRBlocks: 2
; NumSGPRsForWavesPerEU: 100
; NumVGPRsForWavesPerEU: 38
; NamedBarCnt: 0
; Occupancy: 16
; WaveLimiterHint : 1
; COMPUTE_PGM_RSRC2:SCRATCH_EN: 0
; COMPUTE_PGM_RSRC2:USER_SGPR: 2
; COMPUTE_PGM_RSRC2:TRAP_HANDLER: 0
; COMPUTE_PGM_RSRC2:TGID_X_EN: 1
; COMPUTE_PGM_RSRC2:TGID_Y_EN: 0
; COMPUTE_PGM_RSRC2:TGID_Z_EN: 0
; COMPUTE_PGM_RSRC2:TIDIG_COMP_CNT: 0
	.section	.text._ZN2at6native32elementwise_kernel_manual_unrollILi128ELi4EZNS0_15gpu_kernel_implIZZZNS0_12_GLOBAL__N_142_validate_compressed_sparse_indices_kernelILNS3_8CDimNameE1ENS3_18CUDAKernelLauncherENS3_14EmptyVecKernelENS3_8DummyVecELm8EEEvRKNS_6TensorESB_lllENKUlvE1_clEvENKUlvE_clEvEUliiiiiE_EEvRNS_18TensorIteratorBaseERKT_EUlibE0_EEviT1_,"axG",@progbits,_ZN2at6native32elementwise_kernel_manual_unrollILi128ELi4EZNS0_15gpu_kernel_implIZZZNS0_12_GLOBAL__N_142_validate_compressed_sparse_indices_kernelILNS3_8CDimNameE1ENS3_18CUDAKernelLauncherENS3_14EmptyVecKernelENS3_8DummyVecELm8EEEvRKNS_6TensorESB_lllENKUlvE1_clEvENKUlvE_clEvEUliiiiiE_EEvRNS_18TensorIteratorBaseERKT_EUlibE0_EEviT1_,comdat
	.globl	_ZN2at6native32elementwise_kernel_manual_unrollILi128ELi4EZNS0_15gpu_kernel_implIZZZNS0_12_GLOBAL__N_142_validate_compressed_sparse_indices_kernelILNS3_8CDimNameE1ENS3_18CUDAKernelLauncherENS3_14EmptyVecKernelENS3_8DummyVecELm8EEEvRKNS_6TensorESB_lllENKUlvE1_clEvENKUlvE_clEvEUliiiiiE_EEvRNS_18TensorIteratorBaseERKT_EUlibE0_EEviT1_ ; -- Begin function _ZN2at6native32elementwise_kernel_manual_unrollILi128ELi4EZNS0_15gpu_kernel_implIZZZNS0_12_GLOBAL__N_142_validate_compressed_sparse_indices_kernelILNS3_8CDimNameE1ENS3_18CUDAKernelLauncherENS3_14EmptyVecKernelENS3_8DummyVecELm8EEEvRKNS_6TensorESB_lllENKUlvE1_clEvENKUlvE_clEvEUliiiiiE_EEvRNS_18TensorIteratorBaseERKT_EUlibE0_EEviT1_
	.p2align	8
	.type	_ZN2at6native32elementwise_kernel_manual_unrollILi128ELi4EZNS0_15gpu_kernel_implIZZZNS0_12_GLOBAL__N_142_validate_compressed_sparse_indices_kernelILNS3_8CDimNameE1ENS3_18CUDAKernelLauncherENS3_14EmptyVecKernelENS3_8DummyVecELm8EEEvRKNS_6TensorESB_lllENKUlvE1_clEvENKUlvE_clEvEUliiiiiE_EEvRNS_18TensorIteratorBaseERKT_EUlibE0_EEviT1_,@function
_ZN2at6native32elementwise_kernel_manual_unrollILi128ELi4EZNS0_15gpu_kernel_implIZZZNS0_12_GLOBAL__N_142_validate_compressed_sparse_indices_kernelILNS3_8CDimNameE1ENS3_18CUDAKernelLauncherENS3_14EmptyVecKernelENS3_8DummyVecELm8EEEvRKNS_6TensorESB_lllENKUlvE1_clEvENKUlvE_clEvEUliiiiiE_EEvRNS_18TensorIteratorBaseERKT_EUlibE0_EEviT1_: ; @_ZN2at6native32elementwise_kernel_manual_unrollILi128ELi4EZNS0_15gpu_kernel_implIZZZNS0_12_GLOBAL__N_142_validate_compressed_sparse_indices_kernelILNS3_8CDimNameE1ENS3_18CUDAKernelLauncherENS3_14EmptyVecKernelENS3_8DummyVecELm8EEEvRKNS_6TensorESB_lllENKUlvE1_clEvENKUlvE_clEvEUliiiiiE_EEvRNS_18TensorIteratorBaseERKT_EUlibE0_EEviT1_
; %bb.0:
	s_clause 0x1
	s_load_b32 s33, s[0:1], 0x8
	s_load_b32 s75, s[0:1], 0x0
	s_bfe_u32 s2, ttmp6, 0x4000c
	s_and_b32 s3, ttmp6, 15
	s_add_co_i32 s2, s2, 1
	s_getreg_b32 s4, hwreg(HW_REG_IB_STS2, 6, 4)
	s_mul_i32 s2, ttmp9, s2
	s_mov_b32 s63, 0
	s_add_co_i32 s3, s3, s2
	s_cmp_eq_u32 s4, 0
	s_mov_b32 s50, -1
	s_cselect_b32 s2, ttmp9, s3
	s_mov_b32 s36, 0
	v_lshl_or_b32 v0, s2, 9, v0
	s_add_nc_u64 s[2:3], s[0:1], 8
	s_wait_xcnt 0x0
	s_mov_b32 s0, exec_lo
	s_delay_alu instid0(VALU_DEP_1) | instskip(SKIP_2) | instid1(SALU_CYCLE_1)
	v_or_b32_e32 v1, 0x180, v0
	s_wait_kmcnt 0x0
	s_add_co_i32 s62, s33, -1
	s_cmp_gt_u32 s62, 1
	s_cselect_b32 s64, -1, 0
	v_cmpx_le_i32_e64 s75, v1
	s_xor_b32 s65, exec_lo, s0
	s_cbranch_execz .LBB87_2856
; %bb.1:
	s_clause 0x6
	s_load_b128 s[20:23], s[2:3], 0x318
	s_load_b128 s[40:43], s[2:3], 0x4
	s_load_b64 s[0:1], s[2:3], 0x14
	s_load_b128 s[56:59], s[2:3], 0xe4
	s_load_b128 s[68:71], s[2:3], 0x280
	s_load_b256 s[88:95], s[2:3], 0xc4
	s_load_b32 s25, s[2:3], 0x290
	s_cmp_lg_u32 s33, 0
	s_clause 0x1
	s_load_b128 s[28:31], s[2:3], 0x268
	s_load_b32 s38, s[2:3], 0x278
	s_cselect_b32 s13, -1, 0
	s_min_u32 s74, s62, 15
	s_cmp_gt_u32 s33, 1
	s_get_pc_i64 s[4:5]
	s_add_nc_u64 s[4:5], s[4:5], .str.6@rel64+4
	s_cselect_b32 s73, -1, 0
	s_get_pc_i64 s[6:7]
	s_add_nc_u64 s[6:7], s[6:7], .str.7@rel64+4
	s_mov_b32 s47, 0
	s_mov_b32 s85, exec_lo
	s_mov_b32 s49, s47
	s_mov_b32 s84, s47
	;; [unrolled: 1-line block ×4, first 2 shown]
	s_wait_kmcnt 0x0
	s_mov_b32 s46, s41
	s_mov_b32 s48, s0
	;; [unrolled: 1-line block ×4, first 2 shown]
	s_lshr_b32 s72, s22, 8
	s_lshr_b32 s24, s22, 16
	s_lshr_b64 s[44:45], s[22:23], 24
	s_lshr_b32 s18, s23, 8
	s_cmp_lg_u64 s[4:5], 0
	s_get_pc_i64 s[4:5]
	s_add_nc_u64 s[4:5], s[4:5], .str.8@rel64+4
	s_cselect_b32 s66, -1, 0
	s_cmp_lg_u64 s[6:7], 0
	v_cmp_gt_i64_e64 s6, s[70:71], 0
	s_cselect_b32 s45, -1, 0
	s_cmp_lg_u64 s[4:5], 0
	s_get_pc_i64 s[4:5]
	s_add_nc_u64 s[4:5], s[4:5], .str.9@rel64+4
	s_cselect_b32 s16, -1, 0
	s_add_co_i32 s34, s25, -1
	s_mov_b32 s79, s47
	s_cmp_gt_i32 s34, -1
	s_mov_b32 s78, s47
	s_cselect_b32 s7, -1, 0
	s_mov_b32 s77, s47
	s_and_b32 s17, s6, s7
	s_cmp_lg_u64 s[4:5], 0
	s_mov_b32 s61, s47
	s_cselect_b32 s39, -1, 0
	s_mov_b32 s60, s47
	v_cmpx_gt_i32_e64 s75, v0
	s_cbranch_execz .LBB87_651
; %bb.2:
	s_and_not1_b32 vcc_lo, exec_lo, s64
	s_cbranch_vccnz .LBB87_9
; %bb.3:
	s_and_not1_b32 vcc_lo, exec_lo, s13
	s_cbranch_vccnz .LBB87_10
; %bb.4:
	v_dual_mov_b32 v6, 0 :: v_dual_mov_b32 v1, v0
	v_dual_mov_b32 v4, 0 :: v_dual_mov_b32 v10, 0
	;; [unrolled: 1-line block ×3, first 2 shown]
	v_mov_b32_e32 v12, 0
	s_add_co_i32 s0, s74, 1
	s_mov_b64 s[4:5], 0xffffffffffffffd0
	s_mov_b64 s[76:77], s[88:89]
	s_mov_b64 s[14:15], s[70:71]
	s_mov_b32 s12, s68
	s_mov_b64 s[70:71], s[42:43]
	s_mov_b32 s68, s40
	s_mov_b64 s[42:43], s[30:31]
	s_mov_b64 s[78:79], s[90:91]
	s_mov_b64 s[80:81], s[92:93]
	s_mov_b64 s[82:83], s[94:95]
	s_mov_b64 s[40:41], s[28:29]
	s_and_b32 s0, s0, 30
	s_add_nc_u64 s[50:51], s[2:3], s[4:5]
	s_mov_b64 s[52:53], s[2:3]
.LBB87_5:                               ; =>This Inner Loop Header: Depth=1
	s_clause 0x1
	s_load_b128 s[4:7], s[52:53], 0x4
	s_load_b64 s[28:29], s[52:53], 0x14
	s_clause 0x1
	s_load_b256 s[88:95], s[50:51], 0xf4
	s_load_b128 s[8:11], s[50:51], 0x114
	s_add_co_i32 s0, s0, -2
	s_wait_xcnt 0x0
	s_add_nc_u64 s[52:53], s[52:53], 24
	s_cmp_lg_u32 s0, 0
	s_add_nc_u64 s[50:51], s[50:51], 48
	s_wait_kmcnt 0x0
	v_mul_hi_u32 v3, s5, v1
	s_delay_alu instid0(VALU_DEP_1) | instskip(NEXT) | instid1(VALU_DEP_1)
	v_add_nc_u32_e32 v3, v1, v3
	v_lshrrev_b32_e32 v3, s6, v3
	s_delay_alu instid0(VALU_DEP_1) | instskip(SKIP_1) | instid1(VALU_DEP_1)
	v_mul_hi_u32 v5, s28, v3
	v_mul_lo_u32 v7, v3, s4
	v_dual_add_nc_u32 v5, v3, v5 :: v_dual_sub_nc_u32 v7, v1, v7
	s_delay_alu instid0(VALU_DEP_1) | instskip(NEXT) | instid1(VALU_DEP_2)
	v_lshrrev_b32_e32 v1, s29, v5
	v_mad_u32 v5, v7, s89, v12
	v_mad_u32 v2, v7, s88, v2
	;; [unrolled: 1-line block ×4, first 2 shown]
	v_mul_lo_u32 v9, v1, s7
	v_mad_u32 v4, s93, v7, v4
	v_mad_u32 v6, s92, v7, v6
	s_delay_alu instid0(VALU_DEP_3) | instskip(NEXT) | instid1(VALU_DEP_1)
	v_sub_nc_u32_e32 v3, v3, v9
	v_mad_u32 v12, v3, s95, v5
	v_mad_u32 v2, v3, s94, v2
	;; [unrolled: 1-line block ×6, first 2 shown]
	s_cbranch_scc1 .LBB87_5
; %bb.6:
	s_bitcmp1_b32 s74, 0
	s_cselect_b32 s0, -1, 0
	s_delay_alu instid0(SALU_CYCLE_1)
	s_and_b32 vcc_lo, exec_lo, s0
	s_cbranch_vccnz .LBB87_8
; %bb.7:
	s_load_b96 s[8:10], s[52:53], 0x4
	s_wait_kmcnt 0x0
	v_mul_hi_u32 v3, s9, v1
	s_delay_alu instid0(VALU_DEP_1) | instskip(NEXT) | instid1(VALU_DEP_1)
	v_add_nc_u32_e32 v3, v1, v3
	v_lshrrev_b32_e32 v3, s10, v3
	s_clause 0x1
	s_load_b128 s[4:7], s[50:51], 0xf4
	s_load_b64 s[10:11], s[50:51], 0x104
	s_delay_alu instid0(VALU_DEP_1) | instskip(NEXT) | instid1(VALU_DEP_1)
	v_mul_lo_u32 v3, v3, s8
	v_sub_nc_u32_e32 v1, v1, v3
	s_wait_kmcnt 0x0
	s_delay_alu instid0(VALU_DEP_1)
	v_mad_u32 v2, v1, s4, v2
	v_mad_u32 v12, v1, s5, v12
	;; [unrolled: 1-line block ×6, first 2 shown]
.LBB87_8:
	s_mov_b64 s[94:95], s[82:83]
	s_mov_b64 s[28:29], s[40:41]
	;; [unrolled: 1-line block ×7, first 2 shown]
	s_mov_b32 s40, s68
	s_mov_b64 s[70:71], s[14:15]
	s_mov_b32 s68, s12
	s_cbranch_execz .LBB87_11
	s_branch .LBB87_13
.LBB87_9:
                                        ; implicit-def: $vgpr12
                                        ; implicit-def: $vgpr2
                                        ; implicit-def: $vgpr8
                                        ; implicit-def: $vgpr10
                                        ; implicit-def: $vgpr4
                                        ; implicit-def: $vgpr6
	s_branch .LBB87_11
.LBB87_10:
	v_dual_mov_b32 v12, 0 :: v_dual_mov_b32 v2, 0
	v_dual_mov_b32 v8, 0 :: v_dual_mov_b32 v10, 0
	;; [unrolled: 1-line block ×3, first 2 shown]
	s_cbranch_execnz .LBB87_13
.LBB87_11:
	v_mov_b32_e32 v1, 0
	s_and_not1_b32 vcc_lo, exec_lo, s73
	s_delay_alu instid0(VALU_DEP_1) | instskip(NEXT) | instid1(VALU_DEP_1)
	v_mul_u64_e32 v[2:3], s[46:47], v[0:1]
	v_add_nc_u32_e32 v2, v0, v3
	s_delay_alu instid0(VALU_DEP_1) | instskip(NEXT) | instid1(VALU_DEP_1)
	v_lshrrev_b32_e32 v14, s42, v2
	v_mul_lo_u32 v2, v14, s40
	s_delay_alu instid0(VALU_DEP_1) | instskip(NEXT) | instid1(VALU_DEP_1)
	v_sub_nc_u32_e32 v3, v0, v2
	v_mul_lo_u32 v12, v3, s89
	v_mul_lo_u32 v2, v3, s88
	;; [unrolled: 1-line block ×6, first 2 shown]
	s_cbranch_vccnz .LBB87_13
; %bb.12:
	v_mov_b32_e32 v15, v1
	s_delay_alu instid0(VALU_DEP_1) | instskip(NEXT) | instid1(VALU_DEP_1)
	v_mul_u64_e32 v[16:17], s[48:49], v[14:15]
	v_add_nc_u32_e32 v1, v14, v17
	s_delay_alu instid0(VALU_DEP_1) | instskip(NEXT) | instid1(VALU_DEP_1)
	v_lshrrev_b32_e32 v1, s1, v1
	v_mul_lo_u32 v1, v1, s43
	s_delay_alu instid0(VALU_DEP_1) | instskip(NEXT) | instid1(VALU_DEP_1)
	v_sub_nc_u32_e32 v1, v14, v1
	v_mad_u32 v2, v1, s94, v2
	v_mad_u32 v12, v1, s95, v12
	;; [unrolled: 1-line block ×6, first 2 shown]
.LBB87_13:
	s_load_b256 s[4:11], s[2:3], 0x248
	v_mov_b32_e32 v13, 0
	s_and_b32 s0, s72, 0xff
	s_delay_alu instid0(SALU_CYCLE_1) | instskip(SKIP_1) | instid1(VALU_DEP_1)
	s_cmp_lt_i32 s0, 11
	s_wait_kmcnt 0x0
	v_add_nc_u64_e32 v[12:13], s[6:7], v[12:13]
	s_cbranch_scc1 .LBB87_20
; %bb.14:
	s_and_b32 s35, 0xffff, s0
	s_delay_alu instid0(SALU_CYCLE_1)
	s_cmp_gt_i32 s35, 25
	s_cbranch_scc0 .LBB87_29
; %bb.15:
	s_cmp_gt_i32 s35, 28
	s_cbranch_scc0 .LBB87_39
; %bb.16:
	;; [unrolled: 3-line block ×4, first 2 shown]
	s_cmp_eq_u32 s35, 46
	s_mov_b32 s51, 0
	s_cbranch_scc0 .LBB87_48
; %bb.19:
	global_load_b32 v1, v[12:13], off
	s_mov_b32 s50, -1
	s_mov_b32 s84, 0
	s_wait_loadcnt 0x0
	v_lshlrev_b32_e32 v1, 16, v1
	s_delay_alu instid0(VALU_DEP_1)
	v_cvt_i32_f32_e32 v1, v1
	s_branch .LBB87_50
.LBB87_20:
	s_mov_b32 s84, 0
	s_mov_b32 s50, 0
                                        ; implicit-def: $vgpr1
	s_cbranch_execnz .LBB87_112
.LBB87_21:
	s_and_not1_b32 vcc_lo, exec_lo, s50
	s_cbranch_vccnz .LBB87_159
.LBB87_22:
	s_load_b256 s[4:11], s[2:3], 0x248
	v_mov_b32_e32 v11, 0
	s_and_b32 s0, s24, 0xff
	s_delay_alu instid0(SALU_CYCLE_1) | instskip(SKIP_1) | instid1(VALU_DEP_1)
	s_cmp_lt_i32 s0, 11
	s_wait_kmcnt 0x0
	v_add_nc_u64_e32 v[10:11], s[8:9], v[10:11]
	s_cbranch_scc1 .LBB87_30
; %bb.23:
	s_and_b32 s35, 0xffff, s0
	s_delay_alu instid0(SALU_CYCLE_1)
	s_cmp_gt_i32 s35, 25
	s_cbranch_scc0 .LBB87_40
; %bb.24:
	s_cmp_gt_i32 s35, 28
	s_cbranch_scc0 .LBB87_43
; %bb.25:
	;; [unrolled: 3-line block ×4, first 2 shown]
	s_cmp_eq_u32 s35, 46
	s_mov_b32 s51, 0
	s_cbranch_scc0 .LBB87_160
; %bb.28:
	global_load_b32 v3, v[10:11], off
	s_mov_b32 s50, -1
	s_mov_b32 s83, 0
	s_wait_loadcnt 0x0
	v_lshlrev_b32_e32 v3, 16, v3
	s_delay_alu instid0(VALU_DEP_1)
	v_cvt_i32_f32_e32 v3, v3
	s_branch .LBB87_162
.LBB87_29:
	s_mov_b32 s84, 0
	s_mov_b32 s50, 0
                                        ; implicit-def: $vgpr1
	s_cbranch_execnz .LBB87_79
	s_branch .LBB87_111
.LBB87_30:
	s_mov_b32 s83, 0
	s_mov_b32 s50, 0
                                        ; implicit-def: $vgpr3
	s_cbranch_execnz .LBB87_224
.LBB87_31:
	s_and_not1_b32 vcc_lo, exec_lo, s50
	s_cbranch_vccnz .LBB87_272
.LBB87_32:
	s_load_b256 s[4:11], s[2:3], 0x248
	v_mov_b32_e32 v9, 0
	s_and_b32 s0, s44, 0xff
	s_delay_alu instid0(SALU_CYCLE_1) | instskip(SKIP_1) | instid1(VALU_DEP_1)
	s_cmp_lt_i32 s0, 11
	s_wait_kmcnt 0x0
	v_add_nc_u64_e32 v[10:11], s[10:11], v[8:9]
	s_cbranch_scc1 .LBB87_41
; %bb.33:
	s_and_b32 s35, 0xffff, s0
	s_delay_alu instid0(SALU_CYCLE_1)
	s_cmp_gt_i32 s35, 25
	s_cbranch_scc0 .LBB87_44
; %bb.34:
	s_cmp_gt_i32 s35, 28
	s_cbranch_scc0 .LBB87_47
; %bb.35:
	;; [unrolled: 3-line block ×4, first 2 shown]
	s_cmp_eq_u32 s35, 46
	s_mov_b32 s51, 0
	s_cbranch_scc0 .LBB87_273
; %bb.38:
	global_load_b32 v5, v[10:11], off
	s_mov_b32 s50, -1
	s_mov_b32 s82, 0
	s_wait_loadcnt 0x0
	v_lshlrev_b32_e32 v5, 16, v5
	s_delay_alu instid0(VALU_DEP_1)
	v_cvt_i32_f32_e32 v8, v5
	s_branch .LBB87_275
.LBB87_39:
	s_mov_b32 s51, -1
	s_mov_b32 s84, 0
	s_mov_b32 s50, 0
                                        ; implicit-def: $vgpr1
	s_branch .LBB87_62
.LBB87_40:
	s_mov_b32 s51, -1
	s_mov_b32 s83, 0
	s_mov_b32 s50, 0
                                        ; implicit-def: $vgpr3
	s_branch .LBB87_190
.LBB87_41:
	s_mov_b32 s35, -1
	s_mov_b32 s82, 0
	s_mov_b32 s50, 0
                                        ; implicit-def: $vgpr8
	s_branch .LBB87_336
.LBB87_42:
	s_mov_b32 s51, -1
	s_mov_b32 s84, 0
	s_mov_b32 s50, 0
                                        ; implicit-def: $vgpr1
	s_branch .LBB87_57
.LBB87_43:
	s_mov_b32 s51, -1
	s_mov_b32 s83, 0
	s_mov_b32 s50, 0
                                        ; implicit-def: $vgpr3
	s_branch .LBB87_173
.LBB87_44:
	s_mov_b32 s51, -1
	s_mov_b32 s82, 0
	s_mov_b32 s50, 0
                                        ; implicit-def: $vgpr8
	s_branch .LBB87_302
.LBB87_45:
	s_mov_b32 s51, -1
	s_mov_b32 s84, 0
	s_branch .LBB87_49
.LBB87_46:
	s_mov_b32 s51, -1
	s_mov_b32 s83, 0
	s_mov_b32 s50, 0
                                        ; implicit-def: $vgpr3
	s_branch .LBB87_168
.LBB87_47:
	s_mov_b32 s51, -1
	s_mov_b32 s82, 0
	s_mov_b32 s50, 0
                                        ; implicit-def: $vgpr8
	s_branch .LBB87_285
.LBB87_48:
	s_mov_b32 s84, -1
.LBB87_49:
	s_mov_b32 s50, 0
                                        ; implicit-def: $vgpr1
.LBB87_50:
	s_and_b32 vcc_lo, exec_lo, s51
	s_cbranch_vccz .LBB87_56
; %bb.51:
	s_cmp_eq_u32 s35, 44
	s_cbranch_scc0 .LBB87_55
; %bb.52:
	global_load_u8 v1, v[12:13], off
	s_mov_b32 s84, 0
	s_mov_b32 s50, -1
	s_wait_loadcnt 0x0
	v_lshlrev_b32_e32 v3, 23, v1
	v_cmp_ne_u32_e32 vcc_lo, 0, v1
	s_delay_alu instid0(VALU_DEP_2) | instskip(NEXT) | instid1(VALU_DEP_1)
	v_cvt_i32_f32_e32 v3, v3
	v_cndmask_b32_e32 v1, 0, v3, vcc_lo
	s_branch .LBB87_56
.LBB87_53:
	s_mov_b32 s51, -1
	s_mov_b32 s83, 0
	s_branch .LBB87_161
.LBB87_54:
	s_mov_b32 s51, -1
	s_mov_b32 s82, 0
	s_mov_b32 s50, 0
                                        ; implicit-def: $vgpr8
	s_branch .LBB87_280
.LBB87_55:
	s_mov_b32 s84, -1
                                        ; implicit-def: $vgpr1
.LBB87_56:
	s_mov_b32 s51, 0
.LBB87_57:
	s_delay_alu instid0(SALU_CYCLE_1)
	s_and_b32 vcc_lo, exec_lo, s51
	s_cbranch_vccz .LBB87_61
; %bb.58:
	s_cmp_eq_u32 s35, 29
	s_cbranch_scc0 .LBB87_60
; %bb.59:
	global_load_b32 v1, v[12:13], off
	s_mov_b32 s50, -1
	s_mov_b32 s84, 0
	s_branch .LBB87_61
.LBB87_60:
	s_mov_b32 s84, -1
                                        ; implicit-def: $vgpr1
.LBB87_61:
	s_mov_b32 s51, 0
.LBB87_62:
	s_delay_alu instid0(SALU_CYCLE_1)
	s_and_b32 vcc_lo, exec_lo, s51
	s_cbranch_vccz .LBB87_78
; %bb.63:
	s_cmp_lt_i32 s35, 27
	s_cbranch_scc1 .LBB87_66
; %bb.64:
	s_cmp_gt_i32 s35, 27
	s_cbranch_scc0 .LBB87_67
; %bb.65:
	s_wait_loadcnt 0x0
	global_load_b32 v1, v[12:13], off
	s_mov_b32 s50, 0
	s_branch .LBB87_68
.LBB87_66:
	s_mov_b32 s50, -1
                                        ; implicit-def: $vgpr1
	s_branch .LBB87_71
.LBB87_67:
	s_mov_b32 s50, -1
                                        ; implicit-def: $vgpr1
.LBB87_68:
	s_delay_alu instid0(SALU_CYCLE_1)
	s_and_not1_b32 vcc_lo, exec_lo, s50
	s_cbranch_vccnz .LBB87_70
; %bb.69:
	s_wait_loadcnt 0x0
	global_load_u16 v1, v[12:13], off
.LBB87_70:
	s_mov_b32 s50, 0
.LBB87_71:
	s_delay_alu instid0(SALU_CYCLE_1)
	s_and_not1_b32 vcc_lo, exec_lo, s50
	s_cbranch_vccnz .LBB87_77
; %bb.72:
	global_load_u8 v3, v[12:13], off
	s_mov_b32 s51, 0
	s_mov_b32 s4, exec_lo
	s_wait_loadcnt 0x0
	v_cmpx_lt_i16_e32 0x7f, v3
	s_xor_b32 s50, exec_lo, s4
	s_cbranch_execz .LBB87_88
; %bb.73:
	v_cmp_ne_u16_e32 vcc_lo, 0x80, v3
	s_and_b32 s51, vcc_lo, exec_lo
	s_and_not1_saveexec_b32 s50, s50
	s_cbranch_execnz .LBB87_89
.LBB87_74:
	s_or_b32 exec_lo, exec_lo, s50
	v_mov_b32_e32 v1, 0
	s_and_saveexec_b32 s50, s51
	s_cbranch_execz .LBB87_76
.LBB87_75:
	v_and_b32_e32 v1, 0xffff, v3
	s_delay_alu instid0(VALU_DEP_1) | instskip(SKIP_1) | instid1(VALU_DEP_2)
	v_and_b32_e32 v5, 7, v1
	v_bfe_u32 v11, v1, 3, 4
	v_clz_i32_u32_e32 v7, v5
	s_delay_alu instid0(VALU_DEP_2) | instskip(NEXT) | instid1(VALU_DEP_2)
	v_cmp_eq_u32_e32 vcc_lo, 0, v11
	v_min_u32_e32 v7, 32, v7
	s_delay_alu instid0(VALU_DEP_1) | instskip(NEXT) | instid1(VALU_DEP_1)
	v_subrev_nc_u32_e32 v9, 28, v7
	v_dual_lshlrev_b32 v1, v9, v1 :: v_dual_sub_nc_u32 v7, 29, v7
	s_delay_alu instid0(VALU_DEP_1) | instskip(NEXT) | instid1(VALU_DEP_1)
	v_dual_lshlrev_b32 v3, 24, v3 :: v_dual_bitop2_b32 v1, 7, v1 bitop3:0x40
	v_dual_cndmask_b32 v1, v5, v1, vcc_lo :: v_dual_cndmask_b32 v7, v11, v7, vcc_lo
	s_delay_alu instid0(VALU_DEP_2) | instskip(NEXT) | instid1(VALU_DEP_2)
	v_and_b32_e32 v3, 0x80000000, v3
	v_lshlrev_b32_e32 v1, 20, v1
	s_delay_alu instid0(VALU_DEP_3) | instskip(NEXT) | instid1(VALU_DEP_1)
	v_lshl_add_u32 v5, v7, 23, 0x3b800000
	v_or3_b32 v1, v3, v5, v1
	s_delay_alu instid0(VALU_DEP_1)
	v_cvt_i32_f32_e32 v1, v1
.LBB87_76:
	s_or_b32 exec_lo, exec_lo, s50
.LBB87_77:
	s_mov_b32 s50, -1
.LBB87_78:
	s_branch .LBB87_111
.LBB87_79:
	s_cmp_gt_i32 s35, 22
	s_cbranch_scc0 .LBB87_87
; %bb.80:
	s_cmp_lt_i32 s35, 24
	s_cbranch_scc1 .LBB87_90
; %bb.81:
	s_cmp_gt_i32 s35, 24
	s_cbranch_scc0 .LBB87_91
; %bb.82:
	global_load_u8 v3, v[12:13], off
	s_mov_b32 s51, 0
	s_mov_b32 s4, exec_lo
	s_wait_loadcnt 0x0
	v_cmpx_lt_i16_e32 0x7f, v3
	s_xor_b32 s50, exec_lo, s4
	s_cbranch_execz .LBB87_103
; %bb.83:
	v_cmp_ne_u16_e32 vcc_lo, 0x80, v3
	s_and_b32 s51, vcc_lo, exec_lo
	s_and_not1_saveexec_b32 s50, s50
	s_cbranch_execnz .LBB87_104
.LBB87_84:
	s_or_b32 exec_lo, exec_lo, s50
	v_mov_b32_e32 v1, 0
	s_and_saveexec_b32 s50, s51
	s_cbranch_execz .LBB87_86
.LBB87_85:
	v_and_b32_e32 v1, 0xffff, v3
	s_delay_alu instid0(VALU_DEP_1) | instskip(SKIP_1) | instid1(VALU_DEP_2)
	v_and_b32_e32 v5, 3, v1
	v_bfe_u32 v11, v1, 2, 5
	v_clz_i32_u32_e32 v7, v5
	s_delay_alu instid0(VALU_DEP_2) | instskip(NEXT) | instid1(VALU_DEP_2)
	v_cmp_eq_u32_e32 vcc_lo, 0, v11
	v_min_u32_e32 v7, 32, v7
	s_delay_alu instid0(VALU_DEP_1) | instskip(NEXT) | instid1(VALU_DEP_1)
	v_subrev_nc_u32_e32 v9, 29, v7
	v_dual_lshlrev_b32 v1, v9, v1 :: v_dual_sub_nc_u32 v7, 30, v7
	s_delay_alu instid0(VALU_DEP_1) | instskip(NEXT) | instid1(VALU_DEP_1)
	v_dual_lshlrev_b32 v3, 24, v3 :: v_dual_bitop2_b32 v1, 3, v1 bitop3:0x40
	v_dual_cndmask_b32 v1, v5, v1, vcc_lo :: v_dual_cndmask_b32 v7, v11, v7, vcc_lo
	s_delay_alu instid0(VALU_DEP_2) | instskip(NEXT) | instid1(VALU_DEP_2)
	v_and_b32_e32 v3, 0x80000000, v3
	v_lshlrev_b32_e32 v1, 21, v1
	s_delay_alu instid0(VALU_DEP_3) | instskip(NEXT) | instid1(VALU_DEP_1)
	v_lshl_add_u32 v5, v7, 23, 0x37800000
	v_or3_b32 v1, v3, v5, v1
	s_delay_alu instid0(VALU_DEP_1)
	v_cvt_i32_f32_e32 v1, v1
.LBB87_86:
	s_or_b32 exec_lo, exec_lo, s50
	s_mov_b32 s50, 0
	s_branch .LBB87_92
.LBB87_87:
	s_mov_b32 s51, -1
                                        ; implicit-def: $vgpr1
	s_branch .LBB87_98
.LBB87_88:
	s_and_not1_saveexec_b32 s50, s50
	s_cbranch_execz .LBB87_74
.LBB87_89:
	v_cmp_ne_u16_e32 vcc_lo, 0, v3
	s_and_not1_b32 s4, s51, exec_lo
	s_and_b32 s5, vcc_lo, exec_lo
	s_delay_alu instid0(SALU_CYCLE_1)
	s_or_b32 s51, s4, s5
	s_or_b32 exec_lo, exec_lo, s50
	v_mov_b32_e32 v1, 0
	s_and_saveexec_b32 s50, s51
	s_cbranch_execnz .LBB87_75
	s_branch .LBB87_76
.LBB87_90:
	s_mov_b32 s50, -1
                                        ; implicit-def: $vgpr1
	s_branch .LBB87_95
.LBB87_91:
	s_mov_b32 s50, -1
                                        ; implicit-def: $vgpr1
.LBB87_92:
	s_delay_alu instid0(SALU_CYCLE_1)
	s_and_b32 vcc_lo, exec_lo, s50
	s_cbranch_vccz .LBB87_94
; %bb.93:
	s_wait_loadcnt 0x0
	global_load_u8 v1, v[12:13], off
	s_wait_loadcnt 0x0
	v_lshlrev_b32_e32 v1, 24, v1
	s_delay_alu instid0(VALU_DEP_1) | instskip(NEXT) | instid1(VALU_DEP_1)
	v_and_b32_e32 v3, 0x7f000000, v1
	v_clz_i32_u32_e32 v5, v3
	v_add_nc_u32_e32 v9, 0x1000000, v3
	v_cmp_ne_u32_e32 vcc_lo, 0, v3
	s_delay_alu instid0(VALU_DEP_3) | instskip(NEXT) | instid1(VALU_DEP_1)
	v_min_u32_e32 v5, 32, v5
	v_sub_nc_u32_e64 v5, v5, 4 clamp
	s_delay_alu instid0(VALU_DEP_1) | instskip(NEXT) | instid1(VALU_DEP_1)
	v_dual_lshlrev_b32 v7, v5, v3 :: v_dual_lshlrev_b32 v5, 23, v5
	v_lshrrev_b32_e32 v7, 4, v7
	s_delay_alu instid0(VALU_DEP_1) | instskip(SKIP_1) | instid1(VALU_DEP_2)
	v_sub_nc_u32_e32 v5, v7, v5
	v_ashrrev_i32_e32 v7, 8, v9
	v_add_nc_u32_e32 v5, 0x3c000000, v5
	s_delay_alu instid0(VALU_DEP_1) | instskip(NEXT) | instid1(VALU_DEP_1)
	v_and_or_b32 v5, 0x7f800000, v7, v5
	v_cndmask_b32_e32 v3, 0, v5, vcc_lo
	s_delay_alu instid0(VALU_DEP_1) | instskip(NEXT) | instid1(VALU_DEP_1)
	v_and_or_b32 v1, 0x80000000, v1, v3
	v_cvt_i32_f32_e32 v1, v1
.LBB87_94:
	s_mov_b32 s50, 0
.LBB87_95:
	s_delay_alu instid0(SALU_CYCLE_1)
	s_and_not1_b32 vcc_lo, exec_lo, s50
	s_cbranch_vccnz .LBB87_97
; %bb.96:
	s_wait_loadcnt 0x0
	global_load_u8 v1, v[12:13], off
	s_wait_loadcnt 0x0
	v_lshlrev_b32_e32 v3, 25, v1
	v_lshlrev_b16 v1, 8, v1
	s_delay_alu instid0(VALU_DEP_1) | instskip(SKIP_1) | instid1(VALU_DEP_2)
	v_and_or_b32 v7, 0x7f00, v1, 0.5
	v_bfe_i32 v1, v1, 0, 16
	v_add_f32_e32 v7, -0.5, v7
	v_lshrrev_b32_e32 v5, 4, v3
	v_cmp_gt_u32_e32 vcc_lo, 0x8000000, v3
	s_delay_alu instid0(VALU_DEP_2) | instskip(NEXT) | instid1(VALU_DEP_1)
	v_or_b32_e32 v5, 0x70000000, v5
	v_mul_f32_e32 v5, 0x7800000, v5
	s_delay_alu instid0(VALU_DEP_1) | instskip(NEXT) | instid1(VALU_DEP_1)
	v_cndmask_b32_e32 v3, v5, v7, vcc_lo
	v_and_or_b32 v1, 0x80000000, v1, v3
	s_delay_alu instid0(VALU_DEP_1)
	v_cvt_i32_f32_e32 v1, v1
.LBB87_97:
	s_mov_b32 s51, 0
	s_mov_b32 s50, -1
.LBB87_98:
	s_and_not1_b32 vcc_lo, exec_lo, s51
	s_cbranch_vccnz .LBB87_111
; %bb.99:
	s_cmp_gt_i32 s35, 14
	s_cbranch_scc0 .LBB87_102
; %bb.100:
	s_cmp_eq_u32 s35, 15
	s_cbranch_scc0 .LBB87_105
; %bb.101:
	s_wait_loadcnt 0x0
	global_load_u16 v1, v[12:13], off
	s_mov_b32 s50, -1
	s_mov_b32 s84, 0
	s_wait_loadcnt 0x0
	v_lshlrev_b32_e32 v1, 16, v1
	s_delay_alu instid0(VALU_DEP_1)
	v_cvt_i32_f32_e32 v1, v1
	s_branch .LBB87_106
.LBB87_102:
	s_mov_b32 s51, -1
                                        ; implicit-def: $vgpr1
	s_branch .LBB87_107
.LBB87_103:
	s_and_not1_saveexec_b32 s50, s50
	s_cbranch_execz .LBB87_84
.LBB87_104:
	v_cmp_ne_u16_e32 vcc_lo, 0, v3
	s_and_not1_b32 s4, s51, exec_lo
	s_and_b32 s5, vcc_lo, exec_lo
	s_delay_alu instid0(SALU_CYCLE_1)
	s_or_b32 s51, s4, s5
	s_or_b32 exec_lo, exec_lo, s50
	v_mov_b32_e32 v1, 0
	s_and_saveexec_b32 s50, s51
	s_cbranch_execnz .LBB87_85
	s_branch .LBB87_86
.LBB87_105:
	s_mov_b32 s84, -1
                                        ; implicit-def: $vgpr1
.LBB87_106:
	s_mov_b32 s51, 0
.LBB87_107:
	s_delay_alu instid0(SALU_CYCLE_1)
	s_and_b32 vcc_lo, exec_lo, s51
	s_cbranch_vccz .LBB87_111
; %bb.108:
	s_cmp_eq_u32 s35, 11
	s_cbranch_scc0 .LBB87_110
; %bb.109:
	s_wait_loadcnt 0x0
	global_load_u8 v1, v[12:13], off
	s_mov_b32 s84, 0
	s_mov_b32 s50, -1
	s_wait_loadcnt 0x0
	v_cmp_ne_u16_e32 vcc_lo, 0, v1
	v_cndmask_b32_e64 v1, 0, 1, vcc_lo
	s_branch .LBB87_111
.LBB87_110:
	s_mov_b32 s84, -1
                                        ; implicit-def: $vgpr1
.LBB87_111:
	s_branch .LBB87_21
.LBB87_112:
	s_and_b32 s0, 0xffff, s0
	s_delay_alu instid0(SALU_CYCLE_1)
	s_cmp_lt_i32 s0, 5
	s_cbranch_scc1 .LBB87_117
; %bb.113:
	s_cmp_lt_i32 s0, 8
	s_cbranch_scc1 .LBB87_118
; %bb.114:
	;; [unrolled: 3-line block ×3, first 2 shown]
	s_cmp_gt_i32 s0, 9
	s_cbranch_scc0 .LBB87_120
; %bb.116:
	global_load_b64 v[14:15], v[12:13], off
	s_mov_b32 s35, 0
	s_wait_loadcnt 0x0
	v_cvt_i32_f64_e32 v1, v[14:15]
	s_branch .LBB87_121
.LBB87_117:
                                        ; implicit-def: $vgpr1
	s_branch .LBB87_139
.LBB87_118:
	s_mov_b32 s35, -1
                                        ; implicit-def: $vgpr1
	s_branch .LBB87_127
.LBB87_119:
	s_mov_b32 s35, -1
                                        ; implicit-def: $vgpr1
	s_branch .LBB87_124
.LBB87_120:
	s_mov_b32 s35, -1
                                        ; implicit-def: $vgpr1
.LBB87_121:
	s_delay_alu instid0(SALU_CYCLE_1)
	s_and_not1_b32 vcc_lo, exec_lo, s35
	s_cbranch_vccnz .LBB87_123
; %bb.122:
	s_wait_loadcnt 0x0
	global_load_b32 v1, v[12:13], off
	s_wait_loadcnt 0x0
	v_cvt_i32_f32_e32 v1, v1
.LBB87_123:
	s_mov_b32 s35, 0
.LBB87_124:
	s_delay_alu instid0(SALU_CYCLE_1)
	s_and_not1_b32 vcc_lo, exec_lo, s35
	s_cbranch_vccnz .LBB87_126
; %bb.125:
	s_wait_loadcnt 0x0
	global_load_b32 v1, v[12:13], off
	s_wait_loadcnt 0x0
	v_cvt_f32_f16_e32 v1, v1
	s_delay_alu instid0(VALU_DEP_1)
	v_cvt_i32_f32_e32 v1, v1
.LBB87_126:
	s_mov_b32 s35, 0
.LBB87_127:
	s_delay_alu instid0(SALU_CYCLE_1)
	s_and_not1_b32 vcc_lo, exec_lo, s35
	s_cbranch_vccnz .LBB87_138
; %bb.128:
	s_cmp_lt_i32 s0, 6
	s_cbranch_scc1 .LBB87_131
; %bb.129:
	s_cmp_gt_i32 s0, 6
	s_cbranch_scc0 .LBB87_132
; %bb.130:
	global_load_b64 v[14:15], v[12:13], off
	s_mov_b32 s35, 0
	s_wait_loadcnt 0x0
	v_cvt_i32_f64_e32 v1, v[14:15]
	s_branch .LBB87_133
.LBB87_131:
	s_mov_b32 s35, -1
                                        ; implicit-def: $vgpr1
	s_branch .LBB87_136
.LBB87_132:
	s_mov_b32 s35, -1
                                        ; implicit-def: $vgpr1
.LBB87_133:
	s_delay_alu instid0(SALU_CYCLE_1)
	s_and_not1_b32 vcc_lo, exec_lo, s35
	s_cbranch_vccnz .LBB87_135
; %bb.134:
	s_wait_loadcnt 0x0
	global_load_b32 v1, v[12:13], off
	s_wait_loadcnt 0x0
	v_cvt_i32_f32_e32 v1, v1
.LBB87_135:
	s_mov_b32 s35, 0
.LBB87_136:
	s_delay_alu instid0(SALU_CYCLE_1)
	s_and_not1_b32 vcc_lo, exec_lo, s35
	s_cbranch_vccnz .LBB87_138
; %bb.137:
	s_wait_loadcnt 0x0
	global_load_u16 v1, v[12:13], off
	s_wait_loadcnt 0x0
	v_cvt_f32_f16_e32 v1, v1
	s_delay_alu instid0(VALU_DEP_1)
	v_cvt_i32_f32_e32 v1, v1
.LBB87_138:
	s_cbranch_execnz .LBB87_158
.LBB87_139:
	s_cmp_lt_i32 s0, 2
	s_cbranch_scc1 .LBB87_143
; %bb.140:
	s_cmp_lt_i32 s0, 3
	s_cbranch_scc1 .LBB87_144
; %bb.141:
	s_cmp_gt_i32 s0, 3
	s_cbranch_scc0 .LBB87_145
; %bb.142:
	s_wait_loadcnt 0x0
	global_load_b32 v1, v[12:13], off
	s_mov_b32 s35, 0
	s_branch .LBB87_146
.LBB87_143:
	s_mov_b32 s35, -1
                                        ; implicit-def: $vgpr1
	s_branch .LBB87_152
.LBB87_144:
	s_mov_b32 s35, -1
                                        ; implicit-def: $vgpr1
	s_branch .LBB87_149
.LBB87_145:
	s_mov_b32 s35, -1
                                        ; implicit-def: $vgpr1
.LBB87_146:
	s_delay_alu instid0(SALU_CYCLE_1)
	s_and_not1_b32 vcc_lo, exec_lo, s35
	s_cbranch_vccnz .LBB87_148
; %bb.147:
	s_wait_loadcnt 0x0
	global_load_b32 v1, v[12:13], off
.LBB87_148:
	s_mov_b32 s35, 0
.LBB87_149:
	s_delay_alu instid0(SALU_CYCLE_1)
	s_and_not1_b32 vcc_lo, exec_lo, s35
	s_cbranch_vccnz .LBB87_151
; %bb.150:
	s_wait_loadcnt 0x0
	global_load_i16 v1, v[12:13], off
.LBB87_151:
	s_mov_b32 s35, 0
.LBB87_152:
	s_delay_alu instid0(SALU_CYCLE_1)
	s_and_not1_b32 vcc_lo, exec_lo, s35
	s_cbranch_vccnz .LBB87_158
; %bb.153:
	s_cmp_gt_i32 s0, 0
	s_mov_b32 s0, 0
	s_cbranch_scc0 .LBB87_155
; %bb.154:
	s_wait_loadcnt 0x0
	global_load_i8 v1, v[12:13], off
	s_branch .LBB87_156
.LBB87_155:
	s_mov_b32 s0, -1
                                        ; implicit-def: $vgpr1
.LBB87_156:
	s_delay_alu instid0(SALU_CYCLE_1)
	s_and_not1_b32 vcc_lo, exec_lo, s0
	s_cbranch_vccnz .LBB87_158
; %bb.157:
	s_wait_loadcnt 0x0
	global_load_u8 v1, v[12:13], off
.LBB87_158:
	s_branch .LBB87_22
.LBB87_159:
	s_mov_b32 s0, 0
	s_mov_b32 s35, 0
	;; [unrolled: 1-line block ×10, first 2 shown]
	s_branch .LBB87_649
.LBB87_160:
	s_mov_b32 s83, -1
.LBB87_161:
	s_mov_b32 s50, 0
                                        ; implicit-def: $vgpr3
.LBB87_162:
	s_and_b32 vcc_lo, exec_lo, s51
	s_cbranch_vccz .LBB87_167
; %bb.163:
	s_cmp_eq_u32 s35, 44
	s_cbranch_scc0 .LBB87_166
; %bb.164:
	global_load_u8 v3, v[10:11], off
	s_mov_b32 s83, 0
	s_mov_b32 s50, -1
	s_wait_loadcnt 0x0
	v_lshlrev_b32_e32 v5, 23, v3
	v_cmp_ne_u32_e32 vcc_lo, 0, v3
	s_delay_alu instid0(VALU_DEP_2) | instskip(NEXT) | instid1(VALU_DEP_1)
	v_cvt_i32_f32_e32 v5, v5
	v_cndmask_b32_e32 v3, 0, v5, vcc_lo
	s_branch .LBB87_167
.LBB87_165:
	s_mov_b32 s51, -1
	s_mov_b32 s82, 0
	s_branch .LBB87_274
.LBB87_166:
	s_mov_b32 s83, -1
                                        ; implicit-def: $vgpr3
.LBB87_167:
	s_mov_b32 s51, 0
.LBB87_168:
	s_delay_alu instid0(SALU_CYCLE_1)
	s_and_b32 vcc_lo, exec_lo, s51
	s_cbranch_vccz .LBB87_172
; %bb.169:
	s_cmp_eq_u32 s35, 29
	s_cbranch_scc0 .LBB87_171
; %bb.170:
	global_load_b32 v3, v[10:11], off
	s_mov_b32 s50, -1
	s_mov_b32 s83, 0
	s_branch .LBB87_172
.LBB87_171:
	s_mov_b32 s83, -1
                                        ; implicit-def: $vgpr3
.LBB87_172:
	s_mov_b32 s51, 0
.LBB87_173:
	s_delay_alu instid0(SALU_CYCLE_1)
	s_and_b32 vcc_lo, exec_lo, s51
	s_cbranch_vccz .LBB87_189
; %bb.174:
	s_cmp_lt_i32 s35, 27
	s_cbranch_scc1 .LBB87_177
; %bb.175:
	s_cmp_gt_i32 s35, 27
	s_cbranch_scc0 .LBB87_178
; %bb.176:
	s_wait_loadcnt 0x0
	global_load_b32 v3, v[10:11], off
	s_mov_b32 s50, 0
	s_branch .LBB87_179
.LBB87_177:
	s_mov_b32 s50, -1
                                        ; implicit-def: $vgpr3
	s_branch .LBB87_182
.LBB87_178:
	s_mov_b32 s50, -1
                                        ; implicit-def: $vgpr3
.LBB87_179:
	s_delay_alu instid0(SALU_CYCLE_1)
	s_and_not1_b32 vcc_lo, exec_lo, s50
	s_cbranch_vccnz .LBB87_181
; %bb.180:
	s_wait_loadcnt 0x0
	global_load_u16 v3, v[10:11], off
.LBB87_181:
	s_mov_b32 s50, 0
.LBB87_182:
	s_delay_alu instid0(SALU_CYCLE_1)
	s_and_not1_b32 vcc_lo, exec_lo, s50
	s_cbranch_vccnz .LBB87_188
; %bb.183:
	global_load_u8 v5, v[10:11], off
	s_mov_b32 s51, 0
	s_mov_b32 s4, exec_lo
	s_wait_loadcnt 0x0
	v_cmpx_lt_i16_e32 0x7f, v5
	s_xor_b32 s50, exec_lo, s4
	s_cbranch_execz .LBB87_200
; %bb.184:
	v_cmp_ne_u16_e32 vcc_lo, 0x80, v5
	s_and_b32 s51, vcc_lo, exec_lo
	s_and_not1_saveexec_b32 s50, s50
	s_cbranch_execnz .LBB87_201
.LBB87_185:
	s_or_b32 exec_lo, exec_lo, s50
	v_mov_b32_e32 v3, 0
	s_and_saveexec_b32 s50, s51
	s_cbranch_execz .LBB87_187
.LBB87_186:
	v_and_b32_e32 v3, 0xffff, v5
	s_delay_alu instid0(VALU_DEP_1) | instskip(SKIP_1) | instid1(VALU_DEP_2)
	v_and_b32_e32 v7, 7, v3
	v_bfe_u32 v13, v3, 3, 4
	v_clz_i32_u32_e32 v9, v7
	s_delay_alu instid0(VALU_DEP_2) | instskip(NEXT) | instid1(VALU_DEP_2)
	v_cmp_eq_u32_e32 vcc_lo, 0, v13
	v_min_u32_e32 v9, 32, v9
	s_delay_alu instid0(VALU_DEP_1) | instskip(NEXT) | instid1(VALU_DEP_1)
	v_subrev_nc_u32_e32 v12, 28, v9
	v_dual_lshlrev_b32 v3, v12, v3 :: v_dual_sub_nc_u32 v9, 29, v9
	s_delay_alu instid0(VALU_DEP_1) | instskip(NEXT) | instid1(VALU_DEP_1)
	v_dual_lshlrev_b32 v5, 24, v5 :: v_dual_bitop2_b32 v3, 7, v3 bitop3:0x40
	v_dual_cndmask_b32 v3, v7, v3, vcc_lo :: v_dual_cndmask_b32 v9, v13, v9, vcc_lo
	s_delay_alu instid0(VALU_DEP_2) | instskip(NEXT) | instid1(VALU_DEP_2)
	v_and_b32_e32 v5, 0x80000000, v5
	v_lshlrev_b32_e32 v3, 20, v3
	s_delay_alu instid0(VALU_DEP_3) | instskip(NEXT) | instid1(VALU_DEP_1)
	v_lshl_add_u32 v7, v9, 23, 0x3b800000
	v_or3_b32 v3, v5, v7, v3
	s_delay_alu instid0(VALU_DEP_1)
	v_cvt_i32_f32_e32 v3, v3
.LBB87_187:
	s_or_b32 exec_lo, exec_lo, s50
.LBB87_188:
	s_mov_b32 s50, -1
.LBB87_189:
	s_mov_b32 s51, 0
.LBB87_190:
	s_delay_alu instid0(SALU_CYCLE_1)
	s_and_b32 vcc_lo, exec_lo, s51
	s_cbranch_vccz .LBB87_223
; %bb.191:
	s_cmp_gt_i32 s35, 22
	s_cbranch_scc0 .LBB87_199
; %bb.192:
	s_cmp_lt_i32 s35, 24
	s_cbranch_scc1 .LBB87_202
; %bb.193:
	s_cmp_gt_i32 s35, 24
	s_cbranch_scc0 .LBB87_203
; %bb.194:
	global_load_u8 v5, v[10:11], off
	s_mov_b32 s51, 0
	s_mov_b32 s4, exec_lo
	s_wait_loadcnt 0x0
	v_cmpx_lt_i16_e32 0x7f, v5
	s_xor_b32 s50, exec_lo, s4
	s_cbranch_execz .LBB87_215
; %bb.195:
	v_cmp_ne_u16_e32 vcc_lo, 0x80, v5
	s_and_b32 s51, vcc_lo, exec_lo
	s_and_not1_saveexec_b32 s50, s50
	s_cbranch_execnz .LBB87_216
.LBB87_196:
	s_or_b32 exec_lo, exec_lo, s50
	v_mov_b32_e32 v3, 0
	s_and_saveexec_b32 s50, s51
	s_cbranch_execz .LBB87_198
.LBB87_197:
	v_and_b32_e32 v3, 0xffff, v5
	s_delay_alu instid0(VALU_DEP_1) | instskip(SKIP_1) | instid1(VALU_DEP_2)
	v_and_b32_e32 v7, 3, v3
	v_bfe_u32 v13, v3, 2, 5
	v_clz_i32_u32_e32 v9, v7
	s_delay_alu instid0(VALU_DEP_2) | instskip(NEXT) | instid1(VALU_DEP_2)
	v_cmp_eq_u32_e32 vcc_lo, 0, v13
	v_min_u32_e32 v9, 32, v9
	s_delay_alu instid0(VALU_DEP_1) | instskip(NEXT) | instid1(VALU_DEP_1)
	v_subrev_nc_u32_e32 v12, 29, v9
	v_dual_lshlrev_b32 v3, v12, v3 :: v_dual_sub_nc_u32 v9, 30, v9
	s_delay_alu instid0(VALU_DEP_1) | instskip(NEXT) | instid1(VALU_DEP_1)
	v_dual_lshlrev_b32 v5, 24, v5 :: v_dual_bitop2_b32 v3, 3, v3 bitop3:0x40
	v_dual_cndmask_b32 v3, v7, v3, vcc_lo :: v_dual_cndmask_b32 v9, v13, v9, vcc_lo
	s_delay_alu instid0(VALU_DEP_2) | instskip(NEXT) | instid1(VALU_DEP_2)
	v_and_b32_e32 v5, 0x80000000, v5
	v_lshlrev_b32_e32 v3, 21, v3
	s_delay_alu instid0(VALU_DEP_3) | instskip(NEXT) | instid1(VALU_DEP_1)
	v_lshl_add_u32 v7, v9, 23, 0x37800000
	v_or3_b32 v3, v5, v7, v3
	s_delay_alu instid0(VALU_DEP_1)
	v_cvt_i32_f32_e32 v3, v3
.LBB87_198:
	s_or_b32 exec_lo, exec_lo, s50
	s_mov_b32 s50, 0
	s_branch .LBB87_204
.LBB87_199:
	s_mov_b32 s51, -1
                                        ; implicit-def: $vgpr3
	s_branch .LBB87_210
.LBB87_200:
	s_and_not1_saveexec_b32 s50, s50
	s_cbranch_execz .LBB87_185
.LBB87_201:
	v_cmp_ne_u16_e32 vcc_lo, 0, v5
	s_and_not1_b32 s4, s51, exec_lo
	s_and_b32 s5, vcc_lo, exec_lo
	s_delay_alu instid0(SALU_CYCLE_1)
	s_or_b32 s51, s4, s5
	s_or_b32 exec_lo, exec_lo, s50
	v_mov_b32_e32 v3, 0
	s_and_saveexec_b32 s50, s51
	s_cbranch_execnz .LBB87_186
	s_branch .LBB87_187
.LBB87_202:
	s_mov_b32 s50, -1
                                        ; implicit-def: $vgpr3
	s_branch .LBB87_207
.LBB87_203:
	s_mov_b32 s50, -1
                                        ; implicit-def: $vgpr3
.LBB87_204:
	s_delay_alu instid0(SALU_CYCLE_1)
	s_and_b32 vcc_lo, exec_lo, s50
	s_cbranch_vccz .LBB87_206
; %bb.205:
	s_wait_loadcnt 0x0
	global_load_u8 v3, v[10:11], off
	s_wait_loadcnt 0x0
	v_lshlrev_b32_e32 v3, 24, v3
	s_delay_alu instid0(VALU_DEP_1) | instskip(NEXT) | instid1(VALU_DEP_1)
	v_and_b32_e32 v5, 0x7f000000, v3
	v_clz_i32_u32_e32 v7, v5
	v_cmp_ne_u32_e32 vcc_lo, 0, v5
	v_add_nc_u32_e32 v12, 0x1000000, v5
	s_delay_alu instid0(VALU_DEP_3) | instskip(NEXT) | instid1(VALU_DEP_1)
	v_min_u32_e32 v7, 32, v7
	v_sub_nc_u32_e64 v7, v7, 4 clamp
	s_delay_alu instid0(VALU_DEP_1) | instskip(NEXT) | instid1(VALU_DEP_1)
	v_dual_lshlrev_b32 v9, v7, v5 :: v_dual_lshlrev_b32 v7, 23, v7
	v_lshrrev_b32_e32 v9, 4, v9
	s_delay_alu instid0(VALU_DEP_1) | instskip(NEXT) | instid1(VALU_DEP_1)
	v_dual_sub_nc_u32 v7, v9, v7 :: v_dual_ashrrev_i32 v9, 8, v12
	v_add_nc_u32_e32 v7, 0x3c000000, v7
	s_delay_alu instid0(VALU_DEP_1) | instskip(NEXT) | instid1(VALU_DEP_1)
	v_and_or_b32 v7, 0x7f800000, v9, v7
	v_cndmask_b32_e32 v5, 0, v7, vcc_lo
	s_delay_alu instid0(VALU_DEP_1) | instskip(NEXT) | instid1(VALU_DEP_1)
	v_and_or_b32 v3, 0x80000000, v3, v5
	v_cvt_i32_f32_e32 v3, v3
.LBB87_206:
	s_mov_b32 s50, 0
.LBB87_207:
	s_delay_alu instid0(SALU_CYCLE_1)
	s_and_not1_b32 vcc_lo, exec_lo, s50
	s_cbranch_vccnz .LBB87_209
; %bb.208:
	s_wait_loadcnt 0x0
	global_load_u8 v3, v[10:11], off
	s_wait_loadcnt 0x0
	v_lshlrev_b32_e32 v5, 25, v3
	v_lshlrev_b16 v3, 8, v3
	s_delay_alu instid0(VALU_DEP_1) | instskip(SKIP_1) | instid1(VALU_DEP_2)
	v_and_or_b32 v9, 0x7f00, v3, 0.5
	v_bfe_i32 v3, v3, 0, 16
	v_add_f32_e32 v9, -0.5, v9
	v_lshrrev_b32_e32 v7, 4, v5
	v_cmp_gt_u32_e32 vcc_lo, 0x8000000, v5
	s_delay_alu instid0(VALU_DEP_2) | instskip(NEXT) | instid1(VALU_DEP_1)
	v_or_b32_e32 v7, 0x70000000, v7
	v_mul_f32_e32 v7, 0x7800000, v7
	s_delay_alu instid0(VALU_DEP_1) | instskip(NEXT) | instid1(VALU_DEP_1)
	v_cndmask_b32_e32 v5, v7, v9, vcc_lo
	v_and_or_b32 v3, 0x80000000, v3, v5
	s_delay_alu instid0(VALU_DEP_1)
	v_cvt_i32_f32_e32 v3, v3
.LBB87_209:
	s_mov_b32 s51, 0
	s_mov_b32 s50, -1
.LBB87_210:
	s_and_not1_b32 vcc_lo, exec_lo, s51
	s_cbranch_vccnz .LBB87_223
; %bb.211:
	s_cmp_gt_i32 s35, 14
	s_cbranch_scc0 .LBB87_214
; %bb.212:
	s_cmp_eq_u32 s35, 15
	s_cbranch_scc0 .LBB87_217
; %bb.213:
	s_wait_loadcnt 0x0
	global_load_u16 v3, v[10:11], off
	s_mov_b32 s50, -1
	s_mov_b32 s83, 0
	s_wait_loadcnt 0x0
	v_lshlrev_b32_e32 v3, 16, v3
	s_delay_alu instid0(VALU_DEP_1)
	v_cvt_i32_f32_e32 v3, v3
	s_branch .LBB87_218
.LBB87_214:
	s_mov_b32 s51, -1
                                        ; implicit-def: $vgpr3
	s_branch .LBB87_219
.LBB87_215:
	s_and_not1_saveexec_b32 s50, s50
	s_cbranch_execz .LBB87_196
.LBB87_216:
	v_cmp_ne_u16_e32 vcc_lo, 0, v5
	s_and_not1_b32 s4, s51, exec_lo
	s_and_b32 s5, vcc_lo, exec_lo
	s_delay_alu instid0(SALU_CYCLE_1)
	s_or_b32 s51, s4, s5
	s_or_b32 exec_lo, exec_lo, s50
	v_mov_b32_e32 v3, 0
	s_and_saveexec_b32 s50, s51
	s_cbranch_execnz .LBB87_197
	s_branch .LBB87_198
.LBB87_217:
	s_mov_b32 s83, -1
                                        ; implicit-def: $vgpr3
.LBB87_218:
	s_mov_b32 s51, 0
.LBB87_219:
	s_delay_alu instid0(SALU_CYCLE_1)
	s_and_b32 vcc_lo, exec_lo, s51
	s_cbranch_vccz .LBB87_223
; %bb.220:
	s_cmp_eq_u32 s35, 11
	s_cbranch_scc0 .LBB87_222
; %bb.221:
	s_wait_loadcnt 0x0
	global_load_u8 v3, v[10:11], off
	s_mov_b32 s83, 0
	s_mov_b32 s50, -1
	s_wait_loadcnt 0x0
	v_cmp_ne_u16_e32 vcc_lo, 0, v3
	v_cndmask_b32_e64 v3, 0, 1, vcc_lo
	s_branch .LBB87_223
.LBB87_222:
	s_mov_b32 s83, -1
                                        ; implicit-def: $vgpr3
.LBB87_223:
	s_branch .LBB87_31
.LBB87_224:
	s_and_b32 s0, 0xffff, s0
	s_delay_alu instid0(SALU_CYCLE_1)
	s_cmp_lt_i32 s0, 5
	s_cbranch_scc1 .LBB87_229
; %bb.225:
	s_cmp_lt_i32 s0, 8
	s_cbranch_scc1 .LBB87_230
; %bb.226:
	;; [unrolled: 3-line block ×3, first 2 shown]
	s_cmp_gt_i32 s0, 9
	s_cbranch_scc0 .LBB87_232
; %bb.228:
	global_load_b64 v[12:13], v[10:11], off
	s_mov_b32 s35, 0
	s_wait_loadcnt 0x0
	v_cvt_i32_f64_e32 v3, v[12:13]
	s_branch .LBB87_233
.LBB87_229:
	s_mov_b32 s35, -1
                                        ; implicit-def: $vgpr3
	s_branch .LBB87_251
.LBB87_230:
	s_mov_b32 s35, -1
                                        ; implicit-def: $vgpr3
	s_branch .LBB87_239
.LBB87_231:
	s_mov_b32 s35, -1
                                        ; implicit-def: $vgpr3
	s_branch .LBB87_236
.LBB87_232:
	s_mov_b32 s35, -1
                                        ; implicit-def: $vgpr3
.LBB87_233:
	s_delay_alu instid0(SALU_CYCLE_1)
	s_and_not1_b32 vcc_lo, exec_lo, s35
	s_cbranch_vccnz .LBB87_235
; %bb.234:
	s_wait_loadcnt 0x0
	global_load_b32 v3, v[10:11], off
	s_wait_loadcnt 0x0
	v_cvt_i32_f32_e32 v3, v3
.LBB87_235:
	s_mov_b32 s35, 0
.LBB87_236:
	s_delay_alu instid0(SALU_CYCLE_1)
	s_and_not1_b32 vcc_lo, exec_lo, s35
	s_cbranch_vccnz .LBB87_238
; %bb.237:
	s_wait_loadcnt 0x0
	global_load_b32 v3, v[10:11], off
	s_wait_loadcnt 0x0
	v_cvt_f32_f16_e32 v3, v3
	s_delay_alu instid0(VALU_DEP_1)
	v_cvt_i32_f32_e32 v3, v3
.LBB87_238:
	s_mov_b32 s35, 0
.LBB87_239:
	s_delay_alu instid0(SALU_CYCLE_1)
	s_and_not1_b32 vcc_lo, exec_lo, s35
	s_cbranch_vccnz .LBB87_250
; %bb.240:
	s_cmp_lt_i32 s0, 6
	s_cbranch_scc1 .LBB87_243
; %bb.241:
	s_cmp_gt_i32 s0, 6
	s_cbranch_scc0 .LBB87_244
; %bb.242:
	global_load_b64 v[12:13], v[10:11], off
	s_mov_b32 s35, 0
	s_wait_loadcnt 0x0
	v_cvt_i32_f64_e32 v3, v[12:13]
	s_branch .LBB87_245
.LBB87_243:
	s_mov_b32 s35, -1
                                        ; implicit-def: $vgpr3
	s_branch .LBB87_248
.LBB87_244:
	s_mov_b32 s35, -1
                                        ; implicit-def: $vgpr3
.LBB87_245:
	s_delay_alu instid0(SALU_CYCLE_1)
	s_and_not1_b32 vcc_lo, exec_lo, s35
	s_cbranch_vccnz .LBB87_247
; %bb.246:
	s_wait_loadcnt 0x0
	global_load_b32 v3, v[10:11], off
	s_wait_loadcnt 0x0
	v_cvt_i32_f32_e32 v3, v3
.LBB87_247:
	s_mov_b32 s35, 0
.LBB87_248:
	s_delay_alu instid0(SALU_CYCLE_1)
	s_and_not1_b32 vcc_lo, exec_lo, s35
	s_cbranch_vccnz .LBB87_250
; %bb.249:
	s_wait_loadcnt 0x0
	global_load_u16 v3, v[10:11], off
	s_wait_loadcnt 0x0
	v_cvt_f32_f16_e32 v3, v3
	s_delay_alu instid0(VALU_DEP_1)
	v_cvt_i32_f32_e32 v3, v3
.LBB87_250:
	s_mov_b32 s35, 0
.LBB87_251:
	s_delay_alu instid0(SALU_CYCLE_1)
	s_and_not1_b32 vcc_lo, exec_lo, s35
	s_cbranch_vccnz .LBB87_271
; %bb.252:
	s_cmp_lt_i32 s0, 2
	s_cbranch_scc1 .LBB87_256
; %bb.253:
	s_cmp_lt_i32 s0, 3
	s_cbranch_scc1 .LBB87_257
; %bb.254:
	s_cmp_gt_i32 s0, 3
	s_cbranch_scc0 .LBB87_258
; %bb.255:
	s_wait_loadcnt 0x0
	global_load_b32 v3, v[10:11], off
	s_mov_b32 s35, 0
	s_branch .LBB87_259
.LBB87_256:
	s_mov_b32 s35, -1
                                        ; implicit-def: $vgpr3
	s_branch .LBB87_265
.LBB87_257:
	s_mov_b32 s35, -1
                                        ; implicit-def: $vgpr3
	s_branch .LBB87_262
.LBB87_258:
	s_mov_b32 s35, -1
                                        ; implicit-def: $vgpr3
.LBB87_259:
	s_delay_alu instid0(SALU_CYCLE_1)
	s_and_not1_b32 vcc_lo, exec_lo, s35
	s_cbranch_vccnz .LBB87_261
; %bb.260:
	s_wait_loadcnt 0x0
	global_load_b32 v3, v[10:11], off
.LBB87_261:
	s_mov_b32 s35, 0
.LBB87_262:
	s_delay_alu instid0(SALU_CYCLE_1)
	s_and_not1_b32 vcc_lo, exec_lo, s35
	s_cbranch_vccnz .LBB87_264
; %bb.263:
	s_wait_loadcnt 0x0
	global_load_i16 v3, v[10:11], off
.LBB87_264:
	s_mov_b32 s35, 0
.LBB87_265:
	s_delay_alu instid0(SALU_CYCLE_1)
	s_and_not1_b32 vcc_lo, exec_lo, s35
	s_cbranch_vccnz .LBB87_271
; %bb.266:
	s_cmp_gt_i32 s0, 0
	s_mov_b32 s0, 0
	s_cbranch_scc0 .LBB87_268
; %bb.267:
	s_wait_loadcnt 0x0
	global_load_i8 v3, v[10:11], off
	s_branch .LBB87_269
.LBB87_268:
	s_mov_b32 s0, -1
                                        ; implicit-def: $vgpr3
.LBB87_269:
	s_delay_alu instid0(SALU_CYCLE_1)
	s_and_not1_b32 vcc_lo, exec_lo, s0
	s_cbranch_vccnz .LBB87_271
; %bb.270:
	s_wait_loadcnt 0x0
	global_load_u8 v3, v[10:11], off
.LBB87_271:
	s_branch .LBB87_32
.LBB87_272:
	s_mov_b32 s0, 0
	s_mov_b32 s35, 0
	;; [unrolled: 1-line block ×9, first 2 shown]
	s_branch .LBB87_649
.LBB87_273:
	s_mov_b32 s82, -1
.LBB87_274:
	s_mov_b32 s50, 0
                                        ; implicit-def: $vgpr8
.LBB87_275:
	s_and_b32 vcc_lo, exec_lo, s51
	s_cbranch_vccz .LBB87_279
; %bb.276:
	s_cmp_eq_u32 s35, 44
	s_cbranch_scc0 .LBB87_278
; %bb.277:
	global_load_u8 v5, v[10:11], off
	s_mov_b32 s82, 0
	s_mov_b32 s50, -1
	s_wait_loadcnt 0x0
	v_lshlrev_b32_e32 v7, 23, v5
	v_cmp_ne_u32_e32 vcc_lo, 0, v5
	s_delay_alu instid0(VALU_DEP_2) | instskip(NEXT) | instid1(VALU_DEP_1)
	v_cvt_i32_f32_e32 v7, v7
	v_cndmask_b32_e32 v8, 0, v7, vcc_lo
	s_branch .LBB87_279
.LBB87_278:
	s_mov_b32 s82, -1
                                        ; implicit-def: $vgpr8
.LBB87_279:
	s_mov_b32 s51, 0
.LBB87_280:
	s_delay_alu instid0(SALU_CYCLE_1)
	s_and_b32 vcc_lo, exec_lo, s51
	s_cbranch_vccz .LBB87_284
; %bb.281:
	s_cmp_eq_u32 s35, 29
	s_cbranch_scc0 .LBB87_283
; %bb.282:
	global_load_b32 v8, v[10:11], off
	s_mov_b32 s50, -1
	s_mov_b32 s82, 0
	s_branch .LBB87_284
.LBB87_283:
	s_mov_b32 s82, -1
                                        ; implicit-def: $vgpr8
.LBB87_284:
	s_mov_b32 s51, 0
.LBB87_285:
	s_delay_alu instid0(SALU_CYCLE_1)
	s_and_b32 vcc_lo, exec_lo, s51
	s_cbranch_vccz .LBB87_301
; %bb.286:
	s_cmp_lt_i32 s35, 27
	s_cbranch_scc1 .LBB87_289
; %bb.287:
	s_cmp_gt_i32 s35, 27
	s_cbranch_scc0 .LBB87_290
; %bb.288:
	s_wait_loadcnt 0x0
	global_load_b32 v8, v[10:11], off
	s_mov_b32 s50, 0
	s_branch .LBB87_291
.LBB87_289:
	s_mov_b32 s50, -1
                                        ; implicit-def: $vgpr8
	s_branch .LBB87_294
.LBB87_290:
	s_mov_b32 s50, -1
                                        ; implicit-def: $vgpr8
.LBB87_291:
	s_delay_alu instid0(SALU_CYCLE_1)
	s_and_not1_b32 vcc_lo, exec_lo, s50
	s_cbranch_vccnz .LBB87_293
; %bb.292:
	s_wait_loadcnt 0x0
	global_load_u16 v8, v[10:11], off
.LBB87_293:
	s_mov_b32 s50, 0
.LBB87_294:
	s_delay_alu instid0(SALU_CYCLE_1)
	s_and_not1_b32 vcc_lo, exec_lo, s50
	s_cbranch_vccnz .LBB87_300
; %bb.295:
	global_load_u8 v5, v[10:11], off
	s_mov_b32 s51, 0
	s_mov_b32 s4, exec_lo
	s_wait_loadcnt 0x0
	v_cmpx_lt_i16_e32 0x7f, v5
	s_xor_b32 s50, exec_lo, s4
	s_cbranch_execz .LBB87_312
; %bb.296:
	v_cmp_ne_u16_e32 vcc_lo, 0x80, v5
	s_and_b32 s51, vcc_lo, exec_lo
	s_and_not1_saveexec_b32 s50, s50
	s_cbranch_execnz .LBB87_313
.LBB87_297:
	s_or_b32 exec_lo, exec_lo, s50
	v_mov_b32_e32 v8, 0
	s_and_saveexec_b32 s50, s51
	s_cbranch_execz .LBB87_299
.LBB87_298:
	v_and_b32_e32 v7, 0xffff, v5
	s_delay_alu instid0(VALU_DEP_1) | instskip(SKIP_1) | instid1(VALU_DEP_2)
	v_and_b32_e32 v8, 7, v7
	v_bfe_u32 v13, v7, 3, 4
	v_clz_i32_u32_e32 v9, v8
	s_delay_alu instid0(VALU_DEP_2) | instskip(NEXT) | instid1(VALU_DEP_2)
	v_cmp_eq_u32_e32 vcc_lo, 0, v13
	v_min_u32_e32 v9, 32, v9
	s_delay_alu instid0(VALU_DEP_1) | instskip(NEXT) | instid1(VALU_DEP_1)
	v_subrev_nc_u32_e32 v12, 28, v9
	v_dual_lshlrev_b32 v7, v12, v7 :: v_dual_sub_nc_u32 v9, 29, v9
	s_delay_alu instid0(VALU_DEP_1) | instskip(NEXT) | instid1(VALU_DEP_1)
	v_dual_lshlrev_b32 v5, 24, v5 :: v_dual_bitop2_b32 v7, 7, v7 bitop3:0x40
	v_dual_cndmask_b32 v7, v8, v7, vcc_lo :: v_dual_cndmask_b32 v9, v13, v9, vcc_lo
	s_delay_alu instid0(VALU_DEP_2) | instskip(NEXT) | instid1(VALU_DEP_2)
	v_and_b32_e32 v5, 0x80000000, v5
	v_lshlrev_b32_e32 v7, 20, v7
	s_delay_alu instid0(VALU_DEP_3) | instskip(NEXT) | instid1(VALU_DEP_1)
	v_lshl_add_u32 v8, v9, 23, 0x3b800000
	v_or3_b32 v5, v5, v8, v7
	s_delay_alu instid0(VALU_DEP_1)
	v_cvt_i32_f32_e32 v8, v5
.LBB87_299:
	s_or_b32 exec_lo, exec_lo, s50
.LBB87_300:
	s_mov_b32 s50, -1
.LBB87_301:
	s_mov_b32 s51, 0
.LBB87_302:
	s_delay_alu instid0(SALU_CYCLE_1)
	s_and_b32 vcc_lo, exec_lo, s51
	s_cbranch_vccz .LBB87_335
; %bb.303:
	s_cmp_gt_i32 s35, 22
	s_cbranch_scc0 .LBB87_311
; %bb.304:
	s_cmp_lt_i32 s35, 24
	s_cbranch_scc1 .LBB87_314
; %bb.305:
	s_cmp_gt_i32 s35, 24
	s_cbranch_scc0 .LBB87_315
; %bb.306:
	global_load_u8 v5, v[10:11], off
	s_mov_b32 s51, 0
	s_mov_b32 s4, exec_lo
	s_wait_loadcnt 0x0
	v_cmpx_lt_i16_e32 0x7f, v5
	s_xor_b32 s50, exec_lo, s4
	s_cbranch_execz .LBB87_327
; %bb.307:
	v_cmp_ne_u16_e32 vcc_lo, 0x80, v5
	s_and_b32 s51, vcc_lo, exec_lo
	s_and_not1_saveexec_b32 s50, s50
	s_cbranch_execnz .LBB87_328
.LBB87_308:
	s_or_b32 exec_lo, exec_lo, s50
	v_mov_b32_e32 v8, 0
	s_and_saveexec_b32 s50, s51
	s_cbranch_execz .LBB87_310
.LBB87_309:
	v_and_b32_e32 v7, 0xffff, v5
	s_delay_alu instid0(VALU_DEP_1) | instskip(SKIP_1) | instid1(VALU_DEP_2)
	v_and_b32_e32 v8, 3, v7
	v_bfe_u32 v13, v7, 2, 5
	v_clz_i32_u32_e32 v9, v8
	s_delay_alu instid0(VALU_DEP_2) | instskip(NEXT) | instid1(VALU_DEP_2)
	v_cmp_eq_u32_e32 vcc_lo, 0, v13
	v_min_u32_e32 v9, 32, v9
	s_delay_alu instid0(VALU_DEP_1) | instskip(NEXT) | instid1(VALU_DEP_1)
	v_subrev_nc_u32_e32 v12, 29, v9
	v_dual_lshlrev_b32 v7, v12, v7 :: v_dual_sub_nc_u32 v9, 30, v9
	s_delay_alu instid0(VALU_DEP_1) | instskip(NEXT) | instid1(VALU_DEP_1)
	v_dual_lshlrev_b32 v5, 24, v5 :: v_dual_bitop2_b32 v7, 3, v7 bitop3:0x40
	v_dual_cndmask_b32 v7, v8, v7, vcc_lo :: v_dual_cndmask_b32 v9, v13, v9, vcc_lo
	s_delay_alu instid0(VALU_DEP_2) | instskip(NEXT) | instid1(VALU_DEP_2)
	v_and_b32_e32 v5, 0x80000000, v5
	v_lshlrev_b32_e32 v7, 21, v7
	s_delay_alu instid0(VALU_DEP_3) | instskip(NEXT) | instid1(VALU_DEP_1)
	v_lshl_add_u32 v8, v9, 23, 0x37800000
	v_or3_b32 v5, v5, v8, v7
	s_delay_alu instid0(VALU_DEP_1)
	v_cvt_i32_f32_e32 v8, v5
.LBB87_310:
	s_or_b32 exec_lo, exec_lo, s50
	s_mov_b32 s50, 0
	s_branch .LBB87_316
.LBB87_311:
	s_mov_b32 s51, -1
                                        ; implicit-def: $vgpr8
	s_branch .LBB87_322
.LBB87_312:
	s_and_not1_saveexec_b32 s50, s50
	s_cbranch_execz .LBB87_297
.LBB87_313:
	v_cmp_ne_u16_e32 vcc_lo, 0, v5
	s_and_not1_b32 s4, s51, exec_lo
	s_and_b32 s5, vcc_lo, exec_lo
	s_delay_alu instid0(SALU_CYCLE_1)
	s_or_b32 s51, s4, s5
	s_or_b32 exec_lo, exec_lo, s50
	v_mov_b32_e32 v8, 0
	s_and_saveexec_b32 s50, s51
	s_cbranch_execnz .LBB87_298
	s_branch .LBB87_299
.LBB87_314:
	s_mov_b32 s50, -1
                                        ; implicit-def: $vgpr8
	s_branch .LBB87_319
.LBB87_315:
	s_mov_b32 s50, -1
                                        ; implicit-def: $vgpr8
.LBB87_316:
	s_delay_alu instid0(SALU_CYCLE_1)
	s_and_b32 vcc_lo, exec_lo, s50
	s_cbranch_vccz .LBB87_318
; %bb.317:
	global_load_u8 v5, v[10:11], off
	s_wait_loadcnt 0x0
	v_lshlrev_b32_e32 v5, 24, v5
	s_delay_alu instid0(VALU_DEP_1) | instskip(NEXT) | instid1(VALU_DEP_1)
	v_and_b32_e32 v7, 0x7f000000, v5
	v_clz_i32_u32_e32 v8, v7
	v_cmp_ne_u32_e32 vcc_lo, 0, v7
	v_add_nc_u32_e32 v12, 0x1000000, v7
	s_delay_alu instid0(VALU_DEP_3) | instskip(NEXT) | instid1(VALU_DEP_1)
	v_min_u32_e32 v8, 32, v8
	v_sub_nc_u32_e64 v8, v8, 4 clamp
	s_delay_alu instid0(VALU_DEP_1) | instskip(NEXT) | instid1(VALU_DEP_1)
	v_dual_lshlrev_b32 v9, v8, v7 :: v_dual_lshlrev_b32 v8, 23, v8
	v_lshrrev_b32_e32 v9, 4, v9
	s_delay_alu instid0(VALU_DEP_1) | instskip(SKIP_1) | instid1(VALU_DEP_2)
	v_sub_nc_u32_e32 v8, v9, v8
	v_ashrrev_i32_e32 v9, 8, v12
	v_add_nc_u32_e32 v8, 0x3c000000, v8
	s_delay_alu instid0(VALU_DEP_1) | instskip(NEXT) | instid1(VALU_DEP_1)
	v_and_or_b32 v8, 0x7f800000, v9, v8
	v_cndmask_b32_e32 v7, 0, v8, vcc_lo
	s_delay_alu instid0(VALU_DEP_1) | instskip(NEXT) | instid1(VALU_DEP_1)
	v_and_or_b32 v5, 0x80000000, v5, v7
	v_cvt_i32_f32_e32 v8, v5
.LBB87_318:
	s_mov_b32 s50, 0
.LBB87_319:
	s_delay_alu instid0(SALU_CYCLE_1)
	s_and_not1_b32 vcc_lo, exec_lo, s50
	s_cbranch_vccnz .LBB87_321
; %bb.320:
	global_load_u8 v5, v[10:11], off
	s_wait_loadcnt 0x0
	v_lshlrev_b32_e32 v7, 25, v5
	v_lshlrev_b16 v5, 8, v5
	s_delay_alu instid0(VALU_DEP_1) | instskip(NEXT) | instid1(VALU_DEP_3)
	v_and_or_b32 v9, 0x7f00, v5, 0.5
	v_lshrrev_b32_e32 v8, 4, v7
	v_bfe_i32 v5, v5, 0, 16
	s_delay_alu instid0(VALU_DEP_3) | instskip(NEXT) | instid1(VALU_DEP_3)
	v_add_f32_e32 v9, -0.5, v9
	v_or_b32_e32 v8, 0x70000000, v8
	s_delay_alu instid0(VALU_DEP_1) | instskip(SKIP_1) | instid1(VALU_DEP_2)
	v_mul_f32_e32 v8, 0x7800000, v8
	v_cmp_gt_u32_e32 vcc_lo, 0x8000000, v7
	v_cndmask_b32_e32 v7, v8, v9, vcc_lo
	s_delay_alu instid0(VALU_DEP_1) | instskip(NEXT) | instid1(VALU_DEP_1)
	v_and_or_b32 v5, 0x80000000, v5, v7
	v_cvt_i32_f32_e32 v8, v5
.LBB87_321:
	s_mov_b32 s51, 0
	s_mov_b32 s50, -1
.LBB87_322:
	s_and_not1_b32 vcc_lo, exec_lo, s51
	s_cbranch_vccnz .LBB87_335
; %bb.323:
	s_cmp_gt_i32 s35, 14
	s_cbranch_scc0 .LBB87_326
; %bb.324:
	s_cmp_eq_u32 s35, 15
	s_cbranch_scc0 .LBB87_329
; %bb.325:
	global_load_u16 v5, v[10:11], off
	s_mov_b32 s50, -1
	s_mov_b32 s82, 0
	s_wait_loadcnt 0x0
	v_lshlrev_b32_e32 v5, 16, v5
	s_delay_alu instid0(VALU_DEP_1)
	v_cvt_i32_f32_e32 v8, v5
	s_branch .LBB87_330
.LBB87_326:
	s_mov_b32 s51, -1
                                        ; implicit-def: $vgpr8
	s_branch .LBB87_331
.LBB87_327:
	s_and_not1_saveexec_b32 s50, s50
	s_cbranch_execz .LBB87_308
.LBB87_328:
	v_cmp_ne_u16_e32 vcc_lo, 0, v5
	s_and_not1_b32 s4, s51, exec_lo
	s_and_b32 s5, vcc_lo, exec_lo
	s_delay_alu instid0(SALU_CYCLE_1)
	s_or_b32 s51, s4, s5
	s_or_b32 exec_lo, exec_lo, s50
	v_mov_b32_e32 v8, 0
	s_and_saveexec_b32 s50, s51
	s_cbranch_execnz .LBB87_309
	s_branch .LBB87_310
.LBB87_329:
	s_mov_b32 s82, -1
                                        ; implicit-def: $vgpr8
.LBB87_330:
	s_mov_b32 s51, 0
.LBB87_331:
	s_delay_alu instid0(SALU_CYCLE_1)
	s_and_b32 vcc_lo, exec_lo, s51
	s_cbranch_vccz .LBB87_335
; %bb.332:
	s_cmp_eq_u32 s35, 11
	s_cbranch_scc0 .LBB87_334
; %bb.333:
	global_load_u8 v5, v[10:11], off
	s_mov_b32 s82, 0
	s_mov_b32 s50, -1
	s_wait_loadcnt 0x0
	v_cmp_ne_u16_e32 vcc_lo, 0, v5
	v_cndmask_b32_e64 v8, 0, 1, vcc_lo
	s_branch .LBB87_335
.LBB87_334:
	s_mov_b32 s82, -1
                                        ; implicit-def: $vgpr8
.LBB87_335:
	s_mov_b32 s35, 0
.LBB87_336:
	s_delay_alu instid0(SALU_CYCLE_1)
	s_and_b32 vcc_lo, exec_lo, s35
	s_cbranch_vccz .LBB87_385
; %bb.337:
	s_and_b32 s0, 0xffff, s0
	s_delay_alu instid0(SALU_CYCLE_1)
	s_cmp_lt_i32 s0, 5
	s_cbranch_scc1 .LBB87_342
; %bb.338:
	s_cmp_lt_i32 s0, 8
	s_cbranch_scc1 .LBB87_343
; %bb.339:
	s_cmp_lt_i32 s0, 9
	s_cbranch_scc1 .LBB87_344
; %bb.340:
	s_cmp_gt_i32 s0, 9
	s_cbranch_scc0 .LBB87_345
; %bb.341:
	s_wait_loadcnt 0x0
	global_load_b64 v[8:9], v[10:11], off
	s_mov_b32 s35, 0
	s_wait_loadcnt 0x0
	v_cvt_i32_f64_e32 v8, v[8:9]
	s_branch .LBB87_346
.LBB87_342:
	s_mov_b32 s35, -1
                                        ; implicit-def: $vgpr8
	s_branch .LBB87_364
.LBB87_343:
	s_mov_b32 s35, -1
                                        ; implicit-def: $vgpr8
	s_branch .LBB87_352
.LBB87_344:
	s_mov_b32 s35, -1
                                        ; implicit-def: $vgpr8
	s_branch .LBB87_349
.LBB87_345:
	s_mov_b32 s35, -1
                                        ; implicit-def: $vgpr8
.LBB87_346:
	s_delay_alu instid0(SALU_CYCLE_1)
	s_and_not1_b32 vcc_lo, exec_lo, s35
	s_cbranch_vccnz .LBB87_348
; %bb.347:
	global_load_b32 v5, v[10:11], off
	s_wait_loadcnt 0x0
	v_cvt_i32_f32_e32 v8, v5
.LBB87_348:
	s_mov_b32 s35, 0
.LBB87_349:
	s_delay_alu instid0(SALU_CYCLE_1)
	s_and_not1_b32 vcc_lo, exec_lo, s35
	s_cbranch_vccnz .LBB87_351
; %bb.350:
	global_load_b32 v5, v[10:11], off
	s_wait_loadcnt 0x0
	v_cvt_f32_f16_e32 v5, v5
	s_delay_alu instid0(VALU_DEP_1)
	v_cvt_i32_f32_e32 v8, v5
.LBB87_351:
	s_mov_b32 s35, 0
.LBB87_352:
	s_delay_alu instid0(SALU_CYCLE_1)
	s_and_not1_b32 vcc_lo, exec_lo, s35
	s_cbranch_vccnz .LBB87_363
; %bb.353:
	s_cmp_lt_i32 s0, 6
	s_cbranch_scc1 .LBB87_356
; %bb.354:
	s_cmp_gt_i32 s0, 6
	s_cbranch_scc0 .LBB87_357
; %bb.355:
	s_wait_loadcnt 0x0
	global_load_b64 v[8:9], v[10:11], off
	s_mov_b32 s35, 0
	s_wait_loadcnt 0x0
	v_cvt_i32_f64_e32 v8, v[8:9]
	s_branch .LBB87_358
.LBB87_356:
	s_mov_b32 s35, -1
                                        ; implicit-def: $vgpr8
	s_branch .LBB87_361
.LBB87_357:
	s_mov_b32 s35, -1
                                        ; implicit-def: $vgpr8
.LBB87_358:
	s_delay_alu instid0(SALU_CYCLE_1)
	s_and_not1_b32 vcc_lo, exec_lo, s35
	s_cbranch_vccnz .LBB87_360
; %bb.359:
	global_load_b32 v5, v[10:11], off
	s_wait_loadcnt 0x0
	v_cvt_i32_f32_e32 v8, v5
.LBB87_360:
	s_mov_b32 s35, 0
.LBB87_361:
	s_delay_alu instid0(SALU_CYCLE_1)
	s_and_not1_b32 vcc_lo, exec_lo, s35
	s_cbranch_vccnz .LBB87_363
; %bb.362:
	global_load_u16 v5, v[10:11], off
	s_wait_loadcnt 0x0
	v_cvt_f32_f16_e32 v5, v5
	s_delay_alu instid0(VALU_DEP_1)
	v_cvt_i32_f32_e32 v8, v5
.LBB87_363:
	s_mov_b32 s35, 0
.LBB87_364:
	s_delay_alu instid0(SALU_CYCLE_1)
	s_and_not1_b32 vcc_lo, exec_lo, s35
	s_cbranch_vccnz .LBB87_384
; %bb.365:
	s_cmp_lt_i32 s0, 2
	s_cbranch_scc1 .LBB87_369
; %bb.366:
	s_cmp_lt_i32 s0, 3
	s_cbranch_scc1 .LBB87_370
; %bb.367:
	s_cmp_gt_i32 s0, 3
	s_cbranch_scc0 .LBB87_371
; %bb.368:
	s_wait_loadcnt 0x0
	global_load_b32 v8, v[10:11], off
	s_mov_b32 s35, 0
	s_branch .LBB87_372
.LBB87_369:
	s_mov_b32 s35, -1
                                        ; implicit-def: $vgpr8
	s_branch .LBB87_378
.LBB87_370:
	s_mov_b32 s35, -1
                                        ; implicit-def: $vgpr8
	s_branch .LBB87_375
.LBB87_371:
	s_mov_b32 s35, -1
                                        ; implicit-def: $vgpr8
.LBB87_372:
	s_delay_alu instid0(SALU_CYCLE_1)
	s_and_not1_b32 vcc_lo, exec_lo, s35
	s_cbranch_vccnz .LBB87_374
; %bb.373:
	s_wait_loadcnt 0x0
	global_load_b32 v8, v[10:11], off
.LBB87_374:
	s_mov_b32 s35, 0
.LBB87_375:
	s_delay_alu instid0(SALU_CYCLE_1)
	s_and_not1_b32 vcc_lo, exec_lo, s35
	s_cbranch_vccnz .LBB87_377
; %bb.376:
	s_wait_loadcnt 0x0
	global_load_i16 v8, v[10:11], off
.LBB87_377:
	s_mov_b32 s35, 0
.LBB87_378:
	s_delay_alu instid0(SALU_CYCLE_1)
	s_and_not1_b32 vcc_lo, exec_lo, s35
	s_cbranch_vccnz .LBB87_384
; %bb.379:
	s_cmp_gt_i32 s0, 0
	s_mov_b32 s0, 0
	s_cbranch_scc0 .LBB87_381
; %bb.380:
	s_wait_loadcnt 0x0
	global_load_i8 v8, v[10:11], off
	s_branch .LBB87_382
.LBB87_381:
	s_mov_b32 s0, -1
                                        ; implicit-def: $vgpr8
.LBB87_382:
	s_delay_alu instid0(SALU_CYCLE_1)
	s_and_not1_b32 vcc_lo, exec_lo, s0
	s_cbranch_vccnz .LBB87_384
; %bb.383:
	s_wait_loadcnt 0x0
	global_load_u8 v8, v[10:11], off
.LBB87_384:
	s_mov_b32 s50, -1
.LBB87_385:
	s_delay_alu instid0(SALU_CYCLE_1)
	s_and_not1_b32 vcc_lo, exec_lo, s50
	s_cbranch_vccnz .LBB87_393
; %bb.386:
	v_mov_b32_e32 v7, 0
	s_and_b32 s0, s23, 0xff
	s_delay_alu instid0(SALU_CYCLE_1) | instskip(SKIP_1) | instid1(VALU_DEP_1)
	s_cmp_lt_i32 s0, 11
	s_wait_xcnt 0x0
	v_add_nc_u64_e32 v[10:11], s[28:29], v[6:7]
	s_cbranch_scc1 .LBB87_394
; %bb.387:
	s_and_b32 s35, 0xffff, s0
	s_delay_alu instid0(SALU_CYCLE_1)
	s_cmp_gt_i32 s35, 25
	s_cbranch_scc0 .LBB87_395
; %bb.388:
	s_cmp_gt_i32 s35, 28
	s_cbranch_scc0 .LBB87_396
; %bb.389:
	s_cmp_gt_i32 s35, 43
	s_cbranch_scc0 .LBB87_397
; %bb.390:
	s_cmp_gt_i32 s35, 45
	s_cbranch_scc0 .LBB87_398
; %bb.391:
	s_cmp_eq_u32 s35, 46
	s_mov_b32 s51, 0
	s_cbranch_scc0 .LBB87_399
; %bb.392:
	global_load_b32 v5, v[10:11], off
	s_mov_b32 s50, -1
	s_mov_b32 s81, 0
	s_wait_loadcnt 0x0
	v_lshlrev_b32_e32 v5, 16, v5
	s_delay_alu instid0(VALU_DEP_1)
	v_cvt_i32_f32_e32 v6, v5
	s_branch .LBB87_401
.LBB87_393:
	s_mov_b32 s0, 0
	s_mov_b32 s35, 0
	;; [unrolled: 1-line block ×8, first 2 shown]
	s_branch .LBB87_649
.LBB87_394:
	s_mov_b32 s35, -1
	s_mov_b32 s81, 0
	s_mov_b32 s50, 0
                                        ; implicit-def: $vgpr6
	s_branch .LBB87_462
.LBB87_395:
	s_mov_b32 s51, -1
	s_mov_b32 s81, 0
	s_mov_b32 s50, 0
                                        ; implicit-def: $vgpr6
	s_branch .LBB87_428
.LBB87_396:
	s_mov_b32 s51, -1
	s_mov_b32 s81, 0
	s_mov_b32 s50, 0
                                        ; implicit-def: $vgpr6
	s_branch .LBB87_411
.LBB87_397:
	s_mov_b32 s51, -1
	s_mov_b32 s81, 0
	s_mov_b32 s50, 0
                                        ; implicit-def: $vgpr6
	s_branch .LBB87_406
.LBB87_398:
	s_mov_b32 s51, -1
	s_mov_b32 s81, 0
	s_branch .LBB87_400
.LBB87_399:
	s_mov_b32 s81, -1
.LBB87_400:
	s_mov_b32 s50, 0
                                        ; implicit-def: $vgpr6
.LBB87_401:
	s_and_b32 vcc_lo, exec_lo, s51
	s_cbranch_vccz .LBB87_405
; %bb.402:
	s_cmp_eq_u32 s35, 44
	s_cbranch_scc0 .LBB87_404
; %bb.403:
	global_load_u8 v5, v[10:11], off
	s_mov_b32 s81, 0
	s_mov_b32 s50, -1
	s_wait_loadcnt 0x0
	v_lshlrev_b32_e32 v6, 23, v5
	v_cmp_ne_u32_e32 vcc_lo, 0, v5
	s_delay_alu instid0(VALU_DEP_2) | instskip(NEXT) | instid1(VALU_DEP_1)
	v_cvt_i32_f32_e32 v6, v6
	v_cndmask_b32_e32 v6, 0, v6, vcc_lo
	s_branch .LBB87_405
.LBB87_404:
	s_mov_b32 s81, -1
                                        ; implicit-def: $vgpr6
.LBB87_405:
	s_mov_b32 s51, 0
.LBB87_406:
	s_delay_alu instid0(SALU_CYCLE_1)
	s_and_b32 vcc_lo, exec_lo, s51
	s_cbranch_vccz .LBB87_410
; %bb.407:
	s_cmp_eq_u32 s35, 29
	s_cbranch_scc0 .LBB87_409
; %bb.408:
	global_load_b32 v6, v[10:11], off
	s_mov_b32 s50, -1
	s_mov_b32 s81, 0
	s_branch .LBB87_410
.LBB87_409:
	s_mov_b32 s81, -1
                                        ; implicit-def: $vgpr6
.LBB87_410:
	s_mov_b32 s51, 0
.LBB87_411:
	s_delay_alu instid0(SALU_CYCLE_1)
	s_and_b32 vcc_lo, exec_lo, s51
	s_cbranch_vccz .LBB87_427
; %bb.412:
	s_cmp_lt_i32 s35, 27
	s_cbranch_scc1 .LBB87_415
; %bb.413:
	s_cmp_gt_i32 s35, 27
	s_cbranch_scc0 .LBB87_416
; %bb.414:
	s_wait_loadcnt 0x0
	global_load_b32 v6, v[10:11], off
	s_mov_b32 s50, 0
	s_branch .LBB87_417
.LBB87_415:
	s_mov_b32 s50, -1
                                        ; implicit-def: $vgpr6
	s_branch .LBB87_420
.LBB87_416:
	s_mov_b32 s50, -1
                                        ; implicit-def: $vgpr6
.LBB87_417:
	s_delay_alu instid0(SALU_CYCLE_1)
	s_and_not1_b32 vcc_lo, exec_lo, s50
	s_cbranch_vccnz .LBB87_419
; %bb.418:
	s_wait_loadcnt 0x0
	global_load_u16 v6, v[10:11], off
.LBB87_419:
	s_mov_b32 s50, 0
.LBB87_420:
	s_delay_alu instid0(SALU_CYCLE_1)
	s_and_not1_b32 vcc_lo, exec_lo, s50
	s_cbranch_vccnz .LBB87_426
; %bb.421:
	global_load_u8 v5, v[10:11], off
	s_mov_b32 s51, 0
	s_mov_b32 s4, exec_lo
	s_wait_loadcnt 0x0
	v_cmpx_lt_i16_e32 0x7f, v5
	s_xor_b32 s50, exec_lo, s4
	s_cbranch_execz .LBB87_438
; %bb.422:
	v_cmp_ne_u16_e32 vcc_lo, 0x80, v5
	s_and_b32 s51, vcc_lo, exec_lo
	s_and_not1_saveexec_b32 s50, s50
	s_cbranch_execnz .LBB87_439
.LBB87_423:
	s_or_b32 exec_lo, exec_lo, s50
	v_mov_b32_e32 v6, 0
	s_and_saveexec_b32 s50, s51
	s_cbranch_execz .LBB87_425
.LBB87_424:
	v_and_b32_e32 v6, 0xffff, v5
	s_delay_alu instid0(VALU_DEP_1) | instskip(SKIP_1) | instid1(VALU_DEP_2)
	v_and_b32_e32 v7, 7, v6
	v_bfe_u32 v13, v6, 3, 4
	v_clz_i32_u32_e32 v9, v7
	s_delay_alu instid0(VALU_DEP_2) | instskip(NEXT) | instid1(VALU_DEP_2)
	v_cmp_eq_u32_e32 vcc_lo, 0, v13
	v_min_u32_e32 v9, 32, v9
	s_delay_alu instid0(VALU_DEP_1) | instskip(NEXT) | instid1(VALU_DEP_1)
	v_subrev_nc_u32_e32 v12, 28, v9
	v_dual_lshlrev_b32 v6, v12, v6 :: v_dual_sub_nc_u32 v9, 29, v9
	s_delay_alu instid0(VALU_DEP_1) | instskip(NEXT) | instid1(VALU_DEP_1)
	v_dual_lshlrev_b32 v5, 24, v5 :: v_dual_bitop2_b32 v6, 7, v6 bitop3:0x40
	v_dual_cndmask_b32 v6, v7, v6 :: v_dual_cndmask_b32 v9, v13, v9
	s_delay_alu instid0(VALU_DEP_2) | instskip(NEXT) | instid1(VALU_DEP_2)
	v_and_b32_e32 v5, 0x80000000, v5
	v_lshlrev_b32_e32 v6, 20, v6
	s_delay_alu instid0(VALU_DEP_3) | instskip(NEXT) | instid1(VALU_DEP_1)
	v_lshl_add_u32 v7, v9, 23, 0x3b800000
	v_or3_b32 v5, v5, v7, v6
	s_delay_alu instid0(VALU_DEP_1)
	v_cvt_i32_f32_e32 v6, v5
.LBB87_425:
	s_or_b32 exec_lo, exec_lo, s50
.LBB87_426:
	s_mov_b32 s50, -1
.LBB87_427:
	s_mov_b32 s51, 0
.LBB87_428:
	s_delay_alu instid0(SALU_CYCLE_1)
	s_and_b32 vcc_lo, exec_lo, s51
	s_cbranch_vccz .LBB87_461
; %bb.429:
	s_cmp_gt_i32 s35, 22
	s_cbranch_scc0 .LBB87_437
; %bb.430:
	s_cmp_lt_i32 s35, 24
	s_cbranch_scc1 .LBB87_440
; %bb.431:
	s_cmp_gt_i32 s35, 24
	s_cbranch_scc0 .LBB87_441
; %bb.432:
	global_load_u8 v5, v[10:11], off
	s_mov_b32 s51, 0
	s_mov_b32 s4, exec_lo
	s_wait_loadcnt 0x0
	v_cmpx_lt_i16_e32 0x7f, v5
	s_xor_b32 s50, exec_lo, s4
	s_cbranch_execz .LBB87_453
; %bb.433:
	v_cmp_ne_u16_e32 vcc_lo, 0x80, v5
	s_and_b32 s51, vcc_lo, exec_lo
	s_and_not1_saveexec_b32 s50, s50
	s_cbranch_execnz .LBB87_454
.LBB87_434:
	s_or_b32 exec_lo, exec_lo, s50
	v_mov_b32_e32 v6, 0
	s_and_saveexec_b32 s50, s51
	s_cbranch_execz .LBB87_436
.LBB87_435:
	v_and_b32_e32 v6, 0xffff, v5
	s_delay_alu instid0(VALU_DEP_1) | instskip(SKIP_1) | instid1(VALU_DEP_2)
	v_and_b32_e32 v7, 3, v6
	v_bfe_u32 v13, v6, 2, 5
	v_clz_i32_u32_e32 v9, v7
	s_delay_alu instid0(VALU_DEP_2) | instskip(NEXT) | instid1(VALU_DEP_2)
	v_cmp_eq_u32_e32 vcc_lo, 0, v13
	v_min_u32_e32 v9, 32, v9
	s_delay_alu instid0(VALU_DEP_1) | instskip(NEXT) | instid1(VALU_DEP_1)
	v_subrev_nc_u32_e32 v12, 29, v9
	v_dual_lshlrev_b32 v6, v12, v6 :: v_dual_sub_nc_u32 v9, 30, v9
	s_delay_alu instid0(VALU_DEP_1) | instskip(NEXT) | instid1(VALU_DEP_1)
	v_dual_lshlrev_b32 v5, 24, v5 :: v_dual_bitop2_b32 v6, 3, v6 bitop3:0x40
	v_dual_cndmask_b32 v6, v7, v6 :: v_dual_cndmask_b32 v9, v13, v9
	s_delay_alu instid0(VALU_DEP_2) | instskip(NEXT) | instid1(VALU_DEP_2)
	v_and_b32_e32 v5, 0x80000000, v5
	v_lshlrev_b32_e32 v6, 21, v6
	s_delay_alu instid0(VALU_DEP_3) | instskip(NEXT) | instid1(VALU_DEP_1)
	v_lshl_add_u32 v7, v9, 23, 0x37800000
	v_or3_b32 v5, v5, v7, v6
	s_delay_alu instid0(VALU_DEP_1)
	v_cvt_i32_f32_e32 v6, v5
.LBB87_436:
	s_or_b32 exec_lo, exec_lo, s50
	s_mov_b32 s50, 0
	s_branch .LBB87_442
.LBB87_437:
	s_mov_b32 s51, -1
                                        ; implicit-def: $vgpr6
	s_branch .LBB87_448
.LBB87_438:
	s_and_not1_saveexec_b32 s50, s50
	s_cbranch_execz .LBB87_423
.LBB87_439:
	v_cmp_ne_u16_e32 vcc_lo, 0, v5
	s_and_not1_b32 s4, s51, exec_lo
	s_and_b32 s5, vcc_lo, exec_lo
	s_delay_alu instid0(SALU_CYCLE_1)
	s_or_b32 s51, s4, s5
	s_or_b32 exec_lo, exec_lo, s50
	v_mov_b32_e32 v6, 0
	s_and_saveexec_b32 s50, s51
	s_cbranch_execnz .LBB87_424
	s_branch .LBB87_425
.LBB87_440:
	s_mov_b32 s50, -1
                                        ; implicit-def: $vgpr6
	s_branch .LBB87_445
.LBB87_441:
	s_mov_b32 s50, -1
                                        ; implicit-def: $vgpr6
.LBB87_442:
	s_delay_alu instid0(SALU_CYCLE_1)
	s_and_b32 vcc_lo, exec_lo, s50
	s_cbranch_vccz .LBB87_444
; %bb.443:
	global_load_u8 v5, v[10:11], off
	s_wait_loadcnt 0x0
	v_lshlrev_b32_e32 v5, 24, v5
	s_delay_alu instid0(VALU_DEP_1) | instskip(NEXT) | instid1(VALU_DEP_1)
	v_and_b32_e32 v6, 0x7f000000, v5
	v_clz_i32_u32_e32 v7, v6
	v_add_nc_u32_e32 v12, 0x1000000, v6
	v_cmp_ne_u32_e32 vcc_lo, 0, v6
	s_delay_alu instid0(VALU_DEP_3) | instskip(NEXT) | instid1(VALU_DEP_1)
	v_min_u32_e32 v7, 32, v7
	v_sub_nc_u32_e64 v7, v7, 4 clamp
	s_delay_alu instid0(VALU_DEP_1) | instskip(NEXT) | instid1(VALU_DEP_1)
	v_dual_lshlrev_b32 v9, v7, v6 :: v_dual_lshlrev_b32 v7, 23, v7
	v_lshrrev_b32_e32 v9, 4, v9
	s_delay_alu instid0(VALU_DEP_1) | instskip(NEXT) | instid1(VALU_DEP_1)
	v_dual_sub_nc_u32 v7, v9, v7 :: v_dual_ashrrev_i32 v9, 8, v12
	v_add_nc_u32_e32 v7, 0x3c000000, v7
	s_delay_alu instid0(VALU_DEP_1) | instskip(NEXT) | instid1(VALU_DEP_1)
	v_and_or_b32 v7, 0x7f800000, v9, v7
	v_cndmask_b32_e32 v6, 0, v7, vcc_lo
	s_delay_alu instid0(VALU_DEP_1) | instskip(NEXT) | instid1(VALU_DEP_1)
	v_and_or_b32 v5, 0x80000000, v5, v6
	v_cvt_i32_f32_e32 v6, v5
.LBB87_444:
	s_mov_b32 s50, 0
.LBB87_445:
	s_delay_alu instid0(SALU_CYCLE_1)
	s_and_not1_b32 vcc_lo, exec_lo, s50
	s_cbranch_vccnz .LBB87_447
; %bb.446:
	global_load_u8 v5, v[10:11], off
	s_wait_loadcnt 0x0
	v_lshlrev_b32_e32 v6, 25, v5
	v_lshlrev_b16 v5, 8, v5
	s_delay_alu instid0(VALU_DEP_1) | instskip(NEXT) | instid1(VALU_DEP_3)
	v_and_or_b32 v9, 0x7f00, v5, 0.5
	v_lshrrev_b32_e32 v7, 4, v6
	v_bfe_i32 v5, v5, 0, 16
	s_delay_alu instid0(VALU_DEP_3) | instskip(NEXT) | instid1(VALU_DEP_3)
	v_add_f32_e32 v9, -0.5, v9
	v_or_b32_e32 v7, 0x70000000, v7
	s_delay_alu instid0(VALU_DEP_1) | instskip(SKIP_1) | instid1(VALU_DEP_2)
	v_mul_f32_e32 v7, 0x7800000, v7
	v_cmp_gt_u32_e32 vcc_lo, 0x8000000, v6
	v_cndmask_b32_e32 v6, v7, v9, vcc_lo
	s_delay_alu instid0(VALU_DEP_1) | instskip(NEXT) | instid1(VALU_DEP_1)
	v_and_or_b32 v5, 0x80000000, v5, v6
	v_cvt_i32_f32_e32 v6, v5
.LBB87_447:
	s_mov_b32 s51, 0
	s_mov_b32 s50, -1
.LBB87_448:
	s_and_not1_b32 vcc_lo, exec_lo, s51
	s_cbranch_vccnz .LBB87_461
; %bb.449:
	s_cmp_gt_i32 s35, 14
	s_cbranch_scc0 .LBB87_452
; %bb.450:
	s_cmp_eq_u32 s35, 15
	s_cbranch_scc0 .LBB87_455
; %bb.451:
	global_load_u16 v5, v[10:11], off
	s_mov_b32 s50, -1
	s_mov_b32 s81, 0
	s_wait_loadcnt 0x0
	v_lshlrev_b32_e32 v5, 16, v5
	s_delay_alu instid0(VALU_DEP_1)
	v_cvt_i32_f32_e32 v6, v5
	s_branch .LBB87_456
.LBB87_452:
	s_mov_b32 s51, -1
                                        ; implicit-def: $vgpr6
	s_branch .LBB87_457
.LBB87_453:
	s_and_not1_saveexec_b32 s50, s50
	s_cbranch_execz .LBB87_434
.LBB87_454:
	v_cmp_ne_u16_e32 vcc_lo, 0, v5
	s_and_not1_b32 s4, s51, exec_lo
	s_and_b32 s5, vcc_lo, exec_lo
	s_delay_alu instid0(SALU_CYCLE_1)
	s_or_b32 s51, s4, s5
	s_or_b32 exec_lo, exec_lo, s50
	v_mov_b32_e32 v6, 0
	s_and_saveexec_b32 s50, s51
	s_cbranch_execnz .LBB87_435
	s_branch .LBB87_436
.LBB87_455:
	s_mov_b32 s81, -1
                                        ; implicit-def: $vgpr6
.LBB87_456:
	s_mov_b32 s51, 0
.LBB87_457:
	s_delay_alu instid0(SALU_CYCLE_1)
	s_and_b32 vcc_lo, exec_lo, s51
	s_cbranch_vccz .LBB87_461
; %bb.458:
	s_cmp_eq_u32 s35, 11
	s_cbranch_scc0 .LBB87_460
; %bb.459:
	global_load_u8 v5, v[10:11], off
	s_mov_b32 s81, 0
	s_mov_b32 s50, -1
	s_wait_loadcnt 0x0
	v_cmp_ne_u16_e32 vcc_lo, 0, v5
	v_cndmask_b32_e64 v6, 0, 1, vcc_lo
	s_branch .LBB87_461
.LBB87_460:
	s_mov_b32 s81, -1
                                        ; implicit-def: $vgpr6
.LBB87_461:
	s_mov_b32 s35, 0
.LBB87_462:
	s_delay_alu instid0(SALU_CYCLE_1)
	s_and_b32 vcc_lo, exec_lo, s35
	s_cbranch_vccz .LBB87_511
; %bb.463:
	s_and_b32 s0, 0xffff, s0
	s_delay_alu instid0(SALU_CYCLE_1)
	s_cmp_lt_i32 s0, 5
	s_cbranch_scc1 .LBB87_468
; %bb.464:
	s_cmp_lt_i32 s0, 8
	s_cbranch_scc1 .LBB87_469
; %bb.465:
	;; [unrolled: 3-line block ×3, first 2 shown]
	s_cmp_gt_i32 s0, 9
	s_cbranch_scc0 .LBB87_471
; %bb.467:
	s_wait_loadcnt 0x0
	global_load_b64 v[6:7], v[10:11], off
	s_mov_b32 s35, 0
	s_wait_loadcnt 0x0
	v_cvt_i32_f64_e32 v6, v[6:7]
	s_branch .LBB87_472
.LBB87_468:
	s_mov_b32 s35, -1
                                        ; implicit-def: $vgpr6
	s_branch .LBB87_490
.LBB87_469:
	s_mov_b32 s35, -1
                                        ; implicit-def: $vgpr6
	s_branch .LBB87_478
.LBB87_470:
	s_mov_b32 s35, -1
                                        ; implicit-def: $vgpr6
	s_branch .LBB87_475
.LBB87_471:
	s_mov_b32 s35, -1
                                        ; implicit-def: $vgpr6
.LBB87_472:
	s_delay_alu instid0(SALU_CYCLE_1)
	s_and_not1_b32 vcc_lo, exec_lo, s35
	s_cbranch_vccnz .LBB87_474
; %bb.473:
	global_load_b32 v5, v[10:11], off
	s_wait_loadcnt 0x0
	v_cvt_i32_f32_e32 v6, v5
.LBB87_474:
	s_mov_b32 s35, 0
.LBB87_475:
	s_delay_alu instid0(SALU_CYCLE_1)
	s_and_not1_b32 vcc_lo, exec_lo, s35
	s_cbranch_vccnz .LBB87_477
; %bb.476:
	global_load_b32 v5, v[10:11], off
	s_wait_loadcnt 0x0
	v_cvt_f32_f16_e32 v5, v5
	s_delay_alu instid0(VALU_DEP_1)
	v_cvt_i32_f32_e32 v6, v5
.LBB87_477:
	s_mov_b32 s35, 0
.LBB87_478:
	s_delay_alu instid0(SALU_CYCLE_1)
	s_and_not1_b32 vcc_lo, exec_lo, s35
	s_cbranch_vccnz .LBB87_489
; %bb.479:
	s_cmp_lt_i32 s0, 6
	s_cbranch_scc1 .LBB87_482
; %bb.480:
	s_cmp_gt_i32 s0, 6
	s_cbranch_scc0 .LBB87_483
; %bb.481:
	s_wait_loadcnt 0x0
	global_load_b64 v[6:7], v[10:11], off
	s_mov_b32 s35, 0
	s_wait_loadcnt 0x0
	v_cvt_i32_f64_e32 v6, v[6:7]
	s_branch .LBB87_484
.LBB87_482:
	s_mov_b32 s35, -1
                                        ; implicit-def: $vgpr6
	s_branch .LBB87_487
.LBB87_483:
	s_mov_b32 s35, -1
                                        ; implicit-def: $vgpr6
.LBB87_484:
	s_delay_alu instid0(SALU_CYCLE_1)
	s_and_not1_b32 vcc_lo, exec_lo, s35
	s_cbranch_vccnz .LBB87_486
; %bb.485:
	global_load_b32 v5, v[10:11], off
	s_wait_loadcnt 0x0
	v_cvt_i32_f32_e32 v6, v5
.LBB87_486:
	s_mov_b32 s35, 0
.LBB87_487:
	s_delay_alu instid0(SALU_CYCLE_1)
	s_and_not1_b32 vcc_lo, exec_lo, s35
	s_cbranch_vccnz .LBB87_489
; %bb.488:
	global_load_u16 v5, v[10:11], off
	s_wait_loadcnt 0x0
	v_cvt_f32_f16_e32 v5, v5
	s_delay_alu instid0(VALU_DEP_1)
	v_cvt_i32_f32_e32 v6, v5
.LBB87_489:
	s_mov_b32 s35, 0
.LBB87_490:
	s_delay_alu instid0(SALU_CYCLE_1)
	s_and_not1_b32 vcc_lo, exec_lo, s35
	s_cbranch_vccnz .LBB87_510
; %bb.491:
	s_cmp_lt_i32 s0, 2
	s_cbranch_scc1 .LBB87_495
; %bb.492:
	s_cmp_lt_i32 s0, 3
	s_cbranch_scc1 .LBB87_496
; %bb.493:
	s_cmp_gt_i32 s0, 3
	s_cbranch_scc0 .LBB87_497
; %bb.494:
	s_wait_loadcnt 0x0
	global_load_b32 v6, v[10:11], off
	s_mov_b32 s35, 0
	s_branch .LBB87_498
.LBB87_495:
	s_mov_b32 s35, -1
                                        ; implicit-def: $vgpr6
	s_branch .LBB87_504
.LBB87_496:
	s_mov_b32 s35, -1
                                        ; implicit-def: $vgpr6
	s_branch .LBB87_501
.LBB87_497:
	s_mov_b32 s35, -1
                                        ; implicit-def: $vgpr6
.LBB87_498:
	s_delay_alu instid0(SALU_CYCLE_1)
	s_and_not1_b32 vcc_lo, exec_lo, s35
	s_cbranch_vccnz .LBB87_500
; %bb.499:
	s_wait_loadcnt 0x0
	global_load_b32 v6, v[10:11], off
.LBB87_500:
	s_mov_b32 s35, 0
.LBB87_501:
	s_delay_alu instid0(SALU_CYCLE_1)
	s_and_not1_b32 vcc_lo, exec_lo, s35
	s_cbranch_vccnz .LBB87_503
; %bb.502:
	s_wait_loadcnt 0x0
	global_load_i16 v6, v[10:11], off
.LBB87_503:
	s_mov_b32 s35, 0
.LBB87_504:
	s_delay_alu instid0(SALU_CYCLE_1)
	s_and_not1_b32 vcc_lo, exec_lo, s35
	s_cbranch_vccnz .LBB87_510
; %bb.505:
	s_cmp_gt_i32 s0, 0
	s_mov_b32 s0, 0
	s_cbranch_scc0 .LBB87_507
; %bb.506:
	s_wait_loadcnt 0x0
	global_load_i8 v6, v[10:11], off
	s_branch .LBB87_508
.LBB87_507:
	s_mov_b32 s0, -1
                                        ; implicit-def: $vgpr6
.LBB87_508:
	s_delay_alu instid0(SALU_CYCLE_1)
	s_and_not1_b32 vcc_lo, exec_lo, s0
	s_cbranch_vccnz .LBB87_510
; %bb.509:
	s_wait_loadcnt 0x0
	global_load_u8 v6, v[10:11], off
.LBB87_510:
	s_mov_b32 s50, -1
.LBB87_511:
	s_delay_alu instid0(SALU_CYCLE_1)
	s_and_not1_b32 vcc_lo, exec_lo, s50
	s_cbranch_vccnz .LBB87_519
; %bb.512:
	v_mov_b32_e32 v5, 0
	s_and_b32 s0, s18, 0xff
	s_delay_alu instid0(SALU_CYCLE_1) | instskip(NEXT) | instid1(VALU_DEP_1)
	s_cmp_lt_i32 s0, 11
	v_add_nc_u64_e32 v[4:5], s[30:31], v[4:5]
	s_cbranch_scc1 .LBB87_520
; %bb.513:
	s_and_b32 s35, 0xffff, s0
	s_delay_alu instid0(SALU_CYCLE_1)
	s_cmp_gt_i32 s35, 25
	s_cbranch_scc0 .LBB87_521
; %bb.514:
	s_cmp_gt_i32 s35, 28
	s_cbranch_scc0 .LBB87_522
; %bb.515:
	;; [unrolled: 3-line block ×4, first 2 shown]
	s_cmp_eq_u32 s35, 46
	s_mov_b32 s51, 0
	s_cbranch_scc0 .LBB87_525
; %bb.518:
	global_load_b32 v7, v[4:5], off
	s_mov_b32 s50, -1
	s_mov_b32 s80, 0
	s_wait_loadcnt 0x0
	v_lshlrev_b32_e32 v7, 16, v7
	s_delay_alu instid0(VALU_DEP_1)
	v_cvt_i32_f32_e32 v10, v7
	s_branch .LBB87_527
.LBB87_519:
	s_mov_b32 s0, 0
	s_mov_b32 s35, 0
	;; [unrolled: 1-line block ×7, first 2 shown]
	s_branch .LBB87_649
.LBB87_520:
	s_mov_b32 s35, -1
	s_mov_b32 s80, 0
	s_mov_b32 s50, 0
                                        ; implicit-def: $vgpr10
	s_branch .LBB87_588
.LBB87_521:
	s_mov_b32 s51, -1
	s_mov_b32 s80, 0
	s_mov_b32 s50, 0
                                        ; implicit-def: $vgpr10
	s_branch .LBB87_554
.LBB87_522:
	s_mov_b32 s51, -1
	s_mov_b32 s80, 0
	s_mov_b32 s50, 0
                                        ; implicit-def: $vgpr10
	s_branch .LBB87_537
.LBB87_523:
	s_mov_b32 s51, -1
	s_mov_b32 s80, 0
	s_mov_b32 s50, 0
                                        ; implicit-def: $vgpr10
	s_branch .LBB87_532
.LBB87_524:
	s_mov_b32 s51, -1
	s_mov_b32 s80, 0
	s_branch .LBB87_526
.LBB87_525:
	s_mov_b32 s80, -1
.LBB87_526:
	s_mov_b32 s50, 0
                                        ; implicit-def: $vgpr10
.LBB87_527:
	s_and_b32 vcc_lo, exec_lo, s51
	s_cbranch_vccz .LBB87_531
; %bb.528:
	s_cmp_eq_u32 s35, 44
	s_cbranch_scc0 .LBB87_530
; %bb.529:
	global_load_u8 v7, v[4:5], off
	s_mov_b32 s80, 0
	s_mov_b32 s50, -1
	s_wait_loadcnt 0x0
	v_lshlrev_b32_e32 v9, 23, v7
	v_cmp_ne_u32_e32 vcc_lo, 0, v7
	s_delay_alu instid0(VALU_DEP_2) | instskip(NEXT) | instid1(VALU_DEP_1)
	v_cvt_i32_f32_e32 v9, v9
	v_cndmask_b32_e32 v10, 0, v9, vcc_lo
	s_branch .LBB87_531
.LBB87_530:
	s_mov_b32 s80, -1
                                        ; implicit-def: $vgpr10
.LBB87_531:
	s_mov_b32 s51, 0
.LBB87_532:
	s_delay_alu instid0(SALU_CYCLE_1)
	s_and_b32 vcc_lo, exec_lo, s51
	s_cbranch_vccz .LBB87_536
; %bb.533:
	s_cmp_eq_u32 s35, 29
	s_cbranch_scc0 .LBB87_535
; %bb.534:
	global_load_b32 v10, v[4:5], off
	s_mov_b32 s50, -1
	s_mov_b32 s80, 0
	s_branch .LBB87_536
.LBB87_535:
	s_mov_b32 s80, -1
                                        ; implicit-def: $vgpr10
.LBB87_536:
	s_mov_b32 s51, 0
.LBB87_537:
	s_delay_alu instid0(SALU_CYCLE_1)
	s_and_b32 vcc_lo, exec_lo, s51
	s_cbranch_vccz .LBB87_553
; %bb.538:
	s_cmp_lt_i32 s35, 27
	s_cbranch_scc1 .LBB87_541
; %bb.539:
	s_cmp_gt_i32 s35, 27
	s_cbranch_scc0 .LBB87_542
; %bb.540:
	s_wait_loadcnt 0x0
	global_load_b32 v10, v[4:5], off
	s_mov_b32 s50, 0
	s_branch .LBB87_543
.LBB87_541:
	s_mov_b32 s50, -1
                                        ; implicit-def: $vgpr10
	s_branch .LBB87_546
.LBB87_542:
	s_mov_b32 s50, -1
                                        ; implicit-def: $vgpr10
.LBB87_543:
	s_delay_alu instid0(SALU_CYCLE_1)
	s_and_not1_b32 vcc_lo, exec_lo, s50
	s_cbranch_vccnz .LBB87_545
; %bb.544:
	s_wait_loadcnt 0x0
	global_load_u16 v10, v[4:5], off
.LBB87_545:
	s_mov_b32 s50, 0
.LBB87_546:
	s_delay_alu instid0(SALU_CYCLE_1)
	s_and_not1_b32 vcc_lo, exec_lo, s50
	s_cbranch_vccnz .LBB87_552
; %bb.547:
	global_load_u8 v7, v[4:5], off
	s_mov_b32 s51, 0
	s_mov_b32 s4, exec_lo
	s_wait_loadcnt 0x0
	v_cmpx_lt_i16_e32 0x7f, v7
	s_xor_b32 s50, exec_lo, s4
	s_cbranch_execz .LBB87_564
; %bb.548:
	v_cmp_ne_u16_e32 vcc_lo, 0x80, v7
	s_and_b32 s51, vcc_lo, exec_lo
	s_and_not1_saveexec_b32 s50, s50
	s_cbranch_execnz .LBB87_565
.LBB87_549:
	s_or_b32 exec_lo, exec_lo, s50
	v_mov_b32_e32 v10, 0
	s_and_saveexec_b32 s50, s51
	s_cbranch_execz .LBB87_551
.LBB87_550:
	v_and_b32_e32 v9, 0xffff, v7
	s_delay_alu instid0(VALU_DEP_1) | instskip(SKIP_1) | instid1(VALU_DEP_2)
	v_and_b32_e32 v10, 7, v9
	v_bfe_u32 v13, v9, 3, 4
	v_clz_i32_u32_e32 v11, v10
	s_delay_alu instid0(VALU_DEP_2) | instskip(NEXT) | instid1(VALU_DEP_2)
	v_cmp_eq_u32_e32 vcc_lo, 0, v13
	v_min_u32_e32 v11, 32, v11
	s_delay_alu instid0(VALU_DEP_1) | instskip(NEXT) | instid1(VALU_DEP_1)
	v_subrev_nc_u32_e32 v12, 28, v11
	v_dual_lshlrev_b32 v9, v12, v9 :: v_dual_sub_nc_u32 v11, 29, v11
	s_delay_alu instid0(VALU_DEP_1) | instskip(NEXT) | instid1(VALU_DEP_1)
	v_dual_lshlrev_b32 v7, 24, v7 :: v_dual_bitop2_b32 v9, 7, v9 bitop3:0x40
	v_dual_cndmask_b32 v9, v10, v9, vcc_lo :: v_dual_cndmask_b32 v11, v13, v11, vcc_lo
	s_delay_alu instid0(VALU_DEP_2) | instskip(NEXT) | instid1(VALU_DEP_2)
	v_and_b32_e32 v7, 0x80000000, v7
	v_lshlrev_b32_e32 v9, 20, v9
	s_delay_alu instid0(VALU_DEP_3) | instskip(NEXT) | instid1(VALU_DEP_1)
	v_lshl_add_u32 v10, v11, 23, 0x3b800000
	v_or3_b32 v7, v7, v10, v9
	s_delay_alu instid0(VALU_DEP_1)
	v_cvt_i32_f32_e32 v10, v7
.LBB87_551:
	s_or_b32 exec_lo, exec_lo, s50
.LBB87_552:
	s_mov_b32 s50, -1
.LBB87_553:
	s_mov_b32 s51, 0
.LBB87_554:
	s_delay_alu instid0(SALU_CYCLE_1)
	s_and_b32 vcc_lo, exec_lo, s51
	s_cbranch_vccz .LBB87_587
; %bb.555:
	s_cmp_gt_i32 s35, 22
	s_cbranch_scc0 .LBB87_563
; %bb.556:
	s_cmp_lt_i32 s35, 24
	s_cbranch_scc1 .LBB87_566
; %bb.557:
	s_cmp_gt_i32 s35, 24
	s_cbranch_scc0 .LBB87_567
; %bb.558:
	global_load_u8 v7, v[4:5], off
	s_mov_b32 s51, 0
	s_mov_b32 s4, exec_lo
	s_wait_loadcnt 0x0
	v_cmpx_lt_i16_e32 0x7f, v7
	s_xor_b32 s50, exec_lo, s4
	s_cbranch_execz .LBB87_579
; %bb.559:
	v_cmp_ne_u16_e32 vcc_lo, 0x80, v7
	s_and_b32 s51, vcc_lo, exec_lo
	s_and_not1_saveexec_b32 s50, s50
	s_cbranch_execnz .LBB87_580
.LBB87_560:
	s_or_b32 exec_lo, exec_lo, s50
	v_mov_b32_e32 v10, 0
	s_and_saveexec_b32 s50, s51
	s_cbranch_execz .LBB87_562
.LBB87_561:
	v_and_b32_e32 v9, 0xffff, v7
	s_delay_alu instid0(VALU_DEP_1) | instskip(SKIP_1) | instid1(VALU_DEP_2)
	v_and_b32_e32 v10, 3, v9
	v_bfe_u32 v13, v9, 2, 5
	v_clz_i32_u32_e32 v11, v10
	s_delay_alu instid0(VALU_DEP_2) | instskip(NEXT) | instid1(VALU_DEP_2)
	v_cmp_eq_u32_e32 vcc_lo, 0, v13
	v_min_u32_e32 v11, 32, v11
	s_delay_alu instid0(VALU_DEP_1) | instskip(NEXT) | instid1(VALU_DEP_1)
	v_subrev_nc_u32_e32 v12, 29, v11
	v_dual_lshlrev_b32 v9, v12, v9 :: v_dual_sub_nc_u32 v11, 30, v11
	s_delay_alu instid0(VALU_DEP_1) | instskip(NEXT) | instid1(VALU_DEP_1)
	v_dual_lshlrev_b32 v7, 24, v7 :: v_dual_bitop2_b32 v9, 3, v9 bitop3:0x40
	v_dual_cndmask_b32 v9, v10, v9, vcc_lo :: v_dual_cndmask_b32 v11, v13, v11, vcc_lo
	s_delay_alu instid0(VALU_DEP_2) | instskip(NEXT) | instid1(VALU_DEP_2)
	v_and_b32_e32 v7, 0x80000000, v7
	v_lshlrev_b32_e32 v9, 21, v9
	s_delay_alu instid0(VALU_DEP_3) | instskip(NEXT) | instid1(VALU_DEP_1)
	v_lshl_add_u32 v10, v11, 23, 0x37800000
	v_or3_b32 v7, v7, v10, v9
	s_delay_alu instid0(VALU_DEP_1)
	v_cvt_i32_f32_e32 v10, v7
.LBB87_562:
	s_or_b32 exec_lo, exec_lo, s50
	s_mov_b32 s50, 0
	s_branch .LBB87_568
.LBB87_563:
	s_mov_b32 s51, -1
                                        ; implicit-def: $vgpr10
	s_branch .LBB87_574
.LBB87_564:
	s_and_not1_saveexec_b32 s50, s50
	s_cbranch_execz .LBB87_549
.LBB87_565:
	v_cmp_ne_u16_e32 vcc_lo, 0, v7
	s_and_not1_b32 s4, s51, exec_lo
	s_and_b32 s5, vcc_lo, exec_lo
	s_delay_alu instid0(SALU_CYCLE_1)
	s_or_b32 s51, s4, s5
	s_or_b32 exec_lo, exec_lo, s50
	v_mov_b32_e32 v10, 0
	s_and_saveexec_b32 s50, s51
	s_cbranch_execnz .LBB87_550
	s_branch .LBB87_551
.LBB87_566:
	s_mov_b32 s50, -1
                                        ; implicit-def: $vgpr10
	s_branch .LBB87_571
.LBB87_567:
	s_mov_b32 s50, -1
                                        ; implicit-def: $vgpr10
.LBB87_568:
	s_delay_alu instid0(SALU_CYCLE_1)
	s_and_b32 vcc_lo, exec_lo, s50
	s_cbranch_vccz .LBB87_570
; %bb.569:
	global_load_u8 v7, v[4:5], off
	s_wait_loadcnt 0x0
	v_lshlrev_b32_e32 v7, 24, v7
	s_delay_alu instid0(VALU_DEP_1) | instskip(NEXT) | instid1(VALU_DEP_1)
	v_and_b32_e32 v9, 0x7f000000, v7
	v_clz_i32_u32_e32 v10, v9
	v_cmp_ne_u32_e32 vcc_lo, 0, v9
	v_add_nc_u32_e32 v12, 0x1000000, v9
	s_delay_alu instid0(VALU_DEP_3) | instskip(NEXT) | instid1(VALU_DEP_1)
	v_min_u32_e32 v10, 32, v10
	v_sub_nc_u32_e64 v10, v10, 4 clamp
	s_delay_alu instid0(VALU_DEP_1) | instskip(NEXT) | instid1(VALU_DEP_1)
	v_dual_lshlrev_b32 v11, v10, v9 :: v_dual_lshlrev_b32 v10, 23, v10
	v_lshrrev_b32_e32 v11, 4, v11
	s_delay_alu instid0(VALU_DEP_1) | instskip(NEXT) | instid1(VALU_DEP_1)
	v_dual_sub_nc_u32 v10, v11, v10 :: v_dual_ashrrev_i32 v11, 8, v12
	v_add_nc_u32_e32 v10, 0x3c000000, v10
	s_delay_alu instid0(VALU_DEP_1) | instskip(NEXT) | instid1(VALU_DEP_1)
	v_and_or_b32 v10, 0x7f800000, v11, v10
	v_cndmask_b32_e32 v9, 0, v10, vcc_lo
	s_delay_alu instid0(VALU_DEP_1) | instskip(NEXT) | instid1(VALU_DEP_1)
	v_and_or_b32 v7, 0x80000000, v7, v9
	v_cvt_i32_f32_e32 v10, v7
.LBB87_570:
	s_mov_b32 s50, 0
.LBB87_571:
	s_delay_alu instid0(SALU_CYCLE_1)
	s_and_not1_b32 vcc_lo, exec_lo, s50
	s_cbranch_vccnz .LBB87_573
; %bb.572:
	global_load_u8 v7, v[4:5], off
	s_wait_loadcnt 0x0
	v_lshlrev_b32_e32 v9, 25, v7
	v_lshlrev_b16 v7, 8, v7
	s_delay_alu instid0(VALU_DEP_1) | instskip(NEXT) | instid1(VALU_DEP_3)
	v_and_or_b32 v11, 0x7f00, v7, 0.5
	v_lshrrev_b32_e32 v10, 4, v9
	v_bfe_i32 v7, v7, 0, 16
	s_delay_alu instid0(VALU_DEP_3) | instskip(NEXT) | instid1(VALU_DEP_3)
	v_add_f32_e32 v11, -0.5, v11
	v_or_b32_e32 v10, 0x70000000, v10
	s_delay_alu instid0(VALU_DEP_1) | instskip(SKIP_1) | instid1(VALU_DEP_2)
	v_mul_f32_e32 v10, 0x7800000, v10
	v_cmp_gt_u32_e32 vcc_lo, 0x8000000, v9
	v_cndmask_b32_e32 v9, v10, v11, vcc_lo
	s_delay_alu instid0(VALU_DEP_1) | instskip(NEXT) | instid1(VALU_DEP_1)
	v_and_or_b32 v7, 0x80000000, v7, v9
	v_cvt_i32_f32_e32 v10, v7
.LBB87_573:
	s_mov_b32 s51, 0
	s_mov_b32 s50, -1
.LBB87_574:
	s_and_not1_b32 vcc_lo, exec_lo, s51
	s_cbranch_vccnz .LBB87_587
; %bb.575:
	s_cmp_gt_i32 s35, 14
	s_cbranch_scc0 .LBB87_578
; %bb.576:
	s_cmp_eq_u32 s35, 15
	s_cbranch_scc0 .LBB87_581
; %bb.577:
	global_load_u16 v7, v[4:5], off
	s_mov_b32 s50, -1
	s_mov_b32 s80, 0
	s_wait_loadcnt 0x0
	v_lshlrev_b32_e32 v7, 16, v7
	s_delay_alu instid0(VALU_DEP_1)
	v_cvt_i32_f32_e32 v10, v7
	s_branch .LBB87_582
.LBB87_578:
	s_mov_b32 s51, -1
                                        ; implicit-def: $vgpr10
	s_branch .LBB87_583
.LBB87_579:
	s_and_not1_saveexec_b32 s50, s50
	s_cbranch_execz .LBB87_560
.LBB87_580:
	v_cmp_ne_u16_e32 vcc_lo, 0, v7
	s_and_not1_b32 s4, s51, exec_lo
	s_and_b32 s5, vcc_lo, exec_lo
	s_delay_alu instid0(SALU_CYCLE_1)
	s_or_b32 s51, s4, s5
	s_or_b32 exec_lo, exec_lo, s50
	v_mov_b32_e32 v10, 0
	s_and_saveexec_b32 s50, s51
	s_cbranch_execnz .LBB87_561
	s_branch .LBB87_562
.LBB87_581:
	s_mov_b32 s80, -1
                                        ; implicit-def: $vgpr10
.LBB87_582:
	s_mov_b32 s51, 0
.LBB87_583:
	s_delay_alu instid0(SALU_CYCLE_1)
	s_and_b32 vcc_lo, exec_lo, s51
	s_cbranch_vccz .LBB87_587
; %bb.584:
	s_cmp_eq_u32 s35, 11
	s_cbranch_scc0 .LBB87_586
; %bb.585:
	global_load_u8 v7, v[4:5], off
	s_mov_b32 s80, 0
	s_mov_b32 s50, -1
	s_wait_loadcnt 0x0
	v_cmp_ne_u16_e32 vcc_lo, 0, v7
	v_cndmask_b32_e64 v10, 0, 1, vcc_lo
	s_branch .LBB87_587
.LBB87_586:
	s_mov_b32 s80, -1
                                        ; implicit-def: $vgpr10
.LBB87_587:
	s_mov_b32 s35, 0
.LBB87_588:
	s_delay_alu instid0(SALU_CYCLE_1)
	s_and_b32 vcc_lo, exec_lo, s35
	s_cbranch_vccz .LBB87_637
; %bb.589:
	s_and_b32 s0, 0xffff, s0
	s_delay_alu instid0(SALU_CYCLE_1)
	s_cmp_lt_i32 s0, 5
	s_cbranch_scc1 .LBB87_594
; %bb.590:
	s_cmp_lt_i32 s0, 8
	s_cbranch_scc1 .LBB87_595
; %bb.591:
	;; [unrolled: 3-line block ×3, first 2 shown]
	s_cmp_gt_i32 s0, 9
	s_cbranch_scc0 .LBB87_597
; %bb.593:
	s_wait_loadcnt 0x0
	global_load_b64 v[10:11], v[4:5], off
	s_mov_b32 s35, 0
	s_wait_loadcnt 0x0
	v_cvt_i32_f64_e32 v10, v[10:11]
	s_branch .LBB87_598
.LBB87_594:
	s_mov_b32 s35, -1
                                        ; implicit-def: $vgpr10
	s_branch .LBB87_616
.LBB87_595:
	s_mov_b32 s35, -1
                                        ; implicit-def: $vgpr10
	s_branch .LBB87_604
.LBB87_596:
	s_mov_b32 s35, -1
                                        ; implicit-def: $vgpr10
	s_branch .LBB87_601
.LBB87_597:
	s_mov_b32 s35, -1
                                        ; implicit-def: $vgpr10
.LBB87_598:
	s_delay_alu instid0(SALU_CYCLE_1)
	s_and_not1_b32 vcc_lo, exec_lo, s35
	s_cbranch_vccnz .LBB87_600
; %bb.599:
	global_load_b32 v7, v[4:5], off
	s_wait_loadcnt 0x0
	v_cvt_i32_f32_e32 v10, v7
.LBB87_600:
	s_mov_b32 s35, 0
.LBB87_601:
	s_delay_alu instid0(SALU_CYCLE_1)
	s_and_not1_b32 vcc_lo, exec_lo, s35
	s_cbranch_vccnz .LBB87_603
; %bb.602:
	global_load_b32 v7, v[4:5], off
	s_wait_loadcnt 0x0
	v_cvt_f32_f16_e32 v7, v7
	s_delay_alu instid0(VALU_DEP_1)
	v_cvt_i32_f32_e32 v10, v7
.LBB87_603:
	s_mov_b32 s35, 0
.LBB87_604:
	s_delay_alu instid0(SALU_CYCLE_1)
	s_and_not1_b32 vcc_lo, exec_lo, s35
	s_cbranch_vccnz .LBB87_615
; %bb.605:
	s_cmp_lt_i32 s0, 6
	s_cbranch_scc1 .LBB87_608
; %bb.606:
	s_cmp_gt_i32 s0, 6
	s_cbranch_scc0 .LBB87_609
; %bb.607:
	s_wait_loadcnt 0x0
	global_load_b64 v[10:11], v[4:5], off
	s_mov_b32 s35, 0
	s_wait_loadcnt 0x0
	v_cvt_i32_f64_e32 v10, v[10:11]
	s_branch .LBB87_610
.LBB87_608:
	s_mov_b32 s35, -1
                                        ; implicit-def: $vgpr10
	s_branch .LBB87_613
.LBB87_609:
	s_mov_b32 s35, -1
                                        ; implicit-def: $vgpr10
.LBB87_610:
	s_delay_alu instid0(SALU_CYCLE_1)
	s_and_not1_b32 vcc_lo, exec_lo, s35
	s_cbranch_vccnz .LBB87_612
; %bb.611:
	global_load_b32 v7, v[4:5], off
	s_wait_loadcnt 0x0
	v_cvt_i32_f32_e32 v10, v7
.LBB87_612:
	s_mov_b32 s35, 0
.LBB87_613:
	s_delay_alu instid0(SALU_CYCLE_1)
	s_and_not1_b32 vcc_lo, exec_lo, s35
	s_cbranch_vccnz .LBB87_615
; %bb.614:
	global_load_u16 v7, v[4:5], off
	s_wait_loadcnt 0x0
	v_cvt_f32_f16_e32 v7, v7
	s_delay_alu instid0(VALU_DEP_1)
	v_cvt_i32_f32_e32 v10, v7
.LBB87_615:
	s_mov_b32 s35, 0
.LBB87_616:
	s_delay_alu instid0(SALU_CYCLE_1)
	s_and_not1_b32 vcc_lo, exec_lo, s35
	s_cbranch_vccnz .LBB87_636
; %bb.617:
	s_cmp_lt_i32 s0, 2
	s_cbranch_scc1 .LBB87_621
; %bb.618:
	s_cmp_lt_i32 s0, 3
	s_cbranch_scc1 .LBB87_622
; %bb.619:
	s_cmp_gt_i32 s0, 3
	s_cbranch_scc0 .LBB87_623
; %bb.620:
	s_wait_loadcnt 0x0
	global_load_b32 v10, v[4:5], off
	s_mov_b32 s35, 0
	s_branch .LBB87_624
.LBB87_621:
	s_mov_b32 s35, -1
                                        ; implicit-def: $vgpr10
	s_branch .LBB87_630
.LBB87_622:
	s_mov_b32 s35, -1
                                        ; implicit-def: $vgpr10
	s_branch .LBB87_627
.LBB87_623:
	s_mov_b32 s35, -1
                                        ; implicit-def: $vgpr10
.LBB87_624:
	s_delay_alu instid0(SALU_CYCLE_1)
	s_and_not1_b32 vcc_lo, exec_lo, s35
	s_cbranch_vccnz .LBB87_626
; %bb.625:
	s_wait_loadcnt 0x0
	global_load_b32 v10, v[4:5], off
.LBB87_626:
	s_mov_b32 s35, 0
.LBB87_627:
	s_delay_alu instid0(SALU_CYCLE_1)
	s_and_not1_b32 vcc_lo, exec_lo, s35
	s_cbranch_vccnz .LBB87_629
; %bb.628:
	s_wait_loadcnt 0x0
	global_load_i16 v10, v[4:5], off
.LBB87_629:
	s_mov_b32 s35, 0
.LBB87_630:
	s_delay_alu instid0(SALU_CYCLE_1)
	s_and_not1_b32 vcc_lo, exec_lo, s35
	s_cbranch_vccnz .LBB87_636
; %bb.631:
	s_cmp_gt_i32 s0, 0
	s_mov_b32 s0, 0
	s_cbranch_scc0 .LBB87_633
; %bb.632:
	s_wait_loadcnt 0x0
	global_load_i8 v10, v[4:5], off
	s_branch .LBB87_634
.LBB87_633:
	s_mov_b32 s0, -1
                                        ; implicit-def: $vgpr10
.LBB87_634:
	s_delay_alu instid0(SALU_CYCLE_1)
	s_and_not1_b32 vcc_lo, exec_lo, s0
	s_cbranch_vccnz .LBB87_636
; %bb.635:
	s_wait_loadcnt 0x0
	global_load_u8 v10, v[4:5], off
.LBB87_636:
	s_mov_b32 s50, -1
.LBB87_637:
	s_delay_alu instid0(SALU_CYCLE_1)
	s_and_not1_b32 vcc_lo, exec_lo, s50
	s_cbranch_vccnz .LBB87_648
; %bb.638:
	s_wait_loadcnt 0x0
	v_cmp_eq_u32_e32 vcc_lo, s38, v1
	s_mov_b32 s35, -1
	s_mov_b32 s0, 0
	s_mov_b32 s50, 0
	;; [unrolled: 1-line block ×3, first 2 shown]
	s_and_b32 s4, s66, vcc_lo
	s_mov_b32 s52, 0
	s_mov_b32 s53, 0
	s_and_saveexec_b32 s77, s4
	s_cbranch_execz .LBB87_4034
; %bb.639:
	v_cmp_eq_u32_e32 vcc_lo, s70, v3
	s_and_b32 s4, s45, vcc_lo
	s_delay_alu instid0(SALU_CYCLE_1)
	s_and_saveexec_b32 s78, s4
	s_cbranch_execz .LBB87_1959
; %bb.640:
	v_sub_nc_u32_e32 v1, v6, v8
	s_delay_alu instid0(VALU_DEP_1) | instskip(SKIP_4) | instid1(SALU_CYCLE_1)
	v_cmp_le_i32_e32 vcc_lo, s38, v1
	v_cmp_ge_i32_e64 s0, s68, v1
	s_and_b32 s4, vcc_lo, s0
	s_mov_b32 s0, 0
	s_and_b32 s4, s16, s4
	s_and_saveexec_b32 s79, s4
	s_cbranch_execz .LBB87_1958
; %bb.641:
	v_mov_b64_e32 v[4:5], 0
	s_and_not1_b32 vcc_lo, exec_lo, s17
	s_cbranch_vccnz .LBB87_689
; %bb.642:
	v_ashrrev_i32_e32 v11, 31, v10
	s_mov_b32 s35, s51
	v_mov_b64_e32 v[4:5], 0
	s_lshl_b64 s[4:5], s[34:35], 3
	s_mov_b64 s[52:53], 0xffffffff
	v_mul_u64_e32 v[12:13], s[70:71], v[10:11]
	v_mov_b32_e32 v10, 0
	s_add_nc_u64 s[4:5], s[2:3], s[4:5]
	s_mov_b32 s35, s25
	s_add_nc_u64 s[54:55], s[4:5], 0x298
	s_branch .LBB87_644
.LBB87_643:                             ;   in Loop: Header=BB87_644 Depth=1
	s_or_b32 exec_lo, exec_lo, s0
	s_delay_alu instid0(VALU_DEP_1)
	v_mul_u64_e32 v[16:17], s[56:57], v[14:15]
	s_load_b64 s[4:5], s[54:55], 0x40
	s_add_co_i32 s35, s35, -1
	s_wait_xcnt 0x0
	s_add_nc_u64 s[54:55], s[54:55], -8
	s_cmp_eq_u32 s35, 0
	s_delay_alu instid0(VALU_DEP_1) | instskip(SKIP_1) | instid1(VALU_DEP_1)
	v_sub_nc_u64_e32 v[12:13], v[12:13], v[16:17]
	s_wait_kmcnt 0x0
	v_mad_nc_u64_u32 v[4:5], v12, s4, v[4:5]
	s_delay_alu instid0(VALU_DEP_1) | instskip(NEXT) | instid1(VALU_DEP_1)
	v_mad_u32 v1, v13, s4, v5
	v_mad_u32 v5, v12, s5, v1
	v_mov_b64_e32 v[12:13], v[14:15]
	s_cbranch_scc1 .LBB87_689
.LBB87_644:                             ; =>This Inner Loop Header: Depth=1
	s_load_b64 s[56:57], s[54:55], 0x0
                                        ; implicit-def: $vgpr14_vgpr15
	s_mov_b32 s0, exec_lo
	s_wait_kmcnt 0x0
	s_delay_alu instid0(VALU_DEP_1) | instskip(NEXT) | instid1(VALU_DEP_1)
	v_or_b32_e32 v11, s57, v13
	v_cmpx_ne_u64_e32 0, v[10:11]
	s_xor_b32 s67, exec_lo, s0
	s_cbranch_execz .LBB87_646
; %bb.645:                              ;   in Loop: Header=BB87_644 Depth=1
	s_ashr_i32 s58, s57, 31
	s_mov_b64 s[14:15], s[70:71]
	s_mov_b32 s59, s58
	s_mov_b32 s12, s68
	s_add_nc_u64 s[4:5], s[56:57], s[58:59]
	s_mov_b64 s[70:71], s[42:43]
	s_xor_b64 s[60:61], s[4:5], s[58:59]
	s_mov_b32 s68, s40
	s_cvt_f32_u32 s0, s60
	s_cvt_f32_u32 s4, s61
	s_sub_nc_u64 s[6:7], 0, s[60:61]
	s_mov_b64 s[42:43], s[30:31]
	s_mov_b64 s[40:41], s[28:29]
	s_fmamk_f32 s0, s4, 0x4f800000, s0
	v_dual_mov_b32 v19, v10 :: v_dual_ashrrev_i32 v14, 31, v13
	v_mov_b32_e32 v27, v10
	s_delay_alu instid0(SALU_CYCLE_1) | instskip(NEXT) | instid1(VALU_DEP_2)
	v_s_rcp_f32 s0, s0
	v_mov_b32_e32 v15, v14
	s_delay_alu instid0(VALU_DEP_1) | instskip(NEXT) | instid1(TRANS32_DEP_1)
	v_add_nc_u64_e32 v[16:17], v[12:13], v[14:15]
	s_mul_f32 s0, s0, 0x5f7ffffc
	v_mov_b32_e32 v23, v10
	s_delay_alu instid0(SALU_CYCLE_2) | instskip(NEXT) | instid1(VALU_DEP_2)
	s_mul_f32 s4, s0, 0x2f800000
	v_xor_b32_e32 v18, v16, v14
	s_delay_alu instid0(VALU_DEP_3) | instskip(NEXT) | instid1(SALU_CYCLE_1)
	v_xor_b32_e32 v22, v17, v14
	s_trunc_f32 s4, s4
	s_delay_alu instid0(SALU_CYCLE_3) | instskip(SKIP_1) | instid1(SALU_CYCLE_2)
	s_fmamk_f32 s0, s4, 0xcf800000, s0
	s_cvt_u32_f32 s5, s4
	s_cvt_u32_f32 s4, s0
	s_delay_alu instid0(SALU_CYCLE_3) | instskip(NEXT) | instid1(SALU_CYCLE_1)
	s_mul_u64 s[8:9], s[6:7], s[4:5]
	s_mul_hi_u32 s11, s4, s9
	s_mul_i32 s10, s4, s9
	s_mul_hi_u32 s50, s4, s8
	s_mul_i32 s28, s5, s8
	s_add_nc_u64 s[10:11], s[50:51], s[10:11]
	s_mul_hi_u32 s0, s5, s8
	s_mul_hi_u32 s29, s5, s9
	s_mul_i32 s8, s5, s9
	s_add_co_u32 s9, s10, s28
	s_add_co_ci_u32 s50, s11, s0
	s_add_co_ci_u32 s9, s29, 0
	s_mov_b64 s[28:29], s[40:41]
	s_add_nc_u64 s[8:9], s[50:51], s[8:9]
	s_mov_b64 s[30:31], s[42:43]
	s_add_co_u32 s4, s4, s8
	s_cselect_b32 s0, -1, 0
	s_mov_b64 s[42:43], s[70:71]
	s_cmp_lg_u32 s0, 0
	s_mov_b32 s40, s68
	s_add_co_ci_u32 s5, s5, s9
	s_mov_b64 s[70:71], s[14:15]
	s_mul_u64 s[6:7], s[6:7], s[4:5]
	s_mov_b32 s68, s12
	s_mul_hi_u32 s9, s4, s7
	s_mul_i32 s8, s4, s7
	s_mul_hi_u32 s50, s4, s6
	s_mul_i32 s10, s5, s6
	s_add_nc_u64 s[8:9], s[50:51], s[8:9]
	s_mul_hi_u32 s0, s5, s6
	s_mul_hi_u32 s11, s5, s7
	s_mul_i32 s6, s5, s7
	s_add_co_u32 s7, s8, s10
	s_add_co_ci_u32 s50, s9, s0
	s_add_co_ci_u32 s7, s11, 0
	s_delay_alu instid0(SALU_CYCLE_1) | instskip(NEXT) | instid1(SALU_CYCLE_1)
	s_add_nc_u64 s[6:7], s[50:51], s[6:7]
	s_add_co_u32 s0, s4, s6
	s_cselect_b32 s4, -1, 0
	v_mul_hi_u32 v26, v18, s0
	s_cmp_lg_u32 s4, 0
	s_add_co_ci_u32 s50, s5, s7
	s_and_b64 s[4:5], s[0:1], s[52:53]
	v_mul_u64_e32 v[20:21], s[50:51], v[18:19]
	v_mul_u64_e32 v[16:17], s[4:5], v[22:23]
	;; [unrolled: 1-line block ×3, first 2 shown]
	s_delay_alu instid0(VALU_DEP_3) | instskip(NEXT) | instid1(VALU_DEP_1)
	v_add_nc_u64_e32 v[20:21], v[26:27], v[20:21]
	v_add_co_u32 v1, vcc_lo, v20, v16
	s_delay_alu instid0(VALU_DEP_2) | instskip(NEXT) | instid1(VALU_DEP_4)
	v_add_co_ci_u32_e32 v26, vcc_lo, v21, v17, vcc_lo
	v_add_co_ci_u32_e32 v25, vcc_lo, 0, v25, vcc_lo
	s_delay_alu instid0(VALU_DEP_1) | instskip(NEXT) | instid1(VALU_DEP_1)
	v_add_nc_u64_e32 v[16:17], v[26:27], v[24:25]
	v_mul_u64_e32 v[20:21], s[60:61], v[16:17]
	s_delay_alu instid0(VALU_DEP_1) | instskip(NEXT) | instid1(VALU_DEP_2)
	v_sub_nc_u32_e32 v1, v22, v21
	v_sub_co_u32 v3, vcc_lo, v18, v20
	s_delay_alu instid0(VALU_DEP_1) | instskip(NEXT) | instid1(VALU_DEP_3)
	v_sub_co_ci_u32_e64 v9, null, v22, v21, vcc_lo
	v_subrev_co_ci_u32_e64 v1, null, s61, v1, vcc_lo
	s_delay_alu instid0(VALU_DEP_3) | instskip(SKIP_1) | instid1(VALU_DEP_3)
	v_sub_co_u32 v7, s0, v3, s60
	v_add_nc_u64_e32 v[18:19], 2, v[16:17]
	v_subrev_co_ci_u32_e64 v1, null, 0, v1, s0
	s_delay_alu instid0(VALU_DEP_3) | instskip(SKIP_2) | instid1(VALU_DEP_4)
	v_cmp_le_u32_e32 vcc_lo, s60, v7
	v_add_nc_u64_e32 v[20:21], 1, v[16:17]
	v_cndmask_b32_e64 v7, 0, -1, vcc_lo
	v_cmp_le_u32_e32 vcc_lo, s61, v1
	v_cndmask_b32_e64 v11, 0, -1, vcc_lo
	v_cmp_le_u32_e32 vcc_lo, s60, v3
	;; [unrolled: 2-line block ×3, first 2 shown]
	v_cndmask_b32_e64 v15, 0, -1, vcc_lo
	v_cmp_eq_u32_e32 vcc_lo, s61, v1
	v_cndmask_b32_e32 v1, v11, v7, vcc_lo
	v_cmp_eq_u32_e32 vcc_lo, s61, v9
	s_delay_alu instid0(VALU_DEP_4) | instskip(NEXT) | instid1(VALU_DEP_3)
	v_cndmask_b32_e32 v3, v15, v3, vcc_lo
	v_cmp_ne_u32_e32 vcc_lo, 0, v1
	s_delay_alu instid0(VALU_DEP_2) | instskip(SKIP_1) | instid1(VALU_DEP_1)
	v_cmp_ne_u32_e64 s0, 0, v3
	v_dual_cndmask_b32 v1, v21, v19, vcc_lo :: v_dual_cndmask_b32 v3, v20, v18, vcc_lo
	v_dual_cndmask_b32 v1, v17, v1, s0 :: v_dual_bitop2_b32 v14, s58, v14 bitop3:0x14
	s_delay_alu instid0(VALU_DEP_1) | instskip(NEXT) | instid1(VALU_DEP_2)
	v_dual_cndmask_b32 v3, v16, v3, s0 :: v_dual_mov_b32 v15, v14
	v_xor_b32_e32 v17, v1, v14
	s_delay_alu instid0(VALU_DEP_2) | instskip(NEXT) | instid1(VALU_DEP_1)
	v_xor_b32_e32 v16, v3, v14
	v_sub_nc_u64_e32 v[14:15], v[16:17], v[14:15]
.LBB87_646:                             ;   in Loop: Header=BB87_644 Depth=1
	s_and_not1_saveexec_b32 s0, s67
	s_cbranch_execz .LBB87_643
; %bb.647:                              ;   in Loop: Header=BB87_644 Depth=1
	v_cvt_f32_u32_e32 v1, s56
	s_sub_co_i32 s4, 0, s56
	v_mov_b32_e32 v15, v10
	s_delay_alu instid0(VALU_DEP_2) | instskip(SKIP_1) | instid1(TRANS32_DEP_1)
	v_rcp_iflag_f32_e32 v1, v1
	v_nop
	v_mul_f32_e32 v1, 0x4f7ffffe, v1
	s_delay_alu instid0(VALU_DEP_1) | instskip(NEXT) | instid1(VALU_DEP_1)
	v_cvt_u32_f32_e32 v1, v1
	v_mul_lo_u32 v3, s4, v1
	s_delay_alu instid0(VALU_DEP_1) | instskip(NEXT) | instid1(VALU_DEP_1)
	v_mul_hi_u32 v3, v1, v3
	v_add_nc_u32_e32 v1, v1, v3
	s_delay_alu instid0(VALU_DEP_1) | instskip(NEXT) | instid1(VALU_DEP_1)
	v_mul_hi_u32 v1, v12, v1
	v_mul_lo_u32 v3, v1, s56
	s_delay_alu instid0(VALU_DEP_1) | instskip(NEXT) | instid1(VALU_DEP_1)
	v_dual_add_nc_u32 v7, 1, v1 :: v_dual_sub_nc_u32 v3, v12, v3
	v_subrev_nc_u32_e32 v9, s56, v3
	v_cmp_le_u32_e32 vcc_lo, s56, v3
	s_delay_alu instid0(VALU_DEP_2) | instskip(NEXT) | instid1(VALU_DEP_1)
	v_dual_cndmask_b32 v3, v3, v9, vcc_lo :: v_dual_cndmask_b32 v1, v1, v7, vcc_lo
	v_cmp_le_u32_e32 vcc_lo, s56, v3
	s_delay_alu instid0(VALU_DEP_2) | instskip(NEXT) | instid1(VALU_DEP_1)
	v_add_nc_u32_e32 v7, 1, v1
	v_cndmask_b32_e32 v14, v1, v7, vcc_lo
	s_branch .LBB87_643
.LBB87_648:
	s_mov_b32 s0, 0
	s_mov_b32 s35, 0
	;; [unrolled: 1-line block ×6, first 2 shown]
.LBB87_649:
                                        ; implicit-def: $vgpr0
.LBB87_650:
	s_delay_alu instid0(SALU_CYCLE_1)
	s_and_b32 s60, s53, exec_lo
	s_and_b32 s61, s52, exec_lo
	;; [unrolled: 1-line block ×10, first 2 shown]
	s_or_not1_b32 s50, s0, exec_lo
.LBB87_651:
	s_wait_xcnt 0x0
	s_or_b32 exec_lo, exec_lo, s85
	s_mov_b32 s51, 0
	s_mov_b32 s35, 0
                                        ; implicit-def: $sgpr0
                                        ; implicit-def: $vgpr12_vgpr13
                                        ; implicit-def: $vgpr2
                                        ; implicit-def: $vgpr8
                                        ; implicit-def: $vgpr10
                                        ; implicit-def: $vgpr4
                                        ; implicit-def: $vgpr6
                                        ; implicit-def: $vgpr3
	s_and_saveexec_b32 s85, s50
	s_cbranch_execz .LBB87_660
; %bb.652:
	s_mov_b32 s35, -1
	s_mov_b32 s86, s84
	s_mov_b32 s88, s83
	;; [unrolled: 1-line block ×10, first 2 shown]
	s_mov_b32 s96, exec_lo
	v_cmpx_gt_i32_e64 s75, v0
	s_cbranch_execz .LBB87_1326
; %bb.653:
	s_and_not1_b32 vcc_lo, exec_lo, s64
	s_cbranch_vccnz .LBB87_663
; %bb.654:
	s_and_not1_b32 vcc_lo, exec_lo, s13
	s_cbranch_vccnz .LBB87_664
; %bb.655:
	s_wait_loadcnt 0x0
	v_dual_mov_b32 v6, 0 :: v_dual_mov_b32 v1, v0
	v_dual_mov_b32 v4, 0 :: v_dual_mov_b32 v10, 0
	;; [unrolled: 1-line block ×3, first 2 shown]
	v_mov_b32_e32 v12, 0
	s_add_co_i32 s0, s74, 1
	s_mov_b64 s[4:5], 0xffffffffffffffd0
	s_mov_b64 s[58:59], s[42:43]
	s_mov_b32 s56, s40
	s_mov_b64 s[42:43], s[30:31]
	s_mov_b64 s[40:41], s[28:29]
	s_and_b32 s0, s0, 30
	s_add_nc_u64 s[50:51], s[2:3], s[4:5]
	s_mov_b64 s[52:53], s[2:3]
.LBB87_656:                             ; =>This Inner Loop Header: Depth=1
	s_clause 0x1
	s_load_b128 s[4:7], s[52:53], 0x4
	s_load_b64 s[28:29], s[52:53], 0x14
	s_clause 0x1
	s_load_b256 s[88:95], s[50:51], 0xf4
	s_load_b128 s[8:11], s[50:51], 0x114
	s_add_co_i32 s0, s0, -2
	s_wait_xcnt 0x0
	s_add_nc_u64 s[52:53], s[52:53], 24
	s_cmp_eq_u32 s0, 0
	s_add_nc_u64 s[50:51], s[50:51], 48
	s_wait_kmcnt 0x0
	v_mul_hi_u32 v3, s5, v1
	s_delay_alu instid0(VALU_DEP_1) | instskip(NEXT) | instid1(VALU_DEP_1)
	v_add_nc_u32_e32 v3, v1, v3
	v_lshrrev_b32_e32 v3, s6, v3
	s_delay_alu instid0(VALU_DEP_1) | instskip(SKIP_1) | instid1(VALU_DEP_1)
	v_mul_hi_u32 v5, s28, v3
	v_mul_lo_u32 v7, v3, s4
	v_dual_add_nc_u32 v5, v3, v5 :: v_dual_sub_nc_u32 v7, v1, v7
	s_delay_alu instid0(VALU_DEP_1) | instskip(NEXT) | instid1(VALU_DEP_2)
	v_lshrrev_b32_e32 v1, s29, v5
	v_mad_u32 v5, v7, s89, v12
	v_mad_u32 v2, v7, s88, v2
	v_mad_u32 v8, v7, s91, v8
	v_mad_u32 v10, v7, s90, v10
	v_mul_lo_u32 v9, v1, s7
	v_mad_u32 v4, s93, v7, v4
	v_mad_u32 v6, s92, v7, v6
	s_delay_alu instid0(VALU_DEP_3) | instskip(NEXT) | instid1(VALU_DEP_1)
	v_sub_nc_u32_e32 v3, v3, v9
	v_mad_u32 v12, v3, s95, v5
	v_mad_u32 v2, v3, s94, v2
	;; [unrolled: 1-line block ×6, first 2 shown]
	s_cbranch_scc0 .LBB87_656
; %bb.657:
	s_bitcmp1_b32 s74, 0
	s_cselect_b32 s0, -1, 0
	s_delay_alu instid0(SALU_CYCLE_1)
	s_and_b32 vcc_lo, exec_lo, s0
	s_cbranch_vccnz .LBB87_659
; %bb.658:
	s_load_b96 s[8:10], s[52:53], 0x4
	s_wait_kmcnt 0x0
	v_mul_hi_u32 v3, s9, v1
	s_delay_alu instid0(VALU_DEP_1) | instskip(NEXT) | instid1(VALU_DEP_1)
	v_add_nc_u32_e32 v3, v1, v3
	v_lshrrev_b32_e32 v3, s10, v3
	s_clause 0x1
	s_load_b128 s[4:7], s[50:51], 0xf4
	s_load_b64 s[10:11], s[50:51], 0x104
	s_delay_alu instid0(VALU_DEP_1) | instskip(NEXT) | instid1(VALU_DEP_1)
	v_mul_lo_u32 v3, v3, s8
	v_sub_nc_u32_e32 v1, v1, v3
	s_wait_kmcnt 0x0
	s_delay_alu instid0(VALU_DEP_1)
	v_mad_u32 v2, v1, s4, v2
	v_mad_u32 v12, v1, s5, v12
	v_mad_u32 v10, v1, s6, v10
	v_mad_u32 v8, v1, s7, v8
	v_mad_u32 v6, s10, v1, v6
	v_mad_u32 v4, s11, v1, v4
.LBB87_659:
	s_mov_b64 s[28:29], s[40:41]
	s_mov_b64 s[30:31], s[42:43]
	;; [unrolled: 1-line block ×3, first 2 shown]
	s_mov_b32 s40, s56
	s_cbranch_execnz .LBB87_667
	s_branch .LBB87_665
.LBB87_660:
	s_or_b32 exec_lo, exec_lo, s85
	s_mov_b32 s1, 0
	s_and_saveexec_b32 s6, s84
	s_cbranch_execnz .LBB87_2193
.LBB87_661:
	s_or_b32 exec_lo, exec_lo, s6
	s_and_saveexec_b32 s4, s47
	s_delay_alu instid0(SALU_CYCLE_1)
	s_xor_b32 s6, exec_lo, s4
	s_cbranch_execz .LBB87_2194
.LBB87_662:
	global_load_u8 v0, v[12:13], off
	s_or_b32 s35, s35, exec_lo
	s_wait_loadcnt 0x0
	v_cmp_ne_u16_e32 vcc_lo, 0, v0
	v_cndmask_b32_e64 v3, 0, 1, vcc_lo
	s_wait_xcnt 0x0
	s_or_b32 exec_lo, exec_lo, s6
	s_and_saveexec_b32 s6, s51
	s_cbranch_execz .LBB87_2240
	s_branch .LBB87_2195
.LBB87_663:
                                        ; implicit-def: $vgpr12
                                        ; implicit-def: $vgpr2
                                        ; implicit-def: $vgpr8
                                        ; implicit-def: $vgpr10
                                        ; implicit-def: $vgpr4
                                        ; implicit-def: $vgpr6
	s_branch .LBB87_665
.LBB87_664:
	v_dual_mov_b32 v12, 0 :: v_dual_mov_b32 v2, 0
	s_wait_loadcnt 0x0
	v_dual_mov_b32 v8, 0 :: v_dual_mov_b32 v10, 0
	v_dual_mov_b32 v4, 0 :: v_dual_mov_b32 v6, 0
	s_cbranch_execnz .LBB87_667
.LBB87_665:
	s_wait_loadcnt 0x0
	v_mov_b32_e32 v1, 0
	s_load_b256 s[4:11], s[2:3], 0xc4
	s_and_not1_b32 vcc_lo, exec_lo, s73
	s_delay_alu instid0(VALU_DEP_1) | instskip(NEXT) | instid1(VALU_DEP_1)
	v_mul_u64_e32 v[2:3], s[46:47], v[0:1]
	v_add_nc_u32_e32 v2, v0, v3
	s_delay_alu instid0(VALU_DEP_1) | instskip(NEXT) | instid1(VALU_DEP_1)
	v_lshrrev_b32_e32 v14, s42, v2
	v_mul_lo_u32 v2, v14, s40
	s_delay_alu instid0(VALU_DEP_1) | instskip(SKIP_1) | instid1(VALU_DEP_1)
	v_sub_nc_u32_e32 v3, v0, v2
	s_wait_kmcnt 0x0
	v_mul_lo_u32 v12, v3, s5
	v_mul_lo_u32 v2, v3, s4
	;; [unrolled: 1-line block ×6, first 2 shown]
	s_cbranch_vccnz .LBB87_667
; %bb.666:
	v_mov_b32_e32 v15, v1
	s_load_b128 s[4:7], s[2:3], 0xe4
	s_delay_alu instid0(VALU_DEP_1) | instskip(NEXT) | instid1(VALU_DEP_1)
	v_mul_u64_e32 v[16:17], s[48:49], v[14:15]
	v_add_nc_u32_e32 v1, v14, v17
	s_delay_alu instid0(VALU_DEP_1) | instskip(NEXT) | instid1(VALU_DEP_1)
	v_lshrrev_b32_e32 v1, s1, v1
	v_mul_lo_u32 v1, v1, s43
	s_delay_alu instid0(VALU_DEP_1) | instskip(NEXT) | instid1(VALU_DEP_1)
	v_sub_nc_u32_e32 v1, v14, v1
	v_mad_u32 v2, v1, s10, v2
	v_mad_u32 v12, v1, s11, v12
	s_wait_kmcnt 0x0
	v_mad_u32 v10, v1, s4, v10
	v_mad_u32 v8, v1, s5, v8
	v_mad_u32 v6, s6, v1, v6
	v_mad_u32 v4, s7, v1, v4
.LBB87_667:
	s_load_b256 s[4:11], s[2:3], 0x248
	v_mov_b32_e32 v13, 0
	s_and_b32 s0, s72, 0xff
	s_delay_alu instid0(SALU_CYCLE_1) | instskip(SKIP_1) | instid1(VALU_DEP_1)
	s_cmp_lt_i32 s0, 11
	s_wait_kmcnt 0x0
	v_add_nc_u64_e32 v[12:13], s[6:7], v[12:13]
	s_cbranch_scc1 .LBB87_674
; %bb.668:
	s_and_b32 s35, 0xffff, s0
	s_delay_alu instid0(SALU_CYCLE_1)
	s_cmp_gt_i32 s35, 25
	s_cbranch_scc0 .LBB87_683
; %bb.669:
	s_cmp_gt_i32 s35, 28
	s_cbranch_scc0 .LBB87_685
; %bb.670:
	;; [unrolled: 3-line block ×4, first 2 shown]
	s_cmp_eq_u32 s35, 46
	s_mov_b32 s51, 0
	s_cbranch_scc0 .LBB87_705
; %bb.673:
	s_wait_loadcnt 0x0
	global_load_b32 v1, v[12:13], off
	s_mov_b32 s50, -1
	s_mov_b32 s86, 0
	s_wait_loadcnt 0x0
	v_lshlrev_b32_e32 v1, 16, v1
	s_delay_alu instid0(VALU_DEP_1)
	v_cvt_i32_f32_e32 v1, v1
	s_branch .LBB87_707
.LBB87_674:
	s_mov_b32 s50, 0
	s_mov_b32 s86, s84
                                        ; implicit-def: $vgpr1
	s_cbranch_execnz .LBB87_769
.LBB87_675:
	s_and_not1_b32 vcc_lo, exec_lo, s50
	s_cbranch_vccnz .LBB87_817
.LBB87_676:
	s_load_b256 s[4:11], s[2:3], 0x248
	v_mov_b32_e32 v11, 0
	s_and_b32 s0, s24, 0xff
	s_delay_alu instid0(SALU_CYCLE_1)
	s_cmp_lt_i32 s0, 11
	s_wait_loadcnt 0x0
	s_wait_kmcnt 0x0
	v_add_nc_u64_e32 v[10:11], s[8:9], v[10:11]
	s_cbranch_scc1 .LBB87_684
; %bb.677:
	s_and_b32 s35, 0xffff, s0
	s_delay_alu instid0(SALU_CYCLE_1)
	s_cmp_gt_i32 s35, 25
	s_cbranch_scc0 .LBB87_686
; %bb.678:
	s_cmp_gt_i32 s35, 28
	s_cbranch_scc0 .LBB87_688
; %bb.679:
	;; [unrolled: 3-line block ×4, first 2 shown]
	s_cmp_eq_u32 s35, 46
	s_mov_b32 s51, 0
	s_cbranch_scc0 .LBB87_819
; %bb.682:
	global_load_b32 v3, v[10:11], off
	s_mov_b32 s50, -1
	s_mov_b32 s88, 0
	s_wait_loadcnt 0x0
	v_lshlrev_b32_e32 v3, 16, v3
	s_delay_alu instid0(VALU_DEP_1)
	v_cvt_i32_f32_e32 v3, v3
	s_branch .LBB87_821
.LBB87_683:
	s_mov_b32 s51, -1
	s_mov_b32 s50, 0
	s_mov_b32 s86, s84
                                        ; implicit-def: $vgpr1
	s_branch .LBB87_735
.LBB87_684:
	s_mov_b32 s35, -1
	s_mov_b32 s50, 0
	s_mov_b32 s88, s83
                                        ; implicit-def: $vgpr3
	s_branch .LBB87_882
.LBB87_685:
	s_mov_b32 s51, -1
	s_mov_b32 s50, 0
	s_mov_b32 s86, s84
                                        ; implicit-def: $vgpr1
	s_branch .LBB87_718
.LBB87_686:
	s_mov_b32 s51, -1
	s_mov_b32 s50, 0
	s_mov_b32 s88, s83
                                        ; implicit-def: $vgpr3
	s_branch .LBB87_848
.LBB87_687:
	s_mov_b32 s51, -1
	s_mov_b32 s50, 0
	s_mov_b32 s86, s84
                                        ; implicit-def: $vgpr1
	s_branch .LBB87_713
.LBB87_688:
	s_mov_b32 s51, -1
	s_mov_b32 s50, 0
	s_mov_b32 s88, s83
                                        ; implicit-def: $vgpr3
	s_branch .LBB87_831
.LBB87_689:
	s_mov_b32 s52, -1
	s_mov_b32 s50, 0
	s_mov_b32 s0, 0
	s_mov_b32 s35, exec_lo
	v_cmpx_gt_i32_e64 v6, v8
	s_cbranch_execz .LBB87_697
; %bb.690:
	s_delay_alu instid0(VALU_DEP_2) | instskip(SKIP_2) | instid1(VALU_DEP_1)
	v_lshlrev_b64_e32 v[4:5], 2, v[4:5]
	v_dual_ashrrev_i32 v9, 31, v8 :: v_dual_ashrrev_i32 v7, 31, v6
	s_xor_b32 s52, s39, -1
                                        ; implicit-def: $sgpr51
                                        ; implicit-def: $sgpr54
                                        ; implicit-def: $sgpr53
	v_lshl_add_u64 v[8:9], v[8:9], 2, v[4:5]
	v_add_nc_u64_e32 v[10:11], s[20:21], v[4:5]
	s_delay_alu instid0(VALU_DEP_2) | instskip(NEXT) | instid1(VALU_DEP_2)
	v_add_nc_u64_e32 v[8:9], s[20:21], v[8:9]
	v_lshl_add_u64 v[6:7], v[6:7], 2, v[10:11]
	s_delay_alu instid0(VALU_DEP_2)
	v_add_nc_u64_e32 v[4:5], 4, v[8:9]
	s_branch .LBB87_692
.LBB87_691:                             ;   in Loop: Header=BB87_692 Depth=1
	s_or_b32 exec_lo, exec_lo, s55
	s_delay_alu instid0(SALU_CYCLE_1) | instskip(NEXT) | instid1(SALU_CYCLE_1)
	s_and_b32 s4, exec_lo, s54
	s_or_b32 s0, s4, s0
	s_and_not1_b32 s4, s51, exec_lo
	s_and_b32 s5, s53, exec_lo
	s_delay_alu instid0(SALU_CYCLE_1)
	s_or_b32 s51, s4, s5
	s_and_not1_b32 exec_lo, exec_lo, s0
	s_cbranch_execz .LBB87_696
.LBB87_692:                             ; =>This Inner Loop Header: Depth=1
	s_or_b32 s53, s53, exec_lo
	s_or_b32 s54, s54, exec_lo
	s_mov_b32 s55, exec_lo
	s_delay_alu instid0(VALU_DEP_1)
	v_cmpx_lt_u64_e64 v[4:5], v[6:7]
	s_cbranch_execz .LBB87_691
; %bb.693:                              ;   in Loop: Header=BB87_692 Depth=1
	global_load_b64 v[8:9], v[4:5], off offset:-4
	s_wait_xcnt 0x0
	v_add_nc_u64_e32 v[4:5], 4, v[4:5]
	s_and_not1_b32 s5, s54, exec_lo
	s_and_not1_b32 s53, s53, exec_lo
	s_wait_loadcnt 0x0
	v_cmp_ge_i32_e32 vcc_lo, v8, v9
	s_or_b32 s4, s52, vcc_lo
	s_delay_alu instid0(SALU_CYCLE_1) | instskip(NEXT) | instid1(SALU_CYCLE_1)
	s_and_b32 s4, s4, exec_lo
	s_or_b32 s54, s5, s4
	s_branch .LBB87_691
.LBB87_694:
	s_mov_b32 s51, -1
	s_mov_b32 s50, 0
	s_mov_b32 s86, s84
	s_branch .LBB87_706
.LBB87_695:
	s_mov_b32 s51, -1
	s_mov_b32 s50, 0
	s_mov_b32 s88, s83
                                        ; implicit-def: $vgpr3
	s_branch .LBB87_826
.LBB87_696:
	s_or_b32 exec_lo, exec_lo, s0
	s_delay_alu instid0(SALU_CYCLE_1)
	s_mov_b32 s0, exec_lo
	s_or_not1_b32 s52, s51, exec_lo
.LBB87_697:
	s_or_b32 exec_lo, exec_lo, s35
	s_mov_b32 s51, 0
	s_and_saveexec_b32 s35, s52
	s_cbranch_execz .LBB87_1957
; %bb.698:
	s_load_b256 s[4:11], s[2:3], 0x248
	v_mov_b32_e32 v3, 0
	s_and_b32 s51, s22, 0xff
	s_delay_alu instid0(SALU_CYCLE_1) | instskip(SKIP_1) | instid1(VALU_DEP_1)
	s_cmp_lt_i32 s51, 11
	s_wait_kmcnt 0x0
	v_add_nc_u64_e32 v[2:3], s[4:5], v[2:3]
	s_cbranch_scc1 .LBB87_818
; %bb.699:
	s_and_b32 s52, 0xffff, s51
	s_delay_alu instid0(SALU_CYCLE_1)
	s_cmp_gt_i32 s52, 25
	s_cbranch_scc0 .LBB87_945
; %bb.700:
	s_cmp_gt_i32 s52, 28
	s_cbranch_scc0 .LBB87_1072
; %bb.701:
	;; [unrolled: 3-line block ×4, first 2 shown]
	s_mov_b32 s54, 0
	s_mov_b32 s50, -1
	s_cmp_eq_u32 s52, 46
	s_mov_b32 s53, 0
	s_cbranch_scc0 .LBB87_1875
; %bb.704:
	v_mov_b32_e32 v1, 0
	s_mov_b32 s53, -1
	s_mov_b32 s50, 0
	global_store_b32 v[2:3], v1, off
	s_branch .LBB87_1875
.LBB87_705:
	s_mov_b32 s86, -1
	s_mov_b32 s50, 0
.LBB87_706:
                                        ; implicit-def: $vgpr1
.LBB87_707:
	s_and_b32 vcc_lo, exec_lo, s51
	s_cbranch_vccz .LBB87_712
; %bb.708:
	s_cmp_eq_u32 s35, 44
	s_cbranch_scc0 .LBB87_711
; %bb.709:
	s_wait_loadcnt 0x0
	global_load_u8 v1, v[12:13], off
	s_mov_b32 s86, 0
	s_mov_b32 s50, -1
	s_wait_loadcnt 0x0
	v_lshlrev_b32_e32 v3, 23, v1
	v_cmp_ne_u32_e32 vcc_lo, 0, v1
	s_delay_alu instid0(VALU_DEP_2) | instskip(NEXT) | instid1(VALU_DEP_1)
	v_cvt_i32_f32_e32 v3, v3
	v_cndmask_b32_e32 v1, 0, v3, vcc_lo
	s_branch .LBB87_712
.LBB87_710:
	s_mov_b32 s51, -1
	s_mov_b32 s50, 0
	s_mov_b32 s88, s83
	s_branch .LBB87_820
.LBB87_711:
	s_mov_b32 s86, -1
                                        ; implicit-def: $vgpr1
.LBB87_712:
	s_mov_b32 s51, 0
.LBB87_713:
	s_delay_alu instid0(SALU_CYCLE_1)
	s_and_b32 vcc_lo, exec_lo, s51
	s_cbranch_vccz .LBB87_717
; %bb.714:
	s_cmp_eq_u32 s35, 29
	s_cbranch_scc0 .LBB87_716
; %bb.715:
	s_wait_loadcnt 0x0
	global_load_b32 v1, v[12:13], off
	s_mov_b32 s50, -1
	s_mov_b32 s86, 0
	s_branch .LBB87_717
.LBB87_716:
	s_mov_b32 s86, -1
                                        ; implicit-def: $vgpr1
.LBB87_717:
	s_mov_b32 s51, 0
.LBB87_718:
	s_delay_alu instid0(SALU_CYCLE_1)
	s_and_b32 vcc_lo, exec_lo, s51
	s_cbranch_vccz .LBB87_734
; %bb.719:
	s_cmp_lt_i32 s35, 27
	s_cbranch_scc1 .LBB87_722
; %bb.720:
	s_cmp_gt_i32 s35, 27
	s_cbranch_scc0 .LBB87_723
; %bb.721:
	s_wait_loadcnt 0x0
	global_load_b32 v1, v[12:13], off
	s_mov_b32 s50, 0
	s_branch .LBB87_724
.LBB87_722:
	s_mov_b32 s50, -1
                                        ; implicit-def: $vgpr1
	s_branch .LBB87_727
.LBB87_723:
	s_mov_b32 s50, -1
                                        ; implicit-def: $vgpr1
.LBB87_724:
	s_delay_alu instid0(SALU_CYCLE_1)
	s_and_not1_b32 vcc_lo, exec_lo, s50
	s_cbranch_vccnz .LBB87_726
; %bb.725:
	s_wait_loadcnt 0x0
	global_load_u16 v1, v[12:13], off
.LBB87_726:
	s_mov_b32 s50, 0
.LBB87_727:
	s_delay_alu instid0(SALU_CYCLE_1)
	s_and_not1_b32 vcc_lo, exec_lo, s50
	s_cbranch_vccnz .LBB87_733
; %bb.728:
	s_wait_loadcnt 0x0
	global_load_u8 v3, v[12:13], off
	s_mov_b32 s51, 0
	s_mov_b32 s4, exec_lo
	s_wait_loadcnt 0x0
	v_cmpx_lt_i16_e32 0x7f, v3
	s_xor_b32 s50, exec_lo, s4
	s_cbranch_execz .LBB87_745
; %bb.729:
	v_cmp_ne_u16_e32 vcc_lo, 0x80, v3
	s_and_b32 s51, vcc_lo, exec_lo
	s_and_not1_saveexec_b32 s50, s50
	s_cbranch_execnz .LBB87_746
.LBB87_730:
	s_or_b32 exec_lo, exec_lo, s50
	v_mov_b32_e32 v1, 0
	s_and_saveexec_b32 s50, s51
	s_cbranch_execz .LBB87_732
.LBB87_731:
	v_and_b32_e32 v1, 0xffff, v3
	s_delay_alu instid0(VALU_DEP_1) | instskip(SKIP_1) | instid1(VALU_DEP_2)
	v_and_b32_e32 v5, 7, v1
	v_bfe_u32 v11, v1, 3, 4
	v_clz_i32_u32_e32 v7, v5
	s_delay_alu instid0(VALU_DEP_2) | instskip(NEXT) | instid1(VALU_DEP_2)
	v_cmp_eq_u32_e32 vcc_lo, 0, v11
	v_min_u32_e32 v7, 32, v7
	s_delay_alu instid0(VALU_DEP_1) | instskip(NEXT) | instid1(VALU_DEP_1)
	v_subrev_nc_u32_e32 v9, 28, v7
	v_dual_lshlrev_b32 v1, v9, v1 :: v_dual_sub_nc_u32 v7, 29, v7
	s_delay_alu instid0(VALU_DEP_1) | instskip(NEXT) | instid1(VALU_DEP_1)
	v_dual_lshlrev_b32 v3, 24, v3 :: v_dual_bitop2_b32 v1, 7, v1 bitop3:0x40
	v_dual_cndmask_b32 v1, v5, v1, vcc_lo :: v_dual_cndmask_b32 v7, v11, v7, vcc_lo
	s_delay_alu instid0(VALU_DEP_2) | instskip(NEXT) | instid1(VALU_DEP_2)
	v_and_b32_e32 v3, 0x80000000, v3
	v_lshlrev_b32_e32 v1, 20, v1
	s_delay_alu instid0(VALU_DEP_3) | instskip(NEXT) | instid1(VALU_DEP_1)
	v_lshl_add_u32 v5, v7, 23, 0x3b800000
	v_or3_b32 v1, v3, v5, v1
	s_delay_alu instid0(VALU_DEP_1)
	v_cvt_i32_f32_e32 v1, v1
.LBB87_732:
	s_or_b32 exec_lo, exec_lo, s50
.LBB87_733:
	s_mov_b32 s50, -1
.LBB87_734:
	s_mov_b32 s51, 0
.LBB87_735:
	s_delay_alu instid0(SALU_CYCLE_1)
	s_and_b32 vcc_lo, exec_lo, s51
	s_cbranch_vccz .LBB87_768
; %bb.736:
	s_cmp_gt_i32 s35, 22
	s_cbranch_scc0 .LBB87_744
; %bb.737:
	s_cmp_lt_i32 s35, 24
	s_cbranch_scc1 .LBB87_747
; %bb.738:
	s_cmp_gt_i32 s35, 24
	s_cbranch_scc0 .LBB87_748
; %bb.739:
	s_wait_loadcnt 0x0
	global_load_u8 v3, v[12:13], off
	s_mov_b32 s51, 0
	s_mov_b32 s4, exec_lo
	s_wait_loadcnt 0x0
	v_cmpx_lt_i16_e32 0x7f, v3
	s_xor_b32 s50, exec_lo, s4
	s_cbranch_execz .LBB87_760
; %bb.740:
	v_cmp_ne_u16_e32 vcc_lo, 0x80, v3
	s_and_b32 s51, vcc_lo, exec_lo
	s_and_not1_saveexec_b32 s50, s50
	s_cbranch_execnz .LBB87_761
.LBB87_741:
	s_or_b32 exec_lo, exec_lo, s50
	v_mov_b32_e32 v1, 0
	s_and_saveexec_b32 s50, s51
	s_cbranch_execz .LBB87_743
.LBB87_742:
	v_and_b32_e32 v1, 0xffff, v3
	s_delay_alu instid0(VALU_DEP_1) | instskip(SKIP_1) | instid1(VALU_DEP_2)
	v_and_b32_e32 v5, 3, v1
	v_bfe_u32 v11, v1, 2, 5
	v_clz_i32_u32_e32 v7, v5
	s_delay_alu instid0(VALU_DEP_2) | instskip(NEXT) | instid1(VALU_DEP_2)
	v_cmp_eq_u32_e32 vcc_lo, 0, v11
	v_min_u32_e32 v7, 32, v7
	s_delay_alu instid0(VALU_DEP_1) | instskip(NEXT) | instid1(VALU_DEP_1)
	v_subrev_nc_u32_e32 v9, 29, v7
	v_dual_lshlrev_b32 v1, v9, v1 :: v_dual_sub_nc_u32 v7, 30, v7
	s_delay_alu instid0(VALU_DEP_1) | instskip(NEXT) | instid1(VALU_DEP_1)
	v_dual_lshlrev_b32 v3, 24, v3 :: v_dual_bitop2_b32 v1, 3, v1 bitop3:0x40
	v_dual_cndmask_b32 v1, v5, v1, vcc_lo :: v_dual_cndmask_b32 v7, v11, v7, vcc_lo
	s_delay_alu instid0(VALU_DEP_2) | instskip(NEXT) | instid1(VALU_DEP_2)
	v_and_b32_e32 v3, 0x80000000, v3
	v_lshlrev_b32_e32 v1, 21, v1
	s_delay_alu instid0(VALU_DEP_3) | instskip(NEXT) | instid1(VALU_DEP_1)
	v_lshl_add_u32 v5, v7, 23, 0x37800000
	v_or3_b32 v1, v3, v5, v1
	s_delay_alu instid0(VALU_DEP_1)
	v_cvt_i32_f32_e32 v1, v1
.LBB87_743:
	s_or_b32 exec_lo, exec_lo, s50
	s_mov_b32 s50, 0
	s_branch .LBB87_749
.LBB87_744:
	s_mov_b32 s51, -1
                                        ; implicit-def: $vgpr1
	s_branch .LBB87_755
.LBB87_745:
	s_and_not1_saveexec_b32 s50, s50
	s_cbranch_execz .LBB87_730
.LBB87_746:
	v_cmp_ne_u16_e32 vcc_lo, 0, v3
	s_and_not1_b32 s4, s51, exec_lo
	s_and_b32 s5, vcc_lo, exec_lo
	s_delay_alu instid0(SALU_CYCLE_1)
	s_or_b32 s51, s4, s5
	s_or_b32 exec_lo, exec_lo, s50
	v_mov_b32_e32 v1, 0
	s_and_saveexec_b32 s50, s51
	s_cbranch_execnz .LBB87_731
	s_branch .LBB87_732
.LBB87_747:
	s_mov_b32 s50, -1
                                        ; implicit-def: $vgpr1
	s_branch .LBB87_752
.LBB87_748:
	s_mov_b32 s50, -1
                                        ; implicit-def: $vgpr1
.LBB87_749:
	s_delay_alu instid0(SALU_CYCLE_1)
	s_and_b32 vcc_lo, exec_lo, s50
	s_cbranch_vccz .LBB87_751
; %bb.750:
	s_wait_loadcnt 0x0
	global_load_u8 v1, v[12:13], off
	s_wait_loadcnt 0x0
	v_lshlrev_b32_e32 v1, 24, v1
	s_delay_alu instid0(VALU_DEP_1) | instskip(NEXT) | instid1(VALU_DEP_1)
	v_and_b32_e32 v3, 0x7f000000, v1
	v_clz_i32_u32_e32 v5, v3
	v_add_nc_u32_e32 v9, 0x1000000, v3
	v_cmp_ne_u32_e32 vcc_lo, 0, v3
	s_delay_alu instid0(VALU_DEP_3) | instskip(NEXT) | instid1(VALU_DEP_1)
	v_min_u32_e32 v5, 32, v5
	v_sub_nc_u32_e64 v5, v5, 4 clamp
	s_delay_alu instid0(VALU_DEP_1) | instskip(NEXT) | instid1(VALU_DEP_1)
	v_dual_lshlrev_b32 v7, v5, v3 :: v_dual_lshlrev_b32 v5, 23, v5
	v_lshrrev_b32_e32 v7, 4, v7
	s_delay_alu instid0(VALU_DEP_1) | instskip(SKIP_1) | instid1(VALU_DEP_2)
	v_sub_nc_u32_e32 v5, v7, v5
	v_ashrrev_i32_e32 v7, 8, v9
	v_add_nc_u32_e32 v5, 0x3c000000, v5
	s_delay_alu instid0(VALU_DEP_1) | instskip(NEXT) | instid1(VALU_DEP_1)
	v_and_or_b32 v5, 0x7f800000, v7, v5
	v_cndmask_b32_e32 v3, 0, v5, vcc_lo
	s_delay_alu instid0(VALU_DEP_1) | instskip(NEXT) | instid1(VALU_DEP_1)
	v_and_or_b32 v1, 0x80000000, v1, v3
	v_cvt_i32_f32_e32 v1, v1
.LBB87_751:
	s_mov_b32 s50, 0
.LBB87_752:
	s_delay_alu instid0(SALU_CYCLE_1)
	s_and_not1_b32 vcc_lo, exec_lo, s50
	s_cbranch_vccnz .LBB87_754
; %bb.753:
	s_wait_loadcnt 0x0
	global_load_u8 v1, v[12:13], off
	s_wait_loadcnt 0x0
	v_lshlrev_b32_e32 v3, 25, v1
	v_lshlrev_b16 v1, 8, v1
	s_delay_alu instid0(VALU_DEP_1) | instskip(SKIP_1) | instid1(VALU_DEP_2)
	v_and_or_b32 v7, 0x7f00, v1, 0.5
	v_bfe_i32 v1, v1, 0, 16
	v_add_f32_e32 v7, -0.5, v7
	v_lshrrev_b32_e32 v5, 4, v3
	v_cmp_gt_u32_e32 vcc_lo, 0x8000000, v3
	s_delay_alu instid0(VALU_DEP_2) | instskip(NEXT) | instid1(VALU_DEP_1)
	v_or_b32_e32 v5, 0x70000000, v5
	v_mul_f32_e32 v5, 0x7800000, v5
	s_delay_alu instid0(VALU_DEP_1) | instskip(NEXT) | instid1(VALU_DEP_1)
	v_cndmask_b32_e32 v3, v5, v7, vcc_lo
	v_and_or_b32 v1, 0x80000000, v1, v3
	s_delay_alu instid0(VALU_DEP_1)
	v_cvt_i32_f32_e32 v1, v1
.LBB87_754:
	s_mov_b32 s51, 0
	s_mov_b32 s50, -1
.LBB87_755:
	s_and_not1_b32 vcc_lo, exec_lo, s51
	s_cbranch_vccnz .LBB87_768
; %bb.756:
	s_cmp_gt_i32 s35, 14
	s_cbranch_scc0 .LBB87_759
; %bb.757:
	s_cmp_eq_u32 s35, 15
	s_cbranch_scc0 .LBB87_762
; %bb.758:
	s_wait_loadcnt 0x0
	global_load_u16 v1, v[12:13], off
	s_mov_b32 s50, -1
	s_mov_b32 s86, 0
	s_wait_loadcnt 0x0
	v_lshlrev_b32_e32 v1, 16, v1
	s_delay_alu instid0(VALU_DEP_1)
	v_cvt_i32_f32_e32 v1, v1
	s_branch .LBB87_763
.LBB87_759:
	s_mov_b32 s51, -1
                                        ; implicit-def: $vgpr1
	s_branch .LBB87_764
.LBB87_760:
	s_and_not1_saveexec_b32 s50, s50
	s_cbranch_execz .LBB87_741
.LBB87_761:
	v_cmp_ne_u16_e32 vcc_lo, 0, v3
	s_and_not1_b32 s4, s51, exec_lo
	s_and_b32 s5, vcc_lo, exec_lo
	s_delay_alu instid0(SALU_CYCLE_1)
	s_or_b32 s51, s4, s5
	s_or_b32 exec_lo, exec_lo, s50
	v_mov_b32_e32 v1, 0
	s_and_saveexec_b32 s50, s51
	s_cbranch_execnz .LBB87_742
	s_branch .LBB87_743
.LBB87_762:
	s_mov_b32 s86, -1
                                        ; implicit-def: $vgpr1
.LBB87_763:
	s_mov_b32 s51, 0
.LBB87_764:
	s_delay_alu instid0(SALU_CYCLE_1)
	s_and_b32 vcc_lo, exec_lo, s51
	s_cbranch_vccz .LBB87_768
; %bb.765:
	s_cmp_eq_u32 s35, 11
	s_cbranch_scc0 .LBB87_767
; %bb.766:
	s_wait_loadcnt 0x0
	global_load_u8 v1, v[12:13], off
	s_mov_b32 s86, 0
	s_mov_b32 s50, -1
	s_wait_loadcnt 0x0
	v_cmp_ne_u16_e32 vcc_lo, 0, v1
	v_cndmask_b32_e64 v1, 0, 1, vcc_lo
	s_branch .LBB87_768
.LBB87_767:
	s_mov_b32 s86, -1
                                        ; implicit-def: $vgpr1
.LBB87_768:
	s_branch .LBB87_675
.LBB87_769:
	s_and_b32 s0, 0xffff, s0
	s_delay_alu instid0(SALU_CYCLE_1)
	s_cmp_lt_i32 s0, 5
	s_cbranch_scc1 .LBB87_774
; %bb.770:
	s_cmp_lt_i32 s0, 8
	s_cbranch_scc1 .LBB87_775
; %bb.771:
	;; [unrolled: 3-line block ×3, first 2 shown]
	s_cmp_gt_i32 s0, 9
	s_cbranch_scc0 .LBB87_777
; %bb.773:
	global_load_b64 v[14:15], v[12:13], off
	s_mov_b32 s35, 0
	s_wait_loadcnt 0x0
	v_cvt_i32_f64_e32 v1, v[14:15]
	s_branch .LBB87_778
.LBB87_774:
	s_mov_b32 s35, -1
                                        ; implicit-def: $vgpr1
	s_branch .LBB87_796
.LBB87_775:
	s_mov_b32 s35, -1
                                        ; implicit-def: $vgpr1
	s_branch .LBB87_784
.LBB87_776:
	s_mov_b32 s35, -1
                                        ; implicit-def: $vgpr1
	s_branch .LBB87_781
.LBB87_777:
	s_mov_b32 s35, -1
                                        ; implicit-def: $vgpr1
.LBB87_778:
	s_delay_alu instid0(SALU_CYCLE_1)
	s_and_not1_b32 vcc_lo, exec_lo, s35
	s_cbranch_vccnz .LBB87_780
; %bb.779:
	s_wait_loadcnt 0x0
	global_load_b32 v1, v[12:13], off
	s_wait_loadcnt 0x0
	v_cvt_i32_f32_e32 v1, v1
.LBB87_780:
	s_mov_b32 s35, 0
.LBB87_781:
	s_delay_alu instid0(SALU_CYCLE_1)
	s_and_not1_b32 vcc_lo, exec_lo, s35
	s_cbranch_vccnz .LBB87_783
; %bb.782:
	s_wait_loadcnt 0x0
	global_load_b32 v1, v[12:13], off
	s_wait_loadcnt 0x0
	v_cvt_f32_f16_e32 v1, v1
	s_delay_alu instid0(VALU_DEP_1)
	v_cvt_i32_f32_e32 v1, v1
.LBB87_783:
	s_mov_b32 s35, 0
.LBB87_784:
	s_delay_alu instid0(SALU_CYCLE_1)
	s_and_not1_b32 vcc_lo, exec_lo, s35
	s_cbranch_vccnz .LBB87_795
; %bb.785:
	s_cmp_lt_i32 s0, 6
	s_cbranch_scc1 .LBB87_788
; %bb.786:
	s_cmp_gt_i32 s0, 6
	s_cbranch_scc0 .LBB87_789
; %bb.787:
	global_load_b64 v[14:15], v[12:13], off
	s_mov_b32 s35, 0
	s_wait_loadcnt 0x0
	v_cvt_i32_f64_e32 v1, v[14:15]
	s_branch .LBB87_790
.LBB87_788:
	s_mov_b32 s35, -1
                                        ; implicit-def: $vgpr1
	s_branch .LBB87_793
.LBB87_789:
	s_mov_b32 s35, -1
                                        ; implicit-def: $vgpr1
.LBB87_790:
	s_delay_alu instid0(SALU_CYCLE_1)
	s_and_not1_b32 vcc_lo, exec_lo, s35
	s_cbranch_vccnz .LBB87_792
; %bb.791:
	s_wait_loadcnt 0x0
	global_load_b32 v1, v[12:13], off
	s_wait_loadcnt 0x0
	v_cvt_i32_f32_e32 v1, v1
.LBB87_792:
	s_mov_b32 s35, 0
.LBB87_793:
	s_delay_alu instid0(SALU_CYCLE_1)
	s_and_not1_b32 vcc_lo, exec_lo, s35
	s_cbranch_vccnz .LBB87_795
; %bb.794:
	s_wait_loadcnt 0x0
	global_load_u16 v1, v[12:13], off
	s_wait_loadcnt 0x0
	v_cvt_f32_f16_e32 v1, v1
	s_delay_alu instid0(VALU_DEP_1)
	v_cvt_i32_f32_e32 v1, v1
.LBB87_795:
	s_mov_b32 s35, 0
.LBB87_796:
	s_delay_alu instid0(SALU_CYCLE_1)
	s_and_not1_b32 vcc_lo, exec_lo, s35
	s_cbranch_vccnz .LBB87_816
; %bb.797:
	s_cmp_lt_i32 s0, 2
	s_cbranch_scc1 .LBB87_801
; %bb.798:
	s_cmp_lt_i32 s0, 3
	s_cbranch_scc1 .LBB87_802
; %bb.799:
	s_cmp_gt_i32 s0, 3
	s_cbranch_scc0 .LBB87_803
; %bb.800:
	s_wait_loadcnt 0x0
	global_load_b32 v1, v[12:13], off
	s_mov_b32 s35, 0
	s_branch .LBB87_804
.LBB87_801:
	s_mov_b32 s35, -1
                                        ; implicit-def: $vgpr1
	s_branch .LBB87_810
.LBB87_802:
	s_mov_b32 s35, -1
                                        ; implicit-def: $vgpr1
	s_branch .LBB87_807
.LBB87_803:
	s_mov_b32 s35, -1
                                        ; implicit-def: $vgpr1
.LBB87_804:
	s_delay_alu instid0(SALU_CYCLE_1)
	s_and_not1_b32 vcc_lo, exec_lo, s35
	s_cbranch_vccnz .LBB87_806
; %bb.805:
	s_wait_loadcnt 0x0
	global_load_b32 v1, v[12:13], off
.LBB87_806:
	s_mov_b32 s35, 0
.LBB87_807:
	s_delay_alu instid0(SALU_CYCLE_1)
	s_and_not1_b32 vcc_lo, exec_lo, s35
	s_cbranch_vccnz .LBB87_809
; %bb.808:
	s_wait_loadcnt 0x0
	global_load_i16 v1, v[12:13], off
.LBB87_809:
	s_mov_b32 s35, 0
.LBB87_810:
	s_delay_alu instid0(SALU_CYCLE_1)
	s_and_not1_b32 vcc_lo, exec_lo, s35
	s_cbranch_vccnz .LBB87_816
; %bb.811:
	s_cmp_gt_i32 s0, 0
	s_mov_b32 s0, 0
	s_cbranch_scc0 .LBB87_813
; %bb.812:
	s_wait_loadcnt 0x0
	global_load_i8 v1, v[12:13], off
	s_branch .LBB87_814
.LBB87_813:
	s_mov_b32 s0, -1
                                        ; implicit-def: $vgpr1
.LBB87_814:
	s_delay_alu instid0(SALU_CYCLE_1)
	s_and_not1_b32 vcc_lo, exec_lo, s0
	s_cbranch_vccnz .LBB87_816
; %bb.815:
	s_wait_loadcnt 0x0
	global_load_u8 v1, v[12:13], off
.LBB87_816:
	s_branch .LBB87_676
.LBB87_817:
	s_mov_b32 s0, 0
	s_mov_b32 s35, s60
	;; [unrolled: 1-line block ×10, first 2 shown]
	s_branch .LBB87_1324
.LBB87_818:
	s_mov_b32 s52, -1
	s_mov_b32 s50, 0
	s_mov_b32 s53, 0
	s_branch .LBB87_1914
.LBB87_819:
	s_mov_b32 s88, -1
	s_mov_b32 s50, 0
.LBB87_820:
                                        ; implicit-def: $vgpr3
.LBB87_821:
	s_and_b32 vcc_lo, exec_lo, s51
	s_cbranch_vccz .LBB87_825
; %bb.822:
	s_cmp_eq_u32 s35, 44
	s_cbranch_scc0 .LBB87_824
; %bb.823:
	global_load_u8 v3, v[10:11], off
	s_mov_b32 s88, 0
	s_mov_b32 s50, -1
	s_wait_loadcnt 0x0
	v_lshlrev_b32_e32 v5, 23, v3
	v_cmp_ne_u32_e32 vcc_lo, 0, v3
	s_delay_alu instid0(VALU_DEP_2) | instskip(NEXT) | instid1(VALU_DEP_1)
	v_cvt_i32_f32_e32 v5, v5
	v_cndmask_b32_e32 v3, 0, v5, vcc_lo
	s_branch .LBB87_825
.LBB87_824:
	s_mov_b32 s88, -1
                                        ; implicit-def: $vgpr3
.LBB87_825:
	s_mov_b32 s51, 0
.LBB87_826:
	s_delay_alu instid0(SALU_CYCLE_1)
	s_and_b32 vcc_lo, exec_lo, s51
	s_cbranch_vccz .LBB87_830
; %bb.827:
	s_cmp_eq_u32 s35, 29
	s_cbranch_scc0 .LBB87_829
; %bb.828:
	global_load_b32 v3, v[10:11], off
	s_mov_b32 s50, -1
	s_mov_b32 s88, 0
	s_branch .LBB87_830
.LBB87_829:
	s_mov_b32 s88, -1
                                        ; implicit-def: $vgpr3
.LBB87_830:
	s_mov_b32 s51, 0
.LBB87_831:
	s_delay_alu instid0(SALU_CYCLE_1)
	s_and_b32 vcc_lo, exec_lo, s51
	s_cbranch_vccz .LBB87_847
; %bb.832:
	s_cmp_lt_i32 s35, 27
	s_cbranch_scc1 .LBB87_835
; %bb.833:
	s_cmp_gt_i32 s35, 27
	s_cbranch_scc0 .LBB87_836
; %bb.834:
	s_wait_loadcnt 0x0
	global_load_b32 v3, v[10:11], off
	s_mov_b32 s50, 0
	s_branch .LBB87_837
.LBB87_835:
	s_mov_b32 s50, -1
                                        ; implicit-def: $vgpr3
	s_branch .LBB87_840
.LBB87_836:
	s_mov_b32 s50, -1
                                        ; implicit-def: $vgpr3
.LBB87_837:
	s_delay_alu instid0(SALU_CYCLE_1)
	s_and_not1_b32 vcc_lo, exec_lo, s50
	s_cbranch_vccnz .LBB87_839
; %bb.838:
	s_wait_loadcnt 0x0
	global_load_u16 v3, v[10:11], off
.LBB87_839:
	s_mov_b32 s50, 0
.LBB87_840:
	s_delay_alu instid0(SALU_CYCLE_1)
	s_and_not1_b32 vcc_lo, exec_lo, s50
	s_cbranch_vccnz .LBB87_846
; %bb.841:
	global_load_u8 v5, v[10:11], off
	s_mov_b32 s51, 0
	s_mov_b32 s4, exec_lo
	s_wait_loadcnt 0x0
	v_cmpx_lt_i16_e32 0x7f, v5
	s_xor_b32 s50, exec_lo, s4
	s_cbranch_execz .LBB87_858
; %bb.842:
	v_cmp_ne_u16_e32 vcc_lo, 0x80, v5
	s_and_b32 s51, vcc_lo, exec_lo
	s_and_not1_saveexec_b32 s50, s50
	s_cbranch_execnz .LBB87_859
.LBB87_843:
	s_or_b32 exec_lo, exec_lo, s50
	v_mov_b32_e32 v3, 0
	s_and_saveexec_b32 s50, s51
	s_cbranch_execz .LBB87_845
.LBB87_844:
	v_and_b32_e32 v3, 0xffff, v5
	s_delay_alu instid0(VALU_DEP_1) | instskip(SKIP_1) | instid1(VALU_DEP_2)
	v_and_b32_e32 v7, 7, v3
	v_bfe_u32 v13, v3, 3, 4
	v_clz_i32_u32_e32 v9, v7
	s_delay_alu instid0(VALU_DEP_2) | instskip(NEXT) | instid1(VALU_DEP_2)
	v_cmp_eq_u32_e32 vcc_lo, 0, v13
	v_min_u32_e32 v9, 32, v9
	s_delay_alu instid0(VALU_DEP_1) | instskip(NEXT) | instid1(VALU_DEP_1)
	v_subrev_nc_u32_e32 v12, 28, v9
	v_dual_lshlrev_b32 v3, v12, v3 :: v_dual_sub_nc_u32 v9, 29, v9
	s_delay_alu instid0(VALU_DEP_1) | instskip(NEXT) | instid1(VALU_DEP_1)
	v_dual_lshlrev_b32 v5, 24, v5 :: v_dual_bitop2_b32 v3, 7, v3 bitop3:0x40
	v_dual_cndmask_b32 v3, v7, v3, vcc_lo :: v_dual_cndmask_b32 v9, v13, v9, vcc_lo
	s_delay_alu instid0(VALU_DEP_2) | instskip(NEXT) | instid1(VALU_DEP_2)
	v_and_b32_e32 v5, 0x80000000, v5
	v_lshlrev_b32_e32 v3, 20, v3
	s_delay_alu instid0(VALU_DEP_3) | instskip(NEXT) | instid1(VALU_DEP_1)
	v_lshl_add_u32 v7, v9, 23, 0x3b800000
	v_or3_b32 v3, v5, v7, v3
	s_delay_alu instid0(VALU_DEP_1)
	v_cvt_i32_f32_e32 v3, v3
.LBB87_845:
	s_or_b32 exec_lo, exec_lo, s50
.LBB87_846:
	s_mov_b32 s50, -1
.LBB87_847:
	s_mov_b32 s51, 0
.LBB87_848:
	s_delay_alu instid0(SALU_CYCLE_1)
	s_and_b32 vcc_lo, exec_lo, s51
	s_cbranch_vccz .LBB87_881
; %bb.849:
	s_cmp_gt_i32 s35, 22
	s_cbranch_scc0 .LBB87_857
; %bb.850:
	s_cmp_lt_i32 s35, 24
	s_cbranch_scc1 .LBB87_860
; %bb.851:
	s_cmp_gt_i32 s35, 24
	s_cbranch_scc0 .LBB87_861
; %bb.852:
	global_load_u8 v5, v[10:11], off
	s_mov_b32 s51, 0
	s_mov_b32 s4, exec_lo
	s_wait_loadcnt 0x0
	v_cmpx_lt_i16_e32 0x7f, v5
	s_xor_b32 s50, exec_lo, s4
	s_cbranch_execz .LBB87_873
; %bb.853:
	v_cmp_ne_u16_e32 vcc_lo, 0x80, v5
	s_and_b32 s51, vcc_lo, exec_lo
	s_and_not1_saveexec_b32 s50, s50
	s_cbranch_execnz .LBB87_874
.LBB87_854:
	s_or_b32 exec_lo, exec_lo, s50
	v_mov_b32_e32 v3, 0
	s_and_saveexec_b32 s50, s51
	s_cbranch_execz .LBB87_856
.LBB87_855:
	v_and_b32_e32 v3, 0xffff, v5
	s_delay_alu instid0(VALU_DEP_1) | instskip(SKIP_1) | instid1(VALU_DEP_2)
	v_and_b32_e32 v7, 3, v3
	v_bfe_u32 v13, v3, 2, 5
	v_clz_i32_u32_e32 v9, v7
	s_delay_alu instid0(VALU_DEP_2) | instskip(NEXT) | instid1(VALU_DEP_2)
	v_cmp_eq_u32_e32 vcc_lo, 0, v13
	v_min_u32_e32 v9, 32, v9
	s_delay_alu instid0(VALU_DEP_1) | instskip(NEXT) | instid1(VALU_DEP_1)
	v_subrev_nc_u32_e32 v12, 29, v9
	v_dual_lshlrev_b32 v3, v12, v3 :: v_dual_sub_nc_u32 v9, 30, v9
	s_delay_alu instid0(VALU_DEP_1) | instskip(NEXT) | instid1(VALU_DEP_1)
	v_dual_lshlrev_b32 v5, 24, v5 :: v_dual_bitop2_b32 v3, 3, v3 bitop3:0x40
	v_dual_cndmask_b32 v3, v7, v3, vcc_lo :: v_dual_cndmask_b32 v9, v13, v9, vcc_lo
	s_delay_alu instid0(VALU_DEP_2) | instskip(NEXT) | instid1(VALU_DEP_2)
	v_and_b32_e32 v5, 0x80000000, v5
	v_lshlrev_b32_e32 v3, 21, v3
	s_delay_alu instid0(VALU_DEP_3) | instskip(NEXT) | instid1(VALU_DEP_1)
	v_lshl_add_u32 v7, v9, 23, 0x37800000
	v_or3_b32 v3, v5, v7, v3
	s_delay_alu instid0(VALU_DEP_1)
	v_cvt_i32_f32_e32 v3, v3
.LBB87_856:
	s_or_b32 exec_lo, exec_lo, s50
	s_mov_b32 s50, 0
	s_branch .LBB87_862
.LBB87_857:
	s_mov_b32 s51, -1
                                        ; implicit-def: $vgpr3
	s_branch .LBB87_868
.LBB87_858:
	s_and_not1_saveexec_b32 s50, s50
	s_cbranch_execz .LBB87_843
.LBB87_859:
	v_cmp_ne_u16_e32 vcc_lo, 0, v5
	s_and_not1_b32 s4, s51, exec_lo
	s_and_b32 s5, vcc_lo, exec_lo
	s_delay_alu instid0(SALU_CYCLE_1)
	s_or_b32 s51, s4, s5
	s_or_b32 exec_lo, exec_lo, s50
	v_mov_b32_e32 v3, 0
	s_and_saveexec_b32 s50, s51
	s_cbranch_execnz .LBB87_844
	s_branch .LBB87_845
.LBB87_860:
	s_mov_b32 s50, -1
                                        ; implicit-def: $vgpr3
	s_branch .LBB87_865
.LBB87_861:
	s_mov_b32 s50, -1
                                        ; implicit-def: $vgpr3
.LBB87_862:
	s_delay_alu instid0(SALU_CYCLE_1)
	s_and_b32 vcc_lo, exec_lo, s50
	s_cbranch_vccz .LBB87_864
; %bb.863:
	s_wait_loadcnt 0x0
	global_load_u8 v3, v[10:11], off
	s_wait_loadcnt 0x0
	v_lshlrev_b32_e32 v3, 24, v3
	s_delay_alu instid0(VALU_DEP_1) | instskip(NEXT) | instid1(VALU_DEP_1)
	v_and_b32_e32 v5, 0x7f000000, v3
	v_clz_i32_u32_e32 v7, v5
	v_cmp_ne_u32_e32 vcc_lo, 0, v5
	v_add_nc_u32_e32 v12, 0x1000000, v5
	s_delay_alu instid0(VALU_DEP_3) | instskip(NEXT) | instid1(VALU_DEP_1)
	v_min_u32_e32 v7, 32, v7
	v_sub_nc_u32_e64 v7, v7, 4 clamp
	s_delay_alu instid0(VALU_DEP_1) | instskip(NEXT) | instid1(VALU_DEP_1)
	v_dual_lshlrev_b32 v9, v7, v5 :: v_dual_lshlrev_b32 v7, 23, v7
	v_lshrrev_b32_e32 v9, 4, v9
	s_delay_alu instid0(VALU_DEP_1) | instskip(NEXT) | instid1(VALU_DEP_1)
	v_dual_sub_nc_u32 v7, v9, v7 :: v_dual_ashrrev_i32 v9, 8, v12
	v_add_nc_u32_e32 v7, 0x3c000000, v7
	s_delay_alu instid0(VALU_DEP_1) | instskip(NEXT) | instid1(VALU_DEP_1)
	v_and_or_b32 v7, 0x7f800000, v9, v7
	v_cndmask_b32_e32 v5, 0, v7, vcc_lo
	s_delay_alu instid0(VALU_DEP_1) | instskip(NEXT) | instid1(VALU_DEP_1)
	v_and_or_b32 v3, 0x80000000, v3, v5
	v_cvt_i32_f32_e32 v3, v3
.LBB87_864:
	s_mov_b32 s50, 0
.LBB87_865:
	s_delay_alu instid0(SALU_CYCLE_1)
	s_and_not1_b32 vcc_lo, exec_lo, s50
	s_cbranch_vccnz .LBB87_867
; %bb.866:
	s_wait_loadcnt 0x0
	global_load_u8 v3, v[10:11], off
	s_wait_loadcnt 0x0
	v_lshlrev_b32_e32 v5, 25, v3
	v_lshlrev_b16 v3, 8, v3
	s_delay_alu instid0(VALU_DEP_1) | instskip(SKIP_1) | instid1(VALU_DEP_2)
	v_and_or_b32 v9, 0x7f00, v3, 0.5
	v_bfe_i32 v3, v3, 0, 16
	v_add_f32_e32 v9, -0.5, v9
	v_lshrrev_b32_e32 v7, 4, v5
	v_cmp_gt_u32_e32 vcc_lo, 0x8000000, v5
	s_delay_alu instid0(VALU_DEP_2) | instskip(NEXT) | instid1(VALU_DEP_1)
	v_or_b32_e32 v7, 0x70000000, v7
	v_mul_f32_e32 v7, 0x7800000, v7
	s_delay_alu instid0(VALU_DEP_1) | instskip(NEXT) | instid1(VALU_DEP_1)
	v_cndmask_b32_e32 v5, v7, v9, vcc_lo
	v_and_or_b32 v3, 0x80000000, v3, v5
	s_delay_alu instid0(VALU_DEP_1)
	v_cvt_i32_f32_e32 v3, v3
.LBB87_867:
	s_mov_b32 s51, 0
	s_mov_b32 s50, -1
.LBB87_868:
	s_and_not1_b32 vcc_lo, exec_lo, s51
	s_cbranch_vccnz .LBB87_881
; %bb.869:
	s_cmp_gt_i32 s35, 14
	s_cbranch_scc0 .LBB87_872
; %bb.870:
	s_cmp_eq_u32 s35, 15
	s_cbranch_scc0 .LBB87_875
; %bb.871:
	s_wait_loadcnt 0x0
	global_load_u16 v3, v[10:11], off
	s_mov_b32 s50, -1
	s_mov_b32 s88, 0
	s_wait_loadcnt 0x0
	v_lshlrev_b32_e32 v3, 16, v3
	s_delay_alu instid0(VALU_DEP_1)
	v_cvt_i32_f32_e32 v3, v3
	s_branch .LBB87_876
.LBB87_872:
	s_mov_b32 s51, -1
                                        ; implicit-def: $vgpr3
	s_branch .LBB87_877
.LBB87_873:
	s_and_not1_saveexec_b32 s50, s50
	s_cbranch_execz .LBB87_854
.LBB87_874:
	v_cmp_ne_u16_e32 vcc_lo, 0, v5
	s_and_not1_b32 s4, s51, exec_lo
	s_and_b32 s5, vcc_lo, exec_lo
	s_delay_alu instid0(SALU_CYCLE_1)
	s_or_b32 s51, s4, s5
	s_or_b32 exec_lo, exec_lo, s50
	v_mov_b32_e32 v3, 0
	s_and_saveexec_b32 s50, s51
	s_cbranch_execnz .LBB87_855
	s_branch .LBB87_856
.LBB87_875:
	s_mov_b32 s88, -1
                                        ; implicit-def: $vgpr3
.LBB87_876:
	s_mov_b32 s51, 0
.LBB87_877:
	s_delay_alu instid0(SALU_CYCLE_1)
	s_and_b32 vcc_lo, exec_lo, s51
	s_cbranch_vccz .LBB87_881
; %bb.878:
	s_cmp_eq_u32 s35, 11
	s_cbranch_scc0 .LBB87_880
; %bb.879:
	s_wait_loadcnt 0x0
	global_load_u8 v3, v[10:11], off
	s_mov_b32 s88, 0
	s_mov_b32 s50, -1
	s_wait_loadcnt 0x0
	v_cmp_ne_u16_e32 vcc_lo, 0, v3
	v_cndmask_b32_e64 v3, 0, 1, vcc_lo
	s_branch .LBB87_881
.LBB87_880:
	s_mov_b32 s88, -1
                                        ; implicit-def: $vgpr3
.LBB87_881:
	s_mov_b32 s35, 0
.LBB87_882:
	s_delay_alu instid0(SALU_CYCLE_1)
	s_and_b32 vcc_lo, exec_lo, s35
	s_cbranch_vccz .LBB87_931
; %bb.883:
	s_and_b32 s0, 0xffff, s0
	s_delay_alu instid0(SALU_CYCLE_1)
	s_cmp_lt_i32 s0, 5
	s_cbranch_scc1 .LBB87_888
; %bb.884:
	s_cmp_lt_i32 s0, 8
	s_cbranch_scc1 .LBB87_889
; %bb.885:
	;; [unrolled: 3-line block ×3, first 2 shown]
	s_cmp_gt_i32 s0, 9
	s_cbranch_scc0 .LBB87_891
; %bb.887:
	global_load_b64 v[12:13], v[10:11], off
	s_mov_b32 s35, 0
	s_wait_loadcnt 0x0
	v_cvt_i32_f64_e32 v3, v[12:13]
	s_branch .LBB87_892
.LBB87_888:
	s_mov_b32 s35, -1
                                        ; implicit-def: $vgpr3
	s_branch .LBB87_910
.LBB87_889:
	s_mov_b32 s35, -1
                                        ; implicit-def: $vgpr3
	s_branch .LBB87_898
.LBB87_890:
	s_mov_b32 s35, -1
                                        ; implicit-def: $vgpr3
	s_branch .LBB87_895
.LBB87_891:
	s_mov_b32 s35, -1
                                        ; implicit-def: $vgpr3
.LBB87_892:
	s_delay_alu instid0(SALU_CYCLE_1)
	s_and_not1_b32 vcc_lo, exec_lo, s35
	s_cbranch_vccnz .LBB87_894
; %bb.893:
	s_wait_loadcnt 0x0
	global_load_b32 v3, v[10:11], off
	s_wait_loadcnt 0x0
	v_cvt_i32_f32_e32 v3, v3
.LBB87_894:
	s_mov_b32 s35, 0
.LBB87_895:
	s_delay_alu instid0(SALU_CYCLE_1)
	s_and_not1_b32 vcc_lo, exec_lo, s35
	s_cbranch_vccnz .LBB87_897
; %bb.896:
	s_wait_loadcnt 0x0
	global_load_b32 v3, v[10:11], off
	s_wait_loadcnt 0x0
	v_cvt_f32_f16_e32 v3, v3
	s_delay_alu instid0(VALU_DEP_1)
	v_cvt_i32_f32_e32 v3, v3
.LBB87_897:
	s_mov_b32 s35, 0
.LBB87_898:
	s_delay_alu instid0(SALU_CYCLE_1)
	s_and_not1_b32 vcc_lo, exec_lo, s35
	s_cbranch_vccnz .LBB87_909
; %bb.899:
	s_cmp_lt_i32 s0, 6
	s_cbranch_scc1 .LBB87_902
; %bb.900:
	s_cmp_gt_i32 s0, 6
	s_cbranch_scc0 .LBB87_903
; %bb.901:
	global_load_b64 v[12:13], v[10:11], off
	s_mov_b32 s35, 0
	s_wait_loadcnt 0x0
	v_cvt_i32_f64_e32 v3, v[12:13]
	s_branch .LBB87_904
.LBB87_902:
	s_mov_b32 s35, -1
                                        ; implicit-def: $vgpr3
	s_branch .LBB87_907
.LBB87_903:
	s_mov_b32 s35, -1
                                        ; implicit-def: $vgpr3
.LBB87_904:
	s_delay_alu instid0(SALU_CYCLE_1)
	s_and_not1_b32 vcc_lo, exec_lo, s35
	s_cbranch_vccnz .LBB87_906
; %bb.905:
	s_wait_loadcnt 0x0
	global_load_b32 v3, v[10:11], off
	s_wait_loadcnt 0x0
	v_cvt_i32_f32_e32 v3, v3
.LBB87_906:
	s_mov_b32 s35, 0
.LBB87_907:
	s_delay_alu instid0(SALU_CYCLE_1)
	s_and_not1_b32 vcc_lo, exec_lo, s35
	s_cbranch_vccnz .LBB87_909
; %bb.908:
	s_wait_loadcnt 0x0
	global_load_u16 v3, v[10:11], off
	s_wait_loadcnt 0x0
	v_cvt_f32_f16_e32 v3, v3
	s_delay_alu instid0(VALU_DEP_1)
	v_cvt_i32_f32_e32 v3, v3
.LBB87_909:
	s_mov_b32 s35, 0
.LBB87_910:
	s_delay_alu instid0(SALU_CYCLE_1)
	s_and_not1_b32 vcc_lo, exec_lo, s35
	s_cbranch_vccnz .LBB87_930
; %bb.911:
	s_cmp_lt_i32 s0, 2
	s_cbranch_scc1 .LBB87_915
; %bb.912:
	s_cmp_lt_i32 s0, 3
	s_cbranch_scc1 .LBB87_916
; %bb.913:
	s_cmp_gt_i32 s0, 3
	s_cbranch_scc0 .LBB87_917
; %bb.914:
	s_wait_loadcnt 0x0
	global_load_b32 v3, v[10:11], off
	s_mov_b32 s35, 0
	s_branch .LBB87_918
.LBB87_915:
	s_mov_b32 s35, -1
                                        ; implicit-def: $vgpr3
	s_branch .LBB87_924
.LBB87_916:
	s_mov_b32 s35, -1
                                        ; implicit-def: $vgpr3
	s_branch .LBB87_921
.LBB87_917:
	s_mov_b32 s35, -1
                                        ; implicit-def: $vgpr3
.LBB87_918:
	s_delay_alu instid0(SALU_CYCLE_1)
	s_and_not1_b32 vcc_lo, exec_lo, s35
	s_cbranch_vccnz .LBB87_920
; %bb.919:
	s_wait_loadcnt 0x0
	global_load_b32 v3, v[10:11], off
.LBB87_920:
	s_mov_b32 s35, 0
.LBB87_921:
	s_delay_alu instid0(SALU_CYCLE_1)
	s_and_not1_b32 vcc_lo, exec_lo, s35
	s_cbranch_vccnz .LBB87_923
; %bb.922:
	s_wait_loadcnt 0x0
	global_load_i16 v3, v[10:11], off
.LBB87_923:
	s_mov_b32 s35, 0
.LBB87_924:
	s_delay_alu instid0(SALU_CYCLE_1)
	s_and_not1_b32 vcc_lo, exec_lo, s35
	s_cbranch_vccnz .LBB87_930
; %bb.925:
	s_cmp_gt_i32 s0, 0
	s_mov_b32 s0, 0
	s_cbranch_scc0 .LBB87_927
; %bb.926:
	s_wait_loadcnt 0x0
	global_load_i8 v3, v[10:11], off
	s_branch .LBB87_928
.LBB87_927:
	s_mov_b32 s0, -1
                                        ; implicit-def: $vgpr3
.LBB87_928:
	s_delay_alu instid0(SALU_CYCLE_1)
	s_and_not1_b32 vcc_lo, exec_lo, s0
	s_cbranch_vccnz .LBB87_930
; %bb.929:
	s_wait_loadcnt 0x0
	global_load_u8 v3, v[10:11], off
.LBB87_930:
	s_mov_b32 s50, -1
.LBB87_931:
	s_delay_alu instid0(SALU_CYCLE_1)
	s_and_not1_b32 vcc_lo, exec_lo, s50
	s_cbranch_vccnz .LBB87_939
; %bb.932:
	s_load_b256 s[4:11], s[2:3], 0x248
	v_mov_b32_e32 v9, 0
	s_and_b32 s0, s44, 0xff
	s_delay_alu instid0(SALU_CYCLE_1) | instskip(SKIP_1) | instid1(VALU_DEP_1)
	s_cmp_lt_i32 s0, 11
	s_wait_kmcnt 0x0
	v_add_nc_u64_e32 v[10:11], s[10:11], v[8:9]
	s_cbranch_scc1 .LBB87_940
; %bb.933:
	s_and_b32 s35, 0xffff, s0
	s_delay_alu instid0(SALU_CYCLE_1)
	s_cmp_gt_i32 s35, 25
	s_cbranch_scc0 .LBB87_941
; %bb.934:
	s_cmp_gt_i32 s35, 28
	s_cbranch_scc0 .LBB87_942
; %bb.935:
	;; [unrolled: 3-line block ×4, first 2 shown]
	s_cmp_eq_u32 s35, 46
	s_mov_b32 s51, 0
	s_cbranch_scc0 .LBB87_946
; %bb.938:
	global_load_b32 v5, v[10:11], off
	s_mov_b32 s50, -1
	s_mov_b32 s87, 0
	s_wait_loadcnt 0x0
	v_lshlrev_b32_e32 v5, 16, v5
	s_delay_alu instid0(VALU_DEP_1)
	v_cvt_i32_f32_e32 v8, v5
	s_branch .LBB87_948
.LBB87_939:
	s_mov_b32 s0, 0
	s_mov_b32 s35, s60
	s_mov_b32 s50, s61
	s_mov_b32 s51, s77
	s_mov_b32 s53, s78
	s_mov_b32 s52, s79
	s_mov_b32 s89, s80
	s_mov_b32 s90, s81
	s_mov_b32 s87, s82
	s_branch .LBB87_1324
.LBB87_940:
	s_mov_b32 s35, -1
	s_mov_b32 s50, 0
	s_mov_b32 s87, s82
                                        ; implicit-def: $vgpr8
	s_branch .LBB87_1009
.LBB87_941:
	s_mov_b32 s51, -1
	s_mov_b32 s50, 0
	s_mov_b32 s87, s82
                                        ; implicit-def: $vgpr8
	s_branch .LBB87_975
.LBB87_942:
	s_mov_b32 s51, -1
	s_mov_b32 s50, 0
	s_mov_b32 s87, s82
                                        ; implicit-def: $vgpr8
	s_branch .LBB87_958
.LBB87_943:
	s_mov_b32 s51, -1
	s_mov_b32 s50, 0
	s_mov_b32 s87, s82
                                        ; implicit-def: $vgpr8
	s_branch .LBB87_953
.LBB87_944:
	s_mov_b32 s51, -1
	s_mov_b32 s50, 0
	s_mov_b32 s87, s82
	s_branch .LBB87_947
.LBB87_945:
	s_mov_b32 s54, -1
	s_mov_b32 s50, 0
	s_mov_b32 s53, 0
	s_branch .LBB87_1894
.LBB87_946:
	s_mov_b32 s87, -1
	s_mov_b32 s50, 0
.LBB87_947:
                                        ; implicit-def: $vgpr8
.LBB87_948:
	s_and_b32 vcc_lo, exec_lo, s51
	s_cbranch_vccz .LBB87_952
; %bb.949:
	s_cmp_eq_u32 s35, 44
	s_cbranch_scc0 .LBB87_951
; %bb.950:
	global_load_u8 v5, v[10:11], off
	s_mov_b32 s87, 0
	s_mov_b32 s50, -1
	s_wait_loadcnt 0x0
	v_lshlrev_b32_e32 v7, 23, v5
	v_cmp_ne_u32_e32 vcc_lo, 0, v5
	s_delay_alu instid0(VALU_DEP_2) | instskip(NEXT) | instid1(VALU_DEP_1)
	v_cvt_i32_f32_e32 v7, v7
	v_cndmask_b32_e32 v8, 0, v7, vcc_lo
	s_branch .LBB87_952
.LBB87_951:
	s_mov_b32 s87, -1
                                        ; implicit-def: $vgpr8
.LBB87_952:
	s_mov_b32 s51, 0
.LBB87_953:
	s_delay_alu instid0(SALU_CYCLE_1)
	s_and_b32 vcc_lo, exec_lo, s51
	s_cbranch_vccz .LBB87_957
; %bb.954:
	s_cmp_eq_u32 s35, 29
	s_cbranch_scc0 .LBB87_956
; %bb.955:
	global_load_b32 v8, v[10:11], off
	s_mov_b32 s50, -1
	s_mov_b32 s87, 0
	s_branch .LBB87_957
.LBB87_956:
	s_mov_b32 s87, -1
                                        ; implicit-def: $vgpr8
.LBB87_957:
	s_mov_b32 s51, 0
.LBB87_958:
	s_delay_alu instid0(SALU_CYCLE_1)
	s_and_b32 vcc_lo, exec_lo, s51
	s_cbranch_vccz .LBB87_974
; %bb.959:
	s_cmp_lt_i32 s35, 27
	s_cbranch_scc1 .LBB87_962
; %bb.960:
	s_cmp_gt_i32 s35, 27
	s_cbranch_scc0 .LBB87_963
; %bb.961:
	s_wait_loadcnt 0x0
	global_load_b32 v8, v[10:11], off
	s_mov_b32 s50, 0
	s_branch .LBB87_964
.LBB87_962:
	s_mov_b32 s50, -1
                                        ; implicit-def: $vgpr8
	s_branch .LBB87_967
.LBB87_963:
	s_mov_b32 s50, -1
                                        ; implicit-def: $vgpr8
.LBB87_964:
	s_delay_alu instid0(SALU_CYCLE_1)
	s_and_not1_b32 vcc_lo, exec_lo, s50
	s_cbranch_vccnz .LBB87_966
; %bb.965:
	s_wait_loadcnt 0x0
	global_load_u16 v8, v[10:11], off
.LBB87_966:
	s_mov_b32 s50, 0
.LBB87_967:
	s_delay_alu instid0(SALU_CYCLE_1)
	s_and_not1_b32 vcc_lo, exec_lo, s50
	s_cbranch_vccnz .LBB87_973
; %bb.968:
	global_load_u8 v5, v[10:11], off
	s_mov_b32 s51, 0
	s_mov_b32 s4, exec_lo
	s_wait_loadcnt 0x0
	v_cmpx_lt_i16_e32 0x7f, v5
	s_xor_b32 s50, exec_lo, s4
	s_cbranch_execz .LBB87_985
; %bb.969:
	v_cmp_ne_u16_e32 vcc_lo, 0x80, v5
	s_and_b32 s51, vcc_lo, exec_lo
	s_and_not1_saveexec_b32 s50, s50
	s_cbranch_execnz .LBB87_986
.LBB87_970:
	s_or_b32 exec_lo, exec_lo, s50
	v_mov_b32_e32 v8, 0
	s_and_saveexec_b32 s50, s51
	s_cbranch_execz .LBB87_972
.LBB87_971:
	v_and_b32_e32 v7, 0xffff, v5
	s_delay_alu instid0(VALU_DEP_1) | instskip(SKIP_1) | instid1(VALU_DEP_2)
	v_and_b32_e32 v8, 7, v7
	v_bfe_u32 v13, v7, 3, 4
	v_clz_i32_u32_e32 v9, v8
	s_delay_alu instid0(VALU_DEP_2) | instskip(NEXT) | instid1(VALU_DEP_2)
	v_cmp_eq_u32_e32 vcc_lo, 0, v13
	v_min_u32_e32 v9, 32, v9
	s_delay_alu instid0(VALU_DEP_1) | instskip(NEXT) | instid1(VALU_DEP_1)
	v_subrev_nc_u32_e32 v12, 28, v9
	v_dual_lshlrev_b32 v7, v12, v7 :: v_dual_sub_nc_u32 v9, 29, v9
	s_delay_alu instid0(VALU_DEP_1) | instskip(NEXT) | instid1(VALU_DEP_1)
	v_dual_lshlrev_b32 v5, 24, v5 :: v_dual_bitop2_b32 v7, 7, v7 bitop3:0x40
	v_dual_cndmask_b32 v7, v8, v7, vcc_lo :: v_dual_cndmask_b32 v9, v13, v9, vcc_lo
	s_delay_alu instid0(VALU_DEP_2) | instskip(NEXT) | instid1(VALU_DEP_2)
	v_and_b32_e32 v5, 0x80000000, v5
	v_lshlrev_b32_e32 v7, 20, v7
	s_delay_alu instid0(VALU_DEP_3) | instskip(NEXT) | instid1(VALU_DEP_1)
	v_lshl_add_u32 v8, v9, 23, 0x3b800000
	v_or3_b32 v5, v5, v8, v7
	s_delay_alu instid0(VALU_DEP_1)
	v_cvt_i32_f32_e32 v8, v5
.LBB87_972:
	s_or_b32 exec_lo, exec_lo, s50
.LBB87_973:
	s_mov_b32 s50, -1
.LBB87_974:
	s_mov_b32 s51, 0
.LBB87_975:
	s_delay_alu instid0(SALU_CYCLE_1)
	s_and_b32 vcc_lo, exec_lo, s51
	s_cbranch_vccz .LBB87_1008
; %bb.976:
	s_cmp_gt_i32 s35, 22
	s_cbranch_scc0 .LBB87_984
; %bb.977:
	s_cmp_lt_i32 s35, 24
	s_cbranch_scc1 .LBB87_987
; %bb.978:
	s_cmp_gt_i32 s35, 24
	s_cbranch_scc0 .LBB87_988
; %bb.979:
	global_load_u8 v5, v[10:11], off
	s_mov_b32 s51, 0
	s_mov_b32 s4, exec_lo
	s_wait_loadcnt 0x0
	v_cmpx_lt_i16_e32 0x7f, v5
	s_xor_b32 s50, exec_lo, s4
	s_cbranch_execz .LBB87_1000
; %bb.980:
	v_cmp_ne_u16_e32 vcc_lo, 0x80, v5
	s_and_b32 s51, vcc_lo, exec_lo
	s_and_not1_saveexec_b32 s50, s50
	s_cbranch_execnz .LBB87_1001
.LBB87_981:
	s_or_b32 exec_lo, exec_lo, s50
	v_mov_b32_e32 v8, 0
	s_and_saveexec_b32 s50, s51
	s_cbranch_execz .LBB87_983
.LBB87_982:
	v_and_b32_e32 v7, 0xffff, v5
	s_delay_alu instid0(VALU_DEP_1) | instskip(SKIP_1) | instid1(VALU_DEP_2)
	v_and_b32_e32 v8, 3, v7
	v_bfe_u32 v13, v7, 2, 5
	v_clz_i32_u32_e32 v9, v8
	s_delay_alu instid0(VALU_DEP_2) | instskip(NEXT) | instid1(VALU_DEP_2)
	v_cmp_eq_u32_e32 vcc_lo, 0, v13
	v_min_u32_e32 v9, 32, v9
	s_delay_alu instid0(VALU_DEP_1) | instskip(NEXT) | instid1(VALU_DEP_1)
	v_subrev_nc_u32_e32 v12, 29, v9
	v_dual_lshlrev_b32 v7, v12, v7 :: v_dual_sub_nc_u32 v9, 30, v9
	s_delay_alu instid0(VALU_DEP_1) | instskip(NEXT) | instid1(VALU_DEP_1)
	v_dual_lshlrev_b32 v5, 24, v5 :: v_dual_bitop2_b32 v7, 3, v7 bitop3:0x40
	v_dual_cndmask_b32 v7, v8, v7, vcc_lo :: v_dual_cndmask_b32 v9, v13, v9, vcc_lo
	s_delay_alu instid0(VALU_DEP_2) | instskip(NEXT) | instid1(VALU_DEP_2)
	v_and_b32_e32 v5, 0x80000000, v5
	v_lshlrev_b32_e32 v7, 21, v7
	s_delay_alu instid0(VALU_DEP_3) | instskip(NEXT) | instid1(VALU_DEP_1)
	v_lshl_add_u32 v8, v9, 23, 0x37800000
	v_or3_b32 v5, v5, v8, v7
	s_delay_alu instid0(VALU_DEP_1)
	v_cvt_i32_f32_e32 v8, v5
.LBB87_983:
	s_or_b32 exec_lo, exec_lo, s50
	s_mov_b32 s50, 0
	s_branch .LBB87_989
.LBB87_984:
	s_mov_b32 s51, -1
                                        ; implicit-def: $vgpr8
	s_branch .LBB87_995
.LBB87_985:
	s_and_not1_saveexec_b32 s50, s50
	s_cbranch_execz .LBB87_970
.LBB87_986:
	v_cmp_ne_u16_e32 vcc_lo, 0, v5
	s_and_not1_b32 s4, s51, exec_lo
	s_and_b32 s5, vcc_lo, exec_lo
	s_delay_alu instid0(SALU_CYCLE_1)
	s_or_b32 s51, s4, s5
	s_or_b32 exec_lo, exec_lo, s50
	v_mov_b32_e32 v8, 0
	s_and_saveexec_b32 s50, s51
	s_cbranch_execnz .LBB87_971
	s_branch .LBB87_972
.LBB87_987:
	s_mov_b32 s50, -1
                                        ; implicit-def: $vgpr8
	s_branch .LBB87_992
.LBB87_988:
	s_mov_b32 s50, -1
                                        ; implicit-def: $vgpr8
.LBB87_989:
	s_delay_alu instid0(SALU_CYCLE_1)
	s_and_b32 vcc_lo, exec_lo, s50
	s_cbranch_vccz .LBB87_991
; %bb.990:
	global_load_u8 v5, v[10:11], off
	s_wait_loadcnt 0x0
	v_lshlrev_b32_e32 v5, 24, v5
	s_delay_alu instid0(VALU_DEP_1) | instskip(NEXT) | instid1(VALU_DEP_1)
	v_and_b32_e32 v7, 0x7f000000, v5
	v_clz_i32_u32_e32 v8, v7
	v_cmp_ne_u32_e32 vcc_lo, 0, v7
	v_add_nc_u32_e32 v12, 0x1000000, v7
	s_delay_alu instid0(VALU_DEP_3) | instskip(NEXT) | instid1(VALU_DEP_1)
	v_min_u32_e32 v8, 32, v8
	v_sub_nc_u32_e64 v8, v8, 4 clamp
	s_delay_alu instid0(VALU_DEP_1) | instskip(NEXT) | instid1(VALU_DEP_1)
	v_dual_lshlrev_b32 v9, v8, v7 :: v_dual_lshlrev_b32 v8, 23, v8
	v_lshrrev_b32_e32 v9, 4, v9
	s_delay_alu instid0(VALU_DEP_1) | instskip(SKIP_1) | instid1(VALU_DEP_2)
	v_sub_nc_u32_e32 v8, v9, v8
	v_ashrrev_i32_e32 v9, 8, v12
	v_add_nc_u32_e32 v8, 0x3c000000, v8
	s_delay_alu instid0(VALU_DEP_1) | instskip(NEXT) | instid1(VALU_DEP_1)
	v_and_or_b32 v8, 0x7f800000, v9, v8
	v_cndmask_b32_e32 v7, 0, v8, vcc_lo
	s_delay_alu instid0(VALU_DEP_1) | instskip(NEXT) | instid1(VALU_DEP_1)
	v_and_or_b32 v5, 0x80000000, v5, v7
	v_cvt_i32_f32_e32 v8, v5
.LBB87_991:
	s_mov_b32 s50, 0
.LBB87_992:
	s_delay_alu instid0(SALU_CYCLE_1)
	s_and_not1_b32 vcc_lo, exec_lo, s50
	s_cbranch_vccnz .LBB87_994
; %bb.993:
	global_load_u8 v5, v[10:11], off
	s_wait_loadcnt 0x0
	v_lshlrev_b32_e32 v7, 25, v5
	v_lshlrev_b16 v5, 8, v5
	s_delay_alu instid0(VALU_DEP_1) | instskip(NEXT) | instid1(VALU_DEP_3)
	v_and_or_b32 v9, 0x7f00, v5, 0.5
	v_lshrrev_b32_e32 v8, 4, v7
	v_bfe_i32 v5, v5, 0, 16
	s_delay_alu instid0(VALU_DEP_3) | instskip(NEXT) | instid1(VALU_DEP_3)
	v_add_f32_e32 v9, -0.5, v9
	v_or_b32_e32 v8, 0x70000000, v8
	s_delay_alu instid0(VALU_DEP_1) | instskip(SKIP_1) | instid1(VALU_DEP_2)
	v_mul_f32_e32 v8, 0x7800000, v8
	v_cmp_gt_u32_e32 vcc_lo, 0x8000000, v7
	v_cndmask_b32_e32 v7, v8, v9, vcc_lo
	s_delay_alu instid0(VALU_DEP_1) | instskip(NEXT) | instid1(VALU_DEP_1)
	v_and_or_b32 v5, 0x80000000, v5, v7
	v_cvt_i32_f32_e32 v8, v5
.LBB87_994:
	s_mov_b32 s51, 0
	s_mov_b32 s50, -1
.LBB87_995:
	s_and_not1_b32 vcc_lo, exec_lo, s51
	s_cbranch_vccnz .LBB87_1008
; %bb.996:
	s_cmp_gt_i32 s35, 14
	s_cbranch_scc0 .LBB87_999
; %bb.997:
	s_cmp_eq_u32 s35, 15
	s_cbranch_scc0 .LBB87_1002
; %bb.998:
	global_load_u16 v5, v[10:11], off
	s_mov_b32 s50, -1
	s_mov_b32 s87, 0
	s_wait_loadcnt 0x0
	v_lshlrev_b32_e32 v5, 16, v5
	s_delay_alu instid0(VALU_DEP_1)
	v_cvt_i32_f32_e32 v8, v5
	s_branch .LBB87_1003
.LBB87_999:
	s_mov_b32 s51, -1
                                        ; implicit-def: $vgpr8
	s_branch .LBB87_1004
.LBB87_1000:
	s_and_not1_saveexec_b32 s50, s50
	s_cbranch_execz .LBB87_981
.LBB87_1001:
	v_cmp_ne_u16_e32 vcc_lo, 0, v5
	s_and_not1_b32 s4, s51, exec_lo
	s_and_b32 s5, vcc_lo, exec_lo
	s_delay_alu instid0(SALU_CYCLE_1)
	s_or_b32 s51, s4, s5
	s_or_b32 exec_lo, exec_lo, s50
	v_mov_b32_e32 v8, 0
	s_and_saveexec_b32 s50, s51
	s_cbranch_execnz .LBB87_982
	s_branch .LBB87_983
.LBB87_1002:
	s_mov_b32 s87, -1
                                        ; implicit-def: $vgpr8
.LBB87_1003:
	s_mov_b32 s51, 0
.LBB87_1004:
	s_delay_alu instid0(SALU_CYCLE_1)
	s_and_b32 vcc_lo, exec_lo, s51
	s_cbranch_vccz .LBB87_1008
; %bb.1005:
	s_cmp_eq_u32 s35, 11
	s_cbranch_scc0 .LBB87_1007
; %bb.1006:
	global_load_u8 v5, v[10:11], off
	s_mov_b32 s87, 0
	s_mov_b32 s50, -1
	s_wait_loadcnt 0x0
	v_cmp_ne_u16_e32 vcc_lo, 0, v5
	v_cndmask_b32_e64 v8, 0, 1, vcc_lo
	s_branch .LBB87_1008
.LBB87_1007:
	s_mov_b32 s87, -1
                                        ; implicit-def: $vgpr8
.LBB87_1008:
	s_mov_b32 s35, 0
.LBB87_1009:
	s_delay_alu instid0(SALU_CYCLE_1)
	s_and_b32 vcc_lo, exec_lo, s35
	s_cbranch_vccz .LBB87_1058
; %bb.1010:
	s_and_b32 s0, 0xffff, s0
	s_delay_alu instid0(SALU_CYCLE_1)
	s_cmp_lt_i32 s0, 5
	s_cbranch_scc1 .LBB87_1015
; %bb.1011:
	s_cmp_lt_i32 s0, 8
	s_cbranch_scc1 .LBB87_1016
; %bb.1012:
	;; [unrolled: 3-line block ×3, first 2 shown]
	s_cmp_gt_i32 s0, 9
	s_cbranch_scc0 .LBB87_1018
; %bb.1014:
	s_wait_loadcnt 0x0
	global_load_b64 v[8:9], v[10:11], off
	s_mov_b32 s35, 0
	s_wait_loadcnt 0x0
	v_cvt_i32_f64_e32 v8, v[8:9]
	s_branch .LBB87_1019
.LBB87_1015:
	s_mov_b32 s35, -1
                                        ; implicit-def: $vgpr8
	s_branch .LBB87_1037
.LBB87_1016:
	s_mov_b32 s35, -1
                                        ; implicit-def: $vgpr8
	s_branch .LBB87_1025
.LBB87_1017:
	s_mov_b32 s35, -1
                                        ; implicit-def: $vgpr8
	s_branch .LBB87_1022
.LBB87_1018:
	s_mov_b32 s35, -1
                                        ; implicit-def: $vgpr8
.LBB87_1019:
	s_delay_alu instid0(SALU_CYCLE_1)
	s_and_not1_b32 vcc_lo, exec_lo, s35
	s_cbranch_vccnz .LBB87_1021
; %bb.1020:
	global_load_b32 v5, v[10:11], off
	s_wait_loadcnt 0x0
	v_cvt_i32_f32_e32 v8, v5
.LBB87_1021:
	s_mov_b32 s35, 0
.LBB87_1022:
	s_delay_alu instid0(SALU_CYCLE_1)
	s_and_not1_b32 vcc_lo, exec_lo, s35
	s_cbranch_vccnz .LBB87_1024
; %bb.1023:
	global_load_b32 v5, v[10:11], off
	s_wait_loadcnt 0x0
	v_cvt_f32_f16_e32 v5, v5
	s_delay_alu instid0(VALU_DEP_1)
	v_cvt_i32_f32_e32 v8, v5
.LBB87_1024:
	s_mov_b32 s35, 0
.LBB87_1025:
	s_delay_alu instid0(SALU_CYCLE_1)
	s_and_not1_b32 vcc_lo, exec_lo, s35
	s_cbranch_vccnz .LBB87_1036
; %bb.1026:
	s_cmp_lt_i32 s0, 6
	s_cbranch_scc1 .LBB87_1029
; %bb.1027:
	s_cmp_gt_i32 s0, 6
	s_cbranch_scc0 .LBB87_1030
; %bb.1028:
	s_wait_loadcnt 0x0
	global_load_b64 v[8:9], v[10:11], off
	s_mov_b32 s35, 0
	s_wait_loadcnt 0x0
	v_cvt_i32_f64_e32 v8, v[8:9]
	s_branch .LBB87_1031
.LBB87_1029:
	s_mov_b32 s35, -1
                                        ; implicit-def: $vgpr8
	s_branch .LBB87_1034
.LBB87_1030:
	s_mov_b32 s35, -1
                                        ; implicit-def: $vgpr8
.LBB87_1031:
	s_delay_alu instid0(SALU_CYCLE_1)
	s_and_not1_b32 vcc_lo, exec_lo, s35
	s_cbranch_vccnz .LBB87_1033
; %bb.1032:
	global_load_b32 v5, v[10:11], off
	s_wait_loadcnt 0x0
	v_cvt_i32_f32_e32 v8, v5
.LBB87_1033:
	s_mov_b32 s35, 0
.LBB87_1034:
	s_delay_alu instid0(SALU_CYCLE_1)
	s_and_not1_b32 vcc_lo, exec_lo, s35
	s_cbranch_vccnz .LBB87_1036
; %bb.1035:
	global_load_u16 v5, v[10:11], off
	s_wait_loadcnt 0x0
	v_cvt_f32_f16_e32 v5, v5
	s_delay_alu instid0(VALU_DEP_1)
	v_cvt_i32_f32_e32 v8, v5
.LBB87_1036:
	s_mov_b32 s35, 0
.LBB87_1037:
	s_delay_alu instid0(SALU_CYCLE_1)
	s_and_not1_b32 vcc_lo, exec_lo, s35
	s_cbranch_vccnz .LBB87_1057
; %bb.1038:
	s_cmp_lt_i32 s0, 2
	s_cbranch_scc1 .LBB87_1042
; %bb.1039:
	s_cmp_lt_i32 s0, 3
	s_cbranch_scc1 .LBB87_1043
; %bb.1040:
	s_cmp_gt_i32 s0, 3
	s_cbranch_scc0 .LBB87_1044
; %bb.1041:
	s_wait_loadcnt 0x0
	global_load_b32 v8, v[10:11], off
	s_mov_b32 s35, 0
	s_branch .LBB87_1045
.LBB87_1042:
	s_mov_b32 s35, -1
                                        ; implicit-def: $vgpr8
	s_branch .LBB87_1051
.LBB87_1043:
	s_mov_b32 s35, -1
                                        ; implicit-def: $vgpr8
	s_branch .LBB87_1048
.LBB87_1044:
	s_mov_b32 s35, -1
                                        ; implicit-def: $vgpr8
.LBB87_1045:
	s_delay_alu instid0(SALU_CYCLE_1)
	s_and_not1_b32 vcc_lo, exec_lo, s35
	s_cbranch_vccnz .LBB87_1047
; %bb.1046:
	s_wait_loadcnt 0x0
	global_load_b32 v8, v[10:11], off
.LBB87_1047:
	s_mov_b32 s35, 0
.LBB87_1048:
	s_delay_alu instid0(SALU_CYCLE_1)
	s_and_not1_b32 vcc_lo, exec_lo, s35
	s_cbranch_vccnz .LBB87_1050
; %bb.1049:
	s_wait_loadcnt 0x0
	global_load_i16 v8, v[10:11], off
.LBB87_1050:
	s_mov_b32 s35, 0
.LBB87_1051:
	s_delay_alu instid0(SALU_CYCLE_1)
	s_and_not1_b32 vcc_lo, exec_lo, s35
	s_cbranch_vccnz .LBB87_1057
; %bb.1052:
	s_cmp_gt_i32 s0, 0
	s_mov_b32 s0, 0
	s_cbranch_scc0 .LBB87_1054
; %bb.1053:
	s_wait_loadcnt 0x0
	global_load_i8 v8, v[10:11], off
	s_branch .LBB87_1055
.LBB87_1054:
	s_mov_b32 s0, -1
                                        ; implicit-def: $vgpr8
.LBB87_1055:
	s_delay_alu instid0(SALU_CYCLE_1)
	s_and_not1_b32 vcc_lo, exec_lo, s0
	s_cbranch_vccnz .LBB87_1057
; %bb.1056:
	s_wait_loadcnt 0x0
	global_load_u8 v8, v[10:11], off
.LBB87_1057:
	s_mov_b32 s50, -1
.LBB87_1058:
	s_delay_alu instid0(SALU_CYCLE_1)
	s_and_not1_b32 vcc_lo, exec_lo, s50
	s_cbranch_vccnz .LBB87_1066
; %bb.1059:
	v_mov_b32_e32 v7, 0
	s_and_b32 s0, s23, 0xff
	s_delay_alu instid0(SALU_CYCLE_1) | instskip(SKIP_1) | instid1(VALU_DEP_1)
	s_cmp_lt_i32 s0, 11
	s_wait_xcnt 0x0
	v_add_nc_u64_e32 v[10:11], s[28:29], v[6:7]
	s_cbranch_scc1 .LBB87_1067
; %bb.1060:
	s_and_b32 s35, 0xffff, s0
	s_delay_alu instid0(SALU_CYCLE_1)
	s_cmp_gt_i32 s35, 25
	s_cbranch_scc0 .LBB87_1068
; %bb.1061:
	s_cmp_gt_i32 s35, 28
	s_cbranch_scc0 .LBB87_1069
; %bb.1062:
	;; [unrolled: 3-line block ×4, first 2 shown]
	s_cmp_eq_u32 s35, 46
	s_mov_b32 s51, 0
	s_cbranch_scc0 .LBB87_1073
; %bb.1065:
	global_load_b32 v5, v[10:11], off
	s_mov_b32 s50, -1
	s_mov_b32 s90, 0
	s_wait_loadcnt 0x0
	v_lshlrev_b32_e32 v5, 16, v5
	s_delay_alu instid0(VALU_DEP_1)
	v_cvt_i32_f32_e32 v6, v5
	s_branch .LBB87_1075
.LBB87_1066:
	s_mov_b32 s0, 0
	s_mov_b32 s35, s60
	;; [unrolled: 1-line block ×8, first 2 shown]
	s_branch .LBB87_1324
.LBB87_1067:
	s_mov_b32 s35, -1
	s_mov_b32 s50, 0
	s_mov_b32 s90, s81
                                        ; implicit-def: $vgpr6
	s_branch .LBB87_1136
.LBB87_1068:
	s_mov_b32 s51, -1
	s_mov_b32 s50, 0
	s_mov_b32 s90, s81
                                        ; implicit-def: $vgpr6
	s_branch .LBB87_1102
.LBB87_1069:
	s_mov_b32 s51, -1
	s_mov_b32 s50, 0
	s_mov_b32 s90, s81
                                        ; implicit-def: $vgpr6
	s_branch .LBB87_1085
.LBB87_1070:
	s_mov_b32 s51, -1
	s_mov_b32 s50, 0
	s_mov_b32 s90, s81
                                        ; implicit-def: $vgpr6
	s_branch .LBB87_1080
.LBB87_1071:
	s_mov_b32 s51, -1
	s_mov_b32 s50, 0
	s_mov_b32 s90, s81
	s_branch .LBB87_1074
.LBB87_1072:
	s_mov_b32 s54, -1
	s_mov_b32 s50, 0
	s_mov_b32 s53, 0
	s_branch .LBB87_1883
.LBB87_1073:
	s_mov_b32 s90, -1
	s_mov_b32 s50, 0
.LBB87_1074:
                                        ; implicit-def: $vgpr6
.LBB87_1075:
	s_and_b32 vcc_lo, exec_lo, s51
	s_cbranch_vccz .LBB87_1079
; %bb.1076:
	s_cmp_eq_u32 s35, 44
	s_cbranch_scc0 .LBB87_1078
; %bb.1077:
	global_load_u8 v5, v[10:11], off
	s_mov_b32 s90, 0
	s_mov_b32 s50, -1
	s_wait_loadcnt 0x0
	v_lshlrev_b32_e32 v6, 23, v5
	v_cmp_ne_u32_e32 vcc_lo, 0, v5
	s_delay_alu instid0(VALU_DEP_2) | instskip(NEXT) | instid1(VALU_DEP_1)
	v_cvt_i32_f32_e32 v6, v6
	v_cndmask_b32_e32 v6, 0, v6, vcc_lo
	s_branch .LBB87_1079
.LBB87_1078:
	s_mov_b32 s90, -1
                                        ; implicit-def: $vgpr6
.LBB87_1079:
	s_mov_b32 s51, 0
.LBB87_1080:
	s_delay_alu instid0(SALU_CYCLE_1)
	s_and_b32 vcc_lo, exec_lo, s51
	s_cbranch_vccz .LBB87_1084
; %bb.1081:
	s_cmp_eq_u32 s35, 29
	s_cbranch_scc0 .LBB87_1083
; %bb.1082:
	global_load_b32 v6, v[10:11], off
	s_mov_b32 s50, -1
	s_mov_b32 s90, 0
	s_branch .LBB87_1084
.LBB87_1083:
	s_mov_b32 s90, -1
                                        ; implicit-def: $vgpr6
.LBB87_1084:
	s_mov_b32 s51, 0
.LBB87_1085:
	s_delay_alu instid0(SALU_CYCLE_1)
	s_and_b32 vcc_lo, exec_lo, s51
	s_cbranch_vccz .LBB87_1101
; %bb.1086:
	s_cmp_lt_i32 s35, 27
	s_cbranch_scc1 .LBB87_1089
; %bb.1087:
	s_cmp_gt_i32 s35, 27
	s_cbranch_scc0 .LBB87_1090
; %bb.1088:
	s_wait_loadcnt 0x0
	global_load_b32 v6, v[10:11], off
	s_mov_b32 s50, 0
	s_branch .LBB87_1091
.LBB87_1089:
	s_mov_b32 s50, -1
                                        ; implicit-def: $vgpr6
	s_branch .LBB87_1094
.LBB87_1090:
	s_mov_b32 s50, -1
                                        ; implicit-def: $vgpr6
.LBB87_1091:
	s_delay_alu instid0(SALU_CYCLE_1)
	s_and_not1_b32 vcc_lo, exec_lo, s50
	s_cbranch_vccnz .LBB87_1093
; %bb.1092:
	s_wait_loadcnt 0x0
	global_load_u16 v6, v[10:11], off
.LBB87_1093:
	s_mov_b32 s50, 0
.LBB87_1094:
	s_delay_alu instid0(SALU_CYCLE_1)
	s_and_not1_b32 vcc_lo, exec_lo, s50
	s_cbranch_vccnz .LBB87_1100
; %bb.1095:
	global_load_u8 v5, v[10:11], off
	s_mov_b32 s51, 0
	s_mov_b32 s4, exec_lo
	s_wait_loadcnt 0x0
	v_cmpx_lt_i16_e32 0x7f, v5
	s_xor_b32 s50, exec_lo, s4
	s_cbranch_execz .LBB87_1112
; %bb.1096:
	v_cmp_ne_u16_e32 vcc_lo, 0x80, v5
	s_and_b32 s51, vcc_lo, exec_lo
	s_and_not1_saveexec_b32 s50, s50
	s_cbranch_execnz .LBB87_1113
.LBB87_1097:
	s_or_b32 exec_lo, exec_lo, s50
	v_mov_b32_e32 v6, 0
	s_and_saveexec_b32 s50, s51
	s_cbranch_execz .LBB87_1099
.LBB87_1098:
	v_and_b32_e32 v6, 0xffff, v5
	s_delay_alu instid0(VALU_DEP_1) | instskip(SKIP_1) | instid1(VALU_DEP_2)
	v_and_b32_e32 v7, 7, v6
	v_bfe_u32 v13, v6, 3, 4
	v_clz_i32_u32_e32 v9, v7
	s_delay_alu instid0(VALU_DEP_2) | instskip(NEXT) | instid1(VALU_DEP_2)
	v_cmp_eq_u32_e32 vcc_lo, 0, v13
	v_min_u32_e32 v9, 32, v9
	s_delay_alu instid0(VALU_DEP_1) | instskip(NEXT) | instid1(VALU_DEP_1)
	v_subrev_nc_u32_e32 v12, 28, v9
	v_dual_lshlrev_b32 v6, v12, v6 :: v_dual_sub_nc_u32 v9, 29, v9
	s_delay_alu instid0(VALU_DEP_1) | instskip(NEXT) | instid1(VALU_DEP_1)
	v_dual_lshlrev_b32 v5, 24, v5 :: v_dual_bitop2_b32 v6, 7, v6 bitop3:0x40
	v_dual_cndmask_b32 v6, v7, v6 :: v_dual_cndmask_b32 v9, v13, v9
	s_delay_alu instid0(VALU_DEP_2) | instskip(NEXT) | instid1(VALU_DEP_2)
	v_and_b32_e32 v5, 0x80000000, v5
	v_lshlrev_b32_e32 v6, 20, v6
	s_delay_alu instid0(VALU_DEP_3) | instskip(NEXT) | instid1(VALU_DEP_1)
	v_lshl_add_u32 v7, v9, 23, 0x3b800000
	v_or3_b32 v5, v5, v7, v6
	s_delay_alu instid0(VALU_DEP_1)
	v_cvt_i32_f32_e32 v6, v5
.LBB87_1099:
	s_or_b32 exec_lo, exec_lo, s50
.LBB87_1100:
	s_mov_b32 s50, -1
.LBB87_1101:
	s_mov_b32 s51, 0
.LBB87_1102:
	s_delay_alu instid0(SALU_CYCLE_1)
	s_and_b32 vcc_lo, exec_lo, s51
	s_cbranch_vccz .LBB87_1135
; %bb.1103:
	s_cmp_gt_i32 s35, 22
	s_cbranch_scc0 .LBB87_1111
; %bb.1104:
	s_cmp_lt_i32 s35, 24
	s_cbranch_scc1 .LBB87_1114
; %bb.1105:
	s_cmp_gt_i32 s35, 24
	s_cbranch_scc0 .LBB87_1115
; %bb.1106:
	global_load_u8 v5, v[10:11], off
	s_mov_b32 s51, 0
	s_mov_b32 s4, exec_lo
	s_wait_loadcnt 0x0
	v_cmpx_lt_i16_e32 0x7f, v5
	s_xor_b32 s50, exec_lo, s4
	s_cbranch_execz .LBB87_1127
; %bb.1107:
	v_cmp_ne_u16_e32 vcc_lo, 0x80, v5
	s_and_b32 s51, vcc_lo, exec_lo
	s_and_not1_saveexec_b32 s50, s50
	s_cbranch_execnz .LBB87_1128
.LBB87_1108:
	s_or_b32 exec_lo, exec_lo, s50
	v_mov_b32_e32 v6, 0
	s_and_saveexec_b32 s50, s51
	s_cbranch_execz .LBB87_1110
.LBB87_1109:
	v_and_b32_e32 v6, 0xffff, v5
	s_delay_alu instid0(VALU_DEP_1) | instskip(SKIP_1) | instid1(VALU_DEP_2)
	v_and_b32_e32 v7, 3, v6
	v_bfe_u32 v13, v6, 2, 5
	v_clz_i32_u32_e32 v9, v7
	s_delay_alu instid0(VALU_DEP_2) | instskip(NEXT) | instid1(VALU_DEP_2)
	v_cmp_eq_u32_e32 vcc_lo, 0, v13
	v_min_u32_e32 v9, 32, v9
	s_delay_alu instid0(VALU_DEP_1) | instskip(NEXT) | instid1(VALU_DEP_1)
	v_subrev_nc_u32_e32 v12, 29, v9
	v_dual_lshlrev_b32 v6, v12, v6 :: v_dual_sub_nc_u32 v9, 30, v9
	s_delay_alu instid0(VALU_DEP_1) | instskip(NEXT) | instid1(VALU_DEP_1)
	v_dual_lshlrev_b32 v5, 24, v5 :: v_dual_bitop2_b32 v6, 3, v6 bitop3:0x40
	v_dual_cndmask_b32 v6, v7, v6 :: v_dual_cndmask_b32 v9, v13, v9
	s_delay_alu instid0(VALU_DEP_2) | instskip(NEXT) | instid1(VALU_DEP_2)
	v_and_b32_e32 v5, 0x80000000, v5
	v_lshlrev_b32_e32 v6, 21, v6
	s_delay_alu instid0(VALU_DEP_3) | instskip(NEXT) | instid1(VALU_DEP_1)
	v_lshl_add_u32 v7, v9, 23, 0x37800000
	v_or3_b32 v5, v5, v7, v6
	s_delay_alu instid0(VALU_DEP_1)
	v_cvt_i32_f32_e32 v6, v5
.LBB87_1110:
	s_or_b32 exec_lo, exec_lo, s50
	s_mov_b32 s50, 0
	s_branch .LBB87_1116
.LBB87_1111:
	s_mov_b32 s51, -1
                                        ; implicit-def: $vgpr6
	s_branch .LBB87_1122
.LBB87_1112:
	s_and_not1_saveexec_b32 s50, s50
	s_cbranch_execz .LBB87_1097
.LBB87_1113:
	v_cmp_ne_u16_e32 vcc_lo, 0, v5
	s_and_not1_b32 s4, s51, exec_lo
	s_and_b32 s5, vcc_lo, exec_lo
	s_delay_alu instid0(SALU_CYCLE_1)
	s_or_b32 s51, s4, s5
	s_or_b32 exec_lo, exec_lo, s50
	v_mov_b32_e32 v6, 0
	s_and_saveexec_b32 s50, s51
	s_cbranch_execnz .LBB87_1098
	s_branch .LBB87_1099
.LBB87_1114:
	s_mov_b32 s50, -1
                                        ; implicit-def: $vgpr6
	s_branch .LBB87_1119
.LBB87_1115:
	s_mov_b32 s50, -1
                                        ; implicit-def: $vgpr6
.LBB87_1116:
	s_delay_alu instid0(SALU_CYCLE_1)
	s_and_b32 vcc_lo, exec_lo, s50
	s_cbranch_vccz .LBB87_1118
; %bb.1117:
	global_load_u8 v5, v[10:11], off
	s_wait_loadcnt 0x0
	v_lshlrev_b32_e32 v5, 24, v5
	s_delay_alu instid0(VALU_DEP_1) | instskip(NEXT) | instid1(VALU_DEP_1)
	v_and_b32_e32 v6, 0x7f000000, v5
	v_clz_i32_u32_e32 v7, v6
	v_add_nc_u32_e32 v12, 0x1000000, v6
	v_cmp_ne_u32_e32 vcc_lo, 0, v6
	s_delay_alu instid0(VALU_DEP_3) | instskip(NEXT) | instid1(VALU_DEP_1)
	v_min_u32_e32 v7, 32, v7
	v_sub_nc_u32_e64 v7, v7, 4 clamp
	s_delay_alu instid0(VALU_DEP_1) | instskip(NEXT) | instid1(VALU_DEP_1)
	v_dual_lshlrev_b32 v9, v7, v6 :: v_dual_lshlrev_b32 v7, 23, v7
	v_lshrrev_b32_e32 v9, 4, v9
	s_delay_alu instid0(VALU_DEP_1) | instskip(NEXT) | instid1(VALU_DEP_1)
	v_dual_sub_nc_u32 v7, v9, v7 :: v_dual_ashrrev_i32 v9, 8, v12
	v_add_nc_u32_e32 v7, 0x3c000000, v7
	s_delay_alu instid0(VALU_DEP_1) | instskip(NEXT) | instid1(VALU_DEP_1)
	v_and_or_b32 v7, 0x7f800000, v9, v7
	v_cndmask_b32_e32 v6, 0, v7, vcc_lo
	s_delay_alu instid0(VALU_DEP_1) | instskip(NEXT) | instid1(VALU_DEP_1)
	v_and_or_b32 v5, 0x80000000, v5, v6
	v_cvt_i32_f32_e32 v6, v5
.LBB87_1118:
	s_mov_b32 s50, 0
.LBB87_1119:
	s_delay_alu instid0(SALU_CYCLE_1)
	s_and_not1_b32 vcc_lo, exec_lo, s50
	s_cbranch_vccnz .LBB87_1121
; %bb.1120:
	global_load_u8 v5, v[10:11], off
	s_wait_loadcnt 0x0
	v_lshlrev_b32_e32 v6, 25, v5
	v_lshlrev_b16 v5, 8, v5
	s_delay_alu instid0(VALU_DEP_1) | instskip(NEXT) | instid1(VALU_DEP_3)
	v_and_or_b32 v9, 0x7f00, v5, 0.5
	v_lshrrev_b32_e32 v7, 4, v6
	v_bfe_i32 v5, v5, 0, 16
	s_delay_alu instid0(VALU_DEP_3) | instskip(NEXT) | instid1(VALU_DEP_3)
	v_add_f32_e32 v9, -0.5, v9
	v_or_b32_e32 v7, 0x70000000, v7
	s_delay_alu instid0(VALU_DEP_1) | instskip(SKIP_1) | instid1(VALU_DEP_2)
	v_mul_f32_e32 v7, 0x7800000, v7
	v_cmp_gt_u32_e32 vcc_lo, 0x8000000, v6
	v_cndmask_b32_e32 v6, v7, v9, vcc_lo
	s_delay_alu instid0(VALU_DEP_1) | instskip(NEXT) | instid1(VALU_DEP_1)
	v_and_or_b32 v5, 0x80000000, v5, v6
	v_cvt_i32_f32_e32 v6, v5
.LBB87_1121:
	s_mov_b32 s51, 0
	s_mov_b32 s50, -1
.LBB87_1122:
	s_and_not1_b32 vcc_lo, exec_lo, s51
	s_cbranch_vccnz .LBB87_1135
; %bb.1123:
	s_cmp_gt_i32 s35, 14
	s_cbranch_scc0 .LBB87_1126
; %bb.1124:
	s_cmp_eq_u32 s35, 15
	s_cbranch_scc0 .LBB87_1129
; %bb.1125:
	global_load_u16 v5, v[10:11], off
	s_mov_b32 s50, -1
	s_mov_b32 s90, 0
	s_wait_loadcnt 0x0
	v_lshlrev_b32_e32 v5, 16, v5
	s_delay_alu instid0(VALU_DEP_1)
	v_cvt_i32_f32_e32 v6, v5
	s_branch .LBB87_1130
.LBB87_1126:
	s_mov_b32 s51, -1
                                        ; implicit-def: $vgpr6
	s_branch .LBB87_1131
.LBB87_1127:
	s_and_not1_saveexec_b32 s50, s50
	s_cbranch_execz .LBB87_1108
.LBB87_1128:
	v_cmp_ne_u16_e32 vcc_lo, 0, v5
	s_and_not1_b32 s4, s51, exec_lo
	s_and_b32 s5, vcc_lo, exec_lo
	s_delay_alu instid0(SALU_CYCLE_1)
	s_or_b32 s51, s4, s5
	s_or_b32 exec_lo, exec_lo, s50
	v_mov_b32_e32 v6, 0
	s_and_saveexec_b32 s50, s51
	s_cbranch_execnz .LBB87_1109
	s_branch .LBB87_1110
.LBB87_1129:
	s_mov_b32 s90, -1
                                        ; implicit-def: $vgpr6
.LBB87_1130:
	s_mov_b32 s51, 0
.LBB87_1131:
	s_delay_alu instid0(SALU_CYCLE_1)
	s_and_b32 vcc_lo, exec_lo, s51
	s_cbranch_vccz .LBB87_1135
; %bb.1132:
	s_cmp_eq_u32 s35, 11
	s_cbranch_scc0 .LBB87_1134
; %bb.1133:
	global_load_u8 v5, v[10:11], off
	s_mov_b32 s90, 0
	s_mov_b32 s50, -1
	s_wait_loadcnt 0x0
	v_cmp_ne_u16_e32 vcc_lo, 0, v5
	v_cndmask_b32_e64 v6, 0, 1, vcc_lo
	s_branch .LBB87_1135
.LBB87_1134:
	s_mov_b32 s90, -1
                                        ; implicit-def: $vgpr6
.LBB87_1135:
	s_mov_b32 s35, 0
.LBB87_1136:
	s_delay_alu instid0(SALU_CYCLE_1)
	s_and_b32 vcc_lo, exec_lo, s35
	s_cbranch_vccz .LBB87_1185
; %bb.1137:
	s_and_b32 s0, 0xffff, s0
	s_delay_alu instid0(SALU_CYCLE_1)
	s_cmp_lt_i32 s0, 5
	s_cbranch_scc1 .LBB87_1142
; %bb.1138:
	s_cmp_lt_i32 s0, 8
	s_cbranch_scc1 .LBB87_1143
; %bb.1139:
	;; [unrolled: 3-line block ×3, first 2 shown]
	s_cmp_gt_i32 s0, 9
	s_cbranch_scc0 .LBB87_1145
; %bb.1141:
	s_wait_loadcnt 0x0
	global_load_b64 v[6:7], v[10:11], off
	s_mov_b32 s35, 0
	s_wait_loadcnt 0x0
	v_cvt_i32_f64_e32 v6, v[6:7]
	s_branch .LBB87_1146
.LBB87_1142:
	s_mov_b32 s35, -1
                                        ; implicit-def: $vgpr6
	s_branch .LBB87_1164
.LBB87_1143:
	s_mov_b32 s35, -1
                                        ; implicit-def: $vgpr6
	s_branch .LBB87_1152
.LBB87_1144:
	s_mov_b32 s35, -1
                                        ; implicit-def: $vgpr6
	s_branch .LBB87_1149
.LBB87_1145:
	s_mov_b32 s35, -1
                                        ; implicit-def: $vgpr6
.LBB87_1146:
	s_delay_alu instid0(SALU_CYCLE_1)
	s_and_not1_b32 vcc_lo, exec_lo, s35
	s_cbranch_vccnz .LBB87_1148
; %bb.1147:
	global_load_b32 v5, v[10:11], off
	s_wait_loadcnt 0x0
	v_cvt_i32_f32_e32 v6, v5
.LBB87_1148:
	s_mov_b32 s35, 0
.LBB87_1149:
	s_delay_alu instid0(SALU_CYCLE_1)
	s_and_not1_b32 vcc_lo, exec_lo, s35
	s_cbranch_vccnz .LBB87_1151
; %bb.1150:
	global_load_b32 v5, v[10:11], off
	s_wait_loadcnt 0x0
	v_cvt_f32_f16_e32 v5, v5
	s_delay_alu instid0(VALU_DEP_1)
	v_cvt_i32_f32_e32 v6, v5
.LBB87_1151:
	s_mov_b32 s35, 0
.LBB87_1152:
	s_delay_alu instid0(SALU_CYCLE_1)
	s_and_not1_b32 vcc_lo, exec_lo, s35
	s_cbranch_vccnz .LBB87_1163
; %bb.1153:
	s_cmp_lt_i32 s0, 6
	s_cbranch_scc1 .LBB87_1156
; %bb.1154:
	s_cmp_gt_i32 s0, 6
	s_cbranch_scc0 .LBB87_1157
; %bb.1155:
	s_wait_loadcnt 0x0
	global_load_b64 v[6:7], v[10:11], off
	s_mov_b32 s35, 0
	s_wait_loadcnt 0x0
	v_cvt_i32_f64_e32 v6, v[6:7]
	s_branch .LBB87_1158
.LBB87_1156:
	s_mov_b32 s35, -1
                                        ; implicit-def: $vgpr6
	s_branch .LBB87_1161
.LBB87_1157:
	s_mov_b32 s35, -1
                                        ; implicit-def: $vgpr6
.LBB87_1158:
	s_delay_alu instid0(SALU_CYCLE_1)
	s_and_not1_b32 vcc_lo, exec_lo, s35
	s_cbranch_vccnz .LBB87_1160
; %bb.1159:
	global_load_b32 v5, v[10:11], off
	s_wait_loadcnt 0x0
	v_cvt_i32_f32_e32 v6, v5
.LBB87_1160:
	s_mov_b32 s35, 0
.LBB87_1161:
	s_delay_alu instid0(SALU_CYCLE_1)
	s_and_not1_b32 vcc_lo, exec_lo, s35
	s_cbranch_vccnz .LBB87_1163
; %bb.1162:
	global_load_u16 v5, v[10:11], off
	s_wait_loadcnt 0x0
	v_cvt_f32_f16_e32 v5, v5
	s_delay_alu instid0(VALU_DEP_1)
	v_cvt_i32_f32_e32 v6, v5
.LBB87_1163:
	s_mov_b32 s35, 0
.LBB87_1164:
	s_delay_alu instid0(SALU_CYCLE_1)
	s_and_not1_b32 vcc_lo, exec_lo, s35
	s_cbranch_vccnz .LBB87_1184
; %bb.1165:
	s_cmp_lt_i32 s0, 2
	s_cbranch_scc1 .LBB87_1169
; %bb.1166:
	s_cmp_lt_i32 s0, 3
	s_cbranch_scc1 .LBB87_1170
; %bb.1167:
	s_cmp_gt_i32 s0, 3
	s_cbranch_scc0 .LBB87_1171
; %bb.1168:
	s_wait_loadcnt 0x0
	global_load_b32 v6, v[10:11], off
	s_mov_b32 s35, 0
	s_branch .LBB87_1172
.LBB87_1169:
	s_mov_b32 s35, -1
                                        ; implicit-def: $vgpr6
	s_branch .LBB87_1178
.LBB87_1170:
	s_mov_b32 s35, -1
                                        ; implicit-def: $vgpr6
	s_branch .LBB87_1175
.LBB87_1171:
	s_mov_b32 s35, -1
                                        ; implicit-def: $vgpr6
.LBB87_1172:
	s_delay_alu instid0(SALU_CYCLE_1)
	s_and_not1_b32 vcc_lo, exec_lo, s35
	s_cbranch_vccnz .LBB87_1174
; %bb.1173:
	s_wait_loadcnt 0x0
	global_load_b32 v6, v[10:11], off
.LBB87_1174:
	s_mov_b32 s35, 0
.LBB87_1175:
	s_delay_alu instid0(SALU_CYCLE_1)
	s_and_not1_b32 vcc_lo, exec_lo, s35
	s_cbranch_vccnz .LBB87_1177
; %bb.1176:
	s_wait_loadcnt 0x0
	global_load_i16 v6, v[10:11], off
.LBB87_1177:
	s_mov_b32 s35, 0
.LBB87_1178:
	s_delay_alu instid0(SALU_CYCLE_1)
	s_and_not1_b32 vcc_lo, exec_lo, s35
	s_cbranch_vccnz .LBB87_1184
; %bb.1179:
	s_cmp_gt_i32 s0, 0
	s_mov_b32 s0, 0
	s_cbranch_scc0 .LBB87_1181
; %bb.1180:
	s_wait_loadcnt 0x0
	global_load_i8 v6, v[10:11], off
	s_branch .LBB87_1182
.LBB87_1181:
	s_mov_b32 s0, -1
                                        ; implicit-def: $vgpr6
.LBB87_1182:
	s_delay_alu instid0(SALU_CYCLE_1)
	s_and_not1_b32 vcc_lo, exec_lo, s0
	s_cbranch_vccnz .LBB87_1184
; %bb.1183:
	s_wait_loadcnt 0x0
	global_load_u8 v6, v[10:11], off
.LBB87_1184:
	s_mov_b32 s50, -1
.LBB87_1185:
	s_delay_alu instid0(SALU_CYCLE_1)
	s_and_not1_b32 vcc_lo, exec_lo, s50
	s_cbranch_vccnz .LBB87_1193
; %bb.1186:
	v_mov_b32_e32 v5, 0
	s_and_b32 s0, s18, 0xff
	s_delay_alu instid0(SALU_CYCLE_1) | instskip(NEXT) | instid1(VALU_DEP_1)
	s_cmp_lt_i32 s0, 11
	v_add_nc_u64_e32 v[4:5], s[30:31], v[4:5]
	s_cbranch_scc1 .LBB87_1194
; %bb.1187:
	s_and_b32 s35, 0xffff, s0
	s_delay_alu instid0(SALU_CYCLE_1)
	s_cmp_gt_i32 s35, 25
	s_cbranch_scc0 .LBB87_1195
; %bb.1188:
	s_cmp_gt_i32 s35, 28
	s_cbranch_scc0 .LBB87_1196
; %bb.1189:
	;; [unrolled: 3-line block ×4, first 2 shown]
	s_cmp_eq_u32 s35, 46
	s_mov_b32 s51, 0
	s_cbranch_scc0 .LBB87_1200
; %bb.1192:
	global_load_b32 v7, v[4:5], off
	s_mov_b32 s50, -1
	s_mov_b32 s89, 0
	s_wait_loadcnt 0x0
	v_lshlrev_b32_e32 v7, 16, v7
	s_wait_xcnt 0x1
	s_delay_alu instid0(VALU_DEP_1)
	v_cvt_i32_f32_e32 v10, v7
	s_branch .LBB87_1202
.LBB87_1193:
	s_mov_b32 s0, 0
	s_mov_b32 s35, s60
	;; [unrolled: 1-line block ×7, first 2 shown]
	s_branch .LBB87_1324
.LBB87_1194:
	s_mov_b32 s35, -1
	s_mov_b32 s50, 0
	s_mov_b32 s89, s80
                                        ; implicit-def: $vgpr10
	s_branch .LBB87_1263
.LBB87_1195:
	s_mov_b32 s51, -1
	s_mov_b32 s50, 0
	s_mov_b32 s89, s80
                                        ; implicit-def: $vgpr10
	s_branch .LBB87_1229
.LBB87_1196:
	s_mov_b32 s51, -1
	s_mov_b32 s50, 0
	s_mov_b32 s89, s80
                                        ; implicit-def: $vgpr10
	s_branch .LBB87_1212
.LBB87_1197:
	s_mov_b32 s51, -1
	s_mov_b32 s50, 0
	s_mov_b32 s89, s80
                                        ; implicit-def: $vgpr10
	s_branch .LBB87_1207
.LBB87_1198:
	s_mov_b32 s51, -1
	s_mov_b32 s50, 0
	s_mov_b32 s89, s80
	s_branch .LBB87_1201
.LBB87_1199:
	s_mov_b32 s54, -1
	s_mov_b32 s50, 0
	s_mov_b32 s53, 0
	s_branch .LBB87_1879
.LBB87_1200:
	s_mov_b32 s89, -1
	s_mov_b32 s50, 0
.LBB87_1201:
                                        ; implicit-def: $vgpr10
.LBB87_1202:
	s_and_b32 vcc_lo, exec_lo, s51
	s_cbranch_vccz .LBB87_1206
; %bb.1203:
	s_cmp_eq_u32 s35, 44
	s_cbranch_scc0 .LBB87_1205
; %bb.1204:
	global_load_u8 v7, v[4:5], off
	s_mov_b32 s89, 0
	s_mov_b32 s50, -1
	s_wait_loadcnt 0x0
	v_lshlrev_b32_e32 v9, 23, v7
	v_cmp_ne_u32_e32 vcc_lo, 0, v7
	s_delay_alu instid0(VALU_DEP_2) | instskip(SKIP_1) | instid1(VALU_DEP_1)
	v_cvt_i32_f32_e32 v9, v9
	s_wait_xcnt 0x1
	v_cndmask_b32_e32 v10, 0, v9, vcc_lo
	s_branch .LBB87_1206
.LBB87_1205:
	s_mov_b32 s89, -1
                                        ; implicit-def: $vgpr10
.LBB87_1206:
	s_mov_b32 s51, 0
.LBB87_1207:
	s_delay_alu instid0(SALU_CYCLE_1)
	s_and_b32 vcc_lo, exec_lo, s51
	s_cbranch_vccz .LBB87_1211
; %bb.1208:
	s_cmp_eq_u32 s35, 29
	s_cbranch_scc0 .LBB87_1210
; %bb.1209:
	global_load_b32 v10, v[4:5], off
	s_mov_b32 s50, -1
	s_mov_b32 s89, 0
	s_branch .LBB87_1211
.LBB87_1210:
	s_mov_b32 s89, -1
                                        ; implicit-def: $vgpr10
.LBB87_1211:
	s_mov_b32 s51, 0
.LBB87_1212:
	s_delay_alu instid0(SALU_CYCLE_1)
	s_and_b32 vcc_lo, exec_lo, s51
	s_cbranch_vccz .LBB87_1228
; %bb.1213:
	s_cmp_lt_i32 s35, 27
	s_cbranch_scc1 .LBB87_1216
; %bb.1214:
	s_cmp_gt_i32 s35, 27
	s_cbranch_scc0 .LBB87_1217
; %bb.1215:
	s_wait_loadcnt 0x0
	global_load_b32 v10, v[4:5], off
	s_mov_b32 s50, 0
	s_branch .LBB87_1218
.LBB87_1216:
	s_mov_b32 s50, -1
                                        ; implicit-def: $vgpr10
	s_branch .LBB87_1221
.LBB87_1217:
	s_mov_b32 s50, -1
                                        ; implicit-def: $vgpr10
.LBB87_1218:
	s_delay_alu instid0(SALU_CYCLE_1)
	s_and_not1_b32 vcc_lo, exec_lo, s50
	s_cbranch_vccnz .LBB87_1220
; %bb.1219:
	s_wait_loadcnt 0x0
	global_load_u16 v10, v[4:5], off
.LBB87_1220:
	s_mov_b32 s50, 0
.LBB87_1221:
	s_delay_alu instid0(SALU_CYCLE_1)
	s_and_not1_b32 vcc_lo, exec_lo, s50
	s_cbranch_vccnz .LBB87_1227
; %bb.1222:
	global_load_u8 v7, v[4:5], off
	s_mov_b32 s51, 0
	s_mov_b32 s4, exec_lo
	s_wait_loadcnt 0x0
	v_cmpx_lt_i16_e32 0x7f, v7
	s_xor_b32 s50, exec_lo, s4
	s_cbranch_execz .LBB87_1239
; %bb.1223:
	v_cmp_ne_u16_e32 vcc_lo, 0x80, v7
	s_and_b32 s51, vcc_lo, exec_lo
	s_and_not1_saveexec_b32 s50, s50
	s_cbranch_execnz .LBB87_1240
.LBB87_1224:
	s_or_b32 exec_lo, exec_lo, s50
	v_mov_b32_e32 v10, 0
	s_and_saveexec_b32 s50, s51
	s_cbranch_execz .LBB87_1226
.LBB87_1225:
	v_and_b32_e32 v9, 0xffff, v7
	s_delay_alu instid0(VALU_DEP_1) | instskip(SKIP_1) | instid1(VALU_DEP_2)
	v_and_b32_e32 v10, 7, v9
	v_bfe_u32 v13, v9, 3, 4
	v_clz_i32_u32_e32 v11, v10
	s_delay_alu instid0(VALU_DEP_2) | instskip(NEXT) | instid1(VALU_DEP_2)
	v_cmp_eq_u32_e32 vcc_lo, 0, v13
	v_min_u32_e32 v11, 32, v11
	s_delay_alu instid0(VALU_DEP_1) | instskip(NEXT) | instid1(VALU_DEP_1)
	v_subrev_nc_u32_e32 v12, 28, v11
	v_dual_lshlrev_b32 v9, v12, v9 :: v_dual_sub_nc_u32 v11, 29, v11
	s_delay_alu instid0(VALU_DEP_1) | instskip(NEXT) | instid1(VALU_DEP_1)
	v_dual_lshlrev_b32 v7, 24, v7 :: v_dual_bitop2_b32 v9, 7, v9 bitop3:0x40
	v_dual_cndmask_b32 v9, v10, v9, vcc_lo :: v_dual_cndmask_b32 v11, v13, v11, vcc_lo
	s_delay_alu instid0(VALU_DEP_2) | instskip(NEXT) | instid1(VALU_DEP_2)
	v_and_b32_e32 v7, 0x80000000, v7
	v_lshlrev_b32_e32 v9, 20, v9
	s_delay_alu instid0(VALU_DEP_3) | instskip(NEXT) | instid1(VALU_DEP_1)
	v_lshl_add_u32 v10, v11, 23, 0x3b800000
	v_or3_b32 v7, v7, v10, v9
	s_delay_alu instid0(VALU_DEP_1)
	v_cvt_i32_f32_e32 v10, v7
.LBB87_1226:
	s_or_b32 exec_lo, exec_lo, s50
.LBB87_1227:
	s_mov_b32 s50, -1
.LBB87_1228:
	s_mov_b32 s51, 0
.LBB87_1229:
	s_delay_alu instid0(SALU_CYCLE_1)
	s_and_b32 vcc_lo, exec_lo, s51
	s_cbranch_vccz .LBB87_1262
; %bb.1230:
	s_cmp_gt_i32 s35, 22
	s_cbranch_scc0 .LBB87_1238
; %bb.1231:
	s_cmp_lt_i32 s35, 24
	s_cbranch_scc1 .LBB87_1241
; %bb.1232:
	s_cmp_gt_i32 s35, 24
	s_cbranch_scc0 .LBB87_1242
; %bb.1233:
	global_load_u8 v7, v[4:5], off
	s_mov_b32 s51, 0
	s_mov_b32 s4, exec_lo
	s_wait_loadcnt 0x0
	v_cmpx_lt_i16_e32 0x7f, v7
	s_xor_b32 s50, exec_lo, s4
	s_cbranch_execz .LBB87_1254
; %bb.1234:
	v_cmp_ne_u16_e32 vcc_lo, 0x80, v7
	s_and_b32 s51, vcc_lo, exec_lo
	s_and_not1_saveexec_b32 s50, s50
	s_cbranch_execnz .LBB87_1255
.LBB87_1235:
	s_or_b32 exec_lo, exec_lo, s50
	v_mov_b32_e32 v10, 0
	s_and_saveexec_b32 s50, s51
	s_cbranch_execz .LBB87_1237
.LBB87_1236:
	v_and_b32_e32 v9, 0xffff, v7
	s_delay_alu instid0(VALU_DEP_1) | instskip(SKIP_1) | instid1(VALU_DEP_2)
	v_and_b32_e32 v10, 3, v9
	v_bfe_u32 v13, v9, 2, 5
	v_clz_i32_u32_e32 v11, v10
	s_delay_alu instid0(VALU_DEP_2) | instskip(NEXT) | instid1(VALU_DEP_2)
	v_cmp_eq_u32_e32 vcc_lo, 0, v13
	v_min_u32_e32 v11, 32, v11
	s_delay_alu instid0(VALU_DEP_1) | instskip(NEXT) | instid1(VALU_DEP_1)
	v_subrev_nc_u32_e32 v12, 29, v11
	v_dual_lshlrev_b32 v9, v12, v9 :: v_dual_sub_nc_u32 v11, 30, v11
	s_delay_alu instid0(VALU_DEP_1) | instskip(NEXT) | instid1(VALU_DEP_1)
	v_dual_lshlrev_b32 v7, 24, v7 :: v_dual_bitop2_b32 v9, 3, v9 bitop3:0x40
	v_dual_cndmask_b32 v9, v10, v9, vcc_lo :: v_dual_cndmask_b32 v11, v13, v11, vcc_lo
	s_delay_alu instid0(VALU_DEP_2) | instskip(NEXT) | instid1(VALU_DEP_2)
	v_and_b32_e32 v7, 0x80000000, v7
	v_lshlrev_b32_e32 v9, 21, v9
	s_delay_alu instid0(VALU_DEP_3) | instskip(NEXT) | instid1(VALU_DEP_1)
	v_lshl_add_u32 v10, v11, 23, 0x37800000
	v_or3_b32 v7, v7, v10, v9
	s_delay_alu instid0(VALU_DEP_1)
	v_cvt_i32_f32_e32 v10, v7
.LBB87_1237:
	s_or_b32 exec_lo, exec_lo, s50
	s_mov_b32 s50, 0
	s_branch .LBB87_1243
.LBB87_1238:
	s_mov_b32 s51, -1
                                        ; implicit-def: $vgpr10
	s_branch .LBB87_1249
.LBB87_1239:
	s_and_not1_saveexec_b32 s50, s50
	s_cbranch_execz .LBB87_1224
.LBB87_1240:
	v_cmp_ne_u16_e32 vcc_lo, 0, v7
	s_and_not1_b32 s4, s51, exec_lo
	s_and_b32 s5, vcc_lo, exec_lo
	s_delay_alu instid0(SALU_CYCLE_1)
	s_or_b32 s51, s4, s5
	s_or_b32 exec_lo, exec_lo, s50
	v_mov_b32_e32 v10, 0
	s_and_saveexec_b32 s50, s51
	s_cbranch_execnz .LBB87_1225
	s_branch .LBB87_1226
.LBB87_1241:
	s_mov_b32 s50, -1
                                        ; implicit-def: $vgpr10
	s_branch .LBB87_1246
.LBB87_1242:
	s_mov_b32 s50, -1
                                        ; implicit-def: $vgpr10
.LBB87_1243:
	s_delay_alu instid0(SALU_CYCLE_1)
	s_and_b32 vcc_lo, exec_lo, s50
	s_cbranch_vccz .LBB87_1245
; %bb.1244:
	global_load_u8 v7, v[4:5], off
	s_wait_loadcnt 0x0
	v_lshlrev_b32_e32 v7, 24, v7
	s_delay_alu instid0(VALU_DEP_1) | instskip(SKIP_1) | instid1(VALU_DEP_1)
	v_and_b32_e32 v9, 0x7f000000, v7
	s_wait_xcnt 0x1
	v_clz_i32_u32_e32 v10, v9
	v_cmp_ne_u32_e32 vcc_lo, 0, v9
	v_add_nc_u32_e32 v12, 0x1000000, v9
	s_delay_alu instid0(VALU_DEP_3) | instskip(NEXT) | instid1(VALU_DEP_1)
	v_min_u32_e32 v10, 32, v10
	v_sub_nc_u32_e64 v10, v10, 4 clamp
	s_delay_alu instid0(VALU_DEP_1) | instskip(NEXT) | instid1(VALU_DEP_1)
	v_dual_lshlrev_b32 v11, v10, v9 :: v_dual_lshlrev_b32 v10, 23, v10
	v_lshrrev_b32_e32 v11, 4, v11
	s_delay_alu instid0(VALU_DEP_1) | instskip(NEXT) | instid1(VALU_DEP_1)
	v_dual_sub_nc_u32 v10, v11, v10 :: v_dual_ashrrev_i32 v11, 8, v12
	v_add_nc_u32_e32 v10, 0x3c000000, v10
	s_delay_alu instid0(VALU_DEP_1) | instskip(NEXT) | instid1(VALU_DEP_1)
	v_and_or_b32 v10, 0x7f800000, v11, v10
	v_cndmask_b32_e32 v9, 0, v10, vcc_lo
	s_delay_alu instid0(VALU_DEP_1) | instskip(NEXT) | instid1(VALU_DEP_1)
	v_and_or_b32 v7, 0x80000000, v7, v9
	v_cvt_i32_f32_e32 v10, v7
.LBB87_1245:
	s_mov_b32 s50, 0
.LBB87_1246:
	s_delay_alu instid0(SALU_CYCLE_1)
	s_and_not1_b32 vcc_lo, exec_lo, s50
	s_cbranch_vccnz .LBB87_1248
; %bb.1247:
	global_load_u8 v7, v[4:5], off
	s_wait_loadcnt 0x0
	v_lshlrev_b32_e32 v9, 25, v7
	v_lshlrev_b16 v7, 8, v7
	s_wait_xcnt 0x1
	s_delay_alu instid0(VALU_DEP_1) | instskip(NEXT) | instid1(VALU_DEP_3)
	v_and_or_b32 v11, 0x7f00, v7, 0.5
	v_lshrrev_b32_e32 v10, 4, v9
	v_bfe_i32 v7, v7, 0, 16
	s_delay_alu instid0(VALU_DEP_3) | instskip(NEXT) | instid1(VALU_DEP_3)
	v_add_f32_e32 v11, -0.5, v11
	v_or_b32_e32 v10, 0x70000000, v10
	s_delay_alu instid0(VALU_DEP_1) | instskip(SKIP_1) | instid1(VALU_DEP_2)
	v_mul_f32_e32 v10, 0x7800000, v10
	v_cmp_gt_u32_e32 vcc_lo, 0x8000000, v9
	v_cndmask_b32_e32 v9, v10, v11, vcc_lo
	s_delay_alu instid0(VALU_DEP_1) | instskip(NEXT) | instid1(VALU_DEP_1)
	v_and_or_b32 v7, 0x80000000, v7, v9
	v_cvt_i32_f32_e32 v10, v7
.LBB87_1248:
	s_mov_b32 s51, 0
	s_mov_b32 s50, -1
.LBB87_1249:
	s_and_not1_b32 vcc_lo, exec_lo, s51
	s_cbranch_vccnz .LBB87_1262
; %bb.1250:
	s_cmp_gt_i32 s35, 14
	s_cbranch_scc0 .LBB87_1253
; %bb.1251:
	s_cmp_eq_u32 s35, 15
	s_cbranch_scc0 .LBB87_1256
; %bb.1252:
	global_load_u16 v7, v[4:5], off
	s_mov_b32 s50, -1
	s_mov_b32 s89, 0
	s_wait_loadcnt 0x0
	v_lshlrev_b32_e32 v7, 16, v7
	s_wait_xcnt 0x1
	s_delay_alu instid0(VALU_DEP_1)
	v_cvt_i32_f32_e32 v10, v7
	s_branch .LBB87_1257
.LBB87_1253:
	s_mov_b32 s51, -1
                                        ; implicit-def: $vgpr10
	s_branch .LBB87_1258
.LBB87_1254:
	s_and_not1_saveexec_b32 s50, s50
	s_cbranch_execz .LBB87_1235
.LBB87_1255:
	v_cmp_ne_u16_e32 vcc_lo, 0, v7
	s_and_not1_b32 s4, s51, exec_lo
	s_and_b32 s5, vcc_lo, exec_lo
	s_delay_alu instid0(SALU_CYCLE_1)
	s_or_b32 s51, s4, s5
	s_or_b32 exec_lo, exec_lo, s50
	v_mov_b32_e32 v10, 0
	s_and_saveexec_b32 s50, s51
	s_cbranch_execnz .LBB87_1236
	s_branch .LBB87_1237
.LBB87_1256:
	s_mov_b32 s89, -1
                                        ; implicit-def: $vgpr10
.LBB87_1257:
	s_mov_b32 s51, 0
.LBB87_1258:
	s_delay_alu instid0(SALU_CYCLE_1)
	s_and_b32 vcc_lo, exec_lo, s51
	s_cbranch_vccz .LBB87_1262
; %bb.1259:
	s_cmp_eq_u32 s35, 11
	s_cbranch_scc0 .LBB87_1261
; %bb.1260:
	global_load_u8 v7, v[4:5], off
	s_mov_b32 s89, 0
	s_mov_b32 s50, -1
	s_wait_loadcnt 0x0
	v_cmp_ne_u16_e32 vcc_lo, 0, v7
	s_wait_xcnt 0x1
	v_cndmask_b32_e64 v10, 0, 1, vcc_lo
	s_branch .LBB87_1262
.LBB87_1261:
	s_mov_b32 s89, -1
                                        ; implicit-def: $vgpr10
.LBB87_1262:
	s_mov_b32 s35, 0
.LBB87_1263:
	s_delay_alu instid0(SALU_CYCLE_1)
	s_and_b32 vcc_lo, exec_lo, s35
	s_cbranch_vccz .LBB87_1312
; %bb.1264:
	s_and_b32 s0, 0xffff, s0
	s_delay_alu instid0(SALU_CYCLE_1)
	s_cmp_lt_i32 s0, 5
	s_cbranch_scc1 .LBB87_1269
; %bb.1265:
	s_cmp_lt_i32 s0, 8
	s_cbranch_scc1 .LBB87_1270
; %bb.1266:
	;; [unrolled: 3-line block ×3, first 2 shown]
	s_cmp_gt_i32 s0, 9
	s_cbranch_scc0 .LBB87_1272
; %bb.1268:
	s_wait_loadcnt 0x0
	global_load_b64 v[10:11], v[4:5], off
	s_mov_b32 s35, 0
	s_wait_loadcnt 0x0
	v_cvt_i32_f64_e32 v10, v[10:11]
	s_branch .LBB87_1273
.LBB87_1269:
	s_mov_b32 s35, -1
                                        ; implicit-def: $vgpr10
	s_branch .LBB87_1291
.LBB87_1270:
	s_mov_b32 s35, -1
                                        ; implicit-def: $vgpr10
	s_branch .LBB87_1279
.LBB87_1271:
	s_mov_b32 s35, -1
                                        ; implicit-def: $vgpr10
	s_branch .LBB87_1276
.LBB87_1272:
	s_mov_b32 s35, -1
                                        ; implicit-def: $vgpr10
.LBB87_1273:
	s_delay_alu instid0(SALU_CYCLE_1)
	s_and_not1_b32 vcc_lo, exec_lo, s35
	s_cbranch_vccnz .LBB87_1275
; %bb.1274:
	global_load_b32 v7, v[4:5], off
	s_wait_loadcnt 0x0
	s_wait_xcnt 0x1
	v_cvt_i32_f32_e32 v10, v7
.LBB87_1275:
	s_mov_b32 s35, 0
.LBB87_1276:
	s_delay_alu instid0(SALU_CYCLE_1)
	s_and_not1_b32 vcc_lo, exec_lo, s35
	s_cbranch_vccnz .LBB87_1278
; %bb.1277:
	global_load_b32 v7, v[4:5], off
	s_wait_loadcnt 0x0
	v_cvt_f32_f16_e32 v7, v7
	s_wait_xcnt 0x1
	s_delay_alu instid0(VALU_DEP_1)
	v_cvt_i32_f32_e32 v10, v7
.LBB87_1278:
	s_mov_b32 s35, 0
.LBB87_1279:
	s_delay_alu instid0(SALU_CYCLE_1)
	s_and_not1_b32 vcc_lo, exec_lo, s35
	s_cbranch_vccnz .LBB87_1290
; %bb.1280:
	s_cmp_lt_i32 s0, 6
	s_cbranch_scc1 .LBB87_1283
; %bb.1281:
	s_cmp_gt_i32 s0, 6
	s_cbranch_scc0 .LBB87_1284
; %bb.1282:
	s_wait_loadcnt 0x0
	global_load_b64 v[10:11], v[4:5], off
	s_mov_b32 s35, 0
	s_wait_loadcnt 0x0
	v_cvt_i32_f64_e32 v10, v[10:11]
	s_branch .LBB87_1285
.LBB87_1283:
	s_mov_b32 s35, -1
                                        ; implicit-def: $vgpr10
	s_branch .LBB87_1288
.LBB87_1284:
	s_mov_b32 s35, -1
                                        ; implicit-def: $vgpr10
.LBB87_1285:
	s_delay_alu instid0(SALU_CYCLE_1)
	s_and_not1_b32 vcc_lo, exec_lo, s35
	s_cbranch_vccnz .LBB87_1287
; %bb.1286:
	global_load_b32 v7, v[4:5], off
	s_wait_loadcnt 0x0
	s_wait_xcnt 0x1
	v_cvt_i32_f32_e32 v10, v7
.LBB87_1287:
	s_mov_b32 s35, 0
.LBB87_1288:
	s_delay_alu instid0(SALU_CYCLE_1)
	s_and_not1_b32 vcc_lo, exec_lo, s35
	s_cbranch_vccnz .LBB87_1290
; %bb.1289:
	global_load_u16 v7, v[4:5], off
	s_wait_loadcnt 0x0
	v_cvt_f32_f16_e32 v7, v7
	s_wait_xcnt 0x1
	s_delay_alu instid0(VALU_DEP_1)
	v_cvt_i32_f32_e32 v10, v7
.LBB87_1290:
	s_mov_b32 s35, 0
.LBB87_1291:
	s_delay_alu instid0(SALU_CYCLE_1)
	s_and_not1_b32 vcc_lo, exec_lo, s35
	s_cbranch_vccnz .LBB87_1311
; %bb.1292:
	s_cmp_lt_i32 s0, 2
	s_cbranch_scc1 .LBB87_1296
; %bb.1293:
	s_cmp_lt_i32 s0, 3
	s_cbranch_scc1 .LBB87_1297
; %bb.1294:
	s_cmp_gt_i32 s0, 3
	s_cbranch_scc0 .LBB87_1298
; %bb.1295:
	s_wait_loadcnt 0x0
	global_load_b32 v10, v[4:5], off
	s_mov_b32 s35, 0
	s_branch .LBB87_1299
.LBB87_1296:
	s_mov_b32 s35, -1
                                        ; implicit-def: $vgpr10
	s_branch .LBB87_1305
.LBB87_1297:
	s_mov_b32 s35, -1
                                        ; implicit-def: $vgpr10
	s_branch .LBB87_1302
.LBB87_1298:
	s_mov_b32 s35, -1
                                        ; implicit-def: $vgpr10
.LBB87_1299:
	s_delay_alu instid0(SALU_CYCLE_1)
	s_and_not1_b32 vcc_lo, exec_lo, s35
	s_cbranch_vccnz .LBB87_1301
; %bb.1300:
	s_wait_loadcnt 0x0
	global_load_b32 v10, v[4:5], off
.LBB87_1301:
	s_mov_b32 s35, 0
.LBB87_1302:
	s_delay_alu instid0(SALU_CYCLE_1)
	s_and_not1_b32 vcc_lo, exec_lo, s35
	s_cbranch_vccnz .LBB87_1304
; %bb.1303:
	s_wait_loadcnt 0x0
	global_load_i16 v10, v[4:5], off
.LBB87_1304:
	s_mov_b32 s35, 0
.LBB87_1305:
	s_delay_alu instid0(SALU_CYCLE_1)
	s_and_not1_b32 vcc_lo, exec_lo, s35
	s_cbranch_vccnz .LBB87_1311
; %bb.1306:
	s_cmp_gt_i32 s0, 0
	s_mov_b32 s0, 0
	s_cbranch_scc0 .LBB87_1308
; %bb.1307:
	s_wait_loadcnt 0x0
	global_load_i8 v10, v[4:5], off
	s_branch .LBB87_1309
.LBB87_1308:
	s_mov_b32 s0, -1
                                        ; implicit-def: $vgpr10
.LBB87_1309:
	s_delay_alu instid0(SALU_CYCLE_1)
	s_and_not1_b32 vcc_lo, exec_lo, s0
	s_cbranch_vccnz .LBB87_1311
; %bb.1310:
	s_wait_loadcnt 0x0
	global_load_u8 v10, v[4:5], off
.LBB87_1311:
	s_mov_b32 s50, -1
.LBB87_1312:
	s_delay_alu instid0(SALU_CYCLE_1)
	s_and_not1_b32 vcc_lo, exec_lo, s50
	s_cbranch_vccnz .LBB87_1323
; %bb.1313:
	v_cmp_eq_u32_e32 vcc_lo, s38, v1
	s_mov_b32 s0, 0
	s_mov_b32 s52, -1
	s_mov_b32 s53, s78
	s_mov_b32 s51, s77
	s_and_b32 s4, s66, vcc_lo
	s_mov_b32 s50, s61
	s_mov_b32 s35, s60
	s_wait_xcnt 0x0
	s_and_saveexec_b32 s91, s4
	s_cbranch_execz .LBB87_4163
; %bb.1314:
	s_wait_loadcnt 0x0
	v_cmp_eq_u32_e32 vcc_lo, s70, v3
	s_mov_b32 s51, -1
	s_mov_b32 s52, s77
	s_mov_b32 s50, s61
	;; [unrolled: 1-line block ×3, first 2 shown]
	s_and_b32 s4, s45, vcc_lo
	s_delay_alu instid0(SALU_CYCLE_1)
	s_and_saveexec_b32 s92, s4
	s_cbranch_execz .LBB87_3689
; %bb.1315:
	v_sub_nc_u32_e32 v1, v6, v8
	s_mov_b32 s35, 0
	s_mov_b32 s50, -1
	s_mov_b32 s52, s60
	s_delay_alu instid0(VALU_DEP_1) | instskip(SKIP_4) | instid1(SALU_CYCLE_1)
	v_cmp_le_i32_e32 vcc_lo, s38, v1
	v_cmp_ge_i32_e64 s0, s68, v1
	s_and_b32 s4, vcc_lo, s0
	s_mov_b32 s0, s61
	s_and_b32 s4, s16, s4
	s_and_saveexec_b32 s93, s4
	s_cbranch_execz .LBB87_3688
; %bb.1316:
	v_mov_b64_e32 v[4:5], 0
	s_and_not1_b32 vcc_lo, exec_lo, s17
	s_cbranch_vccnz .LBB87_1352
; %bb.1317:
	v_ashrrev_i32_e32 v11, 31, v10
	s_mov_b32 s51, 0
	v_mov_b64_e32 v[4:5], 0
	s_mov_b32 s35, s51
	s_delay_alu instid0(SALU_CYCLE_1)
	s_lshl_b64 s[4:5], s[34:35], 3
	v_mul_u64_e32 v[12:13], s[70:71], v[10:11]
	v_mov_b32_e32 v10, 0
	s_add_nc_u64 s[4:5], s[2:3], s[4:5]
	s_mov_b32 s35, s25
	s_add_nc_u64 s[52:53], s[4:5], 0x298
	s_branch .LBB87_1319
.LBB87_1318:                            ;   in Loop: Header=BB87_1319 Depth=1
	s_or_b32 exec_lo, exec_lo, s0
	s_delay_alu instid0(VALU_DEP_1)
	v_mul_u64_e32 v[16:17], s[54:55], v[14:15]
	s_load_b64 s[4:5], s[52:53], 0x40
	s_add_co_i32 s35, s35, -1
	s_wait_xcnt 0x0
	s_add_nc_u64 s[52:53], s[52:53], -8
	s_cmp_lg_u32 s35, 0
	s_delay_alu instid0(VALU_DEP_1) | instskip(SKIP_1) | instid1(VALU_DEP_1)
	v_sub_nc_u64_e32 v[12:13], v[12:13], v[16:17]
	s_wait_kmcnt 0x0
	v_mad_nc_u64_u32 v[4:5], v12, s4, v[4:5]
	s_delay_alu instid0(VALU_DEP_1) | instskip(NEXT) | instid1(VALU_DEP_1)
	v_mad_u32 v1, v13, s4, v5
	v_mad_u32 v5, v12, s5, v1
	v_mov_b64_e32 v[12:13], v[14:15]
	s_cbranch_scc0 .LBB87_1352
.LBB87_1319:                            ; =>This Inner Loop Header: Depth=1
	s_load_b64 s[54:55], s[52:53], 0x0
                                        ; implicit-def: $vgpr14_vgpr15
	s_mov_b32 s0, exec_lo
	s_wait_kmcnt 0x0
	s_delay_alu instid0(VALU_DEP_1) | instskip(NEXT) | instid1(VALU_DEP_1)
	v_or_b32_e32 v11, s55, v13
	v_cmpx_ne_u64_e32 0, v[10:11]
	s_xor_b32 s67, exec_lo, s0
	s_cbranch_execz .LBB87_1321
; %bb.1320:                             ;   in Loop: Header=BB87_1319 Depth=1
	s_ashr_i32 s56, s55, 31
	s_mov_b64 s[14:15], s[70:71]
	s_mov_b32 s57, s56
	s_mov_b32 s12, s68
	s_add_nc_u64 s[4:5], s[54:55], s[56:57]
	s_mov_b64 s[70:71], s[42:43]
	s_xor_b64 s[58:59], s[4:5], s[56:57]
	s_mov_b32 s68, s40
	s_cvt_f32_u32 s0, s58
	s_cvt_f32_u32 s4, s59
	s_sub_nc_u64 s[6:7], 0, s[58:59]
	s_mov_b64 s[42:43], s[30:31]
	s_mov_b64 s[40:41], s[28:29]
	s_fmamk_f32 s0, s4, 0x4f800000, s0
	v_dual_mov_b32 v19, v10 :: v_dual_ashrrev_i32 v14, 31, v13
	s_delay_alu instid0(SALU_CYCLE_2) | instskip(NEXT) | instid1(VALU_DEP_1)
	v_s_rcp_f32 s0, s0
	v_mov_b32_e32 v15, v14
	s_delay_alu instid0(VALU_DEP_1) | instskip(NEXT) | instid1(TRANS32_DEP_1)
	v_add_nc_u64_e32 v[16:17], v[12:13], v[14:15]
	s_mul_f32 s0, s0, 0x5f7ffffc
	v_mov_b32_e32 v21, v10
	s_delay_alu instid0(SALU_CYCLE_2) | instskip(NEXT) | instid1(VALU_DEP_2)
	s_mul_f32 s4, s0, 0x2f800000
	v_xor_b32_e32 v18, v16, v14
	s_delay_alu instid0(VALU_DEP_3) | instskip(NEXT) | instid1(SALU_CYCLE_1)
	v_xor_b32_e32 v20, v17, v14
	s_trunc_f32 s4, s4
	v_dual_mov_b32 v27, v10 :: v_dual_bitop2_b32 v14, s56, v14 bitop3:0x14
	s_delay_alu instid0(SALU_CYCLE_2) | instskip(SKIP_1) | instid1(SALU_CYCLE_2)
	s_fmamk_f32 s0, s4, 0xcf800000, s0
	s_cvt_u32_f32 s5, s4
	s_cvt_u32_f32 s4, s0
	s_delay_alu instid0(SALU_CYCLE_3) | instskip(NEXT) | instid1(SALU_CYCLE_1)
	s_mul_u64 s[8:9], s[6:7], s[4:5]
	s_mul_hi_u32 s11, s4, s9
	s_mul_i32 s10, s4, s9
	s_mul_hi_u32 s50, s4, s8
	s_mul_i32 s28, s5, s8
	s_add_nc_u64 s[10:11], s[50:51], s[10:11]
	s_mul_hi_u32 s0, s5, s8
	s_mul_hi_u32 s29, s5, s9
	s_mul_i32 s8, s5, s9
	s_add_co_u32 s9, s10, s28
	s_add_co_ci_u32 s50, s11, s0
	s_add_co_ci_u32 s9, s29, 0
	s_mov_b64 s[28:29], s[40:41]
	s_add_nc_u64 s[8:9], s[50:51], s[8:9]
	s_mov_b64 s[30:31], s[42:43]
	s_add_co_u32 s4, s4, s8
	s_cselect_b32 s0, -1, 0
	s_mov_b64 s[42:43], s[70:71]
	s_cmp_lg_u32 s0, 0
	s_mov_b32 s40, s68
	s_add_co_ci_u32 s5, s5, s9
	s_mov_b64 s[70:71], s[14:15]
	s_mul_u64 s[6:7], s[6:7], s[4:5]
	s_mov_b32 s68, s12
	s_mul_hi_u32 s9, s4, s7
	s_mul_i32 s8, s4, s7
	s_mul_hi_u32 s50, s4, s6
	s_mul_i32 s10, s5, s6
	s_add_nc_u64 s[8:9], s[50:51], s[8:9]
	s_mul_hi_u32 s0, s5, s6
	s_mul_hi_u32 s11, s5, s7
	s_mul_i32 s6, s5, s7
	s_add_co_u32 s7, s8, s10
	s_add_co_ci_u32 s50, s9, s0
	s_add_co_ci_u32 s7, s11, 0
	s_delay_alu instid0(SALU_CYCLE_1) | instskip(NEXT) | instid1(SALU_CYCLE_1)
	s_add_nc_u64 s[6:7], s[50:51], s[6:7]
	s_add_co_u32 s0, s4, s6
	s_cselect_b32 s4, -1, 0
	v_mul_hi_u32 v26, v18, s0
	s_cmp_lg_u32 s4, 0
	s_add_co_ci_u32 s50, s5, s7
	s_mov_b64 s[4:5], 0xffffffff
	v_mul_u64_e32 v[22:23], s[50:51], v[18:19]
	s_and_b64 s[4:5], s[0:1], s[4:5]
	v_mul_u64_e32 v[24:25], s[50:51], v[20:21]
	v_mul_u64_e32 v[16:17], s[4:5], v[20:21]
	s_delay_alu instid0(VALU_DEP_3) | instskip(NEXT) | instid1(VALU_DEP_1)
	v_add_nc_u64_e32 v[22:23], v[26:27], v[22:23]
	v_add_co_u32 v1, vcc_lo, v22, v16
	s_delay_alu instid0(VALU_DEP_2) | instskip(SKIP_1) | instid1(VALU_DEP_1)
	v_add_co_ci_u32_e32 v26, vcc_lo, v23, v17, vcc_lo
	v_add_co_ci_u32_e32 v25, vcc_lo, 0, v25, vcc_lo
	v_add_nc_u64_e32 v[16:17], v[26:27], v[24:25]
	s_delay_alu instid0(VALU_DEP_1) | instskip(NEXT) | instid1(VALU_DEP_1)
	v_mul_u64_e32 v[22:23], s[58:59], v[16:17]
	v_sub_nc_u32_e32 v1, v20, v23
	s_delay_alu instid0(VALU_DEP_2) | instskip(NEXT) | instid1(VALU_DEP_1)
	v_sub_co_u32 v3, vcc_lo, v18, v22
	v_sub_co_ci_u32_e64 v9, null, v20, v23, vcc_lo
	s_delay_alu instid0(VALU_DEP_3) | instskip(NEXT) | instid1(VALU_DEP_3)
	v_subrev_co_ci_u32_e64 v1, null, s59, v1, vcc_lo
	v_sub_co_u32 v7, s0, v3, s58
	v_add_nc_u64_e32 v[18:19], 2, v[16:17]
	s_delay_alu instid0(VALU_DEP_3) | instskip(NEXT) | instid1(VALU_DEP_3)
	v_subrev_co_ci_u32_e64 v1, null, 0, v1, s0
	v_cmp_le_u32_e32 vcc_lo, s58, v7
	v_add_nc_u64_e32 v[20:21], 1, v[16:17]
	v_cndmask_b32_e64 v7, 0, -1, vcc_lo
	s_delay_alu instid0(VALU_DEP_4)
	v_cmp_le_u32_e32 vcc_lo, s59, v1
	v_cndmask_b32_e64 v11, 0, -1, vcc_lo
	v_cmp_le_u32_e32 vcc_lo, s58, v3
	v_cndmask_b32_e64 v3, 0, -1, vcc_lo
	;; [unrolled: 2-line block ×3, first 2 shown]
	v_cmp_eq_u32_e32 vcc_lo, s59, v1
	v_cndmask_b32_e32 v1, v11, v7, vcc_lo
	v_cmp_eq_u32_e32 vcc_lo, s59, v9
	s_delay_alu instid0(VALU_DEP_4) | instskip(NEXT) | instid1(VALU_DEP_3)
	v_cndmask_b32_e32 v3, v15, v3, vcc_lo
	v_cmp_ne_u32_e32 vcc_lo, 0, v1
	v_mov_b32_e32 v15, v14
	s_delay_alu instid0(VALU_DEP_3) | instskip(SKIP_1) | instid1(VALU_DEP_1)
	v_cmp_ne_u32_e64 s0, 0, v3
	v_dual_cndmask_b32 v1, v21, v19, vcc_lo :: v_dual_cndmask_b32 v3, v20, v18, vcc_lo
	v_dual_cndmask_b32 v1, v17, v1, s0 :: v_dual_cndmask_b32 v3, v16, v3, s0
	s_delay_alu instid0(VALU_DEP_1) | instskip(NEXT) | instid1(VALU_DEP_2)
	v_xor_b32_e32 v17, v1, v14
	v_xor_b32_e32 v16, v3, v14
	s_delay_alu instid0(VALU_DEP_1)
	v_sub_nc_u64_e32 v[14:15], v[16:17], v[14:15]
.LBB87_1321:                            ;   in Loop: Header=BB87_1319 Depth=1
	s_and_not1_saveexec_b32 s0, s67
	s_cbranch_execz .LBB87_1318
; %bb.1322:                             ;   in Loop: Header=BB87_1319 Depth=1
	v_cvt_f32_u32_e32 v1, s54
	s_sub_co_i32 s4, 0, s54
	v_mov_b32_e32 v15, v10
	s_delay_alu instid0(VALU_DEP_2) | instskip(SKIP_1) | instid1(TRANS32_DEP_1)
	v_rcp_iflag_f32_e32 v1, v1
	v_nop
	v_mul_f32_e32 v1, 0x4f7ffffe, v1
	s_delay_alu instid0(VALU_DEP_1) | instskip(NEXT) | instid1(VALU_DEP_1)
	v_cvt_u32_f32_e32 v1, v1
	v_mul_lo_u32 v3, s4, v1
	s_delay_alu instid0(VALU_DEP_1) | instskip(NEXT) | instid1(VALU_DEP_1)
	v_mul_hi_u32 v3, v1, v3
	v_add_nc_u32_e32 v1, v1, v3
	s_delay_alu instid0(VALU_DEP_1) | instskip(NEXT) | instid1(VALU_DEP_1)
	v_mul_hi_u32 v1, v12, v1
	v_mul_lo_u32 v3, v1, s54
	s_delay_alu instid0(VALU_DEP_1) | instskip(NEXT) | instid1(VALU_DEP_1)
	v_dual_add_nc_u32 v7, 1, v1 :: v_dual_sub_nc_u32 v3, v12, v3
	v_subrev_nc_u32_e32 v9, s54, v3
	v_cmp_le_u32_e32 vcc_lo, s54, v3
	s_delay_alu instid0(VALU_DEP_2) | instskip(NEXT) | instid1(VALU_DEP_1)
	v_dual_cndmask_b32 v3, v3, v9, vcc_lo :: v_dual_cndmask_b32 v1, v1, v7, vcc_lo
	v_cmp_le_u32_e32 vcc_lo, s54, v3
	s_delay_alu instid0(VALU_DEP_2) | instskip(NEXT) | instid1(VALU_DEP_1)
	v_add_nc_u32_e32 v7, 1, v1
	v_cndmask_b32_e32 v14, v1, v7, vcc_lo
	s_branch .LBB87_1318
.LBB87_1323:
	s_mov_b32 s0, 0
	s_mov_b32 s35, s60
	;; [unrolled: 1-line block ×6, first 2 shown]
.LBB87_1324:
                                        ; implicit-def: $vgpr0
.LBB87_1325:
	s_and_not1_b32 s4, s60, exec_lo
	s_and_b32 s5, s35, exec_lo
	s_and_not1_b32 s6, s61, exec_lo
	s_and_b32 s7, s50, exec_lo
	s_or_b32 s67, s4, s5
	s_or_b32 s94, s6, s7
	s_and_not1_b32 s4, s77, exec_lo
	s_and_b32 s5, s51, exec_lo
	s_and_not1_b32 s6, s78, exec_lo
	s_and_b32 s7, s53, exec_lo
	s_or_b32 s95, s4, s5
	s_or_b32 s91, s6, s7
	;; [unrolled: 6-line block ×5, first 2 shown]
	s_or_not1_b32 s35, s0, exec_lo
.LBB87_1326:
	s_wait_xcnt 0x0
	s_or_b32 exec_lo, exec_lo, s96
	s_mov_b32 s50, 0
	s_mov_b32 s51, 0
	;; [unrolled: 1-line block ×3, first 2 shown]
                                        ; implicit-def: $sgpr0
                                        ; implicit-def: $vgpr12_vgpr13
                                        ; implicit-def: $vgpr2
                                        ; implicit-def: $vgpr8
                                        ; implicit-def: $vgpr10
                                        ; implicit-def: $vgpr4
                                        ; implicit-def: $vgpr6
                                        ; implicit-def: $vgpr3
	s_and_saveexec_b32 s96, s35
	s_cbranch_execz .LBB87_2192
; %bb.1327:
	s_mov_b32 s53, -1
	s_mov_b32 s35, s86
	s_mov_b32 s56, s88
	;; [unrolled: 1-line block ×7, first 2 shown]
	s_mov_b32 vcc_hi, s95
	s_mov_b32 s59, s94
	s_mov_b32 s93, s67
	s_mov_b32 s97, exec_lo
	v_cmpx_gt_i32_e64 s75, v0
	s_cbranch_execz .LBB87_2087
; %bb.1328:
	s_and_not1_b32 vcc_lo, exec_lo, s64
	s_cbranch_vccnz .LBB87_1335
; %bb.1329:
	s_and_not1_b32 vcc_lo, exec_lo, s13
	s_cbranch_vccnz .LBB87_1336
; %bb.1330:
	s_wait_loadcnt 0x0
	v_dual_mov_b32 v6, 0 :: v_dual_mov_b32 v1, v0
	v_dual_mov_b32 v4, 0 :: v_dual_mov_b32 v10, 0
	;; [unrolled: 1-line block ×3, first 2 shown]
	v_mov_b32_e32 v12, 0
	s_add_co_i32 s0, s74, 1
	s_mov_b64 s[4:5], 0xffffffffffffffd0
	s_mov_b64 s[14:15], s[70:71]
	s_mov_b32 s12, s68
	s_mov_b64 s[70:71], s[42:43]
	s_mov_b32 s68, s40
	s_mov_b64 s[42:43], s[30:31]
	s_mov_b64 s[40:41], s[28:29]
	s_and_b32 s0, s0, 30
	s_add_nc_u64 s[50:51], s[2:3], s[4:5]
	s_mov_b64 s[52:53], s[2:3]
.LBB87_1331:                            ; =>This Inner Loop Header: Depth=1
	s_clause 0x1
	s_load_b128 s[56:59], s[52:53], 0x4
	s_load_b64 s[36:37], s[52:53], 0x14
	s_clause 0x1
	s_load_b256 s[4:11], s[50:51], 0xf4
	s_load_b128 s[28:31], s[50:51], 0x114
	s_add_co_i32 s0, s0, -2
	s_wait_xcnt 0x0
	s_add_nc_u64 s[52:53], s[52:53], 24
	s_cmp_eq_u32 s0, 0
	s_add_nc_u64 s[50:51], s[50:51], 48
	s_wait_kmcnt 0x0
	v_mul_hi_u32 v3, s57, v1
	s_delay_alu instid0(VALU_DEP_1) | instskip(NEXT) | instid1(VALU_DEP_1)
	v_add_nc_u32_e32 v3, v1, v3
	v_lshrrev_b32_e32 v3, s58, v3
	s_delay_alu instid0(VALU_DEP_1) | instskip(SKIP_1) | instid1(VALU_DEP_1)
	v_mul_hi_u32 v5, s36, v3
	v_mul_lo_u32 v7, v3, s56
	v_dual_add_nc_u32 v5, v3, v5 :: v_dual_sub_nc_u32 v7, v1, v7
	s_delay_alu instid0(VALU_DEP_1) | instskip(NEXT) | instid1(VALU_DEP_2)
	v_lshrrev_b32_e32 v1, s37, v5
	v_mad_u32 v5, v7, s5, v12
	v_mad_u32 v2, v7, s4, v2
	v_mad_u32 v8, v7, s7, v8
	v_mad_u32 v10, v7, s6, v10
	v_mul_lo_u32 v9, v1, s59
	v_mad_u32 v4, s9, v7, v4
	v_mad_u32 v6, s8, v7, v6
	s_delay_alu instid0(VALU_DEP_3) | instskip(NEXT) | instid1(VALU_DEP_1)
	v_sub_nc_u32_e32 v3, v3, v9
	v_mad_u32 v12, v3, s11, v5
	v_mad_u32 v2, v3, s10, v2
	;; [unrolled: 1-line block ×6, first 2 shown]
	s_cbranch_scc0 .LBB87_1331
; %bb.1332:
	s_bitcmp1_b32 s74, 0
	s_cselect_b32 s0, -1, 0
	s_delay_alu instid0(SALU_CYCLE_1)
	s_and_b32 vcc_lo, exec_lo, s0
	s_cbranch_vccnz .LBB87_1334
; %bb.1333:
	s_load_b96 s[8:10], s[52:53], 0x4
	s_wait_kmcnt 0x0
	v_mul_hi_u32 v3, s9, v1
	s_delay_alu instid0(VALU_DEP_1) | instskip(NEXT) | instid1(VALU_DEP_1)
	v_add_nc_u32_e32 v3, v1, v3
	v_lshrrev_b32_e32 v3, s10, v3
	s_clause 0x1
	s_load_b128 s[4:7], s[50:51], 0xf4
	s_load_b64 s[10:11], s[50:51], 0x104
	s_delay_alu instid0(VALU_DEP_1) | instskip(NEXT) | instid1(VALU_DEP_1)
	v_mul_lo_u32 v3, v3, s8
	v_sub_nc_u32_e32 v1, v1, v3
	s_wait_kmcnt 0x0
	s_delay_alu instid0(VALU_DEP_1)
	v_mad_u32 v2, v1, s4, v2
	v_mad_u32 v12, v1, s5, v12
	;; [unrolled: 1-line block ×6, first 2 shown]
.LBB87_1334:
	s_mov_b64 s[28:29], s[40:41]
	s_mov_b64 s[30:31], s[42:43]
	;; [unrolled: 1-line block ×3, first 2 shown]
	s_mov_b32 s40, s68
	s_mov_b64 s[70:71], s[14:15]
	s_mov_b32 s68, s12
	s_branch .LBB87_1337
.LBB87_1335:
	s_mov_b32 s0, -1
                                        ; implicit-def: $vgpr12
                                        ; implicit-def: $vgpr2
                                        ; implicit-def: $vgpr8
                                        ; implicit-def: $vgpr10
                                        ; implicit-def: $vgpr4
                                        ; implicit-def: $vgpr6
	s_branch .LBB87_1338
.LBB87_1336:
	v_dual_mov_b32 v12, 0 :: v_dual_mov_b32 v2, 0
	s_wait_loadcnt 0x0
	v_dual_mov_b32 v8, 0 :: v_dual_mov_b32 v10, 0
	v_dual_mov_b32 v4, 0 :: v_dual_mov_b32 v6, 0
.LBB87_1337:
	s_mov_b32 s0, 0
.LBB87_1338:
	s_delay_alu instid0(SALU_CYCLE_1)
	s_and_not1_b32 vcc_lo, exec_lo, s0
	s_cbranch_vccnz .LBB87_1341
; %bb.1339:
	s_wait_loadcnt 0x0
	v_mov_b32_e32 v1, 0
	s_load_b256 s[4:11], s[2:3], 0xc4
	s_and_not1_b32 vcc_lo, exec_lo, s73
	s_delay_alu instid0(VALU_DEP_1) | instskip(NEXT) | instid1(VALU_DEP_1)
	v_mul_u64_e32 v[2:3], s[46:47], v[0:1]
	v_add_nc_u32_e32 v2, v0, v3
	s_delay_alu instid0(VALU_DEP_1) | instskip(NEXT) | instid1(VALU_DEP_1)
	v_lshrrev_b32_e32 v14, s42, v2
	v_mul_lo_u32 v2, v14, s40
	s_delay_alu instid0(VALU_DEP_1) | instskip(SKIP_1) | instid1(VALU_DEP_1)
	v_sub_nc_u32_e32 v3, v0, v2
	s_wait_kmcnt 0x0
	v_mul_lo_u32 v12, v3, s5
	v_mul_lo_u32 v2, v3, s4
	;; [unrolled: 1-line block ×6, first 2 shown]
	s_cbranch_vccnz .LBB87_1341
; %bb.1340:
	v_mov_b32_e32 v15, v1
	s_load_b128 s[4:7], s[2:3], 0xe4
	s_delay_alu instid0(VALU_DEP_1) | instskip(NEXT) | instid1(VALU_DEP_1)
	v_mul_u64_e32 v[16:17], s[48:49], v[14:15]
	v_add_nc_u32_e32 v1, v14, v17
	s_delay_alu instid0(VALU_DEP_1) | instskip(NEXT) | instid1(VALU_DEP_1)
	v_lshrrev_b32_e32 v1, s1, v1
	v_mul_lo_u32 v1, v1, s43
	s_delay_alu instid0(VALU_DEP_1) | instskip(NEXT) | instid1(VALU_DEP_1)
	v_sub_nc_u32_e32 v1, v14, v1
	v_mad_u32 v2, v1, s10, v2
	v_mad_u32 v12, v1, s11, v12
	s_wait_kmcnt 0x0
	v_mad_u32 v10, v1, s4, v10
	v_mad_u32 v8, v1, s5, v8
	;; [unrolled: 1-line block ×4, first 2 shown]
.LBB87_1341:
	s_load_b256 s[4:11], s[2:3], 0x248
	v_mov_b32_e32 v13, 0
	s_and_b32 s0, s72, 0xff
	s_delay_alu instid0(SALU_CYCLE_1) | instskip(SKIP_1) | instid1(VALU_DEP_1)
	s_cmp_lt_i32 s0, 11
	s_wait_kmcnt 0x0
	v_add_nc_u64_e32 v[12:13], s[6:7], v[12:13]
	s_cbranch_scc1 .LBB87_1348
; %bb.1342:
	s_and_b32 s35, 0xffff, s0
	s_delay_alu instid0(SALU_CYCLE_1)
	s_cmp_gt_i32 s35, 25
	s_cbranch_scc0 .LBB87_1349
; %bb.1343:
	s_cmp_gt_i32 s35, 28
	s_cbranch_scc0 .LBB87_1350
; %bb.1344:
	;; [unrolled: 3-line block ×4, first 2 shown]
	s_cmp_eq_u32 s35, 46
	s_mov_b32 s51, 0
	s_cbranch_scc0 .LBB87_1367
; %bb.1347:
	s_wait_loadcnt 0x0
	global_load_b32 v1, v[12:13], off
	s_mov_b32 s50, -1
	s_mov_b32 s98, 0
	s_wait_loadcnt 0x0
	v_lshlrev_b32_e32 v1, 16, v1
	s_delay_alu instid0(VALU_DEP_1)
	v_cvt_i32_f32_e32 v1, v1
	s_branch .LBB87_1369
.LBB87_1348:
	s_mov_b32 s35, -1
	s_mov_b32 s50, 0
	s_mov_b32 s98, s86
                                        ; implicit-def: $vgpr1
	s_branch .LBB87_1430
.LBB87_1349:
	s_mov_b32 s51, -1
	s_mov_b32 s50, 0
	s_mov_b32 s98, s86
                                        ; implicit-def: $vgpr1
	s_branch .LBB87_1396
.LBB87_1350:
	s_mov_b32 s51, -1
	s_mov_b32 s50, 0
	s_mov_b32 s98, s86
                                        ; implicit-def: $vgpr1
	s_branch .LBB87_1379
.LBB87_1351:
	s_mov_b32 s51, -1
	s_mov_b32 s50, 0
	s_mov_b32 s98, s86
                                        ; implicit-def: $vgpr1
	s_branch .LBB87_1374
.LBB87_1352:
	s_mov_b32 s52, -1
	s_mov_b32 s0, s61
	s_mov_b32 s35, exec_lo
	v_cmpx_gt_i32_e64 v6, v8
	s_cbranch_execz .LBB87_1359
; %bb.1353:
	s_delay_alu instid0(VALU_DEP_2) | instskip(SKIP_3) | instid1(VALU_DEP_1)
	v_lshlrev_b64_e32 v[4:5], 2, v[4:5]
	v_dual_ashrrev_i32 v9, 31, v8 :: v_dual_ashrrev_i32 v7, 31, v6
	s_mov_b32 s0, 0
	s_xor_b32 s51, s39, -1
                                        ; implicit-def: $sgpr50
                                        ; implicit-def: $sgpr53
                                        ; implicit-def: $sgpr52
	v_lshl_add_u64 v[8:9], v[8:9], 2, v[4:5]
	v_add_nc_u64_e32 v[10:11], s[20:21], v[4:5]
	s_delay_alu instid0(VALU_DEP_2) | instskip(NEXT) | instid1(VALU_DEP_2)
	v_add_nc_u64_e32 v[8:9], s[20:21], v[8:9]
	v_lshl_add_u64 v[6:7], v[6:7], 2, v[10:11]
	s_delay_alu instid0(VALU_DEP_2)
	v_add_nc_u64_e32 v[4:5], 4, v[8:9]
	s_branch .LBB87_1355
.LBB87_1354:                            ;   in Loop: Header=BB87_1355 Depth=1
	s_or_b32 exec_lo, exec_lo, s54
	s_delay_alu instid0(SALU_CYCLE_1) | instskip(NEXT) | instid1(SALU_CYCLE_1)
	s_and_b32 s4, exec_lo, s53
	s_or_b32 s0, s4, s0
	s_and_not1_b32 s4, s50, exec_lo
	s_and_b32 s5, s52, exec_lo
	s_delay_alu instid0(SALU_CYCLE_1)
	s_or_b32 s50, s4, s5
	s_and_not1_b32 exec_lo, exec_lo, s0
	s_cbranch_execz .LBB87_1358
.LBB87_1355:                            ; =>This Inner Loop Header: Depth=1
	s_or_b32 s52, s52, exec_lo
	s_or_b32 s53, s53, exec_lo
	s_mov_b32 s54, exec_lo
	s_delay_alu instid0(VALU_DEP_1)
	v_cmpx_lt_u64_e64 v[4:5], v[6:7]
	s_cbranch_execz .LBB87_1354
; %bb.1356:                             ;   in Loop: Header=BB87_1355 Depth=1
	global_load_b64 v[8:9], v[4:5], off offset:-4
	s_wait_xcnt 0x0
	v_add_nc_u64_e32 v[4:5], 4, v[4:5]
	s_and_not1_b32 s5, s53, exec_lo
	s_and_not1_b32 s52, s52, exec_lo
	s_wait_loadcnt 0x0
	v_cmp_ge_i32_e32 vcc_lo, v8, v9
	s_or_b32 s4, s51, vcc_lo
	s_delay_alu instid0(SALU_CYCLE_1) | instskip(NEXT) | instid1(SALU_CYCLE_1)
	s_and_b32 s4, s4, exec_lo
	s_or_b32 s53, s5, s4
	s_branch .LBB87_1354
.LBB87_1357:
	s_mov_b32 s51, -1
	s_mov_b32 s50, 0
	s_mov_b32 s98, s86
	s_branch .LBB87_1368
.LBB87_1358:
	s_or_b32 exec_lo, exec_lo, s0
	s_delay_alu instid0(SALU_CYCLE_1)
	s_or_b32 s0, s61, exec_lo
	s_or_not1_b32 s52, s50, exec_lo
.LBB87_1359:
	s_or_b32 exec_lo, exec_lo, s35
	s_mov_b32 s51, 0
	s_mov_b32 s50, s60
	s_and_saveexec_b32 s35, s52
	s_cbranch_execz .LBB87_3687
; %bb.1360:
	s_load_b256 s[4:11], s[2:3], 0x248
	v_mov_b32_e32 v3, 0
	s_and_b32 s51, s22, 0xff
	s_delay_alu instid0(SALU_CYCLE_1) | instskip(SKIP_1) | instid1(VALU_DEP_1)
	s_cmp_lt_i32 s51, 11
	s_wait_kmcnt 0x0
	v_add_nc_u64_e32 v[2:3], s[4:5], v[2:3]
	s_cbranch_scc1 .LBB87_1493
; %bb.1361:
	s_and_b32 s52, 0xffff, s51
	s_delay_alu instid0(SALU_CYCLE_1)
	s_cmp_gt_i32 s52, 25
	s_cbranch_scc0 .LBB87_1620
; %bb.1362:
	s_cmp_gt_i32 s52, 28
	s_cbranch_scc0 .LBB87_1747
; %bb.1363:
	;; [unrolled: 3-line block ×4, first 2 shown]
	s_mov_b32 s54, 0
	s_mov_b32 s50, -1
	s_cmp_eq_u32 s52, 46
	s_mov_b32 s53, 0
	s_cbranch_scc0 .LBB87_3605
; %bb.1366:
	v_mov_b32_e32 v1, 0
	s_mov_b32 s53, -1
	s_mov_b32 s50, 0
	global_store_b32 v[2:3], v1, off
	s_branch .LBB87_3605
.LBB87_1367:
	s_mov_b32 s98, -1
	s_mov_b32 s50, 0
.LBB87_1368:
                                        ; implicit-def: $vgpr1
.LBB87_1369:
	s_and_b32 vcc_lo, exec_lo, s51
	s_cbranch_vccz .LBB87_1373
; %bb.1370:
	s_cmp_eq_u32 s35, 44
	s_cbranch_scc0 .LBB87_1372
; %bb.1371:
	s_wait_loadcnt 0x0
	global_load_u8 v1, v[12:13], off
	s_mov_b32 s98, 0
	s_mov_b32 s50, -1
	s_wait_loadcnt 0x0
	v_lshlrev_b32_e32 v3, 23, v1
	v_cmp_ne_u32_e32 vcc_lo, 0, v1
	s_delay_alu instid0(VALU_DEP_2) | instskip(NEXT) | instid1(VALU_DEP_1)
	v_cvt_i32_f32_e32 v3, v3
	v_cndmask_b32_e32 v1, 0, v3, vcc_lo
	s_branch .LBB87_1373
.LBB87_1372:
	s_mov_b32 s98, -1
                                        ; implicit-def: $vgpr1
.LBB87_1373:
	s_mov_b32 s51, 0
.LBB87_1374:
	s_delay_alu instid0(SALU_CYCLE_1)
	s_and_b32 vcc_lo, exec_lo, s51
	s_cbranch_vccz .LBB87_1378
; %bb.1375:
	s_cmp_eq_u32 s35, 29
	s_cbranch_scc0 .LBB87_1377
; %bb.1376:
	s_wait_loadcnt 0x0
	global_load_b32 v1, v[12:13], off
	s_mov_b32 s50, -1
	s_mov_b32 s98, 0
	s_branch .LBB87_1378
.LBB87_1377:
	s_mov_b32 s98, -1
                                        ; implicit-def: $vgpr1
.LBB87_1378:
	s_mov_b32 s51, 0
.LBB87_1379:
	s_delay_alu instid0(SALU_CYCLE_1)
	s_and_b32 vcc_lo, exec_lo, s51
	s_cbranch_vccz .LBB87_1395
; %bb.1380:
	s_cmp_lt_i32 s35, 27
	s_cbranch_scc1 .LBB87_1383
; %bb.1381:
	s_cmp_gt_i32 s35, 27
	s_cbranch_scc0 .LBB87_1384
; %bb.1382:
	s_wait_loadcnt 0x0
	global_load_b32 v1, v[12:13], off
	s_mov_b32 s50, 0
	s_branch .LBB87_1385
.LBB87_1383:
	s_mov_b32 s50, -1
                                        ; implicit-def: $vgpr1
	s_branch .LBB87_1388
.LBB87_1384:
	s_mov_b32 s50, -1
                                        ; implicit-def: $vgpr1
.LBB87_1385:
	s_delay_alu instid0(SALU_CYCLE_1)
	s_and_not1_b32 vcc_lo, exec_lo, s50
	s_cbranch_vccnz .LBB87_1387
; %bb.1386:
	s_wait_loadcnt 0x0
	global_load_u16 v1, v[12:13], off
.LBB87_1387:
	s_mov_b32 s50, 0
.LBB87_1388:
	s_delay_alu instid0(SALU_CYCLE_1)
	s_and_not1_b32 vcc_lo, exec_lo, s50
	s_cbranch_vccnz .LBB87_1394
; %bb.1389:
	s_wait_loadcnt 0x0
	global_load_u8 v3, v[12:13], off
	s_mov_b32 s51, 0
	s_mov_b32 s4, exec_lo
	s_wait_loadcnt 0x0
	v_cmpx_lt_i16_e32 0x7f, v3
	s_xor_b32 s50, exec_lo, s4
	s_cbranch_execz .LBB87_1406
; %bb.1390:
	v_cmp_ne_u16_e32 vcc_lo, 0x80, v3
	s_and_b32 s51, vcc_lo, exec_lo
	s_and_not1_saveexec_b32 s50, s50
	s_cbranch_execnz .LBB87_1407
.LBB87_1391:
	s_or_b32 exec_lo, exec_lo, s50
	v_mov_b32_e32 v1, 0
	s_and_saveexec_b32 s50, s51
	s_cbranch_execz .LBB87_1393
.LBB87_1392:
	v_and_b32_e32 v1, 0xffff, v3
	s_delay_alu instid0(VALU_DEP_1) | instskip(SKIP_1) | instid1(VALU_DEP_2)
	v_and_b32_e32 v5, 7, v1
	v_bfe_u32 v11, v1, 3, 4
	v_clz_i32_u32_e32 v7, v5
	s_delay_alu instid0(VALU_DEP_2) | instskip(NEXT) | instid1(VALU_DEP_2)
	v_cmp_eq_u32_e32 vcc_lo, 0, v11
	v_min_u32_e32 v7, 32, v7
	s_delay_alu instid0(VALU_DEP_1) | instskip(NEXT) | instid1(VALU_DEP_1)
	v_subrev_nc_u32_e32 v9, 28, v7
	v_dual_lshlrev_b32 v1, v9, v1 :: v_dual_sub_nc_u32 v7, 29, v7
	s_delay_alu instid0(VALU_DEP_1) | instskip(NEXT) | instid1(VALU_DEP_1)
	v_dual_lshlrev_b32 v3, 24, v3 :: v_dual_bitop2_b32 v1, 7, v1 bitop3:0x40
	v_dual_cndmask_b32 v1, v5, v1, vcc_lo :: v_dual_cndmask_b32 v7, v11, v7, vcc_lo
	s_delay_alu instid0(VALU_DEP_2) | instskip(NEXT) | instid1(VALU_DEP_2)
	v_and_b32_e32 v3, 0x80000000, v3
	v_lshlrev_b32_e32 v1, 20, v1
	s_delay_alu instid0(VALU_DEP_3) | instskip(NEXT) | instid1(VALU_DEP_1)
	v_lshl_add_u32 v5, v7, 23, 0x3b800000
	v_or3_b32 v1, v3, v5, v1
	s_delay_alu instid0(VALU_DEP_1)
	v_cvt_i32_f32_e32 v1, v1
.LBB87_1393:
	s_or_b32 exec_lo, exec_lo, s50
.LBB87_1394:
	s_mov_b32 s50, -1
.LBB87_1395:
	s_mov_b32 s51, 0
.LBB87_1396:
	s_delay_alu instid0(SALU_CYCLE_1)
	s_and_b32 vcc_lo, exec_lo, s51
	s_cbranch_vccz .LBB87_1429
; %bb.1397:
	s_cmp_gt_i32 s35, 22
	s_cbranch_scc0 .LBB87_1405
; %bb.1398:
	s_cmp_lt_i32 s35, 24
	s_cbranch_scc1 .LBB87_1408
; %bb.1399:
	s_cmp_gt_i32 s35, 24
	s_cbranch_scc0 .LBB87_1409
; %bb.1400:
	s_wait_loadcnt 0x0
	global_load_u8 v3, v[12:13], off
	s_mov_b32 s51, 0
	s_mov_b32 s4, exec_lo
	s_wait_loadcnt 0x0
	v_cmpx_lt_i16_e32 0x7f, v3
	s_xor_b32 s50, exec_lo, s4
	s_cbranch_execz .LBB87_1421
; %bb.1401:
	v_cmp_ne_u16_e32 vcc_lo, 0x80, v3
	s_and_b32 s51, vcc_lo, exec_lo
	s_and_not1_saveexec_b32 s50, s50
	s_cbranch_execnz .LBB87_1422
.LBB87_1402:
	s_or_b32 exec_lo, exec_lo, s50
	v_mov_b32_e32 v1, 0
	s_and_saveexec_b32 s50, s51
	s_cbranch_execz .LBB87_1404
.LBB87_1403:
	v_and_b32_e32 v1, 0xffff, v3
	s_delay_alu instid0(VALU_DEP_1) | instskip(SKIP_1) | instid1(VALU_DEP_2)
	v_and_b32_e32 v5, 3, v1
	v_bfe_u32 v11, v1, 2, 5
	v_clz_i32_u32_e32 v7, v5
	s_delay_alu instid0(VALU_DEP_2) | instskip(NEXT) | instid1(VALU_DEP_2)
	v_cmp_eq_u32_e32 vcc_lo, 0, v11
	v_min_u32_e32 v7, 32, v7
	s_delay_alu instid0(VALU_DEP_1) | instskip(NEXT) | instid1(VALU_DEP_1)
	v_subrev_nc_u32_e32 v9, 29, v7
	v_dual_lshlrev_b32 v1, v9, v1 :: v_dual_sub_nc_u32 v7, 30, v7
	s_delay_alu instid0(VALU_DEP_1) | instskip(NEXT) | instid1(VALU_DEP_1)
	v_dual_lshlrev_b32 v3, 24, v3 :: v_dual_bitop2_b32 v1, 3, v1 bitop3:0x40
	v_dual_cndmask_b32 v1, v5, v1, vcc_lo :: v_dual_cndmask_b32 v7, v11, v7, vcc_lo
	s_delay_alu instid0(VALU_DEP_2) | instskip(NEXT) | instid1(VALU_DEP_2)
	v_and_b32_e32 v3, 0x80000000, v3
	v_lshlrev_b32_e32 v1, 21, v1
	s_delay_alu instid0(VALU_DEP_3) | instskip(NEXT) | instid1(VALU_DEP_1)
	v_lshl_add_u32 v5, v7, 23, 0x37800000
	v_or3_b32 v1, v3, v5, v1
	s_delay_alu instid0(VALU_DEP_1)
	v_cvt_i32_f32_e32 v1, v1
.LBB87_1404:
	s_or_b32 exec_lo, exec_lo, s50
	s_mov_b32 s50, 0
	s_branch .LBB87_1410
.LBB87_1405:
	s_mov_b32 s51, -1
                                        ; implicit-def: $vgpr1
	s_branch .LBB87_1416
.LBB87_1406:
	s_and_not1_saveexec_b32 s50, s50
	s_cbranch_execz .LBB87_1391
.LBB87_1407:
	v_cmp_ne_u16_e32 vcc_lo, 0, v3
	s_and_not1_b32 s4, s51, exec_lo
	s_and_b32 s5, vcc_lo, exec_lo
	s_delay_alu instid0(SALU_CYCLE_1)
	s_or_b32 s51, s4, s5
	s_or_b32 exec_lo, exec_lo, s50
	v_mov_b32_e32 v1, 0
	s_and_saveexec_b32 s50, s51
	s_cbranch_execnz .LBB87_1392
	s_branch .LBB87_1393
.LBB87_1408:
	s_mov_b32 s50, -1
                                        ; implicit-def: $vgpr1
	s_branch .LBB87_1413
.LBB87_1409:
	s_mov_b32 s50, -1
                                        ; implicit-def: $vgpr1
.LBB87_1410:
	s_delay_alu instid0(SALU_CYCLE_1)
	s_and_b32 vcc_lo, exec_lo, s50
	s_cbranch_vccz .LBB87_1412
; %bb.1411:
	s_wait_loadcnt 0x0
	global_load_u8 v1, v[12:13], off
	s_wait_loadcnt 0x0
	v_lshlrev_b32_e32 v1, 24, v1
	s_delay_alu instid0(VALU_DEP_1) | instskip(NEXT) | instid1(VALU_DEP_1)
	v_and_b32_e32 v3, 0x7f000000, v1
	v_clz_i32_u32_e32 v5, v3
	v_add_nc_u32_e32 v9, 0x1000000, v3
	v_cmp_ne_u32_e32 vcc_lo, 0, v3
	s_delay_alu instid0(VALU_DEP_3) | instskip(NEXT) | instid1(VALU_DEP_1)
	v_min_u32_e32 v5, 32, v5
	v_sub_nc_u32_e64 v5, v5, 4 clamp
	s_delay_alu instid0(VALU_DEP_1) | instskip(NEXT) | instid1(VALU_DEP_1)
	v_dual_lshlrev_b32 v7, v5, v3 :: v_dual_lshlrev_b32 v5, 23, v5
	v_lshrrev_b32_e32 v7, 4, v7
	s_delay_alu instid0(VALU_DEP_1) | instskip(SKIP_1) | instid1(VALU_DEP_2)
	v_sub_nc_u32_e32 v5, v7, v5
	v_ashrrev_i32_e32 v7, 8, v9
	v_add_nc_u32_e32 v5, 0x3c000000, v5
	s_delay_alu instid0(VALU_DEP_1) | instskip(NEXT) | instid1(VALU_DEP_1)
	v_and_or_b32 v5, 0x7f800000, v7, v5
	v_cndmask_b32_e32 v3, 0, v5, vcc_lo
	s_delay_alu instid0(VALU_DEP_1) | instskip(NEXT) | instid1(VALU_DEP_1)
	v_and_or_b32 v1, 0x80000000, v1, v3
	v_cvt_i32_f32_e32 v1, v1
.LBB87_1412:
	s_mov_b32 s50, 0
.LBB87_1413:
	s_delay_alu instid0(SALU_CYCLE_1)
	s_and_not1_b32 vcc_lo, exec_lo, s50
	s_cbranch_vccnz .LBB87_1415
; %bb.1414:
	s_wait_loadcnt 0x0
	global_load_u8 v1, v[12:13], off
	s_wait_loadcnt 0x0
	v_lshlrev_b32_e32 v3, 25, v1
	v_lshlrev_b16 v1, 8, v1
	s_delay_alu instid0(VALU_DEP_1) | instskip(SKIP_1) | instid1(VALU_DEP_2)
	v_and_or_b32 v7, 0x7f00, v1, 0.5
	v_bfe_i32 v1, v1, 0, 16
	v_add_f32_e32 v7, -0.5, v7
	v_lshrrev_b32_e32 v5, 4, v3
	v_cmp_gt_u32_e32 vcc_lo, 0x8000000, v3
	s_delay_alu instid0(VALU_DEP_2) | instskip(NEXT) | instid1(VALU_DEP_1)
	v_or_b32_e32 v5, 0x70000000, v5
	v_mul_f32_e32 v5, 0x7800000, v5
	s_delay_alu instid0(VALU_DEP_1) | instskip(NEXT) | instid1(VALU_DEP_1)
	v_cndmask_b32_e32 v3, v5, v7, vcc_lo
	v_and_or_b32 v1, 0x80000000, v1, v3
	s_delay_alu instid0(VALU_DEP_1)
	v_cvt_i32_f32_e32 v1, v1
.LBB87_1415:
	s_mov_b32 s51, 0
	s_mov_b32 s50, -1
.LBB87_1416:
	s_and_not1_b32 vcc_lo, exec_lo, s51
	s_cbranch_vccnz .LBB87_1429
; %bb.1417:
	s_cmp_gt_i32 s35, 14
	s_cbranch_scc0 .LBB87_1420
; %bb.1418:
	s_cmp_eq_u32 s35, 15
	s_cbranch_scc0 .LBB87_1423
; %bb.1419:
	s_wait_loadcnt 0x0
	global_load_u16 v1, v[12:13], off
	s_mov_b32 s50, -1
	s_mov_b32 s98, 0
	s_wait_loadcnt 0x0
	v_lshlrev_b32_e32 v1, 16, v1
	s_delay_alu instid0(VALU_DEP_1)
	v_cvt_i32_f32_e32 v1, v1
	s_branch .LBB87_1424
.LBB87_1420:
	s_mov_b32 s51, -1
                                        ; implicit-def: $vgpr1
	s_branch .LBB87_1425
.LBB87_1421:
	s_and_not1_saveexec_b32 s50, s50
	s_cbranch_execz .LBB87_1402
.LBB87_1422:
	v_cmp_ne_u16_e32 vcc_lo, 0, v3
	s_and_not1_b32 s4, s51, exec_lo
	s_and_b32 s5, vcc_lo, exec_lo
	s_delay_alu instid0(SALU_CYCLE_1)
	s_or_b32 s51, s4, s5
	s_or_b32 exec_lo, exec_lo, s50
	v_mov_b32_e32 v1, 0
	s_and_saveexec_b32 s50, s51
	s_cbranch_execnz .LBB87_1403
	s_branch .LBB87_1404
.LBB87_1423:
	s_mov_b32 s98, -1
                                        ; implicit-def: $vgpr1
.LBB87_1424:
	s_mov_b32 s51, 0
.LBB87_1425:
	s_delay_alu instid0(SALU_CYCLE_1)
	s_and_b32 vcc_lo, exec_lo, s51
	s_cbranch_vccz .LBB87_1429
; %bb.1426:
	s_cmp_eq_u32 s35, 11
	s_cbranch_scc0 .LBB87_1428
; %bb.1427:
	s_wait_loadcnt 0x0
	global_load_u8 v1, v[12:13], off
	s_mov_b32 s98, 0
	s_mov_b32 s50, -1
	s_wait_loadcnt 0x0
	v_cmp_ne_u16_e32 vcc_lo, 0, v1
	v_cndmask_b32_e64 v1, 0, 1, vcc_lo
	s_branch .LBB87_1429
.LBB87_1428:
	s_mov_b32 s98, -1
                                        ; implicit-def: $vgpr1
.LBB87_1429:
	s_mov_b32 s35, 0
.LBB87_1430:
	s_delay_alu instid0(SALU_CYCLE_1)
	s_and_b32 vcc_lo, exec_lo, s35
	s_cbranch_vccz .LBB87_1479
; %bb.1431:
	s_and_b32 s0, 0xffff, s0
	s_delay_alu instid0(SALU_CYCLE_1)
	s_cmp_lt_i32 s0, 5
	s_cbranch_scc1 .LBB87_1436
; %bb.1432:
	s_cmp_lt_i32 s0, 8
	s_cbranch_scc1 .LBB87_1437
; %bb.1433:
	;; [unrolled: 3-line block ×3, first 2 shown]
	s_cmp_gt_i32 s0, 9
	s_cbranch_scc0 .LBB87_1439
; %bb.1435:
	global_load_b64 v[14:15], v[12:13], off
	s_mov_b32 s35, 0
	s_wait_loadcnt 0x0
	v_cvt_i32_f64_e32 v1, v[14:15]
	s_branch .LBB87_1440
.LBB87_1436:
	s_mov_b32 s35, -1
                                        ; implicit-def: $vgpr1
	s_branch .LBB87_1458
.LBB87_1437:
	s_mov_b32 s35, -1
                                        ; implicit-def: $vgpr1
	s_branch .LBB87_1446
.LBB87_1438:
	s_mov_b32 s35, -1
                                        ; implicit-def: $vgpr1
	s_branch .LBB87_1443
.LBB87_1439:
	s_mov_b32 s35, -1
                                        ; implicit-def: $vgpr1
.LBB87_1440:
	s_delay_alu instid0(SALU_CYCLE_1)
	s_and_not1_b32 vcc_lo, exec_lo, s35
	s_cbranch_vccnz .LBB87_1442
; %bb.1441:
	s_wait_loadcnt 0x0
	global_load_b32 v1, v[12:13], off
	s_wait_loadcnt 0x0
	v_cvt_i32_f32_e32 v1, v1
.LBB87_1442:
	s_mov_b32 s35, 0
.LBB87_1443:
	s_delay_alu instid0(SALU_CYCLE_1)
	s_and_not1_b32 vcc_lo, exec_lo, s35
	s_cbranch_vccnz .LBB87_1445
; %bb.1444:
	s_wait_loadcnt 0x0
	global_load_b32 v1, v[12:13], off
	s_wait_loadcnt 0x0
	v_cvt_f32_f16_e32 v1, v1
	s_delay_alu instid0(VALU_DEP_1)
	v_cvt_i32_f32_e32 v1, v1
.LBB87_1445:
	s_mov_b32 s35, 0
.LBB87_1446:
	s_delay_alu instid0(SALU_CYCLE_1)
	s_and_not1_b32 vcc_lo, exec_lo, s35
	s_cbranch_vccnz .LBB87_1457
; %bb.1447:
	s_cmp_lt_i32 s0, 6
	s_cbranch_scc1 .LBB87_1450
; %bb.1448:
	s_cmp_gt_i32 s0, 6
	s_cbranch_scc0 .LBB87_1451
; %bb.1449:
	global_load_b64 v[14:15], v[12:13], off
	s_mov_b32 s35, 0
	s_wait_loadcnt 0x0
	v_cvt_i32_f64_e32 v1, v[14:15]
	s_branch .LBB87_1452
.LBB87_1450:
	s_mov_b32 s35, -1
                                        ; implicit-def: $vgpr1
	s_branch .LBB87_1455
.LBB87_1451:
	s_mov_b32 s35, -1
                                        ; implicit-def: $vgpr1
.LBB87_1452:
	s_delay_alu instid0(SALU_CYCLE_1)
	s_and_not1_b32 vcc_lo, exec_lo, s35
	s_cbranch_vccnz .LBB87_1454
; %bb.1453:
	s_wait_loadcnt 0x0
	global_load_b32 v1, v[12:13], off
	s_wait_loadcnt 0x0
	v_cvt_i32_f32_e32 v1, v1
.LBB87_1454:
	s_mov_b32 s35, 0
.LBB87_1455:
	s_delay_alu instid0(SALU_CYCLE_1)
	s_and_not1_b32 vcc_lo, exec_lo, s35
	s_cbranch_vccnz .LBB87_1457
; %bb.1456:
	s_wait_loadcnt 0x0
	global_load_u16 v1, v[12:13], off
	s_wait_loadcnt 0x0
	v_cvt_f32_f16_e32 v1, v1
	s_delay_alu instid0(VALU_DEP_1)
	v_cvt_i32_f32_e32 v1, v1
.LBB87_1457:
	s_mov_b32 s35, 0
.LBB87_1458:
	s_delay_alu instid0(SALU_CYCLE_1)
	s_and_not1_b32 vcc_lo, exec_lo, s35
	s_cbranch_vccnz .LBB87_1478
; %bb.1459:
	s_cmp_lt_i32 s0, 2
	s_cbranch_scc1 .LBB87_1463
; %bb.1460:
	s_cmp_lt_i32 s0, 3
	s_cbranch_scc1 .LBB87_1464
; %bb.1461:
	s_cmp_gt_i32 s0, 3
	s_cbranch_scc0 .LBB87_1465
; %bb.1462:
	s_wait_loadcnt 0x0
	global_load_b32 v1, v[12:13], off
	s_mov_b32 s35, 0
	s_branch .LBB87_1466
.LBB87_1463:
	s_mov_b32 s35, -1
                                        ; implicit-def: $vgpr1
	s_branch .LBB87_1472
.LBB87_1464:
	s_mov_b32 s35, -1
                                        ; implicit-def: $vgpr1
	s_branch .LBB87_1469
.LBB87_1465:
	s_mov_b32 s35, -1
                                        ; implicit-def: $vgpr1
.LBB87_1466:
	s_delay_alu instid0(SALU_CYCLE_1)
	s_and_not1_b32 vcc_lo, exec_lo, s35
	s_cbranch_vccnz .LBB87_1468
; %bb.1467:
	s_wait_loadcnt 0x0
	global_load_b32 v1, v[12:13], off
.LBB87_1468:
	s_mov_b32 s35, 0
.LBB87_1469:
	s_delay_alu instid0(SALU_CYCLE_1)
	s_and_not1_b32 vcc_lo, exec_lo, s35
	s_cbranch_vccnz .LBB87_1471
; %bb.1470:
	s_wait_loadcnt 0x0
	global_load_i16 v1, v[12:13], off
.LBB87_1471:
	s_mov_b32 s35, 0
.LBB87_1472:
	s_delay_alu instid0(SALU_CYCLE_1)
	s_and_not1_b32 vcc_lo, exec_lo, s35
	s_cbranch_vccnz .LBB87_1478
; %bb.1473:
	s_cmp_gt_i32 s0, 0
	s_mov_b32 s0, 0
	s_cbranch_scc0 .LBB87_1475
; %bb.1474:
	s_wait_loadcnt 0x0
	global_load_i8 v1, v[12:13], off
	s_branch .LBB87_1476
.LBB87_1475:
	s_mov_b32 s0, -1
                                        ; implicit-def: $vgpr1
.LBB87_1476:
	s_delay_alu instid0(SALU_CYCLE_1)
	s_and_not1_b32 vcc_lo, exec_lo, s0
	s_cbranch_vccnz .LBB87_1478
; %bb.1477:
	s_wait_loadcnt 0x0
	global_load_u8 v1, v[12:13], off
.LBB87_1478:
	s_mov_b32 s50, -1
.LBB87_1479:
	s_delay_alu instid0(SALU_CYCLE_1)
	s_and_not1_b32 vcc_lo, exec_lo, s50
	s_cbranch_vccnz .LBB87_1487
; %bb.1480:
	s_load_b256 s[4:11], s[2:3], 0x248
	v_mov_b32_e32 v11, 0
	s_and_b32 s0, s24, 0xff
	s_delay_alu instid0(SALU_CYCLE_1)
	s_cmp_lt_i32 s0, 11
	s_wait_loadcnt 0x0
	s_wait_kmcnt 0x0
	v_add_nc_u64_e32 v[10:11], s[8:9], v[10:11]
	s_cbranch_scc1 .LBB87_1488
; %bb.1481:
	s_and_b32 s35, 0xffff, s0
	s_delay_alu instid0(SALU_CYCLE_1)
	s_cmp_gt_i32 s35, 25
	s_cbranch_scc0 .LBB87_1489
; %bb.1482:
	s_cmp_gt_i32 s35, 28
	s_cbranch_scc0 .LBB87_1490
; %bb.1483:
	;; [unrolled: 3-line block ×4, first 2 shown]
	s_cmp_eq_u32 s35, 46
	s_mov_b32 s51, 0
	s_cbranch_scc0 .LBB87_1494
; %bb.1486:
	global_load_b32 v3, v[10:11], off
	s_mov_b32 s50, -1
	s_mov_b32 s99, 0
	s_wait_loadcnt 0x0
	v_lshlrev_b32_e32 v3, 16, v3
	s_delay_alu instid0(VALU_DEP_1)
	v_cvt_i32_f32_e32 v3, v3
	s_branch .LBB87_1496
.LBB87_1487:
	s_mov_b32 s0, 0
	s_mov_b32 s35, s67
	;; [unrolled: 1-line block ×10, first 2 shown]
	s_branch .LBB87_2085
.LBB87_1488:
	s_mov_b32 s35, -1
	s_mov_b32 s50, 0
	s_mov_b32 s99, s88
                                        ; implicit-def: $vgpr3
	s_branch .LBB87_1557
.LBB87_1489:
	s_mov_b32 s51, -1
	s_mov_b32 s50, 0
	s_mov_b32 s99, s88
                                        ; implicit-def: $vgpr3
	s_branch .LBB87_1523
.LBB87_1490:
	s_mov_b32 s51, -1
	s_mov_b32 s50, 0
	s_mov_b32 s99, s88
                                        ; implicit-def: $vgpr3
	s_branch .LBB87_1506
.LBB87_1491:
	s_mov_b32 s51, -1
	s_mov_b32 s50, 0
	s_mov_b32 s99, s88
                                        ; implicit-def: $vgpr3
	s_branch .LBB87_1501
.LBB87_1492:
	s_mov_b32 s51, -1
	s_mov_b32 s50, 0
	s_mov_b32 s99, s88
	s_branch .LBB87_1495
.LBB87_1493:
	s_mov_b32 s52, -1
	s_mov_b32 s53, 0
	s_mov_b32 s50, s60
	s_branch .LBB87_3644
.LBB87_1494:
	s_mov_b32 s99, -1
	s_mov_b32 s50, 0
.LBB87_1495:
                                        ; implicit-def: $vgpr3
.LBB87_1496:
	s_and_b32 vcc_lo, exec_lo, s51
	s_cbranch_vccz .LBB87_1500
; %bb.1497:
	s_cmp_eq_u32 s35, 44
	s_cbranch_scc0 .LBB87_1499
; %bb.1498:
	global_load_u8 v3, v[10:11], off
	s_mov_b32 s99, 0
	s_mov_b32 s50, -1
	s_wait_loadcnt 0x0
	v_lshlrev_b32_e32 v5, 23, v3
	v_cmp_ne_u32_e32 vcc_lo, 0, v3
	s_delay_alu instid0(VALU_DEP_2) | instskip(NEXT) | instid1(VALU_DEP_1)
	v_cvt_i32_f32_e32 v5, v5
	v_cndmask_b32_e32 v3, 0, v5, vcc_lo
	s_branch .LBB87_1500
.LBB87_1499:
	s_mov_b32 s99, -1
                                        ; implicit-def: $vgpr3
.LBB87_1500:
	s_mov_b32 s51, 0
.LBB87_1501:
	s_delay_alu instid0(SALU_CYCLE_1)
	s_and_b32 vcc_lo, exec_lo, s51
	s_cbranch_vccz .LBB87_1505
; %bb.1502:
	s_cmp_eq_u32 s35, 29
	s_cbranch_scc0 .LBB87_1504
; %bb.1503:
	global_load_b32 v3, v[10:11], off
	s_mov_b32 s50, -1
	s_mov_b32 s99, 0
	s_branch .LBB87_1505
.LBB87_1504:
	s_mov_b32 s99, -1
                                        ; implicit-def: $vgpr3
.LBB87_1505:
	s_mov_b32 s51, 0
.LBB87_1506:
	s_delay_alu instid0(SALU_CYCLE_1)
	s_and_b32 vcc_lo, exec_lo, s51
	s_cbranch_vccz .LBB87_1522
; %bb.1507:
	s_cmp_lt_i32 s35, 27
	s_cbranch_scc1 .LBB87_1510
; %bb.1508:
	s_cmp_gt_i32 s35, 27
	s_cbranch_scc0 .LBB87_1511
; %bb.1509:
	s_wait_loadcnt 0x0
	global_load_b32 v3, v[10:11], off
	s_mov_b32 s50, 0
	s_branch .LBB87_1512
.LBB87_1510:
	s_mov_b32 s50, -1
                                        ; implicit-def: $vgpr3
	s_branch .LBB87_1515
.LBB87_1511:
	s_mov_b32 s50, -1
                                        ; implicit-def: $vgpr3
.LBB87_1512:
	s_delay_alu instid0(SALU_CYCLE_1)
	s_and_not1_b32 vcc_lo, exec_lo, s50
	s_cbranch_vccnz .LBB87_1514
; %bb.1513:
	s_wait_loadcnt 0x0
	global_load_u16 v3, v[10:11], off
.LBB87_1514:
	s_mov_b32 s50, 0
.LBB87_1515:
	s_delay_alu instid0(SALU_CYCLE_1)
	s_and_not1_b32 vcc_lo, exec_lo, s50
	s_cbranch_vccnz .LBB87_1521
; %bb.1516:
	global_load_u8 v5, v[10:11], off
	s_mov_b32 s51, 0
	s_mov_b32 s4, exec_lo
	s_wait_loadcnt 0x0
	v_cmpx_lt_i16_e32 0x7f, v5
	s_xor_b32 s50, exec_lo, s4
	s_cbranch_execz .LBB87_1533
; %bb.1517:
	v_cmp_ne_u16_e32 vcc_lo, 0x80, v5
	s_and_b32 s51, vcc_lo, exec_lo
	s_and_not1_saveexec_b32 s50, s50
	s_cbranch_execnz .LBB87_1534
.LBB87_1518:
	s_or_b32 exec_lo, exec_lo, s50
	v_mov_b32_e32 v3, 0
	s_and_saveexec_b32 s50, s51
	s_cbranch_execz .LBB87_1520
.LBB87_1519:
	v_and_b32_e32 v3, 0xffff, v5
	s_delay_alu instid0(VALU_DEP_1) | instskip(SKIP_1) | instid1(VALU_DEP_2)
	v_and_b32_e32 v7, 7, v3
	v_bfe_u32 v13, v3, 3, 4
	v_clz_i32_u32_e32 v9, v7
	s_delay_alu instid0(VALU_DEP_2) | instskip(NEXT) | instid1(VALU_DEP_2)
	v_cmp_eq_u32_e32 vcc_lo, 0, v13
	v_min_u32_e32 v9, 32, v9
	s_delay_alu instid0(VALU_DEP_1) | instskip(NEXT) | instid1(VALU_DEP_1)
	v_subrev_nc_u32_e32 v12, 28, v9
	v_dual_lshlrev_b32 v3, v12, v3 :: v_dual_sub_nc_u32 v9, 29, v9
	s_delay_alu instid0(VALU_DEP_1) | instskip(NEXT) | instid1(VALU_DEP_1)
	v_dual_lshlrev_b32 v5, 24, v5 :: v_dual_bitop2_b32 v3, 7, v3 bitop3:0x40
	v_dual_cndmask_b32 v3, v7, v3, vcc_lo :: v_dual_cndmask_b32 v9, v13, v9, vcc_lo
	s_delay_alu instid0(VALU_DEP_2) | instskip(NEXT) | instid1(VALU_DEP_2)
	v_and_b32_e32 v5, 0x80000000, v5
	v_lshlrev_b32_e32 v3, 20, v3
	s_delay_alu instid0(VALU_DEP_3) | instskip(NEXT) | instid1(VALU_DEP_1)
	v_lshl_add_u32 v7, v9, 23, 0x3b800000
	v_or3_b32 v3, v5, v7, v3
	s_delay_alu instid0(VALU_DEP_1)
	v_cvt_i32_f32_e32 v3, v3
.LBB87_1520:
	s_or_b32 exec_lo, exec_lo, s50
.LBB87_1521:
	s_mov_b32 s50, -1
.LBB87_1522:
	s_mov_b32 s51, 0
.LBB87_1523:
	s_delay_alu instid0(SALU_CYCLE_1)
	s_and_b32 vcc_lo, exec_lo, s51
	s_cbranch_vccz .LBB87_1556
; %bb.1524:
	s_cmp_gt_i32 s35, 22
	s_cbranch_scc0 .LBB87_1532
; %bb.1525:
	s_cmp_lt_i32 s35, 24
	s_cbranch_scc1 .LBB87_1535
; %bb.1526:
	s_cmp_gt_i32 s35, 24
	s_cbranch_scc0 .LBB87_1536
; %bb.1527:
	global_load_u8 v5, v[10:11], off
	s_mov_b32 s51, 0
	s_mov_b32 s4, exec_lo
	s_wait_loadcnt 0x0
	v_cmpx_lt_i16_e32 0x7f, v5
	s_xor_b32 s50, exec_lo, s4
	s_cbranch_execz .LBB87_1548
; %bb.1528:
	v_cmp_ne_u16_e32 vcc_lo, 0x80, v5
	s_and_b32 s51, vcc_lo, exec_lo
	s_and_not1_saveexec_b32 s50, s50
	s_cbranch_execnz .LBB87_1549
.LBB87_1529:
	s_or_b32 exec_lo, exec_lo, s50
	v_mov_b32_e32 v3, 0
	s_and_saveexec_b32 s50, s51
	s_cbranch_execz .LBB87_1531
.LBB87_1530:
	v_and_b32_e32 v3, 0xffff, v5
	s_delay_alu instid0(VALU_DEP_1) | instskip(SKIP_1) | instid1(VALU_DEP_2)
	v_and_b32_e32 v7, 3, v3
	v_bfe_u32 v13, v3, 2, 5
	v_clz_i32_u32_e32 v9, v7
	s_delay_alu instid0(VALU_DEP_2) | instskip(NEXT) | instid1(VALU_DEP_2)
	v_cmp_eq_u32_e32 vcc_lo, 0, v13
	v_min_u32_e32 v9, 32, v9
	s_delay_alu instid0(VALU_DEP_1) | instskip(NEXT) | instid1(VALU_DEP_1)
	v_subrev_nc_u32_e32 v12, 29, v9
	v_dual_lshlrev_b32 v3, v12, v3 :: v_dual_sub_nc_u32 v9, 30, v9
	s_delay_alu instid0(VALU_DEP_1) | instskip(NEXT) | instid1(VALU_DEP_1)
	v_dual_lshlrev_b32 v5, 24, v5 :: v_dual_bitop2_b32 v3, 3, v3 bitop3:0x40
	v_dual_cndmask_b32 v3, v7, v3, vcc_lo :: v_dual_cndmask_b32 v9, v13, v9, vcc_lo
	s_delay_alu instid0(VALU_DEP_2) | instskip(NEXT) | instid1(VALU_DEP_2)
	v_and_b32_e32 v5, 0x80000000, v5
	v_lshlrev_b32_e32 v3, 21, v3
	s_delay_alu instid0(VALU_DEP_3) | instskip(NEXT) | instid1(VALU_DEP_1)
	v_lshl_add_u32 v7, v9, 23, 0x37800000
	v_or3_b32 v3, v5, v7, v3
	s_delay_alu instid0(VALU_DEP_1)
	v_cvt_i32_f32_e32 v3, v3
.LBB87_1531:
	s_or_b32 exec_lo, exec_lo, s50
	s_mov_b32 s50, 0
	s_branch .LBB87_1537
.LBB87_1532:
	s_mov_b32 s51, -1
                                        ; implicit-def: $vgpr3
	s_branch .LBB87_1543
.LBB87_1533:
	s_and_not1_saveexec_b32 s50, s50
	s_cbranch_execz .LBB87_1518
.LBB87_1534:
	v_cmp_ne_u16_e32 vcc_lo, 0, v5
	s_and_not1_b32 s4, s51, exec_lo
	s_and_b32 s5, vcc_lo, exec_lo
	s_delay_alu instid0(SALU_CYCLE_1)
	s_or_b32 s51, s4, s5
	s_or_b32 exec_lo, exec_lo, s50
	v_mov_b32_e32 v3, 0
	s_and_saveexec_b32 s50, s51
	s_cbranch_execnz .LBB87_1519
	s_branch .LBB87_1520
.LBB87_1535:
	s_mov_b32 s50, -1
                                        ; implicit-def: $vgpr3
	s_branch .LBB87_1540
.LBB87_1536:
	s_mov_b32 s50, -1
                                        ; implicit-def: $vgpr3
.LBB87_1537:
	s_delay_alu instid0(SALU_CYCLE_1)
	s_and_b32 vcc_lo, exec_lo, s50
	s_cbranch_vccz .LBB87_1539
; %bb.1538:
	s_wait_loadcnt 0x0
	global_load_u8 v3, v[10:11], off
	s_wait_loadcnt 0x0
	v_lshlrev_b32_e32 v3, 24, v3
	s_delay_alu instid0(VALU_DEP_1) | instskip(NEXT) | instid1(VALU_DEP_1)
	v_and_b32_e32 v5, 0x7f000000, v3
	v_clz_i32_u32_e32 v7, v5
	v_cmp_ne_u32_e32 vcc_lo, 0, v5
	v_add_nc_u32_e32 v12, 0x1000000, v5
	s_delay_alu instid0(VALU_DEP_3) | instskip(NEXT) | instid1(VALU_DEP_1)
	v_min_u32_e32 v7, 32, v7
	v_sub_nc_u32_e64 v7, v7, 4 clamp
	s_delay_alu instid0(VALU_DEP_1) | instskip(NEXT) | instid1(VALU_DEP_1)
	v_dual_lshlrev_b32 v9, v7, v5 :: v_dual_lshlrev_b32 v7, 23, v7
	v_lshrrev_b32_e32 v9, 4, v9
	s_delay_alu instid0(VALU_DEP_1) | instskip(NEXT) | instid1(VALU_DEP_1)
	v_dual_sub_nc_u32 v7, v9, v7 :: v_dual_ashrrev_i32 v9, 8, v12
	v_add_nc_u32_e32 v7, 0x3c000000, v7
	s_delay_alu instid0(VALU_DEP_1) | instskip(NEXT) | instid1(VALU_DEP_1)
	v_and_or_b32 v7, 0x7f800000, v9, v7
	v_cndmask_b32_e32 v5, 0, v7, vcc_lo
	s_delay_alu instid0(VALU_DEP_1) | instskip(NEXT) | instid1(VALU_DEP_1)
	v_and_or_b32 v3, 0x80000000, v3, v5
	v_cvt_i32_f32_e32 v3, v3
.LBB87_1539:
	s_mov_b32 s50, 0
.LBB87_1540:
	s_delay_alu instid0(SALU_CYCLE_1)
	s_and_not1_b32 vcc_lo, exec_lo, s50
	s_cbranch_vccnz .LBB87_1542
; %bb.1541:
	s_wait_loadcnt 0x0
	global_load_u8 v3, v[10:11], off
	s_wait_loadcnt 0x0
	v_lshlrev_b32_e32 v5, 25, v3
	v_lshlrev_b16 v3, 8, v3
	s_delay_alu instid0(VALU_DEP_1) | instskip(SKIP_1) | instid1(VALU_DEP_2)
	v_and_or_b32 v9, 0x7f00, v3, 0.5
	v_bfe_i32 v3, v3, 0, 16
	v_add_f32_e32 v9, -0.5, v9
	v_lshrrev_b32_e32 v7, 4, v5
	v_cmp_gt_u32_e32 vcc_lo, 0x8000000, v5
	s_delay_alu instid0(VALU_DEP_2) | instskip(NEXT) | instid1(VALU_DEP_1)
	v_or_b32_e32 v7, 0x70000000, v7
	v_mul_f32_e32 v7, 0x7800000, v7
	s_delay_alu instid0(VALU_DEP_1) | instskip(NEXT) | instid1(VALU_DEP_1)
	v_cndmask_b32_e32 v5, v7, v9, vcc_lo
	v_and_or_b32 v3, 0x80000000, v3, v5
	s_delay_alu instid0(VALU_DEP_1)
	v_cvt_i32_f32_e32 v3, v3
.LBB87_1542:
	s_mov_b32 s51, 0
	s_mov_b32 s50, -1
.LBB87_1543:
	s_and_not1_b32 vcc_lo, exec_lo, s51
	s_cbranch_vccnz .LBB87_1556
; %bb.1544:
	s_cmp_gt_i32 s35, 14
	s_cbranch_scc0 .LBB87_1547
; %bb.1545:
	s_cmp_eq_u32 s35, 15
	s_cbranch_scc0 .LBB87_1550
; %bb.1546:
	s_wait_loadcnt 0x0
	global_load_u16 v3, v[10:11], off
	s_mov_b32 s50, -1
	s_mov_b32 s99, 0
	s_wait_loadcnt 0x0
	v_lshlrev_b32_e32 v3, 16, v3
	s_delay_alu instid0(VALU_DEP_1)
	v_cvt_i32_f32_e32 v3, v3
	s_branch .LBB87_1551
.LBB87_1547:
	s_mov_b32 s51, -1
                                        ; implicit-def: $vgpr3
	s_branch .LBB87_1552
.LBB87_1548:
	s_and_not1_saveexec_b32 s50, s50
	s_cbranch_execz .LBB87_1529
.LBB87_1549:
	v_cmp_ne_u16_e32 vcc_lo, 0, v5
	s_and_not1_b32 s4, s51, exec_lo
	s_and_b32 s5, vcc_lo, exec_lo
	s_delay_alu instid0(SALU_CYCLE_1)
	s_or_b32 s51, s4, s5
	s_or_b32 exec_lo, exec_lo, s50
	v_mov_b32_e32 v3, 0
	s_and_saveexec_b32 s50, s51
	s_cbranch_execnz .LBB87_1530
	s_branch .LBB87_1531
.LBB87_1550:
	s_mov_b32 s99, -1
                                        ; implicit-def: $vgpr3
.LBB87_1551:
	s_mov_b32 s51, 0
.LBB87_1552:
	s_delay_alu instid0(SALU_CYCLE_1)
	s_and_b32 vcc_lo, exec_lo, s51
	s_cbranch_vccz .LBB87_1556
; %bb.1553:
	s_cmp_eq_u32 s35, 11
	s_cbranch_scc0 .LBB87_1555
; %bb.1554:
	s_wait_loadcnt 0x0
	global_load_u8 v3, v[10:11], off
	s_mov_b32 s99, 0
	s_mov_b32 s50, -1
	s_wait_loadcnt 0x0
	v_cmp_ne_u16_e32 vcc_lo, 0, v3
	v_cndmask_b32_e64 v3, 0, 1, vcc_lo
	s_branch .LBB87_1556
.LBB87_1555:
	s_mov_b32 s99, -1
                                        ; implicit-def: $vgpr3
.LBB87_1556:
	s_mov_b32 s35, 0
.LBB87_1557:
	s_delay_alu instid0(SALU_CYCLE_1)
	s_and_b32 vcc_lo, exec_lo, s35
	s_cbranch_vccz .LBB87_1606
; %bb.1558:
	s_and_b32 s0, 0xffff, s0
	s_delay_alu instid0(SALU_CYCLE_1)
	s_cmp_lt_i32 s0, 5
	s_cbranch_scc1 .LBB87_1563
; %bb.1559:
	s_cmp_lt_i32 s0, 8
	s_cbranch_scc1 .LBB87_1564
; %bb.1560:
	;; [unrolled: 3-line block ×3, first 2 shown]
	s_cmp_gt_i32 s0, 9
	s_cbranch_scc0 .LBB87_1566
; %bb.1562:
	global_load_b64 v[12:13], v[10:11], off
	s_mov_b32 s35, 0
	s_wait_loadcnt 0x0
	v_cvt_i32_f64_e32 v3, v[12:13]
	s_branch .LBB87_1567
.LBB87_1563:
	s_mov_b32 s35, -1
                                        ; implicit-def: $vgpr3
	s_branch .LBB87_1585
.LBB87_1564:
	s_mov_b32 s35, -1
                                        ; implicit-def: $vgpr3
	s_branch .LBB87_1573
.LBB87_1565:
	s_mov_b32 s35, -1
                                        ; implicit-def: $vgpr3
	s_branch .LBB87_1570
.LBB87_1566:
	s_mov_b32 s35, -1
                                        ; implicit-def: $vgpr3
.LBB87_1567:
	s_delay_alu instid0(SALU_CYCLE_1)
	s_and_not1_b32 vcc_lo, exec_lo, s35
	s_cbranch_vccnz .LBB87_1569
; %bb.1568:
	s_wait_loadcnt 0x0
	global_load_b32 v3, v[10:11], off
	s_wait_loadcnt 0x0
	v_cvt_i32_f32_e32 v3, v3
.LBB87_1569:
	s_mov_b32 s35, 0
.LBB87_1570:
	s_delay_alu instid0(SALU_CYCLE_1)
	s_and_not1_b32 vcc_lo, exec_lo, s35
	s_cbranch_vccnz .LBB87_1572
; %bb.1571:
	s_wait_loadcnt 0x0
	global_load_b32 v3, v[10:11], off
	s_wait_loadcnt 0x0
	v_cvt_f32_f16_e32 v3, v3
	s_delay_alu instid0(VALU_DEP_1)
	v_cvt_i32_f32_e32 v3, v3
.LBB87_1572:
	s_mov_b32 s35, 0
.LBB87_1573:
	s_delay_alu instid0(SALU_CYCLE_1)
	s_and_not1_b32 vcc_lo, exec_lo, s35
	s_cbranch_vccnz .LBB87_1584
; %bb.1574:
	s_cmp_lt_i32 s0, 6
	s_cbranch_scc1 .LBB87_1577
; %bb.1575:
	s_cmp_gt_i32 s0, 6
	s_cbranch_scc0 .LBB87_1578
; %bb.1576:
	global_load_b64 v[12:13], v[10:11], off
	s_mov_b32 s35, 0
	s_wait_loadcnt 0x0
	v_cvt_i32_f64_e32 v3, v[12:13]
	s_branch .LBB87_1579
.LBB87_1577:
	s_mov_b32 s35, -1
                                        ; implicit-def: $vgpr3
	s_branch .LBB87_1582
.LBB87_1578:
	s_mov_b32 s35, -1
                                        ; implicit-def: $vgpr3
.LBB87_1579:
	s_delay_alu instid0(SALU_CYCLE_1)
	s_and_not1_b32 vcc_lo, exec_lo, s35
	s_cbranch_vccnz .LBB87_1581
; %bb.1580:
	s_wait_loadcnt 0x0
	global_load_b32 v3, v[10:11], off
	s_wait_loadcnt 0x0
	v_cvt_i32_f32_e32 v3, v3
.LBB87_1581:
	s_mov_b32 s35, 0
.LBB87_1582:
	s_delay_alu instid0(SALU_CYCLE_1)
	s_and_not1_b32 vcc_lo, exec_lo, s35
	s_cbranch_vccnz .LBB87_1584
; %bb.1583:
	s_wait_loadcnt 0x0
	global_load_u16 v3, v[10:11], off
	s_wait_loadcnt 0x0
	v_cvt_f32_f16_e32 v3, v3
	s_delay_alu instid0(VALU_DEP_1)
	v_cvt_i32_f32_e32 v3, v3
.LBB87_1584:
	s_mov_b32 s35, 0
.LBB87_1585:
	s_delay_alu instid0(SALU_CYCLE_1)
	s_and_not1_b32 vcc_lo, exec_lo, s35
	s_cbranch_vccnz .LBB87_1605
; %bb.1586:
	s_cmp_lt_i32 s0, 2
	s_cbranch_scc1 .LBB87_1590
; %bb.1587:
	s_cmp_lt_i32 s0, 3
	s_cbranch_scc1 .LBB87_1591
; %bb.1588:
	s_cmp_gt_i32 s0, 3
	s_cbranch_scc0 .LBB87_1592
; %bb.1589:
	s_wait_loadcnt 0x0
	global_load_b32 v3, v[10:11], off
	s_mov_b32 s35, 0
	s_branch .LBB87_1593
.LBB87_1590:
	s_mov_b32 s35, -1
                                        ; implicit-def: $vgpr3
	s_branch .LBB87_1599
.LBB87_1591:
	s_mov_b32 s35, -1
                                        ; implicit-def: $vgpr3
	s_branch .LBB87_1596
.LBB87_1592:
	s_mov_b32 s35, -1
                                        ; implicit-def: $vgpr3
.LBB87_1593:
	s_delay_alu instid0(SALU_CYCLE_1)
	s_and_not1_b32 vcc_lo, exec_lo, s35
	s_cbranch_vccnz .LBB87_1595
; %bb.1594:
	s_wait_loadcnt 0x0
	global_load_b32 v3, v[10:11], off
.LBB87_1595:
	s_mov_b32 s35, 0
.LBB87_1596:
	s_delay_alu instid0(SALU_CYCLE_1)
	s_and_not1_b32 vcc_lo, exec_lo, s35
	s_cbranch_vccnz .LBB87_1598
; %bb.1597:
	s_wait_loadcnt 0x0
	global_load_i16 v3, v[10:11], off
.LBB87_1598:
	s_mov_b32 s35, 0
.LBB87_1599:
	s_delay_alu instid0(SALU_CYCLE_1)
	s_and_not1_b32 vcc_lo, exec_lo, s35
	s_cbranch_vccnz .LBB87_1605
; %bb.1600:
	s_cmp_gt_i32 s0, 0
	s_mov_b32 s0, 0
	s_cbranch_scc0 .LBB87_1602
; %bb.1601:
	s_wait_loadcnt 0x0
	global_load_i8 v3, v[10:11], off
	s_branch .LBB87_1603
.LBB87_1602:
	s_mov_b32 s0, -1
                                        ; implicit-def: $vgpr3
.LBB87_1603:
	s_delay_alu instid0(SALU_CYCLE_1)
	s_and_not1_b32 vcc_lo, exec_lo, s0
	s_cbranch_vccnz .LBB87_1605
; %bb.1604:
	s_wait_loadcnt 0x0
	global_load_u8 v3, v[10:11], off
.LBB87_1605:
	s_mov_b32 s50, -1
.LBB87_1606:
	s_delay_alu instid0(SALU_CYCLE_1)
	s_and_not1_b32 vcc_lo, exec_lo, s50
	s_cbranch_vccnz .LBB87_1614
; %bb.1607:
	s_load_b256 s[4:11], s[2:3], 0x248
	v_mov_b32_e32 v9, 0
	s_and_b32 s0, s44, 0xff
	s_delay_alu instid0(SALU_CYCLE_1) | instskip(SKIP_1) | instid1(VALU_DEP_1)
	s_cmp_lt_i32 s0, 11
	s_wait_kmcnt 0x0
	v_add_nc_u64_e32 v[10:11], s[10:11], v[8:9]
	s_cbranch_scc1 .LBB87_1615
; %bb.1608:
	s_and_b32 s35, 0xffff, s0
	s_delay_alu instid0(SALU_CYCLE_1)
	s_cmp_gt_i32 s35, 25
	s_cbranch_scc0 .LBB87_1616
; %bb.1609:
	s_cmp_gt_i32 s35, 28
	s_cbranch_scc0 .LBB87_1617
; %bb.1610:
	;; [unrolled: 3-line block ×4, first 2 shown]
	s_cmp_eq_u32 s35, 46
	s_mov_b32 s51, 0
	s_cbranch_scc0 .LBB87_1621
; %bb.1613:
	global_load_b32 v5, v[10:11], off
	s_mov_b32 s50, -1
	s_mov_b32 s100, 0
	s_wait_loadcnt 0x0
	v_lshlrev_b32_e32 v5, 16, v5
	s_delay_alu instid0(VALU_DEP_1)
	v_cvt_i32_f32_e32 v8, v5
	s_branch .LBB87_1623
.LBB87_1614:
	s_mov_b32 s0, 0
	s_mov_b32 s35, s67
	;; [unrolled: 1-line block ×9, first 2 shown]
	s_branch .LBB87_2085
.LBB87_1615:
	s_mov_b32 s35, -1
	s_mov_b32 s50, 0
	s_mov_b32 s100, s87
                                        ; implicit-def: $vgpr8
	s_branch .LBB87_1684
.LBB87_1616:
	s_mov_b32 s51, -1
	s_mov_b32 s50, 0
	s_mov_b32 s100, s87
                                        ; implicit-def: $vgpr8
	s_branch .LBB87_1650
.LBB87_1617:
	s_mov_b32 s51, -1
	s_mov_b32 s50, 0
	s_mov_b32 s100, s87
                                        ; implicit-def: $vgpr8
	s_branch .LBB87_1633
.LBB87_1618:
	s_mov_b32 s51, -1
	s_mov_b32 s50, 0
	s_mov_b32 s100, s87
                                        ; implicit-def: $vgpr8
	s_branch .LBB87_1628
.LBB87_1619:
	s_mov_b32 s51, -1
	s_mov_b32 s50, 0
	s_mov_b32 s100, s87
	s_branch .LBB87_1622
.LBB87_1620:
	s_mov_b32 s54, -1
	s_mov_b32 s53, 0
	s_mov_b32 s50, s60
	s_branch .LBB87_3624
.LBB87_1621:
	s_mov_b32 s100, -1
	s_mov_b32 s50, 0
.LBB87_1622:
                                        ; implicit-def: $vgpr8
.LBB87_1623:
	s_and_b32 vcc_lo, exec_lo, s51
	s_cbranch_vccz .LBB87_1627
; %bb.1624:
	s_cmp_eq_u32 s35, 44
	s_cbranch_scc0 .LBB87_1626
; %bb.1625:
	global_load_u8 v5, v[10:11], off
	s_mov_b32 s100, 0
	s_mov_b32 s50, -1
	s_wait_loadcnt 0x0
	v_lshlrev_b32_e32 v7, 23, v5
	v_cmp_ne_u32_e32 vcc_lo, 0, v5
	s_delay_alu instid0(VALU_DEP_2) | instskip(NEXT) | instid1(VALU_DEP_1)
	v_cvt_i32_f32_e32 v7, v7
	v_cndmask_b32_e32 v8, 0, v7, vcc_lo
	s_branch .LBB87_1627
.LBB87_1626:
	s_mov_b32 s100, -1
                                        ; implicit-def: $vgpr8
.LBB87_1627:
	s_mov_b32 s51, 0
.LBB87_1628:
	s_delay_alu instid0(SALU_CYCLE_1)
	s_and_b32 vcc_lo, exec_lo, s51
	s_cbranch_vccz .LBB87_1632
; %bb.1629:
	s_cmp_eq_u32 s35, 29
	s_cbranch_scc0 .LBB87_1631
; %bb.1630:
	global_load_b32 v8, v[10:11], off
	s_mov_b32 s50, -1
	s_mov_b32 s100, 0
	s_branch .LBB87_1632
.LBB87_1631:
	s_mov_b32 s100, -1
                                        ; implicit-def: $vgpr8
.LBB87_1632:
	s_mov_b32 s51, 0
.LBB87_1633:
	s_delay_alu instid0(SALU_CYCLE_1)
	s_and_b32 vcc_lo, exec_lo, s51
	s_cbranch_vccz .LBB87_1649
; %bb.1634:
	s_cmp_lt_i32 s35, 27
	s_cbranch_scc1 .LBB87_1637
; %bb.1635:
	s_cmp_gt_i32 s35, 27
	s_cbranch_scc0 .LBB87_1638
; %bb.1636:
	s_wait_loadcnt 0x0
	global_load_b32 v8, v[10:11], off
	s_mov_b32 s50, 0
	s_branch .LBB87_1639
.LBB87_1637:
	s_mov_b32 s50, -1
                                        ; implicit-def: $vgpr8
	s_branch .LBB87_1642
.LBB87_1638:
	s_mov_b32 s50, -1
                                        ; implicit-def: $vgpr8
.LBB87_1639:
	s_delay_alu instid0(SALU_CYCLE_1)
	s_and_not1_b32 vcc_lo, exec_lo, s50
	s_cbranch_vccnz .LBB87_1641
; %bb.1640:
	s_wait_loadcnt 0x0
	global_load_u16 v8, v[10:11], off
.LBB87_1641:
	s_mov_b32 s50, 0
.LBB87_1642:
	s_delay_alu instid0(SALU_CYCLE_1)
	s_and_not1_b32 vcc_lo, exec_lo, s50
	s_cbranch_vccnz .LBB87_1648
; %bb.1643:
	global_load_u8 v5, v[10:11], off
	s_mov_b32 s51, 0
	s_mov_b32 s4, exec_lo
	s_wait_loadcnt 0x0
	v_cmpx_lt_i16_e32 0x7f, v5
	s_xor_b32 s50, exec_lo, s4
	s_cbranch_execz .LBB87_1660
; %bb.1644:
	v_cmp_ne_u16_e32 vcc_lo, 0x80, v5
	s_and_b32 s51, vcc_lo, exec_lo
	s_and_not1_saveexec_b32 s50, s50
	s_cbranch_execnz .LBB87_1661
.LBB87_1645:
	s_or_b32 exec_lo, exec_lo, s50
	v_mov_b32_e32 v8, 0
	s_and_saveexec_b32 s50, s51
	s_cbranch_execz .LBB87_1647
.LBB87_1646:
	v_and_b32_e32 v7, 0xffff, v5
	s_delay_alu instid0(VALU_DEP_1) | instskip(SKIP_1) | instid1(VALU_DEP_2)
	v_and_b32_e32 v8, 7, v7
	v_bfe_u32 v13, v7, 3, 4
	v_clz_i32_u32_e32 v9, v8
	s_delay_alu instid0(VALU_DEP_2) | instskip(NEXT) | instid1(VALU_DEP_2)
	v_cmp_eq_u32_e32 vcc_lo, 0, v13
	v_min_u32_e32 v9, 32, v9
	s_delay_alu instid0(VALU_DEP_1) | instskip(NEXT) | instid1(VALU_DEP_1)
	v_subrev_nc_u32_e32 v12, 28, v9
	v_dual_lshlrev_b32 v7, v12, v7 :: v_dual_sub_nc_u32 v9, 29, v9
	s_delay_alu instid0(VALU_DEP_1) | instskip(NEXT) | instid1(VALU_DEP_1)
	v_dual_lshlrev_b32 v5, 24, v5 :: v_dual_bitop2_b32 v7, 7, v7 bitop3:0x40
	v_dual_cndmask_b32 v7, v8, v7, vcc_lo :: v_dual_cndmask_b32 v9, v13, v9, vcc_lo
	s_delay_alu instid0(VALU_DEP_2) | instskip(NEXT) | instid1(VALU_DEP_2)
	v_and_b32_e32 v5, 0x80000000, v5
	v_lshlrev_b32_e32 v7, 20, v7
	s_delay_alu instid0(VALU_DEP_3) | instskip(NEXT) | instid1(VALU_DEP_1)
	v_lshl_add_u32 v8, v9, 23, 0x3b800000
	v_or3_b32 v5, v5, v8, v7
	s_delay_alu instid0(VALU_DEP_1)
	v_cvt_i32_f32_e32 v8, v5
.LBB87_1647:
	s_or_b32 exec_lo, exec_lo, s50
.LBB87_1648:
	s_mov_b32 s50, -1
.LBB87_1649:
	s_mov_b32 s51, 0
.LBB87_1650:
	s_delay_alu instid0(SALU_CYCLE_1)
	s_and_b32 vcc_lo, exec_lo, s51
	s_cbranch_vccz .LBB87_1683
; %bb.1651:
	s_cmp_gt_i32 s35, 22
	s_cbranch_scc0 .LBB87_1659
; %bb.1652:
	s_cmp_lt_i32 s35, 24
	s_cbranch_scc1 .LBB87_1662
; %bb.1653:
	s_cmp_gt_i32 s35, 24
	s_cbranch_scc0 .LBB87_1663
; %bb.1654:
	global_load_u8 v5, v[10:11], off
	s_mov_b32 s51, 0
	s_mov_b32 s4, exec_lo
	s_wait_loadcnt 0x0
	v_cmpx_lt_i16_e32 0x7f, v5
	s_xor_b32 s50, exec_lo, s4
	s_cbranch_execz .LBB87_1675
; %bb.1655:
	v_cmp_ne_u16_e32 vcc_lo, 0x80, v5
	s_and_b32 s51, vcc_lo, exec_lo
	s_and_not1_saveexec_b32 s50, s50
	s_cbranch_execnz .LBB87_1676
.LBB87_1656:
	s_or_b32 exec_lo, exec_lo, s50
	v_mov_b32_e32 v8, 0
	s_and_saveexec_b32 s50, s51
	s_cbranch_execz .LBB87_1658
.LBB87_1657:
	v_and_b32_e32 v7, 0xffff, v5
	s_delay_alu instid0(VALU_DEP_1) | instskip(SKIP_1) | instid1(VALU_DEP_2)
	v_and_b32_e32 v8, 3, v7
	v_bfe_u32 v13, v7, 2, 5
	v_clz_i32_u32_e32 v9, v8
	s_delay_alu instid0(VALU_DEP_2) | instskip(NEXT) | instid1(VALU_DEP_2)
	v_cmp_eq_u32_e32 vcc_lo, 0, v13
	v_min_u32_e32 v9, 32, v9
	s_delay_alu instid0(VALU_DEP_1) | instskip(NEXT) | instid1(VALU_DEP_1)
	v_subrev_nc_u32_e32 v12, 29, v9
	v_dual_lshlrev_b32 v7, v12, v7 :: v_dual_sub_nc_u32 v9, 30, v9
	s_delay_alu instid0(VALU_DEP_1) | instskip(NEXT) | instid1(VALU_DEP_1)
	v_dual_lshlrev_b32 v5, 24, v5 :: v_dual_bitop2_b32 v7, 3, v7 bitop3:0x40
	v_dual_cndmask_b32 v7, v8, v7, vcc_lo :: v_dual_cndmask_b32 v9, v13, v9, vcc_lo
	s_delay_alu instid0(VALU_DEP_2) | instskip(NEXT) | instid1(VALU_DEP_2)
	v_and_b32_e32 v5, 0x80000000, v5
	v_lshlrev_b32_e32 v7, 21, v7
	s_delay_alu instid0(VALU_DEP_3) | instskip(NEXT) | instid1(VALU_DEP_1)
	v_lshl_add_u32 v8, v9, 23, 0x37800000
	v_or3_b32 v5, v5, v8, v7
	s_delay_alu instid0(VALU_DEP_1)
	v_cvt_i32_f32_e32 v8, v5
.LBB87_1658:
	s_or_b32 exec_lo, exec_lo, s50
	s_mov_b32 s50, 0
	s_branch .LBB87_1664
.LBB87_1659:
	s_mov_b32 s51, -1
                                        ; implicit-def: $vgpr8
	s_branch .LBB87_1670
.LBB87_1660:
	s_and_not1_saveexec_b32 s50, s50
	s_cbranch_execz .LBB87_1645
.LBB87_1661:
	v_cmp_ne_u16_e32 vcc_lo, 0, v5
	s_and_not1_b32 s4, s51, exec_lo
	s_and_b32 s5, vcc_lo, exec_lo
	s_delay_alu instid0(SALU_CYCLE_1)
	s_or_b32 s51, s4, s5
	s_or_b32 exec_lo, exec_lo, s50
	v_mov_b32_e32 v8, 0
	s_and_saveexec_b32 s50, s51
	s_cbranch_execnz .LBB87_1646
	s_branch .LBB87_1647
.LBB87_1662:
	s_mov_b32 s50, -1
                                        ; implicit-def: $vgpr8
	s_branch .LBB87_1667
.LBB87_1663:
	s_mov_b32 s50, -1
                                        ; implicit-def: $vgpr8
.LBB87_1664:
	s_delay_alu instid0(SALU_CYCLE_1)
	s_and_b32 vcc_lo, exec_lo, s50
	s_cbranch_vccz .LBB87_1666
; %bb.1665:
	global_load_u8 v5, v[10:11], off
	s_wait_loadcnt 0x0
	v_lshlrev_b32_e32 v5, 24, v5
	s_delay_alu instid0(VALU_DEP_1) | instskip(NEXT) | instid1(VALU_DEP_1)
	v_and_b32_e32 v7, 0x7f000000, v5
	v_clz_i32_u32_e32 v8, v7
	v_cmp_ne_u32_e32 vcc_lo, 0, v7
	v_add_nc_u32_e32 v12, 0x1000000, v7
	s_delay_alu instid0(VALU_DEP_3) | instskip(NEXT) | instid1(VALU_DEP_1)
	v_min_u32_e32 v8, 32, v8
	v_sub_nc_u32_e64 v8, v8, 4 clamp
	s_delay_alu instid0(VALU_DEP_1) | instskip(NEXT) | instid1(VALU_DEP_1)
	v_dual_lshlrev_b32 v9, v8, v7 :: v_dual_lshlrev_b32 v8, 23, v8
	v_lshrrev_b32_e32 v9, 4, v9
	s_delay_alu instid0(VALU_DEP_1) | instskip(SKIP_1) | instid1(VALU_DEP_2)
	v_sub_nc_u32_e32 v8, v9, v8
	v_ashrrev_i32_e32 v9, 8, v12
	v_add_nc_u32_e32 v8, 0x3c000000, v8
	s_delay_alu instid0(VALU_DEP_1) | instskip(NEXT) | instid1(VALU_DEP_1)
	v_and_or_b32 v8, 0x7f800000, v9, v8
	v_cndmask_b32_e32 v7, 0, v8, vcc_lo
	s_delay_alu instid0(VALU_DEP_1) | instskip(NEXT) | instid1(VALU_DEP_1)
	v_and_or_b32 v5, 0x80000000, v5, v7
	v_cvt_i32_f32_e32 v8, v5
.LBB87_1666:
	s_mov_b32 s50, 0
.LBB87_1667:
	s_delay_alu instid0(SALU_CYCLE_1)
	s_and_not1_b32 vcc_lo, exec_lo, s50
	s_cbranch_vccnz .LBB87_1669
; %bb.1668:
	global_load_u8 v5, v[10:11], off
	s_wait_loadcnt 0x0
	v_lshlrev_b32_e32 v7, 25, v5
	v_lshlrev_b16 v5, 8, v5
	s_delay_alu instid0(VALU_DEP_1) | instskip(NEXT) | instid1(VALU_DEP_3)
	v_and_or_b32 v9, 0x7f00, v5, 0.5
	v_lshrrev_b32_e32 v8, 4, v7
	v_bfe_i32 v5, v5, 0, 16
	s_delay_alu instid0(VALU_DEP_3) | instskip(NEXT) | instid1(VALU_DEP_3)
	v_add_f32_e32 v9, -0.5, v9
	v_or_b32_e32 v8, 0x70000000, v8
	s_delay_alu instid0(VALU_DEP_1) | instskip(SKIP_1) | instid1(VALU_DEP_2)
	v_mul_f32_e32 v8, 0x7800000, v8
	v_cmp_gt_u32_e32 vcc_lo, 0x8000000, v7
	v_cndmask_b32_e32 v7, v8, v9, vcc_lo
	s_delay_alu instid0(VALU_DEP_1) | instskip(NEXT) | instid1(VALU_DEP_1)
	v_and_or_b32 v5, 0x80000000, v5, v7
	v_cvt_i32_f32_e32 v8, v5
.LBB87_1669:
	s_mov_b32 s51, 0
	s_mov_b32 s50, -1
.LBB87_1670:
	s_and_not1_b32 vcc_lo, exec_lo, s51
	s_cbranch_vccnz .LBB87_1683
; %bb.1671:
	s_cmp_gt_i32 s35, 14
	s_cbranch_scc0 .LBB87_1674
; %bb.1672:
	s_cmp_eq_u32 s35, 15
	s_cbranch_scc0 .LBB87_1677
; %bb.1673:
	global_load_u16 v5, v[10:11], off
	s_mov_b32 s50, -1
	s_mov_b32 s100, 0
	s_wait_loadcnt 0x0
	v_lshlrev_b32_e32 v5, 16, v5
	s_delay_alu instid0(VALU_DEP_1)
	v_cvt_i32_f32_e32 v8, v5
	s_branch .LBB87_1678
.LBB87_1674:
	s_mov_b32 s51, -1
                                        ; implicit-def: $vgpr8
	s_branch .LBB87_1679
.LBB87_1675:
	s_and_not1_saveexec_b32 s50, s50
	s_cbranch_execz .LBB87_1656
.LBB87_1676:
	v_cmp_ne_u16_e32 vcc_lo, 0, v5
	s_and_not1_b32 s4, s51, exec_lo
	s_and_b32 s5, vcc_lo, exec_lo
	s_delay_alu instid0(SALU_CYCLE_1)
	s_or_b32 s51, s4, s5
	s_or_b32 exec_lo, exec_lo, s50
	v_mov_b32_e32 v8, 0
	s_and_saveexec_b32 s50, s51
	s_cbranch_execnz .LBB87_1657
	s_branch .LBB87_1658
.LBB87_1677:
	s_mov_b32 s100, -1
                                        ; implicit-def: $vgpr8
.LBB87_1678:
	s_mov_b32 s51, 0
.LBB87_1679:
	s_delay_alu instid0(SALU_CYCLE_1)
	s_and_b32 vcc_lo, exec_lo, s51
	s_cbranch_vccz .LBB87_1683
; %bb.1680:
	s_cmp_eq_u32 s35, 11
	s_cbranch_scc0 .LBB87_1682
; %bb.1681:
	global_load_u8 v5, v[10:11], off
	s_mov_b32 s100, 0
	s_mov_b32 s50, -1
	s_wait_loadcnt 0x0
	v_cmp_ne_u16_e32 vcc_lo, 0, v5
	v_cndmask_b32_e64 v8, 0, 1, vcc_lo
	s_branch .LBB87_1683
.LBB87_1682:
	s_mov_b32 s100, -1
                                        ; implicit-def: $vgpr8
.LBB87_1683:
	s_mov_b32 s35, 0
.LBB87_1684:
	s_delay_alu instid0(SALU_CYCLE_1)
	s_and_b32 vcc_lo, exec_lo, s35
	s_cbranch_vccz .LBB87_1733
; %bb.1685:
	s_and_b32 s0, 0xffff, s0
	s_delay_alu instid0(SALU_CYCLE_1)
	s_cmp_lt_i32 s0, 5
	s_cbranch_scc1 .LBB87_1690
; %bb.1686:
	s_cmp_lt_i32 s0, 8
	s_cbranch_scc1 .LBB87_1691
; %bb.1687:
	;; [unrolled: 3-line block ×3, first 2 shown]
	s_cmp_gt_i32 s0, 9
	s_cbranch_scc0 .LBB87_1693
; %bb.1689:
	s_wait_loadcnt 0x0
	global_load_b64 v[8:9], v[10:11], off
	s_mov_b32 s35, 0
	s_wait_loadcnt 0x0
	v_cvt_i32_f64_e32 v8, v[8:9]
	s_branch .LBB87_1694
.LBB87_1690:
	s_mov_b32 s35, -1
                                        ; implicit-def: $vgpr8
	s_branch .LBB87_1712
.LBB87_1691:
	s_mov_b32 s35, -1
                                        ; implicit-def: $vgpr8
	s_branch .LBB87_1700
.LBB87_1692:
	s_mov_b32 s35, -1
                                        ; implicit-def: $vgpr8
	s_branch .LBB87_1697
.LBB87_1693:
	s_mov_b32 s35, -1
                                        ; implicit-def: $vgpr8
.LBB87_1694:
	s_delay_alu instid0(SALU_CYCLE_1)
	s_and_not1_b32 vcc_lo, exec_lo, s35
	s_cbranch_vccnz .LBB87_1696
; %bb.1695:
	global_load_b32 v5, v[10:11], off
	s_wait_loadcnt 0x0
	v_cvt_i32_f32_e32 v8, v5
.LBB87_1696:
	s_mov_b32 s35, 0
.LBB87_1697:
	s_delay_alu instid0(SALU_CYCLE_1)
	s_and_not1_b32 vcc_lo, exec_lo, s35
	s_cbranch_vccnz .LBB87_1699
; %bb.1698:
	global_load_b32 v5, v[10:11], off
	s_wait_loadcnt 0x0
	v_cvt_f32_f16_e32 v5, v5
	s_delay_alu instid0(VALU_DEP_1)
	v_cvt_i32_f32_e32 v8, v5
.LBB87_1699:
	s_mov_b32 s35, 0
.LBB87_1700:
	s_delay_alu instid0(SALU_CYCLE_1)
	s_and_not1_b32 vcc_lo, exec_lo, s35
	s_cbranch_vccnz .LBB87_1711
; %bb.1701:
	s_cmp_lt_i32 s0, 6
	s_cbranch_scc1 .LBB87_1704
; %bb.1702:
	s_cmp_gt_i32 s0, 6
	s_cbranch_scc0 .LBB87_1705
; %bb.1703:
	s_wait_loadcnt 0x0
	global_load_b64 v[8:9], v[10:11], off
	s_mov_b32 s35, 0
	s_wait_loadcnt 0x0
	v_cvt_i32_f64_e32 v8, v[8:9]
	s_branch .LBB87_1706
.LBB87_1704:
	s_mov_b32 s35, -1
                                        ; implicit-def: $vgpr8
	s_branch .LBB87_1709
.LBB87_1705:
	s_mov_b32 s35, -1
                                        ; implicit-def: $vgpr8
.LBB87_1706:
	s_delay_alu instid0(SALU_CYCLE_1)
	s_and_not1_b32 vcc_lo, exec_lo, s35
	s_cbranch_vccnz .LBB87_1708
; %bb.1707:
	global_load_b32 v5, v[10:11], off
	s_wait_loadcnt 0x0
	v_cvt_i32_f32_e32 v8, v5
.LBB87_1708:
	s_mov_b32 s35, 0
.LBB87_1709:
	s_delay_alu instid0(SALU_CYCLE_1)
	s_and_not1_b32 vcc_lo, exec_lo, s35
	s_cbranch_vccnz .LBB87_1711
; %bb.1710:
	global_load_u16 v5, v[10:11], off
	s_wait_loadcnt 0x0
	v_cvt_f32_f16_e32 v5, v5
	s_delay_alu instid0(VALU_DEP_1)
	v_cvt_i32_f32_e32 v8, v5
.LBB87_1711:
	s_mov_b32 s35, 0
.LBB87_1712:
	s_delay_alu instid0(SALU_CYCLE_1)
	s_and_not1_b32 vcc_lo, exec_lo, s35
	s_cbranch_vccnz .LBB87_1732
; %bb.1713:
	s_cmp_lt_i32 s0, 2
	s_cbranch_scc1 .LBB87_1717
; %bb.1714:
	s_cmp_lt_i32 s0, 3
	s_cbranch_scc1 .LBB87_1718
; %bb.1715:
	s_cmp_gt_i32 s0, 3
	s_cbranch_scc0 .LBB87_1719
; %bb.1716:
	s_wait_loadcnt 0x0
	global_load_b32 v8, v[10:11], off
	s_mov_b32 s35, 0
	s_branch .LBB87_1720
.LBB87_1717:
	s_mov_b32 s35, -1
                                        ; implicit-def: $vgpr8
	s_branch .LBB87_1726
.LBB87_1718:
	s_mov_b32 s35, -1
                                        ; implicit-def: $vgpr8
	s_branch .LBB87_1723
.LBB87_1719:
	s_mov_b32 s35, -1
                                        ; implicit-def: $vgpr8
.LBB87_1720:
	s_delay_alu instid0(SALU_CYCLE_1)
	s_and_not1_b32 vcc_lo, exec_lo, s35
	s_cbranch_vccnz .LBB87_1722
; %bb.1721:
	s_wait_loadcnt 0x0
	global_load_b32 v8, v[10:11], off
.LBB87_1722:
	s_mov_b32 s35, 0
.LBB87_1723:
	s_delay_alu instid0(SALU_CYCLE_1)
	s_and_not1_b32 vcc_lo, exec_lo, s35
	s_cbranch_vccnz .LBB87_1725
; %bb.1724:
	s_wait_loadcnt 0x0
	global_load_i16 v8, v[10:11], off
.LBB87_1725:
	s_mov_b32 s35, 0
.LBB87_1726:
	s_delay_alu instid0(SALU_CYCLE_1)
	s_and_not1_b32 vcc_lo, exec_lo, s35
	s_cbranch_vccnz .LBB87_1732
; %bb.1727:
	s_cmp_gt_i32 s0, 0
	s_mov_b32 s0, 0
	s_cbranch_scc0 .LBB87_1729
; %bb.1728:
	s_wait_loadcnt 0x0
	global_load_i8 v8, v[10:11], off
	s_branch .LBB87_1730
.LBB87_1729:
	s_mov_b32 s0, -1
                                        ; implicit-def: $vgpr8
.LBB87_1730:
	s_delay_alu instid0(SALU_CYCLE_1)
	s_and_not1_b32 vcc_lo, exec_lo, s0
	s_cbranch_vccnz .LBB87_1732
; %bb.1731:
	s_wait_loadcnt 0x0
	global_load_u8 v8, v[10:11], off
.LBB87_1732:
	s_mov_b32 s50, -1
.LBB87_1733:
	s_delay_alu instid0(SALU_CYCLE_1)
	s_and_not1_b32 vcc_lo, exec_lo, s50
	s_cbranch_vccnz .LBB87_1741
; %bb.1734:
	v_mov_b32_e32 v7, 0
	s_and_b32 s0, s23, 0xff
	s_delay_alu instid0(SALU_CYCLE_1) | instskip(SKIP_1) | instid1(VALU_DEP_1)
	s_cmp_lt_i32 s0, 11
	s_wait_xcnt 0x0
	v_add_nc_u64_e32 v[10:11], s[28:29], v[6:7]
	s_cbranch_scc1 .LBB87_1742
; %bb.1735:
	s_and_b32 s35, 0xffff, s0
	s_delay_alu instid0(SALU_CYCLE_1)
	s_cmp_gt_i32 s35, 25
	s_cbranch_scc0 .LBB87_1743
; %bb.1736:
	s_cmp_gt_i32 s35, 28
	s_cbranch_scc0 .LBB87_1744
; %bb.1737:
	;; [unrolled: 3-line block ×4, first 2 shown]
	s_cmp_eq_u32 s35, 46
	s_mov_b32 s51, 0
	s_cbranch_scc0 .LBB87_1748
; %bb.1740:
	global_load_b32 v5, v[10:11], off
	s_mov_b32 s50, -1
	s_mov_b32 s101, 0
	s_wait_loadcnt 0x0
	v_lshlrev_b32_e32 v5, 16, v5
	s_delay_alu instid0(VALU_DEP_1)
	v_cvt_i32_f32_e32 v6, v5
	s_branch .LBB87_1750
.LBB87_1741:
	s_mov_b32 s0, 0
	s_mov_b32 s35, s67
	;; [unrolled: 1-line block ×8, first 2 shown]
	s_branch .LBB87_2085
.LBB87_1742:
	s_mov_b32 s35, -1
	s_mov_b32 s50, 0
	s_mov_b32 s101, s90
                                        ; implicit-def: $vgpr6
	s_branch .LBB87_1811
.LBB87_1743:
	s_mov_b32 s51, -1
	s_mov_b32 s50, 0
	s_mov_b32 s101, s90
                                        ; implicit-def: $vgpr6
	s_branch .LBB87_1777
.LBB87_1744:
	s_mov_b32 s51, -1
	s_mov_b32 s50, 0
	s_mov_b32 s101, s90
                                        ; implicit-def: $vgpr6
	s_branch .LBB87_1760
.LBB87_1745:
	s_mov_b32 s51, -1
	s_mov_b32 s50, 0
	s_mov_b32 s101, s90
                                        ; implicit-def: $vgpr6
	s_branch .LBB87_1755
.LBB87_1746:
	s_mov_b32 s51, -1
	s_mov_b32 s50, 0
	s_mov_b32 s101, s90
	s_branch .LBB87_1749
.LBB87_1747:
	s_mov_b32 s54, -1
	s_mov_b32 s53, 0
	s_mov_b32 s50, s60
	s_branch .LBB87_3613
.LBB87_1748:
	s_mov_b32 s101, -1
	s_mov_b32 s50, 0
.LBB87_1749:
                                        ; implicit-def: $vgpr6
.LBB87_1750:
	s_and_b32 vcc_lo, exec_lo, s51
	s_cbranch_vccz .LBB87_1754
; %bb.1751:
	s_cmp_eq_u32 s35, 44
	s_cbranch_scc0 .LBB87_1753
; %bb.1752:
	global_load_u8 v5, v[10:11], off
	s_mov_b32 s101, 0
	s_mov_b32 s50, -1
	s_wait_loadcnt 0x0
	v_lshlrev_b32_e32 v6, 23, v5
	v_cmp_ne_u32_e32 vcc_lo, 0, v5
	s_delay_alu instid0(VALU_DEP_2) | instskip(NEXT) | instid1(VALU_DEP_1)
	v_cvt_i32_f32_e32 v6, v6
	v_cndmask_b32_e32 v6, 0, v6, vcc_lo
	s_branch .LBB87_1754
.LBB87_1753:
	s_mov_b32 s101, -1
                                        ; implicit-def: $vgpr6
.LBB87_1754:
	s_mov_b32 s51, 0
.LBB87_1755:
	s_delay_alu instid0(SALU_CYCLE_1)
	s_and_b32 vcc_lo, exec_lo, s51
	s_cbranch_vccz .LBB87_1759
; %bb.1756:
	s_cmp_eq_u32 s35, 29
	s_cbranch_scc0 .LBB87_1758
; %bb.1757:
	global_load_b32 v6, v[10:11], off
	s_mov_b32 s50, -1
	s_mov_b32 s101, 0
	s_branch .LBB87_1759
.LBB87_1758:
	s_mov_b32 s101, -1
                                        ; implicit-def: $vgpr6
.LBB87_1759:
	s_mov_b32 s51, 0
.LBB87_1760:
	s_delay_alu instid0(SALU_CYCLE_1)
	s_and_b32 vcc_lo, exec_lo, s51
	s_cbranch_vccz .LBB87_1776
; %bb.1761:
	s_cmp_lt_i32 s35, 27
	s_cbranch_scc1 .LBB87_1764
; %bb.1762:
	s_cmp_gt_i32 s35, 27
	s_cbranch_scc0 .LBB87_1765
; %bb.1763:
	s_wait_loadcnt 0x0
	global_load_b32 v6, v[10:11], off
	s_mov_b32 s50, 0
	s_branch .LBB87_1766
.LBB87_1764:
	s_mov_b32 s50, -1
                                        ; implicit-def: $vgpr6
	s_branch .LBB87_1769
.LBB87_1765:
	s_mov_b32 s50, -1
                                        ; implicit-def: $vgpr6
.LBB87_1766:
	s_delay_alu instid0(SALU_CYCLE_1)
	s_and_not1_b32 vcc_lo, exec_lo, s50
	s_cbranch_vccnz .LBB87_1768
; %bb.1767:
	s_wait_loadcnt 0x0
	global_load_u16 v6, v[10:11], off
.LBB87_1768:
	s_mov_b32 s50, 0
.LBB87_1769:
	s_delay_alu instid0(SALU_CYCLE_1)
	s_and_not1_b32 vcc_lo, exec_lo, s50
	s_cbranch_vccnz .LBB87_1775
; %bb.1770:
	global_load_u8 v5, v[10:11], off
	s_mov_b32 s51, 0
	s_mov_b32 s4, exec_lo
	s_wait_loadcnt 0x0
	v_cmpx_lt_i16_e32 0x7f, v5
	s_xor_b32 s50, exec_lo, s4
	s_cbranch_execz .LBB87_1787
; %bb.1771:
	v_cmp_ne_u16_e32 vcc_lo, 0x80, v5
	s_and_b32 s51, vcc_lo, exec_lo
	s_and_not1_saveexec_b32 s50, s50
	s_cbranch_execnz .LBB87_1788
.LBB87_1772:
	s_or_b32 exec_lo, exec_lo, s50
	v_mov_b32_e32 v6, 0
	s_and_saveexec_b32 s50, s51
	s_cbranch_execz .LBB87_1774
.LBB87_1773:
	v_and_b32_e32 v6, 0xffff, v5
	s_delay_alu instid0(VALU_DEP_1) | instskip(SKIP_1) | instid1(VALU_DEP_2)
	v_and_b32_e32 v7, 7, v6
	v_bfe_u32 v13, v6, 3, 4
	v_clz_i32_u32_e32 v9, v7
	s_delay_alu instid0(VALU_DEP_2) | instskip(NEXT) | instid1(VALU_DEP_2)
	v_cmp_eq_u32_e32 vcc_lo, 0, v13
	v_min_u32_e32 v9, 32, v9
	s_delay_alu instid0(VALU_DEP_1) | instskip(NEXT) | instid1(VALU_DEP_1)
	v_subrev_nc_u32_e32 v12, 28, v9
	v_dual_lshlrev_b32 v6, v12, v6 :: v_dual_sub_nc_u32 v9, 29, v9
	s_delay_alu instid0(VALU_DEP_1) | instskip(NEXT) | instid1(VALU_DEP_1)
	v_dual_lshlrev_b32 v5, 24, v5 :: v_dual_bitop2_b32 v6, 7, v6 bitop3:0x40
	v_dual_cndmask_b32 v6, v7, v6 :: v_dual_cndmask_b32 v9, v13, v9
	s_delay_alu instid0(VALU_DEP_2) | instskip(NEXT) | instid1(VALU_DEP_2)
	v_and_b32_e32 v5, 0x80000000, v5
	v_lshlrev_b32_e32 v6, 20, v6
	s_delay_alu instid0(VALU_DEP_3) | instskip(NEXT) | instid1(VALU_DEP_1)
	v_lshl_add_u32 v7, v9, 23, 0x3b800000
	v_or3_b32 v5, v5, v7, v6
	s_delay_alu instid0(VALU_DEP_1)
	v_cvt_i32_f32_e32 v6, v5
.LBB87_1774:
	s_or_b32 exec_lo, exec_lo, s50
.LBB87_1775:
	s_mov_b32 s50, -1
.LBB87_1776:
	s_mov_b32 s51, 0
.LBB87_1777:
	s_delay_alu instid0(SALU_CYCLE_1)
	s_and_b32 vcc_lo, exec_lo, s51
	s_cbranch_vccz .LBB87_1810
; %bb.1778:
	s_cmp_gt_i32 s35, 22
	s_cbranch_scc0 .LBB87_1786
; %bb.1779:
	s_cmp_lt_i32 s35, 24
	s_cbranch_scc1 .LBB87_1789
; %bb.1780:
	s_cmp_gt_i32 s35, 24
	s_cbranch_scc0 .LBB87_1790
; %bb.1781:
	global_load_u8 v5, v[10:11], off
	s_mov_b32 s51, 0
	s_mov_b32 s4, exec_lo
	s_wait_loadcnt 0x0
	v_cmpx_lt_i16_e32 0x7f, v5
	s_xor_b32 s50, exec_lo, s4
	s_cbranch_execz .LBB87_1802
; %bb.1782:
	v_cmp_ne_u16_e32 vcc_lo, 0x80, v5
	s_and_b32 s51, vcc_lo, exec_lo
	s_and_not1_saveexec_b32 s50, s50
	s_cbranch_execnz .LBB87_1803
.LBB87_1783:
	s_or_b32 exec_lo, exec_lo, s50
	v_mov_b32_e32 v6, 0
	s_and_saveexec_b32 s50, s51
	s_cbranch_execz .LBB87_1785
.LBB87_1784:
	v_and_b32_e32 v6, 0xffff, v5
	s_delay_alu instid0(VALU_DEP_1) | instskip(SKIP_1) | instid1(VALU_DEP_2)
	v_and_b32_e32 v7, 3, v6
	v_bfe_u32 v13, v6, 2, 5
	v_clz_i32_u32_e32 v9, v7
	s_delay_alu instid0(VALU_DEP_2) | instskip(NEXT) | instid1(VALU_DEP_2)
	v_cmp_eq_u32_e32 vcc_lo, 0, v13
	v_min_u32_e32 v9, 32, v9
	s_delay_alu instid0(VALU_DEP_1) | instskip(NEXT) | instid1(VALU_DEP_1)
	v_subrev_nc_u32_e32 v12, 29, v9
	v_dual_lshlrev_b32 v6, v12, v6 :: v_dual_sub_nc_u32 v9, 30, v9
	s_delay_alu instid0(VALU_DEP_1) | instskip(NEXT) | instid1(VALU_DEP_1)
	v_dual_lshlrev_b32 v5, 24, v5 :: v_dual_bitop2_b32 v6, 3, v6 bitop3:0x40
	v_dual_cndmask_b32 v6, v7, v6 :: v_dual_cndmask_b32 v9, v13, v9
	s_delay_alu instid0(VALU_DEP_2) | instskip(NEXT) | instid1(VALU_DEP_2)
	v_and_b32_e32 v5, 0x80000000, v5
	v_lshlrev_b32_e32 v6, 21, v6
	s_delay_alu instid0(VALU_DEP_3) | instskip(NEXT) | instid1(VALU_DEP_1)
	v_lshl_add_u32 v7, v9, 23, 0x37800000
	v_or3_b32 v5, v5, v7, v6
	s_delay_alu instid0(VALU_DEP_1)
	v_cvt_i32_f32_e32 v6, v5
.LBB87_1785:
	s_or_b32 exec_lo, exec_lo, s50
	s_mov_b32 s50, 0
	s_branch .LBB87_1791
.LBB87_1786:
	s_mov_b32 s51, -1
                                        ; implicit-def: $vgpr6
	s_branch .LBB87_1797
.LBB87_1787:
	s_and_not1_saveexec_b32 s50, s50
	s_cbranch_execz .LBB87_1772
.LBB87_1788:
	v_cmp_ne_u16_e32 vcc_lo, 0, v5
	s_and_not1_b32 s4, s51, exec_lo
	s_and_b32 s5, vcc_lo, exec_lo
	s_delay_alu instid0(SALU_CYCLE_1)
	s_or_b32 s51, s4, s5
	s_or_b32 exec_lo, exec_lo, s50
	v_mov_b32_e32 v6, 0
	s_and_saveexec_b32 s50, s51
	s_cbranch_execnz .LBB87_1773
	s_branch .LBB87_1774
.LBB87_1789:
	s_mov_b32 s50, -1
                                        ; implicit-def: $vgpr6
	s_branch .LBB87_1794
.LBB87_1790:
	s_mov_b32 s50, -1
                                        ; implicit-def: $vgpr6
.LBB87_1791:
	s_delay_alu instid0(SALU_CYCLE_1)
	s_and_b32 vcc_lo, exec_lo, s50
	s_cbranch_vccz .LBB87_1793
; %bb.1792:
	global_load_u8 v5, v[10:11], off
	s_wait_loadcnt 0x0
	v_lshlrev_b32_e32 v5, 24, v5
	s_delay_alu instid0(VALU_DEP_1) | instskip(NEXT) | instid1(VALU_DEP_1)
	v_and_b32_e32 v6, 0x7f000000, v5
	v_clz_i32_u32_e32 v7, v6
	v_add_nc_u32_e32 v12, 0x1000000, v6
	v_cmp_ne_u32_e32 vcc_lo, 0, v6
	s_delay_alu instid0(VALU_DEP_3) | instskip(NEXT) | instid1(VALU_DEP_1)
	v_min_u32_e32 v7, 32, v7
	v_sub_nc_u32_e64 v7, v7, 4 clamp
	s_delay_alu instid0(VALU_DEP_1) | instskip(NEXT) | instid1(VALU_DEP_1)
	v_dual_lshlrev_b32 v9, v7, v6 :: v_dual_lshlrev_b32 v7, 23, v7
	v_lshrrev_b32_e32 v9, 4, v9
	s_delay_alu instid0(VALU_DEP_1) | instskip(NEXT) | instid1(VALU_DEP_1)
	v_dual_sub_nc_u32 v7, v9, v7 :: v_dual_ashrrev_i32 v9, 8, v12
	v_add_nc_u32_e32 v7, 0x3c000000, v7
	s_delay_alu instid0(VALU_DEP_1) | instskip(NEXT) | instid1(VALU_DEP_1)
	v_and_or_b32 v7, 0x7f800000, v9, v7
	v_cndmask_b32_e32 v6, 0, v7, vcc_lo
	s_delay_alu instid0(VALU_DEP_1) | instskip(NEXT) | instid1(VALU_DEP_1)
	v_and_or_b32 v5, 0x80000000, v5, v6
	v_cvt_i32_f32_e32 v6, v5
.LBB87_1793:
	s_mov_b32 s50, 0
.LBB87_1794:
	s_delay_alu instid0(SALU_CYCLE_1)
	s_and_not1_b32 vcc_lo, exec_lo, s50
	s_cbranch_vccnz .LBB87_1796
; %bb.1795:
	global_load_u8 v5, v[10:11], off
	s_wait_loadcnt 0x0
	v_lshlrev_b32_e32 v6, 25, v5
	v_lshlrev_b16 v5, 8, v5
	s_delay_alu instid0(VALU_DEP_1) | instskip(NEXT) | instid1(VALU_DEP_3)
	v_and_or_b32 v9, 0x7f00, v5, 0.5
	v_lshrrev_b32_e32 v7, 4, v6
	v_bfe_i32 v5, v5, 0, 16
	s_delay_alu instid0(VALU_DEP_3) | instskip(NEXT) | instid1(VALU_DEP_3)
	v_add_f32_e32 v9, -0.5, v9
	v_or_b32_e32 v7, 0x70000000, v7
	s_delay_alu instid0(VALU_DEP_1) | instskip(SKIP_1) | instid1(VALU_DEP_2)
	v_mul_f32_e32 v7, 0x7800000, v7
	v_cmp_gt_u32_e32 vcc_lo, 0x8000000, v6
	v_cndmask_b32_e32 v6, v7, v9, vcc_lo
	s_delay_alu instid0(VALU_DEP_1) | instskip(NEXT) | instid1(VALU_DEP_1)
	v_and_or_b32 v5, 0x80000000, v5, v6
	v_cvt_i32_f32_e32 v6, v5
.LBB87_1796:
	s_mov_b32 s51, 0
	s_mov_b32 s50, -1
.LBB87_1797:
	s_and_not1_b32 vcc_lo, exec_lo, s51
	s_cbranch_vccnz .LBB87_1810
; %bb.1798:
	s_cmp_gt_i32 s35, 14
	s_cbranch_scc0 .LBB87_1801
; %bb.1799:
	s_cmp_eq_u32 s35, 15
	s_cbranch_scc0 .LBB87_1804
; %bb.1800:
	global_load_u16 v5, v[10:11], off
	s_mov_b32 s50, -1
	s_mov_b32 s101, 0
	s_wait_loadcnt 0x0
	v_lshlrev_b32_e32 v5, 16, v5
	s_delay_alu instid0(VALU_DEP_1)
	v_cvt_i32_f32_e32 v6, v5
	s_branch .LBB87_1805
.LBB87_1801:
	s_mov_b32 s51, -1
                                        ; implicit-def: $vgpr6
	s_branch .LBB87_1806
.LBB87_1802:
	s_and_not1_saveexec_b32 s50, s50
	s_cbranch_execz .LBB87_1783
.LBB87_1803:
	v_cmp_ne_u16_e32 vcc_lo, 0, v5
	s_and_not1_b32 s4, s51, exec_lo
	s_and_b32 s5, vcc_lo, exec_lo
	s_delay_alu instid0(SALU_CYCLE_1)
	s_or_b32 s51, s4, s5
	s_or_b32 exec_lo, exec_lo, s50
	v_mov_b32_e32 v6, 0
	s_and_saveexec_b32 s50, s51
	s_cbranch_execnz .LBB87_1784
	s_branch .LBB87_1785
.LBB87_1804:
	s_mov_b32 s101, -1
                                        ; implicit-def: $vgpr6
.LBB87_1805:
	s_mov_b32 s51, 0
.LBB87_1806:
	s_delay_alu instid0(SALU_CYCLE_1)
	s_and_b32 vcc_lo, exec_lo, s51
	s_cbranch_vccz .LBB87_1810
; %bb.1807:
	s_cmp_eq_u32 s35, 11
	s_cbranch_scc0 .LBB87_1809
; %bb.1808:
	global_load_u8 v5, v[10:11], off
	s_mov_b32 s101, 0
	s_mov_b32 s50, -1
	s_wait_loadcnt 0x0
	v_cmp_ne_u16_e32 vcc_lo, 0, v5
	v_cndmask_b32_e64 v6, 0, 1, vcc_lo
	s_branch .LBB87_1810
.LBB87_1809:
	s_mov_b32 s101, -1
                                        ; implicit-def: $vgpr6
.LBB87_1810:
	s_mov_b32 s35, 0
.LBB87_1811:
	s_delay_alu instid0(SALU_CYCLE_1)
	s_and_b32 vcc_lo, exec_lo, s35
	s_cbranch_vccz .LBB87_1860
; %bb.1812:
	s_and_b32 s0, 0xffff, s0
	s_delay_alu instid0(SALU_CYCLE_1)
	s_cmp_lt_i32 s0, 5
	s_cbranch_scc1 .LBB87_1817
; %bb.1813:
	s_cmp_lt_i32 s0, 8
	s_cbranch_scc1 .LBB87_1818
; %bb.1814:
	;; [unrolled: 3-line block ×3, first 2 shown]
	s_cmp_gt_i32 s0, 9
	s_cbranch_scc0 .LBB87_1820
; %bb.1816:
	s_wait_loadcnt 0x0
	global_load_b64 v[6:7], v[10:11], off
	s_mov_b32 s35, 0
	s_wait_loadcnt 0x0
	v_cvt_i32_f64_e32 v6, v[6:7]
	s_branch .LBB87_1821
.LBB87_1817:
	s_mov_b32 s35, -1
                                        ; implicit-def: $vgpr6
	s_branch .LBB87_1839
.LBB87_1818:
	s_mov_b32 s35, -1
                                        ; implicit-def: $vgpr6
	s_branch .LBB87_1827
.LBB87_1819:
	s_mov_b32 s35, -1
                                        ; implicit-def: $vgpr6
	s_branch .LBB87_1824
.LBB87_1820:
	s_mov_b32 s35, -1
                                        ; implicit-def: $vgpr6
.LBB87_1821:
	s_delay_alu instid0(SALU_CYCLE_1)
	s_and_not1_b32 vcc_lo, exec_lo, s35
	s_cbranch_vccnz .LBB87_1823
; %bb.1822:
	global_load_b32 v5, v[10:11], off
	s_wait_loadcnt 0x0
	v_cvt_i32_f32_e32 v6, v5
.LBB87_1823:
	s_mov_b32 s35, 0
.LBB87_1824:
	s_delay_alu instid0(SALU_CYCLE_1)
	s_and_not1_b32 vcc_lo, exec_lo, s35
	s_cbranch_vccnz .LBB87_1826
; %bb.1825:
	global_load_b32 v5, v[10:11], off
	s_wait_loadcnt 0x0
	v_cvt_f32_f16_e32 v5, v5
	s_delay_alu instid0(VALU_DEP_1)
	v_cvt_i32_f32_e32 v6, v5
.LBB87_1826:
	s_mov_b32 s35, 0
.LBB87_1827:
	s_delay_alu instid0(SALU_CYCLE_1)
	s_and_not1_b32 vcc_lo, exec_lo, s35
	s_cbranch_vccnz .LBB87_1838
; %bb.1828:
	s_cmp_lt_i32 s0, 6
	s_cbranch_scc1 .LBB87_1831
; %bb.1829:
	s_cmp_gt_i32 s0, 6
	s_cbranch_scc0 .LBB87_1832
; %bb.1830:
	s_wait_loadcnt 0x0
	global_load_b64 v[6:7], v[10:11], off
	s_mov_b32 s35, 0
	s_wait_loadcnt 0x0
	v_cvt_i32_f64_e32 v6, v[6:7]
	s_branch .LBB87_1833
.LBB87_1831:
	s_mov_b32 s35, -1
                                        ; implicit-def: $vgpr6
	s_branch .LBB87_1836
.LBB87_1832:
	s_mov_b32 s35, -1
                                        ; implicit-def: $vgpr6
.LBB87_1833:
	s_delay_alu instid0(SALU_CYCLE_1)
	s_and_not1_b32 vcc_lo, exec_lo, s35
	s_cbranch_vccnz .LBB87_1835
; %bb.1834:
	global_load_b32 v5, v[10:11], off
	s_wait_loadcnt 0x0
	v_cvt_i32_f32_e32 v6, v5
.LBB87_1835:
	s_mov_b32 s35, 0
.LBB87_1836:
	s_delay_alu instid0(SALU_CYCLE_1)
	s_and_not1_b32 vcc_lo, exec_lo, s35
	s_cbranch_vccnz .LBB87_1838
; %bb.1837:
	global_load_u16 v5, v[10:11], off
	s_wait_loadcnt 0x0
	v_cvt_f32_f16_e32 v5, v5
	s_delay_alu instid0(VALU_DEP_1)
	v_cvt_i32_f32_e32 v6, v5
.LBB87_1838:
	s_mov_b32 s35, 0
.LBB87_1839:
	s_delay_alu instid0(SALU_CYCLE_1)
	s_and_not1_b32 vcc_lo, exec_lo, s35
	s_cbranch_vccnz .LBB87_1859
; %bb.1840:
	s_cmp_lt_i32 s0, 2
	s_cbranch_scc1 .LBB87_1844
; %bb.1841:
	s_cmp_lt_i32 s0, 3
	s_cbranch_scc1 .LBB87_1845
; %bb.1842:
	s_cmp_gt_i32 s0, 3
	s_cbranch_scc0 .LBB87_1846
; %bb.1843:
	s_wait_loadcnt 0x0
	global_load_b32 v6, v[10:11], off
	s_mov_b32 s35, 0
	s_branch .LBB87_1847
.LBB87_1844:
	s_mov_b32 s35, -1
                                        ; implicit-def: $vgpr6
	s_branch .LBB87_1853
.LBB87_1845:
	s_mov_b32 s35, -1
                                        ; implicit-def: $vgpr6
	s_branch .LBB87_1850
.LBB87_1846:
	s_mov_b32 s35, -1
                                        ; implicit-def: $vgpr6
.LBB87_1847:
	s_delay_alu instid0(SALU_CYCLE_1)
	s_and_not1_b32 vcc_lo, exec_lo, s35
	s_cbranch_vccnz .LBB87_1849
; %bb.1848:
	s_wait_loadcnt 0x0
	global_load_b32 v6, v[10:11], off
.LBB87_1849:
	s_mov_b32 s35, 0
.LBB87_1850:
	s_delay_alu instid0(SALU_CYCLE_1)
	s_and_not1_b32 vcc_lo, exec_lo, s35
	s_cbranch_vccnz .LBB87_1852
; %bb.1851:
	s_wait_loadcnt 0x0
	global_load_i16 v6, v[10:11], off
.LBB87_1852:
	s_mov_b32 s35, 0
.LBB87_1853:
	s_delay_alu instid0(SALU_CYCLE_1)
	s_and_not1_b32 vcc_lo, exec_lo, s35
	s_cbranch_vccnz .LBB87_1859
; %bb.1854:
	s_cmp_gt_i32 s0, 0
	s_mov_b32 s0, 0
	s_cbranch_scc0 .LBB87_1856
; %bb.1855:
	s_wait_loadcnt 0x0
	global_load_i8 v6, v[10:11], off
	s_branch .LBB87_1857
.LBB87_1856:
	s_mov_b32 s0, -1
                                        ; implicit-def: $vgpr6
.LBB87_1857:
	s_delay_alu instid0(SALU_CYCLE_1)
	s_and_not1_b32 vcc_lo, exec_lo, s0
	s_cbranch_vccnz .LBB87_1859
; %bb.1858:
	s_wait_loadcnt 0x0
	global_load_u8 v6, v[10:11], off
.LBB87_1859:
	s_mov_b32 s50, -1
.LBB87_1860:
	s_delay_alu instid0(SALU_CYCLE_1)
	s_and_not1_b32 vcc_lo, exec_lo, s50
	s_cbranch_vccnz .LBB87_1868
; %bb.1861:
	v_mov_b32_e32 v5, 0
	s_and_b32 s0, s18, 0xff
	s_delay_alu instid0(SALU_CYCLE_1) | instskip(NEXT) | instid1(VALU_DEP_1)
	s_cmp_lt_i32 s0, 11
	v_add_nc_u64_e32 v[4:5], s[30:31], v[4:5]
	s_cbranch_scc1 .LBB87_1869
; %bb.1862:
	s_and_b32 s35, 0xffff, s0
	s_delay_alu instid0(SALU_CYCLE_1)
	s_cmp_gt_i32 s35, 25
	s_cbranch_scc0 .LBB87_1870
; %bb.1863:
	s_cmp_gt_i32 s35, 28
	s_cbranch_scc0 .LBB87_1871
; %bb.1864:
	;; [unrolled: 3-line block ×4, first 2 shown]
	s_cmp_eq_u32 s35, 46
	s_mov_b32 s51, 0
	s_cbranch_scc0 .LBB87_1961
; %bb.1867:
	global_load_b32 v7, v[4:5], off
	s_mov_b32 s50, -1
	s_mov_b32 s104, 0
	s_wait_loadcnt 0x0
	v_lshlrev_b32_e32 v7, 16, v7
	s_wait_xcnt 0x1
	s_delay_alu instid0(VALU_DEP_1)
	v_cvt_i32_f32_e32 v10, v7
	s_branch .LBB87_1963
.LBB87_1868:
	s_mov_b32 s0, 0
	s_mov_b32 s35, s67
	;; [unrolled: 1-line block ×7, first 2 shown]
	s_branch .LBB87_2085
.LBB87_1869:
	s_mov_b32 s35, -1
	s_mov_b32 s50, 0
	s_mov_b32 s104, s89
                                        ; implicit-def: $vgpr10
	s_branch .LBB87_2024
.LBB87_1870:
	s_mov_b32 s51, -1
	s_mov_b32 s50, 0
	s_mov_b32 s104, s89
                                        ; implicit-def: $vgpr10
	s_branch .LBB87_1990
.LBB87_1871:
	s_mov_b32 s51, -1
	s_mov_b32 s50, 0
	s_mov_b32 s104, s89
                                        ; implicit-def: $vgpr10
	s_branch .LBB87_1973
.LBB87_1872:
	s_mov_b32 s51, -1
	s_mov_b32 s50, 0
	s_mov_b32 s104, s89
                                        ; implicit-def: $vgpr10
	s_branch .LBB87_1968
.LBB87_1873:
	s_mov_b32 s51, -1
	s_mov_b32 s50, 0
	s_mov_b32 s104, s89
	s_branch .LBB87_1962
.LBB87_1874:
	s_mov_b32 s54, -1
	s_mov_b32 s50, 0
	s_mov_b32 s53, 0
.LBB87_1875:
	s_and_b32 vcc_lo, exec_lo, s54
	s_cbranch_vccz .LBB87_1878
; %bb.1876:
	s_cmp_eq_u32 s52, 44
	s_mov_b32 s50, -1
	s_cbranch_scc0 .LBB87_1878
; %bb.1877:
	s_wait_xcnt 0x0
	v_mov_b32_e32 v1, 0
	s_mov_b32 s53, -1
	s_mov_b32 s50, 0
	s_mov_b32 s54, 0
	global_store_b8 v[2:3], v1, off
	s_branch .LBB87_1879
.LBB87_1878:
	s_mov_b32 s54, 0
.LBB87_1879:
	s_delay_alu instid0(SALU_CYCLE_1)
	s_and_b32 vcc_lo, exec_lo, s54
	s_cbranch_vccz .LBB87_1882
; %bb.1880:
	s_cmp_eq_u32 s52, 29
	s_mov_b32 s50, -1
	s_cbranch_scc0 .LBB87_1882
; %bb.1881:
	v_mov_b64_e32 v[4:5], 0
	s_mov_b32 s53, -1
	s_mov_b32 s50, 0
	s_mov_b32 s54, 0
	global_store_b64 v[2:3], v[4:5], off
	s_branch .LBB87_1883
.LBB87_1882:
	s_mov_b32 s54, 0
.LBB87_1883:
	s_delay_alu instid0(SALU_CYCLE_1)
	s_and_b32 vcc_lo, exec_lo, s54
	s_cbranch_vccz .LBB87_1893
; %bb.1884:
	s_cmp_lt_i32 s52, 27
	s_mov_b32 s53, -1
	s_cbranch_scc1 .LBB87_1890
; %bb.1885:
	s_cmp_gt_i32 s52, 27
	s_cbranch_scc0 .LBB87_1887
; %bb.1886:
	s_wait_xcnt 0x0
	v_mov_b32_e32 v1, 0
	s_mov_b32 s53, 0
	global_store_b32 v[2:3], v1, off
.LBB87_1887:
	s_and_not1_b32 vcc_lo, exec_lo, s53
	s_cbranch_vccnz .LBB87_1889
; %bb.1888:
	s_wait_xcnt 0x0
	v_mov_b32_e32 v1, 0
	global_store_b16 v[2:3], v1, off
.LBB87_1889:
	s_mov_b32 s53, 0
.LBB87_1890:
	s_delay_alu instid0(SALU_CYCLE_1)
	s_and_not1_b32 vcc_lo, exec_lo, s53
	s_cbranch_vccnz .LBB87_1892
; %bb.1891:
	s_wait_xcnt 0x0
	v_mov_b32_e32 v1, 0
	global_store_b8 v[2:3], v1, off
.LBB87_1892:
	s_mov_b32 s53, -1
.LBB87_1893:
	s_mov_b32 s54, 0
.LBB87_1894:
	s_delay_alu instid0(SALU_CYCLE_1)
	s_and_b32 vcc_lo, exec_lo, s54
	s_cbranch_vccz .LBB87_1913
; %bb.1895:
	s_cmp_gt_i32 s52, 22
	s_mov_b32 s54, -1
	s_cbranch_scc0 .LBB87_1905
; %bb.1896:
	s_cmp_lt_i32 s52, 24
	s_mov_b32 s53, -1
	s_cbranch_scc1 .LBB87_1902
; %bb.1897:
	s_cmp_gt_i32 s52, 24
	s_cbranch_scc0 .LBB87_1899
; %bb.1898:
	s_wait_xcnt 0x0
	v_mov_b32_e32 v1, 0
	s_mov_b32 s53, 0
	global_store_b8 v[2:3], v1, off
.LBB87_1899:
	s_and_not1_b32 vcc_lo, exec_lo, s53
	s_cbranch_vccnz .LBB87_1901
; %bb.1900:
	s_wait_xcnt 0x0
	v_mov_b32_e32 v1, 0
	global_store_b8 v[2:3], v1, off
.LBB87_1901:
	s_mov_b32 s53, 0
.LBB87_1902:
	s_delay_alu instid0(SALU_CYCLE_1)
	s_and_not1_b32 vcc_lo, exec_lo, s53
	s_cbranch_vccnz .LBB87_1904
; %bb.1903:
	s_wait_xcnt 0x0
	v_mov_b32_e32 v1, 0
	global_store_b8 v[2:3], v1, off
.LBB87_1904:
	s_mov_b32 s54, 0
	s_mov_b32 s53, -1
.LBB87_1905:
	s_and_not1_b32 vcc_lo, exec_lo, s54
	s_cbranch_vccnz .LBB87_1913
; %bb.1906:
	s_cmp_gt_i32 s52, 14
	s_mov_b32 s54, -1
	s_cbranch_scc0 .LBB87_1910
; %bb.1907:
	s_cmp_eq_u32 s52, 15
	s_mov_b32 s50, -1
	s_cbranch_scc0 .LBB87_1909
; %bb.1908:
	s_wait_xcnt 0x0
	v_mov_b32_e32 v1, 0
	s_mov_b32 s53, -1
	s_mov_b32 s50, 0
	global_store_b16 v[2:3], v1, off
.LBB87_1909:
	s_mov_b32 s54, 0
.LBB87_1910:
	s_delay_alu instid0(SALU_CYCLE_1)
	s_and_b32 vcc_lo, exec_lo, s54
	s_cbranch_vccz .LBB87_1913
; %bb.1911:
	s_cmp_eq_u32 s52, 11
	s_mov_b32 s50, -1
	s_cbranch_scc0 .LBB87_1913
; %bb.1912:
	s_wait_xcnt 0x0
	v_mov_b32_e32 v1, 0
	s_mov_b32 s53, -1
	s_mov_b32 s50, 0
	global_store_b8 v[2:3], v1, off
.LBB87_1913:
	s_mov_b32 s52, 0
.LBB87_1914:
	s_delay_alu instid0(SALU_CYCLE_1)
	s_and_b32 vcc_lo, exec_lo, s52
	s_cbranch_vccz .LBB87_1953
; %bb.1915:
	s_and_b32 s51, 0xffff, s51
	s_mov_b32 s52, -1
	s_cmp_lt_i32 s51, 5
	s_cbranch_scc1 .LBB87_1936
; %bb.1916:
	s_cmp_lt_i32 s51, 8
	s_cbranch_scc1 .LBB87_1926
; %bb.1917:
	s_cmp_lt_i32 s51, 9
	s_cbranch_scc1 .LBB87_1923
; %bb.1918:
	s_cmp_gt_i32 s51, 9
	s_cbranch_scc0 .LBB87_1920
; %bb.1919:
	s_wait_xcnt 0x0
	v_mov_b32_e32 v4, 0
	s_mov_b32 s52, 0
	s_delay_alu instid0(VALU_DEP_1)
	v_dual_mov_b32 v5, v4 :: v_dual_mov_b32 v6, v4
	v_mov_b32_e32 v7, v4
	global_store_b128 v[2:3], v[4:7], off
.LBB87_1920:
	s_and_not1_b32 vcc_lo, exec_lo, s52
	s_cbranch_vccnz .LBB87_1922
; %bb.1921:
	s_wait_xcnt 0x0
	v_mov_b64_e32 v[4:5], 0
	global_store_b64 v[2:3], v[4:5], off
.LBB87_1922:
	s_mov_b32 s52, 0
.LBB87_1923:
	s_delay_alu instid0(SALU_CYCLE_1)
	s_and_not1_b32 vcc_lo, exec_lo, s52
	s_cbranch_vccnz .LBB87_1925
; %bb.1924:
	s_wait_xcnt 0x0
	v_mov_b32_e32 v1, 0
	global_store_b32 v[2:3], v1, off
.LBB87_1925:
	s_mov_b32 s52, 0
.LBB87_1926:
	s_delay_alu instid0(SALU_CYCLE_1)
	s_and_not1_b32 vcc_lo, exec_lo, s52
	s_cbranch_vccnz .LBB87_1935
; %bb.1927:
	s_cmp_lt_i32 s51, 6
	s_mov_b32 s52, -1
	s_cbranch_scc1 .LBB87_1933
; %bb.1928:
	s_cmp_gt_i32 s51, 6
	s_cbranch_scc0 .LBB87_1930
; %bb.1929:
	s_wait_xcnt 0x0
	v_mov_b64_e32 v[4:5], 0
	s_mov_b32 s52, 0
	global_store_b64 v[2:3], v[4:5], off
.LBB87_1930:
	s_and_not1_b32 vcc_lo, exec_lo, s52
	s_cbranch_vccnz .LBB87_1932
; %bb.1931:
	s_wait_xcnt 0x0
	v_mov_b32_e32 v1, 0
	global_store_b32 v[2:3], v1, off
.LBB87_1932:
	s_mov_b32 s52, 0
.LBB87_1933:
	s_delay_alu instid0(SALU_CYCLE_1)
	s_and_not1_b32 vcc_lo, exec_lo, s52
	s_cbranch_vccnz .LBB87_1935
; %bb.1934:
	s_wait_xcnt 0x0
	v_mov_b32_e32 v1, 0
	global_store_b16 v[2:3], v1, off
.LBB87_1935:
	s_mov_b32 s52, 0
.LBB87_1936:
	s_delay_alu instid0(SALU_CYCLE_1)
	s_and_not1_b32 vcc_lo, exec_lo, s52
	s_cbranch_vccnz .LBB87_1952
; %bb.1937:
	s_cmp_lt_i32 s51, 2
	s_mov_b32 s52, -1
	s_cbranch_scc1 .LBB87_1947
; %bb.1938:
	s_cmp_lt_i32 s51, 3
	s_cbranch_scc1 .LBB87_1944
; %bb.1939:
	s_cmp_gt_i32 s51, 3
	s_cbranch_scc0 .LBB87_1941
; %bb.1940:
	s_wait_xcnt 0x0
	v_mov_b64_e32 v[4:5], 0
	s_mov_b32 s52, 0
	global_store_b64 v[2:3], v[4:5], off
.LBB87_1941:
	s_and_not1_b32 vcc_lo, exec_lo, s52
	s_cbranch_vccnz .LBB87_1943
; %bb.1942:
	s_wait_xcnt 0x0
	v_mov_b32_e32 v1, 0
	global_store_b32 v[2:3], v1, off
.LBB87_1943:
	s_mov_b32 s52, 0
.LBB87_1944:
	s_delay_alu instid0(SALU_CYCLE_1)
	s_and_not1_b32 vcc_lo, exec_lo, s52
	s_cbranch_vccnz .LBB87_1946
; %bb.1945:
	s_wait_xcnt 0x0
	v_mov_b32_e32 v1, 0
	global_store_b16 v[2:3], v1, off
.LBB87_1946:
	s_mov_b32 s52, 0
.LBB87_1947:
	s_delay_alu instid0(SALU_CYCLE_1)
	s_and_not1_b32 vcc_lo, exec_lo, s52
	s_cbranch_vccnz .LBB87_1952
; %bb.1948:
	s_cmp_gt_i32 s51, 0
	s_mov_b32 s51, -1
	s_cbranch_scc0 .LBB87_1950
; %bb.1949:
	s_wait_xcnt 0x0
	v_mov_b32_e32 v1, 0
	s_mov_b32 s51, 0
	global_store_b8 v[2:3], v1, off
.LBB87_1950:
	s_and_not1_b32 vcc_lo, exec_lo, s51
	s_cbranch_vccnz .LBB87_1952
; %bb.1951:
	s_wait_xcnt 0x0
	v_mov_b32_e32 v1, 0
	global_store_b8 v[2:3], v1, off
.LBB87_1952:
	s_mov_b32 s53, -1
.LBB87_1953:
	s_delay_alu instid0(SALU_CYCLE_1)
	s_and_not1_b32 vcc_lo, exec_lo, s53
	s_cbranch_vccnz .LBB87_1955
; %bb.1954:
	v_add_nc_u32_e32 v0, 0x80, v0
	s_mov_b32 s52, -1
	s_branch .LBB87_1956
.LBB87_1955:
	s_mov_b32 s52, 0
                                        ; implicit-def: $vgpr0
.LBB87_1956:
	s_and_b32 s51, s50, exec_lo
	s_and_not1_b32 s0, s0, exec_lo
	s_and_b32 s50, s52, exec_lo
.LBB87_1957:
	s_wait_xcnt 0x0
	s_or_b32 exec_lo, exec_lo, s35
	s_delay_alu instid0(SALU_CYCLE_1)
	s_and_b32 s51, s51, exec_lo
	s_and_b32 s0, s0, exec_lo
	s_xor_b32 s35, exec_lo, -1
	s_and_b32 s50, s50, exec_lo
.LBB87_1958:
	s_or_b32 exec_lo, exec_lo, s79
	s_delay_alu instid0(SALU_CYCLE_1)
	s_and_b32 s53, s51, exec_lo
	s_and_b32 s52, s0, exec_lo
	;; [unrolled: 1-line block ×3, first 2 shown]
	s_xor_b32 s35, exec_lo, -1
	s_and_b32 s0, s50, exec_lo
.LBB87_1959:
	s_or_b32 exec_lo, exec_lo, s78
	s_delay_alu instid0(SALU_CYCLE_1)
	s_and_b32 s53, s53, exec_lo
	s_and_b32 s52, s52, exec_lo
	;; [unrolled: 1-line block ×4, first 2 shown]
	s_xor_b32 s35, exec_lo, -1
	s_and_b32 s0, s0, exec_lo
	s_or_b32 exec_lo, exec_lo, s77
	s_branch .LBB87_650
.LBB87_1960:
	s_mov_b32 s54, -1
	s_mov_b32 s53, 0
	s_mov_b32 s50, s60
	s_branch .LBB87_3609
.LBB87_1961:
	s_mov_b32 s104, -1
	s_mov_b32 s50, 0
.LBB87_1962:
                                        ; implicit-def: $vgpr10
.LBB87_1963:
	s_and_b32 vcc_lo, exec_lo, s51
	s_cbranch_vccz .LBB87_1967
; %bb.1964:
	s_cmp_eq_u32 s35, 44
	s_cbranch_scc0 .LBB87_1966
; %bb.1965:
	global_load_u8 v7, v[4:5], off
	s_mov_b32 s104, 0
	s_mov_b32 s50, -1
	s_wait_loadcnt 0x0
	v_lshlrev_b32_e32 v9, 23, v7
	v_cmp_ne_u32_e32 vcc_lo, 0, v7
	s_delay_alu instid0(VALU_DEP_2) | instskip(SKIP_1) | instid1(VALU_DEP_1)
	v_cvt_i32_f32_e32 v9, v9
	s_wait_xcnt 0x1
	v_cndmask_b32_e32 v10, 0, v9, vcc_lo
	s_branch .LBB87_1967
.LBB87_1966:
	s_mov_b32 s104, -1
                                        ; implicit-def: $vgpr10
.LBB87_1967:
	s_mov_b32 s51, 0
.LBB87_1968:
	s_delay_alu instid0(SALU_CYCLE_1)
	s_and_b32 vcc_lo, exec_lo, s51
	s_cbranch_vccz .LBB87_1972
; %bb.1969:
	s_cmp_eq_u32 s35, 29
	s_cbranch_scc0 .LBB87_1971
; %bb.1970:
	global_load_b32 v10, v[4:5], off
	s_mov_b32 s50, -1
	s_mov_b32 s104, 0
	s_branch .LBB87_1972
.LBB87_1971:
	s_mov_b32 s104, -1
                                        ; implicit-def: $vgpr10
.LBB87_1972:
	s_mov_b32 s51, 0
.LBB87_1973:
	s_delay_alu instid0(SALU_CYCLE_1)
	s_and_b32 vcc_lo, exec_lo, s51
	s_cbranch_vccz .LBB87_1989
; %bb.1974:
	s_cmp_lt_i32 s35, 27
	s_cbranch_scc1 .LBB87_1977
; %bb.1975:
	s_cmp_gt_i32 s35, 27
	s_cbranch_scc0 .LBB87_1978
; %bb.1976:
	s_wait_loadcnt 0x0
	global_load_b32 v10, v[4:5], off
	s_mov_b32 s50, 0
	s_branch .LBB87_1979
.LBB87_1977:
	s_mov_b32 s50, -1
                                        ; implicit-def: $vgpr10
	s_branch .LBB87_1982
.LBB87_1978:
	s_mov_b32 s50, -1
                                        ; implicit-def: $vgpr10
.LBB87_1979:
	s_delay_alu instid0(SALU_CYCLE_1)
	s_and_not1_b32 vcc_lo, exec_lo, s50
	s_cbranch_vccnz .LBB87_1981
; %bb.1980:
	s_wait_loadcnt 0x0
	global_load_u16 v10, v[4:5], off
.LBB87_1981:
	s_mov_b32 s50, 0
.LBB87_1982:
	s_delay_alu instid0(SALU_CYCLE_1)
	s_and_not1_b32 vcc_lo, exec_lo, s50
	s_cbranch_vccnz .LBB87_1988
; %bb.1983:
	global_load_u8 v7, v[4:5], off
	s_mov_b32 s51, 0
	s_mov_b32 s4, exec_lo
	s_wait_loadcnt 0x0
	v_cmpx_lt_i16_e32 0x7f, v7
	s_xor_b32 s50, exec_lo, s4
	s_cbranch_execz .LBB87_2000
; %bb.1984:
	v_cmp_ne_u16_e32 vcc_lo, 0x80, v7
	s_and_b32 s51, vcc_lo, exec_lo
	s_and_not1_saveexec_b32 s50, s50
	s_cbranch_execnz .LBB87_2001
.LBB87_1985:
	s_or_b32 exec_lo, exec_lo, s50
	v_mov_b32_e32 v10, 0
	s_and_saveexec_b32 s50, s51
	s_cbranch_execz .LBB87_1987
.LBB87_1986:
	v_and_b32_e32 v9, 0xffff, v7
	s_delay_alu instid0(VALU_DEP_1) | instskip(SKIP_1) | instid1(VALU_DEP_2)
	v_and_b32_e32 v10, 7, v9
	v_bfe_u32 v13, v9, 3, 4
	v_clz_i32_u32_e32 v11, v10
	s_delay_alu instid0(VALU_DEP_2) | instskip(NEXT) | instid1(VALU_DEP_2)
	v_cmp_eq_u32_e32 vcc_lo, 0, v13
	v_min_u32_e32 v11, 32, v11
	s_delay_alu instid0(VALU_DEP_1) | instskip(NEXT) | instid1(VALU_DEP_1)
	v_subrev_nc_u32_e32 v12, 28, v11
	v_dual_lshlrev_b32 v9, v12, v9 :: v_dual_sub_nc_u32 v11, 29, v11
	s_delay_alu instid0(VALU_DEP_1) | instskip(NEXT) | instid1(VALU_DEP_1)
	v_dual_lshlrev_b32 v7, 24, v7 :: v_dual_bitop2_b32 v9, 7, v9 bitop3:0x40
	v_dual_cndmask_b32 v9, v10, v9, vcc_lo :: v_dual_cndmask_b32 v11, v13, v11, vcc_lo
	s_delay_alu instid0(VALU_DEP_2) | instskip(NEXT) | instid1(VALU_DEP_2)
	v_and_b32_e32 v7, 0x80000000, v7
	v_lshlrev_b32_e32 v9, 20, v9
	s_delay_alu instid0(VALU_DEP_3) | instskip(NEXT) | instid1(VALU_DEP_1)
	v_lshl_add_u32 v10, v11, 23, 0x3b800000
	v_or3_b32 v7, v7, v10, v9
	s_delay_alu instid0(VALU_DEP_1)
	v_cvt_i32_f32_e32 v10, v7
.LBB87_1987:
	s_or_b32 exec_lo, exec_lo, s50
.LBB87_1988:
	s_mov_b32 s50, -1
.LBB87_1989:
	s_mov_b32 s51, 0
.LBB87_1990:
	s_delay_alu instid0(SALU_CYCLE_1)
	s_and_b32 vcc_lo, exec_lo, s51
	s_cbranch_vccz .LBB87_2023
; %bb.1991:
	s_cmp_gt_i32 s35, 22
	s_cbranch_scc0 .LBB87_1999
; %bb.1992:
	s_cmp_lt_i32 s35, 24
	s_cbranch_scc1 .LBB87_2002
; %bb.1993:
	s_cmp_gt_i32 s35, 24
	s_cbranch_scc0 .LBB87_2003
; %bb.1994:
	global_load_u8 v7, v[4:5], off
	s_mov_b32 s51, 0
	s_mov_b32 s4, exec_lo
	s_wait_loadcnt 0x0
	v_cmpx_lt_i16_e32 0x7f, v7
	s_xor_b32 s50, exec_lo, s4
	s_cbranch_execz .LBB87_2015
; %bb.1995:
	v_cmp_ne_u16_e32 vcc_lo, 0x80, v7
	s_and_b32 s51, vcc_lo, exec_lo
	s_and_not1_saveexec_b32 s50, s50
	s_cbranch_execnz .LBB87_2016
.LBB87_1996:
	s_or_b32 exec_lo, exec_lo, s50
	v_mov_b32_e32 v10, 0
	s_and_saveexec_b32 s50, s51
	s_cbranch_execz .LBB87_1998
.LBB87_1997:
	v_and_b32_e32 v9, 0xffff, v7
	s_delay_alu instid0(VALU_DEP_1) | instskip(SKIP_1) | instid1(VALU_DEP_2)
	v_and_b32_e32 v10, 3, v9
	v_bfe_u32 v13, v9, 2, 5
	v_clz_i32_u32_e32 v11, v10
	s_delay_alu instid0(VALU_DEP_2) | instskip(NEXT) | instid1(VALU_DEP_2)
	v_cmp_eq_u32_e32 vcc_lo, 0, v13
	v_min_u32_e32 v11, 32, v11
	s_delay_alu instid0(VALU_DEP_1) | instskip(NEXT) | instid1(VALU_DEP_1)
	v_subrev_nc_u32_e32 v12, 29, v11
	v_dual_lshlrev_b32 v9, v12, v9 :: v_dual_sub_nc_u32 v11, 30, v11
	s_delay_alu instid0(VALU_DEP_1) | instskip(NEXT) | instid1(VALU_DEP_1)
	v_dual_lshlrev_b32 v7, 24, v7 :: v_dual_bitop2_b32 v9, 3, v9 bitop3:0x40
	v_dual_cndmask_b32 v9, v10, v9, vcc_lo :: v_dual_cndmask_b32 v11, v13, v11, vcc_lo
	s_delay_alu instid0(VALU_DEP_2) | instskip(NEXT) | instid1(VALU_DEP_2)
	v_and_b32_e32 v7, 0x80000000, v7
	v_lshlrev_b32_e32 v9, 21, v9
	s_delay_alu instid0(VALU_DEP_3) | instskip(NEXT) | instid1(VALU_DEP_1)
	v_lshl_add_u32 v10, v11, 23, 0x37800000
	v_or3_b32 v7, v7, v10, v9
	s_delay_alu instid0(VALU_DEP_1)
	v_cvt_i32_f32_e32 v10, v7
.LBB87_1998:
	s_or_b32 exec_lo, exec_lo, s50
	s_mov_b32 s50, 0
	s_branch .LBB87_2004
.LBB87_1999:
	s_mov_b32 s51, -1
                                        ; implicit-def: $vgpr10
	s_branch .LBB87_2010
.LBB87_2000:
	s_and_not1_saveexec_b32 s50, s50
	s_cbranch_execz .LBB87_1985
.LBB87_2001:
	v_cmp_ne_u16_e32 vcc_lo, 0, v7
	s_and_not1_b32 s4, s51, exec_lo
	s_and_b32 s5, vcc_lo, exec_lo
	s_delay_alu instid0(SALU_CYCLE_1)
	s_or_b32 s51, s4, s5
	s_or_b32 exec_lo, exec_lo, s50
	v_mov_b32_e32 v10, 0
	s_and_saveexec_b32 s50, s51
	s_cbranch_execnz .LBB87_1986
	s_branch .LBB87_1987
.LBB87_2002:
	s_mov_b32 s50, -1
                                        ; implicit-def: $vgpr10
	s_branch .LBB87_2007
.LBB87_2003:
	s_mov_b32 s50, -1
                                        ; implicit-def: $vgpr10
.LBB87_2004:
	s_delay_alu instid0(SALU_CYCLE_1)
	s_and_b32 vcc_lo, exec_lo, s50
	s_cbranch_vccz .LBB87_2006
; %bb.2005:
	global_load_u8 v7, v[4:5], off
	s_wait_loadcnt 0x0
	v_lshlrev_b32_e32 v7, 24, v7
	s_delay_alu instid0(VALU_DEP_1) | instskip(SKIP_1) | instid1(VALU_DEP_1)
	v_and_b32_e32 v9, 0x7f000000, v7
	s_wait_xcnt 0x1
	v_clz_i32_u32_e32 v10, v9
	v_cmp_ne_u32_e32 vcc_lo, 0, v9
	v_add_nc_u32_e32 v12, 0x1000000, v9
	s_delay_alu instid0(VALU_DEP_3) | instskip(NEXT) | instid1(VALU_DEP_1)
	v_min_u32_e32 v10, 32, v10
	v_sub_nc_u32_e64 v10, v10, 4 clamp
	s_delay_alu instid0(VALU_DEP_1) | instskip(NEXT) | instid1(VALU_DEP_1)
	v_dual_lshlrev_b32 v11, v10, v9 :: v_dual_lshlrev_b32 v10, 23, v10
	v_lshrrev_b32_e32 v11, 4, v11
	s_delay_alu instid0(VALU_DEP_1) | instskip(NEXT) | instid1(VALU_DEP_1)
	v_dual_sub_nc_u32 v10, v11, v10 :: v_dual_ashrrev_i32 v11, 8, v12
	v_add_nc_u32_e32 v10, 0x3c000000, v10
	s_delay_alu instid0(VALU_DEP_1) | instskip(NEXT) | instid1(VALU_DEP_1)
	v_and_or_b32 v10, 0x7f800000, v11, v10
	v_cndmask_b32_e32 v9, 0, v10, vcc_lo
	s_delay_alu instid0(VALU_DEP_1) | instskip(NEXT) | instid1(VALU_DEP_1)
	v_and_or_b32 v7, 0x80000000, v7, v9
	v_cvt_i32_f32_e32 v10, v7
.LBB87_2006:
	s_mov_b32 s50, 0
.LBB87_2007:
	s_delay_alu instid0(SALU_CYCLE_1)
	s_and_not1_b32 vcc_lo, exec_lo, s50
	s_cbranch_vccnz .LBB87_2009
; %bb.2008:
	global_load_u8 v7, v[4:5], off
	s_wait_loadcnt 0x0
	v_lshlrev_b32_e32 v9, 25, v7
	v_lshlrev_b16 v7, 8, v7
	s_wait_xcnt 0x1
	s_delay_alu instid0(VALU_DEP_1) | instskip(NEXT) | instid1(VALU_DEP_3)
	v_and_or_b32 v11, 0x7f00, v7, 0.5
	v_lshrrev_b32_e32 v10, 4, v9
	v_bfe_i32 v7, v7, 0, 16
	s_delay_alu instid0(VALU_DEP_3) | instskip(NEXT) | instid1(VALU_DEP_3)
	v_add_f32_e32 v11, -0.5, v11
	v_or_b32_e32 v10, 0x70000000, v10
	s_delay_alu instid0(VALU_DEP_1) | instskip(SKIP_1) | instid1(VALU_DEP_2)
	v_mul_f32_e32 v10, 0x7800000, v10
	v_cmp_gt_u32_e32 vcc_lo, 0x8000000, v9
	v_cndmask_b32_e32 v9, v10, v11, vcc_lo
	s_delay_alu instid0(VALU_DEP_1) | instskip(NEXT) | instid1(VALU_DEP_1)
	v_and_or_b32 v7, 0x80000000, v7, v9
	v_cvt_i32_f32_e32 v10, v7
.LBB87_2009:
	s_mov_b32 s51, 0
	s_mov_b32 s50, -1
.LBB87_2010:
	s_and_not1_b32 vcc_lo, exec_lo, s51
	s_cbranch_vccnz .LBB87_2023
; %bb.2011:
	s_cmp_gt_i32 s35, 14
	s_cbranch_scc0 .LBB87_2014
; %bb.2012:
	s_cmp_eq_u32 s35, 15
	s_cbranch_scc0 .LBB87_2017
; %bb.2013:
	global_load_u16 v7, v[4:5], off
	s_mov_b32 s50, -1
	s_mov_b32 s104, 0
	s_wait_loadcnt 0x0
	v_lshlrev_b32_e32 v7, 16, v7
	s_wait_xcnt 0x1
	s_delay_alu instid0(VALU_DEP_1)
	v_cvt_i32_f32_e32 v10, v7
	s_branch .LBB87_2018
.LBB87_2014:
	s_mov_b32 s51, -1
                                        ; implicit-def: $vgpr10
	s_branch .LBB87_2019
.LBB87_2015:
	s_and_not1_saveexec_b32 s50, s50
	s_cbranch_execz .LBB87_1996
.LBB87_2016:
	v_cmp_ne_u16_e32 vcc_lo, 0, v7
	s_and_not1_b32 s4, s51, exec_lo
	s_and_b32 s5, vcc_lo, exec_lo
	s_delay_alu instid0(SALU_CYCLE_1)
	s_or_b32 s51, s4, s5
	s_or_b32 exec_lo, exec_lo, s50
	v_mov_b32_e32 v10, 0
	s_and_saveexec_b32 s50, s51
	s_cbranch_execnz .LBB87_1997
	s_branch .LBB87_1998
.LBB87_2017:
	s_mov_b32 s104, -1
                                        ; implicit-def: $vgpr10
.LBB87_2018:
	s_mov_b32 s51, 0
.LBB87_2019:
	s_delay_alu instid0(SALU_CYCLE_1)
	s_and_b32 vcc_lo, exec_lo, s51
	s_cbranch_vccz .LBB87_2023
; %bb.2020:
	s_cmp_eq_u32 s35, 11
	s_cbranch_scc0 .LBB87_2022
; %bb.2021:
	global_load_u8 v7, v[4:5], off
	s_mov_b32 s104, 0
	s_mov_b32 s50, -1
	s_wait_loadcnt 0x0
	v_cmp_ne_u16_e32 vcc_lo, 0, v7
	s_wait_xcnt 0x1
	v_cndmask_b32_e64 v10, 0, 1, vcc_lo
	s_branch .LBB87_2023
.LBB87_2022:
	s_mov_b32 s104, -1
                                        ; implicit-def: $vgpr10
.LBB87_2023:
	s_mov_b32 s35, 0
.LBB87_2024:
	s_delay_alu instid0(SALU_CYCLE_1)
	s_and_b32 vcc_lo, exec_lo, s35
	s_cbranch_vccz .LBB87_2073
; %bb.2025:
	s_and_b32 s0, 0xffff, s0
	s_delay_alu instid0(SALU_CYCLE_1)
	s_cmp_lt_i32 s0, 5
	s_cbranch_scc1 .LBB87_2030
; %bb.2026:
	s_cmp_lt_i32 s0, 8
	s_cbranch_scc1 .LBB87_2031
; %bb.2027:
	;; [unrolled: 3-line block ×3, first 2 shown]
	s_cmp_gt_i32 s0, 9
	s_cbranch_scc0 .LBB87_2033
; %bb.2029:
	s_wait_loadcnt 0x0
	global_load_b64 v[10:11], v[4:5], off
	s_mov_b32 s35, 0
	s_wait_loadcnt 0x0
	v_cvt_i32_f64_e32 v10, v[10:11]
	s_branch .LBB87_2034
.LBB87_2030:
	s_mov_b32 s35, -1
                                        ; implicit-def: $vgpr10
	s_branch .LBB87_2052
.LBB87_2031:
	s_mov_b32 s35, -1
                                        ; implicit-def: $vgpr10
	s_branch .LBB87_2040
.LBB87_2032:
	s_mov_b32 s35, -1
                                        ; implicit-def: $vgpr10
	s_branch .LBB87_2037
.LBB87_2033:
	s_mov_b32 s35, -1
                                        ; implicit-def: $vgpr10
.LBB87_2034:
	s_delay_alu instid0(SALU_CYCLE_1)
	s_and_not1_b32 vcc_lo, exec_lo, s35
	s_cbranch_vccnz .LBB87_2036
; %bb.2035:
	global_load_b32 v7, v[4:5], off
	s_wait_loadcnt 0x0
	s_wait_xcnt 0x1
	v_cvt_i32_f32_e32 v10, v7
.LBB87_2036:
	s_mov_b32 s35, 0
.LBB87_2037:
	s_delay_alu instid0(SALU_CYCLE_1)
	s_and_not1_b32 vcc_lo, exec_lo, s35
	s_cbranch_vccnz .LBB87_2039
; %bb.2038:
	global_load_b32 v7, v[4:5], off
	s_wait_loadcnt 0x0
	v_cvt_f32_f16_e32 v7, v7
	s_wait_xcnt 0x1
	s_delay_alu instid0(VALU_DEP_1)
	v_cvt_i32_f32_e32 v10, v7
.LBB87_2039:
	s_mov_b32 s35, 0
.LBB87_2040:
	s_delay_alu instid0(SALU_CYCLE_1)
	s_and_not1_b32 vcc_lo, exec_lo, s35
	s_cbranch_vccnz .LBB87_2051
; %bb.2041:
	s_cmp_lt_i32 s0, 6
	s_cbranch_scc1 .LBB87_2044
; %bb.2042:
	s_cmp_gt_i32 s0, 6
	s_cbranch_scc0 .LBB87_2045
; %bb.2043:
	s_wait_loadcnt 0x0
	global_load_b64 v[10:11], v[4:5], off
	s_mov_b32 s35, 0
	s_wait_loadcnt 0x0
	v_cvt_i32_f64_e32 v10, v[10:11]
	s_branch .LBB87_2046
.LBB87_2044:
	s_mov_b32 s35, -1
                                        ; implicit-def: $vgpr10
	s_branch .LBB87_2049
.LBB87_2045:
	s_mov_b32 s35, -1
                                        ; implicit-def: $vgpr10
.LBB87_2046:
	s_delay_alu instid0(SALU_CYCLE_1)
	s_and_not1_b32 vcc_lo, exec_lo, s35
	s_cbranch_vccnz .LBB87_2048
; %bb.2047:
	global_load_b32 v7, v[4:5], off
	s_wait_loadcnt 0x0
	s_wait_xcnt 0x1
	v_cvt_i32_f32_e32 v10, v7
.LBB87_2048:
	s_mov_b32 s35, 0
.LBB87_2049:
	s_delay_alu instid0(SALU_CYCLE_1)
	s_and_not1_b32 vcc_lo, exec_lo, s35
	s_cbranch_vccnz .LBB87_2051
; %bb.2050:
	global_load_u16 v7, v[4:5], off
	s_wait_loadcnt 0x0
	v_cvt_f32_f16_e32 v7, v7
	s_wait_xcnt 0x1
	s_delay_alu instid0(VALU_DEP_1)
	v_cvt_i32_f32_e32 v10, v7
.LBB87_2051:
	s_mov_b32 s35, 0
.LBB87_2052:
	s_delay_alu instid0(SALU_CYCLE_1)
	s_and_not1_b32 vcc_lo, exec_lo, s35
	s_cbranch_vccnz .LBB87_2072
; %bb.2053:
	s_cmp_lt_i32 s0, 2
	s_cbranch_scc1 .LBB87_2057
; %bb.2054:
	s_cmp_lt_i32 s0, 3
	s_cbranch_scc1 .LBB87_2058
; %bb.2055:
	s_cmp_gt_i32 s0, 3
	s_cbranch_scc0 .LBB87_2059
; %bb.2056:
	s_wait_loadcnt 0x0
	global_load_b32 v10, v[4:5], off
	s_mov_b32 s35, 0
	s_branch .LBB87_2060
.LBB87_2057:
	s_mov_b32 s35, -1
                                        ; implicit-def: $vgpr10
	s_branch .LBB87_2066
.LBB87_2058:
	s_mov_b32 s35, -1
                                        ; implicit-def: $vgpr10
	s_branch .LBB87_2063
.LBB87_2059:
	s_mov_b32 s35, -1
                                        ; implicit-def: $vgpr10
.LBB87_2060:
	s_delay_alu instid0(SALU_CYCLE_1)
	s_and_not1_b32 vcc_lo, exec_lo, s35
	s_cbranch_vccnz .LBB87_2062
; %bb.2061:
	s_wait_loadcnt 0x0
	global_load_b32 v10, v[4:5], off
.LBB87_2062:
	s_mov_b32 s35, 0
.LBB87_2063:
	s_delay_alu instid0(SALU_CYCLE_1)
	s_and_not1_b32 vcc_lo, exec_lo, s35
	s_cbranch_vccnz .LBB87_2065
; %bb.2064:
	s_wait_loadcnt 0x0
	global_load_i16 v10, v[4:5], off
.LBB87_2065:
	s_mov_b32 s35, 0
.LBB87_2066:
	s_delay_alu instid0(SALU_CYCLE_1)
	s_and_not1_b32 vcc_lo, exec_lo, s35
	s_cbranch_vccnz .LBB87_2072
; %bb.2067:
	s_cmp_gt_i32 s0, 0
	s_mov_b32 s0, 0
	s_cbranch_scc0 .LBB87_2069
; %bb.2068:
	s_wait_loadcnt 0x0
	global_load_i8 v10, v[4:5], off
	s_branch .LBB87_2070
.LBB87_2069:
	s_mov_b32 s0, -1
                                        ; implicit-def: $vgpr10
.LBB87_2070:
	s_delay_alu instid0(SALU_CYCLE_1)
	s_and_not1_b32 vcc_lo, exec_lo, s0
	s_cbranch_vccnz .LBB87_2072
; %bb.2071:
	s_wait_loadcnt 0x0
	global_load_u8 v10, v[4:5], off
.LBB87_2072:
	s_mov_b32 s50, -1
.LBB87_2073:
	s_delay_alu instid0(SALU_CYCLE_1)
	s_and_not1_b32 vcc_lo, exec_lo, s50
	s_cbranch_vccnz .LBB87_2084
; %bb.2074:
	v_cmp_eq_u32_e32 vcc_lo, s38, v1
	s_mov_b32 s0, 0
	s_mov_b32 s52, -1
	s_mov_b32 s53, s91
	s_mov_b32 s51, s95
	s_and_b32 s4, s66, vcc_lo
	s_mov_b32 s50, s94
	s_mov_b32 s35, s67
	s_wait_xcnt 0x0
	s_and_saveexec_b32 s19, s4
	s_cbranch_execz .LBB87_4292
; %bb.2075:
	s_wait_loadcnt 0x0
	v_cmp_eq_u32_e32 vcc_lo, s70, v3
	s_mov_b32 s51, -1
	s_mov_b32 s52, s95
	s_mov_b32 s50, s94
	;; [unrolled: 1-line block ×3, first 2 shown]
	s_and_b32 s4, s45, vcc_lo
	s_delay_alu instid0(SALU_CYCLE_1)
	s_and_saveexec_b32 s26, s4
	s_cbranch_execz .LBB87_3778
; %bb.2076:
	v_sub_nc_u32_e32 v1, v6, v8
	s_mov_b32 s35, 0
	s_mov_b32 s50, -1
	s_mov_b32 s52, s67
	s_delay_alu instid0(VALU_DEP_1) | instskip(SKIP_4) | instid1(SALU_CYCLE_1)
	v_cmp_le_i32_e32 vcc_lo, s38, v1
	v_cmp_ge_i32_e64 s0, s68, v1
	s_and_b32 s4, vcc_lo, s0
	s_mov_b32 s0, s94
	s_and_b32 s4, s16, s4
	s_and_saveexec_b32 vcc_hi, s4
	s_cbranch_execz .LBB87_3777
; %bb.2077:
	v_mov_b64_e32 v[4:5], 0
	s_and_not1_b32 vcc_lo, exec_lo, s17
	s_cbranch_vccnz .LBB87_2113
; %bb.2078:
	v_ashrrev_i32_e32 v11, 31, v10
	s_mov_b32 s51, 0
	v_mov_b64_e32 v[4:5], 0
	s_mov_b32 s35, s51
	s_delay_alu instid0(SALU_CYCLE_1)
	s_lshl_b64 s[4:5], s[34:35], 3
	v_mul_u64_e32 v[12:13], s[70:71], v[10:11]
	v_mov_b32_e32 v10, 0
	s_add_nc_u64 s[4:5], s[2:3], s[4:5]
	s_mov_b32 s35, s25
	s_add_nc_u64 s[52:53], s[4:5], 0x298
	s_branch .LBB87_2080
.LBB87_2079:                            ;   in Loop: Header=BB87_2080 Depth=1
	s_or_b32 exec_lo, exec_lo, s0
	s_delay_alu instid0(VALU_DEP_1)
	v_mul_u64_e32 v[16:17], s[54:55], v[14:15]
	s_load_b64 s[4:5], s[52:53], 0x40
	s_add_co_i32 s35, s35, -1
	s_wait_xcnt 0x0
	s_add_nc_u64 s[52:53], s[52:53], -8
	s_cmp_lg_u32 s35, 0
	s_delay_alu instid0(VALU_DEP_1) | instskip(SKIP_1) | instid1(VALU_DEP_1)
	v_sub_nc_u64_e32 v[12:13], v[12:13], v[16:17]
	s_wait_kmcnt 0x0
	v_mad_nc_u64_u32 v[4:5], v12, s4, v[4:5]
	s_delay_alu instid0(VALU_DEP_1) | instskip(NEXT) | instid1(VALU_DEP_1)
	v_mad_u32 v1, v13, s4, v5
	v_mad_u32 v5, v12, s5, v1
	v_mov_b64_e32 v[12:13], v[14:15]
	s_cbranch_scc0 .LBB87_2113
.LBB87_2080:                            ; =>This Inner Loop Header: Depth=1
	s_load_b64 s[54:55], s[52:53], 0x0
                                        ; implicit-def: $vgpr14_vgpr15
	s_mov_b32 s0, exec_lo
	s_wait_kmcnt 0x0
	s_delay_alu instid0(VALU_DEP_1) | instskip(NEXT) | instid1(VALU_DEP_1)
	v_or_b32_e32 v11, s55, v13
	v_cmpx_ne_u64_e32 0, v[10:11]
	s_xor_b32 s93, exec_lo, s0
	s_cbranch_execz .LBB87_2082
; %bb.2081:                             ;   in Loop: Header=BB87_2080 Depth=1
	s_ashr_i32 s56, s55, 31
	s_mov_b64 s[14:15], s[70:71]
	s_mov_b32 s57, s56
	s_mov_b32 s12, s68
	s_add_nc_u64 s[4:5], s[54:55], s[56:57]
	s_mov_b64 s[70:71], s[42:43]
	s_xor_b64 s[58:59], s[4:5], s[56:57]
	s_mov_b32 s68, s40
	s_cvt_f32_u32 s0, s58
	s_cvt_f32_u32 s4, s59
	s_sub_nc_u64 s[6:7], 0, s[58:59]
	s_mov_b64 s[42:43], s[30:31]
	s_mov_b64 s[40:41], s[28:29]
	s_fmamk_f32 s0, s4, 0x4f800000, s0
	v_dual_mov_b32 v19, v10 :: v_dual_ashrrev_i32 v14, 31, v13
	s_delay_alu instid0(SALU_CYCLE_2) | instskip(NEXT) | instid1(VALU_DEP_1)
	v_s_rcp_f32 s0, s0
	v_mov_b32_e32 v15, v14
	s_delay_alu instid0(VALU_DEP_1) | instskip(NEXT) | instid1(TRANS32_DEP_1)
	v_add_nc_u64_e32 v[16:17], v[12:13], v[14:15]
	s_mul_f32 s0, s0, 0x5f7ffffc
	v_mov_b32_e32 v21, v10
	s_delay_alu instid0(SALU_CYCLE_2) | instskip(NEXT) | instid1(VALU_DEP_2)
	s_mul_f32 s4, s0, 0x2f800000
	v_xor_b32_e32 v18, v16, v14
	s_delay_alu instid0(VALU_DEP_3) | instskip(NEXT) | instid1(SALU_CYCLE_1)
	v_xor_b32_e32 v20, v17, v14
	s_trunc_f32 s4, s4
	v_dual_mov_b32 v27, v10 :: v_dual_bitop2_b32 v14, s56, v14 bitop3:0x14
	s_delay_alu instid0(SALU_CYCLE_2) | instskip(SKIP_1) | instid1(SALU_CYCLE_2)
	s_fmamk_f32 s0, s4, 0xcf800000, s0
	s_cvt_u32_f32 s5, s4
	s_cvt_u32_f32 s4, s0
	s_delay_alu instid0(SALU_CYCLE_3) | instskip(NEXT) | instid1(SALU_CYCLE_1)
	s_mul_u64 s[8:9], s[6:7], s[4:5]
	s_mul_hi_u32 s11, s4, s9
	s_mul_i32 s10, s4, s9
	s_mul_hi_u32 s50, s4, s8
	s_mul_i32 s28, s5, s8
	s_add_nc_u64 s[10:11], s[50:51], s[10:11]
	s_mul_hi_u32 s0, s5, s8
	s_mul_hi_u32 s29, s5, s9
	s_mul_i32 s8, s5, s9
	s_add_co_u32 s9, s10, s28
	s_add_co_ci_u32 s50, s11, s0
	s_add_co_ci_u32 s9, s29, 0
	s_mov_b64 s[28:29], s[40:41]
	s_add_nc_u64 s[8:9], s[50:51], s[8:9]
	s_mov_b64 s[30:31], s[42:43]
	s_add_co_u32 s4, s4, s8
	s_cselect_b32 s0, -1, 0
	s_mov_b64 s[42:43], s[70:71]
	s_cmp_lg_u32 s0, 0
	s_mov_b32 s40, s68
	s_add_co_ci_u32 s5, s5, s9
	s_mov_b64 s[70:71], s[14:15]
	s_mul_u64 s[6:7], s[6:7], s[4:5]
	s_mov_b32 s68, s12
	s_mul_hi_u32 s9, s4, s7
	s_mul_i32 s8, s4, s7
	s_mul_hi_u32 s50, s4, s6
	s_mul_i32 s10, s5, s6
	s_add_nc_u64 s[8:9], s[50:51], s[8:9]
	s_mul_hi_u32 s0, s5, s6
	s_mul_hi_u32 s11, s5, s7
	s_mul_i32 s6, s5, s7
	s_add_co_u32 s7, s8, s10
	s_add_co_ci_u32 s50, s9, s0
	s_add_co_ci_u32 s7, s11, 0
	s_delay_alu instid0(SALU_CYCLE_1) | instskip(NEXT) | instid1(SALU_CYCLE_1)
	s_add_nc_u64 s[6:7], s[50:51], s[6:7]
	s_add_co_u32 s0, s4, s6
	s_cselect_b32 s4, -1, 0
	v_mul_hi_u32 v26, v18, s0
	s_cmp_lg_u32 s4, 0
	s_add_co_ci_u32 s50, s5, s7
	s_mov_b64 s[4:5], 0xffffffff
	v_mul_u64_e32 v[22:23], s[50:51], v[18:19]
	s_and_b64 s[4:5], s[0:1], s[4:5]
	v_mul_u64_e32 v[24:25], s[50:51], v[20:21]
	v_mul_u64_e32 v[16:17], s[4:5], v[20:21]
	s_delay_alu instid0(VALU_DEP_3) | instskip(NEXT) | instid1(VALU_DEP_1)
	v_add_nc_u64_e32 v[22:23], v[26:27], v[22:23]
	v_add_co_u32 v1, vcc_lo, v22, v16
	s_delay_alu instid0(VALU_DEP_2) | instskip(SKIP_1) | instid1(VALU_DEP_1)
	v_add_co_ci_u32_e32 v26, vcc_lo, v23, v17, vcc_lo
	v_add_co_ci_u32_e32 v25, vcc_lo, 0, v25, vcc_lo
	v_add_nc_u64_e32 v[16:17], v[26:27], v[24:25]
	s_delay_alu instid0(VALU_DEP_1) | instskip(NEXT) | instid1(VALU_DEP_1)
	v_mul_u64_e32 v[22:23], s[58:59], v[16:17]
	v_sub_nc_u32_e32 v1, v20, v23
	s_delay_alu instid0(VALU_DEP_2) | instskip(NEXT) | instid1(VALU_DEP_1)
	v_sub_co_u32 v3, vcc_lo, v18, v22
	v_sub_co_ci_u32_e64 v9, null, v20, v23, vcc_lo
	s_delay_alu instid0(VALU_DEP_3) | instskip(NEXT) | instid1(VALU_DEP_3)
	v_subrev_co_ci_u32_e64 v1, null, s59, v1, vcc_lo
	v_sub_co_u32 v7, s0, v3, s58
	v_add_nc_u64_e32 v[18:19], 2, v[16:17]
	s_delay_alu instid0(VALU_DEP_3) | instskip(NEXT) | instid1(VALU_DEP_3)
	v_subrev_co_ci_u32_e64 v1, null, 0, v1, s0
	v_cmp_le_u32_e32 vcc_lo, s58, v7
	v_add_nc_u64_e32 v[20:21], 1, v[16:17]
	v_cndmask_b32_e64 v7, 0, -1, vcc_lo
	s_delay_alu instid0(VALU_DEP_4)
	v_cmp_le_u32_e32 vcc_lo, s59, v1
	v_cndmask_b32_e64 v11, 0, -1, vcc_lo
	v_cmp_le_u32_e32 vcc_lo, s58, v3
	v_cndmask_b32_e64 v3, 0, -1, vcc_lo
	;; [unrolled: 2-line block ×3, first 2 shown]
	v_cmp_eq_u32_e32 vcc_lo, s59, v1
	v_cndmask_b32_e32 v1, v11, v7, vcc_lo
	v_cmp_eq_u32_e32 vcc_lo, s59, v9
	s_delay_alu instid0(VALU_DEP_4) | instskip(NEXT) | instid1(VALU_DEP_3)
	v_cndmask_b32_e32 v3, v15, v3, vcc_lo
	v_cmp_ne_u32_e32 vcc_lo, 0, v1
	v_mov_b32_e32 v15, v14
	s_delay_alu instid0(VALU_DEP_3) | instskip(SKIP_1) | instid1(VALU_DEP_1)
	v_cmp_ne_u32_e64 s0, 0, v3
	v_dual_cndmask_b32 v1, v21, v19, vcc_lo :: v_dual_cndmask_b32 v3, v20, v18, vcc_lo
	v_dual_cndmask_b32 v1, v17, v1, s0 :: v_dual_cndmask_b32 v3, v16, v3, s0
	s_delay_alu instid0(VALU_DEP_1) | instskip(NEXT) | instid1(VALU_DEP_2)
	v_xor_b32_e32 v17, v1, v14
	v_xor_b32_e32 v16, v3, v14
	s_delay_alu instid0(VALU_DEP_1)
	v_sub_nc_u64_e32 v[14:15], v[16:17], v[14:15]
.LBB87_2082:                            ;   in Loop: Header=BB87_2080 Depth=1
	s_and_not1_saveexec_b32 s0, s93
	s_cbranch_execz .LBB87_2079
; %bb.2083:                             ;   in Loop: Header=BB87_2080 Depth=1
	v_cvt_f32_u32_e32 v1, s54
	s_sub_co_i32 s4, 0, s54
	v_mov_b32_e32 v15, v10
	s_delay_alu instid0(VALU_DEP_2) | instskip(SKIP_1) | instid1(TRANS32_DEP_1)
	v_rcp_iflag_f32_e32 v1, v1
	v_nop
	v_mul_f32_e32 v1, 0x4f7ffffe, v1
	s_delay_alu instid0(VALU_DEP_1) | instskip(NEXT) | instid1(VALU_DEP_1)
	v_cvt_u32_f32_e32 v1, v1
	v_mul_lo_u32 v3, s4, v1
	s_delay_alu instid0(VALU_DEP_1) | instskip(NEXT) | instid1(VALU_DEP_1)
	v_mul_hi_u32 v3, v1, v3
	v_add_nc_u32_e32 v1, v1, v3
	s_delay_alu instid0(VALU_DEP_1) | instskip(NEXT) | instid1(VALU_DEP_1)
	v_mul_hi_u32 v1, v12, v1
	v_mul_lo_u32 v3, v1, s54
	s_delay_alu instid0(VALU_DEP_1) | instskip(NEXT) | instid1(VALU_DEP_1)
	v_dual_add_nc_u32 v7, 1, v1 :: v_dual_sub_nc_u32 v3, v12, v3
	v_subrev_nc_u32_e32 v9, s54, v3
	v_cmp_le_u32_e32 vcc_lo, s54, v3
	s_delay_alu instid0(VALU_DEP_2) | instskip(NEXT) | instid1(VALU_DEP_1)
	v_dual_cndmask_b32 v3, v3, v9, vcc_lo :: v_dual_cndmask_b32 v1, v1, v7, vcc_lo
	v_cmp_le_u32_e32 vcc_lo, s54, v3
	s_delay_alu instid0(VALU_DEP_2) | instskip(NEXT) | instid1(VALU_DEP_1)
	v_add_nc_u32_e32 v7, 1, v1
	v_cndmask_b32_e32 v14, v1, v7, vcc_lo
	s_branch .LBB87_2079
.LBB87_2084:
	s_mov_b32 s0, 0
	s_mov_b32 s35, s67
	;; [unrolled: 1-line block ×6, first 2 shown]
.LBB87_2085:
                                        ; implicit-def: $vgpr0
.LBB87_2086:
	s_and_not1_b32 s4, s67, exec_lo
	s_and_b32 s5, s35, exec_lo
	s_and_not1_b32 s6, s94, exec_lo
	s_and_b32 s7, s50, exec_lo
	s_or_b32 s93, s4, s5
	s_or_b32 s59, s6, s7
	s_and_not1_b32 s4, s95, exec_lo
	s_and_b32 s5, s51, exec_lo
	s_and_not1_b32 s6, s91, exec_lo
	s_and_b32 s7, s53, exec_lo
	s_or_b32 vcc_hi, s4, s5
	s_or_b32 s57, s6, s7
	s_and_not1_b32 s4, s92, exec_lo
	s_and_b32 s5, s52, exec_lo
	s_and_not1_b32 s6, s89, exec_lo
	s_and_b32 s7, s104, exec_lo
	s_or_b32 s104, s4, s5
	s_or_b32 s55, s6, s7
	s_and_not1_b32 s4, s90, exec_lo
	s_and_b32 s5, s101, exec_lo
	s_and_not1_b32 s6, s87, exec_lo
	s_and_b32 s7, s100, exec_lo
	s_or_b32 s58, s4, s5
	;; [unrolled: 6-line block ×3, first 2 shown]
	s_or_b32 s35, s6, s7
	s_or_not1_b32 s53, s0, exec_lo
.LBB87_2087:
	s_wait_xcnt 0x0
	s_or_b32 exec_lo, exec_lo, s97
	s_mov_b32 s50, 0
	s_mov_b32 s51, 0
	s_mov_b32 s52, 0
                                        ; implicit-def: $sgpr0
                                        ; implicit-def: $vgpr12_vgpr13
                                        ; implicit-def: $vgpr2
                                        ; implicit-def: $vgpr8
                                        ; implicit-def: $vgpr10
                                        ; implicit-def: $vgpr4
                                        ; implicit-def: $vgpr6
                                        ; implicit-def: $vgpr3
	s_and_saveexec_b32 s97, s53
	s_cbranch_execz .LBB87_2191
; %bb.2088:
	v_cmp_gt_i32_e32 vcc_lo, s75, v0
	s_mov_b32 s53, s35
                                        ; implicit-def: $sgpr0
                                        ; implicit-def: $vgpr12_vgpr13
                                        ; implicit-def: $vgpr2
                                        ; implicit-def: $vgpr8
                                        ; implicit-def: $vgpr10
                                        ; implicit-def: $vgpr4
                                        ; implicit-def: $vgpr6
                                        ; implicit-def: $vgpr3
	s_and_saveexec_b32 s75, vcc_lo
	s_cbranch_execz .LBB87_2190
; %bb.2089:
	s_and_not1_b32 vcc_lo, exec_lo, s64
	s_cbranch_vccnz .LBB87_2096
; %bb.2090:
	s_and_not1_b32 vcc_lo, exec_lo, s13
	s_cbranch_vccnz .LBB87_2097
; %bb.2091:
	s_wait_loadcnt 0x0
	v_dual_mov_b32 v6, 0 :: v_dual_mov_b32 v1, v0
	v_dual_mov_b32 v4, 0 :: v_dual_mov_b32 v10, 0
	;; [unrolled: 1-line block ×3, first 2 shown]
	v_mov_b32_e32 v12, 0
	s_add_co_i32 s0, s74, 1
	s_mov_b64 s[4:5], 0xffffffffffffffd0
	s_mov_b64 s[12:13], s[28:29]
	s_mov_b32 s100, s39
	s_mov_b64 s[14:15], s[30:31]
	s_mov_b32 s76, s38
	s_and_b32 s0, s0, 30
	s_add_nc_u64 s[50:51], s[2:3], s[4:5]
	s_mov_b64 s[52:53], s[2:3]
.LBB87_2092:                            ; =>This Inner Loop Header: Depth=1
	s_clause 0x1
	s_load_b128 s[28:31], s[52:53], 0x4
	s_load_b64 s[98:99], s[52:53], 0x14
	s_clause 0x1
	s_load_b256 s[4:11], s[50:51], 0xf4
	s_load_b128 s[36:39], s[50:51], 0x114
	s_add_co_i32 s0, s0, -2
	s_wait_xcnt 0x0
	s_add_nc_u64 s[52:53], s[52:53], 24
	s_cmp_eq_u32 s0, 0
	s_add_nc_u64 s[50:51], s[50:51], 48
	s_wait_kmcnt 0x0
	v_mul_hi_u32 v3, s29, v1
	s_delay_alu instid0(VALU_DEP_1) | instskip(NEXT) | instid1(VALU_DEP_1)
	v_add_nc_u32_e32 v3, v1, v3
	v_lshrrev_b32_e32 v3, s30, v3
	s_delay_alu instid0(VALU_DEP_1) | instskip(SKIP_1) | instid1(VALU_DEP_1)
	v_mul_hi_u32 v5, s98, v3
	v_mul_lo_u32 v7, v3, s28
	v_dual_add_nc_u32 v5, v3, v5 :: v_dual_sub_nc_u32 v7, v1, v7
	s_delay_alu instid0(VALU_DEP_1) | instskip(NEXT) | instid1(VALU_DEP_2)
	v_lshrrev_b32_e32 v1, s99, v5
	v_mad_u32 v5, v7, s5, v12
	v_mad_u32 v2, v7, s4, v2
	;; [unrolled: 1-line block ×4, first 2 shown]
	v_mul_lo_u32 v9, v1, s31
	v_mad_u32 v4, s9, v7, v4
	v_mad_u32 v6, s8, v7, v6
	s_delay_alu instid0(VALU_DEP_3) | instskip(NEXT) | instid1(VALU_DEP_1)
	v_sub_nc_u32_e32 v3, v3, v9
	v_mad_u32 v12, v3, s11, v5
	v_mad_u32 v2, v3, s10, v2
	;; [unrolled: 1-line block ×6, first 2 shown]
	s_cbranch_scc0 .LBB87_2092
; %bb.2093:
	s_bitcmp1_b32 s74, 0
	s_cselect_b32 s0, -1, 0
	s_delay_alu instid0(SALU_CYCLE_1)
	s_and_b32 vcc_lo, exec_lo, s0
	s_cbranch_vccnz .LBB87_2095
; %bb.2094:
	s_load_b96 s[8:10], s[52:53], 0x4
	s_wait_kmcnt 0x0
	v_mul_hi_u32 v3, s9, v1
	s_delay_alu instid0(VALU_DEP_1) | instskip(NEXT) | instid1(VALU_DEP_1)
	v_add_nc_u32_e32 v3, v1, v3
	v_lshrrev_b32_e32 v3, s10, v3
	s_clause 0x1
	s_load_b128 s[4:7], s[50:51], 0xf4
	s_load_b64 s[10:11], s[50:51], 0x104
	s_delay_alu instid0(VALU_DEP_1) | instskip(NEXT) | instid1(VALU_DEP_1)
	v_mul_lo_u32 v3, v3, s8
	v_sub_nc_u32_e32 v1, v1, v3
	s_wait_kmcnt 0x0
	s_delay_alu instid0(VALU_DEP_1)
	v_mad_u32 v2, v1, s4, v2
	v_mad_u32 v12, v1, s5, v12
	;; [unrolled: 1-line block ×6, first 2 shown]
.LBB87_2095:
	s_mov_b64 s[30:31], s[14:15]
	s_mov_b32 s38, s76
	s_mov_b64 s[28:29], s[12:13]
	s_mov_b32 s39, s100
	s_branch .LBB87_2098
.LBB87_2096:
	s_mov_b32 s0, -1
                                        ; implicit-def: $vgpr12
                                        ; implicit-def: $vgpr2
                                        ; implicit-def: $vgpr8
                                        ; implicit-def: $vgpr10
                                        ; implicit-def: $vgpr4
                                        ; implicit-def: $vgpr6
	s_branch .LBB87_2099
.LBB87_2097:
	v_dual_mov_b32 v12, 0 :: v_dual_mov_b32 v2, 0
	s_wait_loadcnt 0x0
	v_dual_mov_b32 v8, 0 :: v_dual_mov_b32 v10, 0
	v_dual_mov_b32 v4, 0 :: v_dual_mov_b32 v6, 0
.LBB87_2098:
	s_mov_b32 s0, 0
.LBB87_2099:
	s_delay_alu instid0(SALU_CYCLE_1)
	s_and_not1_b32 vcc_lo, exec_lo, s0
	s_cbranch_vccnz .LBB87_2102
; %bb.2100:
	s_wait_loadcnt 0x0
	v_mov_b32_e32 v1, 0
	s_load_b256 s[4:11], s[2:3], 0xc4
	s_and_not1_b32 vcc_lo, exec_lo, s73
	s_delay_alu instid0(VALU_DEP_1) | instskip(NEXT) | instid1(VALU_DEP_1)
	v_mul_u64_e32 v[2:3], s[46:47], v[0:1]
	v_add_nc_u32_e32 v2, v0, v3
	s_delay_alu instid0(VALU_DEP_1) | instskip(NEXT) | instid1(VALU_DEP_1)
	v_lshrrev_b32_e32 v14, s42, v2
	v_mul_lo_u32 v2, v14, s40
	s_delay_alu instid0(VALU_DEP_1) | instskip(SKIP_1) | instid1(VALU_DEP_1)
	v_sub_nc_u32_e32 v0, v0, v2
	s_wait_kmcnt 0x0
	v_mul_lo_u32 v12, v0, s5
	v_mul_lo_u32 v2, v0, s4
	;; [unrolled: 1-line block ×6, first 2 shown]
	s_cbranch_vccnz .LBB87_2102
; %bb.2101:
	v_mov_b32_e32 v15, v1
	s_load_b128 s[4:7], s[2:3], 0xe4
	s_delay_alu instid0(VALU_DEP_1) | instskip(NEXT) | instid1(VALU_DEP_1)
	v_mul_u64_e32 v[0:1], s[48:49], v[14:15]
	v_add_nc_u32_e32 v0, v14, v1
	s_delay_alu instid0(VALU_DEP_1) | instskip(NEXT) | instid1(VALU_DEP_1)
	v_lshrrev_b32_e32 v0, s1, v0
	v_mul_lo_u32 v0, v0, s43
	s_delay_alu instid0(VALU_DEP_1) | instskip(NEXT) | instid1(VALU_DEP_1)
	v_sub_nc_u32_e32 v0, v14, v0
	v_mad_u32 v2, v0, s10, v2
	v_mad_u32 v12, v0, s11, v12
	s_wait_kmcnt 0x0
	v_mad_u32 v10, v0, s4, v10
	v_mad_u32 v8, v0, s5, v8
	v_mad_u32 v6, s6, v0, v6
	v_mad_u32 v4, s7, v0, v4
.LBB87_2102:
	s_load_b256 s[4:11], s[2:3], 0x248
	v_mov_b32_e32 v13, 0
	s_and_b32 s0, s72, 0xff
	s_delay_alu instid0(SALU_CYCLE_1) | instskip(SKIP_1) | instid1(VALU_DEP_1)
	s_cmp_lt_i32 s0, 11
	s_wait_kmcnt 0x0
	v_add_nc_u64_e32 v[12:13], s[6:7], v[12:13]
	s_cbranch_scc1 .LBB87_2109
; %bb.2103:
	s_and_b32 s6, 0xffff, s0
	s_mov_b32 s7, 0
	s_cmp_gt_i32 s6, 25
	s_cbranch_scc0 .LBB87_2110
; %bb.2104:
	s_cmp_gt_i32 s6, 28
	s_cbranch_scc0 .LBB87_2111
; %bb.2105:
	;; [unrolled: 3-line block ×4, first 2 shown]
	s_cmp_eq_u32 s6, 46
	s_mov_b32 s13, 0
	s_cbranch_scc0 .LBB87_2128
; %bb.2108:
	global_load_b32 v0, v[12:13], off
	s_mov_b32 s1, 0
	s_mov_b32 s12, -1
	s_wait_loadcnt 0x0
	v_lshlrev_b32_e32 v0, 16, v0
	s_delay_alu instid0(VALU_DEP_1)
	v_cvt_i32_f32_e32 v3, v0
	s_branch .LBB87_2130
.LBB87_2109:
	s_mov_b32 s6, -1
	s_mov_b32 s12, 0
	s_mov_b32 s7, 0
	;; [unrolled: 1-line block ×3, first 2 shown]
                                        ; implicit-def: $vgpr3
	s_branch .LBB87_2189
.LBB87_2110:
	s_mov_b32 s13, -1
	s_mov_b32 s12, 0
	s_mov_b32 s1, s35
                                        ; implicit-def: $vgpr3
	s_branch .LBB87_2157
.LBB87_2111:
	s_mov_b32 s13, -1
	s_mov_b32 s12, 0
	s_mov_b32 s1, s35
                                        ; implicit-def: $vgpr3
	s_branch .LBB87_2140
.LBB87_2112:
	s_mov_b32 s13, -1
	s_mov_b32 s12, 0
	s_mov_b32 s1, s35
                                        ; implicit-def: $vgpr3
	s_branch .LBB87_2135
.LBB87_2113:
	s_mov_b32 s52, -1
	s_mov_b32 s0, s94
	s_mov_b32 s35, exec_lo
	v_cmpx_gt_i32_e64 v6, v8
	s_cbranch_execz .LBB87_2120
; %bb.2114:
	s_delay_alu instid0(VALU_DEP_2) | instskip(SKIP_3) | instid1(VALU_DEP_1)
	v_lshlrev_b64_e32 v[4:5], 2, v[4:5]
	v_dual_ashrrev_i32 v9, 31, v8 :: v_dual_ashrrev_i32 v7, 31, v6
	s_mov_b32 s0, 0
	s_xor_b32 s51, s39, -1
                                        ; implicit-def: $sgpr50
                                        ; implicit-def: $sgpr53
                                        ; implicit-def: $sgpr52
	v_lshl_add_u64 v[8:9], v[8:9], 2, v[4:5]
	v_add_nc_u64_e32 v[10:11], s[20:21], v[4:5]
	s_delay_alu instid0(VALU_DEP_2) | instskip(NEXT) | instid1(VALU_DEP_2)
	v_add_nc_u64_e32 v[8:9], s[20:21], v[8:9]
	v_lshl_add_u64 v[6:7], v[6:7], 2, v[10:11]
	s_delay_alu instid0(VALU_DEP_2)
	v_add_nc_u64_e32 v[4:5], 4, v[8:9]
	s_branch .LBB87_2116
.LBB87_2115:                            ;   in Loop: Header=BB87_2116 Depth=1
	s_or_b32 exec_lo, exec_lo, s54
	s_delay_alu instid0(SALU_CYCLE_1) | instskip(NEXT) | instid1(SALU_CYCLE_1)
	s_and_b32 s4, exec_lo, s53
	s_or_b32 s0, s4, s0
	s_and_not1_b32 s4, s50, exec_lo
	s_and_b32 s5, s52, exec_lo
	s_delay_alu instid0(SALU_CYCLE_1)
	s_or_b32 s50, s4, s5
	s_and_not1_b32 exec_lo, exec_lo, s0
	s_cbranch_execz .LBB87_2119
.LBB87_2116:                            ; =>This Inner Loop Header: Depth=1
	s_or_b32 s52, s52, exec_lo
	s_or_b32 s53, s53, exec_lo
	s_mov_b32 s54, exec_lo
	s_delay_alu instid0(VALU_DEP_1)
	v_cmpx_lt_u64_e64 v[4:5], v[6:7]
	s_cbranch_execz .LBB87_2115
; %bb.2117:                             ;   in Loop: Header=BB87_2116 Depth=1
	global_load_b64 v[8:9], v[4:5], off offset:-4
	s_wait_xcnt 0x0
	v_add_nc_u64_e32 v[4:5], 4, v[4:5]
	s_and_not1_b32 s5, s53, exec_lo
	s_and_not1_b32 s52, s52, exec_lo
	s_wait_loadcnt 0x0
	v_cmp_ge_i32_e32 vcc_lo, v8, v9
	s_or_b32 s4, s51, vcc_lo
	s_delay_alu instid0(SALU_CYCLE_1) | instskip(NEXT) | instid1(SALU_CYCLE_1)
	s_and_b32 s4, s4, exec_lo
	s_or_b32 s53, s5, s4
	s_branch .LBB87_2115
.LBB87_2118:
	s_mov_b32 s13, -1
	s_mov_b32 s12, 0
	s_mov_b32 s1, s35
	s_branch .LBB87_2129
.LBB87_2119:
	s_or_b32 exec_lo, exec_lo, s0
	s_delay_alu instid0(SALU_CYCLE_1)
	s_or_b32 s0, s94, exec_lo
	s_or_not1_b32 s52, s50, exec_lo
.LBB87_2120:
	s_or_b32 exec_lo, exec_lo, s35
	s_mov_b32 s51, 0
	s_mov_b32 s50, s67
	s_and_saveexec_b32 s35, s52
	s_cbranch_execz .LBB87_3776
; %bb.2121:
	s_load_b256 s[4:11], s[2:3], 0x248
	v_mov_b32_e32 v3, 0
	s_and_b32 s51, s22, 0xff
	s_delay_alu instid0(SALU_CYCLE_1) | instskip(SKIP_1) | instid1(VALU_DEP_1)
	s_cmp_lt_i32 s51, 11
	s_wait_kmcnt 0x0
	v_add_nc_u64_e32 v[2:3], s[4:5], v[2:3]
	s_cbranch_scc1 .LBB87_3598
; %bb.2122:
	s_and_b32 s52, 0xffff, s51
	s_delay_alu instid0(SALU_CYCLE_1)
	s_cmp_gt_i32 s52, 25
	s_cbranch_scc0 .LBB87_3600
; %bb.2123:
	s_cmp_gt_i32 s52, 28
	s_cbranch_scc0 .LBB87_3602
; %bb.2124:
	;; [unrolled: 3-line block ×4, first 2 shown]
	s_mov_b32 s54, 0
	s_mov_b32 s50, -1
	s_cmp_eq_u32 s52, 46
	s_mov_b32 s53, 0
	s_cbranch_scc0 .LBB87_3694
; %bb.2127:
	v_mov_b32_e32 v1, 0
	s_mov_b32 s53, -1
	s_mov_b32 s50, 0
	global_store_b32 v[2:3], v1, off
	s_branch .LBB87_3694
.LBB87_2128:
	s_mov_b32 s1, -1
	s_mov_b32 s12, 0
.LBB87_2129:
                                        ; implicit-def: $vgpr3
.LBB87_2130:
	s_and_b32 vcc_lo, exec_lo, s13
	s_cbranch_vccz .LBB87_2134
; %bb.2131:
	s_cmp_eq_u32 s6, 44
	s_cbranch_scc0 .LBB87_2133
; %bb.2132:
	global_load_u8 v0, v[12:13], off
	s_mov_b32 s1, 0
	s_mov_b32 s12, -1
	s_wait_loadcnt 0x0
	v_lshlrev_b32_e32 v1, 23, v0
	v_cmp_ne_u32_e32 vcc_lo, 0, v0
	s_delay_alu instid0(VALU_DEP_2) | instskip(NEXT) | instid1(VALU_DEP_1)
	v_cvt_i32_f32_e32 v1, v1
	v_cndmask_b32_e32 v3, 0, v1, vcc_lo
	s_branch .LBB87_2134
.LBB87_2133:
	s_mov_b32 s1, -1
                                        ; implicit-def: $vgpr3
.LBB87_2134:
	s_mov_b32 s13, 0
.LBB87_2135:
	s_delay_alu instid0(SALU_CYCLE_1)
	s_and_b32 vcc_lo, exec_lo, s13
	s_cbranch_vccz .LBB87_2139
; %bb.2136:
	s_cmp_eq_u32 s6, 29
	s_cbranch_scc0 .LBB87_2138
; %bb.2137:
	s_wait_loadcnt 0x0
	global_load_b32 v3, v[12:13], off
	s_mov_b32 s1, 0
	s_mov_b32 s12, -1
	s_branch .LBB87_2139
.LBB87_2138:
	s_mov_b32 s1, -1
                                        ; implicit-def: $vgpr3
.LBB87_2139:
	s_mov_b32 s13, 0
.LBB87_2140:
	s_delay_alu instid0(SALU_CYCLE_1)
	s_and_b32 vcc_lo, exec_lo, s13
	s_cbranch_vccz .LBB87_2156
; %bb.2141:
	s_cmp_lt_i32 s6, 27
	s_cbranch_scc1 .LBB87_2144
; %bb.2142:
	s_cmp_gt_i32 s6, 27
	s_cbranch_scc0 .LBB87_2145
; %bb.2143:
	s_wait_loadcnt 0x0
	global_load_b32 v3, v[12:13], off
	s_mov_b32 s12, 0
	s_branch .LBB87_2146
.LBB87_2144:
	s_mov_b32 s12, -1
                                        ; implicit-def: $vgpr3
	s_branch .LBB87_2149
.LBB87_2145:
	s_mov_b32 s12, -1
                                        ; implicit-def: $vgpr3
.LBB87_2146:
	s_delay_alu instid0(SALU_CYCLE_1)
	s_and_not1_b32 vcc_lo, exec_lo, s12
	s_cbranch_vccnz .LBB87_2148
; %bb.2147:
	s_wait_loadcnt 0x0
	global_load_u16 v3, v[12:13], off
.LBB87_2148:
	s_mov_b32 s12, 0
.LBB87_2149:
	s_delay_alu instid0(SALU_CYCLE_1)
	s_and_not1_b32 vcc_lo, exec_lo, s12
	s_cbranch_vccnz .LBB87_2155
; %bb.2150:
	global_load_u8 v0, v[12:13], off
	s_mov_b32 s13, 0
	s_mov_b32 s4, exec_lo
	s_wait_loadcnt 0x0
	v_cmpx_lt_i16_e32 0x7f, v0
	s_xor_b32 s12, exec_lo, s4
	s_cbranch_execz .LBB87_2167
; %bb.2151:
	v_cmp_ne_u16_e32 vcc_lo, 0x80, v0
	s_and_b32 s13, vcc_lo, exec_lo
	s_and_not1_saveexec_b32 s12, s12
	s_cbranch_execnz .LBB87_2168
.LBB87_2152:
	s_or_b32 exec_lo, exec_lo, s12
	v_mov_b32_e32 v3, 0
	s_and_saveexec_b32 s12, s13
	s_cbranch_execz .LBB87_2154
.LBB87_2153:
	v_and_b32_e32 v1, 0xffff, v0
	s_delay_alu instid0(VALU_DEP_1) | instskip(SKIP_1) | instid1(VALU_DEP_2)
	v_dual_lshlrev_b32 v0, 24, v0 :: v_dual_bitop2_b32 v3, 7, v1 bitop3:0x40
	v_bfe_u32 v9, v1, 3, 4
	v_and_b32_e32 v0, 0x80000000, v0
	s_delay_alu instid0(VALU_DEP_3) | instskip(NEXT) | instid1(VALU_DEP_3)
	v_clz_i32_u32_e32 v5, v3
	v_cmp_eq_u32_e32 vcc_lo, 0, v9
	s_delay_alu instid0(VALU_DEP_2) | instskip(NEXT) | instid1(VALU_DEP_1)
	v_min_u32_e32 v5, 32, v5
	v_subrev_nc_u32_e32 v7, 28, v5
	v_sub_nc_u32_e32 v5, 29, v5
	s_delay_alu instid0(VALU_DEP_2) | instskip(NEXT) | instid1(VALU_DEP_2)
	v_lshlrev_b32_e32 v1, v7, v1
	v_cndmask_b32_e32 v5, v9, v5, vcc_lo
	s_delay_alu instid0(VALU_DEP_2) | instskip(NEXT) | instid1(VALU_DEP_1)
	v_and_b32_e32 v1, 7, v1
	v_cndmask_b32_e32 v1, v3, v1, vcc_lo
	s_delay_alu instid0(VALU_DEP_3) | instskip(NEXT) | instid1(VALU_DEP_2)
	v_lshl_add_u32 v3, v5, 23, 0x3b800000
	v_lshlrev_b32_e32 v1, 20, v1
	s_delay_alu instid0(VALU_DEP_1) | instskip(NEXT) | instid1(VALU_DEP_1)
	v_or3_b32 v0, v0, v3, v1
	v_cvt_i32_f32_e32 v3, v0
.LBB87_2154:
	s_or_b32 exec_lo, exec_lo, s12
.LBB87_2155:
	s_mov_b32 s12, -1
.LBB87_2156:
	s_mov_b32 s13, 0
.LBB87_2157:
	s_delay_alu instid0(SALU_CYCLE_1)
	s_and_b32 vcc_lo, exec_lo, s13
	s_cbranch_vccz .LBB87_2188
; %bb.2158:
	s_cmp_gt_i32 s6, 22
	s_cbranch_scc0 .LBB87_2166
; %bb.2159:
	s_cmp_lt_i32 s6, 24
	s_cbranch_scc1 .LBB87_2169
; %bb.2160:
	s_cmp_gt_i32 s6, 24
	s_cbranch_scc0 .LBB87_2170
; %bb.2161:
	global_load_u8 v0, v[12:13], off
	s_mov_b32 s12, 0
	s_mov_b32 s4, exec_lo
	s_wait_loadcnt 0x0
	v_cmpx_lt_i16_e32 0x7f, v0
	s_xor_b32 s7, exec_lo, s4
	s_cbranch_execz .LBB87_2182
; %bb.2162:
	v_cmp_ne_u16_e32 vcc_lo, 0x80, v0
	s_and_b32 s12, vcc_lo, exec_lo
	s_and_not1_saveexec_b32 s7, s7
	s_cbranch_execnz .LBB87_2183
.LBB87_2163:
	s_or_b32 exec_lo, exec_lo, s7
	v_mov_b32_e32 v3, 0
	s_and_saveexec_b32 s7, s12
	s_cbranch_execz .LBB87_2165
.LBB87_2164:
	v_and_b32_e32 v1, 0xffff, v0
	s_delay_alu instid0(VALU_DEP_1) | instskip(SKIP_1) | instid1(VALU_DEP_2)
	v_dual_lshlrev_b32 v0, 24, v0 :: v_dual_bitop2_b32 v3, 3, v1 bitop3:0x40
	v_bfe_u32 v9, v1, 2, 5
	v_and_b32_e32 v0, 0x80000000, v0
	s_delay_alu instid0(VALU_DEP_3) | instskip(NEXT) | instid1(VALU_DEP_3)
	v_clz_i32_u32_e32 v5, v3
	v_cmp_eq_u32_e32 vcc_lo, 0, v9
	s_delay_alu instid0(VALU_DEP_2) | instskip(NEXT) | instid1(VALU_DEP_1)
	v_min_u32_e32 v5, 32, v5
	v_subrev_nc_u32_e32 v7, 29, v5
	v_sub_nc_u32_e32 v5, 30, v5
	s_delay_alu instid0(VALU_DEP_2) | instskip(NEXT) | instid1(VALU_DEP_2)
	v_lshlrev_b32_e32 v1, v7, v1
	v_cndmask_b32_e32 v5, v9, v5, vcc_lo
	s_delay_alu instid0(VALU_DEP_2) | instskip(NEXT) | instid1(VALU_DEP_1)
	v_and_b32_e32 v1, 3, v1
	v_cndmask_b32_e32 v1, v3, v1, vcc_lo
	s_delay_alu instid0(VALU_DEP_3) | instskip(NEXT) | instid1(VALU_DEP_2)
	v_lshl_add_u32 v3, v5, 23, 0x37800000
	v_lshlrev_b32_e32 v1, 21, v1
	s_delay_alu instid0(VALU_DEP_1) | instskip(NEXT) | instid1(VALU_DEP_1)
	v_or3_b32 v0, v0, v3, v1
	v_cvt_i32_f32_e32 v3, v0
.LBB87_2165:
	s_or_b32 exec_lo, exec_lo, s7
	s_mov_b32 s7, 0
	s_branch .LBB87_2171
.LBB87_2166:
	s_mov_b32 s7, -1
                                        ; implicit-def: $vgpr3
	s_branch .LBB87_2177
.LBB87_2167:
	s_and_not1_saveexec_b32 s12, s12
	s_cbranch_execz .LBB87_2152
.LBB87_2168:
	v_cmp_ne_u16_e32 vcc_lo, 0, v0
	s_and_not1_b32 s4, s13, exec_lo
	s_and_b32 s5, vcc_lo, exec_lo
	s_delay_alu instid0(SALU_CYCLE_1)
	s_or_b32 s13, s4, s5
	s_or_b32 exec_lo, exec_lo, s12
	v_mov_b32_e32 v3, 0
	s_and_saveexec_b32 s12, s13
	s_cbranch_execnz .LBB87_2153
	s_branch .LBB87_2154
.LBB87_2169:
	s_mov_b32 s7, -1
                                        ; implicit-def: $vgpr3
	s_branch .LBB87_2174
.LBB87_2170:
	s_mov_b32 s7, -1
                                        ; implicit-def: $vgpr3
.LBB87_2171:
	s_delay_alu instid0(SALU_CYCLE_1)
	s_and_b32 vcc_lo, exec_lo, s7
	s_cbranch_vccz .LBB87_2173
; %bb.2172:
	global_load_u8 v0, v[12:13], off
	s_wait_loadcnt 0x0
	v_lshlrev_b32_e32 v0, 24, v0
	s_delay_alu instid0(VALU_DEP_1) | instskip(NEXT) | instid1(VALU_DEP_1)
	v_and_b32_e32 v1, 0x7f000000, v0
	v_clz_i32_u32_e32 v3, v1
	v_add_nc_u32_e32 v7, 0x1000000, v1
	v_cmp_ne_u32_e32 vcc_lo, 0, v1
	s_delay_alu instid0(VALU_DEP_3) | instskip(NEXT) | instid1(VALU_DEP_1)
	v_min_u32_e32 v3, 32, v3
	v_sub_nc_u32_e64 v3, v3, 4 clamp
	s_delay_alu instid0(VALU_DEP_1) | instskip(NEXT) | instid1(VALU_DEP_1)
	v_dual_lshlrev_b32 v5, v3, v1 :: v_dual_lshlrev_b32 v3, 23, v3
	v_lshrrev_b32_e32 v5, 4, v5
	s_delay_alu instid0(VALU_DEP_1) | instskip(SKIP_1) | instid1(VALU_DEP_2)
	v_sub_nc_u32_e32 v3, v5, v3
	v_ashrrev_i32_e32 v5, 8, v7
	v_add_nc_u32_e32 v3, 0x3c000000, v3
	s_delay_alu instid0(VALU_DEP_1) | instskip(NEXT) | instid1(VALU_DEP_1)
	v_and_or_b32 v3, 0x7f800000, v5, v3
	v_cndmask_b32_e32 v1, 0, v3, vcc_lo
	s_delay_alu instid0(VALU_DEP_1) | instskip(NEXT) | instid1(VALU_DEP_1)
	v_and_or_b32 v0, 0x80000000, v0, v1
	v_cvt_i32_f32_e32 v3, v0
.LBB87_2173:
	s_mov_b32 s7, 0
.LBB87_2174:
	s_delay_alu instid0(SALU_CYCLE_1)
	s_and_not1_b32 vcc_lo, exec_lo, s7
	s_cbranch_vccnz .LBB87_2176
; %bb.2175:
	global_load_u8 v0, v[12:13], off
	s_wait_loadcnt 0x0
	v_lshlrev_b32_e32 v1, 25, v0
	v_lshlrev_b16 v0, 8, v0
	s_delay_alu instid0(VALU_DEP_1) | instskip(SKIP_1) | instid1(VALU_DEP_2)
	v_and_or_b32 v5, 0x7f00, v0, 0.5
	v_bfe_i32 v0, v0, 0, 16
	v_add_f32_e32 v5, -0.5, v5
	v_lshrrev_b32_e32 v3, 4, v1
	v_cmp_gt_u32_e32 vcc_lo, 0x8000000, v1
	s_delay_alu instid0(VALU_DEP_2) | instskip(NEXT) | instid1(VALU_DEP_1)
	v_or_b32_e32 v3, 0x70000000, v3
	v_mul_f32_e32 v3, 0x7800000, v3
	s_delay_alu instid0(VALU_DEP_1) | instskip(NEXT) | instid1(VALU_DEP_1)
	v_cndmask_b32_e32 v1, v3, v5, vcc_lo
	v_and_or_b32 v0, 0x80000000, v0, v1
	s_delay_alu instid0(VALU_DEP_1)
	v_cvt_i32_f32_e32 v3, v0
.LBB87_2176:
	s_mov_b32 s7, 0
	s_mov_b32 s12, -1
.LBB87_2177:
	s_and_not1_b32 vcc_lo, exec_lo, s7
	s_mov_b32 s7, 0
	s_cbranch_vccnz .LBB87_2188
; %bb.2178:
	s_cmp_gt_i32 s6, 14
	s_cbranch_scc0 .LBB87_2181
; %bb.2179:
	s_cmp_eq_u32 s6, 15
	s_cbranch_scc0 .LBB87_2184
; %bb.2180:
	global_load_u16 v0, v[12:13], off
	s_mov_b32 s1, 0
	s_mov_b32 s12, -1
	s_wait_loadcnt 0x0
	v_lshlrev_b32_e32 v0, 16, v0
	s_delay_alu instid0(VALU_DEP_1)
	v_cvt_i32_f32_e32 v3, v0
	s_branch .LBB87_2186
.LBB87_2181:
	s_mov_b32 s7, -1
	s_branch .LBB87_2185
.LBB87_2182:
	s_and_not1_saveexec_b32 s7, s7
	s_cbranch_execz .LBB87_2163
.LBB87_2183:
	v_cmp_ne_u16_e32 vcc_lo, 0, v0
	s_and_not1_b32 s4, s12, exec_lo
	s_and_b32 s5, vcc_lo, exec_lo
	s_delay_alu instid0(SALU_CYCLE_1)
	s_or_b32 s12, s4, s5
	s_or_b32 exec_lo, exec_lo, s7
	v_mov_b32_e32 v3, 0
	s_and_saveexec_b32 s7, s12
	s_cbranch_execnz .LBB87_2164
	s_branch .LBB87_2165
.LBB87_2184:
	s_mov_b32 s1, -1
.LBB87_2185:
                                        ; implicit-def: $vgpr3
.LBB87_2186:
	s_and_b32 vcc_lo, exec_lo, s7
	s_mov_b32 s7, 0
	s_cbranch_vccz .LBB87_2188
; %bb.2187:
	s_cmp_lg_u32 s6, 11
	s_mov_b32 s7, -1
	s_cselect_b32 s4, -1, 0
	s_and_not1_b32 s1, s1, exec_lo
	s_and_b32 s4, s4, exec_lo
	s_delay_alu instid0(SALU_CYCLE_1)
	s_or_b32 s1, s1, s4
.LBB87_2188:
	s_mov_b32 s6, 0
.LBB87_2189:
	s_and_not1_b32 s4, s35, exec_lo
	s_and_b32 s1, s1, exec_lo
	s_and_b32 s52, s12, exec_lo
	;; [unrolled: 1-line block ×4, first 2 shown]
	s_or_b32 s53, s4, s1
.LBB87_2190:
	s_wait_xcnt 0x0
	s_or_b32 exec_lo, exec_lo, s75
	s_delay_alu instid0(SALU_CYCLE_1)
	s_and_not1_b32 s1, s35, exec_lo
	s_and_b32 s4, s53, exec_lo
	s_and_b32 s52, s52, exec_lo
	;; [unrolled: 1-line block ×4, first 2 shown]
	s_or_b32 s35, s1, s4
.LBB87_2191:
	s_or_b32 exec_lo, exec_lo, s97
	s_delay_alu instid0(SALU_CYCLE_1)
	s_and_not1_b32 s1, s67, exec_lo
	s_and_b32 s4, s93, exec_lo
	s_and_not1_b32 s5, s95, exec_lo
	s_or_b32 s67, s1, s4
	s_and_not1_b32 s1, s94, exec_lo
	s_and_b32 s4, s59, exec_lo
	s_and_b32 s6, vcc_hi, exec_lo
	s_or_b32 s94, s1, s4
	s_and_not1_b32 s1, s91, exec_lo
	s_and_b32 s4, s57, exec_lo
	s_or_b32 s95, s5, s6
	s_and_not1_b32 s5, s92, exec_lo
	s_and_b32 s6, s104, exec_lo
	;; [unrolled: 3-line block ×7, first 2 shown]
	s_or_b32 s88, s5, s6
	s_and_b32 s52, s52, exec_lo
	s_and_b32 s51, s51, exec_lo
	;; [unrolled: 1-line block ×3, first 2 shown]
	s_or_b32 s86, s1, s4
.LBB87_2192:
	s_or_b32 exec_lo, exec_lo, s96
	s_delay_alu instid0(SALU_CYCLE_1)
	s_and_not1_b32 s1, s60, exec_lo
	s_and_b32 s4, s67, exec_lo
	s_and_not1_b32 s5, s77, exec_lo
	s_or_b32 s60, s1, s4
	s_and_not1_b32 s1, s61, exec_lo
	s_and_b32 s4, s94, exec_lo
	s_and_b32 s6, s95, exec_lo
	s_or_b32 s61, s1, s4
	s_and_not1_b32 s1, s78, exec_lo
	s_and_b32 s4, s91, exec_lo
	s_or_b32 s77, s5, s6
	s_and_not1_b32 s5, s79, exec_lo
	;; [unrolled: 3-line block ×7, first 2 shown]
	s_and_b32 s4, s86, exec_lo
	s_or_b32 s83, s5, s6
	s_and_b32 s35, s52, exec_lo
	s_and_b32 s51, s51, exec_lo
	;; [unrolled: 1-line block ×3, first 2 shown]
	s_or_b32 s84, s1, s4
	s_or_b32 exec_lo, exec_lo, s85
	s_mov_b32 s1, 0
	s_and_saveexec_b32 s6, s84
	s_cbranch_execz .LBB87_661
.LBB87_2193:
	s_mov_b32 s1, exec_lo
	s_and_not1_b32 s47, s47, exec_lo
	s_trap 2
	s_or_b32 exec_lo, exec_lo, s6
	s_and_saveexec_b32 s4, s47
	s_delay_alu instid0(SALU_CYCLE_1)
	s_xor_b32 s6, exec_lo, s4
	s_cbranch_execnz .LBB87_662
.LBB87_2194:
	s_or_b32 exec_lo, exec_lo, s6
	s_and_saveexec_b32 s6, s51
	s_cbranch_execz .LBB87_2240
.LBB87_2195:
	s_sext_i32_i16 s7, s0
	s_delay_alu instid0(SALU_CYCLE_1)
	s_cmp_lt_i32 s7, 5
	s_cbranch_scc1 .LBB87_2200
; %bb.2196:
	s_cmp_lt_i32 s7, 8
	s_cbranch_scc1 .LBB87_2201
; %bb.2197:
	;; [unrolled: 3-line block ×3, first 2 shown]
	s_cmp_gt_i32 s7, 9
	s_cbranch_scc0 .LBB87_2203
; %bb.2199:
	s_wait_loadcnt 0x0
	global_load_b64 v[0:1], v[12:13], off
	s_mov_b32 s7, 0
	s_wait_loadcnt 0x0
	v_cvt_i32_f64_e32 v3, v[0:1]
	s_branch .LBB87_2204
.LBB87_2200:
                                        ; implicit-def: $vgpr3
	s_branch .LBB87_2221
.LBB87_2201:
                                        ; implicit-def: $vgpr3
	s_branch .LBB87_2210
.LBB87_2202:
	s_mov_b32 s7, -1
                                        ; implicit-def: $vgpr3
	s_branch .LBB87_2207
.LBB87_2203:
	s_mov_b32 s7, -1
                                        ; implicit-def: $vgpr3
.LBB87_2204:
	s_delay_alu instid0(SALU_CYCLE_1)
	s_and_not1_b32 vcc_lo, exec_lo, s7
	s_cbranch_vccnz .LBB87_2206
; %bb.2205:
	global_load_b32 v0, v[12:13], off
	s_wait_loadcnt 0x0
	v_cvt_i32_f32_e32 v3, v0
.LBB87_2206:
	s_mov_b32 s7, 0
.LBB87_2207:
	s_delay_alu instid0(SALU_CYCLE_1)
	s_and_not1_b32 vcc_lo, exec_lo, s7
	s_cbranch_vccnz .LBB87_2209
; %bb.2208:
	global_load_b32 v0, v[12:13], off
	s_wait_loadcnt 0x0
	v_cvt_f32_f16_e32 v0, v0
	s_delay_alu instid0(VALU_DEP_1)
	v_cvt_i32_f32_e32 v3, v0
.LBB87_2209:
	s_cbranch_execnz .LBB87_2220
.LBB87_2210:
	s_sext_i32_i16 s7, s0
	s_delay_alu instid0(SALU_CYCLE_1)
	s_cmp_lt_i32 s7, 6
	s_cbranch_scc1 .LBB87_2213
; %bb.2211:
	s_cmp_gt_i32 s7, 6
	s_cbranch_scc0 .LBB87_2214
; %bb.2212:
	s_wait_loadcnt 0x0
	global_load_b64 v[0:1], v[12:13], off
	s_mov_b32 s7, 0
	s_wait_loadcnt 0x0
	v_cvt_i32_f64_e32 v3, v[0:1]
	s_branch .LBB87_2215
.LBB87_2213:
	s_mov_b32 s7, -1
                                        ; implicit-def: $vgpr3
	s_branch .LBB87_2218
.LBB87_2214:
	s_mov_b32 s7, -1
                                        ; implicit-def: $vgpr3
.LBB87_2215:
	s_delay_alu instid0(SALU_CYCLE_1)
	s_and_not1_b32 vcc_lo, exec_lo, s7
	s_cbranch_vccnz .LBB87_2217
; %bb.2216:
	global_load_b32 v0, v[12:13], off
	s_wait_loadcnt 0x0
	v_cvt_i32_f32_e32 v3, v0
.LBB87_2217:
	s_mov_b32 s7, 0
.LBB87_2218:
	s_delay_alu instid0(SALU_CYCLE_1)
	s_and_not1_b32 vcc_lo, exec_lo, s7
	s_cbranch_vccnz .LBB87_2220
; %bb.2219:
	global_load_u16 v0, v[12:13], off
	s_wait_loadcnt 0x0
	v_cvt_f32_f16_e32 v0, v0
	s_delay_alu instid0(VALU_DEP_1)
	v_cvt_i32_f32_e32 v3, v0
.LBB87_2220:
	s_cbranch_execnz .LBB87_2239
.LBB87_2221:
	s_sext_i32_i16 s7, s0
	s_delay_alu instid0(SALU_CYCLE_1)
	s_cmp_lt_i32 s7, 2
	s_cbranch_scc1 .LBB87_2225
; %bb.2222:
	s_cmp_lt_i32 s7, 3
	s_cbranch_scc1 .LBB87_2226
; %bb.2223:
	s_cmp_gt_i32 s7, 3
	s_cbranch_scc0 .LBB87_2227
; %bb.2224:
	s_wait_loadcnt 0x0
	global_load_b32 v3, v[12:13], off
	s_mov_b32 s7, 0
	s_branch .LBB87_2228
.LBB87_2225:
                                        ; implicit-def: $vgpr3
	s_branch .LBB87_2234
.LBB87_2226:
	s_mov_b32 s7, -1
                                        ; implicit-def: $vgpr3
	s_branch .LBB87_2231
.LBB87_2227:
	s_mov_b32 s7, -1
                                        ; implicit-def: $vgpr3
.LBB87_2228:
	s_delay_alu instid0(SALU_CYCLE_1)
	s_and_not1_b32 vcc_lo, exec_lo, s7
	s_cbranch_vccnz .LBB87_2230
; %bb.2229:
	s_wait_loadcnt 0x0
	global_load_b32 v3, v[12:13], off
.LBB87_2230:
	s_mov_b32 s7, 0
.LBB87_2231:
	s_delay_alu instid0(SALU_CYCLE_1)
	s_and_not1_b32 vcc_lo, exec_lo, s7
	s_cbranch_vccnz .LBB87_2233
; %bb.2232:
	s_wait_loadcnt 0x0
	global_load_i16 v3, v[12:13], off
.LBB87_2233:
	s_cbranch_execnz .LBB87_2239
.LBB87_2234:
	s_sext_i32_i16 s0, s0
	s_delay_alu instid0(SALU_CYCLE_1)
	s_cmp_gt_i32 s0, 0
	s_mov_b32 s0, 0
	s_cbranch_scc0 .LBB87_2236
; %bb.2235:
	s_wait_loadcnt 0x0
	global_load_i8 v3, v[12:13], off
	s_branch .LBB87_2237
.LBB87_2236:
	s_mov_b32 s0, -1
                                        ; implicit-def: $vgpr3
.LBB87_2237:
	s_delay_alu instid0(SALU_CYCLE_1)
	s_and_not1_b32 vcc_lo, exec_lo, s0
	s_cbranch_vccnz .LBB87_2239
; %bb.2238:
	s_wait_loadcnt 0x0
	global_load_u8 v3, v[12:13], off
.LBB87_2239:
	s_or_b32 s35, s35, exec_lo
.LBB87_2240:
	s_wait_xcnt 0x0
	s_or_b32 exec_lo, exec_lo, s6
	s_mov_b32 s7, 0
	s_mov_b32 s13, 0
	;; [unrolled: 1-line block ×3, first 2 shown]
                                        ; implicit-def: $sgpr0
                                        ; implicit-def: $vgpr0_vgpr1
                                        ; implicit-def: $vgpr12
	s_and_saveexec_b32 s6, s35
	s_cbranch_execz .LBB87_2248
; %bb.2241:
	s_load_b256 s[8:15], s[2:3], 0x248
	v_mov_b32_e32 v11, 0
	s_and_b32 s0, s24, 0xff
	s_delay_alu instid0(SALU_CYCLE_1)
	s_cmp_lt_i32 s0, 11
	s_wait_loadcnt 0x0
	s_wait_kmcnt 0x0
	v_add_nc_u64_e32 v[0:1], s[12:13], v[10:11]
	s_cbranch_scc1 .LBB87_2251
; %bb.2242:
	s_and_b32 s8, 0xffff, s0
	s_mov_b32 s9, 0
	s_cmp_gt_i32 s8, 25
	s_cbranch_scc0 .LBB87_2252
; %bb.2243:
	s_cmp_gt_i32 s8, 28
	s_cbranch_scc0 .LBB87_2253
; %bb.2244:
	;; [unrolled: 3-line block ×4, first 2 shown]
	s_cmp_eq_u32 s8, 46
	s_mov_b32 s13, 0
	s_cbranch_scc0 .LBB87_2256
; %bb.2247:
	global_load_b32 v5, v[0:1], off
	s_mov_b32 s12, -1
	s_wait_loadcnt 0x0
	v_lshlrev_b32_e32 v5, 16, v5
	s_delay_alu instid0(VALU_DEP_1)
	v_cvt_i32_f32_e32 v12, v5
	s_branch .LBB87_2258
.LBB87_2248:
	s_or_b32 exec_lo, exec_lo, s6
	s_and_saveexec_b32 s6, s83
	s_cbranch_execnz .LBB87_2317
.LBB87_2249:
	s_or_b32 exec_lo, exec_lo, s6
	s_and_saveexec_b32 s4, s7
	s_delay_alu instid0(SALU_CYCLE_1)
	s_xor_b32 s6, exec_lo, s4
	s_cbranch_execz .LBB87_2318
.LBB87_2250:
	s_wait_loadcnt 0x0
	global_load_u8 v5, v[0:1], off
	s_or_b32 s12, s12, exec_lo
	s_wait_loadcnt 0x0
	v_cmp_ne_u16_e32 vcc_lo, 0, v5
	v_cndmask_b32_e64 v12, 0, 1, vcc_lo
	s_wait_xcnt 0x0
	s_or_b32 exec_lo, exec_lo, s6
	s_and_saveexec_b32 s6, s13
	s_cbranch_execz .LBB87_2364
	s_branch .LBB87_2319
.LBB87_2251:
	s_mov_b32 s8, -1
	s_mov_b32 s12, 0
	s_mov_b32 s9, 0
	;; [unrolled: 1-line block ×3, first 2 shown]
                                        ; implicit-def: $vgpr12
	s_branch .LBB87_2316
.LBB87_2252:
	s_mov_b32 s12, 0
	s_mov_b32 s7, s83
                                        ; implicit-def: $vgpr12
	s_cbranch_execnz .LBB87_2285
	s_branch .LBB87_2315
.LBB87_2253:
	s_mov_b32 s13, -1
	s_mov_b32 s12, 0
	s_mov_b32 s7, s83
                                        ; implicit-def: $vgpr12
	s_branch .LBB87_2268
.LBB87_2254:
	s_mov_b32 s13, -1
	s_mov_b32 s12, 0
	s_mov_b32 s7, s83
                                        ; implicit-def: $vgpr12
	s_branch .LBB87_2263
.LBB87_2255:
	s_mov_b32 s13, -1
	s_mov_b32 s12, 0
	s_mov_b32 s7, s83
	s_branch .LBB87_2257
.LBB87_2256:
	s_mov_b32 s7, -1
	s_mov_b32 s12, 0
.LBB87_2257:
                                        ; implicit-def: $vgpr12
.LBB87_2258:
	s_and_b32 vcc_lo, exec_lo, s13
	s_cbranch_vccz .LBB87_2262
; %bb.2259:
	s_cmp_eq_u32 s8, 44
	s_cbranch_scc0 .LBB87_2261
; %bb.2260:
	global_load_u8 v5, v[0:1], off
	s_mov_b32 s7, 0
	s_mov_b32 s12, -1
	s_wait_loadcnt 0x0
	v_lshlrev_b32_e32 v7, 23, v5
	v_cmp_ne_u32_e32 vcc_lo, 0, v5
	s_delay_alu instid0(VALU_DEP_2) | instskip(NEXT) | instid1(VALU_DEP_1)
	v_cvt_i32_f32_e32 v7, v7
	v_cndmask_b32_e32 v12, 0, v7, vcc_lo
	s_branch .LBB87_2262
.LBB87_2261:
	s_mov_b32 s7, -1
                                        ; implicit-def: $vgpr12
.LBB87_2262:
	s_mov_b32 s13, 0
.LBB87_2263:
	s_delay_alu instid0(SALU_CYCLE_1)
	s_and_b32 vcc_lo, exec_lo, s13
	s_cbranch_vccz .LBB87_2267
; %bb.2264:
	s_cmp_eq_u32 s8, 29
	s_cbranch_scc0 .LBB87_2266
; %bb.2265:
	global_load_b32 v12, v[0:1], off
	s_mov_b32 s7, 0
	s_mov_b32 s12, -1
	s_branch .LBB87_2267
.LBB87_2266:
	s_mov_b32 s7, -1
                                        ; implicit-def: $vgpr12
.LBB87_2267:
	s_mov_b32 s13, 0
.LBB87_2268:
	s_delay_alu instid0(SALU_CYCLE_1)
	s_and_b32 vcc_lo, exec_lo, s13
	s_cbranch_vccz .LBB87_2284
; %bb.2269:
	s_cmp_lt_i32 s8, 27
	s_cbranch_scc1 .LBB87_2272
; %bb.2270:
	s_cmp_gt_i32 s8, 27
	s_cbranch_scc0 .LBB87_2273
; %bb.2271:
	s_wait_loadcnt 0x0
	global_load_b32 v12, v[0:1], off
	s_mov_b32 s12, 0
	s_branch .LBB87_2274
.LBB87_2272:
	s_mov_b32 s12, -1
                                        ; implicit-def: $vgpr12
	s_branch .LBB87_2277
.LBB87_2273:
	s_mov_b32 s12, -1
                                        ; implicit-def: $vgpr12
.LBB87_2274:
	s_delay_alu instid0(SALU_CYCLE_1)
	s_and_not1_b32 vcc_lo, exec_lo, s12
	s_cbranch_vccnz .LBB87_2276
; %bb.2275:
	s_wait_loadcnt 0x0
	global_load_u16 v12, v[0:1], off
.LBB87_2276:
	s_mov_b32 s12, 0
.LBB87_2277:
	s_delay_alu instid0(SALU_CYCLE_1)
	s_and_not1_b32 vcc_lo, exec_lo, s12
	s_cbranch_vccnz .LBB87_2283
; %bb.2278:
	global_load_u8 v5, v[0:1], off
	s_mov_b32 s13, 0
	s_mov_b32 s4, exec_lo
	s_wait_loadcnt 0x0
	v_cmpx_lt_i16_e32 0x7f, v5
	s_xor_b32 s12, exec_lo, s4
	s_cbranch_execz .LBB87_2294
; %bb.2279:
	v_cmp_ne_u16_e32 vcc_lo, 0x80, v5
	s_and_b32 s13, vcc_lo, exec_lo
	s_and_not1_saveexec_b32 s12, s12
	s_cbranch_execnz .LBB87_2295
.LBB87_2280:
	s_or_b32 exec_lo, exec_lo, s12
	v_mov_b32_e32 v12, 0
	s_and_saveexec_b32 s12, s13
	s_cbranch_execz .LBB87_2282
.LBB87_2281:
	v_and_b32_e32 v7, 0xffff, v5
	s_delay_alu instid0(VALU_DEP_1) | instskip(SKIP_1) | instid1(VALU_DEP_2)
	v_and_b32_e32 v9, 7, v7
	v_bfe_u32 v12, v7, 3, 4
	v_clz_i32_u32_e32 v10, v9
	s_delay_alu instid0(VALU_DEP_2) | instskip(NEXT) | instid1(VALU_DEP_2)
	v_cmp_eq_u32_e32 vcc_lo, 0, v12
	v_min_u32_e32 v10, 32, v10
	s_delay_alu instid0(VALU_DEP_1) | instskip(NEXT) | instid1(VALU_DEP_1)
	v_subrev_nc_u32_e32 v11, 28, v10
	v_dual_lshlrev_b32 v7, v11, v7 :: v_dual_sub_nc_u32 v10, 29, v10
	s_delay_alu instid0(VALU_DEP_1) | instskip(NEXT) | instid1(VALU_DEP_1)
	v_dual_lshlrev_b32 v5, 24, v5 :: v_dual_bitop2_b32 v7, 7, v7 bitop3:0x40
	v_dual_cndmask_b32 v10, v12, v10 :: v_dual_cndmask_b32 v7, v9, v7
	s_delay_alu instid0(VALU_DEP_2) | instskip(NEXT) | instid1(VALU_DEP_2)
	v_and_b32_e32 v5, 0x80000000, v5
	v_lshl_add_u32 v9, v10, 23, 0x3b800000
	s_delay_alu instid0(VALU_DEP_3) | instskip(NEXT) | instid1(VALU_DEP_1)
	v_lshlrev_b32_e32 v7, 20, v7
	v_or3_b32 v5, v5, v9, v7
	s_delay_alu instid0(VALU_DEP_1)
	v_cvt_i32_f32_e32 v12, v5
.LBB87_2282:
	s_or_b32 exec_lo, exec_lo, s12
.LBB87_2283:
	s_mov_b32 s12, -1
.LBB87_2284:
	s_branch .LBB87_2315
.LBB87_2285:
	s_cmp_gt_i32 s8, 22
	s_cbranch_scc0 .LBB87_2293
; %bb.2286:
	s_cmp_lt_i32 s8, 24
	s_cbranch_scc1 .LBB87_2296
; %bb.2287:
	s_cmp_gt_i32 s8, 24
	s_cbranch_scc0 .LBB87_2297
; %bb.2288:
	global_load_u8 v5, v[0:1], off
	s_mov_b32 s12, 0
	s_mov_b32 s4, exec_lo
	s_wait_loadcnt 0x0
	v_cmpx_lt_i16_e32 0x7f, v5
	s_xor_b32 s9, exec_lo, s4
	s_cbranch_execz .LBB87_2309
; %bb.2289:
	v_cmp_ne_u16_e32 vcc_lo, 0x80, v5
	s_and_b32 s12, vcc_lo, exec_lo
	s_and_not1_saveexec_b32 s9, s9
	s_cbranch_execnz .LBB87_2310
.LBB87_2290:
	s_or_b32 exec_lo, exec_lo, s9
	v_mov_b32_e32 v12, 0
	s_and_saveexec_b32 s9, s12
	s_cbranch_execz .LBB87_2292
.LBB87_2291:
	v_and_b32_e32 v7, 0xffff, v5
	s_delay_alu instid0(VALU_DEP_1) | instskip(SKIP_1) | instid1(VALU_DEP_2)
	v_and_b32_e32 v9, 3, v7
	v_bfe_u32 v12, v7, 2, 5
	v_clz_i32_u32_e32 v10, v9
	s_delay_alu instid0(VALU_DEP_2) | instskip(NEXT) | instid1(VALU_DEP_2)
	v_cmp_eq_u32_e32 vcc_lo, 0, v12
	v_min_u32_e32 v10, 32, v10
	s_delay_alu instid0(VALU_DEP_1) | instskip(NEXT) | instid1(VALU_DEP_1)
	v_subrev_nc_u32_e32 v11, 29, v10
	v_dual_lshlrev_b32 v7, v11, v7 :: v_dual_sub_nc_u32 v10, 30, v10
	s_delay_alu instid0(VALU_DEP_1) | instskip(NEXT) | instid1(VALU_DEP_1)
	v_dual_lshlrev_b32 v5, 24, v5 :: v_dual_bitop2_b32 v7, 3, v7 bitop3:0x40
	v_dual_cndmask_b32 v10, v12, v10 :: v_dual_cndmask_b32 v7, v9, v7
	s_delay_alu instid0(VALU_DEP_2) | instskip(NEXT) | instid1(VALU_DEP_2)
	v_and_b32_e32 v5, 0x80000000, v5
	v_lshl_add_u32 v9, v10, 23, 0x37800000
	s_delay_alu instid0(VALU_DEP_3) | instskip(NEXT) | instid1(VALU_DEP_1)
	v_lshlrev_b32_e32 v7, 21, v7
	v_or3_b32 v5, v5, v9, v7
	s_delay_alu instid0(VALU_DEP_1)
	v_cvt_i32_f32_e32 v12, v5
.LBB87_2292:
	s_or_b32 exec_lo, exec_lo, s9
	s_mov_b32 s9, 0
	s_branch .LBB87_2298
.LBB87_2293:
	s_mov_b32 s9, -1
                                        ; implicit-def: $vgpr12
	s_branch .LBB87_2304
.LBB87_2294:
	s_and_not1_saveexec_b32 s12, s12
	s_cbranch_execz .LBB87_2280
.LBB87_2295:
	v_cmp_ne_u16_e32 vcc_lo, 0, v5
	s_and_not1_b32 s4, s13, exec_lo
	s_and_b32 s5, vcc_lo, exec_lo
	s_delay_alu instid0(SALU_CYCLE_1)
	s_or_b32 s13, s4, s5
	s_or_b32 exec_lo, exec_lo, s12
	v_mov_b32_e32 v12, 0
	s_and_saveexec_b32 s12, s13
	s_cbranch_execnz .LBB87_2281
	s_branch .LBB87_2282
.LBB87_2296:
	s_mov_b32 s9, -1
                                        ; implicit-def: $vgpr12
	s_branch .LBB87_2301
.LBB87_2297:
	s_mov_b32 s9, -1
                                        ; implicit-def: $vgpr12
.LBB87_2298:
	s_delay_alu instid0(SALU_CYCLE_1)
	s_and_b32 vcc_lo, exec_lo, s9
	s_cbranch_vccz .LBB87_2300
; %bb.2299:
	global_load_u8 v5, v[0:1], off
	s_wait_loadcnt 0x0
	v_lshlrev_b32_e32 v5, 24, v5
	s_delay_alu instid0(VALU_DEP_1) | instskip(NEXT) | instid1(VALU_DEP_1)
	v_and_b32_e32 v7, 0x7f000000, v5
	v_clz_i32_u32_e32 v9, v7
	v_add_nc_u32_e32 v11, 0x1000000, v7
	v_cmp_ne_u32_e32 vcc_lo, 0, v7
	s_delay_alu instid0(VALU_DEP_3) | instskip(NEXT) | instid1(VALU_DEP_1)
	v_min_u32_e32 v9, 32, v9
	v_sub_nc_u32_e64 v9, v9, 4 clamp
	s_delay_alu instid0(VALU_DEP_1) | instskip(NEXT) | instid1(VALU_DEP_1)
	v_dual_lshlrev_b32 v10, v9, v7 :: v_dual_lshlrev_b32 v9, 23, v9
	v_lshrrev_b32_e32 v10, 4, v10
	s_delay_alu instid0(VALU_DEP_1) | instskip(NEXT) | instid1(VALU_DEP_1)
	v_dual_sub_nc_u32 v9, v10, v9 :: v_dual_ashrrev_i32 v10, 8, v11
	v_add_nc_u32_e32 v9, 0x3c000000, v9
	s_delay_alu instid0(VALU_DEP_1) | instskip(NEXT) | instid1(VALU_DEP_1)
	v_and_or_b32 v9, 0x7f800000, v10, v9
	v_cndmask_b32_e32 v7, 0, v9, vcc_lo
	s_delay_alu instid0(VALU_DEP_1) | instskip(NEXT) | instid1(VALU_DEP_1)
	v_and_or_b32 v5, 0x80000000, v5, v7
	v_cvt_i32_f32_e32 v12, v5
.LBB87_2300:
	s_mov_b32 s9, 0
.LBB87_2301:
	s_delay_alu instid0(SALU_CYCLE_1)
	s_and_not1_b32 vcc_lo, exec_lo, s9
	s_cbranch_vccnz .LBB87_2303
; %bb.2302:
	global_load_u8 v5, v[0:1], off
	s_wait_loadcnt 0x0
	v_lshlrev_b32_e32 v7, 25, v5
	v_lshlrev_b16 v5, 8, v5
	s_delay_alu instid0(VALU_DEP_1) | instskip(SKIP_1) | instid1(VALU_DEP_2)
	v_and_or_b32 v10, 0x7f00, v5, 0.5
	v_bfe_i32 v5, v5, 0, 16
	v_dual_add_f32 v10, -0.5, v10 :: v_dual_lshrrev_b32 v9, 4, v7
	v_cmp_gt_u32_e32 vcc_lo, 0x8000000, v7
	s_delay_alu instid0(VALU_DEP_2) | instskip(NEXT) | instid1(VALU_DEP_1)
	v_or_b32_e32 v9, 0x70000000, v9
	v_mul_f32_e32 v9, 0x7800000, v9
	s_delay_alu instid0(VALU_DEP_1) | instskip(NEXT) | instid1(VALU_DEP_1)
	v_cndmask_b32_e32 v7, v9, v10, vcc_lo
	v_and_or_b32 v5, 0x80000000, v5, v7
	s_delay_alu instid0(VALU_DEP_1)
	v_cvt_i32_f32_e32 v12, v5
.LBB87_2303:
	s_mov_b32 s9, 0
	s_mov_b32 s12, -1
.LBB87_2304:
	s_and_not1_b32 vcc_lo, exec_lo, s9
	s_mov_b32 s9, 0
	s_cbranch_vccnz .LBB87_2315
; %bb.2305:
	s_cmp_gt_i32 s8, 14
	s_cbranch_scc0 .LBB87_2308
; %bb.2306:
	s_cmp_eq_u32 s8, 15
	s_cbranch_scc0 .LBB87_2311
; %bb.2307:
	global_load_u16 v5, v[0:1], off
	s_mov_b32 s7, 0
	s_mov_b32 s12, -1
	s_wait_loadcnt 0x0
	v_lshlrev_b32_e32 v5, 16, v5
	s_delay_alu instid0(VALU_DEP_1)
	v_cvt_i32_f32_e32 v12, v5
	s_branch .LBB87_2313
.LBB87_2308:
	s_mov_b32 s9, -1
	s_branch .LBB87_2312
.LBB87_2309:
	s_and_not1_saveexec_b32 s9, s9
	s_cbranch_execz .LBB87_2290
.LBB87_2310:
	v_cmp_ne_u16_e32 vcc_lo, 0, v5
	s_and_not1_b32 s4, s12, exec_lo
	s_and_b32 s5, vcc_lo, exec_lo
	s_delay_alu instid0(SALU_CYCLE_1)
	s_or_b32 s12, s4, s5
	s_or_b32 exec_lo, exec_lo, s9
	v_mov_b32_e32 v12, 0
	s_and_saveexec_b32 s9, s12
	s_cbranch_execnz .LBB87_2291
	s_branch .LBB87_2292
.LBB87_2311:
	s_mov_b32 s7, -1
.LBB87_2312:
                                        ; implicit-def: $vgpr12
.LBB87_2313:
	s_and_b32 vcc_lo, exec_lo, s9
	s_mov_b32 s9, 0
	s_cbranch_vccz .LBB87_2315
; %bb.2314:
	s_cmp_lg_u32 s8, 11
	s_mov_b32 s9, -1
	s_cselect_b32 s4, -1, 0
	s_and_not1_b32 s5, s7, exec_lo
	s_and_b32 s4, s4, exec_lo
	s_delay_alu instid0(SALU_CYCLE_1)
	s_or_b32 s7, s5, s4
.LBB87_2315:
	s_mov_b32 s8, 0
.LBB87_2316:
	s_and_not1_b32 s4, s83, exec_lo
	s_and_b32 s5, s7, exec_lo
	s_and_b32 s12, s12, exec_lo
	;; [unrolled: 1-line block ×4, first 2 shown]
	s_or_b32 s83, s4, s5
	s_wait_xcnt 0x0
	s_or_b32 exec_lo, exec_lo, s6
	s_and_saveexec_b32 s6, s83
	s_cbranch_execz .LBB87_2249
.LBB87_2317:
	s_or_b32 s1, s1, exec_lo
	s_and_not1_b32 s7, s7, exec_lo
	s_trap 2
	s_or_b32 exec_lo, exec_lo, s6
	s_and_saveexec_b32 s4, s7
	s_delay_alu instid0(SALU_CYCLE_1)
	s_xor_b32 s6, exec_lo, s4
	s_cbranch_execnz .LBB87_2250
.LBB87_2318:
	s_or_b32 exec_lo, exec_lo, s6
	s_and_saveexec_b32 s6, s13
	s_cbranch_execz .LBB87_2364
.LBB87_2319:
	s_sext_i32_i16 s7, s0
	s_delay_alu instid0(SALU_CYCLE_1)
	s_cmp_lt_i32 s7, 5
	s_cbranch_scc1 .LBB87_2324
; %bb.2320:
	s_cmp_lt_i32 s7, 8
	s_cbranch_scc1 .LBB87_2325
; %bb.2321:
	;; [unrolled: 3-line block ×3, first 2 shown]
	s_cmp_gt_i32 s7, 9
	s_cbranch_scc0 .LBB87_2327
; %bb.2323:
	s_wait_loadcnt 0x0
	global_load_b64 v[10:11], v[0:1], off
	s_mov_b32 s7, 0
	s_wait_loadcnt 0x0
	v_cvt_i32_f64_e32 v12, v[10:11]
	s_branch .LBB87_2328
.LBB87_2324:
                                        ; implicit-def: $vgpr12
	s_branch .LBB87_2345
.LBB87_2325:
                                        ; implicit-def: $vgpr12
	s_branch .LBB87_2334
.LBB87_2326:
	s_mov_b32 s7, -1
                                        ; implicit-def: $vgpr12
	s_branch .LBB87_2331
.LBB87_2327:
	s_mov_b32 s7, -1
                                        ; implicit-def: $vgpr12
.LBB87_2328:
	s_delay_alu instid0(SALU_CYCLE_1)
	s_and_not1_b32 vcc_lo, exec_lo, s7
	s_cbranch_vccnz .LBB87_2330
; %bb.2329:
	s_wait_loadcnt 0x0
	global_load_b32 v5, v[0:1], off
	s_wait_loadcnt 0x0
	v_cvt_i32_f32_e32 v12, v5
.LBB87_2330:
	s_mov_b32 s7, 0
.LBB87_2331:
	s_delay_alu instid0(SALU_CYCLE_1)
	s_and_not1_b32 vcc_lo, exec_lo, s7
	s_cbranch_vccnz .LBB87_2333
; %bb.2332:
	s_wait_loadcnt 0x0
	global_load_b32 v5, v[0:1], off
	s_wait_loadcnt 0x0
	v_cvt_f32_f16_e32 v5, v5
	s_delay_alu instid0(VALU_DEP_1)
	v_cvt_i32_f32_e32 v12, v5
.LBB87_2333:
	s_cbranch_execnz .LBB87_2344
.LBB87_2334:
	s_sext_i32_i16 s7, s0
	s_delay_alu instid0(SALU_CYCLE_1)
	s_cmp_lt_i32 s7, 6
	s_cbranch_scc1 .LBB87_2337
; %bb.2335:
	s_cmp_gt_i32 s7, 6
	s_cbranch_scc0 .LBB87_2338
; %bb.2336:
	s_wait_loadcnt 0x0
	global_load_b64 v[10:11], v[0:1], off
	s_mov_b32 s7, 0
	s_wait_loadcnt 0x0
	v_cvt_i32_f64_e32 v12, v[10:11]
	s_branch .LBB87_2339
.LBB87_2337:
	s_mov_b32 s7, -1
                                        ; implicit-def: $vgpr12
	s_branch .LBB87_2342
.LBB87_2338:
	s_mov_b32 s7, -1
                                        ; implicit-def: $vgpr12
.LBB87_2339:
	s_delay_alu instid0(SALU_CYCLE_1)
	s_and_not1_b32 vcc_lo, exec_lo, s7
	s_cbranch_vccnz .LBB87_2341
; %bb.2340:
	s_wait_loadcnt 0x0
	global_load_b32 v5, v[0:1], off
	s_wait_loadcnt 0x0
	v_cvt_i32_f32_e32 v12, v5
.LBB87_2341:
	s_mov_b32 s7, 0
.LBB87_2342:
	s_delay_alu instid0(SALU_CYCLE_1)
	s_and_not1_b32 vcc_lo, exec_lo, s7
	s_cbranch_vccnz .LBB87_2344
; %bb.2343:
	s_wait_loadcnt 0x0
	global_load_u16 v5, v[0:1], off
	s_wait_loadcnt 0x0
	v_cvt_f32_f16_e32 v5, v5
	s_delay_alu instid0(VALU_DEP_1)
	v_cvt_i32_f32_e32 v12, v5
.LBB87_2344:
	s_cbranch_execnz .LBB87_2363
.LBB87_2345:
	s_sext_i32_i16 s7, s0
	s_delay_alu instid0(SALU_CYCLE_1)
	s_cmp_lt_i32 s7, 2
	s_cbranch_scc1 .LBB87_2349
; %bb.2346:
	s_cmp_lt_i32 s7, 3
	s_cbranch_scc1 .LBB87_2350
; %bb.2347:
	s_cmp_gt_i32 s7, 3
	s_cbranch_scc0 .LBB87_2351
; %bb.2348:
	s_wait_loadcnt 0x0
	global_load_b32 v12, v[0:1], off
	s_mov_b32 s7, 0
	s_branch .LBB87_2352
.LBB87_2349:
                                        ; implicit-def: $vgpr12
	s_branch .LBB87_2358
.LBB87_2350:
	s_mov_b32 s7, -1
                                        ; implicit-def: $vgpr12
	s_branch .LBB87_2355
.LBB87_2351:
	s_mov_b32 s7, -1
                                        ; implicit-def: $vgpr12
.LBB87_2352:
	s_delay_alu instid0(SALU_CYCLE_1)
	s_and_not1_b32 vcc_lo, exec_lo, s7
	s_cbranch_vccnz .LBB87_2354
; %bb.2353:
	s_wait_loadcnt 0x0
	global_load_b32 v12, v[0:1], off
.LBB87_2354:
	s_mov_b32 s7, 0
.LBB87_2355:
	s_delay_alu instid0(SALU_CYCLE_1)
	s_and_not1_b32 vcc_lo, exec_lo, s7
	s_cbranch_vccnz .LBB87_2357
; %bb.2356:
	s_wait_loadcnt 0x0
	global_load_i16 v12, v[0:1], off
.LBB87_2357:
	s_cbranch_execnz .LBB87_2363
.LBB87_2358:
	s_sext_i32_i16 s0, s0
	s_delay_alu instid0(SALU_CYCLE_1)
	s_cmp_gt_i32 s0, 0
	s_mov_b32 s0, 0
	s_cbranch_scc0 .LBB87_2360
; %bb.2359:
	s_wait_loadcnt 0x0
	global_load_i8 v12, v[0:1], off
	s_branch .LBB87_2361
.LBB87_2360:
	s_mov_b32 s0, -1
                                        ; implicit-def: $vgpr12
.LBB87_2361:
	s_delay_alu instid0(SALU_CYCLE_1)
	s_and_not1_b32 vcc_lo, exec_lo, s0
	s_cbranch_vccnz .LBB87_2363
; %bb.2362:
	s_wait_loadcnt 0x0
	global_load_u8 v12, v[0:1], off
.LBB87_2363:
	s_or_b32 s12, s12, exec_lo
.LBB87_2364:
	s_wait_xcnt 0x0
	s_or_b32 exec_lo, exec_lo, s6
	s_mov_b32 s7, 0
	s_mov_b32 s13, 0
	;; [unrolled: 1-line block ×3, first 2 shown]
                                        ; implicit-def: $sgpr0
                                        ; implicit-def: $vgpr10_vgpr11
                                        ; implicit-def: $vgpr0
	s_and_saveexec_b32 s6, s12
	s_cbranch_execz .LBB87_2372
; %bb.2365:
	s_load_b256 s[8:15], s[2:3], 0x248
	v_mov_b32_e32 v9, 0
	s_and_b32 s0, s44, 0xff
	s_delay_alu instid0(SALU_CYCLE_1)
	s_cmp_lt_i32 s0, 11
	s_wait_loadcnt 0x0
	s_wait_kmcnt 0x0
	v_add_nc_u64_e32 v[10:11], s[14:15], v[8:9]
	s_cbranch_scc1 .LBB87_2375
; %bb.2366:
	s_and_b32 s8, 0xffff, s0
	s_mov_b32 s9, 0
	s_cmp_gt_i32 s8, 25
	s_cbranch_scc0 .LBB87_2376
; %bb.2367:
	s_cmp_gt_i32 s8, 28
	s_cbranch_scc0 .LBB87_2377
; %bb.2368:
	;; [unrolled: 3-line block ×4, first 2 shown]
	s_cmp_eq_u32 s8, 46
	s_mov_b32 s11, 0
	s_cbranch_scc0 .LBB87_2380
; %bb.2371:
	global_load_b32 v0, v[10:11], off
	s_mov_b32 s10, -1
	s_wait_loadcnt 0x0
	v_lshlrev_b32_e32 v0, 16, v0
	s_delay_alu instid0(VALU_DEP_1)
	v_cvt_i32_f32_e32 v0, v0
	s_branch .LBB87_2382
.LBB87_2372:
	s_or_b32 exec_lo, exec_lo, s6
	s_and_saveexec_b32 s6, s82
	s_cbranch_execnz .LBB87_2441
.LBB87_2373:
	s_or_b32 exec_lo, exec_lo, s6
	s_and_saveexec_b32 s4, s7
	s_delay_alu instid0(SALU_CYCLE_1)
	s_xor_b32 s6, exec_lo, s4
	s_cbranch_execz .LBB87_2442
.LBB87_2374:
	s_wait_loadcnt 0x0
	global_load_u8 v0, v[10:11], off
	s_or_b32 s8, s8, exec_lo
	s_wait_loadcnt 0x0
	v_cmp_ne_u16_e32 vcc_lo, 0, v0
	v_cndmask_b32_e64 v0, 0, 1, vcc_lo
	s_wait_xcnt 0x0
	s_or_b32 exec_lo, exec_lo, s6
	s_and_saveexec_b32 s6, s13
	s_cbranch_execz .LBB87_2488
	s_branch .LBB87_2443
.LBB87_2375:
	s_mov_b32 s11, -1
	s_mov_b32 s10, 0
	s_mov_b32 s9, 0
	;; [unrolled: 1-line block ×3, first 2 shown]
                                        ; implicit-def: $vgpr0
	s_branch .LBB87_2440
.LBB87_2376:
	s_mov_b32 s10, 0
	s_mov_b32 s7, s82
                                        ; implicit-def: $vgpr0
	s_cbranch_execnz .LBB87_2409
	s_branch .LBB87_2439
.LBB87_2377:
	s_mov_b32 s11, -1
	s_mov_b32 s10, 0
	s_mov_b32 s7, s82
                                        ; implicit-def: $vgpr0
	s_branch .LBB87_2392
.LBB87_2378:
	s_mov_b32 s11, -1
	s_mov_b32 s10, 0
	s_mov_b32 s7, s82
                                        ; implicit-def: $vgpr0
	s_branch .LBB87_2387
.LBB87_2379:
	s_mov_b32 s11, -1
	s_mov_b32 s10, 0
	s_mov_b32 s7, s82
	s_branch .LBB87_2381
.LBB87_2380:
	s_mov_b32 s7, -1
	s_mov_b32 s10, 0
.LBB87_2381:
                                        ; implicit-def: $vgpr0
.LBB87_2382:
	s_and_b32 vcc_lo, exec_lo, s11
	s_cbranch_vccz .LBB87_2386
; %bb.2383:
	s_cmp_eq_u32 s8, 44
	s_cbranch_scc0 .LBB87_2385
; %bb.2384:
	global_load_u8 v0, v[10:11], off
	s_mov_b32 s7, 0
	s_mov_b32 s10, -1
	s_wait_loadcnt 0x0
	v_lshlrev_b32_e32 v1, 23, v0
	v_cmp_ne_u32_e32 vcc_lo, 0, v0
	s_delay_alu instid0(VALU_DEP_2) | instskip(NEXT) | instid1(VALU_DEP_1)
	v_cvt_i32_f32_e32 v1, v1
	v_cndmask_b32_e32 v0, 0, v1, vcc_lo
	s_branch .LBB87_2386
.LBB87_2385:
	s_mov_b32 s7, -1
                                        ; implicit-def: $vgpr0
.LBB87_2386:
	s_mov_b32 s11, 0
.LBB87_2387:
	s_delay_alu instid0(SALU_CYCLE_1)
	s_and_b32 vcc_lo, exec_lo, s11
	s_cbranch_vccz .LBB87_2391
; %bb.2388:
	s_cmp_eq_u32 s8, 29
	s_cbranch_scc0 .LBB87_2390
; %bb.2389:
	global_load_b32 v0, v[10:11], off
	s_mov_b32 s7, 0
	s_mov_b32 s10, -1
	s_branch .LBB87_2391
.LBB87_2390:
	s_mov_b32 s7, -1
                                        ; implicit-def: $vgpr0
.LBB87_2391:
	s_mov_b32 s11, 0
.LBB87_2392:
	s_delay_alu instid0(SALU_CYCLE_1)
	s_and_b32 vcc_lo, exec_lo, s11
	s_cbranch_vccz .LBB87_2408
; %bb.2393:
	s_cmp_lt_i32 s8, 27
	s_cbranch_scc1 .LBB87_2396
; %bb.2394:
	s_cmp_gt_i32 s8, 27
	s_cbranch_scc0 .LBB87_2397
; %bb.2395:
	s_wait_loadcnt 0x0
	global_load_b32 v0, v[10:11], off
	s_mov_b32 s10, 0
	s_branch .LBB87_2398
.LBB87_2396:
	s_mov_b32 s10, -1
                                        ; implicit-def: $vgpr0
	s_branch .LBB87_2401
.LBB87_2397:
	s_mov_b32 s10, -1
                                        ; implicit-def: $vgpr0
.LBB87_2398:
	s_delay_alu instid0(SALU_CYCLE_1)
	s_and_not1_b32 vcc_lo, exec_lo, s10
	s_cbranch_vccnz .LBB87_2400
; %bb.2399:
	s_wait_loadcnt 0x0
	global_load_u16 v0, v[10:11], off
.LBB87_2400:
	s_mov_b32 s10, 0
.LBB87_2401:
	s_delay_alu instid0(SALU_CYCLE_1)
	s_and_not1_b32 vcc_lo, exec_lo, s10
	s_cbranch_vccnz .LBB87_2407
; %bb.2402:
	global_load_u8 v1, v[10:11], off
	s_mov_b32 s11, 0
	s_mov_b32 s4, exec_lo
	s_wait_loadcnt 0x0
	v_cmpx_lt_i16_e32 0x7f, v1
	s_xor_b32 s10, exec_lo, s4
	s_cbranch_execz .LBB87_2418
; %bb.2403:
	v_cmp_ne_u16_e32 vcc_lo, 0x80, v1
	s_and_b32 s11, vcc_lo, exec_lo
	s_and_not1_saveexec_b32 s10, s10
	s_cbranch_execnz .LBB87_2419
.LBB87_2404:
	s_or_b32 exec_lo, exec_lo, s10
	v_mov_b32_e32 v0, 0
	s_and_saveexec_b32 s10, s11
	s_cbranch_execz .LBB87_2406
.LBB87_2405:
	v_and_b32_e32 v0, 0xffff, v1
	s_delay_alu instid0(VALU_DEP_1) | instskip(SKIP_1) | instid1(VALU_DEP_2)
	v_and_b32_e32 v5, 7, v0
	v_bfe_u32 v9, v0, 3, 4
	v_clz_i32_u32_e32 v7, v5
	s_delay_alu instid0(VALU_DEP_2) | instskip(NEXT) | instid1(VALU_DEP_2)
	v_cmp_eq_u32_e32 vcc_lo, 0, v9
	v_min_u32_e32 v7, 32, v7
	s_delay_alu instid0(VALU_DEP_1) | instskip(NEXT) | instid1(VALU_DEP_1)
	v_subrev_nc_u32_e32 v8, 28, v7
	v_dual_lshlrev_b32 v0, v8, v0 :: v_dual_sub_nc_u32 v7, 29, v7
	s_delay_alu instid0(VALU_DEP_1) | instskip(NEXT) | instid1(VALU_DEP_2)
	v_dual_lshlrev_b32 v1, 24, v1 :: v_dual_bitop2_b32 v0, 7, v0 bitop3:0x40
	v_cndmask_b32_e32 v7, v9, v7, vcc_lo
	s_delay_alu instid0(VALU_DEP_2) | instskip(NEXT) | instid1(VALU_DEP_3)
	v_cndmask_b32_e32 v0, v5, v0, vcc_lo
	v_and_b32_e32 v1, 0x80000000, v1
	s_delay_alu instid0(VALU_DEP_3) | instskip(NEXT) | instid1(VALU_DEP_3)
	v_lshl_add_u32 v5, v7, 23, 0x3b800000
	v_lshlrev_b32_e32 v0, 20, v0
	s_delay_alu instid0(VALU_DEP_1) | instskip(NEXT) | instid1(VALU_DEP_1)
	v_or3_b32 v0, v1, v5, v0
	v_cvt_i32_f32_e32 v0, v0
.LBB87_2406:
	s_or_b32 exec_lo, exec_lo, s10
.LBB87_2407:
	s_mov_b32 s10, -1
.LBB87_2408:
	s_branch .LBB87_2439
.LBB87_2409:
	s_cmp_gt_i32 s8, 22
	s_cbranch_scc0 .LBB87_2417
; %bb.2410:
	s_cmp_lt_i32 s8, 24
	s_cbranch_scc1 .LBB87_2420
; %bb.2411:
	s_cmp_gt_i32 s8, 24
	s_cbranch_scc0 .LBB87_2421
; %bb.2412:
	global_load_u8 v1, v[10:11], off
	s_mov_b32 s10, 0
	s_mov_b32 s4, exec_lo
	s_wait_loadcnt 0x0
	v_cmpx_lt_i16_e32 0x7f, v1
	s_xor_b32 s9, exec_lo, s4
	s_cbranch_execz .LBB87_2433
; %bb.2413:
	v_cmp_ne_u16_e32 vcc_lo, 0x80, v1
	s_and_b32 s10, vcc_lo, exec_lo
	s_and_not1_saveexec_b32 s9, s9
	s_cbranch_execnz .LBB87_2434
.LBB87_2414:
	s_or_b32 exec_lo, exec_lo, s9
	v_mov_b32_e32 v0, 0
	s_and_saveexec_b32 s9, s10
	s_cbranch_execz .LBB87_2416
.LBB87_2415:
	v_and_b32_e32 v0, 0xffff, v1
	s_delay_alu instid0(VALU_DEP_1) | instskip(SKIP_1) | instid1(VALU_DEP_2)
	v_and_b32_e32 v5, 3, v0
	v_bfe_u32 v9, v0, 2, 5
	v_clz_i32_u32_e32 v7, v5
	s_delay_alu instid0(VALU_DEP_2) | instskip(NEXT) | instid1(VALU_DEP_2)
	v_cmp_eq_u32_e32 vcc_lo, 0, v9
	v_min_u32_e32 v7, 32, v7
	s_delay_alu instid0(VALU_DEP_1) | instskip(NEXT) | instid1(VALU_DEP_1)
	v_subrev_nc_u32_e32 v8, 29, v7
	v_dual_lshlrev_b32 v0, v8, v0 :: v_dual_sub_nc_u32 v7, 30, v7
	s_delay_alu instid0(VALU_DEP_1) | instskip(NEXT) | instid1(VALU_DEP_2)
	v_dual_lshlrev_b32 v1, 24, v1 :: v_dual_bitop2_b32 v0, 3, v0 bitop3:0x40
	v_cndmask_b32_e32 v7, v9, v7, vcc_lo
	s_delay_alu instid0(VALU_DEP_2) | instskip(NEXT) | instid1(VALU_DEP_3)
	v_cndmask_b32_e32 v0, v5, v0, vcc_lo
	v_and_b32_e32 v1, 0x80000000, v1
	s_delay_alu instid0(VALU_DEP_3) | instskip(NEXT) | instid1(VALU_DEP_3)
	v_lshl_add_u32 v5, v7, 23, 0x37800000
	v_lshlrev_b32_e32 v0, 21, v0
	s_delay_alu instid0(VALU_DEP_1) | instskip(NEXT) | instid1(VALU_DEP_1)
	v_or3_b32 v0, v1, v5, v0
	v_cvt_i32_f32_e32 v0, v0
.LBB87_2416:
	s_or_b32 exec_lo, exec_lo, s9
	s_mov_b32 s9, 0
	s_branch .LBB87_2422
.LBB87_2417:
	s_mov_b32 s9, -1
                                        ; implicit-def: $vgpr0
	s_branch .LBB87_2428
.LBB87_2418:
	s_and_not1_saveexec_b32 s10, s10
	s_cbranch_execz .LBB87_2404
.LBB87_2419:
	v_cmp_ne_u16_e32 vcc_lo, 0, v1
	s_and_not1_b32 s4, s11, exec_lo
	s_and_b32 s5, vcc_lo, exec_lo
	s_delay_alu instid0(SALU_CYCLE_1)
	s_or_b32 s11, s4, s5
	s_or_b32 exec_lo, exec_lo, s10
	v_mov_b32_e32 v0, 0
	s_and_saveexec_b32 s10, s11
	s_cbranch_execnz .LBB87_2405
	s_branch .LBB87_2406
.LBB87_2420:
	s_mov_b32 s9, -1
                                        ; implicit-def: $vgpr0
	s_branch .LBB87_2425
.LBB87_2421:
	s_mov_b32 s9, -1
                                        ; implicit-def: $vgpr0
.LBB87_2422:
	s_delay_alu instid0(SALU_CYCLE_1)
	s_and_b32 vcc_lo, exec_lo, s9
	s_cbranch_vccz .LBB87_2424
; %bb.2423:
	s_wait_loadcnt 0x0
	global_load_u8 v0, v[10:11], off
	s_wait_loadcnt 0x0
	v_lshlrev_b32_e32 v0, 24, v0
	s_delay_alu instid0(VALU_DEP_1) | instskip(NEXT) | instid1(VALU_DEP_1)
	v_and_b32_e32 v1, 0x7f000000, v0
	v_clz_i32_u32_e32 v5, v1
	v_add_nc_u32_e32 v8, 0x1000000, v1
	v_cmp_ne_u32_e32 vcc_lo, 0, v1
	s_delay_alu instid0(VALU_DEP_3) | instskip(NEXT) | instid1(VALU_DEP_1)
	v_min_u32_e32 v5, 32, v5
	v_sub_nc_u32_e64 v5, v5, 4 clamp
	s_delay_alu instid0(VALU_DEP_1) | instskip(NEXT) | instid1(VALU_DEP_1)
	v_lshlrev_b32_e32 v7, v5, v1
	v_dual_lshlrev_b32 v5, 23, v5 :: v_dual_lshrrev_b32 v7, 4, v7
	s_delay_alu instid0(VALU_DEP_1) | instskip(NEXT) | instid1(VALU_DEP_1)
	v_dual_sub_nc_u32 v5, v7, v5 :: v_dual_ashrrev_i32 v7, 8, v8
	v_add_nc_u32_e32 v5, 0x3c000000, v5
	s_delay_alu instid0(VALU_DEP_1) | instskip(NEXT) | instid1(VALU_DEP_1)
	v_and_or_b32 v5, 0x7f800000, v7, v5
	v_cndmask_b32_e32 v1, 0, v5, vcc_lo
	s_delay_alu instid0(VALU_DEP_1) | instskip(NEXT) | instid1(VALU_DEP_1)
	v_and_or_b32 v0, 0x80000000, v0, v1
	v_cvt_i32_f32_e32 v0, v0
.LBB87_2424:
	s_mov_b32 s9, 0
.LBB87_2425:
	s_delay_alu instid0(SALU_CYCLE_1)
	s_and_not1_b32 vcc_lo, exec_lo, s9
	s_cbranch_vccnz .LBB87_2427
; %bb.2426:
	s_wait_loadcnt 0x0
	global_load_u8 v0, v[10:11], off
	s_wait_loadcnt 0x0
	v_lshlrev_b32_e32 v1, 25, v0
	v_lshlrev_b16 v0, 8, v0
	s_delay_alu instid0(VALU_DEP_1) | instskip(SKIP_1) | instid1(VALU_DEP_2)
	v_and_or_b32 v7, 0x7f00, v0, 0.5
	v_bfe_i32 v0, v0, 0, 16
	v_dual_add_f32 v7, -0.5, v7 :: v_dual_lshrrev_b32 v5, 4, v1
	v_cmp_gt_u32_e32 vcc_lo, 0x8000000, v1
	s_delay_alu instid0(VALU_DEP_2) | instskip(NEXT) | instid1(VALU_DEP_1)
	v_or_b32_e32 v5, 0x70000000, v5
	v_mul_f32_e32 v5, 0x7800000, v5
	s_delay_alu instid0(VALU_DEP_1) | instskip(NEXT) | instid1(VALU_DEP_1)
	v_cndmask_b32_e32 v1, v5, v7, vcc_lo
	v_and_or_b32 v0, 0x80000000, v0, v1
	s_delay_alu instid0(VALU_DEP_1)
	v_cvt_i32_f32_e32 v0, v0
.LBB87_2427:
	s_mov_b32 s9, 0
	s_mov_b32 s10, -1
.LBB87_2428:
	s_and_not1_b32 vcc_lo, exec_lo, s9
	s_mov_b32 s9, 0
	s_cbranch_vccnz .LBB87_2439
; %bb.2429:
	s_cmp_gt_i32 s8, 14
	s_cbranch_scc0 .LBB87_2432
; %bb.2430:
	s_cmp_eq_u32 s8, 15
	s_cbranch_scc0 .LBB87_2435
; %bb.2431:
	s_wait_loadcnt 0x0
	global_load_u16 v0, v[10:11], off
	s_mov_b32 s7, 0
	s_mov_b32 s10, -1
	s_wait_loadcnt 0x0
	v_lshlrev_b32_e32 v0, 16, v0
	s_delay_alu instid0(VALU_DEP_1)
	v_cvt_i32_f32_e32 v0, v0
	s_branch .LBB87_2437
.LBB87_2432:
	s_mov_b32 s9, -1
	s_branch .LBB87_2436
.LBB87_2433:
	s_and_not1_saveexec_b32 s9, s9
	s_cbranch_execz .LBB87_2414
.LBB87_2434:
	v_cmp_ne_u16_e32 vcc_lo, 0, v1
	s_and_not1_b32 s4, s10, exec_lo
	s_and_b32 s5, vcc_lo, exec_lo
	s_delay_alu instid0(SALU_CYCLE_1)
	s_or_b32 s10, s4, s5
	s_or_b32 exec_lo, exec_lo, s9
	v_mov_b32_e32 v0, 0
	s_and_saveexec_b32 s9, s10
	s_cbranch_execnz .LBB87_2415
	s_branch .LBB87_2416
.LBB87_2435:
	s_mov_b32 s7, -1
.LBB87_2436:
                                        ; implicit-def: $vgpr0
.LBB87_2437:
	s_and_b32 vcc_lo, exec_lo, s9
	s_mov_b32 s9, 0
	s_cbranch_vccz .LBB87_2439
; %bb.2438:
	s_cmp_lg_u32 s8, 11
	s_mov_b32 s9, -1
	s_cselect_b32 s4, -1, 0
	s_and_not1_b32 s5, s7, exec_lo
	s_and_b32 s4, s4, exec_lo
	s_delay_alu instid0(SALU_CYCLE_1)
	s_or_b32 s7, s5, s4
.LBB87_2439:
	s_mov_b32 s11, 0
.LBB87_2440:
	s_and_not1_b32 s4, s82, exec_lo
	s_and_b32 s5, s7, exec_lo
	s_and_b32 s8, s10, exec_lo
	;; [unrolled: 1-line block ×4, first 2 shown]
	s_or_b32 s82, s4, s5
	s_wait_xcnt 0x0
	s_or_b32 exec_lo, exec_lo, s6
	s_and_saveexec_b32 s6, s82
	s_cbranch_execz .LBB87_2373
.LBB87_2441:
	s_or_b32 s1, s1, exec_lo
	s_and_not1_b32 s7, s7, exec_lo
	s_trap 2
	s_or_b32 exec_lo, exec_lo, s6
	s_and_saveexec_b32 s4, s7
	s_delay_alu instid0(SALU_CYCLE_1)
	s_xor_b32 s6, exec_lo, s4
	s_cbranch_execnz .LBB87_2374
.LBB87_2442:
	s_or_b32 exec_lo, exec_lo, s6
	s_and_saveexec_b32 s6, s13
	s_cbranch_execz .LBB87_2488
.LBB87_2443:
	s_sext_i32_i16 s7, s0
	s_delay_alu instid0(SALU_CYCLE_1)
	s_cmp_lt_i32 s7, 5
	s_cbranch_scc1 .LBB87_2448
; %bb.2444:
	s_cmp_lt_i32 s7, 8
	s_cbranch_scc1 .LBB87_2449
; %bb.2445:
	s_cmp_lt_i32 s7, 9
	s_cbranch_scc1 .LBB87_2450
; %bb.2446:
	s_cmp_gt_i32 s7, 9
	s_cbranch_scc0 .LBB87_2451
; %bb.2447:
	s_wait_loadcnt 0x0
	global_load_b64 v[0:1], v[10:11], off
	s_mov_b32 s7, 0
	s_wait_loadcnt 0x0
	v_cvt_i32_f64_e32 v0, v[0:1]
	s_branch .LBB87_2452
.LBB87_2448:
                                        ; implicit-def: $vgpr0
	s_branch .LBB87_2469
.LBB87_2449:
                                        ; implicit-def: $vgpr0
	s_branch .LBB87_2458
.LBB87_2450:
	s_mov_b32 s7, -1
                                        ; implicit-def: $vgpr0
	s_branch .LBB87_2455
.LBB87_2451:
	s_mov_b32 s7, -1
                                        ; implicit-def: $vgpr0
.LBB87_2452:
	s_delay_alu instid0(SALU_CYCLE_1)
	s_and_not1_b32 vcc_lo, exec_lo, s7
	s_cbranch_vccnz .LBB87_2454
; %bb.2453:
	s_wait_loadcnt 0x0
	global_load_b32 v0, v[10:11], off
	s_wait_loadcnt 0x0
	v_cvt_i32_f32_e32 v0, v0
.LBB87_2454:
	s_mov_b32 s7, 0
.LBB87_2455:
	s_delay_alu instid0(SALU_CYCLE_1)
	s_and_not1_b32 vcc_lo, exec_lo, s7
	s_cbranch_vccnz .LBB87_2457
; %bb.2456:
	s_wait_loadcnt 0x0
	global_load_b32 v0, v[10:11], off
	s_wait_loadcnt 0x0
	v_cvt_f32_f16_e32 v0, v0
	s_delay_alu instid0(VALU_DEP_1)
	v_cvt_i32_f32_e32 v0, v0
.LBB87_2457:
	s_cbranch_execnz .LBB87_2468
.LBB87_2458:
	s_sext_i32_i16 s7, s0
	s_delay_alu instid0(SALU_CYCLE_1)
	s_cmp_lt_i32 s7, 6
	s_cbranch_scc1 .LBB87_2461
; %bb.2459:
	s_cmp_gt_i32 s7, 6
	s_cbranch_scc0 .LBB87_2462
; %bb.2460:
	s_wait_loadcnt 0x0
	global_load_b64 v[0:1], v[10:11], off
	s_mov_b32 s7, 0
	s_wait_loadcnt 0x0
	v_cvt_i32_f64_e32 v0, v[0:1]
	s_branch .LBB87_2463
.LBB87_2461:
	s_mov_b32 s7, -1
                                        ; implicit-def: $vgpr0
	s_branch .LBB87_2466
.LBB87_2462:
	s_mov_b32 s7, -1
                                        ; implicit-def: $vgpr0
.LBB87_2463:
	s_delay_alu instid0(SALU_CYCLE_1)
	s_and_not1_b32 vcc_lo, exec_lo, s7
	s_cbranch_vccnz .LBB87_2465
; %bb.2464:
	s_wait_loadcnt 0x0
	global_load_b32 v0, v[10:11], off
	s_wait_loadcnt 0x0
	v_cvt_i32_f32_e32 v0, v0
.LBB87_2465:
	s_mov_b32 s7, 0
.LBB87_2466:
	s_delay_alu instid0(SALU_CYCLE_1)
	s_and_not1_b32 vcc_lo, exec_lo, s7
	s_cbranch_vccnz .LBB87_2468
; %bb.2467:
	s_wait_loadcnt 0x0
	global_load_u16 v0, v[10:11], off
	s_wait_loadcnt 0x0
	v_cvt_f32_f16_e32 v0, v0
	s_delay_alu instid0(VALU_DEP_1)
	v_cvt_i32_f32_e32 v0, v0
.LBB87_2468:
	s_cbranch_execnz .LBB87_2487
.LBB87_2469:
	s_sext_i32_i16 s7, s0
	s_delay_alu instid0(SALU_CYCLE_1)
	s_cmp_lt_i32 s7, 2
	s_cbranch_scc1 .LBB87_2473
; %bb.2470:
	s_cmp_lt_i32 s7, 3
	s_cbranch_scc1 .LBB87_2474
; %bb.2471:
	s_cmp_gt_i32 s7, 3
	s_cbranch_scc0 .LBB87_2475
; %bb.2472:
	s_wait_loadcnt 0x0
	global_load_b32 v0, v[10:11], off
	s_mov_b32 s7, 0
	s_branch .LBB87_2476
.LBB87_2473:
                                        ; implicit-def: $vgpr0
	s_branch .LBB87_2482
.LBB87_2474:
	s_mov_b32 s7, -1
                                        ; implicit-def: $vgpr0
	s_branch .LBB87_2479
.LBB87_2475:
	s_mov_b32 s7, -1
                                        ; implicit-def: $vgpr0
.LBB87_2476:
	s_delay_alu instid0(SALU_CYCLE_1)
	s_and_not1_b32 vcc_lo, exec_lo, s7
	s_cbranch_vccnz .LBB87_2478
; %bb.2477:
	s_wait_loadcnt 0x0
	global_load_b32 v0, v[10:11], off
.LBB87_2478:
	s_mov_b32 s7, 0
.LBB87_2479:
	s_delay_alu instid0(SALU_CYCLE_1)
	s_and_not1_b32 vcc_lo, exec_lo, s7
	s_cbranch_vccnz .LBB87_2481
; %bb.2480:
	s_wait_loadcnt 0x0
	global_load_i16 v0, v[10:11], off
.LBB87_2481:
	s_cbranch_execnz .LBB87_2487
.LBB87_2482:
	s_sext_i32_i16 s0, s0
	s_delay_alu instid0(SALU_CYCLE_1)
	s_cmp_gt_i32 s0, 0
	s_mov_b32 s0, 0
	s_cbranch_scc0 .LBB87_2484
; %bb.2483:
	s_wait_loadcnt 0x0
	global_load_i8 v0, v[10:11], off
	s_branch .LBB87_2485
.LBB87_2484:
	s_mov_b32 s0, -1
                                        ; implicit-def: $vgpr0
.LBB87_2485:
	s_delay_alu instid0(SALU_CYCLE_1)
	s_and_not1_b32 vcc_lo, exec_lo, s0
	s_cbranch_vccnz .LBB87_2487
; %bb.2486:
	s_wait_loadcnt 0x0
	global_load_u8 v0, v[10:11], off
.LBB87_2487:
	s_or_b32 s8, s8, exec_lo
.LBB87_2488:
	s_wait_xcnt 0x0
	s_or_b32 exec_lo, exec_lo, s6
	s_mov_b32 s7, 0
	s_mov_b32 s11, 0
	;; [unrolled: 1-line block ×3, first 2 shown]
                                        ; implicit-def: $sgpr0
                                        ; implicit-def: $vgpr10_vgpr11
                                        ; implicit-def: $vgpr8
	s_and_saveexec_b32 s6, s8
	s_cbranch_execz .LBB87_2496
; %bb.2489:
	v_mov_b32_e32 v7, 0
	s_and_b32 s0, s23, 0xff
	s_delay_alu instid0(SALU_CYCLE_1) | instskip(SKIP_1) | instid1(VALU_DEP_1)
	s_cmp_lt_i32 s0, 11
	s_wait_loadcnt 0x0
	v_add_nc_u64_e32 v[10:11], s[28:29], v[6:7]
	s_cbranch_scc1 .LBB87_2499
; %bb.2490:
	s_and_b32 s8, 0xffff, s0
	s_mov_b32 s10, 0
	s_cmp_gt_i32 s8, 25
	s_cbranch_scc0 .LBB87_2500
; %bb.2491:
	s_cmp_gt_i32 s8, 28
	s_cbranch_scc0 .LBB87_2501
; %bb.2492:
	;; [unrolled: 3-line block ×4, first 2 shown]
	s_cmp_eq_u32 s8, 46
	s_cbranch_scc0 .LBB87_2504
; %bb.2495:
	global_load_b32 v1, v[10:11], off
	s_mov_b32 s9, -1
	s_wait_loadcnt 0x0
	v_lshlrev_b32_e32 v1, 16, v1
	s_delay_alu instid0(VALU_DEP_1)
	v_cvt_i32_f32_e32 v8, v1
	s_branch .LBB87_2506
.LBB87_2496:
	s_or_b32 exec_lo, exec_lo, s6
	s_and_saveexec_b32 s6, s81
	s_cbranch_execnz .LBB87_2565
.LBB87_2497:
	s_or_b32 exec_lo, exec_lo, s6
	s_and_saveexec_b32 s4, s7
	s_delay_alu instid0(SALU_CYCLE_1)
	s_xor_b32 s6, exec_lo, s4
	s_cbranch_execz .LBB87_2566
.LBB87_2498:
	s_wait_loadcnt 0x0
	global_load_u8 v1, v[10:11], off
	s_or_b32 s9, s9, exec_lo
	s_wait_loadcnt 0x0
	v_cmp_ne_u16_e32 vcc_lo, 0, v1
	v_cndmask_b32_e64 v8, 0, 1, vcc_lo
	s_wait_xcnt 0x0
	s_or_b32 exec_lo, exec_lo, s6
	s_and_saveexec_b32 s6, s11
	s_cbranch_execz .LBB87_2612
	s_branch .LBB87_2567
.LBB87_2499:
	s_mov_b32 s8, -1
	s_mov_b32 s10, 0
	s_mov_b32 s7, s81
                                        ; implicit-def: $vgpr8
	s_branch .LBB87_2564
.LBB87_2500:
	s_mov_b32 s7, s81
                                        ; implicit-def: $vgpr8
	s_cbranch_execnz .LBB87_2533
	s_branch .LBB87_2563
.LBB87_2501:
	s_mov_b32 s11, -1
	s_mov_b32 s7, s81
                                        ; implicit-def: $vgpr8
	s_branch .LBB87_2516
.LBB87_2502:
	s_mov_b32 s11, -1
	s_mov_b32 s7, s81
                                        ; implicit-def: $vgpr8
	s_branch .LBB87_2511
.LBB87_2503:
	s_mov_b32 s11, -1
	s_mov_b32 s7, s81
	s_branch .LBB87_2505
.LBB87_2504:
	s_mov_b32 s7, -1
.LBB87_2505:
                                        ; implicit-def: $vgpr8
.LBB87_2506:
	s_and_b32 vcc_lo, exec_lo, s11
	s_cbranch_vccz .LBB87_2510
; %bb.2507:
	s_cmp_eq_u32 s8, 44
	s_cbranch_scc0 .LBB87_2509
; %bb.2508:
	global_load_u8 v1, v[10:11], off
	s_mov_b32 s7, 0
	s_mov_b32 s9, -1
	s_wait_loadcnt 0x0
	v_lshlrev_b32_e32 v5, 23, v1
	v_cmp_ne_u32_e32 vcc_lo, 0, v1
	s_delay_alu instid0(VALU_DEP_2) | instskip(NEXT) | instid1(VALU_DEP_1)
	v_cvt_i32_f32_e32 v5, v5
	v_cndmask_b32_e32 v8, 0, v5, vcc_lo
	s_branch .LBB87_2510
.LBB87_2509:
	s_mov_b32 s7, -1
                                        ; implicit-def: $vgpr8
.LBB87_2510:
	s_mov_b32 s11, 0
.LBB87_2511:
	s_delay_alu instid0(SALU_CYCLE_1)
	s_and_b32 vcc_lo, exec_lo, s11
	s_cbranch_vccz .LBB87_2515
; %bb.2512:
	s_cmp_eq_u32 s8, 29
	s_cbranch_scc0 .LBB87_2514
; %bb.2513:
	global_load_b32 v8, v[10:11], off
	s_mov_b32 s7, 0
	s_mov_b32 s9, -1
	s_branch .LBB87_2515
.LBB87_2514:
	s_mov_b32 s7, -1
                                        ; implicit-def: $vgpr8
.LBB87_2515:
	s_mov_b32 s11, 0
.LBB87_2516:
	s_delay_alu instid0(SALU_CYCLE_1)
	s_and_b32 vcc_lo, exec_lo, s11
	s_cbranch_vccz .LBB87_2532
; %bb.2517:
	s_cmp_lt_i32 s8, 27
	s_cbranch_scc1 .LBB87_2520
; %bb.2518:
	s_cmp_gt_i32 s8, 27
	s_cbranch_scc0 .LBB87_2521
; %bb.2519:
	s_wait_loadcnt 0x0
	global_load_b32 v8, v[10:11], off
	s_mov_b32 s9, 0
	s_branch .LBB87_2522
.LBB87_2520:
	s_mov_b32 s9, -1
                                        ; implicit-def: $vgpr8
	s_branch .LBB87_2525
.LBB87_2521:
	s_mov_b32 s9, -1
                                        ; implicit-def: $vgpr8
.LBB87_2522:
	s_delay_alu instid0(SALU_CYCLE_1)
	s_and_not1_b32 vcc_lo, exec_lo, s9
	s_cbranch_vccnz .LBB87_2524
; %bb.2523:
	s_wait_loadcnt 0x0
	global_load_u16 v8, v[10:11], off
.LBB87_2524:
	s_mov_b32 s9, 0
.LBB87_2525:
	s_delay_alu instid0(SALU_CYCLE_1)
	s_and_not1_b32 vcc_lo, exec_lo, s9
	s_cbranch_vccnz .LBB87_2531
; %bb.2526:
	global_load_u8 v1, v[10:11], off
	s_mov_b32 s11, 0
	s_mov_b32 s4, exec_lo
	s_wait_loadcnt 0x0
	v_cmpx_lt_i16_e32 0x7f, v1
	s_xor_b32 s9, exec_lo, s4
	s_cbranch_execz .LBB87_2542
; %bb.2527:
	v_cmp_ne_u16_e32 vcc_lo, 0x80, v1
	s_and_b32 s11, vcc_lo, exec_lo
	s_and_not1_saveexec_b32 s9, s9
	s_cbranch_execnz .LBB87_2543
.LBB87_2528:
	s_or_b32 exec_lo, exec_lo, s9
	v_mov_b32_e32 v8, 0
	s_and_saveexec_b32 s9, s11
	s_cbranch_execz .LBB87_2530
.LBB87_2529:
	v_and_b32_e32 v5, 0xffff, v1
	s_delay_alu instid0(VALU_DEP_1) | instskip(SKIP_1) | instid1(VALU_DEP_2)
	v_and_b32_e32 v6, 7, v5
	v_bfe_u32 v9, v5, 3, 4
	v_clz_i32_u32_e32 v7, v6
	s_delay_alu instid0(VALU_DEP_2) | instskip(NEXT) | instid1(VALU_DEP_2)
	v_cmp_eq_u32_e32 vcc_lo, 0, v9
	v_min_u32_e32 v7, 32, v7
	s_delay_alu instid0(VALU_DEP_1) | instskip(NEXT) | instid1(VALU_DEP_1)
	v_subrev_nc_u32_e32 v8, 28, v7
	v_dual_lshlrev_b32 v5, v8, v5 :: v_dual_sub_nc_u32 v7, 29, v7
	s_delay_alu instid0(VALU_DEP_1) | instskip(NEXT) | instid1(VALU_DEP_2)
	v_and_b32_e32 v5, 7, v5
	v_dual_lshlrev_b32 v1, 24, v1 :: v_dual_cndmask_b32 v7, v9, v7, vcc_lo
	s_delay_alu instid0(VALU_DEP_2) | instskip(NEXT) | instid1(VALU_DEP_2)
	v_cndmask_b32_e32 v5, v6, v5, vcc_lo
	v_and_b32_e32 v1, 0x80000000, v1
	s_delay_alu instid0(VALU_DEP_3) | instskip(NEXT) | instid1(VALU_DEP_3)
	v_lshl_add_u32 v6, v7, 23, 0x3b800000
	v_lshlrev_b32_e32 v5, 20, v5
	s_delay_alu instid0(VALU_DEP_1) | instskip(NEXT) | instid1(VALU_DEP_1)
	v_or3_b32 v1, v1, v6, v5
	v_cvt_i32_f32_e32 v8, v1
.LBB87_2530:
	s_or_b32 exec_lo, exec_lo, s9
.LBB87_2531:
	s_mov_b32 s9, -1
.LBB87_2532:
	s_branch .LBB87_2563
.LBB87_2533:
	s_cmp_gt_i32 s8, 22
	s_cbranch_scc0 .LBB87_2541
; %bb.2534:
	s_cmp_lt_i32 s8, 24
	s_cbranch_scc1 .LBB87_2544
; %bb.2535:
	s_cmp_gt_i32 s8, 24
	s_cbranch_scc0 .LBB87_2545
; %bb.2536:
	global_load_u8 v1, v[10:11], off
	s_mov_b32 s4, exec_lo
	s_wait_loadcnt 0x0
	v_cmpx_lt_i16_e32 0x7f, v1
	s_xor_b32 s9, exec_lo, s4
	s_cbranch_execz .LBB87_2557
; %bb.2537:
	v_cmp_ne_u16_e32 vcc_lo, 0x80, v1
	s_and_b32 s10, vcc_lo, exec_lo
	s_and_not1_saveexec_b32 s9, s9
	s_cbranch_execnz .LBB87_2558
.LBB87_2538:
	s_or_b32 exec_lo, exec_lo, s9
	v_mov_b32_e32 v8, 0
	s_and_saveexec_b32 s9, s10
	s_cbranch_execz .LBB87_2540
.LBB87_2539:
	v_and_b32_e32 v5, 0xffff, v1
	s_delay_alu instid0(VALU_DEP_1) | instskip(SKIP_1) | instid1(VALU_DEP_2)
	v_and_b32_e32 v6, 3, v5
	v_bfe_u32 v9, v5, 2, 5
	v_clz_i32_u32_e32 v7, v6
	s_delay_alu instid0(VALU_DEP_2) | instskip(NEXT) | instid1(VALU_DEP_2)
	v_cmp_eq_u32_e32 vcc_lo, 0, v9
	v_min_u32_e32 v7, 32, v7
	s_delay_alu instid0(VALU_DEP_1) | instskip(NEXT) | instid1(VALU_DEP_1)
	v_subrev_nc_u32_e32 v8, 29, v7
	v_dual_lshlrev_b32 v5, v8, v5 :: v_dual_sub_nc_u32 v7, 30, v7
	s_delay_alu instid0(VALU_DEP_1) | instskip(NEXT) | instid1(VALU_DEP_2)
	v_and_b32_e32 v5, 3, v5
	v_dual_lshlrev_b32 v1, 24, v1 :: v_dual_cndmask_b32 v7, v9, v7, vcc_lo
	s_delay_alu instid0(VALU_DEP_2) | instskip(NEXT) | instid1(VALU_DEP_2)
	v_cndmask_b32_e32 v5, v6, v5, vcc_lo
	v_and_b32_e32 v1, 0x80000000, v1
	s_delay_alu instid0(VALU_DEP_3) | instskip(NEXT) | instid1(VALU_DEP_3)
	v_lshl_add_u32 v6, v7, 23, 0x37800000
	v_lshlrev_b32_e32 v5, 21, v5
	s_delay_alu instid0(VALU_DEP_1) | instskip(NEXT) | instid1(VALU_DEP_1)
	v_or3_b32 v1, v1, v6, v5
	v_cvt_i32_f32_e32 v8, v1
.LBB87_2540:
	s_or_b32 exec_lo, exec_lo, s9
	s_mov_b32 s9, 0
	s_branch .LBB87_2546
.LBB87_2541:
	s_mov_b32 s10, -1
                                        ; implicit-def: $vgpr8
	s_branch .LBB87_2552
.LBB87_2542:
	s_and_not1_saveexec_b32 s9, s9
	s_cbranch_execz .LBB87_2528
.LBB87_2543:
	v_cmp_ne_u16_e32 vcc_lo, 0, v1
	s_and_not1_b32 s4, s11, exec_lo
	s_and_b32 s5, vcc_lo, exec_lo
	s_delay_alu instid0(SALU_CYCLE_1)
	s_or_b32 s11, s4, s5
	s_or_b32 exec_lo, exec_lo, s9
	v_mov_b32_e32 v8, 0
	s_and_saveexec_b32 s9, s11
	s_cbranch_execnz .LBB87_2529
	s_branch .LBB87_2530
.LBB87_2544:
	s_mov_b32 s9, -1
                                        ; implicit-def: $vgpr8
	s_branch .LBB87_2549
.LBB87_2545:
	s_mov_b32 s9, -1
                                        ; implicit-def: $vgpr8
.LBB87_2546:
	s_delay_alu instid0(SALU_CYCLE_1)
	s_and_b32 vcc_lo, exec_lo, s9
	s_cbranch_vccz .LBB87_2548
; %bb.2547:
	global_load_u8 v1, v[10:11], off
	s_wait_loadcnt 0x0
	v_lshlrev_b32_e32 v1, 24, v1
	s_delay_alu instid0(VALU_DEP_1) | instskip(NEXT) | instid1(VALU_DEP_1)
	v_and_b32_e32 v5, 0x7f000000, v1
	v_clz_i32_u32_e32 v6, v5
	v_cmp_ne_u32_e32 vcc_lo, 0, v5
	v_add_nc_u32_e32 v8, 0x1000000, v5
	s_delay_alu instid0(VALU_DEP_3) | instskip(NEXT) | instid1(VALU_DEP_1)
	v_min_u32_e32 v6, 32, v6
	v_sub_nc_u32_e64 v6, v6, 4 clamp
	s_delay_alu instid0(VALU_DEP_1) | instskip(NEXT) | instid1(VALU_DEP_1)
	v_dual_lshlrev_b32 v7, v6, v5 :: v_dual_lshlrev_b32 v6, 23, v6
	v_lshrrev_b32_e32 v7, 4, v7
	s_delay_alu instid0(VALU_DEP_1) | instskip(NEXT) | instid1(VALU_DEP_1)
	v_dual_sub_nc_u32 v6, v7, v6 :: v_dual_ashrrev_i32 v7, 8, v8
	v_add_nc_u32_e32 v6, 0x3c000000, v6
	s_delay_alu instid0(VALU_DEP_1) | instskip(NEXT) | instid1(VALU_DEP_1)
	v_and_or_b32 v6, 0x7f800000, v7, v6
	v_cndmask_b32_e32 v5, 0, v6, vcc_lo
	s_delay_alu instid0(VALU_DEP_1) | instskip(NEXT) | instid1(VALU_DEP_1)
	v_and_or_b32 v1, 0x80000000, v1, v5
	v_cvt_i32_f32_e32 v8, v1
.LBB87_2548:
	s_mov_b32 s9, 0
.LBB87_2549:
	s_delay_alu instid0(SALU_CYCLE_1)
	s_and_not1_b32 vcc_lo, exec_lo, s9
	s_cbranch_vccnz .LBB87_2551
; %bb.2550:
	global_load_u8 v1, v[10:11], off
	s_wait_loadcnt 0x0
	v_lshlrev_b32_e32 v5, 25, v1
	v_lshlrev_b16 v1, 8, v1
	s_delay_alu instid0(VALU_DEP_1) | instskip(SKIP_1) | instid1(VALU_DEP_2)
	v_and_or_b32 v7, 0x7f00, v1, 0.5
	v_bfe_i32 v1, v1, 0, 16
	v_dual_add_f32 v7, -0.5, v7 :: v_dual_lshrrev_b32 v6, 4, v5
	v_cmp_gt_u32_e32 vcc_lo, 0x8000000, v5
	s_delay_alu instid0(VALU_DEP_2) | instskip(NEXT) | instid1(VALU_DEP_1)
	v_or_b32_e32 v6, 0x70000000, v6
	v_mul_f32_e32 v6, 0x7800000, v6
	s_delay_alu instid0(VALU_DEP_1) | instskip(NEXT) | instid1(VALU_DEP_1)
	v_cndmask_b32_e32 v5, v6, v7, vcc_lo
	v_and_or_b32 v1, 0x80000000, v1, v5
	s_delay_alu instid0(VALU_DEP_1)
	v_cvt_i32_f32_e32 v8, v1
.LBB87_2551:
	s_mov_b32 s10, 0
	s_mov_b32 s9, -1
.LBB87_2552:
	s_and_not1_b32 vcc_lo, exec_lo, s10
	s_mov_b32 s10, 0
	s_cbranch_vccnz .LBB87_2563
; %bb.2553:
	s_cmp_gt_i32 s8, 14
	s_cbranch_scc0 .LBB87_2556
; %bb.2554:
	s_cmp_eq_u32 s8, 15
	s_cbranch_scc0 .LBB87_2559
; %bb.2555:
	global_load_u16 v1, v[10:11], off
	s_mov_b32 s7, 0
	s_mov_b32 s9, -1
	s_wait_loadcnt 0x0
	v_lshlrev_b32_e32 v1, 16, v1
	s_delay_alu instid0(VALU_DEP_1)
	v_cvt_i32_f32_e32 v8, v1
	s_branch .LBB87_2561
.LBB87_2556:
	s_mov_b32 s10, -1
	s_branch .LBB87_2560
.LBB87_2557:
	s_and_not1_saveexec_b32 s9, s9
	s_cbranch_execz .LBB87_2538
.LBB87_2558:
	v_cmp_ne_u16_e32 vcc_lo, 0, v1
	s_and_not1_b32 s4, s10, exec_lo
	s_and_b32 s5, vcc_lo, exec_lo
	s_delay_alu instid0(SALU_CYCLE_1)
	s_or_b32 s10, s4, s5
	s_or_b32 exec_lo, exec_lo, s9
	v_mov_b32_e32 v8, 0
	s_and_saveexec_b32 s9, s10
	s_cbranch_execnz .LBB87_2539
	s_branch .LBB87_2540
.LBB87_2559:
	s_mov_b32 s7, -1
.LBB87_2560:
                                        ; implicit-def: $vgpr8
.LBB87_2561:
	s_and_b32 vcc_lo, exec_lo, s10
	s_mov_b32 s10, 0
	s_cbranch_vccz .LBB87_2563
; %bb.2562:
	s_cmp_lg_u32 s8, 11
	s_mov_b32 s10, -1
	s_cselect_b32 s4, -1, 0
	s_and_not1_b32 s5, s7, exec_lo
	s_and_b32 s4, s4, exec_lo
	s_delay_alu instid0(SALU_CYCLE_1)
	s_or_b32 s7, s5, s4
.LBB87_2563:
	s_mov_b32 s8, 0
.LBB87_2564:
	s_and_not1_b32 s4, s81, exec_lo
	s_and_b32 s5, s7, exec_lo
	s_and_b32 s9, s9, exec_lo
	;; [unrolled: 1-line block ×4, first 2 shown]
	s_or_b32 s81, s4, s5
	s_wait_xcnt 0x0
	s_or_b32 exec_lo, exec_lo, s6
	s_and_saveexec_b32 s6, s81
	s_cbranch_execz .LBB87_2497
.LBB87_2565:
	s_or_b32 s1, s1, exec_lo
	s_and_not1_b32 s7, s7, exec_lo
	s_trap 2
	s_or_b32 exec_lo, exec_lo, s6
	s_and_saveexec_b32 s4, s7
	s_delay_alu instid0(SALU_CYCLE_1)
	s_xor_b32 s6, exec_lo, s4
	s_cbranch_execnz .LBB87_2498
.LBB87_2566:
	s_or_b32 exec_lo, exec_lo, s6
	s_and_saveexec_b32 s6, s11
	s_cbranch_execz .LBB87_2612
.LBB87_2567:
	s_sext_i32_i16 s7, s0
	s_delay_alu instid0(SALU_CYCLE_1)
	s_cmp_lt_i32 s7, 5
	s_cbranch_scc1 .LBB87_2572
; %bb.2568:
	s_cmp_lt_i32 s7, 8
	s_cbranch_scc1 .LBB87_2573
; %bb.2569:
	;; [unrolled: 3-line block ×3, first 2 shown]
	s_cmp_gt_i32 s7, 9
	s_cbranch_scc0 .LBB87_2575
; %bb.2571:
	s_wait_loadcnt 0x0
	global_load_b64 v[6:7], v[10:11], off
	s_mov_b32 s7, 0
	s_wait_loadcnt 0x0
	v_cvt_i32_f64_e32 v8, v[6:7]
	s_branch .LBB87_2576
.LBB87_2572:
                                        ; implicit-def: $vgpr8
	s_branch .LBB87_2593
.LBB87_2573:
                                        ; implicit-def: $vgpr8
	s_branch .LBB87_2582
.LBB87_2574:
	s_mov_b32 s7, -1
                                        ; implicit-def: $vgpr8
	s_branch .LBB87_2579
.LBB87_2575:
	s_mov_b32 s7, -1
                                        ; implicit-def: $vgpr8
.LBB87_2576:
	s_delay_alu instid0(SALU_CYCLE_1)
	s_and_not1_b32 vcc_lo, exec_lo, s7
	s_cbranch_vccnz .LBB87_2578
; %bb.2577:
	s_wait_loadcnt 0x0
	global_load_b32 v1, v[10:11], off
	s_wait_loadcnt 0x0
	v_cvt_i32_f32_e32 v8, v1
.LBB87_2578:
	s_mov_b32 s7, 0
.LBB87_2579:
	s_delay_alu instid0(SALU_CYCLE_1)
	s_and_not1_b32 vcc_lo, exec_lo, s7
	s_cbranch_vccnz .LBB87_2581
; %bb.2580:
	s_wait_loadcnt 0x0
	global_load_b32 v1, v[10:11], off
	s_wait_loadcnt 0x0
	v_cvt_f32_f16_e32 v1, v1
	s_delay_alu instid0(VALU_DEP_1)
	v_cvt_i32_f32_e32 v8, v1
.LBB87_2581:
	s_cbranch_execnz .LBB87_2592
.LBB87_2582:
	s_sext_i32_i16 s7, s0
	s_delay_alu instid0(SALU_CYCLE_1)
	s_cmp_lt_i32 s7, 6
	s_cbranch_scc1 .LBB87_2585
; %bb.2583:
	s_cmp_gt_i32 s7, 6
	s_cbranch_scc0 .LBB87_2586
; %bb.2584:
	s_wait_loadcnt 0x0
	global_load_b64 v[6:7], v[10:11], off
	s_mov_b32 s7, 0
	s_wait_loadcnt 0x0
	v_cvt_i32_f64_e32 v8, v[6:7]
	s_branch .LBB87_2587
.LBB87_2585:
	s_mov_b32 s7, -1
                                        ; implicit-def: $vgpr8
	s_branch .LBB87_2590
.LBB87_2586:
	s_mov_b32 s7, -1
                                        ; implicit-def: $vgpr8
.LBB87_2587:
	s_delay_alu instid0(SALU_CYCLE_1)
	s_and_not1_b32 vcc_lo, exec_lo, s7
	s_cbranch_vccnz .LBB87_2589
; %bb.2588:
	s_wait_loadcnt 0x0
	global_load_b32 v1, v[10:11], off
	s_wait_loadcnt 0x0
	v_cvt_i32_f32_e32 v8, v1
.LBB87_2589:
	s_mov_b32 s7, 0
.LBB87_2590:
	s_delay_alu instid0(SALU_CYCLE_1)
	s_and_not1_b32 vcc_lo, exec_lo, s7
	s_cbranch_vccnz .LBB87_2592
; %bb.2591:
	s_wait_loadcnt 0x0
	global_load_u16 v1, v[10:11], off
	s_wait_loadcnt 0x0
	v_cvt_f32_f16_e32 v1, v1
	s_delay_alu instid0(VALU_DEP_1)
	v_cvt_i32_f32_e32 v8, v1
.LBB87_2592:
	s_cbranch_execnz .LBB87_2611
.LBB87_2593:
	s_sext_i32_i16 s7, s0
	s_delay_alu instid0(SALU_CYCLE_1)
	s_cmp_lt_i32 s7, 2
	s_cbranch_scc1 .LBB87_2597
; %bb.2594:
	s_cmp_lt_i32 s7, 3
	s_cbranch_scc1 .LBB87_2598
; %bb.2595:
	s_cmp_gt_i32 s7, 3
	s_cbranch_scc0 .LBB87_2599
; %bb.2596:
	s_wait_loadcnt 0x0
	global_load_b32 v8, v[10:11], off
	s_mov_b32 s7, 0
	s_branch .LBB87_2600
.LBB87_2597:
                                        ; implicit-def: $vgpr8
	s_branch .LBB87_2606
.LBB87_2598:
	s_mov_b32 s7, -1
                                        ; implicit-def: $vgpr8
	s_branch .LBB87_2603
.LBB87_2599:
	s_mov_b32 s7, -1
                                        ; implicit-def: $vgpr8
.LBB87_2600:
	s_delay_alu instid0(SALU_CYCLE_1)
	s_and_not1_b32 vcc_lo, exec_lo, s7
	s_cbranch_vccnz .LBB87_2602
; %bb.2601:
	s_wait_loadcnt 0x0
	global_load_b32 v8, v[10:11], off
.LBB87_2602:
	s_mov_b32 s7, 0
.LBB87_2603:
	s_delay_alu instid0(SALU_CYCLE_1)
	s_and_not1_b32 vcc_lo, exec_lo, s7
	s_cbranch_vccnz .LBB87_2605
; %bb.2604:
	s_wait_loadcnt 0x0
	global_load_i16 v8, v[10:11], off
.LBB87_2605:
	s_cbranch_execnz .LBB87_2611
.LBB87_2606:
	s_sext_i32_i16 s0, s0
	s_delay_alu instid0(SALU_CYCLE_1)
	s_cmp_gt_i32 s0, 0
	s_mov_b32 s0, 0
	s_cbranch_scc0 .LBB87_2608
; %bb.2607:
	s_wait_loadcnt 0x0
	global_load_i8 v8, v[10:11], off
	s_branch .LBB87_2609
.LBB87_2608:
	s_mov_b32 s0, -1
                                        ; implicit-def: $vgpr8
.LBB87_2609:
	s_delay_alu instid0(SALU_CYCLE_1)
	s_and_not1_b32 vcc_lo, exec_lo, s0
	s_cbranch_vccnz .LBB87_2611
; %bb.2610:
	s_wait_loadcnt 0x0
	global_load_u8 v8, v[10:11], off
.LBB87_2611:
	s_or_b32 s9, s9, exec_lo
.LBB87_2612:
	s_wait_xcnt 0x0
	s_or_b32 exec_lo, exec_lo, s6
	s_mov_b32 s7, 0
	s_mov_b32 s10, 0
	;; [unrolled: 1-line block ×3, first 2 shown]
                                        ; implicit-def: $sgpr0
                                        ; implicit-def: $vgpr6_vgpr7
                                        ; implicit-def: $vgpr10
	s_and_saveexec_b32 s6, s9
	s_cbranch_execz .LBB87_2620
; %bb.2613:
	v_mov_b32_e32 v5, 0
	s_and_b32 s0, s18, 0xff
	s_delay_alu instid0(SALU_CYCLE_1) | instskip(SKIP_1) | instid1(VALU_DEP_1)
	s_cmp_lt_i32 s0, 11
	s_wait_loadcnt 0x0
	v_add_nc_u64_e32 v[6:7], s[30:31], v[4:5]
	s_cbranch_scc1 .LBB87_2623
; %bb.2614:
	s_and_b32 s8, 0xffff, s0
	s_mov_b32 s9, 0
	s_cmp_gt_i32 s8, 25
	s_cbranch_scc0 .LBB87_2624
; %bb.2615:
	s_cmp_gt_i32 s8, 28
	s_cbranch_scc0 .LBB87_2625
; %bb.2616:
	;; [unrolled: 3-line block ×4, first 2 shown]
	s_cmp_eq_u32 s8, 46
	s_mov_b32 s11, 0
	s_cbranch_scc0 .LBB87_2628
; %bb.2619:
	global_load_b32 v1, v[6:7], off
	s_mov_b32 s10, -1
	s_wait_loadcnt 0x0
	v_lshlrev_b32_e32 v1, 16, v1
	s_delay_alu instid0(VALU_DEP_1)
	v_cvt_i32_f32_e32 v10, v1
	s_branch .LBB87_2630
.LBB87_2620:
	s_or_b32 exec_lo, exec_lo, s6
	s_and_saveexec_b32 s6, s80
	s_cbranch_execnz .LBB87_2689
.LBB87_2621:
	s_or_b32 exec_lo, exec_lo, s6
	s_and_saveexec_b32 s4, s7
	s_delay_alu instid0(SALU_CYCLE_1)
	s_xor_b32 s6, exec_lo, s4
	s_cbranch_execz .LBB87_2690
.LBB87_2622:
	s_wait_loadcnt 0x0
	global_load_u8 v1, v[6:7], off
	s_or_b32 s8, s8, exec_lo
	s_wait_loadcnt 0x0
	v_cmp_ne_u16_e32 vcc_lo, 0, v1
	v_cndmask_b32_e64 v10, 0, 1, vcc_lo
	s_wait_xcnt 0x0
	s_or_b32 exec_lo, exec_lo, s6
	s_and_saveexec_b32 s6, s10
	s_cbranch_execz .LBB87_2736
	s_branch .LBB87_2691
.LBB87_2623:
	s_mov_b32 s11, -1
	s_mov_b32 s9, 0
	s_mov_b32 s7, s80
                                        ; implicit-def: $vgpr10
	s_branch .LBB87_2688
.LBB87_2624:
	s_mov_b32 s7, s80
                                        ; implicit-def: $vgpr10
	s_cbranch_execnz .LBB87_2657
	s_branch .LBB87_2687
.LBB87_2625:
	s_mov_b32 s11, -1
	s_mov_b32 s7, s80
                                        ; implicit-def: $vgpr10
	s_branch .LBB87_2640
.LBB87_2626:
	s_mov_b32 s11, -1
	s_mov_b32 s7, s80
                                        ; implicit-def: $vgpr10
	s_branch .LBB87_2635
.LBB87_2627:
	s_mov_b32 s11, -1
	s_mov_b32 s7, s80
	s_branch .LBB87_2629
.LBB87_2628:
	s_mov_b32 s7, -1
.LBB87_2629:
                                        ; implicit-def: $vgpr10
.LBB87_2630:
	s_and_b32 vcc_lo, exec_lo, s11
	s_cbranch_vccz .LBB87_2634
; %bb.2631:
	s_cmp_eq_u32 s8, 44
	s_cbranch_scc0 .LBB87_2633
; %bb.2632:
	global_load_u8 v1, v[6:7], off
	s_mov_b32 s7, 0
	s_mov_b32 s10, -1
	s_wait_loadcnt 0x0
	v_lshlrev_b32_e32 v4, 23, v1
	v_cmp_ne_u32_e32 vcc_lo, 0, v1
	s_delay_alu instid0(VALU_DEP_2) | instskip(NEXT) | instid1(VALU_DEP_1)
	v_cvt_i32_f32_e32 v4, v4
	v_cndmask_b32_e32 v10, 0, v4, vcc_lo
	s_branch .LBB87_2634
.LBB87_2633:
	s_mov_b32 s7, -1
                                        ; implicit-def: $vgpr10
.LBB87_2634:
	s_mov_b32 s11, 0
.LBB87_2635:
	s_delay_alu instid0(SALU_CYCLE_1)
	s_and_b32 vcc_lo, exec_lo, s11
	s_cbranch_vccz .LBB87_2639
; %bb.2636:
	s_cmp_eq_u32 s8, 29
	s_cbranch_scc0 .LBB87_2638
; %bb.2637:
	global_load_b32 v10, v[6:7], off
	s_mov_b32 s7, 0
	s_mov_b32 s10, -1
	s_branch .LBB87_2639
.LBB87_2638:
	s_mov_b32 s7, -1
                                        ; implicit-def: $vgpr10
.LBB87_2639:
	s_mov_b32 s11, 0
.LBB87_2640:
	s_delay_alu instid0(SALU_CYCLE_1)
	s_and_b32 vcc_lo, exec_lo, s11
	s_cbranch_vccz .LBB87_2656
; %bb.2641:
	s_cmp_lt_i32 s8, 27
	s_cbranch_scc1 .LBB87_2644
; %bb.2642:
	s_cmp_gt_i32 s8, 27
	s_cbranch_scc0 .LBB87_2645
; %bb.2643:
	s_wait_loadcnt 0x0
	global_load_b32 v10, v[6:7], off
	s_mov_b32 s10, 0
	s_branch .LBB87_2646
.LBB87_2644:
	s_mov_b32 s10, -1
                                        ; implicit-def: $vgpr10
	s_branch .LBB87_2649
.LBB87_2645:
	s_mov_b32 s10, -1
                                        ; implicit-def: $vgpr10
.LBB87_2646:
	s_delay_alu instid0(SALU_CYCLE_1)
	s_and_not1_b32 vcc_lo, exec_lo, s10
	s_cbranch_vccnz .LBB87_2648
; %bb.2647:
	s_wait_loadcnt 0x0
	global_load_u16 v10, v[6:7], off
.LBB87_2648:
	s_mov_b32 s10, 0
.LBB87_2649:
	s_delay_alu instid0(SALU_CYCLE_1)
	s_and_not1_b32 vcc_lo, exec_lo, s10
	s_cbranch_vccnz .LBB87_2655
; %bb.2650:
	global_load_u8 v1, v[6:7], off
	s_mov_b32 s11, 0
	s_mov_b32 s4, exec_lo
	s_wait_loadcnt 0x0
	v_cmpx_lt_i16_e32 0x7f, v1
	s_xor_b32 s10, exec_lo, s4
	s_cbranch_execz .LBB87_2666
; %bb.2651:
	v_cmp_ne_u16_e32 vcc_lo, 0x80, v1
	s_and_b32 s11, vcc_lo, exec_lo
	s_and_not1_saveexec_b32 s10, s10
	s_cbranch_execnz .LBB87_2667
.LBB87_2652:
	s_or_b32 exec_lo, exec_lo, s10
	v_mov_b32_e32 v10, 0
	s_and_saveexec_b32 s10, s11
	s_cbranch_execz .LBB87_2654
.LBB87_2653:
	v_and_b32_e32 v4, 0xffff, v1
	s_delay_alu instid0(VALU_DEP_1) | instskip(SKIP_1) | instid1(VALU_DEP_2)
	v_and_b32_e32 v5, 7, v4
	v_bfe_u32 v11, v4, 3, 4
	v_clz_i32_u32_e32 v9, v5
	s_delay_alu instid0(VALU_DEP_2) | instskip(NEXT) | instid1(VALU_DEP_2)
	v_cmp_eq_u32_e32 vcc_lo, 0, v11
	v_min_u32_e32 v9, 32, v9
	s_delay_alu instid0(VALU_DEP_1) | instskip(NEXT) | instid1(VALU_DEP_1)
	v_subrev_nc_u32_e32 v10, 28, v9
	v_dual_lshlrev_b32 v4, v10, v4 :: v_dual_sub_nc_u32 v9, 29, v9
	s_delay_alu instid0(VALU_DEP_1) | instskip(NEXT) | instid1(VALU_DEP_1)
	v_dual_lshlrev_b32 v1, 24, v1 :: v_dual_bitop2_b32 v4, 7, v4 bitop3:0x40
	v_dual_cndmask_b32 v4, v5, v4 :: v_dual_cndmask_b32 v9, v11, v9
	s_delay_alu instid0(VALU_DEP_2) | instskip(NEXT) | instid1(VALU_DEP_2)
	v_and_b32_e32 v1, 0x80000000, v1
	v_lshlrev_b32_e32 v4, 20, v4
	s_delay_alu instid0(VALU_DEP_3) | instskip(NEXT) | instid1(VALU_DEP_1)
	v_lshl_add_u32 v5, v9, 23, 0x3b800000
	v_or3_b32 v1, v1, v5, v4
	s_delay_alu instid0(VALU_DEP_1)
	v_cvt_i32_f32_e32 v10, v1
.LBB87_2654:
	s_or_b32 exec_lo, exec_lo, s10
.LBB87_2655:
	s_mov_b32 s10, -1
.LBB87_2656:
	s_branch .LBB87_2687
.LBB87_2657:
	s_cmp_gt_i32 s8, 22
	s_cbranch_scc0 .LBB87_2665
; %bb.2658:
	s_cmp_lt_i32 s8, 24
	s_cbranch_scc1 .LBB87_2668
; %bb.2659:
	s_cmp_gt_i32 s8, 24
	s_cbranch_scc0 .LBB87_2669
; %bb.2660:
	global_load_u8 v1, v[6:7], off
	s_mov_b32 s10, 0
	s_mov_b32 s4, exec_lo
	s_wait_loadcnt 0x0
	v_cmpx_lt_i16_e32 0x7f, v1
	s_xor_b32 s9, exec_lo, s4
	s_cbranch_execz .LBB87_2681
; %bb.2661:
	v_cmp_ne_u16_e32 vcc_lo, 0x80, v1
	s_and_b32 s10, vcc_lo, exec_lo
	s_and_not1_saveexec_b32 s9, s9
	s_cbranch_execnz .LBB87_2682
.LBB87_2662:
	s_or_b32 exec_lo, exec_lo, s9
	v_mov_b32_e32 v10, 0
	s_and_saveexec_b32 s9, s10
	s_cbranch_execz .LBB87_2664
.LBB87_2663:
	v_and_b32_e32 v4, 0xffff, v1
	s_delay_alu instid0(VALU_DEP_1) | instskip(SKIP_1) | instid1(VALU_DEP_2)
	v_and_b32_e32 v5, 3, v4
	v_bfe_u32 v11, v4, 2, 5
	v_clz_i32_u32_e32 v9, v5
	s_delay_alu instid0(VALU_DEP_2) | instskip(NEXT) | instid1(VALU_DEP_2)
	v_cmp_eq_u32_e32 vcc_lo, 0, v11
	v_min_u32_e32 v9, 32, v9
	s_delay_alu instid0(VALU_DEP_1) | instskip(NEXT) | instid1(VALU_DEP_1)
	v_subrev_nc_u32_e32 v10, 29, v9
	v_dual_lshlrev_b32 v4, v10, v4 :: v_dual_sub_nc_u32 v9, 30, v9
	s_delay_alu instid0(VALU_DEP_1) | instskip(NEXT) | instid1(VALU_DEP_1)
	v_dual_lshlrev_b32 v1, 24, v1 :: v_dual_bitop2_b32 v4, 3, v4 bitop3:0x40
	v_dual_cndmask_b32 v4, v5, v4 :: v_dual_cndmask_b32 v9, v11, v9
	s_delay_alu instid0(VALU_DEP_2) | instskip(NEXT) | instid1(VALU_DEP_2)
	v_and_b32_e32 v1, 0x80000000, v1
	v_lshlrev_b32_e32 v4, 21, v4
	s_delay_alu instid0(VALU_DEP_3) | instskip(NEXT) | instid1(VALU_DEP_1)
	v_lshl_add_u32 v5, v9, 23, 0x37800000
	v_or3_b32 v1, v1, v5, v4
	s_delay_alu instid0(VALU_DEP_1)
	v_cvt_i32_f32_e32 v10, v1
.LBB87_2664:
	s_or_b32 exec_lo, exec_lo, s9
	s_mov_b32 s9, 0
	s_branch .LBB87_2670
.LBB87_2665:
	s_mov_b32 s9, -1
                                        ; implicit-def: $vgpr10
	s_branch .LBB87_2676
.LBB87_2666:
	s_and_not1_saveexec_b32 s10, s10
	s_cbranch_execz .LBB87_2652
.LBB87_2667:
	v_cmp_ne_u16_e32 vcc_lo, 0, v1
	s_and_not1_b32 s4, s11, exec_lo
	s_and_b32 s5, vcc_lo, exec_lo
	s_delay_alu instid0(SALU_CYCLE_1)
	s_or_b32 s11, s4, s5
	s_or_b32 exec_lo, exec_lo, s10
	v_mov_b32_e32 v10, 0
	s_and_saveexec_b32 s10, s11
	s_cbranch_execnz .LBB87_2653
	s_branch .LBB87_2654
.LBB87_2668:
	s_mov_b32 s9, -1
                                        ; implicit-def: $vgpr10
	s_branch .LBB87_2673
.LBB87_2669:
	s_mov_b32 s9, -1
                                        ; implicit-def: $vgpr10
.LBB87_2670:
	s_delay_alu instid0(SALU_CYCLE_1)
	s_and_b32 vcc_lo, exec_lo, s9
	s_cbranch_vccz .LBB87_2672
; %bb.2671:
	global_load_u8 v1, v[6:7], off
	s_wait_loadcnt 0x0
	v_lshlrev_b32_e32 v1, 24, v1
	s_delay_alu instid0(VALU_DEP_1) | instskip(NEXT) | instid1(VALU_DEP_1)
	v_and_b32_e32 v4, 0x7f000000, v1
	v_clz_i32_u32_e32 v5, v4
	v_add_nc_u32_e32 v10, 0x1000000, v4
	v_cmp_ne_u32_e32 vcc_lo, 0, v4
	s_delay_alu instid0(VALU_DEP_3) | instskip(NEXT) | instid1(VALU_DEP_1)
	v_min_u32_e32 v5, 32, v5
	v_sub_nc_u32_e64 v5, v5, 4 clamp
	s_delay_alu instid0(VALU_DEP_1) | instskip(NEXT) | instid1(VALU_DEP_1)
	v_dual_lshlrev_b32 v9, v5, v4 :: v_dual_lshlrev_b32 v5, 23, v5
	v_lshrrev_b32_e32 v9, 4, v9
	s_delay_alu instid0(VALU_DEP_1) | instskip(NEXT) | instid1(VALU_DEP_1)
	v_dual_sub_nc_u32 v5, v9, v5 :: v_dual_ashrrev_i32 v9, 8, v10
	v_add_nc_u32_e32 v5, 0x3c000000, v5
	s_delay_alu instid0(VALU_DEP_1) | instskip(NEXT) | instid1(VALU_DEP_1)
	v_and_or_b32 v5, 0x7f800000, v9, v5
	v_cndmask_b32_e32 v4, 0, v5, vcc_lo
	s_delay_alu instid0(VALU_DEP_1) | instskip(NEXT) | instid1(VALU_DEP_1)
	v_and_or_b32 v1, 0x80000000, v1, v4
	v_cvt_i32_f32_e32 v10, v1
.LBB87_2672:
	s_mov_b32 s9, 0
.LBB87_2673:
	s_delay_alu instid0(SALU_CYCLE_1)
	s_and_not1_b32 vcc_lo, exec_lo, s9
	s_cbranch_vccnz .LBB87_2675
; %bb.2674:
	global_load_u8 v1, v[6:7], off
	s_wait_loadcnt 0x0
	v_lshlrev_b32_e32 v4, 25, v1
	v_lshlrev_b16 v1, 8, v1
	s_delay_alu instid0(VALU_DEP_2) | instskip(NEXT) | instid1(VALU_DEP_2)
	v_cmp_gt_u32_e32 vcc_lo, 0x8000000, v4
	v_and_or_b32 v9, 0x7f00, v1, 0.5
	v_lshrrev_b32_e32 v5, 4, v4
	v_bfe_i32 v1, v1, 0, 16
	s_delay_alu instid0(VALU_DEP_3) | instskip(NEXT) | instid1(VALU_DEP_3)
	v_add_f32_e32 v9, -0.5, v9
	v_or_b32_e32 v5, 0x70000000, v5
	s_delay_alu instid0(VALU_DEP_1) | instskip(NEXT) | instid1(VALU_DEP_1)
	v_mul_f32_e32 v5, 0x7800000, v5
	v_cndmask_b32_e32 v4, v5, v9, vcc_lo
	s_delay_alu instid0(VALU_DEP_1) | instskip(NEXT) | instid1(VALU_DEP_1)
	v_and_or_b32 v1, 0x80000000, v1, v4
	v_cvt_i32_f32_e32 v10, v1
.LBB87_2675:
	s_mov_b32 s9, 0
	s_mov_b32 s10, -1
.LBB87_2676:
	s_and_not1_b32 vcc_lo, exec_lo, s9
	s_mov_b32 s9, 0
	s_cbranch_vccnz .LBB87_2687
; %bb.2677:
	s_cmp_gt_i32 s8, 14
	s_cbranch_scc0 .LBB87_2680
; %bb.2678:
	s_cmp_eq_u32 s8, 15
	s_cbranch_scc0 .LBB87_2683
; %bb.2679:
	global_load_u16 v1, v[6:7], off
	s_mov_b32 s7, 0
	s_mov_b32 s10, -1
	s_wait_loadcnt 0x0
	v_lshlrev_b32_e32 v1, 16, v1
	s_delay_alu instid0(VALU_DEP_1)
	v_cvt_i32_f32_e32 v10, v1
	s_branch .LBB87_2685
.LBB87_2680:
	s_mov_b32 s9, -1
	s_branch .LBB87_2684
.LBB87_2681:
	s_and_not1_saveexec_b32 s9, s9
	s_cbranch_execz .LBB87_2662
.LBB87_2682:
	v_cmp_ne_u16_e32 vcc_lo, 0, v1
	s_and_not1_b32 s4, s10, exec_lo
	s_and_b32 s5, vcc_lo, exec_lo
	s_delay_alu instid0(SALU_CYCLE_1)
	s_or_b32 s10, s4, s5
	s_or_b32 exec_lo, exec_lo, s9
	v_mov_b32_e32 v10, 0
	s_and_saveexec_b32 s9, s10
	s_cbranch_execnz .LBB87_2663
	s_branch .LBB87_2664
.LBB87_2683:
	s_mov_b32 s7, -1
.LBB87_2684:
                                        ; implicit-def: $vgpr10
.LBB87_2685:
	s_and_b32 vcc_lo, exec_lo, s9
	s_mov_b32 s9, 0
	s_cbranch_vccz .LBB87_2687
; %bb.2686:
	s_cmp_lg_u32 s8, 11
	s_mov_b32 s9, -1
	s_cselect_b32 s4, -1, 0
	s_and_not1_b32 s5, s7, exec_lo
	s_and_b32 s4, s4, exec_lo
	s_delay_alu instid0(SALU_CYCLE_1)
	s_or_b32 s7, s5, s4
.LBB87_2687:
	s_mov_b32 s11, 0
.LBB87_2688:
	s_and_not1_b32 s4, s80, exec_lo
	s_and_b32 s5, s7, exec_lo
	s_and_b32 s8, s10, exec_lo
	;; [unrolled: 1-line block ×4, first 2 shown]
	s_or_b32 s80, s4, s5
	s_wait_xcnt 0x0
	s_or_b32 exec_lo, exec_lo, s6
	s_and_saveexec_b32 s6, s80
	s_cbranch_execz .LBB87_2621
.LBB87_2689:
	s_or_b32 s1, s1, exec_lo
	s_and_not1_b32 s7, s7, exec_lo
	s_trap 2
	s_or_b32 exec_lo, exec_lo, s6
	s_and_saveexec_b32 s4, s7
	s_delay_alu instid0(SALU_CYCLE_1)
	s_xor_b32 s6, exec_lo, s4
	s_cbranch_execnz .LBB87_2622
.LBB87_2690:
	s_or_b32 exec_lo, exec_lo, s6
	s_and_saveexec_b32 s6, s10
	s_cbranch_execz .LBB87_2736
.LBB87_2691:
	s_sext_i32_i16 s7, s0
	s_delay_alu instid0(SALU_CYCLE_1)
	s_cmp_lt_i32 s7, 5
	s_cbranch_scc1 .LBB87_2696
; %bb.2692:
	s_cmp_lt_i32 s7, 8
	s_cbranch_scc1 .LBB87_2697
; %bb.2693:
	;; [unrolled: 3-line block ×3, first 2 shown]
	s_cmp_gt_i32 s7, 9
	s_cbranch_scc0 .LBB87_2699
; %bb.2695:
	s_wait_loadcnt 0x0
	global_load_b64 v[4:5], v[6:7], off
	s_mov_b32 s7, 0
	s_wait_loadcnt 0x0
	v_cvt_i32_f64_e32 v10, v[4:5]
	s_branch .LBB87_2700
.LBB87_2696:
                                        ; implicit-def: $vgpr10
	s_branch .LBB87_2717
.LBB87_2697:
                                        ; implicit-def: $vgpr10
	s_branch .LBB87_2706
.LBB87_2698:
	s_mov_b32 s7, -1
                                        ; implicit-def: $vgpr10
	s_branch .LBB87_2703
.LBB87_2699:
	s_mov_b32 s7, -1
                                        ; implicit-def: $vgpr10
.LBB87_2700:
	s_delay_alu instid0(SALU_CYCLE_1)
	s_and_not1_b32 vcc_lo, exec_lo, s7
	s_cbranch_vccnz .LBB87_2702
; %bb.2701:
	s_wait_loadcnt 0x0
	global_load_b32 v1, v[6:7], off
	s_wait_loadcnt 0x0
	v_cvt_i32_f32_e32 v10, v1
.LBB87_2702:
	s_mov_b32 s7, 0
.LBB87_2703:
	s_delay_alu instid0(SALU_CYCLE_1)
	s_and_not1_b32 vcc_lo, exec_lo, s7
	s_cbranch_vccnz .LBB87_2705
; %bb.2704:
	s_wait_loadcnt 0x0
	global_load_b32 v1, v[6:7], off
	s_wait_loadcnt 0x0
	v_cvt_f32_f16_e32 v1, v1
	s_delay_alu instid0(VALU_DEP_1)
	v_cvt_i32_f32_e32 v10, v1
.LBB87_2705:
	s_cbranch_execnz .LBB87_2716
.LBB87_2706:
	s_sext_i32_i16 s7, s0
	s_delay_alu instid0(SALU_CYCLE_1)
	s_cmp_lt_i32 s7, 6
	s_cbranch_scc1 .LBB87_2709
; %bb.2707:
	s_cmp_gt_i32 s7, 6
	s_cbranch_scc0 .LBB87_2710
; %bb.2708:
	s_wait_loadcnt 0x0
	global_load_b64 v[4:5], v[6:7], off
	s_mov_b32 s7, 0
	s_wait_loadcnt 0x0
	v_cvt_i32_f64_e32 v10, v[4:5]
	s_branch .LBB87_2711
.LBB87_2709:
	s_mov_b32 s7, -1
                                        ; implicit-def: $vgpr10
	s_branch .LBB87_2714
.LBB87_2710:
	s_mov_b32 s7, -1
                                        ; implicit-def: $vgpr10
.LBB87_2711:
	s_delay_alu instid0(SALU_CYCLE_1)
	s_and_not1_b32 vcc_lo, exec_lo, s7
	s_cbranch_vccnz .LBB87_2713
; %bb.2712:
	s_wait_loadcnt 0x0
	global_load_b32 v1, v[6:7], off
	s_wait_loadcnt 0x0
	v_cvt_i32_f32_e32 v10, v1
.LBB87_2713:
	s_mov_b32 s7, 0
.LBB87_2714:
	s_delay_alu instid0(SALU_CYCLE_1)
	s_and_not1_b32 vcc_lo, exec_lo, s7
	s_cbranch_vccnz .LBB87_2716
; %bb.2715:
	s_wait_loadcnt 0x0
	global_load_u16 v1, v[6:7], off
	s_wait_loadcnt 0x0
	v_cvt_f32_f16_e32 v1, v1
	s_delay_alu instid0(VALU_DEP_1)
	v_cvt_i32_f32_e32 v10, v1
.LBB87_2716:
	s_cbranch_execnz .LBB87_2735
.LBB87_2717:
	s_sext_i32_i16 s7, s0
	s_delay_alu instid0(SALU_CYCLE_1)
	s_cmp_lt_i32 s7, 2
	s_cbranch_scc1 .LBB87_2721
; %bb.2718:
	s_cmp_lt_i32 s7, 3
	s_cbranch_scc1 .LBB87_2722
; %bb.2719:
	s_cmp_gt_i32 s7, 3
	s_cbranch_scc0 .LBB87_2723
; %bb.2720:
	s_wait_loadcnt 0x0
	global_load_b32 v10, v[6:7], off
	s_mov_b32 s7, 0
	s_branch .LBB87_2724
.LBB87_2721:
                                        ; implicit-def: $vgpr10
	s_branch .LBB87_2730
.LBB87_2722:
	s_mov_b32 s7, -1
                                        ; implicit-def: $vgpr10
	s_branch .LBB87_2727
.LBB87_2723:
	s_mov_b32 s7, -1
                                        ; implicit-def: $vgpr10
.LBB87_2724:
	s_delay_alu instid0(SALU_CYCLE_1)
	s_and_not1_b32 vcc_lo, exec_lo, s7
	s_cbranch_vccnz .LBB87_2726
; %bb.2725:
	s_wait_loadcnt 0x0
	global_load_b32 v10, v[6:7], off
.LBB87_2726:
	s_mov_b32 s7, 0
.LBB87_2727:
	s_delay_alu instid0(SALU_CYCLE_1)
	s_and_not1_b32 vcc_lo, exec_lo, s7
	s_cbranch_vccnz .LBB87_2729
; %bb.2728:
	s_wait_loadcnt 0x0
	global_load_i16 v10, v[6:7], off
.LBB87_2729:
	s_cbranch_execnz .LBB87_2735
.LBB87_2730:
	s_sext_i32_i16 s0, s0
	s_delay_alu instid0(SALU_CYCLE_1)
	s_cmp_gt_i32 s0, 0
	s_mov_b32 s0, 0
	s_cbranch_scc0 .LBB87_2732
; %bb.2731:
	s_wait_loadcnt 0x0
	global_load_i8 v10, v[6:7], off
	s_branch .LBB87_2733
.LBB87_2732:
	s_mov_b32 s0, -1
                                        ; implicit-def: $vgpr10
.LBB87_2733:
	s_delay_alu instid0(SALU_CYCLE_1)
	s_and_not1_b32 vcc_lo, exec_lo, s0
	s_cbranch_vccnz .LBB87_2735
; %bb.2734:
	s_wait_loadcnt 0x0
	global_load_u8 v10, v[6:7], off
.LBB87_2735:
	s_or_b32 s8, s8, exec_lo
.LBB87_2736:
	s_wait_xcnt 0x0
	s_or_b32 exec_lo, exec_lo, s6
	s_mov_b32 s0, 0
	s_and_saveexec_b32 s4, s8
	s_delay_alu instid0(SALU_CYCLE_1)
	s_xor_b32 s6, exec_lo, s4
	s_cbranch_execz .LBB87_2738
; %bb.2737:
	s_wait_loadcnt 0x0
	v_cmp_ne_u32_e32 vcc_lo, s38, v3
	s_xor_b32 s4, s66, -1
	s_and_not1_b32 s5, s79, exec_lo
	s_mov_b32 s0, exec_lo
	s_or_b32 s4, s4, vcc_lo
	s_delay_alu instid0(SALU_CYCLE_1) | instskip(NEXT) | instid1(SALU_CYCLE_1)
	s_and_b32 s4, s4, exec_lo
	s_or_b32 s79, s5, s4
.LBB87_2738:
	s_or_b32 exec_lo, exec_lo, s6
	s_and_saveexec_b32 s6, s79
	s_cbranch_execnz .LBB87_2775
.LBB87_2739:
	s_or_b32 exec_lo, exec_lo, s6
	s_mov_b32 s7, 0
	s_and_saveexec_b32 s4, s0
	s_delay_alu instid0(SALU_CYCLE_1)
	s_xor_b32 s0, exec_lo, s4
	s_cbranch_execz .LBB87_2741
; %bb.2740:
	s_wait_loadcnt 0x0
	v_cmp_ne_u32_e32 vcc_lo, s70, v12
	s_xor_b32 s4, s45, -1
	s_and_not1_b32 s5, s78, exec_lo
	s_mov_b32 s7, exec_lo
	s_or_b32 s4, s4, vcc_lo
	s_delay_alu instid0(SALU_CYCLE_1) | instskip(NEXT) | instid1(SALU_CYCLE_1)
	s_and_b32 s4, s4, exec_lo
	s_or_b32 s78, s5, s4
.LBB87_2741:
	s_or_b32 exec_lo, exec_lo, s0
	s_and_saveexec_b32 s0, s78
	s_cbranch_execnz .LBB87_2776
.LBB87_2742:
	s_or_b32 exec_lo, exec_lo, s0
	s_mov_b32 s6, 0
	s_and_saveexec_b32 s0, s7
	s_delay_alu instid0(SALU_CYCLE_1)
	s_xor_b32 s7, exec_lo, s0
	s_cbranch_execz .LBB87_2754
; %bb.2743:
	s_wait_loadcnt 0x0
	v_sub_nc_u32_e32 v1, v8, v0
	s_and_not1_b32 s4, s77, exec_lo
	s_mov_b32 s6, exec_lo
	s_delay_alu instid0(VALU_DEP_1) | instskip(SKIP_2) | instid1(SALU_CYCLE_1)
	v_cmp_le_i32_e32 vcc_lo, s38, v1
	v_cmp_ge_i32_e64 s0, s68, v1
	s_and_b32 s0, vcc_lo, s0
	s_and_b32 s0, s16, s0
	s_delay_alu instid0(SALU_CYCLE_1) | instskip(NEXT) | instid1(SALU_CYCLE_1)
	s_xor_b32 s0, s0, -1
	s_and_b32 s0, s0, exec_lo
	s_delay_alu instid0(SALU_CYCLE_1)
	s_or_b32 s77, s4, s0
	s_or_b32 exec_lo, exec_lo, s7
	s_and_saveexec_b32 s0, s77
	s_cbranch_execz .LBB87_2755
.LBB87_2744:
	s_or_b32 s1, s1, exec_lo
	s_and_not1_b32 s6, s6, exec_lo
	s_trap 2
	s_or_b32 exec_lo, exec_lo, s0
	s_mov_b32 s8, 0
	s_and_saveexec_b32 s16, s6
	s_cbranch_execnz .LBB87_2756
.LBB87_2745:
	s_or_b32 exec_lo, exec_lo, s16
	s_and_saveexec_b32 s0, s61
	s_cbranch_execnz .LBB87_2774
.LBB87_2746:
	s_or_b32 exec_lo, exec_lo, s0
	s_mov_b32 s9, 0
	s_mov_b32 s7, 0
                                        ; implicit-def: $sgpr0
                                        ; implicit-def: $vgpr0_vgpr1
	s_and_saveexec_b32 s6, s8
	s_cbranch_execz .LBB87_2763
; %bb.2747:
	s_load_b256 s[8:15], s[2:3], 0x248
	s_wait_loadcnt 0x0
	v_mov_b32_e32 v3, 0
	s_and_b32 s0, s22, 0xff
	s_delay_alu instid0(SALU_CYCLE_1) | instskip(SKIP_1) | instid1(VALU_DEP_1)
	s_cmp_lt_i32 s0, 11
	s_wait_kmcnt 0x0
	v_add_nc_u64_e32 v[0:1], s[8:9], v[2:3]
	s_cbranch_scc1 .LBB87_2771
; %bb.2748:
	s_and_b32 s5, 0xffff, s0
	s_mov_b32 s7, -1
	s_cmp_gt_i32 s5, 25
	s_mov_b32 s4, s60
	s_cbranch_scc0 .LBB87_2796
; %bb.2749:
	s_cmp_gt_i32 s5, 28
	s_mov_b32 s4, s60
	s_cbranch_scc0 .LBB87_2786
; %bb.2750:
	;; [unrolled: 4-line block ×4, first 2 shown]
	s_cmp_eq_u32 s5, 46
	s_mov_b32 s4, -1
	s_cbranch_scc0 .LBB87_2777
; %bb.2753:
	v_mov_b32_e32 v2, 0
	s_mov_b32 s4, 0
	s_mov_b32 s7, 0
	global_store_b32 v[0:1], v2, off
	s_branch .LBB87_2778
.LBB87_2754:
	s_or_b32 exec_lo, exec_lo, s7
	s_and_saveexec_b32 s0, s77
	s_cbranch_execnz .LBB87_2744
.LBB87_2755:
	s_or_b32 exec_lo, exec_lo, s0
	s_mov_b32 s8, 0
	s_and_saveexec_b32 s16, s6
	s_cbranch_execz .LBB87_2745
.LBB87_2756:
	v_mov_b64_e32 v[4:5], 0
	s_and_not1_b32 vcc_lo, exec_lo, s17
	s_cbranch_vccnz .LBB87_2766
; %bb.2757:
	s_wait_loadcnt 0x0
	v_dual_mov_b32 v6, 0 :: v_dual_ashrrev_i32 v11, 31, v10
	s_mov_b32 s35, 0
	v_mov_b64_e32 v[4:5], 0
	s_lshl_b64 s[4:5], s[34:35], 3
	s_delay_alu instid0(VALU_DEP_2)
	v_mul_u64_e32 v[10:11], s[70:71], v[10:11]
	s_add_nc_u64 s[4:5], s[2:3], s[4:5]
	s_mov_b64 s[6:7], 0xffffffff
	s_add_nc_u64 s[8:9], s[4:5], 0x298
	s_branch .LBB87_2759
.LBB87_2758:                            ;   in Loop: Header=BB87_2759 Depth=1
	s_or_b32 exec_lo, exec_lo, s0
	s_delay_alu instid0(VALU_DEP_1)
	v_mul_u64_e32 v[14:15], s[10:11], v[12:13]
	s_load_b64 s[4:5], s[8:9], 0x40
	s_add_co_i32 s25, s25, -1
	s_wait_xcnt 0x0
	s_add_nc_u64 s[8:9], s[8:9], -8
	s_cmp_lg_u32 s25, 0
	s_delay_alu instid0(VALU_DEP_1) | instskip(SKIP_1) | instid1(VALU_DEP_1)
	v_sub_nc_u64_e32 v[10:11], v[10:11], v[14:15]
	s_wait_kmcnt 0x0
	v_mad_nc_u64_u32 v[4:5], v10, s4, v[4:5]
	s_delay_alu instid0(VALU_DEP_1) | instskip(NEXT) | instid1(VALU_DEP_1)
	v_mad_u32 v1, v11, s4, v5
	v_mad_u32 v5, v10, s5, v1
	v_mov_b64_e32 v[10:11], v[12:13]
	s_cbranch_scc0 .LBB87_2766
.LBB87_2759:                            ; =>This Inner Loop Header: Depth=1
	s_load_b64 s[10:11], s[8:9], 0x0
                                        ; implicit-def: $vgpr12_vgpr13
	s_mov_b32 s0, exec_lo
	s_wait_kmcnt 0x0
	s_delay_alu instid0(VALU_DEP_1) | instskip(NEXT) | instid1(VALU_DEP_1)
	v_or_b32_e32 v7, s11, v11
	v_cmpx_ne_u64_e32 0, v[6:7]
	s_xor_b32 s17, exec_lo, s0
	s_cbranch_execz .LBB87_2761
; %bb.2760:                             ;   in Loop: Header=BB87_2759 Depth=1
	s_ashr_i32 s12, s11, 31
	v_dual_mov_b32 v17, v6 :: v_dual_ashrrev_i32 v12, 31, v11
	s_mov_b32 s13, s12
	s_delay_alu instid0(SALU_CYCLE_1) | instskip(NEXT) | instid1(VALU_DEP_1)
	s_add_nc_u64 s[4:5], s[10:11], s[12:13]
	v_mov_b32_e32 v13, v12
	s_xor_b64 s[14:15], s[4:5], s[12:13]
	s_delay_alu instid0(SALU_CYCLE_1)
	s_cvt_f32_u32 s0, s14
	s_cvt_f32_u32 s4, s15
	s_sub_nc_u64 s[18:19], 0, s[14:15]
	v_add_nc_u64_e32 v[14:15], v[10:11], v[12:13]
	v_mov_b32_e32 v21, v6
	s_fmamk_f32 s0, s4, 0x4f800000, s0
	s_delay_alu instid0(SALU_CYCLE_3) | instskip(NEXT) | instid1(VALU_DEP_2)
	v_s_rcp_f32 s0, s0
	v_xor_b32_e32 v16, v14, v12
	s_delay_alu instid0(VALU_DEP_3) | instskip(NEXT) | instid1(TRANS32_DEP_1)
	v_dual_mov_b32 v25, v6 :: v_dual_bitop2_b32 v20, v15, v12 bitop3:0x14
	s_mul_f32 s0, s0, 0x5f7ffffc
	s_delay_alu instid0(SALU_CYCLE_3) | instskip(NEXT) | instid1(SALU_CYCLE_3)
	s_mul_f32 s4, s0, 0x2f800000
	s_trunc_f32 s4, s4
	s_delay_alu instid0(SALU_CYCLE_3) | instskip(SKIP_1) | instid1(SALU_CYCLE_2)
	s_fmamk_f32 s0, s4, 0xcf800000, s0
	s_cvt_u32_f32 s5, s4
	s_cvt_u32_f32 s4, s0
	s_delay_alu instid0(SALU_CYCLE_3) | instskip(NEXT) | instid1(SALU_CYCLE_1)
	s_mul_u64 s[26:27], s[18:19], s[4:5]
	s_mul_hi_u32 s29, s4, s27
	s_mul_i32 s28, s4, s27
	s_mul_hi_u32 s34, s4, s26
	s_mul_i32 s13, s5, s26
	s_add_nc_u64 s[28:29], s[34:35], s[28:29]
	s_mul_hi_u32 s0, s5, s26
	s_mul_hi_u32 s23, s5, s27
	s_add_co_u32 s13, s28, s13
	s_add_co_ci_u32 s34, s29, s0
	s_mul_i32 s26, s5, s27
	s_add_co_ci_u32 s27, s23, 0
	s_delay_alu instid0(SALU_CYCLE_1) | instskip(NEXT) | instid1(SALU_CYCLE_1)
	s_add_nc_u64 s[26:27], s[34:35], s[26:27]
	s_add_co_u32 s4, s4, s26
	s_cselect_b32 s0, -1, 0
	s_delay_alu instid0(SALU_CYCLE_1) | instskip(SKIP_1) | instid1(SALU_CYCLE_1)
	s_cmp_lg_u32 s0, 0
	s_add_co_ci_u32 s5, s5, s27
	s_mul_u64 s[18:19], s[18:19], s[4:5]
	s_delay_alu instid0(SALU_CYCLE_1)
	s_mul_hi_u32 s27, s4, s19
	s_mul_i32 s26, s4, s19
	s_mul_hi_u32 s34, s4, s18
	s_mul_i32 s13, s5, s18
	s_add_nc_u64 s[26:27], s[34:35], s[26:27]
	s_mul_hi_u32 s0, s5, s18
	s_mul_hi_u32 s23, s5, s19
	s_add_co_u32 s13, s26, s13
	s_add_co_ci_u32 s34, s27, s0
	s_mul_i32 s18, s5, s19
	s_add_co_ci_u32 s19, s23, 0
	s_delay_alu instid0(SALU_CYCLE_1) | instskip(NEXT) | instid1(SALU_CYCLE_1)
	s_add_nc_u64 s[18:19], s[34:35], s[18:19]
	s_add_co_u32 s0, s4, s18
	s_cselect_b32 s4, -1, 0
	v_mul_hi_u32 v24, v16, s0
	s_cmp_lg_u32 s4, 0
	s_add_co_ci_u32 s34, s5, s19
	s_and_b64 s[4:5], s[0:1], s[6:7]
	v_mul_u64_e32 v[18:19], s[34:35], v[16:17]
	v_mul_u64_e32 v[14:15], s[4:5], v[20:21]
	;; [unrolled: 1-line block ×3, first 2 shown]
	s_delay_alu instid0(VALU_DEP_3) | instskip(NEXT) | instid1(VALU_DEP_1)
	v_add_nc_u64_e32 v[18:19], v[24:25], v[18:19]
	v_add_co_u32 v1, vcc_lo, v18, v14
	s_delay_alu instid0(VALU_DEP_2) | instskip(NEXT) | instid1(VALU_DEP_4)
	v_add_co_ci_u32_e32 v24, vcc_lo, v19, v15, vcc_lo
	v_add_co_ci_u32_e32 v23, vcc_lo, 0, v23, vcc_lo
	s_delay_alu instid0(VALU_DEP_1) | instskip(NEXT) | instid1(VALU_DEP_1)
	v_add_nc_u64_e32 v[14:15], v[24:25], v[22:23]
	v_mul_u64_e32 v[18:19], s[14:15], v[14:15]
	s_delay_alu instid0(VALU_DEP_1) | instskip(NEXT) | instid1(VALU_DEP_2)
	v_sub_nc_u32_e32 v1, v20, v19
	v_sub_co_u32 v3, vcc_lo, v16, v18
	s_delay_alu instid0(VALU_DEP_1) | instskip(NEXT) | instid1(VALU_DEP_3)
	v_sub_co_ci_u32_e64 v9, null, v20, v19, vcc_lo
	v_subrev_co_ci_u32_e64 v1, null, s15, v1, vcc_lo
	s_delay_alu instid0(VALU_DEP_3) | instskip(SKIP_1) | instid1(VALU_DEP_3)
	v_sub_co_u32 v7, s0, v3, s14
	v_add_nc_u64_e32 v[16:17], 2, v[14:15]
	v_subrev_co_ci_u32_e64 v1, null, 0, v1, s0
	s_delay_alu instid0(VALU_DEP_3) | instskip(SKIP_2) | instid1(VALU_DEP_4)
	v_cmp_le_u32_e32 vcc_lo, s14, v7
	v_add_nc_u64_e32 v[18:19], 1, v[14:15]
	v_cndmask_b32_e64 v7, 0, -1, vcc_lo
	v_cmp_le_u32_e32 vcc_lo, s15, v1
	v_cndmask_b32_e64 v13, 0, -1, vcc_lo
	v_cmp_le_u32_e32 vcc_lo, s14, v3
	;; [unrolled: 2-line block ×3, first 2 shown]
	v_cndmask_b32_e64 v20, 0, -1, vcc_lo
	v_cmp_eq_u32_e32 vcc_lo, s15, v1
	v_cndmask_b32_e32 v1, v13, v7, vcc_lo
	v_cmp_eq_u32_e32 vcc_lo, s15, v9
	s_delay_alu instid0(VALU_DEP_4) | instskip(NEXT) | instid1(VALU_DEP_3)
	v_cndmask_b32_e32 v3, v20, v3, vcc_lo
	v_cmp_ne_u32_e32 vcc_lo, 0, v1
	v_cndmask_b32_e32 v1, v19, v17, vcc_lo
	s_delay_alu instid0(VALU_DEP_3) | instskip(SKIP_1) | instid1(VALU_DEP_2)
	v_cmp_ne_u32_e64 s0, 0, v3
	v_cndmask_b32_e32 v3, v18, v16, vcc_lo
	v_dual_cndmask_b32 v1, v15, v1, s0 :: v_dual_bitop2_b32 v12, s12, v12 bitop3:0x14
	s_delay_alu instid0(VALU_DEP_1) | instskip(NEXT) | instid1(VALU_DEP_2)
	v_dual_cndmask_b32 v3, v14, v3, s0 :: v_dual_mov_b32 v13, v12
	v_xor_b32_e32 v15, v1, v12
	s_delay_alu instid0(VALU_DEP_2) | instskip(NEXT) | instid1(VALU_DEP_1)
	v_xor_b32_e32 v14, v3, v12
	v_sub_nc_u64_e32 v[12:13], v[14:15], v[12:13]
.LBB87_2761:                            ;   in Loop: Header=BB87_2759 Depth=1
	s_and_not1_saveexec_b32 s0, s17
	s_cbranch_execz .LBB87_2758
; %bb.2762:                             ;   in Loop: Header=BB87_2759 Depth=1
	v_cvt_f32_u32_e32 v1, s10
	s_sub_co_i32 s4, 0, s10
	v_mov_b32_e32 v13, v6
	s_delay_alu instid0(VALU_DEP_2) | instskip(SKIP_1) | instid1(TRANS32_DEP_1)
	v_rcp_iflag_f32_e32 v1, v1
	v_nop
	v_mul_f32_e32 v1, 0x4f7ffffe, v1
	s_delay_alu instid0(VALU_DEP_1) | instskip(NEXT) | instid1(VALU_DEP_1)
	v_cvt_u32_f32_e32 v1, v1
	v_mul_lo_u32 v3, s4, v1
	s_delay_alu instid0(VALU_DEP_1) | instskip(NEXT) | instid1(VALU_DEP_1)
	v_mul_hi_u32 v3, v1, v3
	v_add_nc_u32_e32 v1, v1, v3
	s_delay_alu instid0(VALU_DEP_1) | instskip(NEXT) | instid1(VALU_DEP_1)
	v_mul_hi_u32 v1, v10, v1
	v_mul_lo_u32 v3, v1, s10
	s_delay_alu instid0(VALU_DEP_1) | instskip(NEXT) | instid1(VALU_DEP_1)
	v_dual_add_nc_u32 v7, 1, v1 :: v_dual_sub_nc_u32 v3, v10, v3
	v_subrev_nc_u32_e32 v9, s10, v3
	v_cmp_le_u32_e32 vcc_lo, s10, v3
	s_delay_alu instid0(VALU_DEP_2) | instskip(NEXT) | instid1(VALU_DEP_1)
	v_dual_cndmask_b32 v3, v3, v9, vcc_lo :: v_dual_cndmask_b32 v1, v1, v7, vcc_lo
	v_cmp_le_u32_e32 vcc_lo, s10, v3
	s_delay_alu instid0(VALU_DEP_2) | instskip(NEXT) | instid1(VALU_DEP_1)
	v_add_nc_u32_e32 v7, 1, v1
	v_cndmask_b32_e32 v12, v1, v7, vcc_lo
	s_branch .LBB87_2758
.LBB87_2763:
	s_or_b32 exec_lo, exec_lo, s6
	s_and_saveexec_b32 s4, s60
	s_cbranch_execnz .LBB87_2816
.LBB87_2764:
	s_or_b32 exec_lo, exec_lo, s4
	s_and_saveexec_b32 s4, s9
	s_delay_alu instid0(SALU_CYCLE_1)
	s_xor_b32 s4, exec_lo, s4
	s_cbranch_execz .LBB87_2817
.LBB87_2765:
	v_mov_b32_e32 v2, 0
	s_wait_loadcnt 0x0
	global_store_b8 v[0:1], v2, off
	s_wait_xcnt 0x0
	s_or_b32 exec_lo, exec_lo, s4
	s_and_saveexec_b32 s4, s7
	s_delay_alu instid0(SALU_CYCLE_1)
	s_xor_b32 s4, exec_lo, s4
	s_cbranch_execz .LBB87_2855
	s_branch .LBB87_2818
.LBB87_2766:
	s_mov_b32 s6, s61
	s_mov_b32 s0, exec_lo
	s_wait_loadcnt 0x0
	v_cmpx_gt_i32_e64 v8, v0
	s_cbranch_execz .LBB87_2773
; %bb.2767:
	s_delay_alu instid0(VALU_DEP_2) | instskip(SKIP_4) | instid1(VALU_DEP_2)
	v_lshlrev_b64_e32 v[4:5], 2, v[4:5]
	v_ashrrev_i32_e32 v1, 31, v0
	v_ashrrev_i32_e32 v9, 31, v8
	s_mov_b32 s6, 0
	s_xor_b32 s8, s39, -1
                                        ; implicit-def: $sgpr7
                                        ; implicit-def: $sgpr10
                                        ; implicit-def: $sgpr9
	v_lshl_add_u64 v[0:1], v[0:1], 2, v[4:5]
	v_add_nc_u64_e32 v[4:5], s[20:21], v[4:5]
	s_delay_alu instid0(VALU_DEP_2) | instskip(NEXT) | instid1(VALU_DEP_2)
	v_add_nc_u64_e32 v[0:1], s[20:21], v[0:1]
	v_lshl_add_u64 v[4:5], v[8:9], 2, v[4:5]
	s_delay_alu instid0(VALU_DEP_2)
	v_add_nc_u64_e32 v[0:1], 4, v[0:1]
	s_branch .LBB87_2769
.LBB87_2768:                            ;   in Loop: Header=BB87_2769 Depth=1
	s_or_b32 exec_lo, exec_lo, s11
	s_xor_b32 s4, s9, -1
	s_and_b32 s5, exec_lo, s10
	s_delay_alu instid0(SALU_CYCLE_1) | instskip(SKIP_2) | instid1(SALU_CYCLE_1)
	s_or_b32 s6, s5, s6
	s_and_not1_b32 s5, s7, exec_lo
	s_and_b32 s4, s4, exec_lo
	s_or_b32 s7, s5, s4
	s_and_not1_b32 exec_lo, exec_lo, s6
	s_cbranch_execz .LBB87_2772
.LBB87_2769:                            ; =>This Inner Loop Header: Depth=1
	s_or_b32 s9, s9, exec_lo
	s_or_b32 s10, s10, exec_lo
	s_mov_b32 s11, exec_lo
	s_delay_alu instid0(VALU_DEP_1)
	v_cmpx_lt_u64_e64 v[0:1], v[4:5]
	s_cbranch_execz .LBB87_2768
; %bb.2770:                             ;   in Loop: Header=BB87_2769 Depth=1
	global_load_b64 v[6:7], v[0:1], off offset:-4
	s_wait_xcnt 0x0
	v_add_nc_u64_e32 v[0:1], 4, v[0:1]
	s_and_not1_b32 s5, s10, exec_lo
	s_and_not1_b32 s9, s9, exec_lo
	s_wait_loadcnt 0x0
	v_cmp_ge_i32_e32 vcc_lo, v6, v7
	s_or_b32 s4, s8, vcc_lo
	s_delay_alu instid0(SALU_CYCLE_1) | instskip(NEXT) | instid1(SALU_CYCLE_1)
	s_and_b32 s4, s4, exec_lo
	s_or_b32 s10, s5, s4
	s_branch .LBB87_2768
.LBB87_2771:
	s_mov_b32 s8, 0
	s_mov_b32 s7, -1
	s_mov_b32 s4, s60
	s_branch .LBB87_2815
.LBB87_2772:
	s_or_b32 exec_lo, exec_lo, s6
	s_delay_alu instid0(SALU_CYCLE_1) | instskip(SKIP_1) | instid1(SALU_CYCLE_1)
	s_and_not1_b32 s4, s61, exec_lo
	s_and_b32 s5, s7, exec_lo
	s_or_b32 s6, s4, s5
.LBB87_2773:
	s_or_b32 exec_lo, exec_lo, s0
	s_delay_alu instid0(SALU_CYCLE_1)
	s_and_not1_b32 s0, s61, exec_lo
	s_and_b32 s4, s6, exec_lo
	s_mov_b32 s8, exec_lo
	s_or_b32 s61, s0, s4
	s_or_b32 exec_lo, exec_lo, s16
	s_and_saveexec_b32 s0, s61
	s_cbranch_execz .LBB87_2746
.LBB87_2774:
	s_or_b32 s1, s1, exec_lo
	s_and_not1_b32 s8, s8, exec_lo
	s_trap 2
	s_branch .LBB87_2746
.LBB87_2775:
	s_or_b32 s1, s1, exec_lo
	s_and_not1_b32 s0, s0, exec_lo
	s_trap 2
	s_branch .LBB87_2739
.LBB87_2776:
	s_or_b32 s1, s1, exec_lo
	s_and_not1_b32 s7, s7, exec_lo
	s_trap 2
	s_branch .LBB87_2742
.LBB87_2777:
	s_mov_b32 s7, 0
.LBB87_2778:
	s_delay_alu instid0(SALU_CYCLE_1)
	s_and_b32 vcc_lo, exec_lo, s7
	s_cbranch_vccz .LBB87_2781
; %bb.2779:
	s_cmp_eq_u32 s5, 44
	s_mov_b32 s4, -1
	s_cbranch_scc0 .LBB87_2781
; %bb.2780:
	s_wait_xcnt 0x0
	v_mov_b32_e32 v2, 0
	s_mov_b32 s4, 0
	s_mov_b32 s7, 0
	global_store_b8 v[0:1], v2, off
	s_branch .LBB87_2782
.LBB87_2781:
	s_mov_b32 s7, 0
.LBB87_2782:
	s_delay_alu instid0(SALU_CYCLE_1)
	s_and_b32 vcc_lo, exec_lo, s7
	s_cbranch_vccz .LBB87_2785
; %bb.2783:
	s_cmp_eq_u32 s5, 29
	s_mov_b32 s4, -1
	s_cbranch_scc0 .LBB87_2785
; %bb.2784:
	s_wait_xcnt 0x0
	v_mov_b64_e32 v[2:3], 0
	s_mov_b32 s4, 0
	s_mov_b32 s7, 0
	global_store_b64 v[0:1], v[2:3], off
	s_branch .LBB87_2786
.LBB87_2785:
	s_mov_b32 s7, 0
.LBB87_2786:
	s_delay_alu instid0(SALU_CYCLE_1)
	s_and_b32 vcc_lo, exec_lo, s7
	s_cbranch_vccz .LBB87_2795
; %bb.2787:
	s_cmp_lt_i32 s5, 27
	s_mov_b32 s7, -1
	s_cbranch_scc1 .LBB87_2793
; %bb.2788:
	s_cmp_gt_i32 s5, 27
	s_cbranch_scc0 .LBB87_2790
; %bb.2789:
	s_wait_xcnt 0x0
	v_mov_b32_e32 v2, 0
	s_mov_b32 s7, 0
	global_store_b32 v[0:1], v2, off
.LBB87_2790:
	s_and_not1_b32 vcc_lo, exec_lo, s7
	s_cbranch_vccnz .LBB87_2792
; %bb.2791:
	s_wait_xcnt 0x0
	v_mov_b32_e32 v2, 0
	global_store_b16 v[0:1], v2, off
.LBB87_2792:
	s_mov_b32 s7, 0
.LBB87_2793:
	s_delay_alu instid0(SALU_CYCLE_1)
	s_and_not1_b32 vcc_lo, exec_lo, s7
	s_cbranch_vccnz .LBB87_2795
; %bb.2794:
	s_wait_xcnt 0x0
	v_mov_b32_e32 v2, 0
	global_store_b8 v[0:1], v2, off
.LBB87_2795:
	s_mov_b32 s7, 0
.LBB87_2796:
	s_delay_alu instid0(SALU_CYCLE_1)
	s_and_b32 vcc_lo, exec_lo, s7
	s_mov_b32 s7, 0
	s_cbranch_vccz .LBB87_2814
; %bb.2797:
	s_cmp_gt_i32 s5, 22
	s_mov_b32 s8, -1
	s_cbranch_scc0 .LBB87_2807
; %bb.2798:
	s_cmp_lt_i32 s5, 24
	s_cbranch_scc1 .LBB87_2804
; %bb.2799:
	s_cmp_gt_i32 s5, 24
	s_cbranch_scc0 .LBB87_2801
; %bb.2800:
	s_wait_xcnt 0x0
	v_mov_b32_e32 v2, 0
	s_mov_b32 s8, 0
	global_store_b8 v[0:1], v2, off
.LBB87_2801:
	s_and_not1_b32 vcc_lo, exec_lo, s8
	s_cbranch_vccnz .LBB87_2803
; %bb.2802:
	s_wait_xcnt 0x0
	v_mov_b32_e32 v2, 0
	global_store_b8 v[0:1], v2, off
.LBB87_2803:
	s_mov_b32 s8, 0
.LBB87_2804:
	s_delay_alu instid0(SALU_CYCLE_1)
	s_and_not1_b32 vcc_lo, exec_lo, s8
	s_cbranch_vccnz .LBB87_2806
; %bb.2805:
	s_wait_xcnt 0x0
	v_mov_b32_e32 v2, 0
	global_store_b8 v[0:1], v2, off
.LBB87_2806:
	s_mov_b32 s8, 0
.LBB87_2807:
	s_delay_alu instid0(SALU_CYCLE_1)
	s_and_not1_b32 vcc_lo, exec_lo, s8
	s_mov_b32 s8, 0
	s_cbranch_vccnz .LBB87_2815
; %bb.2808:
	s_cmp_gt_i32 s5, 14
	s_mov_b32 s8, -1
	s_cbranch_scc0 .LBB87_2812
; %bb.2809:
	s_cmp_eq_u32 s5, 15
	s_mov_b32 s4, -1
	s_cbranch_scc0 .LBB87_2811
; %bb.2810:
	s_wait_xcnt 0x0
	v_mov_b32_e32 v2, 0
	s_mov_b32 s4, 0
	global_store_b16 v[0:1], v2, off
.LBB87_2811:
	s_mov_b32 s8, 0
.LBB87_2812:
	s_delay_alu instid0(SALU_CYCLE_1)
	s_and_b32 vcc_lo, exec_lo, s8
	s_mov_b32 s8, 0
	s_cbranch_vccz .LBB87_2815
; %bb.2813:
	s_cmp_lg_u32 s5, 11
	s_mov_b32 s8, -1
	s_cselect_b32 s5, -1, 0
	s_and_not1_b32 s4, s4, exec_lo
	s_and_b32 s5, s5, exec_lo
	s_delay_alu instid0(SALU_CYCLE_1)
	s_or_b32 s4, s4, s5
	s_branch .LBB87_2815
.LBB87_2814:
	s_mov_b32 s8, 0
.LBB87_2815:
	s_and_not1_b32 s5, s60, exec_lo
	s_and_b32 s4, s4, exec_lo
	s_and_b32 s7, s7, exec_lo
	;; [unrolled: 1-line block ×3, first 2 shown]
	s_or_b32 s60, s5, s4
	s_wait_xcnt 0x0
	s_or_b32 exec_lo, exec_lo, s6
	s_and_saveexec_b32 s4, s60
	s_cbranch_execz .LBB87_2764
.LBB87_2816:
	s_or_b32 s1, s1, exec_lo
	s_and_not1_b32 s9, s9, exec_lo
	s_trap 2
	s_or_b32 exec_lo, exec_lo, s4
	s_and_saveexec_b32 s4, s9
	s_delay_alu instid0(SALU_CYCLE_1)
	s_xor_b32 s4, exec_lo, s4
	s_cbranch_execnz .LBB87_2765
.LBB87_2817:
	s_or_b32 exec_lo, exec_lo, s4
	s_and_saveexec_b32 s4, s7
	s_delay_alu instid0(SALU_CYCLE_1)
	s_xor_b32 s4, exec_lo, s4
	s_cbranch_execz .LBB87_2855
.LBB87_2818:
	s_sext_i32_i16 s6, s0
	s_mov_b32 s5, -1
	s_cmp_lt_i32 s6, 5
	s_cbranch_scc1 .LBB87_2839
; %bb.2819:
	s_cmp_lt_i32 s6, 8
	s_cbranch_scc1 .LBB87_2829
; %bb.2820:
	;; [unrolled: 3-line block ×3, first 2 shown]
	s_cmp_gt_i32 s6, 9
	s_cbranch_scc0 .LBB87_2823
; %bb.2822:
	v_mov_b32_e32 v2, 0
	s_mov_b32 s5, 0
	s_wait_loadcnt 0x0
	s_delay_alu instid0(VALU_DEP_1)
	v_dual_mov_b32 v3, v2 :: v_dual_mov_b32 v4, v2
	v_mov_b32_e32 v5, v2
	global_store_b128 v[0:1], v[2:5], off
.LBB87_2823:
	s_and_not1_b32 vcc_lo, exec_lo, s5
	s_cbranch_vccnz .LBB87_2825
; %bb.2824:
	s_wait_loadcnt 0x0
	v_mov_b64_e32 v[2:3], 0
	global_store_b64 v[0:1], v[2:3], off
.LBB87_2825:
	s_mov_b32 s5, 0
.LBB87_2826:
	s_delay_alu instid0(SALU_CYCLE_1)
	s_and_not1_b32 vcc_lo, exec_lo, s5
	s_cbranch_vccnz .LBB87_2828
; %bb.2827:
	s_wait_xcnt 0x0
	v_mov_b32_e32 v2, 0
	s_wait_loadcnt 0x0
	global_store_b32 v[0:1], v2, off
.LBB87_2828:
	s_mov_b32 s5, 0
.LBB87_2829:
	s_delay_alu instid0(SALU_CYCLE_1)
	s_and_not1_b32 vcc_lo, exec_lo, s5
	s_cbranch_vccnz .LBB87_2838
; %bb.2830:
	s_sext_i32_i16 s6, s0
	s_mov_b32 s5, -1
	s_cmp_lt_i32 s6, 6
	s_cbranch_scc1 .LBB87_2836
; %bb.2831:
	s_cmp_gt_i32 s6, 6
	s_cbranch_scc0 .LBB87_2833
; %bb.2832:
	s_wait_loadcnt 0x0
	v_mov_b64_e32 v[2:3], 0
	s_mov_b32 s5, 0
	global_store_b64 v[0:1], v[2:3], off
.LBB87_2833:
	s_and_not1_b32 vcc_lo, exec_lo, s5
	s_cbranch_vccnz .LBB87_2835
; %bb.2834:
	s_wait_xcnt 0x0
	v_mov_b32_e32 v2, 0
	s_wait_loadcnt 0x0
	global_store_b32 v[0:1], v2, off
.LBB87_2835:
	s_mov_b32 s5, 0
.LBB87_2836:
	s_delay_alu instid0(SALU_CYCLE_1)
	s_and_not1_b32 vcc_lo, exec_lo, s5
	s_cbranch_vccnz .LBB87_2838
; %bb.2837:
	s_wait_xcnt 0x0
	v_mov_b32_e32 v2, 0
	s_wait_loadcnt 0x0
	global_store_b16 v[0:1], v2, off
.LBB87_2838:
	s_mov_b32 s5, 0
.LBB87_2839:
	s_delay_alu instid0(SALU_CYCLE_1)
	s_and_not1_b32 vcc_lo, exec_lo, s5
	s_cbranch_vccnz .LBB87_2855
; %bb.2840:
	s_sext_i32_i16 s6, s0
	s_mov_b32 s5, -1
	s_cmp_lt_i32 s6, 2
	s_cbranch_scc1 .LBB87_2850
; %bb.2841:
	s_cmp_lt_i32 s6, 3
	s_cbranch_scc1 .LBB87_2847
; %bb.2842:
	s_cmp_gt_i32 s6, 3
	s_cbranch_scc0 .LBB87_2844
; %bb.2843:
	s_wait_loadcnt 0x0
	v_mov_b64_e32 v[2:3], 0
	s_mov_b32 s5, 0
	global_store_b64 v[0:1], v[2:3], off
.LBB87_2844:
	s_and_not1_b32 vcc_lo, exec_lo, s5
	s_cbranch_vccnz .LBB87_2846
; %bb.2845:
	s_wait_xcnt 0x0
	v_mov_b32_e32 v2, 0
	s_wait_loadcnt 0x0
	global_store_b32 v[0:1], v2, off
.LBB87_2846:
	s_mov_b32 s5, 0
.LBB87_2847:
	s_delay_alu instid0(SALU_CYCLE_1)
	s_and_not1_b32 vcc_lo, exec_lo, s5
	s_cbranch_vccnz .LBB87_2849
; %bb.2848:
	s_wait_xcnt 0x0
	v_mov_b32_e32 v2, 0
	s_wait_loadcnt 0x0
	global_store_b16 v[0:1], v2, off
.LBB87_2849:
	s_mov_b32 s5, 0
.LBB87_2850:
	s_delay_alu instid0(SALU_CYCLE_1)
	s_and_not1_b32 vcc_lo, exec_lo, s5
	s_cbranch_vccnz .LBB87_2855
; %bb.2851:
	s_sext_i32_i16 s0, s0
	s_delay_alu instid0(SALU_CYCLE_1)
	s_cmp_gt_i32 s0, 0
	s_mov_b32 s0, -1
	s_cbranch_scc0 .LBB87_2853
; %bb.2852:
	s_wait_xcnt 0x0
	v_mov_b32_e32 v2, 0
	s_mov_b32 s0, 0
	s_wait_loadcnt 0x0
	global_store_b8 v[0:1], v2, off
.LBB87_2853:
	s_and_not1_b32 vcc_lo, exec_lo, s0
	s_cbranch_vccnz .LBB87_2855
; %bb.2854:
	s_wait_xcnt 0x0
	v_mov_b32_e32 v2, 0
	s_wait_loadcnt 0x0
	global_store_b8 v[0:1], v2, off
.LBB87_2855:
	s_wait_xcnt 0x0
	s_or_b32 exec_lo, exec_lo, s4
	s_delay_alu instid0(SALU_CYCLE_1)
	s_and_b32 s36, s1, exec_lo
                                        ; implicit-def: $vgpr1
                                        ; implicit-def: $vgpr0
.LBB87_2856:
	s_or_saveexec_b32 s37, s65
	s_mov_b32 s4, 0
                                        ; implicit-def: $vgpr38_vgpr39
                                        ; implicit-def: $sgpr0
	s_xor_b32 exec_lo, exec_lo, s37
	s_cbranch_execz .LBB87_3533
; %bb.2857:
	s_wait_loadcnt 0x0
	v_cndmask_b32_e64 v3, 0, 1, s64
	s_and_not1_b32 vcc_lo, exec_lo, s64
	s_cbranch_vccnz .LBB87_2863
; %bb.2858:
	s_cmp_lg_u32 s33, 0
	s_mov_b32 s6, 0
	s_cbranch_scc0 .LBB87_2867
; %bb.2859:
	s_min_u32 s7, s62, 15
	v_dual_mov_b32 v40, 0 :: v_dual_mov_b32 v2, v0
	v_dual_mov_b32 v38, 0 :: v_dual_mov_b32 v44, 0
	;; [unrolled: 1-line block ×3, first 2 shown]
	v_mov_b32_e32 v46, 0
	s_add_co_i32 s4, s7, 1
	s_mov_b64 s[0:1], 0xffffffffffffffd0
	s_and_b32 s8, s4, 30
	s_add_nc_u64 s[0:1], s[2:3], s[0:1]
	s_mov_b64 s[4:5], s[2:3]
.LBB87_2860:                            ; =>This Inner Loop Header: Depth=1
	s_clause 0x1
	s_load_b128 s[20:23], s[4:5], 0x4
	s_load_b64 s[10:11], s[4:5], 0x14
	s_clause 0x1
	s_load_b256 s[12:19], s[0:1], 0xf4
	s_load_b128 s[24:27], s[0:1], 0x114
	s_add_co_i32 s8, s8, -2
	s_wait_xcnt 0x0
	s_add_nc_u64 s[4:5], s[4:5], 24
	s_cmp_lg_u32 s8, 0
	s_add_nc_u64 s[0:1], s[0:1], 48
	s_wait_kmcnt 0x0
	v_mul_hi_u32 v4, s21, v2
	s_delay_alu instid0(VALU_DEP_1) | instskip(NEXT) | instid1(VALU_DEP_1)
	v_add_nc_u32_e32 v4, v2, v4
	v_lshrrev_b32_e32 v4, s22, v4
	s_delay_alu instid0(VALU_DEP_1) | instskip(SKIP_1) | instid1(VALU_DEP_1)
	v_mul_hi_u32 v5, s10, v4
	v_mul_lo_u32 v7, v4, s20
	v_dual_add_nc_u32 v5, v4, v5 :: v_dual_sub_nc_u32 v7, v2, v7
	s_delay_alu instid0(VALU_DEP_1) | instskip(NEXT) | instid1(VALU_DEP_2)
	v_lshrrev_b32_e32 v2, s11, v5
	v_mad_u32 v5, v7, s13, v46
	v_mad_u32 v6, v7, s12, v6
	;; [unrolled: 1-line block ×4, first 2 shown]
	v_mul_lo_u32 v8, v2, s23
	v_mad_u32 v11, s17, v7, v38
	v_mad_u32 v7, s16, v7, v40
	s_delay_alu instid0(VALU_DEP_3) | instskip(NEXT) | instid1(VALU_DEP_1)
	v_sub_nc_u32_e32 v4, v4, v8
	v_mad_u32 v46, v4, s19, v5
	v_mad_u32 v6, v4, s18, v6
	;; [unrolled: 1-line block ×6, first 2 shown]
	s_cbranch_scc1 .LBB87_2860
; %bb.2861:
	s_bitcmp1_b32 s7, 0
	s_cselect_b32 s7, -1, 0
	s_delay_alu instid0(SALU_CYCLE_1)
	s_and_b32 vcc_lo, exec_lo, s7
	s_cbranch_vccnz .LBB87_2864
; %bb.2862:
	s_load_b96 s[12:14], s[4:5], 0x4
	s_load_b128 s[8:11], s[0:1], 0xf4
	s_wait_xcnt 0x0
	s_load_b64 s[4:5], s[0:1], 0x104
	s_wait_kmcnt 0x0
	v_mul_hi_u32 v4, s13, v2
	s_delay_alu instid0(VALU_DEP_1) | instskip(NEXT) | instid1(VALU_DEP_1)
	v_add_nc_u32_e32 v4, v2, v4
	v_lshrrev_b32_e32 v4, s14, v4
	s_delay_alu instid0(VALU_DEP_1) | instskip(NEXT) | instid1(VALU_DEP_1)
	v_mul_lo_u32 v4, v4, s12
	v_sub_nc_u32_e32 v2, v2, v4
	s_delay_alu instid0(VALU_DEP_1)
	v_mad_u32 v6, v2, s8, v6
	v_mad_u32 v46, v2, s9, v46
	;; [unrolled: 1-line block ×6, first 2 shown]
	s_and_not1_b32 vcc_lo, exec_lo, s6
	s_cbranch_vccz .LBB87_2865
	s_branch .LBB87_2868
.LBB87_2863:
	s_mov_b32 s6, -1
                                        ; implicit-def: $vgpr46
                                        ; implicit-def: $vgpr6
                                        ; implicit-def: $vgpr42
                                        ; implicit-def: $vgpr44
                                        ; implicit-def: $vgpr38
                                        ; implicit-def: $vgpr40
.LBB87_2864:
	s_delay_alu instid0(SALU_CYCLE_1)
	s_and_not1_b32 vcc_lo, exec_lo, s6
	s_cbranch_vccnz .LBB87_2868
.LBB87_2865:
	s_clause 0x2
	s_load_b96 s[8:10], s[2:3], 0x4
	s_load_b128 s[4:7], s[2:3], 0xc4
	s_load_b64 s[0:1], s[2:3], 0xd4
	s_cmp_lt_u32 s33, 2
	s_wait_kmcnt 0x0
	v_mul_hi_u32 v2, s9, v0
	s_delay_alu instid0(VALU_DEP_1) | instskip(NEXT) | instid1(VALU_DEP_1)
	v_add_nc_u32_e32 v2, v0, v2
	v_lshrrev_b32_e32 v2, s10, v2
	s_delay_alu instid0(VALU_DEP_1) | instskip(NEXT) | instid1(VALU_DEP_1)
	v_mul_lo_u32 v4, v2, s8
	v_sub_nc_u32_e32 v4, v0, v4
	s_delay_alu instid0(VALU_DEP_1)
	v_mul_lo_u32 v46, v4, s5
	v_mul_lo_u32 v6, v4, s4
	;; [unrolled: 1-line block ×6, first 2 shown]
	s_cbranch_scc1 .LBB87_2868
; %bb.2866:
	s_clause 0x2
	s_load_b96 s[8:10], s[2:3], 0x10
	s_load_b128 s[4:7], s[2:3], 0xdc
	s_load_b64 s[0:1], s[2:3], 0xec
	s_wait_kmcnt 0x0
	v_mul_hi_u32 v4, s9, v2
	s_delay_alu instid0(VALU_DEP_1) | instskip(NEXT) | instid1(VALU_DEP_1)
	v_add_nc_u32_e32 v4, v2, v4
	v_lshrrev_b32_e32 v4, s10, v4
	s_delay_alu instid0(VALU_DEP_1) | instskip(NEXT) | instid1(VALU_DEP_1)
	v_mul_lo_u32 v4, v4, s8
	v_sub_nc_u32_e32 v2, v2, v4
	s_delay_alu instid0(VALU_DEP_1)
	v_mad_u32 v6, v2, s4, v6
	v_mad_u32 v46, v2, s5, v46
	;; [unrolled: 1-line block ×6, first 2 shown]
	s_branch .LBB87_2868
.LBB87_2867:
	v_dual_mov_b32 v46, 0 :: v_dual_mov_b32 v6, 0
	v_dual_mov_b32 v42, 0 :: v_dual_mov_b32 v44, 0
	v_dual_mov_b32 v38, 0 :: v_dual_mov_b32 v40, 0
	s_and_not1_b32 vcc_lo, exec_lo, s6
	s_cbranch_vccz .LBB87_2865
.LBB87_2868:
	v_cmp_ne_u32_e32 vcc_lo, 1, v3
	v_add_nc_u32_e32 v2, 0x80, v0
	s_cbranch_vccnz .LBB87_2874
; %bb.2869:
	s_cmp_lg_u32 s33, 0
	s_mov_b32 s6, 0
	s_cbranch_scc0 .LBB87_2878
; %bb.2870:
	s_min_u32 s7, s62, 15
	v_dual_mov_b32 v30, 0 :: v_dual_mov_b32 v5, v2
	v_dual_mov_b32 v28, 0 :: v_dual_mov_b32 v34, 0
	;; [unrolled: 1-line block ×3, first 2 shown]
	v_mov_b32_e32 v36, 0
	s_add_co_i32 s4, s7, 1
	s_mov_b64 s[0:1], 0xffffffffffffffd0
	s_and_b32 s8, s4, 30
	s_add_nc_u64 s[0:1], s[2:3], s[0:1]
	s_mov_b64 s[4:5], s[2:3]
.LBB87_2871:                            ; =>This Inner Loop Header: Depth=1
	s_clause 0x1
	s_load_b128 s[20:23], s[4:5], 0x4
	s_load_b64 s[10:11], s[4:5], 0x14
	s_clause 0x1
	s_load_b256 s[12:19], s[0:1], 0xf4
	s_load_b128 s[24:27], s[0:1], 0x114
	s_add_co_i32 s8, s8, -2
	s_wait_xcnt 0x0
	s_add_nc_u64 s[4:5], s[4:5], 24
	s_cmp_lg_u32 s8, 0
	s_add_nc_u64 s[0:1], s[0:1], 48
	s_wait_kmcnt 0x0
	v_mul_hi_u32 v7, s21, v5
	s_delay_alu instid0(VALU_DEP_1) | instskip(NEXT) | instid1(VALU_DEP_1)
	v_add_nc_u32_e32 v7, v5, v7
	v_lshrrev_b32_e32 v7, s22, v7
	s_delay_alu instid0(VALU_DEP_1) | instskip(SKIP_1) | instid1(VALU_DEP_1)
	v_mul_hi_u32 v8, s10, v7
	v_mul_lo_u32 v9, v7, s20
	v_dual_add_nc_u32 v8, v7, v8 :: v_dual_sub_nc_u32 v9, v5, v9
	s_delay_alu instid0(VALU_DEP_1) | instskip(NEXT) | instid1(VALU_DEP_2)
	v_lshrrev_b32_e32 v5, s11, v8
	v_mad_u32 v8, v9, s13, v36
	v_mad_u32 v4, v9, s12, v4
	;; [unrolled: 1-line block ×4, first 2 shown]
	v_mul_lo_u32 v10, v5, s23
	v_mad_u32 v13, s17, v9, v28
	v_mad_u32 v9, s16, v9, v30
	s_delay_alu instid0(VALU_DEP_3) | instskip(NEXT) | instid1(VALU_DEP_1)
	v_sub_nc_u32_e32 v7, v7, v10
	v_mad_u32 v36, v7, s19, v8
	v_mad_u32 v4, v7, s18, v4
	;; [unrolled: 1-line block ×6, first 2 shown]
	s_cbranch_scc1 .LBB87_2871
; %bb.2872:
	s_bitcmp1_b32 s7, 0
	s_cselect_b32 s7, -1, 0
	s_delay_alu instid0(SALU_CYCLE_1)
	s_and_b32 vcc_lo, exec_lo, s7
	s_cbranch_vccnz .LBB87_2875
; %bb.2873:
	s_load_b96 s[12:14], s[4:5], 0x4
	s_load_b128 s[8:11], s[0:1], 0xf4
	s_wait_xcnt 0x0
	s_load_b64 s[4:5], s[0:1], 0x104
	s_wait_kmcnt 0x0
	v_mul_hi_u32 v7, s13, v5
	s_delay_alu instid0(VALU_DEP_1) | instskip(NEXT) | instid1(VALU_DEP_1)
	v_add_nc_u32_e32 v7, v5, v7
	v_lshrrev_b32_e32 v7, s14, v7
	s_delay_alu instid0(VALU_DEP_1) | instskip(NEXT) | instid1(VALU_DEP_1)
	v_mul_lo_u32 v7, v7, s12
	v_sub_nc_u32_e32 v5, v5, v7
	s_delay_alu instid0(VALU_DEP_1)
	v_mad_u32 v4, v5, s8, v4
	v_mad_u32 v36, v5, s9, v36
	;; [unrolled: 1-line block ×6, first 2 shown]
	s_and_not1_b32 vcc_lo, exec_lo, s6
	s_cbranch_vccz .LBB87_2876
	s_branch .LBB87_2879
.LBB87_2874:
	s_mov_b32 s6, -1
                                        ; implicit-def: $vgpr36
                                        ; implicit-def: $vgpr4
                                        ; implicit-def: $vgpr32
                                        ; implicit-def: $vgpr34
                                        ; implicit-def: $vgpr28
                                        ; implicit-def: $vgpr30
.LBB87_2875:
	s_delay_alu instid0(SALU_CYCLE_1)
	s_and_not1_b32 vcc_lo, exec_lo, s6
	s_cbranch_vccnz .LBB87_2879
.LBB87_2876:
	s_clause 0x2
	s_load_b96 s[8:10], s[2:3], 0x4
	s_load_b128 s[4:7], s[2:3], 0xc4
	s_load_b64 s[0:1], s[2:3], 0xd4
	s_cmp_lt_u32 s33, 2
	s_wait_kmcnt 0x0
	v_mul_hi_u32 v4, s9, v2
	s_delay_alu instid0(VALU_DEP_1) | instskip(NEXT) | instid1(VALU_DEP_1)
	v_add_nc_u32_e32 v4, v2, v4
	v_lshrrev_b32_e32 v5, s10, v4
	s_delay_alu instid0(VALU_DEP_1) | instskip(NEXT) | instid1(VALU_DEP_1)
	v_mul_lo_u32 v4, v5, s8
	v_sub_nc_u32_e32 v2, v2, v4
	s_delay_alu instid0(VALU_DEP_1)
	v_mul_lo_u32 v36, v2, s5
	v_mul_lo_u32 v4, v2, s4
	;; [unrolled: 1-line block ×6, first 2 shown]
	s_cbranch_scc1 .LBB87_2879
; %bb.2877:
	s_clause 0x2
	s_load_b96 s[8:10], s[2:3], 0x10
	s_load_b128 s[4:7], s[2:3], 0xdc
	s_load_b64 s[0:1], s[2:3], 0xec
	s_wait_kmcnt 0x0
	v_mul_hi_u32 v2, s9, v5
	s_delay_alu instid0(VALU_DEP_1) | instskip(NEXT) | instid1(VALU_DEP_1)
	v_add_nc_u32_e32 v2, v5, v2
	v_lshrrev_b32_e32 v2, s10, v2
	s_delay_alu instid0(VALU_DEP_1) | instskip(NEXT) | instid1(VALU_DEP_1)
	v_mul_lo_u32 v2, v2, s8
	v_sub_nc_u32_e32 v2, v5, v2
	s_delay_alu instid0(VALU_DEP_1)
	v_mad_u32 v4, v2, s4, v4
	v_mad_u32 v36, v2, s5, v36
	v_mad_u32 v34, v2, s6, v34
	v_mad_u32 v32, v2, s7, v32
	v_mad_u32 v30, s0, v2, v30
	v_mad_u32 v28, s1, v2, v28
	s_branch .LBB87_2879
.LBB87_2878:
	v_dual_mov_b32 v36, 0 :: v_dual_mov_b32 v4, 0
	v_dual_mov_b32 v32, 0 :: v_dual_mov_b32 v34, 0
	;; [unrolled: 1-line block ×3, first 2 shown]
	s_and_not1_b32 vcc_lo, exec_lo, s6
	s_cbranch_vccz .LBB87_2876
.LBB87_2879:
	v_cmp_ne_u32_e32 vcc_lo, 1, v3
	v_add_nc_u32_e32 v0, 0x100, v0
	s_cbranch_vccnz .LBB87_2885
; %bb.2880:
	s_cmp_lg_u32 s33, 0
	s_mov_b32 s6, 0
	s_cbranch_scc0 .LBB87_2889
; %bb.2881:
	s_min_u32 s7, s62, 15
	v_dual_mov_b32 v20, 0 :: v_dual_mov_b32 v5, v0
	v_dual_mov_b32 v18, 0 :: v_dual_mov_b32 v24, 0
	;; [unrolled: 1-line block ×3, first 2 shown]
	v_mov_b32_e32 v26, 0
	s_add_co_i32 s4, s7, 1
	s_mov_b64 s[0:1], 0xffffffffffffffd0
	s_and_b32 s8, s4, 30
	s_add_nc_u64 s[0:1], s[2:3], s[0:1]
	s_mov_b64 s[4:5], s[2:3]
.LBB87_2882:                            ; =>This Inner Loop Header: Depth=1
	s_clause 0x1
	s_load_b128 s[20:23], s[4:5], 0x4
	s_load_b64 s[10:11], s[4:5], 0x14
	s_clause 0x1
	s_load_b256 s[12:19], s[0:1], 0xf4
	s_load_b128 s[24:27], s[0:1], 0x114
	s_add_co_i32 s8, s8, -2
	s_wait_xcnt 0x0
	s_add_nc_u64 s[4:5], s[4:5], 24
	s_cmp_lg_u32 s8, 0
	s_add_nc_u64 s[0:1], s[0:1], 48
	s_wait_kmcnt 0x0
	v_mul_hi_u32 v7, s21, v5
	s_delay_alu instid0(VALU_DEP_1) | instskip(NEXT) | instid1(VALU_DEP_1)
	v_add_nc_u32_e32 v7, v5, v7
	v_lshrrev_b32_e32 v7, s22, v7
	s_delay_alu instid0(VALU_DEP_1) | instskip(SKIP_1) | instid1(VALU_DEP_1)
	v_mul_hi_u32 v8, s10, v7
	v_mul_lo_u32 v9, v7, s20
	v_dual_add_nc_u32 v8, v7, v8 :: v_dual_sub_nc_u32 v9, v5, v9
	s_delay_alu instid0(VALU_DEP_1) | instskip(NEXT) | instid1(VALU_DEP_2)
	v_lshrrev_b32_e32 v5, s11, v8
	v_mad_u32 v8, v9, s13, v26
	v_mad_u32 v2, v9, s12, v2
	;; [unrolled: 1-line block ×4, first 2 shown]
	v_mul_lo_u32 v10, v5, s23
	v_mad_u32 v13, s17, v9, v18
	v_mad_u32 v9, s16, v9, v20
	s_delay_alu instid0(VALU_DEP_3) | instskip(NEXT) | instid1(VALU_DEP_1)
	v_sub_nc_u32_e32 v7, v7, v10
	v_mad_u32 v26, v7, s19, v8
	v_mad_u32 v2, v7, s18, v2
	;; [unrolled: 1-line block ×6, first 2 shown]
	s_cbranch_scc1 .LBB87_2882
; %bb.2883:
	s_bitcmp1_b32 s7, 0
	s_cselect_b32 s7, -1, 0
	s_delay_alu instid0(SALU_CYCLE_1)
	s_and_b32 vcc_lo, exec_lo, s7
	s_cbranch_vccnz .LBB87_2886
; %bb.2884:
	s_load_b96 s[12:14], s[4:5], 0x4
	s_load_b128 s[8:11], s[0:1], 0xf4
	s_wait_xcnt 0x0
	s_load_b64 s[4:5], s[0:1], 0x104
	s_wait_kmcnt 0x0
	v_mul_hi_u32 v7, s13, v5
	s_delay_alu instid0(VALU_DEP_1) | instskip(NEXT) | instid1(VALU_DEP_1)
	v_add_nc_u32_e32 v7, v5, v7
	v_lshrrev_b32_e32 v7, s14, v7
	s_delay_alu instid0(VALU_DEP_1) | instskip(NEXT) | instid1(VALU_DEP_1)
	v_mul_lo_u32 v7, v7, s12
	v_sub_nc_u32_e32 v5, v5, v7
	s_delay_alu instid0(VALU_DEP_1)
	v_mad_u32 v2, v5, s8, v2
	v_mad_u32 v26, v5, s9, v26
	v_mad_u32 v24, v5, s10, v24
	v_mad_u32 v22, v5, s11, v22
	v_mad_u32 v20, s4, v5, v20
	v_mad_u32 v18, s5, v5, v18
	s_and_not1_b32 vcc_lo, exec_lo, s6
	s_cbranch_vccz .LBB87_2887
	s_branch .LBB87_2890
.LBB87_2885:
	s_mov_b32 s6, -1
                                        ; implicit-def: $vgpr26
                                        ; implicit-def: $vgpr2
                                        ; implicit-def: $vgpr22
                                        ; implicit-def: $vgpr24
                                        ; implicit-def: $vgpr18
                                        ; implicit-def: $vgpr20
.LBB87_2886:
	s_delay_alu instid0(SALU_CYCLE_1)
	s_and_not1_b32 vcc_lo, exec_lo, s6
	s_cbranch_vccnz .LBB87_2890
.LBB87_2887:
	s_clause 0x2
	s_load_b96 s[8:10], s[2:3], 0x4
	s_load_b128 s[4:7], s[2:3], 0xc4
	s_load_b64 s[0:1], s[2:3], 0xd4
	s_cmp_lt_u32 s33, 2
	s_wait_kmcnt 0x0
	v_mul_hi_u32 v2, s9, v0
	s_delay_alu instid0(VALU_DEP_1) | instskip(NEXT) | instid1(VALU_DEP_1)
	v_add_nc_u32_e32 v2, v0, v2
	v_lshrrev_b32_e32 v5, s10, v2
	s_delay_alu instid0(VALU_DEP_1) | instskip(NEXT) | instid1(VALU_DEP_1)
	v_mul_lo_u32 v2, v5, s8
	v_sub_nc_u32_e32 v0, v0, v2
	s_delay_alu instid0(VALU_DEP_1)
	v_mul_lo_u32 v26, v0, s5
	v_mul_lo_u32 v2, v0, s4
	v_mul_lo_u32 v22, v0, s7
	v_mul_lo_u32 v24, v0, s6
	v_mul_lo_u32 v18, s1, v0
	v_mul_lo_u32 v20, s0, v0
	s_cbranch_scc1 .LBB87_2890
; %bb.2888:
	s_clause 0x2
	s_load_b96 s[8:10], s[2:3], 0x10
	s_load_b128 s[4:7], s[2:3], 0xdc
	s_load_b64 s[0:1], s[2:3], 0xec
	s_wait_kmcnt 0x0
	v_mul_hi_u32 v0, s9, v5
	s_delay_alu instid0(VALU_DEP_1) | instskip(NEXT) | instid1(VALU_DEP_1)
	v_add_nc_u32_e32 v0, v5, v0
	v_lshrrev_b32_e32 v0, s10, v0
	s_delay_alu instid0(VALU_DEP_1) | instskip(NEXT) | instid1(VALU_DEP_1)
	v_mul_lo_u32 v0, v0, s8
	v_sub_nc_u32_e32 v0, v5, v0
	s_delay_alu instid0(VALU_DEP_1)
	v_mad_u32 v2, v0, s4, v2
	v_mad_u32 v26, v0, s5, v26
	v_mad_u32 v24, v0, s6, v24
	v_mad_u32 v22, v0, s7, v22
	v_mad_u32 v20, s0, v0, v20
	v_mad_u32 v18, s1, v0, v18
	s_branch .LBB87_2890
.LBB87_2889:
	v_dual_mov_b32 v26, 0 :: v_dual_mov_b32 v2, 0
	v_dual_mov_b32 v22, 0 :: v_dual_mov_b32 v24, 0
	v_dual_mov_b32 v18, 0 :: v_dual_mov_b32 v20, 0
	s_and_not1_b32 vcc_lo, exec_lo, s6
	s_cbranch_vccz .LBB87_2887
.LBB87_2890:
	v_cmp_ne_u32_e32 vcc_lo, 1, v3
	s_cbranch_vccnz .LBB87_2896
; %bb.2891:
	s_cmp_lg_u32 s33, 0
	s_mov_b32 s6, 0
	s_cbranch_scc0 .LBB87_2900
; %bb.2892:
	s_min_u32 s7, s62, 15
	v_dual_mov_b32 v10, 0 :: v_dual_mov_b32 v3, v1
	v_dual_mov_b32 v8, 0 :: v_dual_mov_b32 v14, 0
	;; [unrolled: 1-line block ×3, first 2 shown]
	v_mov_b32_e32 v16, 0
	s_add_co_i32 s4, s7, 1
	s_mov_b64 s[0:1], 0xffffffffffffffd0
	s_and_b32 s8, s4, 30
	s_add_nc_u64 s[0:1], s[2:3], s[0:1]
	s_mov_b64 s[4:5], s[2:3]
.LBB87_2893:                            ; =>This Inner Loop Header: Depth=1
	s_clause 0x1
	s_load_b128 s[20:23], s[4:5], 0x4
	s_load_b64 s[10:11], s[4:5], 0x14
	s_clause 0x1
	s_load_b256 s[12:19], s[0:1], 0xf4
	s_load_b128 s[24:27], s[0:1], 0x114
	s_add_co_i32 s8, s8, -2
	s_wait_xcnt 0x0
	s_add_nc_u64 s[4:5], s[4:5], 24
	s_cmp_lg_u32 s8, 0
	s_add_nc_u64 s[0:1], s[0:1], 48
	s_wait_kmcnt 0x0
	v_mul_hi_u32 v5, s21, v3
	s_delay_alu instid0(VALU_DEP_1) | instskip(NEXT) | instid1(VALU_DEP_1)
	v_add_nc_u32_e32 v5, v3, v5
	v_lshrrev_b32_e32 v5, s22, v5
	s_delay_alu instid0(VALU_DEP_1) | instskip(SKIP_1) | instid1(VALU_DEP_1)
	v_mul_hi_u32 v7, s10, v5
	v_mul_lo_u32 v9, v5, s20
	v_dual_add_nc_u32 v7, v5, v7 :: v_dual_sub_nc_u32 v9, v3, v9
	s_delay_alu instid0(VALU_DEP_1) | instskip(NEXT) | instid1(VALU_DEP_2)
	v_lshrrev_b32_e32 v3, s11, v7
	v_mad_u32 v7, v9, s13, v16
	v_mad_u32 v0, v9, s12, v0
	;; [unrolled: 1-line block ×4, first 2 shown]
	v_mul_lo_u32 v11, v3, s23
	v_mad_u32 v8, s17, v9, v8
	v_mad_u32 v9, s16, v9, v10
	s_delay_alu instid0(VALU_DEP_3) | instskip(NEXT) | instid1(VALU_DEP_1)
	v_sub_nc_u32_e32 v5, v5, v11
	v_mad_u32 v16, v5, s19, v7
	v_mad_u32 v0, v5, s18, v0
	;; [unrolled: 1-line block ×6, first 2 shown]
	s_cbranch_scc1 .LBB87_2893
; %bb.2894:
	s_bitcmp1_b32 s7, 0
	s_cselect_b32 s7, -1, 0
	s_delay_alu instid0(SALU_CYCLE_1)
	s_and_b32 vcc_lo, exec_lo, s7
	s_cbranch_vccnz .LBB87_2897
; %bb.2895:
	s_load_b96 s[12:14], s[4:5], 0x4
	s_load_b128 s[8:11], s[0:1], 0xf4
	s_wait_xcnt 0x0
	s_load_b64 s[4:5], s[0:1], 0x104
	s_wait_kmcnt 0x0
	v_mul_hi_u32 v5, s13, v3
	s_delay_alu instid0(VALU_DEP_1) | instskip(NEXT) | instid1(VALU_DEP_1)
	v_add_nc_u32_e32 v5, v3, v5
	v_lshrrev_b32_e32 v5, s14, v5
	s_delay_alu instid0(VALU_DEP_1) | instskip(NEXT) | instid1(VALU_DEP_1)
	v_mul_lo_u32 v5, v5, s12
	v_sub_nc_u32_e32 v3, v3, v5
	s_delay_alu instid0(VALU_DEP_1)
	v_mad_u32 v0, v3, s8, v0
	v_mad_u32 v16, v3, s9, v16
	;; [unrolled: 1-line block ×6, first 2 shown]
	s_and_not1_b32 vcc_lo, exec_lo, s6
	s_cbranch_vccz .LBB87_2898
	s_branch .LBB87_2901
.LBB87_2896:
	s_mov_b32 s6, -1
                                        ; implicit-def: $vgpr16
                                        ; implicit-def: $vgpr0
                                        ; implicit-def: $vgpr12
                                        ; implicit-def: $vgpr14
                                        ; implicit-def: $vgpr8
                                        ; implicit-def: $vgpr10
.LBB87_2897:
	s_delay_alu instid0(SALU_CYCLE_1)
	s_and_not1_b32 vcc_lo, exec_lo, s6
	s_cbranch_vccnz .LBB87_2901
.LBB87_2898:
	s_clause 0x2
	s_load_b96 s[8:10], s[2:3], 0x4
	s_load_b128 s[4:7], s[2:3], 0xc4
	s_load_b64 s[0:1], s[2:3], 0xd4
	s_cmp_lt_u32 s33, 2
	s_wait_kmcnt 0x0
	v_mul_hi_u32 v0, s9, v1
	s_delay_alu instid0(VALU_DEP_1) | instskip(NEXT) | instid1(VALU_DEP_1)
	v_add_nc_u32_e32 v0, v1, v0
	v_lshrrev_b32_e32 v3, s10, v0
	s_delay_alu instid0(VALU_DEP_1) | instskip(NEXT) | instid1(VALU_DEP_1)
	v_mul_lo_u32 v0, v3, s8
	v_sub_nc_u32_e32 v1, v1, v0
	s_delay_alu instid0(VALU_DEP_1)
	v_mul_lo_u32 v16, v1, s5
	v_mul_lo_u32 v0, v1, s4
	;; [unrolled: 1-line block ×6, first 2 shown]
	s_cbranch_scc1 .LBB87_2901
; %bb.2899:
	s_clause 0x2
	s_load_b96 s[8:10], s[2:3], 0x10
	s_load_b128 s[4:7], s[2:3], 0xdc
	s_load_b64 s[0:1], s[2:3], 0xec
	s_wait_kmcnt 0x0
	v_mul_hi_u32 v1, s9, v3
	s_delay_alu instid0(VALU_DEP_1) | instskip(NEXT) | instid1(VALU_DEP_1)
	v_add_nc_u32_e32 v1, v3, v1
	v_lshrrev_b32_e32 v1, s10, v1
	s_delay_alu instid0(VALU_DEP_1) | instskip(NEXT) | instid1(VALU_DEP_1)
	v_mul_lo_u32 v1, v1, s8
	v_sub_nc_u32_e32 v1, v3, v1
	s_delay_alu instid0(VALU_DEP_1)
	v_mad_u32 v0, v1, s4, v0
	v_mad_u32 v16, v1, s5, v16
	;; [unrolled: 1-line block ×6, first 2 shown]
	s_branch .LBB87_2901
.LBB87_2900:
	v_dual_mov_b32 v16, 0 :: v_dual_mov_b32 v0, 0
	v_dual_mov_b32 v12, 0 :: v_dual_mov_b32 v14, 0
	;; [unrolled: 1-line block ×3, first 2 shown]
	s_and_not1_b32 vcc_lo, exec_lo, s6
	s_cbranch_vccz .LBB87_2898
.LBB87_2901:
	v_mov_b32_e32 v47, 0
	s_load_b128 s[4:7], s[2:3], 0x248
	global_load_u8 v1, v47, s[2:3] offset:801
	s_wait_kmcnt 0x0
	v_add_nc_u64_e32 v[46:47], s[6:7], v[46:47]
	s_wait_loadcnt 0x0
	v_and_b32_e32 v3, 0xffff, v1
	v_readfirstlane_b32 s34, v1
	s_delay_alu instid0(VALU_DEP_2)
	v_cmp_gt_i32_e32 vcc_lo, 11, v3
	s_cbranch_vccnz .LBB87_2908
; %bb.2902:
	s_and_b32 s0, 0xffff, s34
	s_mov_b32 s8, 0
	s_cmp_gt_i32 s0, 25
	s_cbranch_scc0 .LBB87_2910
; %bb.2903:
	s_cmp_gt_i32 s0, 28
	s_cbranch_scc0 .LBB87_2911
; %bb.2904:
	;; [unrolled: 3-line block ×4, first 2 shown]
	s_cmp_eq_u32 s0, 46
	s_mov_b32 s10, 0
	s_cbranch_scc0 .LBB87_2914
; %bb.2907:
	global_load_b32 v1, v[46:47], off
	s_mov_b32 s1, 0
	s_mov_b32 s9, -1
	s_wait_loadcnt 0x0
	v_lshlrev_b32_e32 v1, 16, v1
	s_delay_alu instid0(VALU_DEP_1)
	v_cvt_i32_f32_e32 v1, v1
	s_branch .LBB87_2916
.LBB87_2908:
	s_mov_b32 s9, 0
	s_mov_b32 s33, s36
                                        ; implicit-def: $vgpr1
	s_cbranch_execnz .LBB87_2974
.LBB87_2909:
	s_and_not1_b32 vcc_lo, exec_lo, s9
	s_cbranch_vccz .LBB87_3019
	s_branch .LBB87_3531
.LBB87_2910:
	s_mov_b32 s9, 0
	s_mov_b32 s1, 0
                                        ; implicit-def: $vgpr1
	s_cbranch_execnz .LBB87_2941
	s_branch .LBB87_2970
.LBB87_2911:
	s_mov_b32 s9, 0
	s_mov_b32 s1, 0
                                        ; implicit-def: $vgpr1
	s_cbranch_execz .LBB87_2940
	s_branch .LBB87_2925
.LBB87_2912:
	s_mov_b32 s9, 0
	s_mov_b32 s1, 0
                                        ; implicit-def: $vgpr1
	s_cbranch_execnz .LBB87_2921
	s_branch .LBB87_2924
.LBB87_2913:
	s_mov_b32 s10, -1
	s_mov_b32 s9, 0
	s_mov_b32 s1, 0
	s_branch .LBB87_2915
.LBB87_2914:
	s_mov_b32 s1, -1
	s_mov_b32 s9, 0
.LBB87_2915:
                                        ; implicit-def: $vgpr1
.LBB87_2916:
	s_and_b32 vcc_lo, exec_lo, s10
	s_cbranch_vccz .LBB87_2919
; %bb.2917:
	s_cmp_eq_u32 s0, 44
	s_cbranch_scc0 .LBB87_2920
; %bb.2918:
	global_load_u8 v1, v[46:47], off
	s_mov_b32 s1, 0
	s_mov_b32 s9, -1
	s_wait_loadcnt 0x0
	v_lshlrev_b32_e32 v3, 23, v1
	v_cmp_ne_u32_e32 vcc_lo, 0, v1
	s_delay_alu instid0(VALU_DEP_2) | instskip(NEXT) | instid1(VALU_DEP_1)
	v_cvt_i32_f32_e32 v3, v3
	v_cndmask_b32_e32 v1, 0, v3, vcc_lo
.LBB87_2919:
	s_branch .LBB87_2924
.LBB87_2920:
	s_mov_b32 s1, -1
                                        ; implicit-def: $vgpr1
	s_branch .LBB87_2924
.LBB87_2921:
	s_cmp_eq_u32 s0, 29
	s_cbranch_scc0 .LBB87_2923
; %bb.2922:
	global_load_b32 v1, v[46:47], off
	s_mov_b32 s1, 0
	s_mov_b32 s9, -1
	s_branch .LBB87_2924
.LBB87_2923:
	s_mov_b32 s1, -1
                                        ; implicit-def: $vgpr1
.LBB87_2924:
	s_branch .LBB87_2940
.LBB87_2925:
	s_cmp_lt_i32 s0, 27
	s_cbranch_scc1 .LBB87_2928
; %bb.2926:
	s_cmp_gt_i32 s0, 27
	s_cbranch_scc0 .LBB87_2929
; %bb.2927:
	s_wait_loadcnt 0x0
	global_load_b32 v1, v[46:47], off
	s_mov_b32 s9, 0
	s_branch .LBB87_2930
.LBB87_2928:
	s_mov_b32 s9, -1
                                        ; implicit-def: $vgpr1
	s_branch .LBB87_2933
.LBB87_2929:
	s_mov_b32 s9, -1
                                        ; implicit-def: $vgpr1
.LBB87_2930:
	s_delay_alu instid0(SALU_CYCLE_1)
	s_and_not1_b32 vcc_lo, exec_lo, s9
	s_cbranch_vccnz .LBB87_2932
; %bb.2931:
	s_wait_loadcnt 0x0
	global_load_u16 v1, v[46:47], off
.LBB87_2932:
	s_mov_b32 s9, 0
.LBB87_2933:
	s_delay_alu instid0(SALU_CYCLE_1)
	s_and_not1_b32 vcc_lo, exec_lo, s9
	s_cbranch_vccnz .LBB87_2939
; %bb.2934:
	global_load_u8 v3, v[46:47], off
	s_mov_b32 s10, 0
	s_mov_b32 s9, exec_lo
	s_wait_loadcnt 0x0
	v_cmpx_lt_i16_e32 0x7f, v3
	s_xor_b32 s9, exec_lo, s9
	s_cbranch_execz .LBB87_2950
; %bb.2935:
	v_cmp_ne_u16_e32 vcc_lo, 0x80, v3
	s_and_b32 s10, vcc_lo, exec_lo
	s_and_not1_saveexec_b32 s9, s9
	s_cbranch_execnz .LBB87_2951
.LBB87_2936:
	s_or_b32 exec_lo, exec_lo, s9
	v_mov_b32_e32 v1, 0
	s_and_saveexec_b32 s9, s10
	s_cbranch_execz .LBB87_2938
.LBB87_2937:
	v_and_b32_e32 v1, 0xffff, v3
	s_delay_alu instid0(VALU_DEP_1) | instskip(SKIP_1) | instid1(VALU_DEP_2)
	v_and_b32_e32 v5, 7, v1
	v_bfe_u32 v11, v1, 3, 4
	v_clz_i32_u32_e32 v7, v5
	s_delay_alu instid0(VALU_DEP_2) | instskip(NEXT) | instid1(VALU_DEP_2)
	v_cmp_eq_u32_e32 vcc_lo, 0, v11
	v_min_u32_e32 v7, 32, v7
	s_delay_alu instid0(VALU_DEP_1) | instskip(NEXT) | instid1(VALU_DEP_1)
	v_subrev_nc_u32_e32 v9, 28, v7
	v_dual_lshlrev_b32 v1, v9, v1 :: v_dual_sub_nc_u32 v7, 29, v7
	s_delay_alu instid0(VALU_DEP_1) | instskip(NEXT) | instid1(VALU_DEP_1)
	v_dual_lshlrev_b32 v3, 24, v3 :: v_dual_bitop2_b32 v1, 7, v1 bitop3:0x40
	v_dual_cndmask_b32 v1, v5, v1, vcc_lo :: v_dual_cndmask_b32 v7, v11, v7, vcc_lo
	s_delay_alu instid0(VALU_DEP_2) | instskip(NEXT) | instid1(VALU_DEP_2)
	v_and_b32_e32 v3, 0x80000000, v3
	v_lshlrev_b32_e32 v1, 20, v1
	s_delay_alu instid0(VALU_DEP_3) | instskip(NEXT) | instid1(VALU_DEP_1)
	v_lshl_add_u32 v5, v7, 23, 0x3b800000
	v_or3_b32 v1, v3, v5, v1
	s_delay_alu instid0(VALU_DEP_1)
	v_cvt_i32_f32_e32 v1, v1
.LBB87_2938:
	s_or_b32 exec_lo, exec_lo, s9
.LBB87_2939:
	s_mov_b32 s9, -1
.LBB87_2940:
	s_branch .LBB87_2970
.LBB87_2941:
	s_cmp_gt_i32 s0, 22
	s_cbranch_scc0 .LBB87_2949
; %bb.2942:
	s_cmp_lt_i32 s0, 24
	s_cbranch_scc1 .LBB87_2952
; %bb.2943:
	s_cmp_gt_i32 s0, 24
	s_cbranch_scc0 .LBB87_2953
; %bb.2944:
	global_load_u8 v3, v[46:47], off
	s_mov_b32 s9, 0
	s_mov_b32 s8, exec_lo
	s_wait_loadcnt 0x0
	v_cmpx_lt_i16_e32 0x7f, v3
	s_xor_b32 s8, exec_lo, s8
	s_cbranch_execz .LBB87_2964
; %bb.2945:
	v_cmp_ne_u16_e32 vcc_lo, 0x80, v3
	s_and_b32 s9, vcc_lo, exec_lo
	s_and_not1_saveexec_b32 s8, s8
	s_cbranch_execnz .LBB87_2965
.LBB87_2946:
	s_or_b32 exec_lo, exec_lo, s8
	v_mov_b32_e32 v1, 0
	s_and_saveexec_b32 s8, s9
	s_cbranch_execz .LBB87_2948
.LBB87_2947:
	v_and_b32_e32 v1, 0xffff, v3
	s_delay_alu instid0(VALU_DEP_1) | instskip(SKIP_1) | instid1(VALU_DEP_2)
	v_and_b32_e32 v5, 3, v1
	v_bfe_u32 v11, v1, 2, 5
	v_clz_i32_u32_e32 v7, v5
	s_delay_alu instid0(VALU_DEP_2) | instskip(NEXT) | instid1(VALU_DEP_2)
	v_cmp_eq_u32_e32 vcc_lo, 0, v11
	v_min_u32_e32 v7, 32, v7
	s_delay_alu instid0(VALU_DEP_1) | instskip(NEXT) | instid1(VALU_DEP_1)
	v_subrev_nc_u32_e32 v9, 29, v7
	v_dual_lshlrev_b32 v1, v9, v1 :: v_dual_sub_nc_u32 v7, 30, v7
	s_delay_alu instid0(VALU_DEP_1) | instskip(NEXT) | instid1(VALU_DEP_1)
	v_dual_lshlrev_b32 v3, 24, v3 :: v_dual_bitop2_b32 v1, 3, v1 bitop3:0x40
	v_dual_cndmask_b32 v1, v5, v1, vcc_lo :: v_dual_cndmask_b32 v7, v11, v7, vcc_lo
	s_delay_alu instid0(VALU_DEP_2) | instskip(NEXT) | instid1(VALU_DEP_2)
	v_and_b32_e32 v3, 0x80000000, v3
	v_lshlrev_b32_e32 v1, 21, v1
	s_delay_alu instid0(VALU_DEP_3) | instskip(NEXT) | instid1(VALU_DEP_1)
	v_lshl_add_u32 v5, v7, 23, 0x37800000
	v_or3_b32 v1, v3, v5, v1
	s_delay_alu instid0(VALU_DEP_1)
	v_cvt_i32_f32_e32 v1, v1
.LBB87_2948:
	s_or_b32 exec_lo, exec_lo, s8
	s_mov_b32 s8, 0
	s_branch .LBB87_2954
.LBB87_2949:
                                        ; implicit-def: $vgpr1
	s_mov_b32 s8, 0
	s_branch .LBB87_2960
.LBB87_2950:
	s_and_not1_saveexec_b32 s9, s9
	s_cbranch_execz .LBB87_2936
.LBB87_2951:
	v_cmp_ne_u16_e32 vcc_lo, 0, v3
	s_and_not1_b32 s10, s10, exec_lo
	s_and_b32 s11, vcc_lo, exec_lo
	s_delay_alu instid0(SALU_CYCLE_1)
	s_or_b32 s10, s10, s11
	s_or_b32 exec_lo, exec_lo, s9
	v_mov_b32_e32 v1, 0
	s_and_saveexec_b32 s9, s10
	s_cbranch_execnz .LBB87_2937
	s_branch .LBB87_2938
.LBB87_2952:
	s_mov_b32 s8, -1
                                        ; implicit-def: $vgpr1
	s_branch .LBB87_2957
.LBB87_2953:
	s_mov_b32 s8, -1
                                        ; implicit-def: $vgpr1
.LBB87_2954:
	s_delay_alu instid0(SALU_CYCLE_1)
	s_and_b32 vcc_lo, exec_lo, s8
	s_cbranch_vccz .LBB87_2956
; %bb.2955:
	s_wait_loadcnt 0x0
	global_load_u8 v1, v[46:47], off
	s_wait_loadcnt 0x0
	v_lshlrev_b32_e32 v1, 24, v1
	s_delay_alu instid0(VALU_DEP_1) | instskip(NEXT) | instid1(VALU_DEP_1)
	v_and_b32_e32 v3, 0x7f000000, v1
	v_clz_i32_u32_e32 v5, v3
	v_add_nc_u32_e32 v9, 0x1000000, v3
	v_cmp_ne_u32_e32 vcc_lo, 0, v3
	s_delay_alu instid0(VALU_DEP_3) | instskip(NEXT) | instid1(VALU_DEP_1)
	v_min_u32_e32 v5, 32, v5
	v_sub_nc_u32_e64 v5, v5, 4 clamp
	s_delay_alu instid0(VALU_DEP_1) | instskip(NEXT) | instid1(VALU_DEP_1)
	v_dual_lshlrev_b32 v7, v5, v3 :: v_dual_lshlrev_b32 v5, 23, v5
	v_lshrrev_b32_e32 v7, 4, v7
	s_delay_alu instid0(VALU_DEP_1) | instskip(SKIP_1) | instid1(VALU_DEP_2)
	v_sub_nc_u32_e32 v5, v7, v5
	v_ashrrev_i32_e32 v7, 8, v9
	v_add_nc_u32_e32 v5, 0x3c000000, v5
	s_delay_alu instid0(VALU_DEP_1) | instskip(NEXT) | instid1(VALU_DEP_1)
	v_and_or_b32 v5, 0x7f800000, v7, v5
	v_cndmask_b32_e32 v3, 0, v5, vcc_lo
	s_delay_alu instid0(VALU_DEP_1) | instskip(NEXT) | instid1(VALU_DEP_1)
	v_and_or_b32 v1, 0x80000000, v1, v3
	v_cvt_i32_f32_e32 v1, v1
.LBB87_2956:
	s_mov_b32 s8, 0
.LBB87_2957:
	s_delay_alu instid0(SALU_CYCLE_1)
	s_and_not1_b32 vcc_lo, exec_lo, s8
	s_cbranch_vccnz .LBB87_2959
; %bb.2958:
	s_wait_loadcnt 0x0
	global_load_u8 v1, v[46:47], off
	s_wait_loadcnt 0x0
	v_lshlrev_b32_e32 v3, 25, v1
	v_lshlrev_b16 v1, 8, v1
	s_delay_alu instid0(VALU_DEP_1) | instskip(SKIP_1) | instid1(VALU_DEP_2)
	v_and_or_b32 v7, 0x7f00, v1, 0.5
	v_bfe_i32 v1, v1, 0, 16
	v_add_f32_e32 v7, -0.5, v7
	v_lshrrev_b32_e32 v5, 4, v3
	v_cmp_gt_u32_e32 vcc_lo, 0x8000000, v3
	s_delay_alu instid0(VALU_DEP_2) | instskip(NEXT) | instid1(VALU_DEP_1)
	v_or_b32_e32 v5, 0x70000000, v5
	v_mul_f32_e32 v5, 0x7800000, v5
	s_delay_alu instid0(VALU_DEP_1) | instskip(NEXT) | instid1(VALU_DEP_1)
	v_cndmask_b32_e32 v3, v5, v7, vcc_lo
	v_and_or_b32 v1, 0x80000000, v1, v3
	s_delay_alu instid0(VALU_DEP_1)
	v_cvt_i32_f32_e32 v1, v1
.LBB87_2959:
	s_mov_b32 s9, -1
	s_mov_b32 s8, 0
	s_cbranch_execnz .LBB87_2970
.LBB87_2960:
	s_cmp_gt_i32 s0, 14
	s_cbranch_scc0 .LBB87_2963
; %bb.2961:
	s_cmp_eq_u32 s0, 15
	s_cbranch_scc0 .LBB87_2966
; %bb.2962:
	s_wait_loadcnt 0x0
	global_load_u16 v1, v[46:47], off
	s_mov_b32 s1, 0
	s_mov_b32 s9, -1
	s_wait_loadcnt 0x0
	v_lshlrev_b32_e32 v1, 16, v1
	s_delay_alu instid0(VALU_DEP_1)
	v_cvt_i32_f32_e32 v1, v1
	s_branch .LBB87_2968
.LBB87_2963:
	s_mov_b32 s8, -1
	s_branch .LBB87_2967
.LBB87_2964:
	s_and_not1_saveexec_b32 s8, s8
	s_cbranch_execz .LBB87_2946
.LBB87_2965:
	v_cmp_ne_u16_e32 vcc_lo, 0, v3
	s_and_not1_b32 s9, s9, exec_lo
	s_and_b32 s10, vcc_lo, exec_lo
	s_delay_alu instid0(SALU_CYCLE_1)
	s_or_b32 s9, s9, s10
	s_or_b32 exec_lo, exec_lo, s8
	v_mov_b32_e32 v1, 0
	s_and_saveexec_b32 s8, s9
	s_cbranch_execnz .LBB87_2947
	s_branch .LBB87_2948
.LBB87_2966:
	s_mov_b32 s1, -1
.LBB87_2967:
                                        ; implicit-def: $vgpr1
.LBB87_2968:
	s_and_b32 vcc_lo, exec_lo, s8
	s_mov_b32 s8, 0
	s_cbranch_vccz .LBB87_2970
; %bb.2969:
	s_cmp_lg_u32 s0, 11
	s_mov_b32 s8, -1
	s_cselect_b32 s1, -1, 0
.LBB87_2970:
	s_delay_alu instid0(SALU_CYCLE_1)
	s_and_b32 vcc_lo, exec_lo, s1
	s_mov_b32 s33, s36
	s_cbranch_vccnz .LBB87_3031
; %bb.2971:
	s_and_not1_b32 vcc_lo, exec_lo, s8
	s_cbranch_vccnz .LBB87_2973
.LBB87_2972:
	s_wait_loadcnt 0x0
	global_load_u8 v1, v[46:47], off
	s_mov_b32 s9, -1
	s_wait_loadcnt 0x0
	v_cmp_ne_u16_e32 vcc_lo, 0, v1
	v_cndmask_b32_e64 v1, 0, 1, vcc_lo
.LBB87_2973:
	s_branch .LBB87_2909
.LBB87_2974:
	s_and_b32 s0, 0xffff, s34
	s_delay_alu instid0(SALU_CYCLE_1)
	s_cmp_lt_i32 s0, 5
	s_cbranch_scc1 .LBB87_2979
; %bb.2975:
	s_cmp_lt_i32 s0, 8
	s_cbranch_scc1 .LBB87_2980
; %bb.2976:
	;; [unrolled: 3-line block ×3, first 2 shown]
	s_cmp_gt_i32 s0, 9
	s_cbranch_scc0 .LBB87_2982
; %bb.2978:
	global_load_b64 v[48:49], v[46:47], off
	s_mov_b32 s1, 0
	s_wait_loadcnt 0x0
	v_cvt_i32_f64_e32 v1, v[48:49]
	s_branch .LBB87_2983
.LBB87_2979:
                                        ; implicit-def: $vgpr1
	s_branch .LBB87_3000
.LBB87_2980:
                                        ; implicit-def: $vgpr1
	s_branch .LBB87_2989
.LBB87_2981:
	s_mov_b32 s1, -1
                                        ; implicit-def: $vgpr1
	s_branch .LBB87_2986
.LBB87_2982:
	s_mov_b32 s1, -1
                                        ; implicit-def: $vgpr1
.LBB87_2983:
	s_delay_alu instid0(SALU_CYCLE_1)
	s_and_not1_b32 vcc_lo, exec_lo, s1
	s_cbranch_vccnz .LBB87_2985
; %bb.2984:
	s_wait_loadcnt 0x0
	global_load_b32 v1, v[46:47], off
	s_wait_loadcnt 0x0
	v_cvt_i32_f32_e32 v1, v1
.LBB87_2985:
	s_mov_b32 s1, 0
.LBB87_2986:
	s_delay_alu instid0(SALU_CYCLE_1)
	s_and_not1_b32 vcc_lo, exec_lo, s1
	s_cbranch_vccnz .LBB87_2988
; %bb.2987:
	s_wait_loadcnt 0x0
	global_load_b32 v1, v[46:47], off
	s_wait_loadcnt 0x0
	v_cvt_f32_f16_e32 v1, v1
	s_delay_alu instid0(VALU_DEP_1)
	v_cvt_i32_f32_e32 v1, v1
.LBB87_2988:
	s_cbranch_execnz .LBB87_2999
.LBB87_2989:
	s_cmp_lt_i32 s0, 6
	s_cbranch_scc1 .LBB87_2992
; %bb.2990:
	s_cmp_gt_i32 s0, 6
	s_cbranch_scc0 .LBB87_2993
; %bb.2991:
	global_load_b64 v[48:49], v[46:47], off
	s_mov_b32 s1, 0
	s_wait_loadcnt 0x0
	v_cvt_i32_f64_e32 v1, v[48:49]
	s_branch .LBB87_2994
.LBB87_2992:
	s_mov_b32 s1, -1
                                        ; implicit-def: $vgpr1
	s_branch .LBB87_2997
.LBB87_2993:
	s_mov_b32 s1, -1
                                        ; implicit-def: $vgpr1
.LBB87_2994:
	s_delay_alu instid0(SALU_CYCLE_1)
	s_and_not1_b32 vcc_lo, exec_lo, s1
	s_cbranch_vccnz .LBB87_2996
; %bb.2995:
	s_wait_loadcnt 0x0
	global_load_b32 v1, v[46:47], off
	s_wait_loadcnt 0x0
	v_cvt_i32_f32_e32 v1, v1
.LBB87_2996:
	s_mov_b32 s1, 0
.LBB87_2997:
	s_delay_alu instid0(SALU_CYCLE_1)
	s_and_not1_b32 vcc_lo, exec_lo, s1
	s_cbranch_vccnz .LBB87_2999
; %bb.2998:
	s_wait_loadcnt 0x0
	global_load_u16 v1, v[46:47], off
	s_wait_loadcnt 0x0
	v_cvt_f32_f16_e32 v1, v1
	s_delay_alu instid0(VALU_DEP_1)
	v_cvt_i32_f32_e32 v1, v1
.LBB87_2999:
	s_cbranch_execnz .LBB87_3018
.LBB87_3000:
	s_cmp_lt_i32 s0, 2
	s_cbranch_scc1 .LBB87_3004
; %bb.3001:
	s_cmp_lt_i32 s0, 3
	s_cbranch_scc1 .LBB87_3005
; %bb.3002:
	s_cmp_gt_i32 s0, 3
	s_cbranch_scc0 .LBB87_3006
; %bb.3003:
	s_wait_loadcnt 0x0
	global_load_b32 v1, v[46:47], off
	s_mov_b32 s1, 0
	s_branch .LBB87_3007
.LBB87_3004:
                                        ; implicit-def: $vgpr1
	s_branch .LBB87_3013
.LBB87_3005:
	s_mov_b32 s1, -1
                                        ; implicit-def: $vgpr1
	s_branch .LBB87_3010
.LBB87_3006:
	s_mov_b32 s1, -1
                                        ; implicit-def: $vgpr1
.LBB87_3007:
	s_delay_alu instid0(SALU_CYCLE_1)
	s_and_not1_b32 vcc_lo, exec_lo, s1
	s_cbranch_vccnz .LBB87_3009
; %bb.3008:
	s_wait_loadcnt 0x0
	global_load_b32 v1, v[46:47], off
.LBB87_3009:
	s_mov_b32 s1, 0
.LBB87_3010:
	s_delay_alu instid0(SALU_CYCLE_1)
	s_and_not1_b32 vcc_lo, exec_lo, s1
	s_cbranch_vccnz .LBB87_3012
; %bb.3011:
	s_wait_loadcnt 0x0
	global_load_i16 v1, v[46:47], off
.LBB87_3012:
	s_cbranch_execnz .LBB87_3018
.LBB87_3013:
	s_cmp_gt_i32 s0, 0
	s_mov_b32 s0, 0
	s_cbranch_scc0 .LBB87_3015
; %bb.3014:
	s_wait_loadcnt 0x0
	global_load_i8 v1, v[46:47], off
	s_branch .LBB87_3016
.LBB87_3015:
	s_mov_b32 s0, -1
                                        ; implicit-def: $vgpr1
.LBB87_3016:
	s_delay_alu instid0(SALU_CYCLE_1)
	s_and_not1_b32 vcc_lo, exec_lo, s0
	s_cbranch_vccnz .LBB87_3018
; %bb.3017:
	s_wait_loadcnt 0x0
	global_load_u8 v1, v[46:47], off
.LBB87_3018:
.LBB87_3019:
	v_mov_b32_e32 v45, 0
	s_load_b64 s[12:13], s[2:3], 0x258
	global_load_u8 v3, v45, s[2:3] offset:802
	s_wait_kmcnt 0x0
	v_add_nc_u64_e32 v[44:45], s[12:13], v[44:45]
	s_wait_loadcnt 0x0
	v_and_b32_e32 v5, 0xffff, v3
	v_readfirstlane_b32 s35, v3
	s_delay_alu instid0(VALU_DEP_2)
	v_cmp_gt_i32_e32 vcc_lo, 11, v5
	s_cbranch_vccnz .LBB87_3026
; %bb.3020:
	s_and_b32 s0, 0xffff, s35
	s_mov_b32 s8, 0
	s_cmp_gt_i32 s0, 25
	s_cbranch_scc0 .LBB87_3028
; %bb.3021:
	s_cmp_gt_i32 s0, 28
	s_cbranch_scc0 .LBB87_3029
; %bb.3022:
	;; [unrolled: 3-line block ×4, first 2 shown]
	s_cmp_eq_u32 s0, 46
	s_mov_b32 s10, 0
	s_cbranch_scc0 .LBB87_3033
; %bb.3025:
	global_load_b32 v3, v[44:45], off
	s_mov_b32 s1, 0
	s_mov_b32 s9, -1
	s_wait_loadcnt 0x0
	v_lshlrev_b32_e32 v3, 16, v3
	s_delay_alu instid0(VALU_DEP_1)
	v_cvt_i32_f32_e32 v3, v3
	s_branch .LBB87_3035
.LBB87_3026:
	s_mov_b32 s9, 0
                                        ; implicit-def: $vgpr3
	s_cbranch_execnz .LBB87_3096
.LBB87_3027:
	s_and_not1_b32 vcc_lo, exec_lo, s9
	s_cbranch_vccnz .LBB87_3531
	s_branch .LBB87_3143
.LBB87_3028:
	s_mov_b32 s9, 0
	s_mov_b32 s1, 0
                                        ; implicit-def: $vgpr3
	s_cbranch_execnz .LBB87_3062
	s_branch .LBB87_3092
.LBB87_3029:
	s_mov_b32 s10, -1
	s_mov_b32 s9, 0
	s_mov_b32 s1, 0
                                        ; implicit-def: $vgpr3
	s_branch .LBB87_3045
.LBB87_3030:
	s_mov_b32 s10, -1
	s_mov_b32 s9, 0
	s_mov_b32 s1, 0
                                        ; implicit-def: $vgpr3
	s_branch .LBB87_3040
.LBB87_3031:
	s_or_b32 s33, s36, exec_lo
	s_trap 2
	s_cbranch_execz .LBB87_2972
	s_branch .LBB87_2973
.LBB87_3032:
	s_mov_b32 s10, -1
	s_mov_b32 s9, 0
	s_mov_b32 s1, 0
	s_branch .LBB87_3034
.LBB87_3033:
	s_mov_b32 s1, -1
	s_mov_b32 s9, 0
.LBB87_3034:
                                        ; implicit-def: $vgpr3
.LBB87_3035:
	s_and_b32 vcc_lo, exec_lo, s10
	s_cbranch_vccz .LBB87_3039
; %bb.3036:
	s_cmp_eq_u32 s0, 44
	s_cbranch_scc0 .LBB87_3038
; %bb.3037:
	global_load_u8 v3, v[44:45], off
	s_mov_b32 s1, 0
	s_mov_b32 s9, -1
	s_wait_loadcnt 0x0
	v_lshlrev_b32_e32 v5, 23, v3
	v_cmp_ne_u32_e32 vcc_lo, 0, v3
	s_delay_alu instid0(VALU_DEP_2) | instskip(NEXT) | instid1(VALU_DEP_1)
	v_cvt_i32_f32_e32 v5, v5
	v_cndmask_b32_e32 v3, 0, v5, vcc_lo
	s_branch .LBB87_3039
.LBB87_3038:
	s_mov_b32 s1, -1
                                        ; implicit-def: $vgpr3
.LBB87_3039:
	s_mov_b32 s10, 0
.LBB87_3040:
	s_delay_alu instid0(SALU_CYCLE_1)
	s_and_b32 vcc_lo, exec_lo, s10
	s_cbranch_vccz .LBB87_3044
; %bb.3041:
	s_cmp_eq_u32 s0, 29
	s_cbranch_scc0 .LBB87_3043
; %bb.3042:
	global_load_b32 v3, v[44:45], off
	s_mov_b32 s1, 0
	s_mov_b32 s9, -1
	s_branch .LBB87_3044
.LBB87_3043:
	s_mov_b32 s1, -1
                                        ; implicit-def: $vgpr3
.LBB87_3044:
	s_mov_b32 s10, 0
.LBB87_3045:
	s_delay_alu instid0(SALU_CYCLE_1)
	s_and_b32 vcc_lo, exec_lo, s10
	s_cbranch_vccz .LBB87_3061
; %bb.3046:
	s_cmp_lt_i32 s0, 27
	s_cbranch_scc1 .LBB87_3049
; %bb.3047:
	s_cmp_gt_i32 s0, 27
	s_cbranch_scc0 .LBB87_3050
; %bb.3048:
	s_wait_loadcnt 0x0
	global_load_b32 v3, v[44:45], off
	s_mov_b32 s9, 0
	s_branch .LBB87_3051
.LBB87_3049:
	s_mov_b32 s9, -1
                                        ; implicit-def: $vgpr3
	s_branch .LBB87_3054
.LBB87_3050:
	s_mov_b32 s9, -1
                                        ; implicit-def: $vgpr3
.LBB87_3051:
	s_delay_alu instid0(SALU_CYCLE_1)
	s_and_not1_b32 vcc_lo, exec_lo, s9
	s_cbranch_vccnz .LBB87_3053
; %bb.3052:
	s_wait_loadcnt 0x0
	global_load_u16 v3, v[44:45], off
.LBB87_3053:
	s_mov_b32 s9, 0
.LBB87_3054:
	s_delay_alu instid0(SALU_CYCLE_1)
	s_and_not1_b32 vcc_lo, exec_lo, s9
	s_cbranch_vccnz .LBB87_3060
; %bb.3055:
	global_load_u8 v5, v[44:45], off
	s_mov_b32 s10, 0
	s_mov_b32 s9, exec_lo
	s_wait_loadcnt 0x0
	v_cmpx_lt_i16_e32 0x7f, v5
	s_xor_b32 s9, exec_lo, s9
	s_cbranch_execz .LBB87_3071
; %bb.3056:
	v_cmp_ne_u16_e32 vcc_lo, 0x80, v5
	s_and_b32 s10, vcc_lo, exec_lo
	s_and_not1_saveexec_b32 s9, s9
	s_cbranch_execnz .LBB87_3072
.LBB87_3057:
	s_or_b32 exec_lo, exec_lo, s9
	v_mov_b32_e32 v3, 0
	s_and_saveexec_b32 s9, s10
	s_cbranch_execz .LBB87_3059
.LBB87_3058:
	v_and_b32_e32 v3, 0xffff, v5
	s_delay_alu instid0(VALU_DEP_1) | instskip(SKIP_1) | instid1(VALU_DEP_2)
	v_and_b32_e32 v7, 7, v3
	v_bfe_u32 v13, v3, 3, 4
	v_clz_i32_u32_e32 v9, v7
	s_delay_alu instid0(VALU_DEP_2) | instskip(NEXT) | instid1(VALU_DEP_2)
	v_cmp_eq_u32_e32 vcc_lo, 0, v13
	v_min_u32_e32 v9, 32, v9
	s_delay_alu instid0(VALU_DEP_1) | instskip(NEXT) | instid1(VALU_DEP_1)
	v_subrev_nc_u32_e32 v11, 28, v9
	v_dual_lshlrev_b32 v3, v11, v3 :: v_dual_sub_nc_u32 v9, 29, v9
	s_delay_alu instid0(VALU_DEP_1) | instskip(NEXT) | instid1(VALU_DEP_1)
	v_dual_lshlrev_b32 v5, 24, v5 :: v_dual_bitop2_b32 v3, 7, v3 bitop3:0x40
	v_dual_cndmask_b32 v3, v7, v3, vcc_lo :: v_dual_cndmask_b32 v9, v13, v9, vcc_lo
	s_delay_alu instid0(VALU_DEP_2) | instskip(NEXT) | instid1(VALU_DEP_2)
	v_and_b32_e32 v5, 0x80000000, v5
	v_lshlrev_b32_e32 v3, 20, v3
	s_delay_alu instid0(VALU_DEP_3) | instskip(NEXT) | instid1(VALU_DEP_1)
	v_lshl_add_u32 v7, v9, 23, 0x3b800000
	v_or3_b32 v3, v5, v7, v3
	s_delay_alu instid0(VALU_DEP_1)
	v_cvt_i32_f32_e32 v3, v3
.LBB87_3059:
	s_or_b32 exec_lo, exec_lo, s9
.LBB87_3060:
	s_mov_b32 s9, -1
.LBB87_3061:
	s_branch .LBB87_3092
.LBB87_3062:
	s_cmp_gt_i32 s0, 22
	s_cbranch_scc0 .LBB87_3070
; %bb.3063:
	s_cmp_lt_i32 s0, 24
	s_cbranch_scc1 .LBB87_3073
; %bb.3064:
	s_cmp_gt_i32 s0, 24
	s_cbranch_scc0 .LBB87_3074
; %bb.3065:
	global_load_u8 v5, v[44:45], off
	s_mov_b32 s9, 0
	s_mov_b32 s8, exec_lo
	s_wait_loadcnt 0x0
	v_cmpx_lt_i16_e32 0x7f, v5
	s_xor_b32 s8, exec_lo, s8
	s_cbranch_execz .LBB87_3086
; %bb.3066:
	v_cmp_ne_u16_e32 vcc_lo, 0x80, v5
	s_and_b32 s9, vcc_lo, exec_lo
	s_and_not1_saveexec_b32 s8, s8
	s_cbranch_execnz .LBB87_3087
.LBB87_3067:
	s_or_b32 exec_lo, exec_lo, s8
	v_mov_b32_e32 v3, 0
	s_and_saveexec_b32 s8, s9
	s_cbranch_execz .LBB87_3069
.LBB87_3068:
	v_and_b32_e32 v3, 0xffff, v5
	s_delay_alu instid0(VALU_DEP_1) | instskip(SKIP_1) | instid1(VALU_DEP_2)
	v_and_b32_e32 v7, 3, v3
	v_bfe_u32 v13, v3, 2, 5
	v_clz_i32_u32_e32 v9, v7
	s_delay_alu instid0(VALU_DEP_2) | instskip(NEXT) | instid1(VALU_DEP_2)
	v_cmp_eq_u32_e32 vcc_lo, 0, v13
	v_min_u32_e32 v9, 32, v9
	s_delay_alu instid0(VALU_DEP_1) | instskip(NEXT) | instid1(VALU_DEP_1)
	v_subrev_nc_u32_e32 v11, 29, v9
	v_dual_lshlrev_b32 v3, v11, v3 :: v_dual_sub_nc_u32 v9, 30, v9
	s_delay_alu instid0(VALU_DEP_1) | instskip(NEXT) | instid1(VALU_DEP_1)
	v_dual_lshlrev_b32 v5, 24, v5 :: v_dual_bitop2_b32 v3, 3, v3 bitop3:0x40
	v_dual_cndmask_b32 v3, v7, v3, vcc_lo :: v_dual_cndmask_b32 v9, v13, v9, vcc_lo
	s_delay_alu instid0(VALU_DEP_2) | instskip(NEXT) | instid1(VALU_DEP_2)
	v_and_b32_e32 v5, 0x80000000, v5
	v_lshlrev_b32_e32 v3, 21, v3
	s_delay_alu instid0(VALU_DEP_3) | instskip(NEXT) | instid1(VALU_DEP_1)
	v_lshl_add_u32 v7, v9, 23, 0x37800000
	v_or3_b32 v3, v5, v7, v3
	s_delay_alu instid0(VALU_DEP_1)
	v_cvt_i32_f32_e32 v3, v3
.LBB87_3069:
	s_or_b32 exec_lo, exec_lo, s8
	s_mov_b32 s8, 0
	s_branch .LBB87_3075
.LBB87_3070:
	s_mov_b32 s8, -1
                                        ; implicit-def: $vgpr3
	s_branch .LBB87_3081
.LBB87_3071:
	s_and_not1_saveexec_b32 s9, s9
	s_cbranch_execz .LBB87_3057
.LBB87_3072:
	v_cmp_ne_u16_e32 vcc_lo, 0, v5
	s_and_not1_b32 s10, s10, exec_lo
	s_and_b32 s11, vcc_lo, exec_lo
	s_delay_alu instid0(SALU_CYCLE_1)
	s_or_b32 s10, s10, s11
	s_or_b32 exec_lo, exec_lo, s9
	v_mov_b32_e32 v3, 0
	s_and_saveexec_b32 s9, s10
	s_cbranch_execnz .LBB87_3058
	s_branch .LBB87_3059
.LBB87_3073:
	s_mov_b32 s8, -1
                                        ; implicit-def: $vgpr3
	s_branch .LBB87_3078
.LBB87_3074:
	s_mov_b32 s8, -1
                                        ; implicit-def: $vgpr3
.LBB87_3075:
	s_delay_alu instid0(SALU_CYCLE_1)
	s_and_b32 vcc_lo, exec_lo, s8
	s_cbranch_vccz .LBB87_3077
; %bb.3076:
	s_wait_loadcnt 0x0
	global_load_u8 v3, v[44:45], off
	s_wait_loadcnt 0x0
	v_lshlrev_b32_e32 v3, 24, v3
	s_delay_alu instid0(VALU_DEP_1) | instskip(NEXT) | instid1(VALU_DEP_1)
	v_and_b32_e32 v5, 0x7f000000, v3
	v_clz_i32_u32_e32 v7, v5
	v_add_nc_u32_e32 v11, 0x1000000, v5
	v_cmp_ne_u32_e32 vcc_lo, 0, v5
	s_delay_alu instid0(VALU_DEP_3) | instskip(NEXT) | instid1(VALU_DEP_1)
	v_min_u32_e32 v7, 32, v7
	v_sub_nc_u32_e64 v7, v7, 4 clamp
	s_delay_alu instid0(VALU_DEP_1) | instskip(NEXT) | instid1(VALU_DEP_1)
	v_dual_lshlrev_b32 v9, v7, v5 :: v_dual_lshlrev_b32 v7, 23, v7
	v_lshrrev_b32_e32 v9, 4, v9
	s_delay_alu instid0(VALU_DEP_1) | instskip(SKIP_1) | instid1(VALU_DEP_2)
	v_sub_nc_u32_e32 v7, v9, v7
	v_ashrrev_i32_e32 v9, 8, v11
	v_add_nc_u32_e32 v7, 0x3c000000, v7
	s_delay_alu instid0(VALU_DEP_1) | instskip(NEXT) | instid1(VALU_DEP_1)
	v_and_or_b32 v7, 0x7f800000, v9, v7
	v_cndmask_b32_e32 v5, 0, v7, vcc_lo
	s_delay_alu instid0(VALU_DEP_1) | instskip(NEXT) | instid1(VALU_DEP_1)
	v_and_or_b32 v3, 0x80000000, v3, v5
	v_cvt_i32_f32_e32 v3, v3
.LBB87_3077:
	s_mov_b32 s8, 0
.LBB87_3078:
	s_delay_alu instid0(SALU_CYCLE_1)
	s_and_not1_b32 vcc_lo, exec_lo, s8
	s_cbranch_vccnz .LBB87_3080
; %bb.3079:
	s_wait_loadcnt 0x0
	global_load_u8 v3, v[44:45], off
	s_wait_loadcnt 0x0
	v_lshlrev_b32_e32 v5, 25, v3
	v_lshlrev_b16 v3, 8, v3
	s_delay_alu instid0(VALU_DEP_1) | instskip(SKIP_1) | instid1(VALU_DEP_2)
	v_and_or_b32 v9, 0x7f00, v3, 0.5
	v_bfe_i32 v3, v3, 0, 16
	v_add_f32_e32 v9, -0.5, v9
	v_lshrrev_b32_e32 v7, 4, v5
	v_cmp_gt_u32_e32 vcc_lo, 0x8000000, v5
	s_delay_alu instid0(VALU_DEP_2) | instskip(NEXT) | instid1(VALU_DEP_1)
	v_or_b32_e32 v7, 0x70000000, v7
	v_mul_f32_e32 v7, 0x7800000, v7
	s_delay_alu instid0(VALU_DEP_1) | instskip(NEXT) | instid1(VALU_DEP_1)
	v_cndmask_b32_e32 v5, v7, v9, vcc_lo
	v_and_or_b32 v3, 0x80000000, v3, v5
	s_delay_alu instid0(VALU_DEP_1)
	v_cvt_i32_f32_e32 v3, v3
.LBB87_3080:
	s_mov_b32 s8, 0
	s_mov_b32 s9, -1
.LBB87_3081:
	s_and_not1_b32 vcc_lo, exec_lo, s8
	s_mov_b32 s8, 0
	s_cbranch_vccnz .LBB87_3092
; %bb.3082:
	s_cmp_gt_i32 s0, 14
	s_cbranch_scc0 .LBB87_3085
; %bb.3083:
	s_cmp_eq_u32 s0, 15
	s_cbranch_scc0 .LBB87_3088
; %bb.3084:
	s_wait_loadcnt 0x0
	global_load_u16 v3, v[44:45], off
	s_mov_b32 s1, 0
	s_mov_b32 s9, -1
	s_wait_loadcnt 0x0
	v_lshlrev_b32_e32 v3, 16, v3
	s_delay_alu instid0(VALU_DEP_1)
	v_cvt_i32_f32_e32 v3, v3
	s_branch .LBB87_3090
.LBB87_3085:
	s_mov_b32 s8, -1
	s_branch .LBB87_3089
.LBB87_3086:
	s_and_not1_saveexec_b32 s8, s8
	s_cbranch_execz .LBB87_3067
.LBB87_3087:
	v_cmp_ne_u16_e32 vcc_lo, 0, v5
	s_and_not1_b32 s9, s9, exec_lo
	s_and_b32 s10, vcc_lo, exec_lo
	s_delay_alu instid0(SALU_CYCLE_1)
	s_or_b32 s9, s9, s10
	s_or_b32 exec_lo, exec_lo, s8
	v_mov_b32_e32 v3, 0
	s_and_saveexec_b32 s8, s9
	s_cbranch_execnz .LBB87_3068
	s_branch .LBB87_3069
.LBB87_3088:
	s_mov_b32 s1, -1
.LBB87_3089:
                                        ; implicit-def: $vgpr3
.LBB87_3090:
	s_and_b32 vcc_lo, exec_lo, s8
	s_mov_b32 s8, 0
	s_cbranch_vccz .LBB87_3092
; %bb.3091:
	s_cmp_lg_u32 s0, 11
	s_mov_b32 s8, -1
	s_cselect_b32 s1, -1, 0
.LBB87_3092:
	s_delay_alu instid0(SALU_CYCLE_1)
	s_and_b32 vcc_lo, exec_lo, s1
	s_cbranch_vccnz .LBB87_3155
; %bb.3093:
	s_and_not1_b32 vcc_lo, exec_lo, s8
	s_cbranch_vccnz .LBB87_3095
.LBB87_3094:
	s_wait_loadcnt 0x0
	global_load_u8 v3, v[44:45], off
	s_mov_b32 s9, -1
	s_wait_loadcnt 0x0
	v_cmp_ne_u16_e32 vcc_lo, 0, v3
	v_cndmask_b32_e64 v3, 0, 1, vcc_lo
.LBB87_3095:
	s_branch .LBB87_3027
.LBB87_3096:
	s_and_b32 s0, 0xffff, s35
	s_delay_alu instid0(SALU_CYCLE_1)
	s_cmp_lt_i32 s0, 5
	s_cbranch_scc1 .LBB87_3101
; %bb.3097:
	s_cmp_lt_i32 s0, 8
	s_cbranch_scc1 .LBB87_3102
; %bb.3098:
	;; [unrolled: 3-line block ×3, first 2 shown]
	s_cmp_gt_i32 s0, 9
	s_cbranch_scc0 .LBB87_3104
; %bb.3100:
	global_load_b64 v[46:47], v[44:45], off
	s_mov_b32 s1, 0
	s_wait_loadcnt 0x0
	v_cvt_i32_f64_e32 v3, v[46:47]
	s_branch .LBB87_3105
.LBB87_3101:
                                        ; implicit-def: $vgpr3
	s_branch .LBB87_3123
.LBB87_3102:
	s_mov_b32 s1, -1
                                        ; implicit-def: $vgpr3
	s_branch .LBB87_3111
.LBB87_3103:
	s_mov_b32 s1, -1
                                        ; implicit-def: $vgpr3
	s_branch .LBB87_3108
.LBB87_3104:
	s_mov_b32 s1, -1
                                        ; implicit-def: $vgpr3
.LBB87_3105:
	s_delay_alu instid0(SALU_CYCLE_1)
	s_and_not1_b32 vcc_lo, exec_lo, s1
	s_cbranch_vccnz .LBB87_3107
; %bb.3106:
	s_wait_loadcnt 0x0
	global_load_b32 v3, v[44:45], off
	s_wait_loadcnt 0x0
	v_cvt_i32_f32_e32 v3, v3
.LBB87_3107:
	s_mov_b32 s1, 0
.LBB87_3108:
	s_delay_alu instid0(SALU_CYCLE_1)
	s_and_not1_b32 vcc_lo, exec_lo, s1
	s_cbranch_vccnz .LBB87_3110
; %bb.3109:
	s_wait_loadcnt 0x0
	global_load_b32 v3, v[44:45], off
	s_wait_loadcnt 0x0
	v_cvt_f32_f16_e32 v3, v3
	s_delay_alu instid0(VALU_DEP_1)
	v_cvt_i32_f32_e32 v3, v3
.LBB87_3110:
	s_mov_b32 s1, 0
.LBB87_3111:
	s_delay_alu instid0(SALU_CYCLE_1)
	s_and_not1_b32 vcc_lo, exec_lo, s1
	s_cbranch_vccnz .LBB87_3122
; %bb.3112:
	s_cmp_lt_i32 s0, 6
	s_cbranch_scc1 .LBB87_3115
; %bb.3113:
	s_cmp_gt_i32 s0, 6
	s_cbranch_scc0 .LBB87_3116
; %bb.3114:
	global_load_b64 v[46:47], v[44:45], off
	s_mov_b32 s1, 0
	s_wait_loadcnt 0x0
	v_cvt_i32_f64_e32 v3, v[46:47]
	s_branch .LBB87_3117
.LBB87_3115:
	s_mov_b32 s1, -1
                                        ; implicit-def: $vgpr3
	s_branch .LBB87_3120
.LBB87_3116:
	s_mov_b32 s1, -1
                                        ; implicit-def: $vgpr3
.LBB87_3117:
	s_delay_alu instid0(SALU_CYCLE_1)
	s_and_not1_b32 vcc_lo, exec_lo, s1
	s_cbranch_vccnz .LBB87_3119
; %bb.3118:
	s_wait_loadcnt 0x0
	global_load_b32 v3, v[44:45], off
	s_wait_loadcnt 0x0
	v_cvt_i32_f32_e32 v3, v3
.LBB87_3119:
	s_mov_b32 s1, 0
.LBB87_3120:
	s_delay_alu instid0(SALU_CYCLE_1)
	s_and_not1_b32 vcc_lo, exec_lo, s1
	s_cbranch_vccnz .LBB87_3122
; %bb.3121:
	s_wait_loadcnt 0x0
	global_load_u16 v3, v[44:45], off
	s_wait_loadcnt 0x0
	v_cvt_f32_f16_e32 v3, v3
	s_delay_alu instid0(VALU_DEP_1)
	v_cvt_i32_f32_e32 v3, v3
.LBB87_3122:
	s_cbranch_execnz .LBB87_3142
.LBB87_3123:
	s_cmp_lt_i32 s0, 2
	s_cbranch_scc1 .LBB87_3127
; %bb.3124:
	s_cmp_lt_i32 s0, 3
	s_cbranch_scc1 .LBB87_3128
; %bb.3125:
	s_cmp_gt_i32 s0, 3
	s_cbranch_scc0 .LBB87_3129
; %bb.3126:
	s_wait_loadcnt 0x0
	global_load_b32 v3, v[44:45], off
	s_mov_b32 s1, 0
	s_branch .LBB87_3130
.LBB87_3127:
	s_mov_b32 s1, -1
                                        ; implicit-def: $vgpr3
	s_branch .LBB87_3136
.LBB87_3128:
	s_mov_b32 s1, -1
                                        ; implicit-def: $vgpr3
	s_branch .LBB87_3133
.LBB87_3129:
	s_mov_b32 s1, -1
                                        ; implicit-def: $vgpr3
.LBB87_3130:
	s_delay_alu instid0(SALU_CYCLE_1)
	s_and_not1_b32 vcc_lo, exec_lo, s1
	s_cbranch_vccnz .LBB87_3132
; %bb.3131:
	s_wait_loadcnt 0x0
	global_load_b32 v3, v[44:45], off
.LBB87_3132:
	s_mov_b32 s1, 0
.LBB87_3133:
	s_delay_alu instid0(SALU_CYCLE_1)
	s_and_not1_b32 vcc_lo, exec_lo, s1
	s_cbranch_vccnz .LBB87_3135
; %bb.3134:
	s_wait_loadcnt 0x0
	global_load_i16 v3, v[44:45], off
.LBB87_3135:
	s_mov_b32 s1, 0
.LBB87_3136:
	s_delay_alu instid0(SALU_CYCLE_1)
	s_and_not1_b32 vcc_lo, exec_lo, s1
	s_cbranch_vccnz .LBB87_3142
; %bb.3137:
	s_cmp_gt_i32 s0, 0
	s_mov_b32 s0, 0
	s_cbranch_scc0 .LBB87_3139
; %bb.3138:
	s_wait_loadcnt 0x0
	global_load_i8 v3, v[44:45], off
	s_branch .LBB87_3140
.LBB87_3139:
	s_mov_b32 s0, -1
                                        ; implicit-def: $vgpr3
.LBB87_3140:
	s_delay_alu instid0(SALU_CYCLE_1)
	s_and_not1_b32 vcc_lo, exec_lo, s0
	s_cbranch_vccnz .LBB87_3142
; %bb.3141:
	s_wait_loadcnt 0x0
	global_load_u8 v3, v[44:45], off
.LBB87_3142:
.LBB87_3143:
	v_mov_b32_e32 v43, 0
	s_load_b64 s[14:15], s[2:3], 0x260
	global_load_u8 v5, v43, s[2:3] offset:803
	s_wait_kmcnt 0x0
	v_add_nc_u64_e32 v[44:45], s[14:15], v[42:43]
	s_wait_loadcnt 0x0
	v_and_b32_e32 v7, 0xffff, v5
	v_readfirstlane_b32 s47, v5
	s_delay_alu instid0(VALU_DEP_2)
	v_cmp_gt_i32_e32 vcc_lo, 11, v7
	s_cbranch_vccnz .LBB87_3150
; %bb.3144:
	s_and_b32 s0, 0xffff, s47
	s_mov_b32 s8, 0
	s_cmp_gt_i32 s0, 25
	s_cbranch_scc0 .LBB87_3152
; %bb.3145:
	s_cmp_gt_i32 s0, 28
	s_cbranch_scc0 .LBB87_3153
; %bb.3146:
	;; [unrolled: 3-line block ×4, first 2 shown]
	s_cmp_eq_u32 s0, 46
	s_mov_b32 s10, 0
	s_cbranch_scc0 .LBB87_3157
; %bb.3149:
	global_load_b32 v5, v[44:45], off
	s_mov_b32 s1, 0
	s_mov_b32 s9, -1
	s_wait_loadcnt 0x0
	v_lshlrev_b32_e32 v5, 16, v5
	s_delay_alu instid0(VALU_DEP_1)
	v_cvt_i32_f32_e32 v42, v5
	s_branch .LBB87_3159
.LBB87_3150:
	s_mov_b32 s9, 0
                                        ; implicit-def: $vgpr42
	s_cbranch_execnz .LBB87_3221
.LBB87_3151:
	s_and_not1_b32 vcc_lo, exec_lo, s9
	s_cbranch_vccnz .LBB87_3531
	s_branch .LBB87_3269
.LBB87_3152:
	s_mov_b32 s10, -1
	s_mov_b32 s9, 0
	s_mov_b32 s1, 0
                                        ; implicit-def: $vgpr42
	s_branch .LBB87_3186
.LBB87_3153:
	s_mov_b32 s10, -1
	s_mov_b32 s9, 0
	s_mov_b32 s1, 0
                                        ; implicit-def: $vgpr42
	s_branch .LBB87_3169
.LBB87_3154:
	s_mov_b32 s10, -1
	s_mov_b32 s9, 0
	s_mov_b32 s1, 0
                                        ; implicit-def: $vgpr42
	s_branch .LBB87_3164
.LBB87_3155:
	s_or_b32 s33, s33, exec_lo
	s_trap 2
	s_cbranch_execz .LBB87_3094
	s_branch .LBB87_3095
.LBB87_3156:
	s_mov_b32 s10, -1
	s_mov_b32 s9, 0
	s_mov_b32 s1, 0
	s_branch .LBB87_3158
.LBB87_3157:
	s_mov_b32 s1, -1
	s_mov_b32 s9, 0
.LBB87_3158:
                                        ; implicit-def: $vgpr42
.LBB87_3159:
	s_and_b32 vcc_lo, exec_lo, s10
	s_cbranch_vccz .LBB87_3163
; %bb.3160:
	s_cmp_eq_u32 s0, 44
	s_cbranch_scc0 .LBB87_3162
; %bb.3161:
	global_load_u8 v5, v[44:45], off
	s_mov_b32 s1, 0
	s_mov_b32 s9, -1
	s_wait_loadcnt 0x0
	v_lshlrev_b32_e32 v7, 23, v5
	v_cmp_ne_u32_e32 vcc_lo, 0, v5
	s_delay_alu instid0(VALU_DEP_2) | instskip(NEXT) | instid1(VALU_DEP_1)
	v_cvt_i32_f32_e32 v7, v7
	v_cndmask_b32_e32 v42, 0, v7, vcc_lo
	s_branch .LBB87_3163
.LBB87_3162:
	s_mov_b32 s1, -1
                                        ; implicit-def: $vgpr42
.LBB87_3163:
	s_mov_b32 s10, 0
.LBB87_3164:
	s_delay_alu instid0(SALU_CYCLE_1)
	s_and_b32 vcc_lo, exec_lo, s10
	s_cbranch_vccz .LBB87_3168
; %bb.3165:
	s_cmp_eq_u32 s0, 29
	s_cbranch_scc0 .LBB87_3167
; %bb.3166:
	global_load_b32 v42, v[44:45], off
	s_mov_b32 s1, 0
	s_mov_b32 s9, -1
	s_branch .LBB87_3168
.LBB87_3167:
	s_mov_b32 s1, -1
                                        ; implicit-def: $vgpr42
.LBB87_3168:
	s_mov_b32 s10, 0
.LBB87_3169:
	s_delay_alu instid0(SALU_CYCLE_1)
	s_and_b32 vcc_lo, exec_lo, s10
	s_cbranch_vccz .LBB87_3185
; %bb.3170:
	s_cmp_lt_i32 s0, 27
	s_cbranch_scc1 .LBB87_3173
; %bb.3171:
	s_cmp_gt_i32 s0, 27
	s_cbranch_scc0 .LBB87_3174
; %bb.3172:
	s_wait_loadcnt 0x0
	global_load_b32 v42, v[44:45], off
	s_mov_b32 s9, 0
	s_branch .LBB87_3175
.LBB87_3173:
	s_mov_b32 s9, -1
                                        ; implicit-def: $vgpr42
	s_branch .LBB87_3178
.LBB87_3174:
	s_mov_b32 s9, -1
                                        ; implicit-def: $vgpr42
.LBB87_3175:
	s_delay_alu instid0(SALU_CYCLE_1)
	s_and_not1_b32 vcc_lo, exec_lo, s9
	s_cbranch_vccnz .LBB87_3177
; %bb.3176:
	s_wait_loadcnt 0x0
	global_load_u16 v42, v[44:45], off
.LBB87_3177:
	s_mov_b32 s9, 0
.LBB87_3178:
	s_delay_alu instid0(SALU_CYCLE_1)
	s_and_not1_b32 vcc_lo, exec_lo, s9
	s_cbranch_vccnz .LBB87_3184
; %bb.3179:
	global_load_u8 v5, v[44:45], off
	s_mov_b32 s10, 0
	s_mov_b32 s9, exec_lo
	s_wait_loadcnt 0x0
	v_cmpx_lt_i16_e32 0x7f, v5
	s_xor_b32 s9, exec_lo, s9
	s_cbranch_execz .LBB87_3196
; %bb.3180:
	v_cmp_ne_u16_e32 vcc_lo, 0x80, v5
	s_and_b32 s10, vcc_lo, exec_lo
	s_and_not1_saveexec_b32 s9, s9
	s_cbranch_execnz .LBB87_3197
.LBB87_3181:
	s_or_b32 exec_lo, exec_lo, s9
	v_mov_b32_e32 v42, 0
	s_and_saveexec_b32 s9, s10
	s_cbranch_execz .LBB87_3183
.LBB87_3182:
	v_and_b32_e32 v7, 0xffff, v5
	s_delay_alu instid0(VALU_DEP_1) | instskip(SKIP_1) | instid1(VALU_DEP_2)
	v_dual_lshlrev_b32 v5, 24, v5 :: v_dual_bitop2_b32 v9, 7, v7 bitop3:0x40
	v_bfe_u32 v15, v7, 3, 4
	v_and_b32_e32 v5, 0x80000000, v5
	s_delay_alu instid0(VALU_DEP_3) | instskip(NEXT) | instid1(VALU_DEP_3)
	v_clz_i32_u32_e32 v11, v9
	v_cmp_eq_u32_e32 vcc_lo, 0, v15
	s_delay_alu instid0(VALU_DEP_2) | instskip(NEXT) | instid1(VALU_DEP_1)
	v_min_u32_e32 v11, 32, v11
	v_subrev_nc_u32_e32 v13, 28, v11
	v_sub_nc_u32_e32 v11, 29, v11
	s_delay_alu instid0(VALU_DEP_2) | instskip(NEXT) | instid1(VALU_DEP_2)
	v_lshlrev_b32_e32 v7, v13, v7
	v_cndmask_b32_e32 v11, v15, v11, vcc_lo
	s_delay_alu instid0(VALU_DEP_2) | instskip(NEXT) | instid1(VALU_DEP_1)
	v_and_b32_e32 v7, 7, v7
	v_cndmask_b32_e32 v7, v9, v7, vcc_lo
	s_delay_alu instid0(VALU_DEP_3) | instskip(NEXT) | instid1(VALU_DEP_2)
	v_lshl_add_u32 v9, v11, 23, 0x3b800000
	v_lshlrev_b32_e32 v7, 20, v7
	s_delay_alu instid0(VALU_DEP_1) | instskip(NEXT) | instid1(VALU_DEP_1)
	v_or3_b32 v5, v5, v9, v7
	v_cvt_i32_f32_e32 v42, v5
.LBB87_3183:
	s_or_b32 exec_lo, exec_lo, s9
.LBB87_3184:
	s_mov_b32 s9, -1
.LBB87_3185:
	s_mov_b32 s10, 0
.LBB87_3186:
	s_delay_alu instid0(SALU_CYCLE_1)
	s_and_b32 vcc_lo, exec_lo, s10
	s_cbranch_vccz .LBB87_3217
; %bb.3187:
	s_cmp_gt_i32 s0, 22
	s_cbranch_scc0 .LBB87_3195
; %bb.3188:
	s_cmp_lt_i32 s0, 24
	s_cbranch_scc1 .LBB87_3198
; %bb.3189:
	s_cmp_gt_i32 s0, 24
	s_cbranch_scc0 .LBB87_3199
; %bb.3190:
	global_load_u8 v5, v[44:45], off
	s_mov_b32 s9, 0
	s_mov_b32 s8, exec_lo
	s_wait_loadcnt 0x0
	v_cmpx_lt_i16_e32 0x7f, v5
	s_xor_b32 s8, exec_lo, s8
	s_cbranch_execz .LBB87_3211
; %bb.3191:
	v_cmp_ne_u16_e32 vcc_lo, 0x80, v5
	s_and_b32 s9, vcc_lo, exec_lo
	s_and_not1_saveexec_b32 s8, s8
	s_cbranch_execnz .LBB87_3212
.LBB87_3192:
	s_or_b32 exec_lo, exec_lo, s8
	v_mov_b32_e32 v42, 0
	s_and_saveexec_b32 s8, s9
	s_cbranch_execz .LBB87_3194
.LBB87_3193:
	v_and_b32_e32 v7, 0xffff, v5
	s_delay_alu instid0(VALU_DEP_1) | instskip(SKIP_1) | instid1(VALU_DEP_2)
	v_dual_lshlrev_b32 v5, 24, v5 :: v_dual_bitop2_b32 v9, 3, v7 bitop3:0x40
	v_bfe_u32 v15, v7, 2, 5
	v_and_b32_e32 v5, 0x80000000, v5
	s_delay_alu instid0(VALU_DEP_3) | instskip(NEXT) | instid1(VALU_DEP_3)
	v_clz_i32_u32_e32 v11, v9
	v_cmp_eq_u32_e32 vcc_lo, 0, v15
	s_delay_alu instid0(VALU_DEP_2) | instskip(NEXT) | instid1(VALU_DEP_1)
	v_min_u32_e32 v11, 32, v11
	v_subrev_nc_u32_e32 v13, 29, v11
	v_sub_nc_u32_e32 v11, 30, v11
	s_delay_alu instid0(VALU_DEP_2) | instskip(NEXT) | instid1(VALU_DEP_2)
	v_lshlrev_b32_e32 v7, v13, v7
	v_cndmask_b32_e32 v11, v15, v11, vcc_lo
	s_delay_alu instid0(VALU_DEP_2) | instskip(NEXT) | instid1(VALU_DEP_1)
	v_and_b32_e32 v7, 3, v7
	v_cndmask_b32_e32 v7, v9, v7, vcc_lo
	s_delay_alu instid0(VALU_DEP_3) | instskip(NEXT) | instid1(VALU_DEP_2)
	v_lshl_add_u32 v9, v11, 23, 0x37800000
	v_lshlrev_b32_e32 v7, 21, v7
	s_delay_alu instid0(VALU_DEP_1) | instskip(NEXT) | instid1(VALU_DEP_1)
	v_or3_b32 v5, v5, v9, v7
	v_cvt_i32_f32_e32 v42, v5
.LBB87_3194:
	s_or_b32 exec_lo, exec_lo, s8
	s_mov_b32 s8, 0
	s_branch .LBB87_3200
.LBB87_3195:
	s_mov_b32 s8, -1
                                        ; implicit-def: $vgpr42
	s_branch .LBB87_3206
.LBB87_3196:
	s_and_not1_saveexec_b32 s9, s9
	s_cbranch_execz .LBB87_3181
.LBB87_3197:
	v_cmp_ne_u16_e32 vcc_lo, 0, v5
	s_and_not1_b32 s10, s10, exec_lo
	s_and_b32 s11, vcc_lo, exec_lo
	s_delay_alu instid0(SALU_CYCLE_1)
	s_or_b32 s10, s10, s11
	s_or_b32 exec_lo, exec_lo, s9
	v_mov_b32_e32 v42, 0
	s_and_saveexec_b32 s9, s10
	s_cbranch_execnz .LBB87_3182
	s_branch .LBB87_3183
.LBB87_3198:
	s_mov_b32 s8, -1
                                        ; implicit-def: $vgpr42
	s_branch .LBB87_3203
.LBB87_3199:
	s_mov_b32 s8, -1
                                        ; implicit-def: $vgpr42
.LBB87_3200:
	s_delay_alu instid0(SALU_CYCLE_1)
	s_and_b32 vcc_lo, exec_lo, s8
	s_cbranch_vccz .LBB87_3202
; %bb.3201:
	global_load_u8 v5, v[44:45], off
	s_wait_loadcnt 0x0
	v_lshlrev_b32_e32 v5, 24, v5
	s_delay_alu instid0(VALU_DEP_1) | instskip(NEXT) | instid1(VALU_DEP_1)
	v_and_b32_e32 v7, 0x7f000000, v5
	v_clz_i32_u32_e32 v9, v7
	v_add_nc_u32_e32 v13, 0x1000000, v7
	v_cmp_ne_u32_e32 vcc_lo, 0, v7
	s_delay_alu instid0(VALU_DEP_3) | instskip(NEXT) | instid1(VALU_DEP_1)
	v_min_u32_e32 v9, 32, v9
	v_sub_nc_u32_e64 v9, v9, 4 clamp
	s_delay_alu instid0(VALU_DEP_1) | instskip(NEXT) | instid1(VALU_DEP_1)
	v_dual_lshlrev_b32 v11, v9, v7 :: v_dual_lshlrev_b32 v9, 23, v9
	v_lshrrev_b32_e32 v11, 4, v11
	s_delay_alu instid0(VALU_DEP_1) | instskip(SKIP_1) | instid1(VALU_DEP_2)
	v_sub_nc_u32_e32 v9, v11, v9
	v_ashrrev_i32_e32 v11, 8, v13
	v_add_nc_u32_e32 v9, 0x3c000000, v9
	s_delay_alu instid0(VALU_DEP_1) | instskip(NEXT) | instid1(VALU_DEP_1)
	v_and_or_b32 v9, 0x7f800000, v11, v9
	v_cndmask_b32_e32 v7, 0, v9, vcc_lo
	s_delay_alu instid0(VALU_DEP_1) | instskip(NEXT) | instid1(VALU_DEP_1)
	v_and_or_b32 v5, 0x80000000, v5, v7
	v_cvt_i32_f32_e32 v42, v5
.LBB87_3202:
	s_mov_b32 s8, 0
.LBB87_3203:
	s_delay_alu instid0(SALU_CYCLE_1)
	s_and_not1_b32 vcc_lo, exec_lo, s8
	s_cbranch_vccnz .LBB87_3205
; %bb.3204:
	global_load_u8 v5, v[44:45], off
	s_wait_loadcnt 0x0
	v_lshlrev_b32_e32 v7, 25, v5
	v_lshlrev_b16 v5, 8, v5
	s_delay_alu instid0(VALU_DEP_1) | instskip(SKIP_1) | instid1(VALU_DEP_2)
	v_and_or_b32 v11, 0x7f00, v5, 0.5
	v_bfe_i32 v5, v5, 0, 16
	v_add_f32_e32 v11, -0.5, v11
	v_lshrrev_b32_e32 v9, 4, v7
	v_cmp_gt_u32_e32 vcc_lo, 0x8000000, v7
	s_delay_alu instid0(VALU_DEP_2) | instskip(NEXT) | instid1(VALU_DEP_1)
	v_or_b32_e32 v9, 0x70000000, v9
	v_mul_f32_e32 v9, 0x7800000, v9
	s_delay_alu instid0(VALU_DEP_1) | instskip(NEXT) | instid1(VALU_DEP_1)
	v_cndmask_b32_e32 v7, v9, v11, vcc_lo
	v_and_or_b32 v5, 0x80000000, v5, v7
	s_delay_alu instid0(VALU_DEP_1)
	v_cvt_i32_f32_e32 v42, v5
.LBB87_3205:
	s_mov_b32 s8, 0
	s_mov_b32 s9, -1
.LBB87_3206:
	s_and_not1_b32 vcc_lo, exec_lo, s8
	s_mov_b32 s8, 0
	s_cbranch_vccnz .LBB87_3217
; %bb.3207:
	s_cmp_gt_i32 s0, 14
	s_cbranch_scc0 .LBB87_3210
; %bb.3208:
	s_cmp_eq_u32 s0, 15
	s_cbranch_scc0 .LBB87_3213
; %bb.3209:
	global_load_u16 v5, v[44:45], off
	s_mov_b32 s1, 0
	s_mov_b32 s9, -1
	s_wait_loadcnt 0x0
	v_lshlrev_b32_e32 v5, 16, v5
	s_delay_alu instid0(VALU_DEP_1)
	v_cvt_i32_f32_e32 v42, v5
	s_branch .LBB87_3215
.LBB87_3210:
	s_mov_b32 s8, -1
	s_branch .LBB87_3214
.LBB87_3211:
	s_and_not1_saveexec_b32 s8, s8
	s_cbranch_execz .LBB87_3192
.LBB87_3212:
	v_cmp_ne_u16_e32 vcc_lo, 0, v5
	s_and_not1_b32 s9, s9, exec_lo
	s_and_b32 s10, vcc_lo, exec_lo
	s_delay_alu instid0(SALU_CYCLE_1)
	s_or_b32 s9, s9, s10
	s_or_b32 exec_lo, exec_lo, s8
	v_mov_b32_e32 v42, 0
	s_and_saveexec_b32 s8, s9
	s_cbranch_execnz .LBB87_3193
	s_branch .LBB87_3194
.LBB87_3213:
	s_mov_b32 s1, -1
.LBB87_3214:
                                        ; implicit-def: $vgpr42
.LBB87_3215:
	s_and_b32 vcc_lo, exec_lo, s8
	s_mov_b32 s8, 0
	s_cbranch_vccz .LBB87_3217
; %bb.3216:
	s_cmp_lg_u32 s0, 11
	s_mov_b32 s8, -1
	s_cselect_b32 s1, -1, 0
.LBB87_3217:
	s_delay_alu instid0(SALU_CYCLE_1)
	s_and_b32 vcc_lo, exec_lo, s1
	s_cbranch_vccnz .LBB87_3280
; %bb.3218:
	s_and_not1_b32 vcc_lo, exec_lo, s8
	s_cbranch_vccnz .LBB87_3220
.LBB87_3219:
	global_load_u8 v5, v[44:45], off
	s_mov_b32 s9, -1
	s_wait_loadcnt 0x0
	v_cmp_ne_u16_e32 vcc_lo, 0, v5
	v_cndmask_b32_e64 v42, 0, 1, vcc_lo
.LBB87_3220:
	s_branch .LBB87_3151
.LBB87_3221:
	s_and_b32 s0, 0xffff, s47
	s_delay_alu instid0(SALU_CYCLE_1)
	s_cmp_lt_i32 s0, 5
	s_cbranch_scc1 .LBB87_3226
; %bb.3222:
	s_cmp_lt_i32 s0, 8
	s_cbranch_scc1 .LBB87_3227
; %bb.3223:
	;; [unrolled: 3-line block ×3, first 2 shown]
	s_cmp_gt_i32 s0, 9
	s_cbranch_scc0 .LBB87_3229
; %bb.3225:
	s_wait_loadcnt 0x0
	global_load_b64 v[42:43], v[44:45], off
	s_mov_b32 s1, 0
	s_wait_loadcnt 0x0
	v_cvt_i32_f64_e32 v42, v[42:43]
	s_branch .LBB87_3230
.LBB87_3226:
	s_mov_b32 s1, -1
                                        ; implicit-def: $vgpr42
	s_branch .LBB87_3248
.LBB87_3227:
	s_mov_b32 s1, -1
                                        ; implicit-def: $vgpr42
	s_branch .LBB87_3236
.LBB87_3228:
	s_mov_b32 s1, -1
                                        ; implicit-def: $vgpr42
	s_branch .LBB87_3233
.LBB87_3229:
	s_mov_b32 s1, -1
                                        ; implicit-def: $vgpr42
.LBB87_3230:
	s_delay_alu instid0(SALU_CYCLE_1)
	s_and_not1_b32 vcc_lo, exec_lo, s1
	s_cbranch_vccnz .LBB87_3232
; %bb.3231:
	global_load_b32 v5, v[44:45], off
	s_wait_loadcnt 0x0
	v_cvt_i32_f32_e32 v42, v5
.LBB87_3232:
	s_mov_b32 s1, 0
.LBB87_3233:
	s_delay_alu instid0(SALU_CYCLE_1)
	s_and_not1_b32 vcc_lo, exec_lo, s1
	s_cbranch_vccnz .LBB87_3235
; %bb.3234:
	global_load_b32 v5, v[44:45], off
	s_wait_loadcnt 0x0
	v_cvt_f32_f16_e32 v5, v5
	s_delay_alu instid0(VALU_DEP_1)
	v_cvt_i32_f32_e32 v42, v5
.LBB87_3235:
	s_mov_b32 s1, 0
.LBB87_3236:
	s_delay_alu instid0(SALU_CYCLE_1)
	s_and_not1_b32 vcc_lo, exec_lo, s1
	s_cbranch_vccnz .LBB87_3247
; %bb.3237:
	s_cmp_lt_i32 s0, 6
	s_cbranch_scc1 .LBB87_3240
; %bb.3238:
	s_cmp_gt_i32 s0, 6
	s_cbranch_scc0 .LBB87_3241
; %bb.3239:
	s_wait_loadcnt 0x0
	global_load_b64 v[42:43], v[44:45], off
	s_mov_b32 s1, 0
	s_wait_loadcnt 0x0
	v_cvt_i32_f64_e32 v42, v[42:43]
	s_branch .LBB87_3242
.LBB87_3240:
	s_mov_b32 s1, -1
                                        ; implicit-def: $vgpr42
	s_branch .LBB87_3245
.LBB87_3241:
	s_mov_b32 s1, -1
                                        ; implicit-def: $vgpr42
.LBB87_3242:
	s_delay_alu instid0(SALU_CYCLE_1)
	s_and_not1_b32 vcc_lo, exec_lo, s1
	s_cbranch_vccnz .LBB87_3244
; %bb.3243:
	global_load_b32 v5, v[44:45], off
	s_wait_loadcnt 0x0
	v_cvt_i32_f32_e32 v42, v5
.LBB87_3244:
	s_mov_b32 s1, 0
.LBB87_3245:
	s_delay_alu instid0(SALU_CYCLE_1)
	s_and_not1_b32 vcc_lo, exec_lo, s1
	s_cbranch_vccnz .LBB87_3247
; %bb.3246:
	global_load_u16 v5, v[44:45], off
	s_wait_loadcnt 0x0
	v_cvt_f32_f16_e32 v5, v5
	s_delay_alu instid0(VALU_DEP_1)
	v_cvt_i32_f32_e32 v42, v5
.LBB87_3247:
	s_mov_b32 s1, 0
.LBB87_3248:
	s_delay_alu instid0(SALU_CYCLE_1)
	s_and_not1_b32 vcc_lo, exec_lo, s1
	s_cbranch_vccnz .LBB87_3268
; %bb.3249:
	s_cmp_lt_i32 s0, 2
	s_cbranch_scc1 .LBB87_3253
; %bb.3250:
	s_cmp_lt_i32 s0, 3
	s_cbranch_scc1 .LBB87_3254
; %bb.3251:
	s_cmp_gt_i32 s0, 3
	s_cbranch_scc0 .LBB87_3255
; %bb.3252:
	s_wait_loadcnt 0x0
	global_load_b32 v42, v[44:45], off
	s_mov_b32 s1, 0
	s_branch .LBB87_3256
.LBB87_3253:
	s_mov_b32 s1, -1
                                        ; implicit-def: $vgpr42
	s_branch .LBB87_3262
.LBB87_3254:
	s_mov_b32 s1, -1
                                        ; implicit-def: $vgpr42
	s_branch .LBB87_3259
.LBB87_3255:
	s_mov_b32 s1, -1
                                        ; implicit-def: $vgpr42
.LBB87_3256:
	s_delay_alu instid0(SALU_CYCLE_1)
	s_and_not1_b32 vcc_lo, exec_lo, s1
	s_cbranch_vccnz .LBB87_3258
; %bb.3257:
	s_wait_loadcnt 0x0
	global_load_b32 v42, v[44:45], off
.LBB87_3258:
	s_mov_b32 s1, 0
.LBB87_3259:
	s_delay_alu instid0(SALU_CYCLE_1)
	s_and_not1_b32 vcc_lo, exec_lo, s1
	s_cbranch_vccnz .LBB87_3261
; %bb.3260:
	s_wait_loadcnt 0x0
	global_load_i16 v42, v[44:45], off
.LBB87_3261:
	s_mov_b32 s1, 0
.LBB87_3262:
	s_delay_alu instid0(SALU_CYCLE_1)
	s_and_not1_b32 vcc_lo, exec_lo, s1
	s_cbranch_vccnz .LBB87_3268
; %bb.3263:
	s_cmp_gt_i32 s0, 0
	s_mov_b32 s0, 0
	s_cbranch_scc0 .LBB87_3265
; %bb.3264:
	s_wait_loadcnt 0x0
	global_load_i8 v42, v[44:45], off
	s_branch .LBB87_3266
.LBB87_3265:
	s_mov_b32 s0, -1
                                        ; implicit-def: $vgpr42
.LBB87_3266:
	s_delay_alu instid0(SALU_CYCLE_1)
	s_and_not1_b32 vcc_lo, exec_lo, s0
	s_cbranch_vccnz .LBB87_3268
; %bb.3267:
	s_wait_loadcnt 0x0
	global_load_u8 v42, v[44:45], off
.LBB87_3268:
.LBB87_3269:
	s_clause 0x1
	s_load_b64 s[16:17], s[2:3], 0x268
	s_load_b32 s0, s[2:3], 0x324
	v_mov_b32_e32 v41, 0
	s_wait_kmcnt 0x0
	s_delay_alu instid0(VALU_DEP_1) | instskip(SKIP_1) | instid1(SALU_CYCLE_1)
	v_add_nc_u64_e32 v[44:45], s[16:17], v[40:41]
	s_and_b32 s48, s0, 0xff
	s_cmp_lt_i32 s48, 11
	s_cbranch_scc1 .LBB87_3276
; %bb.3270:
	s_and_b32 s0, 0xffff, s48
	s_mov_b32 s8, 0
	s_cmp_gt_i32 s0, 25
	s_cbranch_scc0 .LBB87_3277
; %bb.3271:
	s_cmp_gt_i32 s0, 28
	s_cbranch_scc0 .LBB87_3278
; %bb.3272:
	;; [unrolled: 3-line block ×4, first 2 shown]
	s_cmp_eq_u32 s0, 46
	s_mov_b32 s10, 0
	s_cbranch_scc0 .LBB87_3282
; %bb.3275:
	global_load_b32 v5, v[44:45], off
	s_mov_b32 s1, 0
	s_mov_b32 s9, -1
	s_wait_loadcnt 0x0
	v_lshlrev_b32_e32 v5, 16, v5
	s_delay_alu instid0(VALU_DEP_1)
	v_cvt_i32_f32_e32 v40, v5
	s_branch .LBB87_3284
.LBB87_3276:
	s_mov_b32 s0, -1
	s_mov_b32 s9, 0
                                        ; implicit-def: $vgpr40
	s_branch .LBB87_3346
.LBB87_3277:
	s_mov_b32 s10, -1
	s_mov_b32 s9, 0
	s_mov_b32 s1, 0
                                        ; implicit-def: $vgpr40
	s_branch .LBB87_3311
.LBB87_3278:
	s_mov_b32 s10, -1
	s_mov_b32 s9, 0
	s_mov_b32 s1, 0
                                        ; implicit-def: $vgpr40
	s_branch .LBB87_3294
.LBB87_3279:
	s_mov_b32 s10, -1
	s_mov_b32 s9, 0
	s_mov_b32 s1, 0
                                        ; implicit-def: $vgpr40
	s_branch .LBB87_3289
.LBB87_3280:
	s_or_b32 s33, s33, exec_lo
	s_trap 2
	s_cbranch_execz .LBB87_3219
	s_branch .LBB87_3220
.LBB87_3281:
	s_mov_b32 s10, -1
	s_mov_b32 s9, 0
	s_mov_b32 s1, 0
	s_branch .LBB87_3283
.LBB87_3282:
	s_mov_b32 s1, -1
	s_mov_b32 s9, 0
.LBB87_3283:
                                        ; implicit-def: $vgpr40
.LBB87_3284:
	s_and_b32 vcc_lo, exec_lo, s10
	s_cbranch_vccz .LBB87_3288
; %bb.3285:
	s_cmp_eq_u32 s0, 44
	s_cbranch_scc0 .LBB87_3287
; %bb.3286:
	global_load_u8 v5, v[44:45], off
	s_mov_b32 s1, 0
	s_mov_b32 s9, -1
	s_wait_loadcnt 0x0
	v_lshlrev_b32_e32 v7, 23, v5
	v_cmp_ne_u32_e32 vcc_lo, 0, v5
	s_delay_alu instid0(VALU_DEP_2) | instskip(NEXT) | instid1(VALU_DEP_1)
	v_cvt_i32_f32_e32 v7, v7
	v_cndmask_b32_e32 v40, 0, v7, vcc_lo
	s_branch .LBB87_3288
.LBB87_3287:
	s_mov_b32 s1, -1
                                        ; implicit-def: $vgpr40
.LBB87_3288:
	s_mov_b32 s10, 0
.LBB87_3289:
	s_delay_alu instid0(SALU_CYCLE_1)
	s_and_b32 vcc_lo, exec_lo, s10
	s_cbranch_vccz .LBB87_3293
; %bb.3290:
	s_cmp_eq_u32 s0, 29
	s_cbranch_scc0 .LBB87_3292
; %bb.3291:
	global_load_b32 v40, v[44:45], off
	s_mov_b32 s1, 0
	s_mov_b32 s9, -1
	s_branch .LBB87_3293
.LBB87_3292:
	s_mov_b32 s1, -1
                                        ; implicit-def: $vgpr40
.LBB87_3293:
	s_mov_b32 s10, 0
.LBB87_3294:
	s_delay_alu instid0(SALU_CYCLE_1)
	s_and_b32 vcc_lo, exec_lo, s10
	s_cbranch_vccz .LBB87_3310
; %bb.3295:
	s_cmp_lt_i32 s0, 27
	s_cbranch_scc1 .LBB87_3298
; %bb.3296:
	s_cmp_gt_i32 s0, 27
	s_cbranch_scc0 .LBB87_3299
; %bb.3297:
	s_wait_loadcnt 0x0
	global_load_b32 v40, v[44:45], off
	s_mov_b32 s9, 0
	s_branch .LBB87_3300
.LBB87_3298:
	s_mov_b32 s9, -1
                                        ; implicit-def: $vgpr40
	s_branch .LBB87_3303
.LBB87_3299:
	s_mov_b32 s9, -1
                                        ; implicit-def: $vgpr40
.LBB87_3300:
	s_delay_alu instid0(SALU_CYCLE_1)
	s_and_not1_b32 vcc_lo, exec_lo, s9
	s_cbranch_vccnz .LBB87_3302
; %bb.3301:
	s_wait_loadcnt 0x0
	global_load_u16 v40, v[44:45], off
.LBB87_3302:
	s_mov_b32 s9, 0
.LBB87_3303:
	s_delay_alu instid0(SALU_CYCLE_1)
	s_and_not1_b32 vcc_lo, exec_lo, s9
	s_cbranch_vccnz .LBB87_3309
; %bb.3304:
	global_load_u8 v5, v[44:45], off
	s_mov_b32 s10, 0
	s_mov_b32 s9, exec_lo
	s_wait_loadcnt 0x0
	v_cmpx_lt_i16_e32 0x7f, v5
	s_xor_b32 s9, exec_lo, s9
	s_cbranch_execz .LBB87_3321
; %bb.3305:
	v_cmp_ne_u16_e32 vcc_lo, 0x80, v5
	s_and_b32 s10, vcc_lo, exec_lo
	s_and_not1_saveexec_b32 s9, s9
	s_cbranch_execnz .LBB87_3322
.LBB87_3306:
	s_or_b32 exec_lo, exec_lo, s9
	v_mov_b32_e32 v40, 0
	s_and_saveexec_b32 s9, s10
	s_cbranch_execz .LBB87_3308
.LBB87_3307:
	v_and_b32_e32 v7, 0xffff, v5
	s_delay_alu instid0(VALU_DEP_1) | instskip(SKIP_1) | instid1(VALU_DEP_2)
	v_dual_lshlrev_b32 v5, 24, v5 :: v_dual_bitop2_b32 v9, 7, v7 bitop3:0x40
	v_bfe_u32 v15, v7, 3, 4
	v_and_b32_e32 v5, 0x80000000, v5
	s_delay_alu instid0(VALU_DEP_3) | instskip(NEXT) | instid1(VALU_DEP_3)
	v_clz_i32_u32_e32 v11, v9
	v_cmp_eq_u32_e32 vcc_lo, 0, v15
	s_delay_alu instid0(VALU_DEP_2) | instskip(NEXT) | instid1(VALU_DEP_1)
	v_min_u32_e32 v11, 32, v11
	v_subrev_nc_u32_e32 v13, 28, v11
	v_sub_nc_u32_e32 v11, 29, v11
	s_delay_alu instid0(VALU_DEP_2) | instskip(NEXT) | instid1(VALU_DEP_2)
	v_lshlrev_b32_e32 v7, v13, v7
	v_cndmask_b32_e32 v11, v15, v11, vcc_lo
	s_delay_alu instid0(VALU_DEP_2) | instskip(NEXT) | instid1(VALU_DEP_1)
	v_and_b32_e32 v7, 7, v7
	v_cndmask_b32_e32 v7, v9, v7, vcc_lo
	s_delay_alu instid0(VALU_DEP_3) | instskip(NEXT) | instid1(VALU_DEP_2)
	v_lshl_add_u32 v9, v11, 23, 0x3b800000
	v_lshlrev_b32_e32 v7, 20, v7
	s_delay_alu instid0(VALU_DEP_1) | instskip(NEXT) | instid1(VALU_DEP_1)
	v_or3_b32 v5, v5, v9, v7
	v_cvt_i32_f32_e32 v40, v5
.LBB87_3308:
	s_or_b32 exec_lo, exec_lo, s9
.LBB87_3309:
	s_mov_b32 s9, -1
.LBB87_3310:
	s_mov_b32 s10, 0
.LBB87_3311:
	s_delay_alu instid0(SALU_CYCLE_1)
	s_and_b32 vcc_lo, exec_lo, s10
	s_cbranch_vccz .LBB87_3342
; %bb.3312:
	s_cmp_gt_i32 s0, 22
	s_cbranch_scc0 .LBB87_3320
; %bb.3313:
	s_cmp_lt_i32 s0, 24
	s_cbranch_scc1 .LBB87_3323
; %bb.3314:
	s_cmp_gt_i32 s0, 24
	s_cbranch_scc0 .LBB87_3324
; %bb.3315:
	global_load_u8 v5, v[44:45], off
	s_mov_b32 s9, 0
	s_mov_b32 s8, exec_lo
	s_wait_loadcnt 0x0
	v_cmpx_lt_i16_e32 0x7f, v5
	s_xor_b32 s8, exec_lo, s8
	s_cbranch_execz .LBB87_3336
; %bb.3316:
	v_cmp_ne_u16_e32 vcc_lo, 0x80, v5
	s_and_b32 s9, vcc_lo, exec_lo
	s_and_not1_saveexec_b32 s8, s8
	s_cbranch_execnz .LBB87_3337
.LBB87_3317:
	s_or_b32 exec_lo, exec_lo, s8
	v_mov_b32_e32 v40, 0
	s_and_saveexec_b32 s8, s9
	s_cbranch_execz .LBB87_3319
.LBB87_3318:
	v_and_b32_e32 v7, 0xffff, v5
	s_delay_alu instid0(VALU_DEP_1) | instskip(SKIP_1) | instid1(VALU_DEP_2)
	v_dual_lshlrev_b32 v5, 24, v5 :: v_dual_bitop2_b32 v9, 3, v7 bitop3:0x40
	v_bfe_u32 v15, v7, 2, 5
	v_and_b32_e32 v5, 0x80000000, v5
	s_delay_alu instid0(VALU_DEP_3) | instskip(NEXT) | instid1(VALU_DEP_3)
	v_clz_i32_u32_e32 v11, v9
	v_cmp_eq_u32_e32 vcc_lo, 0, v15
	s_delay_alu instid0(VALU_DEP_2) | instskip(NEXT) | instid1(VALU_DEP_1)
	v_min_u32_e32 v11, 32, v11
	v_subrev_nc_u32_e32 v13, 29, v11
	v_sub_nc_u32_e32 v11, 30, v11
	s_delay_alu instid0(VALU_DEP_2) | instskip(NEXT) | instid1(VALU_DEP_2)
	v_lshlrev_b32_e32 v7, v13, v7
	v_cndmask_b32_e32 v11, v15, v11, vcc_lo
	s_delay_alu instid0(VALU_DEP_2) | instskip(NEXT) | instid1(VALU_DEP_1)
	v_and_b32_e32 v7, 3, v7
	v_cndmask_b32_e32 v7, v9, v7, vcc_lo
	s_delay_alu instid0(VALU_DEP_3) | instskip(NEXT) | instid1(VALU_DEP_2)
	v_lshl_add_u32 v9, v11, 23, 0x37800000
	v_lshlrev_b32_e32 v7, 21, v7
	s_delay_alu instid0(VALU_DEP_1) | instskip(NEXT) | instid1(VALU_DEP_1)
	v_or3_b32 v5, v5, v9, v7
	v_cvt_i32_f32_e32 v40, v5
.LBB87_3319:
	s_or_b32 exec_lo, exec_lo, s8
	s_mov_b32 s8, 0
	s_branch .LBB87_3325
.LBB87_3320:
	s_mov_b32 s8, -1
                                        ; implicit-def: $vgpr40
	s_branch .LBB87_3331
.LBB87_3321:
	s_and_not1_saveexec_b32 s9, s9
	s_cbranch_execz .LBB87_3306
.LBB87_3322:
	v_cmp_ne_u16_e32 vcc_lo, 0, v5
	s_and_not1_b32 s10, s10, exec_lo
	s_and_b32 s11, vcc_lo, exec_lo
	s_delay_alu instid0(SALU_CYCLE_1)
	s_or_b32 s10, s10, s11
	s_or_b32 exec_lo, exec_lo, s9
	v_mov_b32_e32 v40, 0
	s_and_saveexec_b32 s9, s10
	s_cbranch_execnz .LBB87_3307
	s_branch .LBB87_3308
.LBB87_3323:
	s_mov_b32 s8, -1
                                        ; implicit-def: $vgpr40
	s_branch .LBB87_3328
.LBB87_3324:
	s_mov_b32 s8, -1
                                        ; implicit-def: $vgpr40
.LBB87_3325:
	s_delay_alu instid0(SALU_CYCLE_1)
	s_and_b32 vcc_lo, exec_lo, s8
	s_cbranch_vccz .LBB87_3327
; %bb.3326:
	global_load_u8 v5, v[44:45], off
	s_wait_loadcnt 0x0
	v_lshlrev_b32_e32 v5, 24, v5
	s_delay_alu instid0(VALU_DEP_1) | instskip(NEXT) | instid1(VALU_DEP_1)
	v_and_b32_e32 v7, 0x7f000000, v5
	v_clz_i32_u32_e32 v9, v7
	v_add_nc_u32_e32 v13, 0x1000000, v7
	v_cmp_ne_u32_e32 vcc_lo, 0, v7
	s_delay_alu instid0(VALU_DEP_3) | instskip(NEXT) | instid1(VALU_DEP_1)
	v_min_u32_e32 v9, 32, v9
	v_sub_nc_u32_e64 v9, v9, 4 clamp
	s_delay_alu instid0(VALU_DEP_1) | instskip(NEXT) | instid1(VALU_DEP_1)
	v_dual_lshlrev_b32 v11, v9, v7 :: v_dual_lshlrev_b32 v9, 23, v9
	v_lshrrev_b32_e32 v11, 4, v11
	s_delay_alu instid0(VALU_DEP_1) | instskip(SKIP_1) | instid1(VALU_DEP_2)
	v_sub_nc_u32_e32 v9, v11, v9
	v_ashrrev_i32_e32 v11, 8, v13
	v_add_nc_u32_e32 v9, 0x3c000000, v9
	s_delay_alu instid0(VALU_DEP_1) | instskip(NEXT) | instid1(VALU_DEP_1)
	v_and_or_b32 v9, 0x7f800000, v11, v9
	v_cndmask_b32_e32 v7, 0, v9, vcc_lo
	s_delay_alu instid0(VALU_DEP_1) | instskip(NEXT) | instid1(VALU_DEP_1)
	v_and_or_b32 v5, 0x80000000, v5, v7
	v_cvt_i32_f32_e32 v40, v5
.LBB87_3327:
	s_mov_b32 s8, 0
.LBB87_3328:
	s_delay_alu instid0(SALU_CYCLE_1)
	s_and_not1_b32 vcc_lo, exec_lo, s8
	s_cbranch_vccnz .LBB87_3330
; %bb.3329:
	global_load_u8 v5, v[44:45], off
	s_wait_loadcnt 0x0
	v_lshlrev_b32_e32 v7, 25, v5
	v_lshlrev_b16 v5, 8, v5
	s_delay_alu instid0(VALU_DEP_1) | instskip(SKIP_1) | instid1(VALU_DEP_2)
	v_and_or_b32 v11, 0x7f00, v5, 0.5
	v_bfe_i32 v5, v5, 0, 16
	v_add_f32_e32 v11, -0.5, v11
	v_lshrrev_b32_e32 v9, 4, v7
	v_cmp_gt_u32_e32 vcc_lo, 0x8000000, v7
	s_delay_alu instid0(VALU_DEP_2) | instskip(NEXT) | instid1(VALU_DEP_1)
	v_or_b32_e32 v9, 0x70000000, v9
	v_mul_f32_e32 v9, 0x7800000, v9
	s_delay_alu instid0(VALU_DEP_1) | instskip(NEXT) | instid1(VALU_DEP_1)
	v_cndmask_b32_e32 v7, v9, v11, vcc_lo
	v_and_or_b32 v5, 0x80000000, v5, v7
	s_delay_alu instid0(VALU_DEP_1)
	v_cvt_i32_f32_e32 v40, v5
.LBB87_3330:
	s_mov_b32 s8, 0
	s_mov_b32 s9, -1
.LBB87_3331:
	s_and_not1_b32 vcc_lo, exec_lo, s8
	s_mov_b32 s8, 0
	s_cbranch_vccnz .LBB87_3342
; %bb.3332:
	s_cmp_gt_i32 s0, 14
	s_cbranch_scc0 .LBB87_3335
; %bb.3333:
	s_cmp_eq_u32 s0, 15
	s_cbranch_scc0 .LBB87_3338
; %bb.3334:
	global_load_u16 v5, v[44:45], off
	s_mov_b32 s1, 0
	s_mov_b32 s9, -1
	s_wait_loadcnt 0x0
	v_lshlrev_b32_e32 v5, 16, v5
	s_delay_alu instid0(VALU_DEP_1)
	v_cvt_i32_f32_e32 v40, v5
	s_branch .LBB87_3340
.LBB87_3335:
	s_mov_b32 s8, -1
	s_branch .LBB87_3339
.LBB87_3336:
	s_and_not1_saveexec_b32 s8, s8
	s_cbranch_execz .LBB87_3317
.LBB87_3337:
	v_cmp_ne_u16_e32 vcc_lo, 0, v5
	s_and_not1_b32 s9, s9, exec_lo
	s_and_b32 s10, vcc_lo, exec_lo
	s_delay_alu instid0(SALU_CYCLE_1)
	s_or_b32 s9, s9, s10
	s_or_b32 exec_lo, exec_lo, s8
	v_mov_b32_e32 v40, 0
	s_and_saveexec_b32 s8, s9
	s_cbranch_execnz .LBB87_3318
	s_branch .LBB87_3319
.LBB87_3338:
	s_mov_b32 s1, -1
.LBB87_3339:
                                        ; implicit-def: $vgpr40
.LBB87_3340:
	s_and_b32 vcc_lo, exec_lo, s8
	s_mov_b32 s8, 0
	s_cbranch_vccz .LBB87_3342
; %bb.3341:
	s_cmp_lg_u32 s0, 11
	s_mov_b32 s8, -1
	s_cselect_b32 s1, -1, 0
.LBB87_3342:
	s_delay_alu instid0(SALU_CYCLE_1)
	s_and_b32 vcc_lo, exec_lo, s1
	s_cbranch_vccnz .LBB87_3407
; %bb.3343:
	s_and_not1_b32 vcc_lo, exec_lo, s8
	s_cbranch_vccnz .LBB87_3345
.LBB87_3344:
	global_load_u8 v5, v[44:45], off
	s_mov_b32 s9, -1
	s_wait_loadcnt 0x0
	v_cmp_ne_u16_e32 vcc_lo, 0, v5
	v_cndmask_b32_e64 v40, 0, 1, vcc_lo
.LBB87_3345:
	s_mov_b32 s0, 0
.LBB87_3346:
	s_delay_alu instid0(SALU_CYCLE_1)
	s_and_b32 vcc_lo, exec_lo, s0
	s_cbranch_vccz .LBB87_3395
; %bb.3347:
	s_and_b32 s0, 0xffff, s48
	s_delay_alu instid0(SALU_CYCLE_1)
	s_cmp_lt_i32 s0, 5
	s_cbranch_scc1 .LBB87_3352
; %bb.3348:
	s_cmp_lt_i32 s0, 8
	s_cbranch_scc1 .LBB87_3353
; %bb.3349:
	;; [unrolled: 3-line block ×3, first 2 shown]
	s_cmp_gt_i32 s0, 9
	s_cbranch_scc0 .LBB87_3355
; %bb.3351:
	s_wait_loadcnt 0x0
	global_load_b64 v[40:41], v[44:45], off
	s_mov_b32 s1, 0
	s_wait_loadcnt 0x0
	v_cvt_i32_f64_e32 v40, v[40:41]
	s_branch .LBB87_3356
.LBB87_3352:
	s_mov_b32 s1, -1
                                        ; implicit-def: $vgpr40
	s_branch .LBB87_3374
.LBB87_3353:
	s_mov_b32 s1, -1
                                        ; implicit-def: $vgpr40
	s_branch .LBB87_3362
.LBB87_3354:
	s_mov_b32 s1, -1
                                        ; implicit-def: $vgpr40
	s_branch .LBB87_3359
.LBB87_3355:
	s_mov_b32 s1, -1
                                        ; implicit-def: $vgpr40
.LBB87_3356:
	s_delay_alu instid0(SALU_CYCLE_1)
	s_and_not1_b32 vcc_lo, exec_lo, s1
	s_cbranch_vccnz .LBB87_3358
; %bb.3357:
	global_load_b32 v5, v[44:45], off
	s_wait_loadcnt 0x0
	v_cvt_i32_f32_e32 v40, v5
.LBB87_3358:
	s_mov_b32 s1, 0
.LBB87_3359:
	s_delay_alu instid0(SALU_CYCLE_1)
	s_and_not1_b32 vcc_lo, exec_lo, s1
	s_cbranch_vccnz .LBB87_3361
; %bb.3360:
	global_load_b32 v5, v[44:45], off
	s_wait_loadcnt 0x0
	v_cvt_f32_f16_e32 v5, v5
	s_delay_alu instid0(VALU_DEP_1)
	v_cvt_i32_f32_e32 v40, v5
.LBB87_3361:
	s_mov_b32 s1, 0
.LBB87_3362:
	s_delay_alu instid0(SALU_CYCLE_1)
	s_and_not1_b32 vcc_lo, exec_lo, s1
	s_cbranch_vccnz .LBB87_3373
; %bb.3363:
	s_cmp_lt_i32 s0, 6
	s_cbranch_scc1 .LBB87_3366
; %bb.3364:
	s_cmp_gt_i32 s0, 6
	s_cbranch_scc0 .LBB87_3367
; %bb.3365:
	s_wait_loadcnt 0x0
	global_load_b64 v[40:41], v[44:45], off
	s_mov_b32 s1, 0
	s_wait_loadcnt 0x0
	v_cvt_i32_f64_e32 v40, v[40:41]
	s_branch .LBB87_3368
.LBB87_3366:
	s_mov_b32 s1, -1
                                        ; implicit-def: $vgpr40
	s_branch .LBB87_3371
.LBB87_3367:
	s_mov_b32 s1, -1
                                        ; implicit-def: $vgpr40
.LBB87_3368:
	s_delay_alu instid0(SALU_CYCLE_1)
	s_and_not1_b32 vcc_lo, exec_lo, s1
	s_cbranch_vccnz .LBB87_3370
; %bb.3369:
	global_load_b32 v5, v[44:45], off
	s_wait_loadcnt 0x0
	v_cvt_i32_f32_e32 v40, v5
.LBB87_3370:
	s_mov_b32 s1, 0
.LBB87_3371:
	s_delay_alu instid0(SALU_CYCLE_1)
	s_and_not1_b32 vcc_lo, exec_lo, s1
	s_cbranch_vccnz .LBB87_3373
; %bb.3372:
	global_load_u16 v5, v[44:45], off
	s_wait_loadcnt 0x0
	v_cvt_f32_f16_e32 v5, v5
	s_delay_alu instid0(VALU_DEP_1)
	v_cvt_i32_f32_e32 v40, v5
.LBB87_3373:
	s_mov_b32 s1, 0
.LBB87_3374:
	s_delay_alu instid0(SALU_CYCLE_1)
	s_and_not1_b32 vcc_lo, exec_lo, s1
	s_cbranch_vccnz .LBB87_3394
; %bb.3375:
	s_cmp_lt_i32 s0, 2
	s_cbranch_scc1 .LBB87_3379
; %bb.3376:
	s_cmp_lt_i32 s0, 3
	s_cbranch_scc1 .LBB87_3380
; %bb.3377:
	s_cmp_gt_i32 s0, 3
	s_cbranch_scc0 .LBB87_3381
; %bb.3378:
	s_wait_loadcnt 0x0
	global_load_b32 v40, v[44:45], off
	s_mov_b32 s1, 0
	s_branch .LBB87_3382
.LBB87_3379:
	s_mov_b32 s1, -1
                                        ; implicit-def: $vgpr40
	s_branch .LBB87_3388
.LBB87_3380:
	s_mov_b32 s1, -1
                                        ; implicit-def: $vgpr40
	s_branch .LBB87_3385
.LBB87_3381:
	s_mov_b32 s1, -1
                                        ; implicit-def: $vgpr40
.LBB87_3382:
	s_delay_alu instid0(SALU_CYCLE_1)
	s_and_not1_b32 vcc_lo, exec_lo, s1
	s_cbranch_vccnz .LBB87_3384
; %bb.3383:
	s_wait_loadcnt 0x0
	global_load_b32 v40, v[44:45], off
.LBB87_3384:
	s_mov_b32 s1, 0
.LBB87_3385:
	s_delay_alu instid0(SALU_CYCLE_1)
	s_and_not1_b32 vcc_lo, exec_lo, s1
	s_cbranch_vccnz .LBB87_3387
; %bb.3386:
	s_wait_loadcnt 0x0
	global_load_i16 v40, v[44:45], off
.LBB87_3387:
	s_mov_b32 s1, 0
.LBB87_3388:
	s_delay_alu instid0(SALU_CYCLE_1)
	s_and_not1_b32 vcc_lo, exec_lo, s1
	s_cbranch_vccnz .LBB87_3394
; %bb.3389:
	s_cmp_gt_i32 s0, 0
	s_mov_b32 s0, 0
	s_cbranch_scc0 .LBB87_3391
; %bb.3390:
	s_wait_loadcnt 0x0
	global_load_i8 v40, v[44:45], off
	s_branch .LBB87_3392
.LBB87_3391:
	s_mov_b32 s0, -1
                                        ; implicit-def: $vgpr40
.LBB87_3392:
	s_delay_alu instid0(SALU_CYCLE_1)
	s_and_not1_b32 vcc_lo, exec_lo, s0
	s_cbranch_vccnz .LBB87_3394
; %bb.3393:
	s_wait_loadcnt 0x0
	global_load_u8 v40, v[44:45], off
.LBB87_3394:
	s_mov_b32 s9, -1
.LBB87_3395:
	s_delay_alu instid0(SALU_CYCLE_1)
	s_and_not1_b32 vcc_lo, exec_lo, s9
	s_cbranch_vccnz .LBB87_3531
; %bb.3396:
	v_mov_b32_e32 v39, 0
	s_load_b64 s[18:19], s[2:3], 0x270
	global_load_u8 v5, v39, s[2:3] offset:805
	s_wait_kmcnt 0x0
	v_add_nc_u64_e32 v[38:39], s[18:19], v[38:39]
	s_wait_loadcnt 0x0
	v_and_b32_e32 v7, 0xffff, v5
	v_readfirstlane_b32 s49, v5
	s_delay_alu instid0(VALU_DEP_2)
	v_cmp_gt_i32_e32 vcc_lo, 11, v7
	s_cbranch_vccnz .LBB87_3403
; %bb.3397:
	s_and_b32 s0, 0xffff, s49
	s_mov_b32 s8, 0
	s_cmp_gt_i32 s0, 25
	s_cbranch_scc0 .LBB87_3404
; %bb.3398:
	s_cmp_gt_i32 s0, 28
	s_cbranch_scc0 .LBB87_3405
; %bb.3399:
	;; [unrolled: 3-line block ×4, first 2 shown]
	s_cmp_eq_u32 s0, 46
	s_mov_b32 s10, 0
	s_cbranch_scc0 .LBB87_3409
; %bb.3402:
	global_load_b32 v5, v[38:39], off
	s_mov_b32 s1, 0
	s_mov_b32 s9, -1
	s_wait_loadcnt 0x0
	v_lshlrev_b32_e32 v5, 16, v5
	s_delay_alu instid0(VALU_DEP_1)
	v_cvt_i32_f32_e32 v44, v5
	s_branch .LBB87_3411
.LBB87_3403:
	s_mov_b32 s0, -1
	s_mov_b32 s9, 0
                                        ; implicit-def: $vgpr44
	s_branch .LBB87_3473
.LBB87_3404:
	s_mov_b32 s10, -1
	s_mov_b32 s9, 0
	s_mov_b32 s1, 0
                                        ; implicit-def: $vgpr44
	s_branch .LBB87_3438
.LBB87_3405:
	s_mov_b32 s10, -1
	s_mov_b32 s9, 0
	s_mov_b32 s1, 0
                                        ; implicit-def: $vgpr44
	s_branch .LBB87_3421
.LBB87_3406:
	s_mov_b32 s10, -1
	s_mov_b32 s9, 0
	s_mov_b32 s1, 0
                                        ; implicit-def: $vgpr44
	s_branch .LBB87_3416
.LBB87_3407:
	s_or_b32 s33, s33, exec_lo
	s_trap 2
	s_cbranch_execz .LBB87_3344
	s_branch .LBB87_3345
.LBB87_3408:
	s_mov_b32 s10, -1
	s_mov_b32 s9, 0
	s_mov_b32 s1, 0
	s_branch .LBB87_3410
.LBB87_3409:
	s_mov_b32 s1, -1
	s_mov_b32 s9, 0
.LBB87_3410:
                                        ; implicit-def: $vgpr44
.LBB87_3411:
	s_and_b32 vcc_lo, exec_lo, s10
	s_cbranch_vccz .LBB87_3415
; %bb.3412:
	s_cmp_eq_u32 s0, 44
	s_cbranch_scc0 .LBB87_3414
; %bb.3413:
	global_load_u8 v5, v[38:39], off
	s_mov_b32 s1, 0
	s_mov_b32 s9, -1
	s_wait_loadcnt 0x0
	v_lshlrev_b32_e32 v7, 23, v5
	v_cmp_ne_u32_e32 vcc_lo, 0, v5
	s_delay_alu instid0(VALU_DEP_2) | instskip(NEXT) | instid1(VALU_DEP_1)
	v_cvt_i32_f32_e32 v7, v7
	v_cndmask_b32_e32 v44, 0, v7, vcc_lo
	s_branch .LBB87_3415
.LBB87_3414:
	s_mov_b32 s1, -1
                                        ; implicit-def: $vgpr44
.LBB87_3415:
	s_mov_b32 s10, 0
.LBB87_3416:
	s_delay_alu instid0(SALU_CYCLE_1)
	s_and_b32 vcc_lo, exec_lo, s10
	s_cbranch_vccz .LBB87_3420
; %bb.3417:
	s_cmp_eq_u32 s0, 29
	s_cbranch_scc0 .LBB87_3419
; %bb.3418:
	global_load_b32 v44, v[38:39], off
	s_mov_b32 s1, 0
	s_mov_b32 s9, -1
	s_branch .LBB87_3420
.LBB87_3419:
	s_mov_b32 s1, -1
                                        ; implicit-def: $vgpr44
.LBB87_3420:
	s_mov_b32 s10, 0
.LBB87_3421:
	s_delay_alu instid0(SALU_CYCLE_1)
	s_and_b32 vcc_lo, exec_lo, s10
	s_cbranch_vccz .LBB87_3437
; %bb.3422:
	s_cmp_lt_i32 s0, 27
	s_cbranch_scc1 .LBB87_3425
; %bb.3423:
	s_cmp_gt_i32 s0, 27
	s_cbranch_scc0 .LBB87_3426
; %bb.3424:
	s_wait_loadcnt 0x0
	global_load_b32 v44, v[38:39], off
	s_mov_b32 s9, 0
	s_branch .LBB87_3427
.LBB87_3425:
	s_mov_b32 s9, -1
                                        ; implicit-def: $vgpr44
	s_branch .LBB87_3430
.LBB87_3426:
	s_mov_b32 s9, -1
                                        ; implicit-def: $vgpr44
.LBB87_3427:
	s_delay_alu instid0(SALU_CYCLE_1)
	s_and_not1_b32 vcc_lo, exec_lo, s9
	s_cbranch_vccnz .LBB87_3429
; %bb.3428:
	s_wait_loadcnt 0x0
	global_load_u16 v44, v[38:39], off
.LBB87_3429:
	s_mov_b32 s9, 0
.LBB87_3430:
	s_delay_alu instid0(SALU_CYCLE_1)
	s_and_not1_b32 vcc_lo, exec_lo, s9
	s_cbranch_vccnz .LBB87_3436
; %bb.3431:
	global_load_u8 v5, v[38:39], off
	s_mov_b32 s10, 0
	s_mov_b32 s9, exec_lo
	s_wait_loadcnt 0x0
	v_cmpx_lt_i16_e32 0x7f, v5
	s_xor_b32 s9, exec_lo, s9
	s_cbranch_execz .LBB87_3448
; %bb.3432:
	v_cmp_ne_u16_e32 vcc_lo, 0x80, v5
	s_and_b32 s10, vcc_lo, exec_lo
	s_and_not1_saveexec_b32 s9, s9
	s_cbranch_execnz .LBB87_3449
.LBB87_3433:
	s_or_b32 exec_lo, exec_lo, s9
	v_mov_b32_e32 v44, 0
	s_and_saveexec_b32 s9, s10
	s_cbranch_execz .LBB87_3435
.LBB87_3434:
	v_and_b32_e32 v7, 0xffff, v5
	s_delay_alu instid0(VALU_DEP_1) | instskip(SKIP_1) | instid1(VALU_DEP_2)
	v_dual_lshlrev_b32 v5, 24, v5 :: v_dual_bitop2_b32 v9, 7, v7 bitop3:0x40
	v_bfe_u32 v15, v7, 3, 4
	v_and_b32_e32 v5, 0x80000000, v5
	s_delay_alu instid0(VALU_DEP_3) | instskip(NEXT) | instid1(VALU_DEP_3)
	v_clz_i32_u32_e32 v11, v9
	v_cmp_eq_u32_e32 vcc_lo, 0, v15
	s_delay_alu instid0(VALU_DEP_2) | instskip(NEXT) | instid1(VALU_DEP_1)
	v_min_u32_e32 v11, 32, v11
	v_subrev_nc_u32_e32 v13, 28, v11
	v_sub_nc_u32_e32 v11, 29, v11
	s_delay_alu instid0(VALU_DEP_2) | instskip(NEXT) | instid1(VALU_DEP_2)
	v_lshlrev_b32_e32 v7, v13, v7
	v_cndmask_b32_e32 v11, v15, v11, vcc_lo
	s_delay_alu instid0(VALU_DEP_2) | instskip(NEXT) | instid1(VALU_DEP_1)
	v_and_b32_e32 v7, 7, v7
	v_cndmask_b32_e32 v7, v9, v7, vcc_lo
	s_delay_alu instid0(VALU_DEP_3) | instskip(NEXT) | instid1(VALU_DEP_2)
	v_lshl_add_u32 v9, v11, 23, 0x3b800000
	v_lshlrev_b32_e32 v7, 20, v7
	s_delay_alu instid0(VALU_DEP_1) | instskip(NEXT) | instid1(VALU_DEP_1)
	v_or3_b32 v5, v5, v9, v7
	v_cvt_i32_f32_e32 v44, v5
.LBB87_3435:
	s_or_b32 exec_lo, exec_lo, s9
.LBB87_3436:
	s_mov_b32 s9, -1
.LBB87_3437:
	s_mov_b32 s10, 0
.LBB87_3438:
	s_delay_alu instid0(SALU_CYCLE_1)
	s_and_b32 vcc_lo, exec_lo, s10
	s_cbranch_vccz .LBB87_3469
; %bb.3439:
	s_cmp_gt_i32 s0, 22
	s_cbranch_scc0 .LBB87_3447
; %bb.3440:
	s_cmp_lt_i32 s0, 24
	s_cbranch_scc1 .LBB87_3450
; %bb.3441:
	s_cmp_gt_i32 s0, 24
	s_cbranch_scc0 .LBB87_3451
; %bb.3442:
	global_load_u8 v5, v[38:39], off
	s_mov_b32 s9, 0
	s_mov_b32 s8, exec_lo
	s_wait_loadcnt 0x0
	v_cmpx_lt_i16_e32 0x7f, v5
	s_xor_b32 s8, exec_lo, s8
	s_cbranch_execz .LBB87_3463
; %bb.3443:
	v_cmp_ne_u16_e32 vcc_lo, 0x80, v5
	s_and_b32 s9, vcc_lo, exec_lo
	s_and_not1_saveexec_b32 s8, s8
	s_cbranch_execnz .LBB87_3464
.LBB87_3444:
	s_or_b32 exec_lo, exec_lo, s8
	v_mov_b32_e32 v44, 0
	s_and_saveexec_b32 s8, s9
	s_cbranch_execz .LBB87_3446
.LBB87_3445:
	v_and_b32_e32 v7, 0xffff, v5
	s_delay_alu instid0(VALU_DEP_1) | instskip(SKIP_1) | instid1(VALU_DEP_2)
	v_dual_lshlrev_b32 v5, 24, v5 :: v_dual_bitop2_b32 v9, 3, v7 bitop3:0x40
	v_bfe_u32 v15, v7, 2, 5
	v_and_b32_e32 v5, 0x80000000, v5
	s_delay_alu instid0(VALU_DEP_3) | instskip(NEXT) | instid1(VALU_DEP_3)
	v_clz_i32_u32_e32 v11, v9
	v_cmp_eq_u32_e32 vcc_lo, 0, v15
	s_delay_alu instid0(VALU_DEP_2) | instskip(NEXT) | instid1(VALU_DEP_1)
	v_min_u32_e32 v11, 32, v11
	v_subrev_nc_u32_e32 v13, 29, v11
	v_sub_nc_u32_e32 v11, 30, v11
	s_delay_alu instid0(VALU_DEP_2) | instskip(NEXT) | instid1(VALU_DEP_2)
	v_lshlrev_b32_e32 v7, v13, v7
	v_cndmask_b32_e32 v11, v15, v11, vcc_lo
	s_delay_alu instid0(VALU_DEP_2) | instskip(NEXT) | instid1(VALU_DEP_1)
	v_and_b32_e32 v7, 3, v7
	v_cndmask_b32_e32 v7, v9, v7, vcc_lo
	s_delay_alu instid0(VALU_DEP_3) | instskip(NEXT) | instid1(VALU_DEP_2)
	v_lshl_add_u32 v9, v11, 23, 0x37800000
	v_lshlrev_b32_e32 v7, 21, v7
	s_delay_alu instid0(VALU_DEP_1) | instskip(NEXT) | instid1(VALU_DEP_1)
	v_or3_b32 v5, v5, v9, v7
	v_cvt_i32_f32_e32 v44, v5
.LBB87_3446:
	s_or_b32 exec_lo, exec_lo, s8
	s_mov_b32 s8, 0
	s_branch .LBB87_3452
.LBB87_3447:
	s_mov_b32 s8, -1
                                        ; implicit-def: $vgpr44
	s_branch .LBB87_3458
.LBB87_3448:
	s_and_not1_saveexec_b32 s9, s9
	s_cbranch_execz .LBB87_3433
.LBB87_3449:
	v_cmp_ne_u16_e32 vcc_lo, 0, v5
	s_and_not1_b32 s10, s10, exec_lo
	s_and_b32 s11, vcc_lo, exec_lo
	s_delay_alu instid0(SALU_CYCLE_1)
	s_or_b32 s10, s10, s11
	s_or_b32 exec_lo, exec_lo, s9
	v_mov_b32_e32 v44, 0
	s_and_saveexec_b32 s9, s10
	s_cbranch_execnz .LBB87_3434
	s_branch .LBB87_3435
.LBB87_3450:
	s_mov_b32 s8, -1
                                        ; implicit-def: $vgpr44
	s_branch .LBB87_3455
.LBB87_3451:
	s_mov_b32 s8, -1
                                        ; implicit-def: $vgpr44
.LBB87_3452:
	s_delay_alu instid0(SALU_CYCLE_1)
	s_and_b32 vcc_lo, exec_lo, s8
	s_cbranch_vccz .LBB87_3454
; %bb.3453:
	global_load_u8 v5, v[38:39], off
	s_wait_loadcnt 0x0
	v_lshlrev_b32_e32 v5, 24, v5
	s_delay_alu instid0(VALU_DEP_1) | instskip(NEXT) | instid1(VALU_DEP_1)
	v_and_b32_e32 v7, 0x7f000000, v5
	v_clz_i32_u32_e32 v9, v7
	v_add_nc_u32_e32 v13, 0x1000000, v7
	v_cmp_ne_u32_e32 vcc_lo, 0, v7
	s_delay_alu instid0(VALU_DEP_3) | instskip(NEXT) | instid1(VALU_DEP_1)
	v_min_u32_e32 v9, 32, v9
	v_sub_nc_u32_e64 v9, v9, 4 clamp
	s_delay_alu instid0(VALU_DEP_1) | instskip(NEXT) | instid1(VALU_DEP_1)
	v_dual_lshlrev_b32 v11, v9, v7 :: v_dual_lshlrev_b32 v9, 23, v9
	v_lshrrev_b32_e32 v11, 4, v11
	s_delay_alu instid0(VALU_DEP_1) | instskip(SKIP_1) | instid1(VALU_DEP_2)
	v_sub_nc_u32_e32 v9, v11, v9
	v_ashrrev_i32_e32 v11, 8, v13
	v_add_nc_u32_e32 v9, 0x3c000000, v9
	s_delay_alu instid0(VALU_DEP_1) | instskip(NEXT) | instid1(VALU_DEP_1)
	v_and_or_b32 v9, 0x7f800000, v11, v9
	v_cndmask_b32_e32 v7, 0, v9, vcc_lo
	s_delay_alu instid0(VALU_DEP_1) | instskip(NEXT) | instid1(VALU_DEP_1)
	v_and_or_b32 v5, 0x80000000, v5, v7
	v_cvt_i32_f32_e32 v44, v5
.LBB87_3454:
	s_mov_b32 s8, 0
.LBB87_3455:
	s_delay_alu instid0(SALU_CYCLE_1)
	s_and_not1_b32 vcc_lo, exec_lo, s8
	s_cbranch_vccnz .LBB87_3457
; %bb.3456:
	global_load_u8 v5, v[38:39], off
	s_wait_loadcnt 0x0
	v_lshlrev_b32_e32 v7, 25, v5
	v_lshlrev_b16 v5, 8, v5
	s_delay_alu instid0(VALU_DEP_1) | instskip(SKIP_1) | instid1(VALU_DEP_2)
	v_and_or_b32 v11, 0x7f00, v5, 0.5
	v_bfe_i32 v5, v5, 0, 16
	v_add_f32_e32 v11, -0.5, v11
	v_lshrrev_b32_e32 v9, 4, v7
	v_cmp_gt_u32_e32 vcc_lo, 0x8000000, v7
	s_delay_alu instid0(VALU_DEP_2) | instskip(NEXT) | instid1(VALU_DEP_1)
	v_or_b32_e32 v9, 0x70000000, v9
	v_mul_f32_e32 v9, 0x7800000, v9
	s_delay_alu instid0(VALU_DEP_1) | instskip(NEXT) | instid1(VALU_DEP_1)
	v_cndmask_b32_e32 v7, v9, v11, vcc_lo
	v_and_or_b32 v5, 0x80000000, v5, v7
	s_delay_alu instid0(VALU_DEP_1)
	v_cvt_i32_f32_e32 v44, v5
.LBB87_3457:
	s_mov_b32 s8, 0
	s_mov_b32 s9, -1
.LBB87_3458:
	s_and_not1_b32 vcc_lo, exec_lo, s8
	s_mov_b32 s8, 0
	s_cbranch_vccnz .LBB87_3469
; %bb.3459:
	s_cmp_gt_i32 s0, 14
	s_cbranch_scc0 .LBB87_3462
; %bb.3460:
	s_cmp_eq_u32 s0, 15
	s_cbranch_scc0 .LBB87_3465
; %bb.3461:
	global_load_u16 v5, v[38:39], off
	s_mov_b32 s1, 0
	s_mov_b32 s9, -1
	s_wait_loadcnt 0x0
	v_lshlrev_b32_e32 v5, 16, v5
	s_delay_alu instid0(VALU_DEP_1)
	v_cvt_i32_f32_e32 v44, v5
	s_branch .LBB87_3467
.LBB87_3462:
	s_mov_b32 s8, -1
	s_branch .LBB87_3466
.LBB87_3463:
	s_and_not1_saveexec_b32 s8, s8
	s_cbranch_execz .LBB87_3444
.LBB87_3464:
	v_cmp_ne_u16_e32 vcc_lo, 0, v5
	s_and_not1_b32 s9, s9, exec_lo
	s_and_b32 s10, vcc_lo, exec_lo
	s_delay_alu instid0(SALU_CYCLE_1)
	s_or_b32 s9, s9, s10
	s_or_b32 exec_lo, exec_lo, s8
	v_mov_b32_e32 v44, 0
	s_and_saveexec_b32 s8, s9
	s_cbranch_execnz .LBB87_3445
	s_branch .LBB87_3446
.LBB87_3465:
	s_mov_b32 s1, -1
.LBB87_3466:
                                        ; implicit-def: $vgpr44
.LBB87_3467:
	s_and_b32 vcc_lo, exec_lo, s8
	s_mov_b32 s8, 0
	s_cbranch_vccz .LBB87_3469
; %bb.3468:
	s_cmp_lg_u32 s0, 11
	s_mov_b32 s8, -1
	s_cselect_b32 s1, -1, 0
.LBB87_3469:
	s_delay_alu instid0(SALU_CYCLE_1)
	s_and_b32 vcc_lo, exec_lo, s1
	s_cbranch_vccnz .LBB87_3596
; %bb.3470:
	s_and_not1_b32 vcc_lo, exec_lo, s8
	s_cbranch_vccnz .LBB87_3472
.LBB87_3471:
	global_load_u8 v5, v[38:39], off
	s_mov_b32 s9, -1
	s_wait_loadcnt 0x0
	v_cmp_ne_u16_e32 vcc_lo, 0, v5
	v_cndmask_b32_e64 v44, 0, 1, vcc_lo
.LBB87_3472:
	s_mov_b32 s0, 0
.LBB87_3473:
	s_delay_alu instid0(SALU_CYCLE_1)
	s_and_b32 vcc_lo, exec_lo, s0
	s_cbranch_vccz .LBB87_3522
; %bb.3474:
	s_and_b32 s0, 0xffff, s49
	s_delay_alu instid0(SALU_CYCLE_1)
	s_cmp_lt_i32 s0, 5
	s_cbranch_scc1 .LBB87_3479
; %bb.3475:
	s_cmp_lt_i32 s0, 8
	s_cbranch_scc1 .LBB87_3480
; %bb.3476:
	;; [unrolled: 3-line block ×3, first 2 shown]
	s_cmp_gt_i32 s0, 9
	s_cbranch_scc0 .LBB87_3482
; %bb.3478:
	s_wait_loadcnt 0x0
	global_load_b64 v[44:45], v[38:39], off
	s_mov_b32 s1, 0
	s_wait_loadcnt 0x0
	v_cvt_i32_f64_e32 v44, v[44:45]
	s_branch .LBB87_3483
.LBB87_3479:
	s_mov_b32 s1, -1
                                        ; implicit-def: $vgpr44
	s_branch .LBB87_3501
.LBB87_3480:
	s_mov_b32 s1, -1
                                        ; implicit-def: $vgpr44
	s_branch .LBB87_3489
.LBB87_3481:
	s_mov_b32 s1, -1
                                        ; implicit-def: $vgpr44
	s_branch .LBB87_3486
.LBB87_3482:
	s_mov_b32 s1, -1
                                        ; implicit-def: $vgpr44
.LBB87_3483:
	s_delay_alu instid0(SALU_CYCLE_1)
	s_and_not1_b32 vcc_lo, exec_lo, s1
	s_cbranch_vccnz .LBB87_3485
; %bb.3484:
	global_load_b32 v5, v[38:39], off
	s_wait_loadcnt 0x0
	v_cvt_i32_f32_e32 v44, v5
.LBB87_3485:
	s_mov_b32 s1, 0
.LBB87_3486:
	s_delay_alu instid0(SALU_CYCLE_1)
	s_and_not1_b32 vcc_lo, exec_lo, s1
	s_cbranch_vccnz .LBB87_3488
; %bb.3487:
	global_load_b32 v5, v[38:39], off
	s_wait_loadcnt 0x0
	v_cvt_f32_f16_e32 v5, v5
	s_delay_alu instid0(VALU_DEP_1)
	v_cvt_i32_f32_e32 v44, v5
.LBB87_3488:
	s_mov_b32 s1, 0
.LBB87_3489:
	s_delay_alu instid0(SALU_CYCLE_1)
	s_and_not1_b32 vcc_lo, exec_lo, s1
	s_cbranch_vccnz .LBB87_3500
; %bb.3490:
	s_cmp_lt_i32 s0, 6
	s_cbranch_scc1 .LBB87_3493
; %bb.3491:
	s_cmp_gt_i32 s0, 6
	s_cbranch_scc0 .LBB87_3494
; %bb.3492:
	s_wait_loadcnt 0x0
	global_load_b64 v[44:45], v[38:39], off
	s_mov_b32 s1, 0
	s_wait_loadcnt 0x0
	v_cvt_i32_f64_e32 v44, v[44:45]
	s_branch .LBB87_3495
.LBB87_3493:
	s_mov_b32 s1, -1
                                        ; implicit-def: $vgpr44
	s_branch .LBB87_3498
.LBB87_3494:
	s_mov_b32 s1, -1
                                        ; implicit-def: $vgpr44
.LBB87_3495:
	s_delay_alu instid0(SALU_CYCLE_1)
	s_and_not1_b32 vcc_lo, exec_lo, s1
	s_cbranch_vccnz .LBB87_3497
; %bb.3496:
	global_load_b32 v5, v[38:39], off
	s_wait_loadcnt 0x0
	v_cvt_i32_f32_e32 v44, v5
.LBB87_3497:
	s_mov_b32 s1, 0
.LBB87_3498:
	s_delay_alu instid0(SALU_CYCLE_1)
	s_and_not1_b32 vcc_lo, exec_lo, s1
	s_cbranch_vccnz .LBB87_3500
; %bb.3499:
	global_load_u16 v5, v[38:39], off
	s_wait_loadcnt 0x0
	v_cvt_f32_f16_e32 v5, v5
	s_delay_alu instid0(VALU_DEP_1)
	v_cvt_i32_f32_e32 v44, v5
.LBB87_3500:
	s_mov_b32 s1, 0
.LBB87_3501:
	s_delay_alu instid0(SALU_CYCLE_1)
	s_and_not1_b32 vcc_lo, exec_lo, s1
	s_cbranch_vccnz .LBB87_3521
; %bb.3502:
	s_cmp_lt_i32 s0, 2
	s_cbranch_scc1 .LBB87_3506
; %bb.3503:
	s_cmp_lt_i32 s0, 3
	s_cbranch_scc1 .LBB87_3507
; %bb.3504:
	s_cmp_gt_i32 s0, 3
	s_cbranch_scc0 .LBB87_3508
; %bb.3505:
	s_wait_loadcnt 0x0
	global_load_b32 v44, v[38:39], off
	s_mov_b32 s1, 0
	s_branch .LBB87_3509
.LBB87_3506:
	s_mov_b32 s1, -1
                                        ; implicit-def: $vgpr44
	s_branch .LBB87_3515
.LBB87_3507:
	s_mov_b32 s1, -1
                                        ; implicit-def: $vgpr44
	s_branch .LBB87_3512
.LBB87_3508:
	s_mov_b32 s1, -1
                                        ; implicit-def: $vgpr44
.LBB87_3509:
	s_delay_alu instid0(SALU_CYCLE_1)
	s_and_not1_b32 vcc_lo, exec_lo, s1
	s_cbranch_vccnz .LBB87_3511
; %bb.3510:
	s_wait_loadcnt 0x0
	global_load_b32 v44, v[38:39], off
.LBB87_3511:
	s_mov_b32 s1, 0
.LBB87_3512:
	s_delay_alu instid0(SALU_CYCLE_1)
	s_and_not1_b32 vcc_lo, exec_lo, s1
	s_cbranch_vccnz .LBB87_3514
; %bb.3513:
	s_wait_loadcnt 0x0
	global_load_i16 v44, v[38:39], off
.LBB87_3514:
	s_mov_b32 s1, 0
.LBB87_3515:
	s_delay_alu instid0(SALU_CYCLE_1)
	s_and_not1_b32 vcc_lo, exec_lo, s1
	s_cbranch_vccnz .LBB87_3521
; %bb.3516:
	s_cmp_gt_i32 s0, 0
	s_mov_b32 s0, 0
	s_cbranch_scc0 .LBB87_3518
; %bb.3517:
	s_wait_loadcnt 0x0
	global_load_i8 v44, v[38:39], off
	s_branch .LBB87_3519
.LBB87_3518:
	s_mov_b32 s0, -1
                                        ; implicit-def: $vgpr44
.LBB87_3519:
	s_delay_alu instid0(SALU_CYCLE_1)
	s_and_not1_b32 vcc_lo, exec_lo, s0
	s_cbranch_vccnz .LBB87_3521
; %bb.3520:
	s_wait_loadcnt 0x0
	global_load_u8 v44, v[38:39], off
.LBB87_3521:
	s_mov_b32 s9, -1
.LBB87_3522:
	s_delay_alu instid0(SALU_CYCLE_1)
	s_and_not1_b32 vcc_lo, exec_lo, s9
	s_cbranch_vccnz .LBB87_3531
; %bb.3523:
	s_load_b32 s8, s[2:3], 0x278
	s_get_pc_i64 s[0:1]
	s_add_nc_u64 s[0:1], s[0:1], .str.6@rel64+4
	s_delay_alu instid0(SALU_CYCLE_1) | instskip(SKIP_4) | instid1(SALU_CYCLE_1)
	s_cmp_eq_u64 s[0:1], 0
	s_cselect_b32 s0, -1, 0
	s_wait_kmcnt 0x0
	v_cmp_ne_u32_e32 vcc_lo, s8, v1
	s_or_b32 s0, s0, vcc_lo
	s_and_saveexec_b32 s1, s0
	s_delay_alu instid0(SALU_CYCLE_1)
	s_xor_b32 s0, exec_lo, s1
	s_cbranch_execnz .LBB87_3906
.LBB87_3524:
	s_or_saveexec_b32 s38, s0
	s_mov_b32 s1, 0
	s_mov_b32 s8, 0
                                        ; implicit-def: $vgpr38_vgpr39
                                        ; implicit-def: $sgpr0
	s_xor_b32 exec_lo, exec_lo, s38
	s_cbranch_execz .LBB87_4420
; %bb.3525:
	s_load_b64 s[10:11], s[2:3], 0x288
	s_get_pc_i64 s[0:1]
	s_add_nc_u64 s[0:1], s[0:1], .str.7@rel64+4
	s_mov_b32 s39, s33
	s_cmp_eq_u64 s[0:1], 0
	s_cselect_b32 s0, -1, 0
	s_wait_kmcnt 0x0
	v_cmp_ne_u32_e32 vcc_lo, s10, v3
	s_or_b32 s0, s0, vcc_lo
	s_delay_alu instid0(SALU_CYCLE_1) | instskip(NEXT) | instid1(SALU_CYCLE_1)
	s_and_saveexec_b32 s1, s0
	s_xor_b32 s0, exec_lo, s1
	s_cbranch_execnz .LBB87_4035
; %bb.3526:
	s_or_saveexec_b32 s40, s0
	s_mov_b32 s1, 0
                                        ; implicit-def: $vgpr38_vgpr39
                                        ; implicit-def: $sgpr0
	s_xor_b32 exec_lo, exec_lo, s40
	s_cbranch_execz .LBB87_4419
.LBB87_3527:
	s_load_b64 s[20:21], s[2:3], 0x280
	v_sub_nc_u32_e32 v5, v40, v42
	s_get_pc_i64 s[8:9]
	s_add_nc_u64 s[8:9], s[8:9], .str.8@rel64+4
	s_wait_kmcnt 0x0
	s_mov_b32 s21, s39
	v_cmp_gt_i32_e32 vcc_lo, v1, v5
	v_cmp_lt_i32_e64 s0, s20, v5
	s_or_b32 s0, vcc_lo, s0
	s_cmp_eq_u64 s[8:9], 0
	s_cselect_b32 s1, -1, 0
	s_delay_alu instid0(SALU_CYCLE_1) | instskip(NEXT) | instid1(SALU_CYCLE_1)
	s_or_b32 s0, s1, s0
	s_and_saveexec_b32 s1, s0
	s_delay_alu instid0(SALU_CYCLE_1)
	s_xor_b32 s0, exec_lo, s1
	s_cbranch_execnz .LBB87_4164
.LBB87_3528:
	s_or_saveexec_b32 s41, s0
	s_mov_b32 s1, 0
	s_mov_b32 s8, 0
                                        ; implicit-def: $vgpr38_vgpr39
                                        ; implicit-def: $sgpr0
	s_xor_b32 exec_lo, exec_lo, s41
	s_cbranch_execz .LBB87_4418
; %bb.3529:
	s_load_b32 s45, s[2:3], 0x290
	v_cmp_gt_i64_e64 s0, s[10:11], 0
	v_mov_b64_e32 v[38:39], 0
	s_wait_kmcnt 0x0
	s_add_co_i32 s8, s45, -1
	s_delay_alu instid0(SALU_CYCLE_1) | instskip(SKIP_1) | instid1(SALU_CYCLE_1)
	s_cmp_gt_i32 s8, -1
	s_cselect_b32 s1, -1, 0
	s_and_b32 s0, s0, s1
	s_delay_alu instid0(SALU_CYCLE_1) | instskip(NEXT) | instid1(VALU_DEP_1)
	v_cndmask_b32_e64 v5, 0, 1, s0
	v_cmp_ne_u32_e32 vcc_lo, 1, v5
	s_cbranch_vccnz .LBB87_3581
; %bb.3530:
	s_wait_loadcnt 0x0
	v_ashrrev_i32_e32 v45, 31, v44
	s_mov_b32 s1, 0
	v_mov_b64_e32 v[38:39], 0
	s_mov_b32 s9, s1
	s_mov_b64 s[22:23], 0xffffffff
	v_mul_u64_e32 v[46:47], s[10:11], v[44:45]
	s_lshl_b64 s[24:25], s[8:9], 3
	v_mov_b32_e32 v44, 0
	s_add_nc_u64 s[24:25], s[2:3], s[24:25]
	s_mov_b32 s9, s45
	s_add_nc_u64 s[24:25], s[24:25], 0x298
	s_branch .LBB87_3577
.LBB87_3531:
	s_mov_b32 s1, 0
	s_mov_b32 s8, 0
                                        ; implicit-def: $vgpr38_vgpr39
                                        ; implicit-def: $sgpr0
.LBB87_3532:
	s_wait_xcnt 0x0
	s_and_not1_b32 s2, s36, exec_lo
	s_and_b32 s3, s33, exec_lo
	s_and_b32 s4, s8, exec_lo
	;; [unrolled: 1-line block ×3, first 2 shown]
	s_or_b32 s36, s2, s3
.LBB87_3533:
	s_or_b32 exec_lo, exec_lo, s37
	s_and_saveexec_b32 s1, s36
	s_cbranch_execz .LBB87_3536
; %bb.3534:
	; divergent unreachable
	s_or_b32 exec_lo, exec_lo, s1
	s_and_saveexec_b32 s1, s63
	s_delay_alu instid0(SALU_CYCLE_1)
	s_xor_b32 s1, exec_lo, s1
	s_cbranch_execnz .LBB87_3537
.LBB87_3535:
	s_or_b32 exec_lo, exec_lo, s1
	s_and_saveexec_b32 s1, s4
	s_cbranch_execnz .LBB87_3538
	s_branch .LBB87_3575
.LBB87_3536:
	s_or_b32 exec_lo, exec_lo, s1
	s_and_saveexec_b32 s1, s63
	s_delay_alu instid0(SALU_CYCLE_1)
	s_xor_b32 s1, exec_lo, s1
	s_cbranch_execz .LBB87_3535
.LBB87_3537:
	s_wait_loadcnt 0x0
	v_mov_b32_e32 v0, 0
	global_store_b8 v[38:39], v0, off
	s_wait_xcnt 0x0
	s_or_b32 exec_lo, exec_lo, s1
	s_and_saveexec_b32 s1, s4
	s_cbranch_execz .LBB87_3575
.LBB87_3538:
	s_sext_i32_i16 s2, s0
	s_mov_b32 s1, -1
	s_cmp_lt_i32 s2, 5
	s_cbranch_scc1 .LBB87_3559
; %bb.3539:
	s_cmp_lt_i32 s2, 8
	s_cbranch_scc1 .LBB87_3549
; %bb.3540:
	;; [unrolled: 3-line block ×3, first 2 shown]
	s_cmp_gt_i32 s2, 9
	s_cbranch_scc0 .LBB87_3543
; %bb.3542:
	s_wait_loadcnt 0x0
	v_mov_b32_e32 v0, 0
	s_mov_b32 s1, 0
	s_delay_alu instid0(VALU_DEP_1)
	v_dual_mov_b32 v1, v0 :: v_dual_mov_b32 v2, v0
	v_mov_b32_e32 v3, v0
	global_store_b128 v[38:39], v[0:3], off
.LBB87_3543:
	s_and_not1_b32 vcc_lo, exec_lo, s1
	s_cbranch_vccnz .LBB87_3545
; %bb.3544:
	s_wait_loadcnt 0x0
	v_mov_b64_e32 v[0:1], 0
	global_store_b64 v[38:39], v[0:1], off
.LBB87_3545:
	s_mov_b32 s1, 0
.LBB87_3546:
	s_delay_alu instid0(SALU_CYCLE_1)
	s_and_not1_b32 vcc_lo, exec_lo, s1
	s_cbranch_vccnz .LBB87_3548
; %bb.3547:
	s_wait_loadcnt 0x0
	v_mov_b32_e32 v0, 0
	global_store_b32 v[38:39], v0, off
.LBB87_3548:
	s_mov_b32 s1, 0
.LBB87_3549:
	s_delay_alu instid0(SALU_CYCLE_1)
	s_and_not1_b32 vcc_lo, exec_lo, s1
	s_cbranch_vccnz .LBB87_3558
; %bb.3550:
	s_sext_i32_i16 s2, s0
	s_mov_b32 s1, -1
	s_cmp_lt_i32 s2, 6
	s_cbranch_scc1 .LBB87_3556
; %bb.3551:
	s_cmp_gt_i32 s2, 6
	s_cbranch_scc0 .LBB87_3553
; %bb.3552:
	s_wait_loadcnt 0x0
	v_mov_b64_e32 v[0:1], 0
	s_mov_b32 s1, 0
	global_store_b64 v[38:39], v[0:1], off
.LBB87_3553:
	s_and_not1_b32 vcc_lo, exec_lo, s1
	s_cbranch_vccnz .LBB87_3555
; %bb.3554:
	s_wait_loadcnt 0x0
	v_mov_b32_e32 v0, 0
	global_store_b32 v[38:39], v0, off
.LBB87_3555:
	s_mov_b32 s1, 0
.LBB87_3556:
	s_delay_alu instid0(SALU_CYCLE_1)
	s_and_not1_b32 vcc_lo, exec_lo, s1
	s_cbranch_vccnz .LBB87_3558
; %bb.3557:
	s_wait_loadcnt 0x0
	v_mov_b32_e32 v0, 0
	global_store_b16 v[38:39], v0, off
.LBB87_3558:
	s_mov_b32 s1, 0
.LBB87_3559:
	s_delay_alu instid0(SALU_CYCLE_1)
	s_and_not1_b32 vcc_lo, exec_lo, s1
	s_cbranch_vccnz .LBB87_3575
; %bb.3560:
	s_sext_i32_i16 s2, s0
	s_mov_b32 s1, -1
	s_cmp_lt_i32 s2, 2
	s_cbranch_scc1 .LBB87_3570
; %bb.3561:
	s_cmp_lt_i32 s2, 3
	s_cbranch_scc1 .LBB87_3567
; %bb.3562:
	s_cmp_gt_i32 s2, 3
	s_cbranch_scc0 .LBB87_3564
; %bb.3563:
	s_wait_loadcnt 0x0
	v_mov_b64_e32 v[0:1], 0
	s_mov_b32 s1, 0
	global_store_b64 v[38:39], v[0:1], off
.LBB87_3564:
	s_and_not1_b32 vcc_lo, exec_lo, s1
	s_cbranch_vccnz .LBB87_3566
; %bb.3565:
	s_wait_loadcnt 0x0
	v_mov_b32_e32 v0, 0
	global_store_b32 v[38:39], v0, off
.LBB87_3566:
	s_mov_b32 s1, 0
.LBB87_3567:
	s_delay_alu instid0(SALU_CYCLE_1)
	s_and_not1_b32 vcc_lo, exec_lo, s1
	s_cbranch_vccnz .LBB87_3569
; %bb.3568:
	s_wait_loadcnt 0x0
	v_mov_b32_e32 v0, 0
	global_store_b16 v[38:39], v0, off
.LBB87_3569:
	s_mov_b32 s1, 0
.LBB87_3570:
	s_delay_alu instid0(SALU_CYCLE_1)
	s_and_not1_b32 vcc_lo, exec_lo, s1
	s_cbranch_vccnz .LBB87_3575
; %bb.3571:
	s_sext_i32_i16 s0, s0
	s_delay_alu instid0(SALU_CYCLE_1)
	s_cmp_gt_i32 s0, 0
	s_mov_b32 s0, -1
	s_cbranch_scc0 .LBB87_3573
; %bb.3572:
	s_wait_loadcnt 0x0
	v_mov_b32_e32 v0, 0
	s_mov_b32 s0, 0
	global_store_b8 v[38:39], v0, off
.LBB87_3573:
	s_and_not1_b32 vcc_lo, exec_lo, s0
	s_cbranch_vccnz .LBB87_3575
; %bb.3574:
	s_wait_loadcnt 0x0
	v_mov_b32_e32 v0, 0
	global_store_b8 v[38:39], v0, off
	s_endpgm
.LBB87_3575:
	s_endpgm
.LBB87_3576:                            ;   in Loop: Header=BB87_3577 Depth=1
	s_or_b32 exec_lo, exec_lo, s0
	s_delay_alu instid0(VALU_DEP_1)
	v_mul_u64_e32 v[50:51], s[26:27], v[48:49]
	s_load_b64 s[26:27], s[24:25], 0x40
	s_add_co_i32 s9, s9, -1
	s_wait_xcnt 0x0
	s_add_nc_u64 s[24:25], s[24:25], -8
	s_cmp_eq_u32 s9, 0
	s_delay_alu instid0(VALU_DEP_1) | instskip(SKIP_1) | instid1(VALU_DEP_1)
	v_sub_nc_u64_e32 v[46:47], v[46:47], v[50:51]
	s_wait_kmcnt 0x0
	v_mad_nc_u64_u32 v[38:39], v46, s26, v[38:39]
	s_delay_alu instid0(VALU_DEP_1) | instskip(NEXT) | instid1(VALU_DEP_1)
	v_mad_u32 v7, v47, s26, v39
	v_mad_u32 v39, v46, s27, v7
	v_mov_b64_e32 v[46:47], v[48:49]
	s_cbranch_scc1 .LBB87_3581
.LBB87_3577:                            ; =>This Inner Loop Header: Depth=1
	s_load_b64 s[26:27], s[24:25], 0x0
                                        ; implicit-def: $vgpr48_vgpr49
	s_mov_b32 s0, exec_lo
	s_wait_kmcnt 0x0
	s_delay_alu instid0(VALU_DEP_1) | instskip(NEXT) | instid1(VALU_DEP_1)
	v_or_b32_e32 v45, s27, v47
	v_cmpx_ne_u64_e32 0, v[44:45]
	s_xor_b32 s42, exec_lo, s0
	s_cbranch_execz .LBB87_3579
; %bb.3578:                             ;   in Loop: Header=BB87_3577 Depth=1
	s_ashr_i32 s28, s27, 31
	v_dual_mov_b32 v53, v44 :: v_dual_ashrrev_i32 v48, 31, v47
	s_mov_b32 s29, s28
	v_mov_b32_e32 v61, v44
	s_add_nc_u64 s[30:31], s[26:27], s[28:29]
	s_delay_alu instid0(VALU_DEP_2) | instskip(SKIP_1) | instid1(SALU_CYCLE_1)
	v_mov_b32_e32 v49, v48
	s_xor_b64 s[30:31], s[30:31], s[28:29]
	s_cvt_f32_u32 s0, s30
	s_cvt_f32_u32 s29, s31
	s_sub_nc_u64 s[52:53], 0, s[30:31]
	v_add_nc_u64_e32 v[50:51], v[46:47], v[48:49]
	v_mov_b32_e32 v57, v44
	s_fmamk_f32 s0, s29, 0x4f800000, s0
	s_delay_alu instid0(SALU_CYCLE_3) | instskip(NEXT) | instid1(VALU_DEP_2)
	v_s_rcp_f32 s0, s0
	v_xor_b32_e32 v52, v50, v48
	s_delay_alu instid0(VALU_DEP_3) | instskip(NEXT) | instid1(TRANS32_DEP_1)
	v_xor_b32_e32 v56, v51, v48
	s_mul_f32 s0, s0, 0x5f7ffffc
	s_delay_alu instid0(SALU_CYCLE_3) | instskip(NEXT) | instid1(SALU_CYCLE_3)
	s_mul_f32 s29, s0, 0x2f800000
	s_trunc_f32 s29, s29
	s_delay_alu instid0(SALU_CYCLE_3) | instskip(SKIP_1) | instid1(SALU_CYCLE_2)
	s_fmamk_f32 s0, s29, 0xcf800000, s0
	s_cvt_u32_f32 s51, s29
	s_cvt_u32_f32 s50, s0
	s_delay_alu instid0(SALU_CYCLE_3) | instskip(NEXT) | instid1(SALU_CYCLE_1)
	s_mul_u64 s[54:55], s[52:53], s[50:51]
	s_mul_hi_u32 s57, s50, s55
	s_mul_i32 s56, s50, s55
	s_mul_hi_u32 s0, s50, s54
	s_mul_i32 s43, s51, s54
	s_add_nc_u64 s[56:57], s[0:1], s[56:57]
	s_mul_hi_u32 s29, s51, s54
	s_mul_hi_u32 s44, s51, s55
	s_add_co_u32 s0, s56, s43
	s_add_co_ci_u32 s0, s57, s29
	s_mul_i32 s54, s51, s55
	s_add_co_ci_u32 s55, s44, 0
	s_delay_alu instid0(SALU_CYCLE_1) | instskip(NEXT) | instid1(SALU_CYCLE_1)
	s_add_nc_u64 s[54:55], s[0:1], s[54:55]
	s_add_co_u32 s50, s50, s54
	s_cselect_b32 s0, -1, 0
	s_delay_alu instid0(SALU_CYCLE_1) | instskip(SKIP_1) | instid1(SALU_CYCLE_1)
	s_cmp_lg_u32 s0, 0
	s_add_co_ci_u32 s51, s51, s55
	s_mul_u64 s[52:53], s[52:53], s[50:51]
	s_delay_alu instid0(SALU_CYCLE_1)
	s_mul_hi_u32 s55, s50, s53
	s_mul_i32 s54, s50, s53
	s_mul_hi_u32 s0, s50, s52
	s_mul_i32 s43, s51, s52
	s_add_nc_u64 s[54:55], s[0:1], s[54:55]
	s_mul_hi_u32 s29, s51, s52
	s_mul_hi_u32 s44, s51, s53
	s_add_co_u32 s0, s54, s43
	s_add_co_ci_u32 s0, s55, s29
	s_mul_i32 s52, s51, s53
	s_add_co_ci_u32 s53, s44, 0
	s_delay_alu instid0(SALU_CYCLE_1) | instskip(NEXT) | instid1(SALU_CYCLE_1)
	s_add_nc_u64 s[52:53], s[0:1], s[52:53]
	s_add_co_u32 s44, s50, s52
	s_cselect_b32 s0, -1, 0
	v_mul_hi_u32 v60, v52, s44
	s_cmp_lg_u32 s0, 0
	s_add_co_ci_u32 s0, s51, s53
	s_and_b64 s[50:51], s[44:45], s[22:23]
	v_mul_u64_e32 v[54:55], s[0:1], v[52:53]
	v_mul_u64_e32 v[50:51], s[50:51], v[56:57]
	;; [unrolled: 1-line block ×3, first 2 shown]
	s_delay_alu instid0(VALU_DEP_3) | instskip(NEXT) | instid1(VALU_DEP_1)
	v_add_nc_u64_e32 v[54:55], v[60:61], v[54:55]
	v_add_co_u32 v7, vcc_lo, v54, v50
	s_delay_alu instid0(VALU_DEP_2) | instskip(NEXT) | instid1(VALU_DEP_4)
	v_add_co_ci_u32_e32 v60, vcc_lo, v55, v51, vcc_lo
	v_add_co_ci_u32_e32 v59, vcc_lo, 0, v59, vcc_lo
	s_delay_alu instid0(VALU_DEP_1) | instskip(NEXT) | instid1(VALU_DEP_1)
	v_add_nc_u64_e32 v[50:51], v[60:61], v[58:59]
	v_mul_u64_e32 v[54:55], s[30:31], v[50:51]
	s_delay_alu instid0(VALU_DEP_1) | instskip(NEXT) | instid1(VALU_DEP_2)
	v_sub_nc_u32_e32 v7, v56, v55
	v_sub_co_u32 v9, vcc_lo, v52, v54
	s_delay_alu instid0(VALU_DEP_1) | instskip(NEXT) | instid1(VALU_DEP_3)
	v_sub_co_ci_u32_e64 v13, null, v56, v55, vcc_lo
	v_subrev_co_ci_u32_e64 v7, null, s31, v7, vcc_lo
	s_delay_alu instid0(VALU_DEP_3) | instskip(SKIP_1) | instid1(VALU_DEP_3)
	v_sub_co_u32 v11, s0, v9, s30
	v_add_nc_u64_e32 v[52:53], 2, v[50:51]
	v_subrev_co_ci_u32_e64 v7, null, 0, v7, s0
	s_delay_alu instid0(VALU_DEP_3) | instskip(SKIP_2) | instid1(VALU_DEP_4)
	v_cmp_le_u32_e32 vcc_lo, s30, v11
	v_add_nc_u64_e32 v[54:55], 1, v[50:51]
	v_cndmask_b32_e64 v11, 0, -1, vcc_lo
	v_cmp_le_u32_e32 vcc_lo, s31, v7
	v_cndmask_b32_e64 v15, 0, -1, vcc_lo
	v_cmp_le_u32_e32 vcc_lo, s30, v9
	;; [unrolled: 2-line block ×3, first 2 shown]
	v_cndmask_b32_e64 v17, 0, -1, vcc_lo
	v_cmp_eq_u32_e32 vcc_lo, s31, v7
	v_cndmask_b32_e32 v7, v15, v11, vcc_lo
	v_cmp_eq_u32_e32 vcc_lo, s31, v13
	s_delay_alu instid0(VALU_DEP_4) | instskip(NEXT) | instid1(VALU_DEP_3)
	v_cndmask_b32_e32 v9, v17, v9, vcc_lo
	v_cmp_ne_u32_e32 vcc_lo, 0, v7
	s_delay_alu instid0(VALU_DEP_2) | instskip(SKIP_1) | instid1(VALU_DEP_1)
	v_cmp_ne_u32_e64 s0, 0, v9
	v_dual_cndmask_b32 v7, v55, v53, vcc_lo :: v_dual_cndmask_b32 v9, v54, v52, vcc_lo
	v_dual_cndmask_b32 v7, v51, v7, s0 :: v_dual_bitop2_b32 v48, s28, v48 bitop3:0x14
	s_delay_alu instid0(VALU_DEP_1) | instskip(NEXT) | instid1(VALU_DEP_2)
	v_dual_cndmask_b32 v9, v50, v9, s0 :: v_dual_mov_b32 v49, v48
	v_xor_b32_e32 v51, v7, v48
	s_delay_alu instid0(VALU_DEP_2) | instskip(NEXT) | instid1(VALU_DEP_1)
	v_xor_b32_e32 v50, v9, v48
	v_sub_nc_u64_e32 v[48:49], v[50:51], v[48:49]
.LBB87_3579:                            ;   in Loop: Header=BB87_3577 Depth=1
	s_and_not1_saveexec_b32 s0, s42
	s_cbranch_execz .LBB87_3576
; %bb.3580:                             ;   in Loop: Header=BB87_3577 Depth=1
	v_cvt_f32_u32_e32 v7, s26
	s_sub_co_i32 s28, 0, s26
	v_mov_b32_e32 v49, v44
	s_delay_alu instid0(VALU_DEP_2) | instskip(SKIP_1) | instid1(TRANS32_DEP_1)
	v_rcp_iflag_f32_e32 v7, v7
	v_nop
	v_mul_f32_e32 v7, 0x4f7ffffe, v7
	s_delay_alu instid0(VALU_DEP_1) | instskip(NEXT) | instid1(VALU_DEP_1)
	v_cvt_u32_f32_e32 v7, v7
	v_mul_lo_u32 v9, s28, v7
	s_delay_alu instid0(VALU_DEP_1) | instskip(NEXT) | instid1(VALU_DEP_1)
	v_mul_hi_u32 v9, v7, v9
	v_add_nc_u32_e32 v7, v7, v9
	s_delay_alu instid0(VALU_DEP_1) | instskip(NEXT) | instid1(VALU_DEP_1)
	v_mul_hi_u32 v7, v46, v7
	v_mul_lo_u32 v9, v7, s26
	s_delay_alu instid0(VALU_DEP_1) | instskip(NEXT) | instid1(VALU_DEP_1)
	v_sub_nc_u32_e32 v9, v46, v9
	v_subrev_nc_u32_e32 v13, s26, v9
	v_cmp_le_u32_e32 vcc_lo, s26, v9
	s_delay_alu instid0(VALU_DEP_2) | instskip(NEXT) | instid1(VALU_DEP_1)
	v_dual_add_nc_u32 v11, 1, v7 :: v_dual_cndmask_b32 v9, v9, v13, vcc_lo
	v_cndmask_b32_e32 v7, v7, v11, vcc_lo
	s_delay_alu instid0(VALU_DEP_2) | instskip(NEXT) | instid1(VALU_DEP_2)
	v_cmp_le_u32_e32 vcc_lo, s26, v9
	v_add_nc_u32_e32 v11, 1, v7
	s_delay_alu instid0(VALU_DEP_1)
	v_cndmask_b32_e32 v48, v7, v11, vcc_lo
	s_branch .LBB87_3576
.LBB87_3581:
	s_load_b64 s[22:23], s[2:3], 0x318
	s_get_pc_i64 s[0:1]
	s_add_nc_u64 s[0:1], s[0:1], .str.9@rel64+4
	s_mov_b32 s24, -1
	s_cmp_lg_u64 s[0:1], 0
	s_mov_b32 s42, s21
	s_cselect_b32 s46, -1, 0
	s_mov_b32 s0, exec_lo
	v_cmpx_gt_i32_e64 v40, v42
	s_cbranch_execz .LBB87_3588
; %bb.3582:
	v_lshlrev_b64_e32 v[38:39], 2, v[38:39]
	v_dual_ashrrev_i32 v43, 31, v42 :: v_dual_ashrrev_i32 v41, 31, v40
	s_mov_b32 s9, 0
	s_xor_b32 s24, s46, -1
                                        ; implicit-def: $sgpr1
                                        ; implicit-def: $sgpr26
                                        ; implicit-def: $sgpr25
	s_delay_alu instid0(VALU_DEP_1) | instskip(SKIP_3) | instid1(VALU_DEP_2)
	v_lshl_add_u64 v[42:43], v[42:43], 2, v[38:39]
	s_wait_loadcnt 0x0
	s_wait_kmcnt 0x0
	v_add_nc_u64_e32 v[44:45], s[22:23], v[38:39]
	v_add_nc_u64_e32 v[42:43], s[22:23], v[42:43]
	s_delay_alu instid0(VALU_DEP_2) | instskip(NEXT) | instid1(VALU_DEP_2)
	v_lshl_add_u64 v[40:41], v[40:41], 2, v[44:45]
	v_add_nc_u64_e32 v[38:39], 4, v[42:43]
	s_branch .LBB87_3584
.LBB87_3583:                            ;   in Loop: Header=BB87_3584 Depth=1
	s_or_b32 exec_lo, exec_lo, s27
	s_xor_b32 s27, s25, -1
	s_and_b32 s28, exec_lo, s26
	s_delay_alu instid0(SALU_CYCLE_1) | instskip(SKIP_2) | instid1(SALU_CYCLE_1)
	s_or_b32 s9, s28, s9
	s_and_not1_b32 s1, s1, exec_lo
	s_and_b32 s27, s27, exec_lo
	s_or_b32 s1, s1, s27
	s_and_not1_b32 exec_lo, exec_lo, s9
	s_cbranch_execz .LBB87_3586
.LBB87_3584:                            ; =>This Inner Loop Header: Depth=1
	s_or_b32 s25, s25, exec_lo
	s_or_b32 s26, s26, exec_lo
	s_mov_b32 s27, exec_lo
	s_delay_alu instid0(VALU_DEP_1)
	v_cmpx_lt_u64_e64 v[38:39], v[40:41]
	s_cbranch_execz .LBB87_3583
; %bb.3585:                             ;   in Loop: Header=BB87_3584 Depth=1
	global_load_b64 v[42:43], v[38:39], off offset:-4
	s_wait_xcnt 0x0
	v_add_nc_u64_e32 v[38:39], 4, v[38:39]
	s_and_not1_b32 s26, s26, exec_lo
	s_and_not1_b32 s25, s25, exec_lo
	s_wait_loadcnt 0x0
	v_cmp_ge_i32_e32 vcc_lo, v42, v43
	s_or_b32 s28, s24, vcc_lo
	s_delay_alu instid0(SALU_CYCLE_1) | instskip(NEXT) | instid1(SALU_CYCLE_1)
	s_and_b32 s28, s28, exec_lo
	s_or_b32 s26, s26, s28
	s_branch .LBB87_3583
.LBB87_3586:
	s_or_b32 exec_lo, exec_lo, s9
	s_mov_b32 s9, -1
	s_mov_b32 s24, s21
	s_and_saveexec_b32 s25, s1
	s_delay_alu instid0(SALU_CYCLE_1)
	s_xor_b32 s1, exec_lo, s25
	s_cbranch_execnz .LBB87_3691
.LBB87_3587:
	s_or_b32 exec_lo, exec_lo, s1
	s_delay_alu instid0(SALU_CYCLE_1) | instskip(SKIP_1) | instid1(SALU_CYCLE_1)
	s_and_not1_b32 s1, s21, exec_lo
	s_and_b32 s24, s24, exec_lo
	s_or_b32 s42, s1, s24
	s_or_not1_b32 s24, s9, exec_lo
.LBB87_3588:
	s_or_b32 exec_lo, exec_lo, s0
	s_mov_b32 s1, 0
	s_mov_b32 s9, 0
                                        ; implicit-def: $vgpr38_vgpr39
                                        ; implicit-def: $sgpr0
	s_and_saveexec_b32 s43, s24
	s_cbranch_execz .LBB87_4417
; %bb.3589:
	v_mov_b32_e32 v37, 0
	s_and_b32 s55, 0xffff, s34
	s_delay_alu instid0(SALU_CYCLE_1) | instskip(NEXT) | instid1(VALU_DEP_1)
	s_cmp_lt_i32 s55, 11
	v_add_nc_u64_e32 v[36:37], s[6:7], v[36:37]
	s_cbranch_scc1 .LBB87_3597
; %bb.3590:
	s_cmp_gt_i32 s55, 25
	s_cbranch_scc0 .LBB87_3599
; %bb.3591:
	s_cmp_gt_i32 s55, 28
	s_cbranch_scc0 .LBB87_3601
	;; [unrolled: 3-line block ×4, first 2 shown]
; %bb.3594:
	s_cmp_eq_u32 s55, 46
	s_mov_b32 s24, 0
	s_cbranch_scc0 .LBB87_3779
; %bb.3595:
	global_load_b32 v7, v[36:37], off
	s_mov_b32 s0, 0
	s_mov_b32 s9, -1
	s_wait_loadcnt 0x0
	v_lshlrev_b32_e32 v7, 16, v7
	s_delay_alu instid0(VALU_DEP_1)
	v_cvt_i32_f32_e32 v7, v7
	s_branch .LBB87_3781
.LBB87_3596:
	s_or_b32 s33, s33, exec_lo
	s_trap 2
	s_cbranch_execz .LBB87_3471
	s_branch .LBB87_3472
.LBB87_3597:
	s_mov_b32 s0, -1
	s_mov_b32 s44, s42
                                        ; implicit-def: $vgpr7
	s_branch .LBB87_3843
.LBB87_3598:
	s_mov_b32 s52, -1
	s_mov_b32 s53, 0
	s_mov_b32 s50, s67
	s_branch .LBB87_3733
.LBB87_3599:
	s_mov_b32 s24, -1
	s_mov_b32 s0, 0
                                        ; implicit-def: $vgpr7
	s_branch .LBB87_3808
.LBB87_3600:
	s_mov_b32 s54, -1
	s_mov_b32 s53, 0
	s_mov_b32 s50, s67
	s_branch .LBB87_3713
.LBB87_3601:
	s_mov_b32 s24, -1
	s_mov_b32 s0, 0
                                        ; implicit-def: $vgpr7
	s_branch .LBB87_3791
.LBB87_3602:
	s_mov_b32 s54, -1
	s_mov_b32 s53, 0
	s_mov_b32 s50, s67
	s_branch .LBB87_3702
.LBB87_3603:
	s_mov_b32 s24, -1
	s_mov_b32 s0, 0
                                        ; implicit-def: $vgpr7
	s_branch .LBB87_3786
.LBB87_3604:
	s_mov_b32 s54, -1
	s_mov_b32 s53, 0
	s_mov_b32 s50, s60
.LBB87_3605:
	s_and_b32 vcc_lo, exec_lo, s54
	s_cbranch_vccz .LBB87_3608
; %bb.3606:
	s_cmp_eq_u32 s52, 44
	s_mov_b32 s50, -1
	s_cbranch_scc0 .LBB87_3608
; %bb.3607:
	s_wait_xcnt 0x0
	v_mov_b32_e32 v1, 0
	s_mov_b32 s53, -1
	s_mov_b32 s50, 0
	global_store_b8 v[2:3], v1, off
.LBB87_3608:
	s_mov_b32 s54, 0
.LBB87_3609:
	s_delay_alu instid0(SALU_CYCLE_1)
	s_and_b32 vcc_lo, exec_lo, s54
	s_cbranch_vccz .LBB87_3612
; %bb.3610:
	s_cmp_eq_u32 s52, 29
	s_mov_b32 s50, -1
	s_cbranch_scc0 .LBB87_3612
; %bb.3611:
	v_mov_b64_e32 v[4:5], 0
	s_mov_b32 s53, -1
	s_mov_b32 s50, 0
	s_mov_b32 s54, 0
	global_store_b64 v[2:3], v[4:5], off
	s_branch .LBB87_3613
.LBB87_3612:
	s_mov_b32 s54, 0
.LBB87_3613:
	s_delay_alu instid0(SALU_CYCLE_1)
	s_and_b32 vcc_lo, exec_lo, s54
	s_cbranch_vccz .LBB87_3623
; %bb.3614:
	s_cmp_lt_i32 s52, 27
	s_mov_b32 s53, -1
	s_cbranch_scc1 .LBB87_3620
; %bb.3615:
	s_cmp_gt_i32 s52, 27
	s_cbranch_scc0 .LBB87_3617
; %bb.3616:
	s_wait_xcnt 0x0
	v_mov_b32_e32 v1, 0
	s_mov_b32 s53, 0
	global_store_b32 v[2:3], v1, off
.LBB87_3617:
	s_and_not1_b32 vcc_lo, exec_lo, s53
	s_cbranch_vccnz .LBB87_3619
; %bb.3618:
	s_wait_xcnt 0x0
	v_mov_b32_e32 v1, 0
	global_store_b16 v[2:3], v1, off
.LBB87_3619:
	s_mov_b32 s53, 0
.LBB87_3620:
	s_delay_alu instid0(SALU_CYCLE_1)
	s_and_not1_b32 vcc_lo, exec_lo, s53
	s_cbranch_vccnz .LBB87_3622
; %bb.3621:
	s_wait_xcnt 0x0
	v_mov_b32_e32 v1, 0
	global_store_b8 v[2:3], v1, off
.LBB87_3622:
	s_mov_b32 s53, -1
.LBB87_3623:
	s_mov_b32 s54, 0
.LBB87_3624:
	s_delay_alu instid0(SALU_CYCLE_1)
	s_and_b32 vcc_lo, exec_lo, s54
	s_cbranch_vccz .LBB87_3643
; %bb.3625:
	s_cmp_gt_i32 s52, 22
	s_mov_b32 s54, -1
	s_cbranch_scc0 .LBB87_3635
; %bb.3626:
	s_cmp_lt_i32 s52, 24
	s_mov_b32 s53, -1
	s_cbranch_scc1 .LBB87_3632
; %bb.3627:
	s_cmp_gt_i32 s52, 24
	s_cbranch_scc0 .LBB87_3629
; %bb.3628:
	s_wait_xcnt 0x0
	v_mov_b32_e32 v1, 0
	s_mov_b32 s53, 0
	global_store_b8 v[2:3], v1, off
.LBB87_3629:
	s_and_not1_b32 vcc_lo, exec_lo, s53
	s_cbranch_vccnz .LBB87_3631
; %bb.3630:
	s_wait_xcnt 0x0
	v_mov_b32_e32 v1, 0
	global_store_b8 v[2:3], v1, off
.LBB87_3631:
	s_mov_b32 s53, 0
.LBB87_3632:
	s_delay_alu instid0(SALU_CYCLE_1)
	s_and_not1_b32 vcc_lo, exec_lo, s53
	s_cbranch_vccnz .LBB87_3634
; %bb.3633:
	s_wait_xcnt 0x0
	v_mov_b32_e32 v1, 0
	global_store_b8 v[2:3], v1, off
.LBB87_3634:
	s_mov_b32 s54, 0
	s_mov_b32 s53, -1
.LBB87_3635:
	s_and_not1_b32 vcc_lo, exec_lo, s54
	s_cbranch_vccnz .LBB87_3643
; %bb.3636:
	s_cmp_gt_i32 s52, 14
	s_mov_b32 s54, -1
	s_cbranch_scc0 .LBB87_3640
; %bb.3637:
	s_cmp_eq_u32 s52, 15
	s_mov_b32 s50, -1
	s_cbranch_scc0 .LBB87_3639
; %bb.3638:
	s_wait_xcnt 0x0
	v_mov_b32_e32 v1, 0
	s_mov_b32 s53, -1
	s_mov_b32 s50, 0
	global_store_b16 v[2:3], v1, off
.LBB87_3639:
	s_mov_b32 s54, 0
.LBB87_3640:
	s_delay_alu instid0(SALU_CYCLE_1)
	s_and_b32 vcc_lo, exec_lo, s54
	s_cbranch_vccz .LBB87_3643
; %bb.3641:
	s_cmp_eq_u32 s52, 11
	s_mov_b32 s50, -1
	s_cbranch_scc0 .LBB87_3643
; %bb.3642:
	s_wait_xcnt 0x0
	v_mov_b32_e32 v1, 0
	s_mov_b32 s53, -1
	s_mov_b32 s50, 0
	global_store_b8 v[2:3], v1, off
.LBB87_3643:
	s_mov_b32 s52, 0
.LBB87_3644:
	s_delay_alu instid0(SALU_CYCLE_1)
	s_and_b32 vcc_lo, exec_lo, s52
	s_cbranch_vccz .LBB87_3683
; %bb.3645:
	s_and_b32 s51, 0xffff, s51
	s_mov_b32 s52, -1
	s_cmp_lt_i32 s51, 5
	s_cbranch_scc1 .LBB87_3666
; %bb.3646:
	s_cmp_lt_i32 s51, 8
	s_cbranch_scc1 .LBB87_3656
; %bb.3647:
	;; [unrolled: 3-line block ×3, first 2 shown]
	s_cmp_gt_i32 s51, 9
	s_cbranch_scc0 .LBB87_3650
; %bb.3649:
	s_wait_xcnt 0x0
	v_mov_b32_e32 v4, 0
	s_mov_b32 s52, 0
	s_delay_alu instid0(VALU_DEP_1)
	v_dual_mov_b32 v5, v4 :: v_dual_mov_b32 v6, v4
	v_mov_b32_e32 v7, v4
	global_store_b128 v[2:3], v[4:7], off
.LBB87_3650:
	s_and_not1_b32 vcc_lo, exec_lo, s52
	s_cbranch_vccnz .LBB87_3652
; %bb.3651:
	s_wait_xcnt 0x0
	v_mov_b64_e32 v[4:5], 0
	global_store_b64 v[2:3], v[4:5], off
.LBB87_3652:
	s_mov_b32 s52, 0
.LBB87_3653:
	s_delay_alu instid0(SALU_CYCLE_1)
	s_and_not1_b32 vcc_lo, exec_lo, s52
	s_cbranch_vccnz .LBB87_3655
; %bb.3654:
	s_wait_xcnt 0x0
	v_mov_b32_e32 v1, 0
	global_store_b32 v[2:3], v1, off
.LBB87_3655:
	s_mov_b32 s52, 0
.LBB87_3656:
	s_delay_alu instid0(SALU_CYCLE_1)
	s_and_not1_b32 vcc_lo, exec_lo, s52
	s_cbranch_vccnz .LBB87_3665
; %bb.3657:
	s_cmp_lt_i32 s51, 6
	s_mov_b32 s52, -1
	s_cbranch_scc1 .LBB87_3663
; %bb.3658:
	s_cmp_gt_i32 s51, 6
	s_cbranch_scc0 .LBB87_3660
; %bb.3659:
	s_wait_xcnt 0x0
	v_mov_b64_e32 v[4:5], 0
	s_mov_b32 s52, 0
	global_store_b64 v[2:3], v[4:5], off
.LBB87_3660:
	s_and_not1_b32 vcc_lo, exec_lo, s52
	s_cbranch_vccnz .LBB87_3662
; %bb.3661:
	s_wait_xcnt 0x0
	v_mov_b32_e32 v1, 0
	global_store_b32 v[2:3], v1, off
.LBB87_3662:
	s_mov_b32 s52, 0
.LBB87_3663:
	s_delay_alu instid0(SALU_CYCLE_1)
	s_and_not1_b32 vcc_lo, exec_lo, s52
	s_cbranch_vccnz .LBB87_3665
; %bb.3664:
	s_wait_xcnt 0x0
	v_mov_b32_e32 v1, 0
	global_store_b16 v[2:3], v1, off
.LBB87_3665:
	s_mov_b32 s52, 0
.LBB87_3666:
	s_delay_alu instid0(SALU_CYCLE_1)
	s_and_not1_b32 vcc_lo, exec_lo, s52
	s_cbranch_vccnz .LBB87_3682
; %bb.3667:
	s_cmp_lt_i32 s51, 2
	s_mov_b32 s52, -1
	s_cbranch_scc1 .LBB87_3677
; %bb.3668:
	s_cmp_lt_i32 s51, 3
	s_cbranch_scc1 .LBB87_3674
; %bb.3669:
	s_cmp_gt_i32 s51, 3
	s_cbranch_scc0 .LBB87_3671
; %bb.3670:
	s_wait_xcnt 0x0
	v_mov_b64_e32 v[4:5], 0
	s_mov_b32 s52, 0
	global_store_b64 v[2:3], v[4:5], off
.LBB87_3671:
	s_and_not1_b32 vcc_lo, exec_lo, s52
	s_cbranch_vccnz .LBB87_3673
; %bb.3672:
	s_wait_xcnt 0x0
	v_mov_b32_e32 v1, 0
	global_store_b32 v[2:3], v1, off
.LBB87_3673:
	s_mov_b32 s52, 0
.LBB87_3674:
	s_delay_alu instid0(SALU_CYCLE_1)
	s_and_not1_b32 vcc_lo, exec_lo, s52
	s_cbranch_vccnz .LBB87_3676
; %bb.3675:
	s_wait_xcnt 0x0
	v_mov_b32_e32 v1, 0
	global_store_b16 v[2:3], v1, off
.LBB87_3676:
	s_mov_b32 s52, 0
.LBB87_3677:
	s_delay_alu instid0(SALU_CYCLE_1)
	s_and_not1_b32 vcc_lo, exec_lo, s52
	s_cbranch_vccnz .LBB87_3682
; %bb.3678:
	s_cmp_gt_i32 s51, 0
	s_mov_b32 s51, -1
	s_cbranch_scc0 .LBB87_3680
; %bb.3679:
	s_wait_xcnt 0x0
	v_mov_b32_e32 v1, 0
	s_mov_b32 s51, 0
	global_store_b8 v[2:3], v1, off
.LBB87_3680:
	s_and_not1_b32 vcc_lo, exec_lo, s51
	s_cbranch_vccnz .LBB87_3682
; %bb.3681:
	s_wait_xcnt 0x0
	v_mov_b32_e32 v1, 0
	global_store_b8 v[2:3], v1, off
.LBB87_3682:
	s_mov_b32 s53, -1
.LBB87_3683:
	s_delay_alu instid0(SALU_CYCLE_1)
	s_and_not1_b32 vcc_lo, exec_lo, s53
	s_cbranch_vccnz .LBB87_3685
; %bb.3684:
	v_add_nc_u32_e32 v0, 0x80, v0
	s_mov_b32 s51, -1
	s_branch .LBB87_3686
.LBB87_3685:
	s_mov_b32 s51, 0
                                        ; implicit-def: $vgpr0
.LBB87_3686:
	s_and_not1_b32 s4, s60, exec_lo
	s_and_b32 s5, s50, exec_lo
	s_and_not1_b32 s0, s0, exec_lo
	s_or_b32 s50, s4, s5
	s_and_b32 s51, s51, exec_lo
.LBB87_3687:
	s_wait_xcnt 0x0
	s_or_b32 exec_lo, exec_lo, s35
	s_delay_alu instid0(SALU_CYCLE_1)
	s_and_not1_b32 s4, s60, exec_lo
	s_and_b32 s5, s50, exec_lo
	s_and_not1_b32 s6, s61, exec_lo
	s_and_b32 s0, s0, exec_lo
	s_or_b32 s52, s4, s5
	s_or_b32 s0, s6, s0
	s_xor_b32 s50, exec_lo, -1
	s_and_b32 s35, s51, exec_lo
.LBB87_3688:
	s_or_b32 exec_lo, exec_lo, s93
	s_delay_alu instid0(SALU_CYCLE_1)
	s_and_not1_b32 s4, s60, exec_lo
	s_and_b32 s5, s52, exec_lo
	s_and_b32 s0, s0, exec_lo
	s_or_b32 s53, s4, s5
	s_and_not1_b32 s4, s61, exec_lo
	s_and_not1_b32 s5, s77, exec_lo
	s_and_b32 s6, s50, exec_lo
	s_or_b32 s50, s4, s0
	s_or_b32 s52, s5, s6
	s_xor_b32 s51, exec_lo, -1
	s_and_b32 s0, s35, exec_lo
.LBB87_3689:
	s_or_b32 exec_lo, exec_lo, s92
	s_delay_alu instid0(SALU_CYCLE_1)
	s_and_not1_b32 s4, s60, exec_lo
	s_and_b32 s5, s53, exec_lo
	s_and_not1_b32 s6, s61, exec_lo
	s_and_b32 s7, s50, exec_lo
	s_or_b32 s35, s4, s5
	s_or_b32 s50, s6, s7
	s_and_not1_b32 s4, s77, exec_lo
	s_and_b32 s5, s52, exec_lo
	s_and_not1_b32 s6, s78, exec_lo
	s_and_b32 s7, s51, exec_lo
	s_or_b32 s51, s4, s5
	s_or_b32 s53, s6, s7
	s_xor_b32 s52, exec_lo, -1
	s_and_b32 s0, s0, exec_lo
	s_or_b32 exec_lo, exec_lo, s91
	s_branch .LBB87_1325
.LBB87_3690:
	s_mov_b32 s54, -1
	s_mov_b32 s53, 0
	s_mov_b32 s50, s67
	s_branch .LBB87_3698
.LBB87_3691:
	s_or_b32 s24, s21, exec_lo
	s_xor_b32 s9, exec_lo, -1
	s_trap 2
	s_branch .LBB87_3587
.LBB87_3692:
	s_mov_b32 s24, -1
	s_mov_b32 s0, 0
	s_branch .LBB87_3780
.LBB87_3693:
	s_mov_b32 s54, -1
	s_mov_b32 s53, 0
	s_mov_b32 s50, s67
.LBB87_3694:
	s_and_b32 vcc_lo, exec_lo, s54
	s_cbranch_vccz .LBB87_3697
; %bb.3695:
	s_cmp_eq_u32 s52, 44
	s_mov_b32 s50, -1
	s_cbranch_scc0 .LBB87_3697
; %bb.3696:
	s_wait_xcnt 0x0
	v_mov_b32_e32 v1, 0
	s_mov_b32 s53, -1
	s_mov_b32 s50, 0
	global_store_b8 v[2:3], v1, off
.LBB87_3697:
	s_mov_b32 s54, 0
.LBB87_3698:
	s_delay_alu instid0(SALU_CYCLE_1)
	s_and_b32 vcc_lo, exec_lo, s54
	s_cbranch_vccz .LBB87_3701
; %bb.3699:
	s_cmp_eq_u32 s52, 29
	s_mov_b32 s50, -1
	s_cbranch_scc0 .LBB87_3701
; %bb.3700:
	v_mov_b64_e32 v[4:5], 0
	s_mov_b32 s53, -1
	s_mov_b32 s50, 0
	s_mov_b32 s54, 0
	global_store_b64 v[2:3], v[4:5], off
	s_branch .LBB87_3702
.LBB87_3701:
	s_mov_b32 s54, 0
.LBB87_3702:
	s_delay_alu instid0(SALU_CYCLE_1)
	s_and_b32 vcc_lo, exec_lo, s54
	s_cbranch_vccz .LBB87_3712
; %bb.3703:
	s_cmp_lt_i32 s52, 27
	s_mov_b32 s53, -1
	s_cbranch_scc1 .LBB87_3709
; %bb.3704:
	s_cmp_gt_i32 s52, 27
	s_cbranch_scc0 .LBB87_3706
; %bb.3705:
	s_wait_xcnt 0x0
	v_mov_b32_e32 v1, 0
	s_mov_b32 s53, 0
	global_store_b32 v[2:3], v1, off
.LBB87_3706:
	s_and_not1_b32 vcc_lo, exec_lo, s53
	s_cbranch_vccnz .LBB87_3708
; %bb.3707:
	s_wait_xcnt 0x0
	v_mov_b32_e32 v1, 0
	global_store_b16 v[2:3], v1, off
.LBB87_3708:
	s_mov_b32 s53, 0
.LBB87_3709:
	s_delay_alu instid0(SALU_CYCLE_1)
	s_and_not1_b32 vcc_lo, exec_lo, s53
	s_cbranch_vccnz .LBB87_3711
; %bb.3710:
	s_wait_xcnt 0x0
	v_mov_b32_e32 v1, 0
	global_store_b8 v[2:3], v1, off
.LBB87_3711:
	s_mov_b32 s53, -1
.LBB87_3712:
	s_mov_b32 s54, 0
.LBB87_3713:
	s_delay_alu instid0(SALU_CYCLE_1)
	s_and_b32 vcc_lo, exec_lo, s54
	s_cbranch_vccz .LBB87_3732
; %bb.3714:
	s_cmp_gt_i32 s52, 22
	s_mov_b32 s54, -1
	s_cbranch_scc0 .LBB87_3724
; %bb.3715:
	s_cmp_lt_i32 s52, 24
	s_mov_b32 s53, -1
	s_cbranch_scc1 .LBB87_3721
; %bb.3716:
	s_cmp_gt_i32 s52, 24
	s_cbranch_scc0 .LBB87_3718
; %bb.3717:
	s_wait_xcnt 0x0
	v_mov_b32_e32 v1, 0
	s_mov_b32 s53, 0
	global_store_b8 v[2:3], v1, off
.LBB87_3718:
	s_and_not1_b32 vcc_lo, exec_lo, s53
	s_cbranch_vccnz .LBB87_3720
; %bb.3719:
	s_wait_xcnt 0x0
	v_mov_b32_e32 v1, 0
	global_store_b8 v[2:3], v1, off
.LBB87_3720:
	s_mov_b32 s53, 0
.LBB87_3721:
	s_delay_alu instid0(SALU_CYCLE_1)
	s_and_not1_b32 vcc_lo, exec_lo, s53
	s_cbranch_vccnz .LBB87_3723
; %bb.3722:
	s_wait_xcnt 0x0
	v_mov_b32_e32 v1, 0
	global_store_b8 v[2:3], v1, off
.LBB87_3723:
	s_mov_b32 s54, 0
	s_mov_b32 s53, -1
.LBB87_3724:
	s_and_not1_b32 vcc_lo, exec_lo, s54
	s_cbranch_vccnz .LBB87_3732
; %bb.3725:
	s_cmp_gt_i32 s52, 14
	s_mov_b32 s54, -1
	s_cbranch_scc0 .LBB87_3729
; %bb.3726:
	s_cmp_eq_u32 s52, 15
	s_mov_b32 s50, -1
	s_cbranch_scc0 .LBB87_3728
; %bb.3727:
	s_wait_xcnt 0x0
	v_mov_b32_e32 v1, 0
	s_mov_b32 s53, -1
	s_mov_b32 s50, 0
	global_store_b16 v[2:3], v1, off
.LBB87_3728:
	s_mov_b32 s54, 0
.LBB87_3729:
	s_delay_alu instid0(SALU_CYCLE_1)
	s_and_b32 vcc_lo, exec_lo, s54
	s_cbranch_vccz .LBB87_3732
; %bb.3730:
	s_cmp_eq_u32 s52, 11
	s_mov_b32 s50, -1
	s_cbranch_scc0 .LBB87_3732
; %bb.3731:
	s_wait_xcnt 0x0
	v_mov_b32_e32 v1, 0
	s_mov_b32 s53, -1
	s_mov_b32 s50, 0
	global_store_b8 v[2:3], v1, off
.LBB87_3732:
	s_mov_b32 s52, 0
.LBB87_3733:
	s_delay_alu instid0(SALU_CYCLE_1)
	s_and_b32 vcc_lo, exec_lo, s52
	s_cbranch_vccz .LBB87_3772
; %bb.3734:
	s_and_b32 s51, 0xffff, s51
	s_mov_b32 s52, -1
	s_cmp_lt_i32 s51, 5
	s_cbranch_scc1 .LBB87_3755
; %bb.3735:
	s_cmp_lt_i32 s51, 8
	s_cbranch_scc1 .LBB87_3745
; %bb.3736:
	;; [unrolled: 3-line block ×3, first 2 shown]
	s_cmp_gt_i32 s51, 9
	s_cbranch_scc0 .LBB87_3739
; %bb.3738:
	s_wait_xcnt 0x0
	v_mov_b32_e32 v4, 0
	s_mov_b32 s52, 0
	s_delay_alu instid0(VALU_DEP_1)
	v_dual_mov_b32 v5, v4 :: v_dual_mov_b32 v6, v4
	v_mov_b32_e32 v7, v4
	global_store_b128 v[2:3], v[4:7], off
.LBB87_3739:
	s_and_not1_b32 vcc_lo, exec_lo, s52
	s_cbranch_vccnz .LBB87_3741
; %bb.3740:
	s_wait_xcnt 0x0
	v_mov_b64_e32 v[4:5], 0
	global_store_b64 v[2:3], v[4:5], off
.LBB87_3741:
	s_mov_b32 s52, 0
.LBB87_3742:
	s_delay_alu instid0(SALU_CYCLE_1)
	s_and_not1_b32 vcc_lo, exec_lo, s52
	s_cbranch_vccnz .LBB87_3744
; %bb.3743:
	s_wait_xcnt 0x0
	v_mov_b32_e32 v1, 0
	global_store_b32 v[2:3], v1, off
.LBB87_3744:
	s_mov_b32 s52, 0
.LBB87_3745:
	s_delay_alu instid0(SALU_CYCLE_1)
	s_and_not1_b32 vcc_lo, exec_lo, s52
	s_cbranch_vccnz .LBB87_3754
; %bb.3746:
	s_cmp_lt_i32 s51, 6
	s_mov_b32 s52, -1
	s_cbranch_scc1 .LBB87_3752
; %bb.3747:
	s_cmp_gt_i32 s51, 6
	s_cbranch_scc0 .LBB87_3749
; %bb.3748:
	s_wait_xcnt 0x0
	v_mov_b64_e32 v[4:5], 0
	s_mov_b32 s52, 0
	global_store_b64 v[2:3], v[4:5], off
.LBB87_3749:
	s_and_not1_b32 vcc_lo, exec_lo, s52
	s_cbranch_vccnz .LBB87_3751
; %bb.3750:
	s_wait_xcnt 0x0
	v_mov_b32_e32 v1, 0
	global_store_b32 v[2:3], v1, off
.LBB87_3751:
	s_mov_b32 s52, 0
.LBB87_3752:
	s_delay_alu instid0(SALU_CYCLE_1)
	s_and_not1_b32 vcc_lo, exec_lo, s52
	s_cbranch_vccnz .LBB87_3754
; %bb.3753:
	s_wait_xcnt 0x0
	v_mov_b32_e32 v1, 0
	global_store_b16 v[2:3], v1, off
.LBB87_3754:
	s_mov_b32 s52, 0
.LBB87_3755:
	s_delay_alu instid0(SALU_CYCLE_1)
	s_and_not1_b32 vcc_lo, exec_lo, s52
	s_cbranch_vccnz .LBB87_3771
; %bb.3756:
	s_cmp_lt_i32 s51, 2
	s_mov_b32 s52, -1
	s_cbranch_scc1 .LBB87_3766
; %bb.3757:
	s_cmp_lt_i32 s51, 3
	s_cbranch_scc1 .LBB87_3763
; %bb.3758:
	s_cmp_gt_i32 s51, 3
	s_cbranch_scc0 .LBB87_3760
; %bb.3759:
	s_wait_xcnt 0x0
	v_mov_b64_e32 v[4:5], 0
	s_mov_b32 s52, 0
	global_store_b64 v[2:3], v[4:5], off
.LBB87_3760:
	s_and_not1_b32 vcc_lo, exec_lo, s52
	s_cbranch_vccnz .LBB87_3762
; %bb.3761:
	s_wait_xcnt 0x0
	v_mov_b32_e32 v1, 0
	global_store_b32 v[2:3], v1, off
.LBB87_3762:
	s_mov_b32 s52, 0
.LBB87_3763:
	s_delay_alu instid0(SALU_CYCLE_1)
	s_and_not1_b32 vcc_lo, exec_lo, s52
	s_cbranch_vccnz .LBB87_3765
; %bb.3764:
	s_wait_xcnt 0x0
	v_mov_b32_e32 v1, 0
	global_store_b16 v[2:3], v1, off
.LBB87_3765:
	s_mov_b32 s52, 0
.LBB87_3766:
	s_delay_alu instid0(SALU_CYCLE_1)
	s_and_not1_b32 vcc_lo, exec_lo, s52
	s_cbranch_vccnz .LBB87_3771
; %bb.3767:
	s_cmp_gt_i32 s51, 0
	s_mov_b32 s51, -1
	s_cbranch_scc0 .LBB87_3769
; %bb.3768:
	s_wait_xcnt 0x0
	v_mov_b32_e32 v1, 0
	s_mov_b32 s51, 0
	global_store_b8 v[2:3], v1, off
.LBB87_3769:
	s_and_not1_b32 vcc_lo, exec_lo, s51
	s_cbranch_vccnz .LBB87_3771
; %bb.3770:
	s_wait_xcnt 0x0
	v_mov_b32_e32 v1, 0
	global_store_b8 v[2:3], v1, off
.LBB87_3771:
	s_mov_b32 s53, -1
.LBB87_3772:
	s_delay_alu instid0(SALU_CYCLE_1)
	s_and_not1_b32 vcc_lo, exec_lo, s53
	s_cbranch_vccnz .LBB87_3774
; %bb.3773:
	v_add_nc_u32_e32 v0, 0x80, v0
	s_mov_b32 s51, -1
	s_branch .LBB87_3775
.LBB87_3774:
	s_mov_b32 s51, 0
                                        ; implicit-def: $vgpr0
.LBB87_3775:
	s_and_not1_b32 s4, s67, exec_lo
	s_and_b32 s5, s50, exec_lo
	s_and_not1_b32 s0, s0, exec_lo
	s_or_b32 s50, s4, s5
	s_and_b32 s51, s51, exec_lo
.LBB87_3776:
	s_wait_xcnt 0x0
	s_or_b32 exec_lo, exec_lo, s35
	s_delay_alu instid0(SALU_CYCLE_1)
	s_and_not1_b32 s4, s67, exec_lo
	s_and_b32 s5, s50, exec_lo
	s_and_not1_b32 s6, s94, exec_lo
	s_and_b32 s0, s0, exec_lo
	s_or_b32 s52, s4, s5
	s_or_b32 s0, s6, s0
	s_xor_b32 s50, exec_lo, -1
	s_and_b32 s35, s51, exec_lo
.LBB87_3777:
	s_or_b32 exec_lo, exec_lo, vcc_hi
	s_delay_alu instid0(SALU_CYCLE_1)
	s_and_not1_b32 s4, s67, exec_lo
	s_and_b32 s5, s52, exec_lo
	s_and_b32 s0, s0, exec_lo
	s_or_b32 s53, s4, s5
	s_and_not1_b32 s4, s94, exec_lo
	s_and_not1_b32 s5, s95, exec_lo
	s_and_b32 s6, s50, exec_lo
	s_or_b32 s50, s4, s0
	s_or_b32 s52, s5, s6
	s_xor_b32 s51, exec_lo, -1
	s_and_b32 s0, s35, exec_lo
.LBB87_3778:
	s_or_b32 exec_lo, exec_lo, s26
	s_delay_alu instid0(SALU_CYCLE_1)
	s_and_not1_b32 s4, s67, exec_lo
	s_and_b32 s5, s53, exec_lo
	s_and_not1_b32 s6, s94, exec_lo
	s_and_b32 s7, s50, exec_lo
	s_or_b32 s35, s4, s5
	s_or_b32 s50, s6, s7
	s_and_not1_b32 s4, s95, exec_lo
	s_and_b32 s5, s52, exec_lo
	s_and_not1_b32 s6, s91, exec_lo
	s_and_b32 s7, s51, exec_lo
	s_or_b32 s51, s4, s5
	s_or_b32 s53, s6, s7
	s_xor_b32 s52, exec_lo, -1
	s_and_b32 s0, s0, exec_lo
	s_or_b32 exec_lo, exec_lo, s19
	s_branch .LBB87_2086
.LBB87_3779:
	s_mov_b32 s0, -1
.LBB87_3780:
                                        ; implicit-def: $vgpr7
.LBB87_3781:
	s_and_b32 vcc_lo, exec_lo, s24
	s_cbranch_vccz .LBB87_3785
; %bb.3782:
	s_cmp_eq_u32 s55, 44
	s_cbranch_scc0 .LBB87_3784
; %bb.3783:
	global_load_u8 v7, v[36:37], off
	s_mov_b32 s0, 0
	s_mov_b32 s9, -1
	s_wait_loadcnt 0x0
	v_lshlrev_b32_e32 v9, 23, v7
	v_cmp_ne_u32_e32 vcc_lo, 0, v7
	s_delay_alu instid0(VALU_DEP_2) | instskip(NEXT) | instid1(VALU_DEP_1)
	v_cvt_i32_f32_e32 v9, v9
	v_cndmask_b32_e32 v7, 0, v9, vcc_lo
	s_branch .LBB87_3785
.LBB87_3784:
	s_mov_b32 s0, -1
                                        ; implicit-def: $vgpr7
.LBB87_3785:
	s_mov_b32 s24, 0
.LBB87_3786:
	s_delay_alu instid0(SALU_CYCLE_1)
	s_and_b32 vcc_lo, exec_lo, s24
	s_cbranch_vccz .LBB87_3790
; %bb.3787:
	s_cmp_eq_u32 s55, 29
	s_cbranch_scc0 .LBB87_3789
; %bb.3788:
	global_load_b32 v7, v[36:37], off
	s_mov_b32 s0, 0
	s_mov_b32 s9, -1
	s_branch .LBB87_3790
.LBB87_3789:
	s_mov_b32 s0, -1
                                        ; implicit-def: $vgpr7
.LBB87_3790:
	s_mov_b32 s24, 0
.LBB87_3791:
	s_delay_alu instid0(SALU_CYCLE_1)
	s_and_b32 vcc_lo, exec_lo, s24
	s_cbranch_vccz .LBB87_3807
; %bb.3792:
	s_cmp_lt_i32 s55, 27
	s_cbranch_scc1 .LBB87_3795
; %bb.3793:
	s_cmp_gt_i32 s55, 27
	s_cbranch_scc0 .LBB87_3796
; %bb.3794:
	s_wait_loadcnt 0x0
	global_load_b32 v7, v[36:37], off
	s_mov_b32 s9, 0
	s_branch .LBB87_3797
.LBB87_3795:
	s_mov_b32 s9, -1
                                        ; implicit-def: $vgpr7
	s_branch .LBB87_3800
.LBB87_3796:
	s_mov_b32 s9, -1
                                        ; implicit-def: $vgpr7
.LBB87_3797:
	s_delay_alu instid0(SALU_CYCLE_1)
	s_and_not1_b32 vcc_lo, exec_lo, s9
	s_cbranch_vccnz .LBB87_3799
; %bb.3798:
	s_wait_loadcnt 0x0
	global_load_u16 v7, v[36:37], off
.LBB87_3799:
	s_mov_b32 s9, 0
.LBB87_3800:
	s_delay_alu instid0(SALU_CYCLE_1)
	s_and_not1_b32 vcc_lo, exec_lo, s9
	s_cbranch_vccnz .LBB87_3806
; %bb.3801:
	global_load_u8 v9, v[36:37], off
	s_mov_b32 s24, 0
	s_mov_b32 s9, exec_lo
	s_wait_loadcnt 0x0
	v_cmpx_lt_i16_e32 0x7f, v9
	s_xor_b32 s9, exec_lo, s9
	s_cbranch_execz .LBB87_3818
; %bb.3802:
	v_cmp_ne_u16_e32 vcc_lo, 0x80, v9
	s_and_b32 s24, vcc_lo, exec_lo
	s_and_not1_saveexec_b32 s9, s9
	s_cbranch_execnz .LBB87_3819
.LBB87_3803:
	s_or_b32 exec_lo, exec_lo, s9
	v_mov_b32_e32 v7, 0
	s_and_saveexec_b32 s9, s24
	s_cbranch_execz .LBB87_3805
.LBB87_3804:
	v_and_b32_e32 v7, 0xffff, v9
	s_delay_alu instid0(VALU_DEP_1) | instskip(SKIP_1) | instid1(VALU_DEP_2)
	v_and_b32_e32 v11, 7, v7
	v_bfe_u32 v17, v7, 3, 4
	v_clz_i32_u32_e32 v13, v11
	s_delay_alu instid0(VALU_DEP_2) | instskip(NEXT) | instid1(VALU_DEP_2)
	v_cmp_eq_u32_e32 vcc_lo, 0, v17
	v_min_u32_e32 v13, 32, v13
	s_delay_alu instid0(VALU_DEP_1) | instskip(NEXT) | instid1(VALU_DEP_1)
	v_subrev_nc_u32_e32 v15, 28, v13
	v_dual_lshlrev_b32 v7, v15, v7 :: v_dual_sub_nc_u32 v13, 29, v13
	s_delay_alu instid0(VALU_DEP_1) | instskip(NEXT) | instid1(VALU_DEP_1)
	v_dual_lshlrev_b32 v9, 24, v9 :: v_dual_bitop2_b32 v7, 7, v7 bitop3:0x40
	v_dual_cndmask_b32 v7, v11, v7, vcc_lo :: v_dual_cndmask_b32 v13, v17, v13, vcc_lo
	s_delay_alu instid0(VALU_DEP_2) | instskip(NEXT) | instid1(VALU_DEP_2)
	v_and_b32_e32 v9, 0x80000000, v9
	v_lshlrev_b32_e32 v7, 20, v7
	s_delay_alu instid0(VALU_DEP_3) | instskip(NEXT) | instid1(VALU_DEP_1)
	v_lshl_add_u32 v11, v13, 23, 0x3b800000
	v_or3_b32 v7, v9, v11, v7
	s_delay_alu instid0(VALU_DEP_1)
	v_cvt_i32_f32_e32 v7, v7
.LBB87_3805:
	s_or_b32 exec_lo, exec_lo, s9
.LBB87_3806:
	s_mov_b32 s9, -1
.LBB87_3807:
	s_mov_b32 s24, 0
.LBB87_3808:
	s_delay_alu instid0(SALU_CYCLE_1)
	s_and_b32 vcc_lo, exec_lo, s24
	s_cbranch_vccz .LBB87_3839
; %bb.3809:
	s_cmp_gt_i32 s55, 22
	s_cbranch_scc0 .LBB87_3817
; %bb.3810:
	s_cmp_lt_i32 s55, 24
	s_cbranch_scc1 .LBB87_3820
; %bb.3811:
	s_cmp_gt_i32 s55, 24
	s_cbranch_scc0 .LBB87_3821
; %bb.3812:
	global_load_u8 v9, v[36:37], off
	s_mov_b32 s9, 0
	s_mov_b32 s1, exec_lo
	s_wait_loadcnt 0x0
	v_cmpx_lt_i16_e32 0x7f, v9
	s_xor_b32 s1, exec_lo, s1
	s_cbranch_execz .LBB87_3833
; %bb.3813:
	v_cmp_ne_u16_e32 vcc_lo, 0x80, v9
	s_and_b32 s9, vcc_lo, exec_lo
	s_and_not1_saveexec_b32 s1, s1
	s_cbranch_execnz .LBB87_3834
.LBB87_3814:
	s_or_b32 exec_lo, exec_lo, s1
	v_mov_b32_e32 v7, 0
	s_and_saveexec_b32 s1, s9
	s_cbranch_execz .LBB87_3816
.LBB87_3815:
	v_and_b32_e32 v7, 0xffff, v9
	s_delay_alu instid0(VALU_DEP_1) | instskip(SKIP_1) | instid1(VALU_DEP_2)
	v_and_b32_e32 v11, 3, v7
	v_bfe_u32 v17, v7, 2, 5
	v_clz_i32_u32_e32 v13, v11
	s_delay_alu instid0(VALU_DEP_2) | instskip(NEXT) | instid1(VALU_DEP_2)
	v_cmp_eq_u32_e32 vcc_lo, 0, v17
	v_min_u32_e32 v13, 32, v13
	s_delay_alu instid0(VALU_DEP_1) | instskip(NEXT) | instid1(VALU_DEP_1)
	v_subrev_nc_u32_e32 v15, 29, v13
	v_dual_lshlrev_b32 v7, v15, v7 :: v_dual_sub_nc_u32 v13, 30, v13
	s_delay_alu instid0(VALU_DEP_1) | instskip(NEXT) | instid1(VALU_DEP_1)
	v_dual_lshlrev_b32 v9, 24, v9 :: v_dual_bitop2_b32 v7, 3, v7 bitop3:0x40
	v_dual_cndmask_b32 v7, v11, v7, vcc_lo :: v_dual_cndmask_b32 v13, v17, v13, vcc_lo
	s_delay_alu instid0(VALU_DEP_2) | instskip(NEXT) | instid1(VALU_DEP_2)
	v_and_b32_e32 v9, 0x80000000, v9
	v_lshlrev_b32_e32 v7, 21, v7
	s_delay_alu instid0(VALU_DEP_3) | instskip(NEXT) | instid1(VALU_DEP_1)
	v_lshl_add_u32 v11, v13, 23, 0x37800000
	v_or3_b32 v7, v9, v11, v7
	s_delay_alu instid0(VALU_DEP_1)
	v_cvt_i32_f32_e32 v7, v7
.LBB87_3816:
	s_or_b32 exec_lo, exec_lo, s1
	s_mov_b32 s1, 0
	s_branch .LBB87_3822
.LBB87_3817:
	s_mov_b32 s1, -1
                                        ; implicit-def: $vgpr7
	s_branch .LBB87_3828
.LBB87_3818:
	s_and_not1_saveexec_b32 s9, s9
	s_cbranch_execz .LBB87_3803
.LBB87_3819:
	v_cmp_ne_u16_e32 vcc_lo, 0, v9
	s_and_not1_b32 s24, s24, exec_lo
	s_and_b32 s25, vcc_lo, exec_lo
	s_delay_alu instid0(SALU_CYCLE_1)
	s_or_b32 s24, s24, s25
	s_or_b32 exec_lo, exec_lo, s9
	v_mov_b32_e32 v7, 0
	s_and_saveexec_b32 s9, s24
	s_cbranch_execnz .LBB87_3804
	s_branch .LBB87_3805
.LBB87_3820:
	s_mov_b32 s1, -1
                                        ; implicit-def: $vgpr7
	s_branch .LBB87_3825
.LBB87_3821:
	s_mov_b32 s1, -1
                                        ; implicit-def: $vgpr7
.LBB87_3822:
	s_delay_alu instid0(SALU_CYCLE_1)
	s_and_b32 vcc_lo, exec_lo, s1
	s_cbranch_vccz .LBB87_3824
; %bb.3823:
	s_wait_loadcnt 0x0
	global_load_u8 v7, v[36:37], off
	s_wait_loadcnt 0x0
	v_lshlrev_b32_e32 v7, 24, v7
	s_delay_alu instid0(VALU_DEP_1) | instskip(NEXT) | instid1(VALU_DEP_1)
	v_and_b32_e32 v9, 0x7f000000, v7
	v_clz_i32_u32_e32 v11, v9
	v_add_nc_u32_e32 v15, 0x1000000, v9
	v_cmp_ne_u32_e32 vcc_lo, 0, v9
	s_delay_alu instid0(VALU_DEP_3) | instskip(NEXT) | instid1(VALU_DEP_1)
	v_min_u32_e32 v11, 32, v11
	v_sub_nc_u32_e64 v11, v11, 4 clamp
	s_delay_alu instid0(VALU_DEP_1) | instskip(NEXT) | instid1(VALU_DEP_1)
	v_dual_lshlrev_b32 v13, v11, v9 :: v_dual_lshlrev_b32 v11, 23, v11
	v_lshrrev_b32_e32 v13, 4, v13
	s_delay_alu instid0(VALU_DEP_1) | instskip(SKIP_1) | instid1(VALU_DEP_2)
	v_sub_nc_u32_e32 v11, v13, v11
	v_ashrrev_i32_e32 v13, 8, v15
	v_add_nc_u32_e32 v11, 0x3c000000, v11
	s_delay_alu instid0(VALU_DEP_1) | instskip(NEXT) | instid1(VALU_DEP_1)
	v_and_or_b32 v11, 0x7f800000, v13, v11
	v_cndmask_b32_e32 v9, 0, v11, vcc_lo
	s_delay_alu instid0(VALU_DEP_1) | instskip(NEXT) | instid1(VALU_DEP_1)
	v_and_or_b32 v7, 0x80000000, v7, v9
	v_cvt_i32_f32_e32 v7, v7
.LBB87_3824:
	s_mov_b32 s1, 0
.LBB87_3825:
	s_delay_alu instid0(SALU_CYCLE_1)
	s_and_not1_b32 vcc_lo, exec_lo, s1
	s_cbranch_vccnz .LBB87_3827
; %bb.3826:
	s_wait_loadcnt 0x0
	global_load_u8 v7, v[36:37], off
	s_wait_loadcnt 0x0
	v_lshlrev_b32_e32 v9, 25, v7
	v_lshlrev_b16 v7, 8, v7
	s_delay_alu instid0(VALU_DEP_1) | instskip(SKIP_1) | instid1(VALU_DEP_2)
	v_and_or_b32 v13, 0x7f00, v7, 0.5
	v_bfe_i32 v7, v7, 0, 16
	v_add_f32_e32 v13, -0.5, v13
	v_lshrrev_b32_e32 v11, 4, v9
	v_cmp_gt_u32_e32 vcc_lo, 0x8000000, v9
	s_delay_alu instid0(VALU_DEP_2) | instskip(NEXT) | instid1(VALU_DEP_1)
	v_or_b32_e32 v11, 0x70000000, v11
	v_mul_f32_e32 v11, 0x7800000, v11
	s_delay_alu instid0(VALU_DEP_1) | instskip(NEXT) | instid1(VALU_DEP_1)
	v_cndmask_b32_e32 v9, v11, v13, vcc_lo
	v_and_or_b32 v7, 0x80000000, v7, v9
	s_delay_alu instid0(VALU_DEP_1)
	v_cvt_i32_f32_e32 v7, v7
.LBB87_3827:
	s_mov_b32 s1, 0
	s_mov_b32 s9, -1
.LBB87_3828:
	s_and_not1_b32 vcc_lo, exec_lo, s1
	s_mov_b32 s1, 0
	s_cbranch_vccnz .LBB87_3839
; %bb.3829:
	s_cmp_gt_i32 s55, 14
	s_cbranch_scc0 .LBB87_3832
; %bb.3830:
	s_cmp_eq_u32 s55, 15
	s_cbranch_scc0 .LBB87_3835
; %bb.3831:
	s_wait_loadcnt 0x0
	global_load_u16 v7, v[36:37], off
	s_mov_b32 s0, 0
	s_mov_b32 s9, -1
	s_wait_loadcnt 0x0
	v_lshlrev_b32_e32 v7, 16, v7
	s_delay_alu instid0(VALU_DEP_1)
	v_cvt_i32_f32_e32 v7, v7
	s_branch .LBB87_3837
.LBB87_3832:
	s_mov_b32 s1, -1
	s_branch .LBB87_3836
.LBB87_3833:
	s_and_not1_saveexec_b32 s1, s1
	s_cbranch_execz .LBB87_3814
.LBB87_3834:
	v_cmp_ne_u16_e32 vcc_lo, 0, v9
	s_and_not1_b32 s9, s9, exec_lo
	s_and_b32 s24, vcc_lo, exec_lo
	s_delay_alu instid0(SALU_CYCLE_1)
	s_or_b32 s9, s9, s24
	s_or_b32 exec_lo, exec_lo, s1
	v_mov_b32_e32 v7, 0
	s_and_saveexec_b32 s1, s9
	s_cbranch_execnz .LBB87_3815
	s_branch .LBB87_3816
.LBB87_3835:
	s_mov_b32 s0, -1
.LBB87_3836:
                                        ; implicit-def: $vgpr7
.LBB87_3837:
	s_and_b32 vcc_lo, exec_lo, s1
	s_mov_b32 s1, 0
	s_cbranch_vccz .LBB87_3839
; %bb.3838:
	s_cmp_lg_u32 s55, 11
	s_mov_b32 s1, -1
	s_cselect_b32 s0, -1, 0
.LBB87_3839:
	s_delay_alu instid0(SALU_CYCLE_1)
	s_and_b32 vcc_lo, exec_lo, s0
	s_mov_b32 s44, s42
	s_cbranch_vccnz .LBB87_3904
; %bb.3840:
	s_and_not1_b32 vcc_lo, exec_lo, s1
	s_cbranch_vccnz .LBB87_3842
.LBB87_3841:
	s_wait_loadcnt 0x0
	global_load_u8 v7, v[36:37], off
	s_mov_b32 s9, -1
	s_wait_loadcnt 0x0
	v_cmp_ne_u16_e32 vcc_lo, 0, v7
	v_cndmask_b32_e64 v7, 0, 1, vcc_lo
.LBB87_3842:
	s_mov_b32 s0, 0
.LBB87_3843:
	s_delay_alu instid0(SALU_CYCLE_1)
	s_and_b32 vcc_lo, exec_lo, s0
	s_cbranch_vccz .LBB87_3892
; %bb.3844:
	s_cmp_lt_i32 s55, 5
	s_cbranch_scc1 .LBB87_3849
; %bb.3845:
	s_cmp_lt_i32 s55, 8
	s_cbranch_scc1 .LBB87_3850
	;; [unrolled: 3-line block ×3, first 2 shown]
; %bb.3847:
	s_cmp_gt_i32 s55, 9
	s_cbranch_scc0 .LBB87_3852
; %bb.3848:
	global_load_b64 v[38:39], v[36:37], off
	s_mov_b32 s0, 0
	s_wait_loadcnt 0x0
	v_cvt_i32_f64_e32 v7, v[38:39]
	s_branch .LBB87_3853
.LBB87_3849:
	s_mov_b32 s0, -1
                                        ; implicit-def: $vgpr7
	s_branch .LBB87_3871
.LBB87_3850:
	s_mov_b32 s0, -1
                                        ; implicit-def: $vgpr7
	s_branch .LBB87_3859
.LBB87_3851:
	s_mov_b32 s0, -1
                                        ; implicit-def: $vgpr7
	s_branch .LBB87_3856
.LBB87_3852:
	s_mov_b32 s0, -1
                                        ; implicit-def: $vgpr7
.LBB87_3853:
	s_delay_alu instid0(SALU_CYCLE_1)
	s_and_not1_b32 vcc_lo, exec_lo, s0
	s_cbranch_vccnz .LBB87_3855
; %bb.3854:
	s_wait_loadcnt 0x0
	global_load_b32 v7, v[36:37], off
	s_wait_loadcnt 0x0
	v_cvt_i32_f32_e32 v7, v7
.LBB87_3855:
	s_mov_b32 s0, 0
.LBB87_3856:
	s_delay_alu instid0(SALU_CYCLE_1)
	s_and_not1_b32 vcc_lo, exec_lo, s0
	s_cbranch_vccnz .LBB87_3858
; %bb.3857:
	s_wait_loadcnt 0x0
	global_load_b32 v7, v[36:37], off
	s_wait_loadcnt 0x0
	v_cvt_f32_f16_e32 v7, v7
	s_delay_alu instid0(VALU_DEP_1)
	v_cvt_i32_f32_e32 v7, v7
.LBB87_3858:
	s_mov_b32 s0, 0
.LBB87_3859:
	s_delay_alu instid0(SALU_CYCLE_1)
	s_and_not1_b32 vcc_lo, exec_lo, s0
	s_cbranch_vccnz .LBB87_3870
; %bb.3860:
	s_cmp_lt_i32 s55, 6
	s_cbranch_scc1 .LBB87_3863
; %bb.3861:
	s_cmp_gt_i32 s55, 6
	s_cbranch_scc0 .LBB87_3864
; %bb.3862:
	global_load_b64 v[38:39], v[36:37], off
	s_mov_b32 s0, 0
	s_wait_loadcnt 0x0
	v_cvt_i32_f64_e32 v7, v[38:39]
	s_branch .LBB87_3865
.LBB87_3863:
	s_mov_b32 s0, -1
                                        ; implicit-def: $vgpr7
	s_branch .LBB87_3868
.LBB87_3864:
	s_mov_b32 s0, -1
                                        ; implicit-def: $vgpr7
.LBB87_3865:
	s_delay_alu instid0(SALU_CYCLE_1)
	s_and_not1_b32 vcc_lo, exec_lo, s0
	s_cbranch_vccnz .LBB87_3867
; %bb.3866:
	s_wait_loadcnt 0x0
	global_load_b32 v7, v[36:37], off
	s_wait_loadcnt 0x0
	v_cvt_i32_f32_e32 v7, v7
.LBB87_3867:
	s_mov_b32 s0, 0
.LBB87_3868:
	s_delay_alu instid0(SALU_CYCLE_1)
	s_and_not1_b32 vcc_lo, exec_lo, s0
	s_cbranch_vccnz .LBB87_3870
; %bb.3869:
	s_wait_loadcnt 0x0
	global_load_u16 v7, v[36:37], off
	s_wait_loadcnt 0x0
	v_cvt_f32_f16_e32 v7, v7
	s_delay_alu instid0(VALU_DEP_1)
	v_cvt_i32_f32_e32 v7, v7
.LBB87_3870:
	s_mov_b32 s0, 0
.LBB87_3871:
	s_delay_alu instid0(SALU_CYCLE_1)
	s_and_not1_b32 vcc_lo, exec_lo, s0
	s_cbranch_vccnz .LBB87_3891
; %bb.3872:
	s_cmp_lt_i32 s55, 2
	s_cbranch_scc1 .LBB87_3876
; %bb.3873:
	s_cmp_lt_i32 s55, 3
	s_cbranch_scc1 .LBB87_3877
; %bb.3874:
	s_cmp_gt_i32 s55, 3
	s_cbranch_scc0 .LBB87_3878
; %bb.3875:
	s_wait_loadcnt 0x0
	global_load_b32 v7, v[36:37], off
	s_mov_b32 s0, 0
	s_branch .LBB87_3879
.LBB87_3876:
	s_mov_b32 s0, -1
                                        ; implicit-def: $vgpr7
	s_branch .LBB87_3885
.LBB87_3877:
	s_mov_b32 s0, -1
                                        ; implicit-def: $vgpr7
	s_branch .LBB87_3882
.LBB87_3878:
	s_mov_b32 s0, -1
                                        ; implicit-def: $vgpr7
.LBB87_3879:
	s_delay_alu instid0(SALU_CYCLE_1)
	s_and_not1_b32 vcc_lo, exec_lo, s0
	s_cbranch_vccnz .LBB87_3881
; %bb.3880:
	s_wait_loadcnt 0x0
	global_load_b32 v7, v[36:37], off
.LBB87_3881:
	s_mov_b32 s0, 0
.LBB87_3882:
	s_delay_alu instid0(SALU_CYCLE_1)
	s_and_not1_b32 vcc_lo, exec_lo, s0
	s_cbranch_vccnz .LBB87_3884
; %bb.3883:
	s_wait_loadcnt 0x0
	global_load_i16 v7, v[36:37], off
.LBB87_3884:
	s_mov_b32 s0, 0
.LBB87_3885:
	s_delay_alu instid0(SALU_CYCLE_1)
	s_and_not1_b32 vcc_lo, exec_lo, s0
	s_cbranch_vccnz .LBB87_3891
; %bb.3886:
	s_cmp_gt_i32 s55, 0
	s_mov_b32 s0, 0
	s_cbranch_scc0 .LBB87_3888
; %bb.3887:
	s_wait_loadcnt 0x0
	global_load_i8 v7, v[36:37], off
	s_branch .LBB87_3889
.LBB87_3888:
	s_mov_b32 s0, -1
                                        ; implicit-def: $vgpr7
.LBB87_3889:
	s_delay_alu instid0(SALU_CYCLE_1)
	s_and_not1_b32 vcc_lo, exec_lo, s0
	s_cbranch_vccnz .LBB87_3891
; %bb.3890:
	s_wait_loadcnt 0x0
	global_load_u8 v7, v[36:37], off
.LBB87_3891:
	s_mov_b32 s9, -1
.LBB87_3892:
	s_delay_alu instid0(SALU_CYCLE_1)
	s_and_not1_b32 vcc_lo, exec_lo, s9
	s_cbranch_vccnz .LBB87_4415
; %bb.3893:
	v_mov_b32_e32 v35, 0
	s_and_b32 s56, 0xffff, s35
	s_delay_alu instid0(SALU_CYCLE_1) | instskip(NEXT) | instid1(VALU_DEP_1)
	s_cmp_lt_i32 s56, 11
	v_add_nc_u64_e32 v[34:35], s[12:13], v[34:35]
	s_cbranch_scc1 .LBB87_3900
; %bb.3894:
	s_cmp_gt_i32 s56, 25
	s_mov_b32 s1, 0
	s_cbranch_scc0 .LBB87_3901
; %bb.3895:
	s_cmp_gt_i32 s56, 28
	s_cbranch_scc0 .LBB87_3902
; %bb.3896:
	s_cmp_gt_i32 s56, 43
	;; [unrolled: 3-line block ×3, first 2 shown]
	s_cbranch_scc0 .LBB87_3905
; %bb.3898:
	s_cmp_eq_u32 s56, 46
	s_mov_b32 s24, 0
	s_cbranch_scc0 .LBB87_3907
; %bb.3899:
	global_load_b32 v9, v[34:35], off
	s_mov_b32 s0, 0
	s_mov_b32 s9, -1
	s_wait_loadcnt 0x0
	v_lshlrev_b32_e32 v9, 16, v9
	s_delay_alu instid0(VALU_DEP_1)
	v_cvt_i32_f32_e32 v9, v9
	s_branch .LBB87_3909
.LBB87_3900:
	s_mov_b32 s0, -1
	s_mov_b32 s9, 0
                                        ; implicit-def: $vgpr9
	s_branch .LBB87_3971
.LBB87_3901:
	s_mov_b32 s24, -1
	s_mov_b32 s9, 0
	s_mov_b32 s0, 0
                                        ; implicit-def: $vgpr9
	s_branch .LBB87_3936
.LBB87_3902:
	s_mov_b32 s24, -1
	s_mov_b32 s9, 0
	s_mov_b32 s0, 0
                                        ; implicit-def: $vgpr9
	s_branch .LBB87_3919
.LBB87_3903:
	s_mov_b32 s24, -1
	s_mov_b32 s9, 0
	s_mov_b32 s0, 0
                                        ; implicit-def: $vgpr9
	s_branch .LBB87_3914
.LBB87_3904:
	s_or_b32 s44, s42, exec_lo
	s_trap 2
	s_cbranch_execz .LBB87_3841
	s_branch .LBB87_3842
.LBB87_3905:
	s_mov_b32 s24, -1
	s_mov_b32 s9, 0
	s_mov_b32 s0, 0
	s_branch .LBB87_3908
.LBB87_3906:
	s_or_b32 s33, s33, exec_lo
	s_trap 2
                                        ; implicit-def: $vgpr6
                                        ; implicit-def: $vgpr30
                                        ; implicit-def: $vgpr28
                                        ; implicit-def: $vgpr34
                                        ; implicit-def: $vgpr32
                                        ; implicit-def: $vgpr4
                                        ; implicit-def: $vgpr36
                                        ; implicit-def: $vgpr20
                                        ; implicit-def: $vgpr18
                                        ; implicit-def: $vgpr24
                                        ; implicit-def: $vgpr22
                                        ; implicit-def: $vgpr2
                                        ; implicit-def: $vgpr26
                                        ; implicit-def: $vgpr10
                                        ; implicit-def: $vgpr8
                                        ; implicit-def: $vgpr14
                                        ; implicit-def: $vgpr12
                                        ; implicit-def: $vgpr0
                                        ; implicit-def: $vgpr16
                                        ; implicit-def: $vgpr1
                                        ; implicit-def: $vgpr3
                                        ; implicit-def: $vgpr42
                                        ; implicit-def: $vgpr40
                                        ; implicit-def: $vgpr44
	s_branch .LBB87_3524
.LBB87_3907:
	s_mov_b32 s0, -1
	s_mov_b32 s9, 0
.LBB87_3908:
                                        ; implicit-def: $vgpr9
.LBB87_3909:
	s_and_b32 vcc_lo, exec_lo, s24
	s_cbranch_vccz .LBB87_3913
; %bb.3910:
	s_cmp_eq_u32 s56, 44
	s_cbranch_scc0 .LBB87_3912
; %bb.3911:
	global_load_u8 v9, v[34:35], off
	s_mov_b32 s0, 0
	s_mov_b32 s9, -1
	s_wait_loadcnt 0x0
	v_lshlrev_b32_e32 v11, 23, v9
	v_cmp_ne_u32_e32 vcc_lo, 0, v9
	s_delay_alu instid0(VALU_DEP_2) | instskip(NEXT) | instid1(VALU_DEP_1)
	v_cvt_i32_f32_e32 v11, v11
	v_cndmask_b32_e32 v9, 0, v11, vcc_lo
	s_branch .LBB87_3913
.LBB87_3912:
	s_mov_b32 s0, -1
                                        ; implicit-def: $vgpr9
.LBB87_3913:
	s_mov_b32 s24, 0
.LBB87_3914:
	s_delay_alu instid0(SALU_CYCLE_1)
	s_and_b32 vcc_lo, exec_lo, s24
	s_cbranch_vccz .LBB87_3918
; %bb.3915:
	s_cmp_eq_u32 s56, 29
	s_cbranch_scc0 .LBB87_3917
; %bb.3916:
	global_load_b32 v9, v[34:35], off
	s_mov_b32 s0, 0
	s_mov_b32 s9, -1
	s_branch .LBB87_3918
.LBB87_3917:
	s_mov_b32 s0, -1
                                        ; implicit-def: $vgpr9
.LBB87_3918:
	s_mov_b32 s24, 0
.LBB87_3919:
	s_delay_alu instid0(SALU_CYCLE_1)
	s_and_b32 vcc_lo, exec_lo, s24
	s_cbranch_vccz .LBB87_3935
; %bb.3920:
	s_cmp_lt_i32 s56, 27
	s_cbranch_scc1 .LBB87_3923
; %bb.3921:
	s_cmp_gt_i32 s56, 27
	s_cbranch_scc0 .LBB87_3924
; %bb.3922:
	s_wait_loadcnt 0x0
	global_load_b32 v9, v[34:35], off
	s_mov_b32 s9, 0
	s_branch .LBB87_3925
.LBB87_3923:
	s_mov_b32 s9, -1
                                        ; implicit-def: $vgpr9
	s_branch .LBB87_3928
.LBB87_3924:
	s_mov_b32 s9, -1
                                        ; implicit-def: $vgpr9
.LBB87_3925:
	s_delay_alu instid0(SALU_CYCLE_1)
	s_and_not1_b32 vcc_lo, exec_lo, s9
	s_cbranch_vccnz .LBB87_3927
; %bb.3926:
	s_wait_loadcnt 0x0
	global_load_u16 v9, v[34:35], off
.LBB87_3927:
	s_mov_b32 s9, 0
.LBB87_3928:
	s_delay_alu instid0(SALU_CYCLE_1)
	s_and_not1_b32 vcc_lo, exec_lo, s9
	s_cbranch_vccnz .LBB87_3934
; %bb.3929:
	global_load_u8 v11, v[34:35], off
	s_mov_b32 s24, 0
	s_mov_b32 s9, exec_lo
	s_wait_loadcnt 0x0
	v_cmpx_lt_i16_e32 0x7f, v11
	s_xor_b32 s9, exec_lo, s9
	s_cbranch_execz .LBB87_3946
; %bb.3930:
	v_cmp_ne_u16_e32 vcc_lo, 0x80, v11
	s_and_b32 s24, vcc_lo, exec_lo
	s_and_not1_saveexec_b32 s9, s9
	s_cbranch_execnz .LBB87_3947
.LBB87_3931:
	s_or_b32 exec_lo, exec_lo, s9
	v_mov_b32_e32 v9, 0
	s_and_saveexec_b32 s9, s24
	s_cbranch_execz .LBB87_3933
.LBB87_3932:
	v_and_b32_e32 v9, 0xffff, v11
	s_delay_alu instid0(VALU_DEP_1) | instskip(SKIP_1) | instid1(VALU_DEP_2)
	v_and_b32_e32 v13, 7, v9
	v_bfe_u32 v19, v9, 3, 4
	v_clz_i32_u32_e32 v15, v13
	s_delay_alu instid0(VALU_DEP_2) | instskip(NEXT) | instid1(VALU_DEP_2)
	v_cmp_eq_u32_e32 vcc_lo, 0, v19
	v_min_u32_e32 v15, 32, v15
	s_delay_alu instid0(VALU_DEP_1) | instskip(NEXT) | instid1(VALU_DEP_1)
	v_subrev_nc_u32_e32 v17, 28, v15
	v_dual_lshlrev_b32 v9, v17, v9 :: v_dual_sub_nc_u32 v15, 29, v15
	s_delay_alu instid0(VALU_DEP_1) | instskip(NEXT) | instid1(VALU_DEP_1)
	v_dual_lshlrev_b32 v11, 24, v11 :: v_dual_bitop2_b32 v9, 7, v9 bitop3:0x40
	v_dual_cndmask_b32 v9, v13, v9, vcc_lo :: v_dual_cndmask_b32 v15, v19, v15, vcc_lo
	s_delay_alu instid0(VALU_DEP_2) | instskip(NEXT) | instid1(VALU_DEP_2)
	v_and_b32_e32 v11, 0x80000000, v11
	v_lshlrev_b32_e32 v9, 20, v9
	s_delay_alu instid0(VALU_DEP_3) | instskip(NEXT) | instid1(VALU_DEP_1)
	v_lshl_add_u32 v13, v15, 23, 0x3b800000
	v_or3_b32 v9, v11, v13, v9
	s_delay_alu instid0(VALU_DEP_1)
	v_cvt_i32_f32_e32 v9, v9
.LBB87_3933:
	s_or_b32 exec_lo, exec_lo, s9
.LBB87_3934:
	s_mov_b32 s9, -1
.LBB87_3935:
	s_mov_b32 s24, 0
.LBB87_3936:
	s_delay_alu instid0(SALU_CYCLE_1)
	s_and_b32 vcc_lo, exec_lo, s24
	s_cbranch_vccz .LBB87_3967
; %bb.3937:
	s_cmp_gt_i32 s56, 22
	s_cbranch_scc0 .LBB87_3945
; %bb.3938:
	s_cmp_lt_i32 s56, 24
	s_cbranch_scc1 .LBB87_3948
; %bb.3939:
	s_cmp_gt_i32 s56, 24
	s_cbranch_scc0 .LBB87_3949
; %bb.3940:
	global_load_u8 v11, v[34:35], off
	s_mov_b32 s9, 0
	s_mov_b32 s1, exec_lo
	s_wait_loadcnt 0x0
	v_cmpx_lt_i16_e32 0x7f, v11
	s_xor_b32 s1, exec_lo, s1
	s_cbranch_execz .LBB87_3961
; %bb.3941:
	v_cmp_ne_u16_e32 vcc_lo, 0x80, v11
	s_and_b32 s9, vcc_lo, exec_lo
	s_and_not1_saveexec_b32 s1, s1
	s_cbranch_execnz .LBB87_3962
.LBB87_3942:
	s_or_b32 exec_lo, exec_lo, s1
	v_mov_b32_e32 v9, 0
	s_and_saveexec_b32 s1, s9
	s_cbranch_execz .LBB87_3944
.LBB87_3943:
	v_and_b32_e32 v9, 0xffff, v11
	s_delay_alu instid0(VALU_DEP_1) | instskip(SKIP_1) | instid1(VALU_DEP_2)
	v_and_b32_e32 v13, 3, v9
	v_bfe_u32 v19, v9, 2, 5
	v_clz_i32_u32_e32 v15, v13
	s_delay_alu instid0(VALU_DEP_2) | instskip(NEXT) | instid1(VALU_DEP_2)
	v_cmp_eq_u32_e32 vcc_lo, 0, v19
	v_min_u32_e32 v15, 32, v15
	s_delay_alu instid0(VALU_DEP_1) | instskip(NEXT) | instid1(VALU_DEP_1)
	v_subrev_nc_u32_e32 v17, 29, v15
	v_dual_lshlrev_b32 v9, v17, v9 :: v_dual_sub_nc_u32 v15, 30, v15
	s_delay_alu instid0(VALU_DEP_1) | instskip(NEXT) | instid1(VALU_DEP_1)
	v_dual_lshlrev_b32 v11, 24, v11 :: v_dual_bitop2_b32 v9, 3, v9 bitop3:0x40
	v_dual_cndmask_b32 v9, v13, v9, vcc_lo :: v_dual_cndmask_b32 v15, v19, v15, vcc_lo
	s_delay_alu instid0(VALU_DEP_2) | instskip(NEXT) | instid1(VALU_DEP_2)
	v_and_b32_e32 v11, 0x80000000, v11
	v_lshlrev_b32_e32 v9, 21, v9
	s_delay_alu instid0(VALU_DEP_3) | instskip(NEXT) | instid1(VALU_DEP_1)
	v_lshl_add_u32 v13, v15, 23, 0x37800000
	v_or3_b32 v9, v11, v13, v9
	s_delay_alu instid0(VALU_DEP_1)
	v_cvt_i32_f32_e32 v9, v9
.LBB87_3944:
	s_or_b32 exec_lo, exec_lo, s1
	s_mov_b32 s1, 0
	s_branch .LBB87_3950
.LBB87_3945:
	s_mov_b32 s1, -1
                                        ; implicit-def: $vgpr9
	s_branch .LBB87_3956
.LBB87_3946:
	s_and_not1_saveexec_b32 s9, s9
	s_cbranch_execz .LBB87_3931
.LBB87_3947:
	v_cmp_ne_u16_e32 vcc_lo, 0, v11
	s_and_not1_b32 s24, s24, exec_lo
	s_and_b32 s25, vcc_lo, exec_lo
	s_delay_alu instid0(SALU_CYCLE_1)
	s_or_b32 s24, s24, s25
	s_or_b32 exec_lo, exec_lo, s9
	v_mov_b32_e32 v9, 0
	s_and_saveexec_b32 s9, s24
	s_cbranch_execnz .LBB87_3932
	s_branch .LBB87_3933
.LBB87_3948:
	s_mov_b32 s1, -1
                                        ; implicit-def: $vgpr9
	s_branch .LBB87_3953
.LBB87_3949:
	s_mov_b32 s1, -1
                                        ; implicit-def: $vgpr9
.LBB87_3950:
	s_delay_alu instid0(SALU_CYCLE_1)
	s_and_b32 vcc_lo, exec_lo, s1
	s_cbranch_vccz .LBB87_3952
; %bb.3951:
	s_wait_loadcnt 0x0
	global_load_u8 v9, v[34:35], off
	s_wait_loadcnt 0x0
	v_lshlrev_b32_e32 v9, 24, v9
	s_delay_alu instid0(VALU_DEP_1) | instskip(NEXT) | instid1(VALU_DEP_1)
	v_and_b32_e32 v11, 0x7f000000, v9
	v_clz_i32_u32_e32 v13, v11
	v_add_nc_u32_e32 v17, 0x1000000, v11
	v_cmp_ne_u32_e32 vcc_lo, 0, v11
	s_delay_alu instid0(VALU_DEP_3) | instskip(NEXT) | instid1(VALU_DEP_1)
	v_min_u32_e32 v13, 32, v13
	v_sub_nc_u32_e64 v13, v13, 4 clamp
	s_delay_alu instid0(VALU_DEP_1) | instskip(NEXT) | instid1(VALU_DEP_1)
	v_dual_lshlrev_b32 v15, v13, v11 :: v_dual_lshlrev_b32 v13, 23, v13
	v_lshrrev_b32_e32 v15, 4, v15
	s_delay_alu instid0(VALU_DEP_1) | instskip(SKIP_1) | instid1(VALU_DEP_2)
	v_sub_nc_u32_e32 v13, v15, v13
	v_ashrrev_i32_e32 v15, 8, v17
	v_add_nc_u32_e32 v13, 0x3c000000, v13
	s_delay_alu instid0(VALU_DEP_1) | instskip(NEXT) | instid1(VALU_DEP_1)
	v_and_or_b32 v13, 0x7f800000, v15, v13
	v_cndmask_b32_e32 v11, 0, v13, vcc_lo
	s_delay_alu instid0(VALU_DEP_1) | instskip(NEXT) | instid1(VALU_DEP_1)
	v_and_or_b32 v9, 0x80000000, v9, v11
	v_cvt_i32_f32_e32 v9, v9
.LBB87_3952:
	s_mov_b32 s1, 0
.LBB87_3953:
	s_delay_alu instid0(SALU_CYCLE_1)
	s_and_not1_b32 vcc_lo, exec_lo, s1
	s_cbranch_vccnz .LBB87_3955
; %bb.3954:
	s_wait_loadcnt 0x0
	global_load_u8 v9, v[34:35], off
	s_wait_loadcnt 0x0
	v_lshlrev_b32_e32 v11, 25, v9
	v_lshlrev_b16 v9, 8, v9
	s_delay_alu instid0(VALU_DEP_1) | instskip(SKIP_1) | instid1(VALU_DEP_2)
	v_and_or_b32 v15, 0x7f00, v9, 0.5
	v_bfe_i32 v9, v9, 0, 16
	v_add_f32_e32 v15, -0.5, v15
	v_lshrrev_b32_e32 v13, 4, v11
	v_cmp_gt_u32_e32 vcc_lo, 0x8000000, v11
	s_delay_alu instid0(VALU_DEP_2) | instskip(NEXT) | instid1(VALU_DEP_1)
	v_or_b32_e32 v13, 0x70000000, v13
	v_mul_f32_e32 v13, 0x7800000, v13
	s_delay_alu instid0(VALU_DEP_1) | instskip(NEXT) | instid1(VALU_DEP_1)
	v_cndmask_b32_e32 v11, v13, v15, vcc_lo
	v_and_or_b32 v9, 0x80000000, v9, v11
	s_delay_alu instid0(VALU_DEP_1)
	v_cvt_i32_f32_e32 v9, v9
.LBB87_3955:
	s_mov_b32 s1, 0
	s_mov_b32 s9, -1
.LBB87_3956:
	s_and_not1_b32 vcc_lo, exec_lo, s1
	s_mov_b32 s1, 0
	s_cbranch_vccnz .LBB87_3967
; %bb.3957:
	s_cmp_gt_i32 s56, 14
	s_cbranch_scc0 .LBB87_3960
; %bb.3958:
	s_cmp_eq_u32 s56, 15
	s_cbranch_scc0 .LBB87_3963
; %bb.3959:
	s_wait_loadcnt 0x0
	global_load_u16 v9, v[34:35], off
	s_mov_b32 s0, 0
	s_mov_b32 s9, -1
	s_wait_loadcnt 0x0
	v_lshlrev_b32_e32 v9, 16, v9
	s_delay_alu instid0(VALU_DEP_1)
	v_cvt_i32_f32_e32 v9, v9
	s_branch .LBB87_3965
.LBB87_3960:
	s_mov_b32 s1, -1
	s_branch .LBB87_3964
.LBB87_3961:
	s_and_not1_saveexec_b32 s1, s1
	s_cbranch_execz .LBB87_3942
.LBB87_3962:
	v_cmp_ne_u16_e32 vcc_lo, 0, v11
	s_and_not1_b32 s9, s9, exec_lo
	s_and_b32 s24, vcc_lo, exec_lo
	s_delay_alu instid0(SALU_CYCLE_1)
	s_or_b32 s9, s9, s24
	s_or_b32 exec_lo, exec_lo, s1
	v_mov_b32_e32 v9, 0
	s_and_saveexec_b32 s1, s9
	s_cbranch_execnz .LBB87_3943
	s_branch .LBB87_3944
.LBB87_3963:
	s_mov_b32 s0, -1
.LBB87_3964:
                                        ; implicit-def: $vgpr9
.LBB87_3965:
	s_and_b32 vcc_lo, exec_lo, s1
	s_mov_b32 s1, 0
	s_cbranch_vccz .LBB87_3967
; %bb.3966:
	s_cmp_lg_u32 s56, 11
	s_mov_b32 s1, -1
	s_cselect_b32 s0, -1, 0
.LBB87_3967:
	s_delay_alu instid0(SALU_CYCLE_1)
	s_and_b32 vcc_lo, exec_lo, s0
	s_cbranch_vccnz .LBB87_4032
; %bb.3968:
	s_and_not1_b32 vcc_lo, exec_lo, s1
	s_cbranch_vccnz .LBB87_3970
.LBB87_3969:
	s_wait_loadcnt 0x0
	global_load_u8 v9, v[34:35], off
	s_mov_b32 s9, -1
	s_wait_loadcnt 0x0
	v_cmp_ne_u16_e32 vcc_lo, 0, v9
	v_cndmask_b32_e64 v9, 0, 1, vcc_lo
.LBB87_3970:
	s_mov_b32 s0, 0
.LBB87_3971:
	s_delay_alu instid0(SALU_CYCLE_1)
	s_and_b32 vcc_lo, exec_lo, s0
	s_cbranch_vccz .LBB87_4020
; %bb.3972:
	s_cmp_lt_i32 s56, 5
	s_cbranch_scc1 .LBB87_3977
; %bb.3973:
	s_cmp_lt_i32 s56, 8
	s_cbranch_scc1 .LBB87_3978
	;; [unrolled: 3-line block ×3, first 2 shown]
; %bb.3975:
	s_cmp_gt_i32 s56, 9
	s_cbranch_scc0 .LBB87_3980
; %bb.3976:
	global_load_b64 v[36:37], v[34:35], off
	s_mov_b32 s0, 0
	s_wait_loadcnt 0x0
	v_cvt_i32_f64_e32 v9, v[36:37]
	s_branch .LBB87_3981
.LBB87_3977:
	s_mov_b32 s0, -1
                                        ; implicit-def: $vgpr9
	s_branch .LBB87_3999
.LBB87_3978:
	s_mov_b32 s0, -1
                                        ; implicit-def: $vgpr9
	s_branch .LBB87_3987
.LBB87_3979:
	s_mov_b32 s0, -1
                                        ; implicit-def: $vgpr9
	s_branch .LBB87_3984
.LBB87_3980:
	s_mov_b32 s0, -1
                                        ; implicit-def: $vgpr9
.LBB87_3981:
	s_delay_alu instid0(SALU_CYCLE_1)
	s_and_not1_b32 vcc_lo, exec_lo, s0
	s_cbranch_vccnz .LBB87_3983
; %bb.3982:
	s_wait_loadcnt 0x0
	global_load_b32 v9, v[34:35], off
	s_wait_loadcnt 0x0
	v_cvt_i32_f32_e32 v9, v9
.LBB87_3983:
	s_mov_b32 s0, 0
.LBB87_3984:
	s_delay_alu instid0(SALU_CYCLE_1)
	s_and_not1_b32 vcc_lo, exec_lo, s0
	s_cbranch_vccnz .LBB87_3986
; %bb.3985:
	s_wait_loadcnt 0x0
	global_load_b32 v9, v[34:35], off
	s_wait_loadcnt 0x0
	v_cvt_f32_f16_e32 v9, v9
	s_delay_alu instid0(VALU_DEP_1)
	v_cvt_i32_f32_e32 v9, v9
.LBB87_3986:
	s_mov_b32 s0, 0
.LBB87_3987:
	s_delay_alu instid0(SALU_CYCLE_1)
	s_and_not1_b32 vcc_lo, exec_lo, s0
	s_cbranch_vccnz .LBB87_3998
; %bb.3988:
	s_cmp_lt_i32 s56, 6
	s_cbranch_scc1 .LBB87_3991
; %bb.3989:
	s_cmp_gt_i32 s56, 6
	s_cbranch_scc0 .LBB87_3992
; %bb.3990:
	global_load_b64 v[36:37], v[34:35], off
	s_mov_b32 s0, 0
	s_wait_loadcnt 0x0
	v_cvt_i32_f64_e32 v9, v[36:37]
	s_branch .LBB87_3993
.LBB87_3991:
	s_mov_b32 s0, -1
                                        ; implicit-def: $vgpr9
	s_branch .LBB87_3996
.LBB87_3992:
	s_mov_b32 s0, -1
                                        ; implicit-def: $vgpr9
.LBB87_3993:
	s_delay_alu instid0(SALU_CYCLE_1)
	s_and_not1_b32 vcc_lo, exec_lo, s0
	s_cbranch_vccnz .LBB87_3995
; %bb.3994:
	s_wait_loadcnt 0x0
	global_load_b32 v9, v[34:35], off
	s_wait_loadcnt 0x0
	v_cvt_i32_f32_e32 v9, v9
.LBB87_3995:
	s_mov_b32 s0, 0
.LBB87_3996:
	s_delay_alu instid0(SALU_CYCLE_1)
	s_and_not1_b32 vcc_lo, exec_lo, s0
	s_cbranch_vccnz .LBB87_3998
; %bb.3997:
	s_wait_loadcnt 0x0
	global_load_u16 v9, v[34:35], off
	s_wait_loadcnt 0x0
	v_cvt_f32_f16_e32 v9, v9
	s_delay_alu instid0(VALU_DEP_1)
	v_cvt_i32_f32_e32 v9, v9
.LBB87_3998:
	s_mov_b32 s0, 0
.LBB87_3999:
	s_delay_alu instid0(SALU_CYCLE_1)
	s_and_not1_b32 vcc_lo, exec_lo, s0
	s_cbranch_vccnz .LBB87_4019
; %bb.4000:
	s_cmp_lt_i32 s56, 2
	s_cbranch_scc1 .LBB87_4004
; %bb.4001:
	s_cmp_lt_i32 s56, 3
	s_cbranch_scc1 .LBB87_4005
; %bb.4002:
	s_cmp_gt_i32 s56, 3
	s_cbranch_scc0 .LBB87_4006
; %bb.4003:
	s_wait_loadcnt 0x0
	global_load_b32 v9, v[34:35], off
	s_mov_b32 s0, 0
	s_branch .LBB87_4007
.LBB87_4004:
	s_mov_b32 s0, -1
                                        ; implicit-def: $vgpr9
	s_branch .LBB87_4013
.LBB87_4005:
	s_mov_b32 s0, -1
                                        ; implicit-def: $vgpr9
	s_branch .LBB87_4010
.LBB87_4006:
	s_mov_b32 s0, -1
                                        ; implicit-def: $vgpr9
.LBB87_4007:
	s_delay_alu instid0(SALU_CYCLE_1)
	s_and_not1_b32 vcc_lo, exec_lo, s0
	s_cbranch_vccnz .LBB87_4009
; %bb.4008:
	s_wait_loadcnt 0x0
	global_load_b32 v9, v[34:35], off
.LBB87_4009:
	s_mov_b32 s0, 0
.LBB87_4010:
	s_delay_alu instid0(SALU_CYCLE_1)
	s_and_not1_b32 vcc_lo, exec_lo, s0
	s_cbranch_vccnz .LBB87_4012
; %bb.4011:
	s_wait_loadcnt 0x0
	global_load_i16 v9, v[34:35], off
.LBB87_4012:
	s_mov_b32 s0, 0
.LBB87_4013:
	s_delay_alu instid0(SALU_CYCLE_1)
	s_and_not1_b32 vcc_lo, exec_lo, s0
	s_cbranch_vccnz .LBB87_4019
; %bb.4014:
	s_cmp_gt_i32 s56, 0
	s_mov_b32 s0, 0
	s_cbranch_scc0 .LBB87_4016
; %bb.4015:
	s_wait_loadcnt 0x0
	global_load_i8 v9, v[34:35], off
	s_branch .LBB87_4017
.LBB87_4016:
	s_mov_b32 s0, -1
                                        ; implicit-def: $vgpr9
.LBB87_4017:
	s_delay_alu instid0(SALU_CYCLE_1)
	s_and_not1_b32 vcc_lo, exec_lo, s0
	s_cbranch_vccnz .LBB87_4019
; %bb.4018:
	s_wait_loadcnt 0x0
	global_load_u8 v9, v[34:35], off
.LBB87_4019:
	s_mov_b32 s9, -1
.LBB87_4020:
	s_delay_alu instid0(SALU_CYCLE_1)
	s_and_not1_b32 vcc_lo, exec_lo, s9
	s_cbranch_vccnz .LBB87_4415
; %bb.4021:
	v_mov_b32_e32 v33, 0
	s_and_b32 s57, 0xffff, s47
	s_delay_alu instid0(SALU_CYCLE_1) | instskip(SKIP_1) | instid1(VALU_DEP_1)
	s_cmp_lt_i32 s57, 11
	s_wait_xcnt 0x0
	v_add_nc_u64_e32 v[34:35], s[14:15], v[32:33]
	s_cbranch_scc1 .LBB87_4028
; %bb.4022:
	s_cmp_gt_i32 s57, 25
	s_mov_b32 s1, 0
	s_cbranch_scc0 .LBB87_4029
; %bb.4023:
	s_cmp_gt_i32 s57, 28
	s_cbranch_scc0 .LBB87_4030
; %bb.4024:
	s_cmp_gt_i32 s57, 43
	;; [unrolled: 3-line block ×3, first 2 shown]
	s_cbranch_scc0 .LBB87_4033
; %bb.4026:
	s_cmp_eq_u32 s57, 46
	s_mov_b32 s24, 0
	s_cbranch_scc0 .LBB87_4036
; %bb.4027:
	global_load_b32 v11, v[34:35], off
	s_mov_b32 s0, 0
	s_mov_b32 s9, -1
	s_wait_loadcnt 0x0
	v_lshlrev_b32_e32 v11, 16, v11
	s_delay_alu instid0(VALU_DEP_1)
	v_cvt_i32_f32_e32 v32, v11
	s_branch .LBB87_4038
.LBB87_4028:
	s_mov_b32 s0, -1
	s_mov_b32 s9, 0
                                        ; implicit-def: $vgpr32
	s_branch .LBB87_4100
.LBB87_4029:
	s_mov_b32 s24, -1
	s_mov_b32 s9, 0
	s_mov_b32 s0, 0
                                        ; implicit-def: $vgpr32
	s_branch .LBB87_4065
.LBB87_4030:
	s_mov_b32 s24, -1
	s_mov_b32 s9, 0
	s_mov_b32 s0, 0
                                        ; implicit-def: $vgpr32
	s_branch .LBB87_4048
.LBB87_4031:
	s_mov_b32 s24, -1
	s_mov_b32 s9, 0
	s_mov_b32 s0, 0
                                        ; implicit-def: $vgpr32
	s_branch .LBB87_4043
.LBB87_4032:
	s_or_b32 s44, s44, exec_lo
	s_trap 2
	s_cbranch_execz .LBB87_3969
	s_branch .LBB87_3970
.LBB87_4033:
	s_mov_b32 s24, -1
	s_mov_b32 s9, 0
	s_mov_b32 s0, 0
	s_branch .LBB87_4037
.LBB87_4034:
	s_or_b32 exec_lo, exec_lo, s77
	s_branch .LBB87_650
.LBB87_4035:
	s_or_b32 s39, s33, exec_lo
	s_trap 2
                                        ; implicit-def: $vgpr6
                                        ; implicit-def: $vgpr30
                                        ; implicit-def: $vgpr28
                                        ; implicit-def: $vgpr34
                                        ; implicit-def: $vgpr32
                                        ; implicit-def: $vgpr4
                                        ; implicit-def: $vgpr36
                                        ; implicit-def: $vgpr20
                                        ; implicit-def: $vgpr18
                                        ; implicit-def: $vgpr24
                                        ; implicit-def: $vgpr22
                                        ; implicit-def: $vgpr2
                                        ; implicit-def: $vgpr26
                                        ; implicit-def: $vgpr10
                                        ; implicit-def: $vgpr8
                                        ; implicit-def: $vgpr14
                                        ; implicit-def: $vgpr12
                                        ; implicit-def: $vgpr0
                                        ; implicit-def: $vgpr16
                                        ; implicit-def: $vgpr1
                                        ; implicit-def: $vgpr3
                                        ; implicit-def: $vgpr42
                                        ; implicit-def: $vgpr40
                                        ; implicit-def: $vgpr44
	s_or_saveexec_b32 s40, s0
	s_mov_b32 s1, 0
                                        ; implicit-def: $vgpr38_vgpr39
                                        ; implicit-def: $sgpr0
	s_xor_b32 exec_lo, exec_lo, s40
	s_cbranch_execz .LBB87_4419
	s_branch .LBB87_3527
.LBB87_4036:
	s_mov_b32 s0, -1
	s_mov_b32 s9, 0
.LBB87_4037:
                                        ; implicit-def: $vgpr32
.LBB87_4038:
	s_and_b32 vcc_lo, exec_lo, s24
	s_cbranch_vccz .LBB87_4042
; %bb.4039:
	s_cmp_eq_u32 s57, 44
	s_cbranch_scc0 .LBB87_4041
; %bb.4040:
	global_load_u8 v11, v[34:35], off
	s_mov_b32 s0, 0
	s_mov_b32 s9, -1
	s_wait_loadcnt 0x0
	v_lshlrev_b32_e32 v13, 23, v11
	v_cmp_ne_u32_e32 vcc_lo, 0, v11
	s_delay_alu instid0(VALU_DEP_2) | instskip(NEXT) | instid1(VALU_DEP_1)
	v_cvt_i32_f32_e32 v13, v13
	v_cndmask_b32_e32 v32, 0, v13, vcc_lo
	s_branch .LBB87_4042
.LBB87_4041:
	s_mov_b32 s0, -1
                                        ; implicit-def: $vgpr32
.LBB87_4042:
	s_mov_b32 s24, 0
.LBB87_4043:
	s_delay_alu instid0(SALU_CYCLE_1)
	s_and_b32 vcc_lo, exec_lo, s24
	s_cbranch_vccz .LBB87_4047
; %bb.4044:
	s_cmp_eq_u32 s57, 29
	s_cbranch_scc0 .LBB87_4046
; %bb.4045:
	global_load_b32 v32, v[34:35], off
	s_mov_b32 s0, 0
	s_mov_b32 s9, -1
	s_branch .LBB87_4047
.LBB87_4046:
	s_mov_b32 s0, -1
                                        ; implicit-def: $vgpr32
.LBB87_4047:
	s_mov_b32 s24, 0
.LBB87_4048:
	s_delay_alu instid0(SALU_CYCLE_1)
	s_and_b32 vcc_lo, exec_lo, s24
	s_cbranch_vccz .LBB87_4064
; %bb.4049:
	s_cmp_lt_i32 s57, 27
	s_cbranch_scc1 .LBB87_4052
; %bb.4050:
	s_cmp_gt_i32 s57, 27
	s_cbranch_scc0 .LBB87_4053
; %bb.4051:
	s_wait_loadcnt 0x0
	global_load_b32 v32, v[34:35], off
	s_mov_b32 s9, 0
	s_branch .LBB87_4054
.LBB87_4052:
	s_mov_b32 s9, -1
                                        ; implicit-def: $vgpr32
	s_branch .LBB87_4057
.LBB87_4053:
	s_mov_b32 s9, -1
                                        ; implicit-def: $vgpr32
.LBB87_4054:
	s_delay_alu instid0(SALU_CYCLE_1)
	s_and_not1_b32 vcc_lo, exec_lo, s9
	s_cbranch_vccnz .LBB87_4056
; %bb.4055:
	s_wait_loadcnt 0x0
	global_load_u16 v32, v[34:35], off
.LBB87_4056:
	s_mov_b32 s9, 0
.LBB87_4057:
	s_delay_alu instid0(SALU_CYCLE_1)
	s_and_not1_b32 vcc_lo, exec_lo, s9
	s_cbranch_vccnz .LBB87_4063
; %bb.4058:
	global_load_u8 v11, v[34:35], off
	s_mov_b32 s24, 0
	s_mov_b32 s9, exec_lo
	s_wait_loadcnt 0x0
	v_cmpx_lt_i16_e32 0x7f, v11
	s_xor_b32 s9, exec_lo, s9
	s_cbranch_execz .LBB87_4075
; %bb.4059:
	v_cmp_ne_u16_e32 vcc_lo, 0x80, v11
	s_and_b32 s24, vcc_lo, exec_lo
	s_and_not1_saveexec_b32 s9, s9
	s_cbranch_execnz .LBB87_4076
.LBB87_4060:
	s_or_b32 exec_lo, exec_lo, s9
	v_mov_b32_e32 v32, 0
	s_and_saveexec_b32 s9, s24
	s_cbranch_execz .LBB87_4062
.LBB87_4061:
	v_and_b32_e32 v13, 0xffff, v11
	s_delay_alu instid0(VALU_DEP_1) | instskip(SKIP_1) | instid1(VALU_DEP_2)
	v_dual_lshlrev_b32 v11, 24, v11 :: v_dual_bitop2_b32 v15, 7, v13 bitop3:0x40
	v_bfe_u32 v21, v13, 3, 4
	v_and_b32_e32 v11, 0x80000000, v11
	s_delay_alu instid0(VALU_DEP_3) | instskip(NEXT) | instid1(VALU_DEP_3)
	v_clz_i32_u32_e32 v17, v15
	v_cmp_eq_u32_e32 vcc_lo, 0, v21
	s_delay_alu instid0(VALU_DEP_2) | instskip(NEXT) | instid1(VALU_DEP_1)
	v_min_u32_e32 v17, 32, v17
	v_subrev_nc_u32_e32 v19, 28, v17
	v_sub_nc_u32_e32 v17, 29, v17
	s_delay_alu instid0(VALU_DEP_2) | instskip(NEXT) | instid1(VALU_DEP_2)
	v_lshlrev_b32_e32 v13, v19, v13
	v_cndmask_b32_e32 v17, v21, v17, vcc_lo
	s_delay_alu instid0(VALU_DEP_2) | instskip(NEXT) | instid1(VALU_DEP_1)
	v_and_b32_e32 v13, 7, v13
	v_cndmask_b32_e32 v13, v15, v13, vcc_lo
	s_delay_alu instid0(VALU_DEP_3) | instskip(NEXT) | instid1(VALU_DEP_2)
	v_lshl_add_u32 v15, v17, 23, 0x3b800000
	v_lshlrev_b32_e32 v13, 20, v13
	s_delay_alu instid0(VALU_DEP_1) | instskip(NEXT) | instid1(VALU_DEP_1)
	v_or3_b32 v11, v11, v15, v13
	v_cvt_i32_f32_e32 v32, v11
.LBB87_4062:
	s_or_b32 exec_lo, exec_lo, s9
.LBB87_4063:
	s_mov_b32 s9, -1
.LBB87_4064:
	s_mov_b32 s24, 0
.LBB87_4065:
	s_delay_alu instid0(SALU_CYCLE_1)
	s_and_b32 vcc_lo, exec_lo, s24
	s_cbranch_vccz .LBB87_4096
; %bb.4066:
	s_cmp_gt_i32 s57, 22
	s_cbranch_scc0 .LBB87_4074
; %bb.4067:
	s_cmp_lt_i32 s57, 24
	s_cbranch_scc1 .LBB87_4077
; %bb.4068:
	s_cmp_gt_i32 s57, 24
	s_cbranch_scc0 .LBB87_4078
; %bb.4069:
	global_load_u8 v11, v[34:35], off
	s_mov_b32 s9, 0
	s_mov_b32 s1, exec_lo
	s_wait_loadcnt 0x0
	v_cmpx_lt_i16_e32 0x7f, v11
	s_xor_b32 s1, exec_lo, s1
	s_cbranch_execz .LBB87_4090
; %bb.4070:
	v_cmp_ne_u16_e32 vcc_lo, 0x80, v11
	s_and_b32 s9, vcc_lo, exec_lo
	s_and_not1_saveexec_b32 s1, s1
	s_cbranch_execnz .LBB87_4091
.LBB87_4071:
	s_or_b32 exec_lo, exec_lo, s1
	v_mov_b32_e32 v32, 0
	s_and_saveexec_b32 s1, s9
	s_cbranch_execz .LBB87_4073
.LBB87_4072:
	v_and_b32_e32 v13, 0xffff, v11
	s_delay_alu instid0(VALU_DEP_1) | instskip(SKIP_1) | instid1(VALU_DEP_2)
	v_dual_lshlrev_b32 v11, 24, v11 :: v_dual_bitop2_b32 v15, 3, v13 bitop3:0x40
	v_bfe_u32 v21, v13, 2, 5
	v_and_b32_e32 v11, 0x80000000, v11
	s_delay_alu instid0(VALU_DEP_3) | instskip(NEXT) | instid1(VALU_DEP_3)
	v_clz_i32_u32_e32 v17, v15
	v_cmp_eq_u32_e32 vcc_lo, 0, v21
	s_delay_alu instid0(VALU_DEP_2) | instskip(NEXT) | instid1(VALU_DEP_1)
	v_min_u32_e32 v17, 32, v17
	v_subrev_nc_u32_e32 v19, 29, v17
	v_sub_nc_u32_e32 v17, 30, v17
	s_delay_alu instid0(VALU_DEP_2) | instskip(NEXT) | instid1(VALU_DEP_2)
	v_lshlrev_b32_e32 v13, v19, v13
	v_cndmask_b32_e32 v17, v21, v17, vcc_lo
	s_delay_alu instid0(VALU_DEP_2) | instskip(NEXT) | instid1(VALU_DEP_1)
	v_and_b32_e32 v13, 3, v13
	v_cndmask_b32_e32 v13, v15, v13, vcc_lo
	s_delay_alu instid0(VALU_DEP_3) | instskip(NEXT) | instid1(VALU_DEP_2)
	v_lshl_add_u32 v15, v17, 23, 0x37800000
	v_lshlrev_b32_e32 v13, 21, v13
	s_delay_alu instid0(VALU_DEP_1) | instskip(NEXT) | instid1(VALU_DEP_1)
	v_or3_b32 v11, v11, v15, v13
	v_cvt_i32_f32_e32 v32, v11
.LBB87_4073:
	s_or_b32 exec_lo, exec_lo, s1
	s_mov_b32 s1, 0
	s_branch .LBB87_4079
.LBB87_4074:
	s_mov_b32 s1, -1
                                        ; implicit-def: $vgpr32
	s_branch .LBB87_4085
.LBB87_4075:
	s_and_not1_saveexec_b32 s9, s9
	s_cbranch_execz .LBB87_4060
.LBB87_4076:
	v_cmp_ne_u16_e32 vcc_lo, 0, v11
	s_and_not1_b32 s24, s24, exec_lo
	s_and_b32 s25, vcc_lo, exec_lo
	s_delay_alu instid0(SALU_CYCLE_1)
	s_or_b32 s24, s24, s25
	s_or_b32 exec_lo, exec_lo, s9
	v_mov_b32_e32 v32, 0
	s_and_saveexec_b32 s9, s24
	s_cbranch_execnz .LBB87_4061
	s_branch .LBB87_4062
.LBB87_4077:
	s_mov_b32 s1, -1
                                        ; implicit-def: $vgpr32
	s_branch .LBB87_4082
.LBB87_4078:
	s_mov_b32 s1, -1
                                        ; implicit-def: $vgpr32
.LBB87_4079:
	s_delay_alu instid0(SALU_CYCLE_1)
	s_and_b32 vcc_lo, exec_lo, s1
	s_cbranch_vccz .LBB87_4081
; %bb.4080:
	global_load_u8 v11, v[34:35], off
	s_wait_loadcnt 0x0
	v_lshlrev_b32_e32 v11, 24, v11
	s_delay_alu instid0(VALU_DEP_1) | instskip(NEXT) | instid1(VALU_DEP_1)
	v_and_b32_e32 v13, 0x7f000000, v11
	v_clz_i32_u32_e32 v15, v13
	v_add_nc_u32_e32 v19, 0x1000000, v13
	v_cmp_ne_u32_e32 vcc_lo, 0, v13
	s_delay_alu instid0(VALU_DEP_3) | instskip(NEXT) | instid1(VALU_DEP_1)
	v_min_u32_e32 v15, 32, v15
	v_sub_nc_u32_e64 v15, v15, 4 clamp
	s_delay_alu instid0(VALU_DEP_1) | instskip(NEXT) | instid1(VALU_DEP_1)
	v_dual_lshlrev_b32 v17, v15, v13 :: v_dual_lshlrev_b32 v15, 23, v15
	v_lshrrev_b32_e32 v17, 4, v17
	s_delay_alu instid0(VALU_DEP_1) | instskip(SKIP_1) | instid1(VALU_DEP_2)
	v_sub_nc_u32_e32 v15, v17, v15
	v_ashrrev_i32_e32 v17, 8, v19
	v_add_nc_u32_e32 v15, 0x3c000000, v15
	s_delay_alu instid0(VALU_DEP_1) | instskip(NEXT) | instid1(VALU_DEP_1)
	v_and_or_b32 v15, 0x7f800000, v17, v15
	v_cndmask_b32_e32 v13, 0, v15, vcc_lo
	s_delay_alu instid0(VALU_DEP_1) | instskip(NEXT) | instid1(VALU_DEP_1)
	v_and_or_b32 v11, 0x80000000, v11, v13
	v_cvt_i32_f32_e32 v32, v11
.LBB87_4081:
	s_mov_b32 s1, 0
.LBB87_4082:
	s_delay_alu instid0(SALU_CYCLE_1)
	s_and_not1_b32 vcc_lo, exec_lo, s1
	s_cbranch_vccnz .LBB87_4084
; %bb.4083:
	global_load_u8 v11, v[34:35], off
	s_wait_loadcnt 0x0
	v_lshlrev_b32_e32 v13, 25, v11
	v_lshlrev_b16 v11, 8, v11
	s_delay_alu instid0(VALU_DEP_1) | instskip(SKIP_1) | instid1(VALU_DEP_2)
	v_and_or_b32 v17, 0x7f00, v11, 0.5
	v_bfe_i32 v11, v11, 0, 16
	v_add_f32_e32 v17, -0.5, v17
	v_lshrrev_b32_e32 v15, 4, v13
	v_cmp_gt_u32_e32 vcc_lo, 0x8000000, v13
	s_delay_alu instid0(VALU_DEP_2) | instskip(NEXT) | instid1(VALU_DEP_1)
	v_or_b32_e32 v15, 0x70000000, v15
	v_mul_f32_e32 v15, 0x7800000, v15
	s_delay_alu instid0(VALU_DEP_1) | instskip(NEXT) | instid1(VALU_DEP_1)
	v_cndmask_b32_e32 v13, v15, v17, vcc_lo
	v_and_or_b32 v11, 0x80000000, v11, v13
	s_delay_alu instid0(VALU_DEP_1)
	v_cvt_i32_f32_e32 v32, v11
.LBB87_4084:
	s_mov_b32 s1, 0
	s_mov_b32 s9, -1
.LBB87_4085:
	s_and_not1_b32 vcc_lo, exec_lo, s1
	s_mov_b32 s1, 0
	s_cbranch_vccnz .LBB87_4096
; %bb.4086:
	s_cmp_gt_i32 s57, 14
	s_cbranch_scc0 .LBB87_4089
; %bb.4087:
	s_cmp_eq_u32 s57, 15
	s_cbranch_scc0 .LBB87_4092
; %bb.4088:
	global_load_u16 v11, v[34:35], off
	s_mov_b32 s0, 0
	s_mov_b32 s9, -1
	s_wait_loadcnt 0x0
	v_lshlrev_b32_e32 v11, 16, v11
	s_delay_alu instid0(VALU_DEP_1)
	v_cvt_i32_f32_e32 v32, v11
	s_branch .LBB87_4094
.LBB87_4089:
	s_mov_b32 s1, -1
	s_branch .LBB87_4093
.LBB87_4090:
	s_and_not1_saveexec_b32 s1, s1
	s_cbranch_execz .LBB87_4071
.LBB87_4091:
	v_cmp_ne_u16_e32 vcc_lo, 0, v11
	s_and_not1_b32 s9, s9, exec_lo
	s_and_b32 s24, vcc_lo, exec_lo
	s_delay_alu instid0(SALU_CYCLE_1)
	s_or_b32 s9, s9, s24
	s_or_b32 exec_lo, exec_lo, s1
	v_mov_b32_e32 v32, 0
	s_and_saveexec_b32 s1, s9
	s_cbranch_execnz .LBB87_4072
	s_branch .LBB87_4073
.LBB87_4092:
	s_mov_b32 s0, -1
.LBB87_4093:
                                        ; implicit-def: $vgpr32
.LBB87_4094:
	s_and_b32 vcc_lo, exec_lo, s1
	s_mov_b32 s1, 0
	s_cbranch_vccz .LBB87_4096
; %bb.4095:
	s_cmp_lg_u32 s57, 11
	s_mov_b32 s1, -1
	s_cselect_b32 s0, -1, 0
.LBB87_4096:
	s_delay_alu instid0(SALU_CYCLE_1)
	s_and_b32 vcc_lo, exec_lo, s0
	s_cbranch_vccnz .LBB87_4161
; %bb.4097:
	s_and_not1_b32 vcc_lo, exec_lo, s1
	s_cbranch_vccnz .LBB87_4099
.LBB87_4098:
	global_load_u8 v11, v[34:35], off
	s_mov_b32 s9, -1
	s_wait_loadcnt 0x0
	v_cmp_ne_u16_e32 vcc_lo, 0, v11
	v_cndmask_b32_e64 v32, 0, 1, vcc_lo
.LBB87_4099:
	s_mov_b32 s0, 0
.LBB87_4100:
	s_delay_alu instid0(SALU_CYCLE_1)
	s_and_b32 vcc_lo, exec_lo, s0
	s_cbranch_vccz .LBB87_4149
; %bb.4101:
	s_cmp_lt_i32 s57, 5
	s_cbranch_scc1 .LBB87_4106
; %bb.4102:
	s_cmp_lt_i32 s57, 8
	s_cbranch_scc1 .LBB87_4107
	;; [unrolled: 3-line block ×3, first 2 shown]
; %bb.4104:
	s_cmp_gt_i32 s57, 9
	s_cbranch_scc0 .LBB87_4109
; %bb.4105:
	s_wait_loadcnt 0x0
	global_load_b64 v[32:33], v[34:35], off
	s_mov_b32 s0, 0
	s_wait_loadcnt 0x0
	v_cvt_i32_f64_e32 v32, v[32:33]
	s_branch .LBB87_4110
.LBB87_4106:
	s_mov_b32 s0, -1
                                        ; implicit-def: $vgpr32
	s_branch .LBB87_4128
.LBB87_4107:
	s_mov_b32 s0, -1
                                        ; implicit-def: $vgpr32
	s_branch .LBB87_4116
.LBB87_4108:
	s_mov_b32 s0, -1
                                        ; implicit-def: $vgpr32
	s_branch .LBB87_4113
.LBB87_4109:
	s_mov_b32 s0, -1
                                        ; implicit-def: $vgpr32
.LBB87_4110:
	s_delay_alu instid0(SALU_CYCLE_1)
	s_and_not1_b32 vcc_lo, exec_lo, s0
	s_cbranch_vccnz .LBB87_4112
; %bb.4111:
	global_load_b32 v11, v[34:35], off
	s_wait_loadcnt 0x0
	v_cvt_i32_f32_e32 v32, v11
.LBB87_4112:
	s_mov_b32 s0, 0
.LBB87_4113:
	s_delay_alu instid0(SALU_CYCLE_1)
	s_and_not1_b32 vcc_lo, exec_lo, s0
	s_cbranch_vccnz .LBB87_4115
; %bb.4114:
	global_load_b32 v11, v[34:35], off
	s_wait_loadcnt 0x0
	v_cvt_f32_f16_e32 v11, v11
	s_delay_alu instid0(VALU_DEP_1)
	v_cvt_i32_f32_e32 v32, v11
.LBB87_4115:
	s_mov_b32 s0, 0
.LBB87_4116:
	s_delay_alu instid0(SALU_CYCLE_1)
	s_and_not1_b32 vcc_lo, exec_lo, s0
	s_cbranch_vccnz .LBB87_4127
; %bb.4117:
	s_cmp_lt_i32 s57, 6
	s_cbranch_scc1 .LBB87_4120
; %bb.4118:
	s_cmp_gt_i32 s57, 6
	s_cbranch_scc0 .LBB87_4121
; %bb.4119:
	s_wait_loadcnt 0x0
	global_load_b64 v[32:33], v[34:35], off
	s_mov_b32 s0, 0
	s_wait_loadcnt 0x0
	v_cvt_i32_f64_e32 v32, v[32:33]
	s_branch .LBB87_4122
.LBB87_4120:
	s_mov_b32 s0, -1
                                        ; implicit-def: $vgpr32
	s_branch .LBB87_4125
.LBB87_4121:
	s_mov_b32 s0, -1
                                        ; implicit-def: $vgpr32
.LBB87_4122:
	s_delay_alu instid0(SALU_CYCLE_1)
	s_and_not1_b32 vcc_lo, exec_lo, s0
	s_cbranch_vccnz .LBB87_4124
; %bb.4123:
	global_load_b32 v11, v[34:35], off
	s_wait_loadcnt 0x0
	v_cvt_i32_f32_e32 v32, v11
.LBB87_4124:
	s_mov_b32 s0, 0
.LBB87_4125:
	s_delay_alu instid0(SALU_CYCLE_1)
	s_and_not1_b32 vcc_lo, exec_lo, s0
	s_cbranch_vccnz .LBB87_4127
; %bb.4126:
	global_load_u16 v11, v[34:35], off
	s_wait_loadcnt 0x0
	v_cvt_f32_f16_e32 v11, v11
	s_delay_alu instid0(VALU_DEP_1)
	v_cvt_i32_f32_e32 v32, v11
.LBB87_4127:
	s_mov_b32 s0, 0
.LBB87_4128:
	s_delay_alu instid0(SALU_CYCLE_1)
	s_and_not1_b32 vcc_lo, exec_lo, s0
	s_cbranch_vccnz .LBB87_4148
; %bb.4129:
	s_cmp_lt_i32 s57, 2
	s_cbranch_scc1 .LBB87_4133
; %bb.4130:
	s_cmp_lt_i32 s57, 3
	s_cbranch_scc1 .LBB87_4134
; %bb.4131:
	s_cmp_gt_i32 s57, 3
	s_cbranch_scc0 .LBB87_4135
; %bb.4132:
	s_wait_loadcnt 0x0
	global_load_b32 v32, v[34:35], off
	s_mov_b32 s0, 0
	s_branch .LBB87_4136
.LBB87_4133:
	s_mov_b32 s0, -1
                                        ; implicit-def: $vgpr32
	s_branch .LBB87_4142
.LBB87_4134:
	s_mov_b32 s0, -1
                                        ; implicit-def: $vgpr32
	s_branch .LBB87_4139
.LBB87_4135:
	s_mov_b32 s0, -1
                                        ; implicit-def: $vgpr32
.LBB87_4136:
	s_delay_alu instid0(SALU_CYCLE_1)
	s_and_not1_b32 vcc_lo, exec_lo, s0
	s_cbranch_vccnz .LBB87_4138
; %bb.4137:
	s_wait_loadcnt 0x0
	global_load_b32 v32, v[34:35], off
.LBB87_4138:
	s_mov_b32 s0, 0
.LBB87_4139:
	s_delay_alu instid0(SALU_CYCLE_1)
	s_and_not1_b32 vcc_lo, exec_lo, s0
	s_cbranch_vccnz .LBB87_4141
; %bb.4140:
	s_wait_loadcnt 0x0
	global_load_i16 v32, v[34:35], off
.LBB87_4141:
	s_mov_b32 s0, 0
.LBB87_4142:
	s_delay_alu instid0(SALU_CYCLE_1)
	s_and_not1_b32 vcc_lo, exec_lo, s0
	s_cbranch_vccnz .LBB87_4148
; %bb.4143:
	s_cmp_gt_i32 s57, 0
	s_mov_b32 s0, 0
	s_cbranch_scc0 .LBB87_4145
; %bb.4144:
	s_wait_loadcnt 0x0
	global_load_i8 v32, v[34:35], off
	s_branch .LBB87_4146
.LBB87_4145:
	s_mov_b32 s0, -1
                                        ; implicit-def: $vgpr32
.LBB87_4146:
	s_delay_alu instid0(SALU_CYCLE_1)
	s_and_not1_b32 vcc_lo, exec_lo, s0
	s_cbranch_vccnz .LBB87_4148
; %bb.4147:
	s_wait_loadcnt 0x0
	global_load_u8 v32, v[34:35], off
.LBB87_4148:
	s_mov_b32 s9, -1
.LBB87_4149:
	s_delay_alu instid0(SALU_CYCLE_1)
	s_and_not1_b32 vcc_lo, exec_lo, s9
	s_cbranch_vccnz .LBB87_4415
; %bb.4150:
	v_mov_b32_e32 v31, 0
	s_and_b32 s58, 0xffff, s48
	s_delay_alu instid0(SALU_CYCLE_1) | instskip(SKIP_1) | instid1(VALU_DEP_1)
	s_cmp_lt_i32 s58, 11
	s_wait_xcnt 0x0
	v_add_nc_u64_e32 v[34:35], s[16:17], v[30:31]
	s_cbranch_scc1 .LBB87_4157
; %bb.4151:
	s_cmp_gt_i32 s58, 25
	s_mov_b32 s1, 0
	s_cbranch_scc0 .LBB87_4158
; %bb.4152:
	s_cmp_gt_i32 s58, 28
	s_cbranch_scc0 .LBB87_4159
; %bb.4153:
	s_cmp_gt_i32 s58, 43
	s_cbranch_scc0 .LBB87_4160
; %bb.4154:
	s_cmp_gt_i32 s58, 45
	s_cbranch_scc0 .LBB87_4162
; %bb.4155:
	s_cmp_eq_u32 s58, 46
	s_mov_b32 s24, 0
	s_cbranch_scc0 .LBB87_4165
; %bb.4156:
	global_load_b32 v11, v[34:35], off
	s_mov_b32 s0, 0
	s_mov_b32 s9, -1
	s_wait_loadcnt 0x0
	v_lshlrev_b32_e32 v11, 16, v11
	s_delay_alu instid0(VALU_DEP_1)
	v_cvt_i32_f32_e32 v30, v11
	s_branch .LBB87_4167
.LBB87_4157:
	s_mov_b32 s0, -1
	s_mov_b32 s9, 0
                                        ; implicit-def: $vgpr30
	s_branch .LBB87_4229
.LBB87_4158:
	s_mov_b32 s24, -1
	s_mov_b32 s9, 0
	s_mov_b32 s0, 0
                                        ; implicit-def: $vgpr30
	s_branch .LBB87_4194
.LBB87_4159:
	s_mov_b32 s24, -1
	s_mov_b32 s9, 0
	s_mov_b32 s0, 0
                                        ; implicit-def: $vgpr30
	s_branch .LBB87_4177
.LBB87_4160:
	s_mov_b32 s24, -1
	s_mov_b32 s9, 0
	s_mov_b32 s0, 0
                                        ; implicit-def: $vgpr30
	s_branch .LBB87_4172
.LBB87_4161:
	s_or_b32 s44, s44, exec_lo
	s_trap 2
	s_cbranch_execz .LBB87_4098
	s_branch .LBB87_4099
.LBB87_4162:
	s_mov_b32 s24, -1
	s_mov_b32 s9, 0
	s_mov_b32 s0, 0
	s_branch .LBB87_4166
.LBB87_4163:
	s_or_b32 exec_lo, exec_lo, s91
	s_branch .LBB87_1325
.LBB87_4164:
	s_or_b32 s21, s39, exec_lo
	s_trap 2
                                        ; implicit-def: $vgpr6
                                        ; implicit-def: $vgpr30
                                        ; implicit-def: $vgpr28
                                        ; implicit-def: $vgpr34
                                        ; implicit-def: $vgpr32
                                        ; implicit-def: $vgpr4
                                        ; implicit-def: $vgpr36
                                        ; implicit-def: $vgpr20
                                        ; implicit-def: $vgpr18
                                        ; implicit-def: $vgpr24
                                        ; implicit-def: $vgpr22
                                        ; implicit-def: $vgpr2
                                        ; implicit-def: $vgpr26
                                        ; implicit-def: $vgpr10
                                        ; implicit-def: $vgpr8
                                        ; implicit-def: $vgpr14
                                        ; implicit-def: $vgpr12
                                        ; implicit-def: $vgpr0
                                        ; implicit-def: $vgpr16
                                        ; implicit-def: $vgpr1
                                        ; implicit-def: $vgpr3
                                        ; implicit-def: $vgpr42
                                        ; implicit-def: $vgpr40
                                        ; implicit-def: $vgpr44
	s_branch .LBB87_3528
.LBB87_4165:
	s_mov_b32 s0, -1
	s_mov_b32 s9, 0
.LBB87_4166:
                                        ; implicit-def: $vgpr30
.LBB87_4167:
	s_and_b32 vcc_lo, exec_lo, s24
	s_cbranch_vccz .LBB87_4171
; %bb.4168:
	s_cmp_eq_u32 s58, 44
	s_cbranch_scc0 .LBB87_4170
; %bb.4169:
	global_load_u8 v11, v[34:35], off
	s_mov_b32 s0, 0
	s_mov_b32 s9, -1
	s_wait_loadcnt 0x0
	v_lshlrev_b32_e32 v13, 23, v11
	v_cmp_ne_u32_e32 vcc_lo, 0, v11
	s_delay_alu instid0(VALU_DEP_2) | instskip(NEXT) | instid1(VALU_DEP_1)
	v_cvt_i32_f32_e32 v13, v13
	v_cndmask_b32_e32 v30, 0, v13, vcc_lo
	s_branch .LBB87_4171
.LBB87_4170:
	s_mov_b32 s0, -1
                                        ; implicit-def: $vgpr30
.LBB87_4171:
	s_mov_b32 s24, 0
.LBB87_4172:
	s_delay_alu instid0(SALU_CYCLE_1)
	s_and_b32 vcc_lo, exec_lo, s24
	s_cbranch_vccz .LBB87_4176
; %bb.4173:
	s_cmp_eq_u32 s58, 29
	s_cbranch_scc0 .LBB87_4175
; %bb.4174:
	global_load_b32 v30, v[34:35], off
	s_mov_b32 s0, 0
	s_mov_b32 s9, -1
	s_branch .LBB87_4176
.LBB87_4175:
	s_mov_b32 s0, -1
                                        ; implicit-def: $vgpr30
.LBB87_4176:
	s_mov_b32 s24, 0
.LBB87_4177:
	s_delay_alu instid0(SALU_CYCLE_1)
	s_and_b32 vcc_lo, exec_lo, s24
	s_cbranch_vccz .LBB87_4193
; %bb.4178:
	s_cmp_lt_i32 s58, 27
	s_cbranch_scc1 .LBB87_4181
; %bb.4179:
	s_cmp_gt_i32 s58, 27
	s_cbranch_scc0 .LBB87_4182
; %bb.4180:
	s_wait_loadcnt 0x0
	global_load_b32 v30, v[34:35], off
	s_mov_b32 s9, 0
	s_branch .LBB87_4183
.LBB87_4181:
	s_mov_b32 s9, -1
                                        ; implicit-def: $vgpr30
	s_branch .LBB87_4186
.LBB87_4182:
	s_mov_b32 s9, -1
                                        ; implicit-def: $vgpr30
.LBB87_4183:
	s_delay_alu instid0(SALU_CYCLE_1)
	s_and_not1_b32 vcc_lo, exec_lo, s9
	s_cbranch_vccnz .LBB87_4185
; %bb.4184:
	s_wait_loadcnt 0x0
	global_load_u16 v30, v[34:35], off
.LBB87_4185:
	s_mov_b32 s9, 0
.LBB87_4186:
	s_delay_alu instid0(SALU_CYCLE_1)
	s_and_not1_b32 vcc_lo, exec_lo, s9
	s_cbranch_vccnz .LBB87_4192
; %bb.4187:
	global_load_u8 v11, v[34:35], off
	s_mov_b32 s24, 0
	s_mov_b32 s9, exec_lo
	s_wait_loadcnt 0x0
	v_cmpx_lt_i16_e32 0x7f, v11
	s_xor_b32 s9, exec_lo, s9
	s_cbranch_execz .LBB87_4204
; %bb.4188:
	v_cmp_ne_u16_e32 vcc_lo, 0x80, v11
	s_and_b32 s24, vcc_lo, exec_lo
	s_and_not1_saveexec_b32 s9, s9
	s_cbranch_execnz .LBB87_4205
.LBB87_4189:
	s_or_b32 exec_lo, exec_lo, s9
	v_mov_b32_e32 v30, 0
	s_and_saveexec_b32 s9, s24
	s_cbranch_execz .LBB87_4191
.LBB87_4190:
	v_and_b32_e32 v13, 0xffff, v11
	s_delay_alu instid0(VALU_DEP_1) | instskip(SKIP_1) | instid1(VALU_DEP_2)
	v_dual_lshlrev_b32 v11, 24, v11 :: v_dual_bitop2_b32 v15, 7, v13 bitop3:0x40
	v_bfe_u32 v21, v13, 3, 4
	v_and_b32_e32 v11, 0x80000000, v11
	s_delay_alu instid0(VALU_DEP_3) | instskip(NEXT) | instid1(VALU_DEP_3)
	v_clz_i32_u32_e32 v17, v15
	v_cmp_eq_u32_e32 vcc_lo, 0, v21
	s_delay_alu instid0(VALU_DEP_2) | instskip(NEXT) | instid1(VALU_DEP_1)
	v_min_u32_e32 v17, 32, v17
	v_subrev_nc_u32_e32 v19, 28, v17
	v_sub_nc_u32_e32 v17, 29, v17
	s_delay_alu instid0(VALU_DEP_2) | instskip(NEXT) | instid1(VALU_DEP_2)
	v_lshlrev_b32_e32 v13, v19, v13
	v_cndmask_b32_e32 v17, v21, v17, vcc_lo
	s_delay_alu instid0(VALU_DEP_2) | instskip(NEXT) | instid1(VALU_DEP_1)
	v_and_b32_e32 v13, 7, v13
	v_cndmask_b32_e32 v13, v15, v13, vcc_lo
	s_delay_alu instid0(VALU_DEP_3) | instskip(NEXT) | instid1(VALU_DEP_2)
	v_lshl_add_u32 v15, v17, 23, 0x3b800000
	v_lshlrev_b32_e32 v13, 20, v13
	s_delay_alu instid0(VALU_DEP_1) | instskip(NEXT) | instid1(VALU_DEP_1)
	v_or3_b32 v11, v11, v15, v13
	v_cvt_i32_f32_e32 v30, v11
.LBB87_4191:
	s_or_b32 exec_lo, exec_lo, s9
.LBB87_4192:
	s_mov_b32 s9, -1
.LBB87_4193:
	s_mov_b32 s24, 0
.LBB87_4194:
	s_delay_alu instid0(SALU_CYCLE_1)
	s_and_b32 vcc_lo, exec_lo, s24
	s_cbranch_vccz .LBB87_4225
; %bb.4195:
	s_cmp_gt_i32 s58, 22
	s_cbranch_scc0 .LBB87_4203
; %bb.4196:
	s_cmp_lt_i32 s58, 24
	s_cbranch_scc1 .LBB87_4206
; %bb.4197:
	s_cmp_gt_i32 s58, 24
	s_cbranch_scc0 .LBB87_4207
; %bb.4198:
	global_load_u8 v11, v[34:35], off
	s_mov_b32 s9, 0
	s_mov_b32 s1, exec_lo
	s_wait_loadcnt 0x0
	v_cmpx_lt_i16_e32 0x7f, v11
	s_xor_b32 s1, exec_lo, s1
	s_cbranch_execz .LBB87_4219
; %bb.4199:
	v_cmp_ne_u16_e32 vcc_lo, 0x80, v11
	s_and_b32 s9, vcc_lo, exec_lo
	s_and_not1_saveexec_b32 s1, s1
	s_cbranch_execnz .LBB87_4220
.LBB87_4200:
	s_or_b32 exec_lo, exec_lo, s1
	v_mov_b32_e32 v30, 0
	s_and_saveexec_b32 s1, s9
	s_cbranch_execz .LBB87_4202
.LBB87_4201:
	v_and_b32_e32 v13, 0xffff, v11
	s_delay_alu instid0(VALU_DEP_1) | instskip(SKIP_1) | instid1(VALU_DEP_2)
	v_dual_lshlrev_b32 v11, 24, v11 :: v_dual_bitop2_b32 v15, 3, v13 bitop3:0x40
	v_bfe_u32 v21, v13, 2, 5
	v_and_b32_e32 v11, 0x80000000, v11
	s_delay_alu instid0(VALU_DEP_3) | instskip(NEXT) | instid1(VALU_DEP_3)
	v_clz_i32_u32_e32 v17, v15
	v_cmp_eq_u32_e32 vcc_lo, 0, v21
	s_delay_alu instid0(VALU_DEP_2) | instskip(NEXT) | instid1(VALU_DEP_1)
	v_min_u32_e32 v17, 32, v17
	v_subrev_nc_u32_e32 v19, 29, v17
	v_sub_nc_u32_e32 v17, 30, v17
	s_delay_alu instid0(VALU_DEP_2) | instskip(NEXT) | instid1(VALU_DEP_2)
	v_lshlrev_b32_e32 v13, v19, v13
	v_cndmask_b32_e32 v17, v21, v17, vcc_lo
	s_delay_alu instid0(VALU_DEP_2) | instskip(NEXT) | instid1(VALU_DEP_1)
	v_and_b32_e32 v13, 3, v13
	v_cndmask_b32_e32 v13, v15, v13, vcc_lo
	s_delay_alu instid0(VALU_DEP_3) | instskip(NEXT) | instid1(VALU_DEP_2)
	v_lshl_add_u32 v15, v17, 23, 0x37800000
	v_lshlrev_b32_e32 v13, 21, v13
	s_delay_alu instid0(VALU_DEP_1) | instskip(NEXT) | instid1(VALU_DEP_1)
	v_or3_b32 v11, v11, v15, v13
	v_cvt_i32_f32_e32 v30, v11
.LBB87_4202:
	s_or_b32 exec_lo, exec_lo, s1
	s_mov_b32 s1, 0
	s_branch .LBB87_4208
.LBB87_4203:
	s_mov_b32 s1, -1
                                        ; implicit-def: $vgpr30
	s_branch .LBB87_4214
.LBB87_4204:
	s_and_not1_saveexec_b32 s9, s9
	s_cbranch_execz .LBB87_4189
.LBB87_4205:
	v_cmp_ne_u16_e32 vcc_lo, 0, v11
	s_and_not1_b32 s24, s24, exec_lo
	s_and_b32 s25, vcc_lo, exec_lo
	s_delay_alu instid0(SALU_CYCLE_1)
	s_or_b32 s24, s24, s25
	s_or_b32 exec_lo, exec_lo, s9
	v_mov_b32_e32 v30, 0
	s_and_saveexec_b32 s9, s24
	s_cbranch_execnz .LBB87_4190
	s_branch .LBB87_4191
.LBB87_4206:
	s_mov_b32 s1, -1
                                        ; implicit-def: $vgpr30
	s_branch .LBB87_4211
.LBB87_4207:
	s_mov_b32 s1, -1
                                        ; implicit-def: $vgpr30
.LBB87_4208:
	s_delay_alu instid0(SALU_CYCLE_1)
	s_and_b32 vcc_lo, exec_lo, s1
	s_cbranch_vccz .LBB87_4210
; %bb.4209:
	global_load_u8 v11, v[34:35], off
	s_wait_loadcnt 0x0
	v_lshlrev_b32_e32 v11, 24, v11
	s_delay_alu instid0(VALU_DEP_1) | instskip(NEXT) | instid1(VALU_DEP_1)
	v_and_b32_e32 v13, 0x7f000000, v11
	v_clz_i32_u32_e32 v15, v13
	v_add_nc_u32_e32 v19, 0x1000000, v13
	v_cmp_ne_u32_e32 vcc_lo, 0, v13
	s_delay_alu instid0(VALU_DEP_3) | instskip(NEXT) | instid1(VALU_DEP_1)
	v_min_u32_e32 v15, 32, v15
	v_sub_nc_u32_e64 v15, v15, 4 clamp
	s_delay_alu instid0(VALU_DEP_1) | instskip(NEXT) | instid1(VALU_DEP_1)
	v_dual_lshlrev_b32 v17, v15, v13 :: v_dual_lshlrev_b32 v15, 23, v15
	v_lshrrev_b32_e32 v17, 4, v17
	s_delay_alu instid0(VALU_DEP_1) | instskip(SKIP_1) | instid1(VALU_DEP_2)
	v_sub_nc_u32_e32 v15, v17, v15
	v_ashrrev_i32_e32 v17, 8, v19
	v_add_nc_u32_e32 v15, 0x3c000000, v15
	s_delay_alu instid0(VALU_DEP_1) | instskip(NEXT) | instid1(VALU_DEP_1)
	v_and_or_b32 v15, 0x7f800000, v17, v15
	v_cndmask_b32_e32 v13, 0, v15, vcc_lo
	s_delay_alu instid0(VALU_DEP_1) | instskip(NEXT) | instid1(VALU_DEP_1)
	v_and_or_b32 v11, 0x80000000, v11, v13
	v_cvt_i32_f32_e32 v30, v11
.LBB87_4210:
	s_mov_b32 s1, 0
.LBB87_4211:
	s_delay_alu instid0(SALU_CYCLE_1)
	s_and_not1_b32 vcc_lo, exec_lo, s1
	s_cbranch_vccnz .LBB87_4213
; %bb.4212:
	global_load_u8 v11, v[34:35], off
	s_wait_loadcnt 0x0
	v_lshlrev_b32_e32 v13, 25, v11
	v_lshlrev_b16 v11, 8, v11
	s_delay_alu instid0(VALU_DEP_1) | instskip(SKIP_1) | instid1(VALU_DEP_2)
	v_and_or_b32 v17, 0x7f00, v11, 0.5
	v_bfe_i32 v11, v11, 0, 16
	v_add_f32_e32 v17, -0.5, v17
	v_lshrrev_b32_e32 v15, 4, v13
	v_cmp_gt_u32_e32 vcc_lo, 0x8000000, v13
	s_delay_alu instid0(VALU_DEP_2) | instskip(NEXT) | instid1(VALU_DEP_1)
	v_or_b32_e32 v15, 0x70000000, v15
	v_mul_f32_e32 v15, 0x7800000, v15
	s_delay_alu instid0(VALU_DEP_1) | instskip(NEXT) | instid1(VALU_DEP_1)
	v_cndmask_b32_e32 v13, v15, v17, vcc_lo
	v_and_or_b32 v11, 0x80000000, v11, v13
	s_delay_alu instid0(VALU_DEP_1)
	v_cvt_i32_f32_e32 v30, v11
.LBB87_4213:
	s_mov_b32 s1, 0
	s_mov_b32 s9, -1
.LBB87_4214:
	s_and_not1_b32 vcc_lo, exec_lo, s1
	s_mov_b32 s1, 0
	s_cbranch_vccnz .LBB87_4225
; %bb.4215:
	s_cmp_gt_i32 s58, 14
	s_cbranch_scc0 .LBB87_4218
; %bb.4216:
	s_cmp_eq_u32 s58, 15
	s_cbranch_scc0 .LBB87_4221
; %bb.4217:
	global_load_u16 v11, v[34:35], off
	s_mov_b32 s0, 0
	s_mov_b32 s9, -1
	s_wait_loadcnt 0x0
	v_lshlrev_b32_e32 v11, 16, v11
	s_delay_alu instid0(VALU_DEP_1)
	v_cvt_i32_f32_e32 v30, v11
	s_branch .LBB87_4223
.LBB87_4218:
	s_mov_b32 s1, -1
	s_branch .LBB87_4222
.LBB87_4219:
	s_and_not1_saveexec_b32 s1, s1
	s_cbranch_execz .LBB87_4200
.LBB87_4220:
	v_cmp_ne_u16_e32 vcc_lo, 0, v11
	s_and_not1_b32 s9, s9, exec_lo
	s_and_b32 s24, vcc_lo, exec_lo
	s_delay_alu instid0(SALU_CYCLE_1)
	s_or_b32 s9, s9, s24
	s_or_b32 exec_lo, exec_lo, s1
	v_mov_b32_e32 v30, 0
	s_and_saveexec_b32 s1, s9
	s_cbranch_execnz .LBB87_4201
	s_branch .LBB87_4202
.LBB87_4221:
	s_mov_b32 s0, -1
.LBB87_4222:
                                        ; implicit-def: $vgpr30
.LBB87_4223:
	s_and_b32 vcc_lo, exec_lo, s1
	s_mov_b32 s1, 0
	s_cbranch_vccz .LBB87_4225
; %bb.4224:
	s_cmp_lg_u32 s58, 11
	s_mov_b32 s1, -1
	s_cselect_b32 s0, -1, 0
.LBB87_4225:
	s_delay_alu instid0(SALU_CYCLE_1)
	s_and_b32 vcc_lo, exec_lo, s0
	s_cbranch_vccnz .LBB87_4290
; %bb.4226:
	s_and_not1_b32 vcc_lo, exec_lo, s1
	s_cbranch_vccnz .LBB87_4228
.LBB87_4227:
	global_load_u8 v11, v[34:35], off
	s_mov_b32 s9, -1
	s_wait_loadcnt 0x0
	v_cmp_ne_u16_e32 vcc_lo, 0, v11
	v_cndmask_b32_e64 v30, 0, 1, vcc_lo
.LBB87_4228:
	s_mov_b32 s0, 0
.LBB87_4229:
	s_delay_alu instid0(SALU_CYCLE_1)
	s_and_b32 vcc_lo, exec_lo, s0
	s_cbranch_vccz .LBB87_4278
; %bb.4230:
	s_cmp_lt_i32 s58, 5
	s_cbranch_scc1 .LBB87_4235
; %bb.4231:
	s_cmp_lt_i32 s58, 8
	s_cbranch_scc1 .LBB87_4236
	;; [unrolled: 3-line block ×3, first 2 shown]
; %bb.4233:
	s_cmp_gt_i32 s58, 9
	s_cbranch_scc0 .LBB87_4238
; %bb.4234:
	s_wait_loadcnt 0x0
	global_load_b64 v[30:31], v[34:35], off
	s_mov_b32 s0, 0
	s_wait_loadcnt 0x0
	v_cvt_i32_f64_e32 v30, v[30:31]
	s_branch .LBB87_4239
.LBB87_4235:
	s_mov_b32 s0, -1
                                        ; implicit-def: $vgpr30
	s_branch .LBB87_4257
.LBB87_4236:
	s_mov_b32 s0, -1
                                        ; implicit-def: $vgpr30
	s_branch .LBB87_4245
.LBB87_4237:
	s_mov_b32 s0, -1
                                        ; implicit-def: $vgpr30
	s_branch .LBB87_4242
.LBB87_4238:
	s_mov_b32 s0, -1
                                        ; implicit-def: $vgpr30
.LBB87_4239:
	s_delay_alu instid0(SALU_CYCLE_1)
	s_and_not1_b32 vcc_lo, exec_lo, s0
	s_cbranch_vccnz .LBB87_4241
; %bb.4240:
	global_load_b32 v11, v[34:35], off
	s_wait_loadcnt 0x0
	v_cvt_i32_f32_e32 v30, v11
.LBB87_4241:
	s_mov_b32 s0, 0
.LBB87_4242:
	s_delay_alu instid0(SALU_CYCLE_1)
	s_and_not1_b32 vcc_lo, exec_lo, s0
	s_cbranch_vccnz .LBB87_4244
; %bb.4243:
	global_load_b32 v11, v[34:35], off
	s_wait_loadcnt 0x0
	v_cvt_f32_f16_e32 v11, v11
	s_delay_alu instid0(VALU_DEP_1)
	v_cvt_i32_f32_e32 v30, v11
.LBB87_4244:
	s_mov_b32 s0, 0
.LBB87_4245:
	s_delay_alu instid0(SALU_CYCLE_1)
	s_and_not1_b32 vcc_lo, exec_lo, s0
	s_cbranch_vccnz .LBB87_4256
; %bb.4246:
	s_cmp_lt_i32 s58, 6
	s_cbranch_scc1 .LBB87_4249
; %bb.4247:
	s_cmp_gt_i32 s58, 6
	s_cbranch_scc0 .LBB87_4250
; %bb.4248:
	s_wait_loadcnt 0x0
	global_load_b64 v[30:31], v[34:35], off
	s_mov_b32 s0, 0
	s_wait_loadcnt 0x0
	v_cvt_i32_f64_e32 v30, v[30:31]
	s_branch .LBB87_4251
.LBB87_4249:
	s_mov_b32 s0, -1
                                        ; implicit-def: $vgpr30
	s_branch .LBB87_4254
.LBB87_4250:
	s_mov_b32 s0, -1
                                        ; implicit-def: $vgpr30
.LBB87_4251:
	s_delay_alu instid0(SALU_CYCLE_1)
	s_and_not1_b32 vcc_lo, exec_lo, s0
	s_cbranch_vccnz .LBB87_4253
; %bb.4252:
	global_load_b32 v11, v[34:35], off
	s_wait_loadcnt 0x0
	v_cvt_i32_f32_e32 v30, v11
.LBB87_4253:
	s_mov_b32 s0, 0
.LBB87_4254:
	s_delay_alu instid0(SALU_CYCLE_1)
	s_and_not1_b32 vcc_lo, exec_lo, s0
	s_cbranch_vccnz .LBB87_4256
; %bb.4255:
	global_load_u16 v11, v[34:35], off
	s_wait_loadcnt 0x0
	v_cvt_f32_f16_e32 v11, v11
	s_delay_alu instid0(VALU_DEP_1)
	v_cvt_i32_f32_e32 v30, v11
.LBB87_4256:
	s_mov_b32 s0, 0
.LBB87_4257:
	s_delay_alu instid0(SALU_CYCLE_1)
	s_and_not1_b32 vcc_lo, exec_lo, s0
	s_cbranch_vccnz .LBB87_4277
; %bb.4258:
	s_cmp_lt_i32 s58, 2
	s_cbranch_scc1 .LBB87_4262
; %bb.4259:
	s_cmp_lt_i32 s58, 3
	s_cbranch_scc1 .LBB87_4263
; %bb.4260:
	s_cmp_gt_i32 s58, 3
	s_cbranch_scc0 .LBB87_4264
; %bb.4261:
	s_wait_loadcnt 0x0
	global_load_b32 v30, v[34:35], off
	s_mov_b32 s0, 0
	s_branch .LBB87_4265
.LBB87_4262:
	s_mov_b32 s0, -1
                                        ; implicit-def: $vgpr30
	s_branch .LBB87_4271
.LBB87_4263:
	s_mov_b32 s0, -1
                                        ; implicit-def: $vgpr30
	s_branch .LBB87_4268
.LBB87_4264:
	s_mov_b32 s0, -1
                                        ; implicit-def: $vgpr30
.LBB87_4265:
	s_delay_alu instid0(SALU_CYCLE_1)
	s_and_not1_b32 vcc_lo, exec_lo, s0
	s_cbranch_vccnz .LBB87_4267
; %bb.4266:
	s_wait_loadcnt 0x0
	global_load_b32 v30, v[34:35], off
.LBB87_4267:
	s_mov_b32 s0, 0
.LBB87_4268:
	s_delay_alu instid0(SALU_CYCLE_1)
	s_and_not1_b32 vcc_lo, exec_lo, s0
	s_cbranch_vccnz .LBB87_4270
; %bb.4269:
	s_wait_loadcnt 0x0
	global_load_i16 v30, v[34:35], off
.LBB87_4270:
	s_mov_b32 s0, 0
.LBB87_4271:
	s_delay_alu instid0(SALU_CYCLE_1)
	s_and_not1_b32 vcc_lo, exec_lo, s0
	s_cbranch_vccnz .LBB87_4277
; %bb.4272:
	s_cmp_gt_i32 s58, 0
	s_mov_b32 s0, 0
	s_cbranch_scc0 .LBB87_4274
; %bb.4273:
	s_wait_loadcnt 0x0
	global_load_i8 v30, v[34:35], off
	s_branch .LBB87_4275
.LBB87_4274:
	s_mov_b32 s0, -1
                                        ; implicit-def: $vgpr30
.LBB87_4275:
	s_delay_alu instid0(SALU_CYCLE_1)
	s_and_not1_b32 vcc_lo, exec_lo, s0
	s_cbranch_vccnz .LBB87_4277
; %bb.4276:
	s_wait_loadcnt 0x0
	global_load_u8 v30, v[34:35], off
.LBB87_4277:
	s_mov_b32 s9, -1
.LBB87_4278:
	s_delay_alu instid0(SALU_CYCLE_1)
	s_and_not1_b32 vcc_lo, exec_lo, s9
	s_cbranch_vccnz .LBB87_4415
; %bb.4279:
	v_mov_b32_e32 v29, 0
	s_and_b32 s59, 0xffff, s49
	s_delay_alu instid0(SALU_CYCLE_1) | instskip(NEXT) | instid1(VALU_DEP_1)
	s_cmp_lt_i32 s59, 11
	v_add_nc_u64_e32 v[28:29], s[18:19], v[28:29]
	s_cbranch_scc1 .LBB87_4286
; %bb.4280:
	s_cmp_gt_i32 s59, 25
	s_mov_b32 s1, 0
	s_cbranch_scc0 .LBB87_4287
; %bb.4281:
	s_cmp_gt_i32 s59, 28
	s_cbranch_scc0 .LBB87_4288
; %bb.4282:
	s_cmp_gt_i32 s59, 43
	;; [unrolled: 3-line block ×3, first 2 shown]
	s_cbranch_scc0 .LBB87_4291
; %bb.4284:
	s_cmp_eq_u32 s59, 46
	s_mov_b32 s24, 0
	s_cbranch_scc0 .LBB87_4293
; %bb.4285:
	global_load_b32 v11, v[28:29], off
	s_mov_b32 s0, 0
	s_mov_b32 s9, -1
	s_wait_loadcnt 0x0
	v_lshlrev_b32_e32 v11, 16, v11
	s_wait_xcnt 0x1
	s_delay_alu instid0(VALU_DEP_1)
	v_cvt_i32_f32_e32 v34, v11
	s_branch .LBB87_4295
.LBB87_4286:
	s_mov_b32 s0, -1
	s_mov_b32 s9, 0
                                        ; implicit-def: $vgpr34
	s_branch .LBB87_4357
.LBB87_4287:
	s_mov_b32 s24, -1
	s_mov_b32 s9, 0
	s_mov_b32 s0, 0
                                        ; implicit-def: $vgpr34
	s_branch .LBB87_4322
.LBB87_4288:
	s_mov_b32 s24, -1
	s_mov_b32 s9, 0
	s_mov_b32 s0, 0
                                        ; implicit-def: $vgpr34
	s_branch .LBB87_4305
.LBB87_4289:
	s_mov_b32 s24, -1
	s_mov_b32 s9, 0
	s_mov_b32 s0, 0
                                        ; implicit-def: $vgpr34
	s_branch .LBB87_4300
.LBB87_4290:
	s_or_b32 s44, s44, exec_lo
	s_trap 2
	s_cbranch_execz .LBB87_4227
	s_branch .LBB87_4228
.LBB87_4291:
	s_mov_b32 s24, -1
	s_mov_b32 s9, 0
	s_mov_b32 s0, 0
	s_branch .LBB87_4294
.LBB87_4292:
	s_or_b32 exec_lo, exec_lo, s19
	s_branch .LBB87_2086
.LBB87_4293:
	s_mov_b32 s0, -1
	s_mov_b32 s9, 0
.LBB87_4294:
                                        ; implicit-def: $vgpr34
.LBB87_4295:
	s_and_b32 vcc_lo, exec_lo, s24
	s_cbranch_vccz .LBB87_4299
; %bb.4296:
	s_cmp_eq_u32 s59, 44
	s_cbranch_scc0 .LBB87_4298
; %bb.4297:
	global_load_u8 v11, v[28:29], off
	s_mov_b32 s0, 0
	s_mov_b32 s9, -1
	s_wait_loadcnt 0x0
	v_lshlrev_b32_e32 v13, 23, v11
	v_cmp_ne_u32_e32 vcc_lo, 0, v11
	s_delay_alu instid0(VALU_DEP_2) | instskip(SKIP_1) | instid1(VALU_DEP_1)
	v_cvt_i32_f32_e32 v13, v13
	s_wait_xcnt 0x1
	v_cndmask_b32_e32 v34, 0, v13, vcc_lo
	s_branch .LBB87_4299
.LBB87_4298:
	s_mov_b32 s0, -1
                                        ; implicit-def: $vgpr34
.LBB87_4299:
	s_mov_b32 s24, 0
.LBB87_4300:
	s_delay_alu instid0(SALU_CYCLE_1)
	s_and_b32 vcc_lo, exec_lo, s24
	s_cbranch_vccz .LBB87_4304
; %bb.4301:
	s_cmp_eq_u32 s59, 29
	s_cbranch_scc0 .LBB87_4303
; %bb.4302:
	global_load_b32 v34, v[28:29], off
	s_mov_b32 s0, 0
	s_mov_b32 s9, -1
	s_branch .LBB87_4304
.LBB87_4303:
	s_mov_b32 s0, -1
                                        ; implicit-def: $vgpr34
.LBB87_4304:
	s_mov_b32 s24, 0
.LBB87_4305:
	s_delay_alu instid0(SALU_CYCLE_1)
	s_and_b32 vcc_lo, exec_lo, s24
	s_cbranch_vccz .LBB87_4321
; %bb.4306:
	s_cmp_lt_i32 s59, 27
	s_cbranch_scc1 .LBB87_4309
; %bb.4307:
	s_cmp_gt_i32 s59, 27
	s_cbranch_scc0 .LBB87_4310
; %bb.4308:
	s_wait_loadcnt 0x0
	global_load_b32 v34, v[28:29], off
	s_mov_b32 s9, 0
	s_branch .LBB87_4311
.LBB87_4309:
	s_mov_b32 s9, -1
                                        ; implicit-def: $vgpr34
	s_branch .LBB87_4314
.LBB87_4310:
	s_mov_b32 s9, -1
                                        ; implicit-def: $vgpr34
.LBB87_4311:
	s_delay_alu instid0(SALU_CYCLE_1)
	s_and_not1_b32 vcc_lo, exec_lo, s9
	s_cbranch_vccnz .LBB87_4313
; %bb.4312:
	s_wait_loadcnt 0x0
	global_load_u16 v34, v[28:29], off
.LBB87_4313:
	s_mov_b32 s9, 0
.LBB87_4314:
	s_delay_alu instid0(SALU_CYCLE_1)
	s_and_not1_b32 vcc_lo, exec_lo, s9
	s_cbranch_vccnz .LBB87_4320
; %bb.4315:
	global_load_u8 v11, v[28:29], off
	s_mov_b32 s24, 0
	s_mov_b32 s9, exec_lo
	s_wait_loadcnt 0x0
	v_cmpx_lt_i16_e32 0x7f, v11
	s_xor_b32 s9, exec_lo, s9
	s_cbranch_execz .LBB87_4332
; %bb.4316:
	v_cmp_ne_u16_e32 vcc_lo, 0x80, v11
	s_and_b32 s24, vcc_lo, exec_lo
	s_and_not1_saveexec_b32 s9, s9
	s_cbranch_execnz .LBB87_4333
.LBB87_4317:
	s_or_b32 exec_lo, exec_lo, s9
	v_mov_b32_e32 v34, 0
	s_and_saveexec_b32 s9, s24
	s_cbranch_execz .LBB87_4319
.LBB87_4318:
	v_and_b32_e32 v13, 0xffff, v11
	s_delay_alu instid0(VALU_DEP_1) | instskip(SKIP_1) | instid1(VALU_DEP_2)
	v_dual_lshlrev_b32 v11, 24, v11 :: v_dual_bitop2_b32 v15, 7, v13 bitop3:0x40
	v_bfe_u32 v21, v13, 3, 4
	v_and_b32_e32 v11, 0x80000000, v11
	s_delay_alu instid0(VALU_DEP_3) | instskip(NEXT) | instid1(VALU_DEP_3)
	v_clz_i32_u32_e32 v17, v15
	v_cmp_eq_u32_e32 vcc_lo, 0, v21
	s_delay_alu instid0(VALU_DEP_2) | instskip(NEXT) | instid1(VALU_DEP_1)
	v_min_u32_e32 v17, 32, v17
	v_subrev_nc_u32_e32 v19, 28, v17
	v_sub_nc_u32_e32 v17, 29, v17
	s_delay_alu instid0(VALU_DEP_2) | instskip(NEXT) | instid1(VALU_DEP_2)
	v_lshlrev_b32_e32 v13, v19, v13
	v_cndmask_b32_e32 v17, v21, v17, vcc_lo
	s_delay_alu instid0(VALU_DEP_2) | instskip(NEXT) | instid1(VALU_DEP_1)
	v_and_b32_e32 v13, 7, v13
	v_cndmask_b32_e32 v13, v15, v13, vcc_lo
	s_delay_alu instid0(VALU_DEP_3) | instskip(NEXT) | instid1(VALU_DEP_2)
	v_lshl_add_u32 v15, v17, 23, 0x3b800000
	v_lshlrev_b32_e32 v13, 20, v13
	s_delay_alu instid0(VALU_DEP_1) | instskip(NEXT) | instid1(VALU_DEP_1)
	v_or3_b32 v11, v11, v15, v13
	v_cvt_i32_f32_e32 v34, v11
.LBB87_4319:
	s_or_b32 exec_lo, exec_lo, s9
.LBB87_4320:
	s_mov_b32 s9, -1
.LBB87_4321:
	s_mov_b32 s24, 0
.LBB87_4322:
	s_delay_alu instid0(SALU_CYCLE_1)
	s_and_b32 vcc_lo, exec_lo, s24
	s_cbranch_vccz .LBB87_4353
; %bb.4323:
	s_cmp_gt_i32 s59, 22
	s_cbranch_scc0 .LBB87_4331
; %bb.4324:
	s_cmp_lt_i32 s59, 24
	s_cbranch_scc1 .LBB87_4334
; %bb.4325:
	s_cmp_gt_i32 s59, 24
	s_cbranch_scc0 .LBB87_4335
; %bb.4326:
	global_load_u8 v11, v[28:29], off
	s_mov_b32 s9, 0
	s_mov_b32 s1, exec_lo
	s_wait_loadcnt 0x0
	v_cmpx_lt_i16_e32 0x7f, v11
	s_xor_b32 s1, exec_lo, s1
	s_cbranch_execz .LBB87_4347
; %bb.4327:
	v_cmp_ne_u16_e32 vcc_lo, 0x80, v11
	s_and_b32 s9, vcc_lo, exec_lo
	s_and_not1_saveexec_b32 s1, s1
	s_cbranch_execnz .LBB87_4348
.LBB87_4328:
	s_or_b32 exec_lo, exec_lo, s1
	v_mov_b32_e32 v34, 0
	s_and_saveexec_b32 s1, s9
	s_cbranch_execz .LBB87_4330
.LBB87_4329:
	v_and_b32_e32 v13, 0xffff, v11
	s_delay_alu instid0(VALU_DEP_1) | instskip(SKIP_1) | instid1(VALU_DEP_2)
	v_dual_lshlrev_b32 v11, 24, v11 :: v_dual_bitop2_b32 v15, 3, v13 bitop3:0x40
	v_bfe_u32 v21, v13, 2, 5
	v_and_b32_e32 v11, 0x80000000, v11
	s_delay_alu instid0(VALU_DEP_3) | instskip(NEXT) | instid1(VALU_DEP_3)
	v_clz_i32_u32_e32 v17, v15
	v_cmp_eq_u32_e32 vcc_lo, 0, v21
	s_delay_alu instid0(VALU_DEP_2) | instskip(NEXT) | instid1(VALU_DEP_1)
	v_min_u32_e32 v17, 32, v17
	v_subrev_nc_u32_e32 v19, 29, v17
	v_sub_nc_u32_e32 v17, 30, v17
	s_delay_alu instid0(VALU_DEP_2) | instskip(NEXT) | instid1(VALU_DEP_2)
	v_lshlrev_b32_e32 v13, v19, v13
	v_cndmask_b32_e32 v17, v21, v17, vcc_lo
	s_delay_alu instid0(VALU_DEP_2) | instskip(NEXT) | instid1(VALU_DEP_1)
	v_and_b32_e32 v13, 3, v13
	v_cndmask_b32_e32 v13, v15, v13, vcc_lo
	s_delay_alu instid0(VALU_DEP_3) | instskip(NEXT) | instid1(VALU_DEP_2)
	v_lshl_add_u32 v15, v17, 23, 0x37800000
	v_lshlrev_b32_e32 v13, 21, v13
	s_delay_alu instid0(VALU_DEP_1) | instskip(NEXT) | instid1(VALU_DEP_1)
	v_or3_b32 v11, v11, v15, v13
	v_cvt_i32_f32_e32 v34, v11
.LBB87_4330:
	s_or_b32 exec_lo, exec_lo, s1
	s_mov_b32 s1, 0
	s_branch .LBB87_4336
.LBB87_4331:
	s_mov_b32 s1, -1
                                        ; implicit-def: $vgpr34
	s_branch .LBB87_4342
.LBB87_4332:
	s_and_not1_saveexec_b32 s9, s9
	s_cbranch_execz .LBB87_4317
.LBB87_4333:
	v_cmp_ne_u16_e32 vcc_lo, 0, v11
	s_and_not1_b32 s24, s24, exec_lo
	s_and_b32 s25, vcc_lo, exec_lo
	s_delay_alu instid0(SALU_CYCLE_1)
	s_or_b32 s24, s24, s25
	s_or_b32 exec_lo, exec_lo, s9
	v_mov_b32_e32 v34, 0
	s_and_saveexec_b32 s9, s24
	s_cbranch_execnz .LBB87_4318
	s_branch .LBB87_4319
.LBB87_4334:
	s_mov_b32 s1, -1
                                        ; implicit-def: $vgpr34
	s_branch .LBB87_4339
.LBB87_4335:
	s_mov_b32 s1, -1
                                        ; implicit-def: $vgpr34
.LBB87_4336:
	s_delay_alu instid0(SALU_CYCLE_1)
	s_and_b32 vcc_lo, exec_lo, s1
	s_cbranch_vccz .LBB87_4338
; %bb.4337:
	global_load_u8 v11, v[28:29], off
	s_wait_loadcnt 0x0
	v_lshlrev_b32_e32 v11, 24, v11
	s_delay_alu instid0(VALU_DEP_1) | instskip(NEXT) | instid1(VALU_DEP_1)
	v_and_b32_e32 v13, 0x7f000000, v11
	v_clz_i32_u32_e32 v15, v13
	v_add_nc_u32_e32 v19, 0x1000000, v13
	v_cmp_ne_u32_e32 vcc_lo, 0, v13
	s_delay_alu instid0(VALU_DEP_3) | instskip(NEXT) | instid1(VALU_DEP_1)
	v_min_u32_e32 v15, 32, v15
	v_sub_nc_u32_e64 v15, v15, 4 clamp
	s_delay_alu instid0(VALU_DEP_1) | instskip(NEXT) | instid1(VALU_DEP_1)
	v_dual_lshlrev_b32 v17, v15, v13 :: v_dual_lshlrev_b32 v15, 23, v15
	v_lshrrev_b32_e32 v17, 4, v17
	s_delay_alu instid0(VALU_DEP_1) | instskip(SKIP_1) | instid1(VALU_DEP_2)
	v_sub_nc_u32_e32 v15, v17, v15
	v_ashrrev_i32_e32 v17, 8, v19
	v_add_nc_u32_e32 v15, 0x3c000000, v15
	s_delay_alu instid0(VALU_DEP_1) | instskip(NEXT) | instid1(VALU_DEP_1)
	v_and_or_b32 v15, 0x7f800000, v17, v15
	v_cndmask_b32_e32 v13, 0, v15, vcc_lo
	s_delay_alu instid0(VALU_DEP_1) | instskip(SKIP_1) | instid1(VALU_DEP_1)
	v_and_or_b32 v11, 0x80000000, v11, v13
	s_wait_xcnt 0x1
	v_cvt_i32_f32_e32 v34, v11
.LBB87_4338:
	s_mov_b32 s1, 0
.LBB87_4339:
	s_delay_alu instid0(SALU_CYCLE_1)
	s_and_not1_b32 vcc_lo, exec_lo, s1
	s_cbranch_vccnz .LBB87_4341
; %bb.4340:
	global_load_u8 v11, v[28:29], off
	s_wait_loadcnt 0x0
	v_lshlrev_b32_e32 v13, 25, v11
	v_lshlrev_b16 v11, 8, v11
	s_delay_alu instid0(VALU_DEP_1) | instskip(SKIP_1) | instid1(VALU_DEP_2)
	v_and_or_b32 v17, 0x7f00, v11, 0.5
	v_bfe_i32 v11, v11, 0, 16
	v_add_f32_e32 v17, -0.5, v17
	v_lshrrev_b32_e32 v15, 4, v13
	v_cmp_gt_u32_e32 vcc_lo, 0x8000000, v13
	s_delay_alu instid0(VALU_DEP_2) | instskip(NEXT) | instid1(VALU_DEP_1)
	v_or_b32_e32 v15, 0x70000000, v15
	v_mul_f32_e32 v15, 0x7800000, v15
	s_delay_alu instid0(VALU_DEP_1) | instskip(NEXT) | instid1(VALU_DEP_1)
	v_cndmask_b32_e32 v13, v15, v17, vcc_lo
	v_and_or_b32 v11, 0x80000000, v11, v13
	s_wait_xcnt 0x1
	s_delay_alu instid0(VALU_DEP_1)
	v_cvt_i32_f32_e32 v34, v11
.LBB87_4341:
	s_mov_b32 s1, 0
	s_mov_b32 s9, -1
.LBB87_4342:
	s_and_not1_b32 vcc_lo, exec_lo, s1
	s_mov_b32 s1, 0
	s_cbranch_vccnz .LBB87_4353
; %bb.4343:
	s_cmp_gt_i32 s59, 14
	s_cbranch_scc0 .LBB87_4346
; %bb.4344:
	s_cmp_eq_u32 s59, 15
	s_cbranch_scc0 .LBB87_4349
; %bb.4345:
	global_load_u16 v11, v[28:29], off
	s_mov_b32 s0, 0
	s_mov_b32 s9, -1
	s_wait_loadcnt 0x0
	v_lshlrev_b32_e32 v11, 16, v11
	s_wait_xcnt 0x1
	s_delay_alu instid0(VALU_DEP_1)
	v_cvt_i32_f32_e32 v34, v11
	s_branch .LBB87_4351
.LBB87_4346:
	s_mov_b32 s1, -1
	s_branch .LBB87_4350
.LBB87_4347:
	s_and_not1_saveexec_b32 s1, s1
	s_cbranch_execz .LBB87_4328
.LBB87_4348:
	v_cmp_ne_u16_e32 vcc_lo, 0, v11
	s_and_not1_b32 s9, s9, exec_lo
	s_and_b32 s24, vcc_lo, exec_lo
	s_delay_alu instid0(SALU_CYCLE_1)
	s_or_b32 s9, s9, s24
	s_or_b32 exec_lo, exec_lo, s1
	v_mov_b32_e32 v34, 0
	s_and_saveexec_b32 s1, s9
	s_cbranch_execnz .LBB87_4329
	s_branch .LBB87_4330
.LBB87_4349:
	s_mov_b32 s0, -1
.LBB87_4350:
                                        ; implicit-def: $vgpr34
.LBB87_4351:
	s_and_b32 vcc_lo, exec_lo, s1
	s_mov_b32 s1, 0
	s_cbranch_vccz .LBB87_4353
; %bb.4352:
	s_cmp_lg_u32 s59, 11
	s_mov_b32 s1, -1
	s_cselect_b32 s0, -1, 0
.LBB87_4353:
	s_delay_alu instid0(SALU_CYCLE_1)
	s_and_b32 vcc_lo, exec_lo, s0
	s_cbranch_vccnz .LBB87_4441
; %bb.4354:
	s_and_not1_b32 vcc_lo, exec_lo, s1
	s_cbranch_vccnz .LBB87_4356
.LBB87_4355:
	global_load_u8 v11, v[28:29], off
	s_mov_b32 s9, -1
	s_wait_loadcnt 0x0
	v_cmp_ne_u16_e32 vcc_lo, 0, v11
	s_wait_xcnt 0x1
	v_cndmask_b32_e64 v34, 0, 1, vcc_lo
.LBB87_4356:
	s_mov_b32 s0, 0
.LBB87_4357:
	s_delay_alu instid0(SALU_CYCLE_1)
	s_and_b32 vcc_lo, exec_lo, s0
	s_cbranch_vccz .LBB87_4406
; %bb.4358:
	s_cmp_lt_i32 s59, 5
	s_cbranch_scc1 .LBB87_4363
; %bb.4359:
	s_cmp_lt_i32 s59, 8
	s_cbranch_scc1 .LBB87_4364
	;; [unrolled: 3-line block ×3, first 2 shown]
; %bb.4361:
	s_cmp_gt_i32 s59, 9
	s_cbranch_scc0 .LBB87_4366
; %bb.4362:
	s_wait_loadcnt 0x0
	global_load_b64 v[34:35], v[28:29], off
	s_mov_b32 s0, 0
	s_wait_loadcnt 0x0
	v_cvt_i32_f64_e32 v34, v[34:35]
	s_branch .LBB87_4367
.LBB87_4363:
	s_mov_b32 s0, -1
                                        ; implicit-def: $vgpr34
	s_branch .LBB87_4385
.LBB87_4364:
	s_mov_b32 s0, -1
                                        ; implicit-def: $vgpr34
	s_branch .LBB87_4373
.LBB87_4365:
	s_mov_b32 s0, -1
                                        ; implicit-def: $vgpr34
	s_branch .LBB87_4370
.LBB87_4366:
	s_mov_b32 s0, -1
                                        ; implicit-def: $vgpr34
.LBB87_4367:
	s_delay_alu instid0(SALU_CYCLE_1)
	s_and_not1_b32 vcc_lo, exec_lo, s0
	s_cbranch_vccnz .LBB87_4369
; %bb.4368:
	global_load_b32 v11, v[28:29], off
	s_wait_loadcnt 0x0
	s_wait_xcnt 0x1
	v_cvt_i32_f32_e32 v34, v11
.LBB87_4369:
	s_mov_b32 s0, 0
.LBB87_4370:
	s_delay_alu instid0(SALU_CYCLE_1)
	s_and_not1_b32 vcc_lo, exec_lo, s0
	s_cbranch_vccnz .LBB87_4372
; %bb.4371:
	global_load_b32 v11, v[28:29], off
	s_wait_loadcnt 0x0
	v_cvt_f32_f16_e32 v11, v11
	s_wait_xcnt 0x1
	s_delay_alu instid0(VALU_DEP_1)
	v_cvt_i32_f32_e32 v34, v11
.LBB87_4372:
	s_mov_b32 s0, 0
.LBB87_4373:
	s_delay_alu instid0(SALU_CYCLE_1)
	s_and_not1_b32 vcc_lo, exec_lo, s0
	s_cbranch_vccnz .LBB87_4384
; %bb.4374:
	s_cmp_lt_i32 s59, 6
	s_cbranch_scc1 .LBB87_4377
; %bb.4375:
	s_cmp_gt_i32 s59, 6
	s_cbranch_scc0 .LBB87_4378
; %bb.4376:
	s_wait_loadcnt 0x0
	global_load_b64 v[34:35], v[28:29], off
	s_mov_b32 s0, 0
	s_wait_loadcnt 0x0
	v_cvt_i32_f64_e32 v34, v[34:35]
	s_branch .LBB87_4379
.LBB87_4377:
	s_mov_b32 s0, -1
                                        ; implicit-def: $vgpr34
	s_branch .LBB87_4382
.LBB87_4378:
	s_mov_b32 s0, -1
                                        ; implicit-def: $vgpr34
.LBB87_4379:
	s_delay_alu instid0(SALU_CYCLE_1)
	s_and_not1_b32 vcc_lo, exec_lo, s0
	s_cbranch_vccnz .LBB87_4381
; %bb.4380:
	global_load_b32 v11, v[28:29], off
	s_wait_loadcnt 0x0
	s_wait_xcnt 0x1
	v_cvt_i32_f32_e32 v34, v11
.LBB87_4381:
	s_mov_b32 s0, 0
.LBB87_4382:
	s_delay_alu instid0(SALU_CYCLE_1)
	s_and_not1_b32 vcc_lo, exec_lo, s0
	s_cbranch_vccnz .LBB87_4384
; %bb.4383:
	global_load_u16 v11, v[28:29], off
	s_wait_loadcnt 0x0
	v_cvt_f32_f16_e32 v11, v11
	s_wait_xcnt 0x1
	s_delay_alu instid0(VALU_DEP_1)
	v_cvt_i32_f32_e32 v34, v11
.LBB87_4384:
	s_mov_b32 s0, 0
.LBB87_4385:
	s_delay_alu instid0(SALU_CYCLE_1)
	s_and_not1_b32 vcc_lo, exec_lo, s0
	s_cbranch_vccnz .LBB87_4405
; %bb.4386:
	s_cmp_lt_i32 s59, 2
	s_cbranch_scc1 .LBB87_4390
; %bb.4387:
	s_cmp_lt_i32 s59, 3
	s_cbranch_scc1 .LBB87_4391
; %bb.4388:
	s_cmp_gt_i32 s59, 3
	s_cbranch_scc0 .LBB87_4392
; %bb.4389:
	s_wait_loadcnt 0x0
	global_load_b32 v34, v[28:29], off
	s_mov_b32 s0, 0
	s_branch .LBB87_4393
.LBB87_4390:
	s_mov_b32 s0, -1
                                        ; implicit-def: $vgpr34
	s_branch .LBB87_4399
.LBB87_4391:
	s_mov_b32 s0, -1
                                        ; implicit-def: $vgpr34
	s_branch .LBB87_4396
.LBB87_4392:
	s_mov_b32 s0, -1
                                        ; implicit-def: $vgpr34
.LBB87_4393:
	s_delay_alu instid0(SALU_CYCLE_1)
	s_and_not1_b32 vcc_lo, exec_lo, s0
	s_cbranch_vccnz .LBB87_4395
; %bb.4394:
	s_wait_loadcnt 0x0
	global_load_b32 v34, v[28:29], off
.LBB87_4395:
	s_mov_b32 s0, 0
.LBB87_4396:
	s_delay_alu instid0(SALU_CYCLE_1)
	s_and_not1_b32 vcc_lo, exec_lo, s0
	s_cbranch_vccnz .LBB87_4398
; %bb.4397:
	s_wait_loadcnt 0x0
	global_load_i16 v34, v[28:29], off
.LBB87_4398:
	s_mov_b32 s0, 0
.LBB87_4399:
	s_delay_alu instid0(SALU_CYCLE_1)
	s_and_not1_b32 vcc_lo, exec_lo, s0
	s_cbranch_vccnz .LBB87_4405
; %bb.4400:
	s_cmp_gt_i32 s59, 0
	s_mov_b32 s0, 0
	s_cbranch_scc0 .LBB87_4402
; %bb.4401:
	s_wait_loadcnt 0x0
	global_load_i8 v34, v[28:29], off
	s_branch .LBB87_4403
.LBB87_4402:
	s_mov_b32 s0, -1
                                        ; implicit-def: $vgpr34
.LBB87_4403:
	s_delay_alu instid0(SALU_CYCLE_1)
	s_and_not1_b32 vcc_lo, exec_lo, s0
	s_cbranch_vccnz .LBB87_4405
; %bb.4404:
	s_wait_loadcnt 0x0
	global_load_u8 v34, v[28:29], off
.LBB87_4405:
	s_mov_b32 s9, -1
.LBB87_4406:
	s_delay_alu instid0(SALU_CYCLE_1)
	s_and_not1_b32 vcc_lo, exec_lo, s9
	s_cbranch_vccnz .LBB87_4415
; %bb.4407:
	s_mov_b32 s0, exec_lo
	s_wait_loadcnt 0x0
	v_cmpx_ne_u32_e64 v7, v1
	s_xor_b32 s0, exec_lo, s0
	s_cbranch_execnz .LBB87_4575
.LBB87_4408:
	s_or_saveexec_b32 s47, s0
	s_mov_b32 s1, 0
	s_mov_b32 s9, 0
                                        ; implicit-def: $vgpr38_vgpr39
                                        ; implicit-def: $sgpr0
	s_xor_b32 exec_lo, exec_lo, s47
	s_cbranch_execz .LBB87_5086
; %bb.4409:
	s_mov_b32 s48, s44
	s_mov_b32 s0, exec_lo
	v_cmpx_ne_u32_e64 v9, v3
	s_xor_b32 s0, exec_lo, s0
	s_cbranch_execnz .LBB87_4703
; %bb.4410:
	s_or_saveexec_b32 s49, s0
                                        ; implicit-def: $vgpr38_vgpr39
                                        ; implicit-def: $sgpr0
	s_delay_alu instid0(SALU_CYCLE_1)
	s_xor_b32 exec_lo, exec_lo, s49
	s_cbranch_execz .LBB87_5085
.LBB87_4411:
	v_sub_nc_u32_e32 v7, v30, v32
	s_mov_b32 s50, s48
	s_delay_alu instid0(VALU_DEP_1) | instskip(SKIP_2) | instid1(SALU_CYCLE_1)
	v_cmp_gt_i32_e32 vcc_lo, v1, v7
	v_cmp_lt_i32_e64 s0, s20, v7
	s_or_b32 s0, vcc_lo, s0
	s_and_saveexec_b32 s1, s0
	s_delay_alu instid0(SALU_CYCLE_1)
	s_xor_b32 s0, exec_lo, s1
	s_cbranch_execnz .LBB87_4831
; %bb.4412:
	s_or_saveexec_b32 s51, s0
	s_mov_b32 s1, 0
                                        ; implicit-def: $vgpr38_vgpr39
                                        ; implicit-def: $sgpr0
	s_xor_b32 exec_lo, exec_lo, s51
	s_cbranch_execz .LBB87_5084
.LBB87_4413:
	v_cmp_ne_u32_e32 vcc_lo, 1, v5
	v_mov_b64_e32 v[28:29], 0
	s_cbranch_vccnz .LBB87_4426
; %bb.4414:
	v_ashrrev_i32_e32 v35, 31, v34
	s_mov_b32 s9, s1
	v_mov_b64_e32 v[28:29], 0
	s_lshl_b64 s[26:27], s[8:9], 3
	s_mov_b64 s[24:25], 0xffffffff
	v_mul_u64_e32 v[36:37], s[10:11], v[34:35]
	v_mov_b32_e32 v34, 0
	s_add_nc_u64 s[26:27], s[2:3], s[26:27]
	s_mov_b32 s9, s45
	s_add_nc_u64 s[26:27], s[26:27], 0x298
	s_branch .LBB87_4422
.LBB87_4415:
	s_mov_b32 s1, 0
	s_mov_b32 s9, 0
                                        ; implicit-def: $vgpr38_vgpr39
                                        ; implicit-def: $sgpr0
.LBB87_4416:
	s_wait_xcnt 0x0
	s_and_not1_b32 s2, s42, exec_lo
	s_and_b32 s3, s44, exec_lo
	s_and_b32 s9, s9, exec_lo
	;; [unrolled: 1-line block ×3, first 2 shown]
	s_or_b32 s42, s2, s3
.LBB87_4417:
	s_or_b32 exec_lo, exec_lo, s43
	s_wait_xcnt 0x0
	s_and_not1_b32 s2, s21, exec_lo
	s_and_b32 s3, s42, exec_lo
	s_and_b32 s8, s9, exec_lo
	;; [unrolled: 1-line block ×3, first 2 shown]
	s_or_b32 s21, s2, s3
.LBB87_4418:
	s_or_b32 exec_lo, exec_lo, s41
	s_delay_alu instid0(SALU_CYCLE_1)
	s_and_not1_b32 s2, s39, exec_lo
	s_and_b32 s3, s21, exec_lo
	s_and_b32 s8, s8, exec_lo
	;; [unrolled: 1-line block ×3, first 2 shown]
	s_or_b32 s39, s2, s3
.LBB87_4419:
	s_or_b32 exec_lo, exec_lo, s40
	s_delay_alu instid0(SALU_CYCLE_1)
	s_and_not1_b32 s2, s33, exec_lo
	s_and_b32 s3, s39, exec_lo
	s_and_b32 s8, s8, exec_lo
	;; [unrolled: 1-line block ×3, first 2 shown]
	s_or_b32 s33, s2, s3
.LBB87_4420:
	s_or_b32 exec_lo, exec_lo, s38
	s_branch .LBB87_3532
.LBB87_4421:                            ;   in Loop: Header=BB87_4422 Depth=1
	s_or_b32 exec_lo, exec_lo, s0
	s_delay_alu instid0(VALU_DEP_1)
	v_mul_u64_e32 v[40:41], s[28:29], v[38:39]
	s_load_b64 s[28:29], s[26:27], 0x40
	s_add_co_i32 s9, s9, -1
	s_wait_xcnt 0x0
	s_add_nc_u64 s[26:27], s[26:27], -8
	s_cmp_eq_u32 s9, 0
	s_delay_alu instid0(VALU_DEP_1) | instskip(SKIP_1) | instid1(VALU_DEP_1)
	v_sub_nc_u64_e32 v[36:37], v[36:37], v[40:41]
	s_wait_kmcnt 0x0
	v_mad_nc_u64_u32 v[28:29], v36, s28, v[28:29]
	s_delay_alu instid0(VALU_DEP_1) | instskip(NEXT) | instid1(VALU_DEP_1)
	v_mad_u32 v7, v37, s28, v29
	v_mad_u32 v29, v36, s29, v7
	v_mov_b64_e32 v[36:37], v[38:39]
	s_cbranch_scc1 .LBB87_4426
.LBB87_4422:                            ; =>This Inner Loop Header: Depth=1
	s_load_b64 s[28:29], s[26:27], 0x0
                                        ; implicit-def: $vgpr38_vgpr39
	s_mov_b32 s0, exec_lo
	s_wait_kmcnt 0x0
	s_delay_alu instid0(VALU_DEP_1) | instskip(NEXT) | instid1(VALU_DEP_1)
	v_or_b32_e32 v35, s29, v37
	v_cmpx_ne_u64_e32 0, v[34:35]
	s_xor_b32 s52, exec_lo, s0
	s_cbranch_execz .LBB87_4424
; %bb.4423:                             ;   in Loop: Header=BB87_4422 Depth=1
	s_ashr_i32 s30, s29, 31
	v_dual_mov_b32 v43, v34 :: v_dual_ashrrev_i32 v38, 31, v37
	s_mov_b32 s31, s30
	v_mov_b32_e32 v51, v34
	s_add_nc_u64 s[34:35], s[28:29], s[30:31]
	s_delay_alu instid0(VALU_DEP_2) | instskip(SKIP_1) | instid1(SALU_CYCLE_1)
	v_mov_b32_e32 v39, v38
	s_xor_b64 s[34:35], s[34:35], s[30:31]
	s_cvt_f32_u32 s0, s34
	s_cvt_f32_u32 s31, s35
	s_sub_nc_u64 s[62:63], 0, s[34:35]
	v_add_nc_u64_e32 v[40:41], v[36:37], v[38:39]
	v_mov_b32_e32 v47, v34
	s_fmamk_f32 s0, s31, 0x4f800000, s0
	s_delay_alu instid0(SALU_CYCLE_3) | instskip(NEXT) | instid1(VALU_DEP_2)
	v_s_rcp_f32 s0, s0
	v_xor_b32_e32 v42, v40, v38
	s_delay_alu instid0(VALU_DEP_3) | instskip(SKIP_1) | instid1(TRANS32_DEP_1)
	v_xor_b32_e32 v46, v41, v38
	v_xor_b32_e32 v38, s30, v38
	s_mul_f32 s0, s0, 0x5f7ffffc
	s_delay_alu instid0(VALU_DEP_1) | instskip(NEXT) | instid1(SALU_CYCLE_2)
	v_mov_b32_e32 v39, v38
	s_mul_f32 s31, s0, 0x2f800000
	s_delay_alu instid0(SALU_CYCLE_3) | instskip(NEXT) | instid1(SALU_CYCLE_3)
	s_trunc_f32 s31, s31
	s_fmamk_f32 s0, s31, 0xcf800000, s0
	s_cvt_u32_f32 s61, s31
	s_delay_alu instid0(SALU_CYCLE_2) | instskip(NEXT) | instid1(SALU_CYCLE_3)
	s_cvt_u32_f32 s60, s0
	s_mul_u64 s[64:65], s[62:63], s[60:61]
	s_delay_alu instid0(SALU_CYCLE_1)
	s_mul_hi_u32 s67, s60, s65
	s_mul_i32 s66, s60, s65
	s_mul_hi_u32 s0, s60, s64
	s_mul_i32 s53, s61, s64
	s_add_nc_u64 s[66:67], s[0:1], s[66:67]
	s_mul_hi_u32 s31, s61, s64
	s_mul_hi_u32 s54, s61, s65
	s_add_co_u32 s0, s66, s53
	s_add_co_ci_u32 s0, s67, s31
	s_mul_i32 s64, s61, s65
	s_add_co_ci_u32 s65, s54, 0
	s_delay_alu instid0(SALU_CYCLE_1) | instskip(NEXT) | instid1(SALU_CYCLE_1)
	s_add_nc_u64 s[64:65], s[0:1], s[64:65]
	s_add_co_u32 s60, s60, s64
	s_cselect_b32 s0, -1, 0
	s_delay_alu instid0(SALU_CYCLE_1) | instskip(SKIP_1) | instid1(SALU_CYCLE_1)
	s_cmp_lg_u32 s0, 0
	s_add_co_ci_u32 s61, s61, s65
	s_mul_u64 s[62:63], s[62:63], s[60:61]
	s_delay_alu instid0(SALU_CYCLE_1)
	s_mul_hi_u32 s65, s60, s63
	s_mul_i32 s64, s60, s63
	s_mul_hi_u32 s0, s60, s62
	s_mul_i32 s53, s61, s62
	s_add_nc_u64 s[64:65], s[0:1], s[64:65]
	s_mul_hi_u32 s31, s61, s62
	s_mul_hi_u32 s54, s61, s63
	s_add_co_u32 s0, s64, s53
	s_add_co_ci_u32 s0, s65, s31
	s_mul_i32 s62, s61, s63
	s_add_co_ci_u32 s63, s54, 0
	s_delay_alu instid0(SALU_CYCLE_1) | instskip(NEXT) | instid1(SALU_CYCLE_1)
	s_add_nc_u64 s[62:63], s[0:1], s[62:63]
	s_add_co_u32 s54, s60, s62
	s_cselect_b32 s0, -1, 0
	v_mul_hi_u32 v50, v42, s54
	s_cmp_lg_u32 s0, 0
	s_add_co_ci_u32 s0, s61, s63
	s_and_b64 s[60:61], s[54:55], s[24:25]
	v_mul_u64_e32 v[44:45], s[0:1], v[42:43]
	v_mul_u64_e32 v[40:41], s[60:61], v[46:47]
	;; [unrolled: 1-line block ×3, first 2 shown]
	s_delay_alu instid0(VALU_DEP_3) | instskip(NEXT) | instid1(VALU_DEP_1)
	v_add_nc_u64_e32 v[44:45], v[50:51], v[44:45]
	v_add_co_u32 v7, vcc_lo, v44, v40
	s_delay_alu instid0(VALU_DEP_2) | instskip(NEXT) | instid1(VALU_DEP_4)
	v_add_co_ci_u32_e32 v50, vcc_lo, v45, v41, vcc_lo
	v_add_co_ci_u32_e32 v49, vcc_lo, 0, v49, vcc_lo
	s_delay_alu instid0(VALU_DEP_1) | instskip(NEXT) | instid1(VALU_DEP_1)
	v_add_nc_u64_e32 v[40:41], v[50:51], v[48:49]
	v_mul_u64_e32 v[44:45], s[34:35], v[40:41]
	s_delay_alu instid0(VALU_DEP_1) | instskip(SKIP_1) | instid1(VALU_DEP_3)
	v_sub_co_u32 v9, vcc_lo, v42, v44
	v_add_nc_u64_e32 v[42:43], 2, v[40:41]
	v_sub_nc_u32_e32 v7, v46, v45
	v_sub_co_ci_u32_e64 v13, null, v46, v45, vcc_lo
	s_delay_alu instid0(VALU_DEP_4) | instskip(NEXT) | instid1(VALU_DEP_3)
	v_sub_co_u32 v11, s0, v9, s34
	v_subrev_co_ci_u32_e64 v7, null, s35, v7, vcc_lo
	v_add_nc_u64_e32 v[44:45], 1, v[40:41]
	s_delay_alu instid0(VALU_DEP_3) | instskip(NEXT) | instid1(VALU_DEP_3)
	v_cmp_le_u32_e32 vcc_lo, s34, v11
	v_subrev_co_ci_u32_e64 v7, null, 0, v7, s0
	v_cndmask_b32_e64 v11, 0, -1, vcc_lo
	s_delay_alu instid0(VALU_DEP_2)
	v_cmp_le_u32_e32 vcc_lo, s35, v7
	v_cndmask_b32_e64 v15, 0, -1, vcc_lo
	v_cmp_le_u32_e32 vcc_lo, s34, v9
	v_cndmask_b32_e64 v9, 0, -1, vcc_lo
	;; [unrolled: 2-line block ×3, first 2 shown]
	v_cmp_eq_u32_e32 vcc_lo, s35, v7
	v_cndmask_b32_e32 v7, v15, v11, vcc_lo
	v_cmp_eq_u32_e32 vcc_lo, s35, v13
	s_delay_alu instid0(VALU_DEP_4) | instskip(NEXT) | instid1(VALU_DEP_3)
	v_cndmask_b32_e32 v9, v17, v9, vcc_lo
	v_cmp_ne_u32_e32 vcc_lo, 0, v7
	s_delay_alu instid0(VALU_DEP_2) | instskip(SKIP_1) | instid1(VALU_DEP_1)
	v_cmp_ne_u32_e64 s0, 0, v9
	v_dual_cndmask_b32 v9, v44, v42, vcc_lo :: v_dual_cndmask_b32 v7, v45, v43, vcc_lo
	v_dual_cndmask_b32 v9, v40, v9, s0 :: v_dual_cndmask_b32 v7, v41, v7, s0
	s_delay_alu instid0(VALU_DEP_1) | instskip(NEXT) | instid1(VALU_DEP_2)
	v_xor_b32_e32 v40, v9, v38
	v_xor_b32_e32 v41, v7, v38
	s_delay_alu instid0(VALU_DEP_1)
	v_sub_nc_u64_e32 v[38:39], v[40:41], v[38:39]
.LBB87_4424:                            ;   in Loop: Header=BB87_4422 Depth=1
	s_and_not1_saveexec_b32 s0, s52
	s_cbranch_execz .LBB87_4421
; %bb.4425:                             ;   in Loop: Header=BB87_4422 Depth=1
	v_cvt_f32_u32_e32 v7, s28
	s_sub_co_i32 s30, 0, s28
	v_mov_b32_e32 v39, v34
	s_delay_alu instid0(VALU_DEP_2) | instskip(SKIP_1) | instid1(TRANS32_DEP_1)
	v_rcp_iflag_f32_e32 v7, v7
	v_nop
	v_mul_f32_e32 v7, 0x4f7ffffe, v7
	s_delay_alu instid0(VALU_DEP_1) | instskip(NEXT) | instid1(VALU_DEP_1)
	v_cvt_u32_f32_e32 v7, v7
	v_mul_lo_u32 v9, s30, v7
	s_delay_alu instid0(VALU_DEP_1) | instskip(NEXT) | instid1(VALU_DEP_1)
	v_mul_hi_u32 v9, v7, v9
	v_add_nc_u32_e32 v7, v7, v9
	s_delay_alu instid0(VALU_DEP_1) | instskip(NEXT) | instid1(VALU_DEP_1)
	v_mul_hi_u32 v7, v36, v7
	v_mul_lo_u32 v9, v7, s28
	s_delay_alu instid0(VALU_DEP_1) | instskip(NEXT) | instid1(VALU_DEP_1)
	v_sub_nc_u32_e32 v9, v36, v9
	v_subrev_nc_u32_e32 v13, s28, v9
	v_cmp_le_u32_e32 vcc_lo, s28, v9
	s_delay_alu instid0(VALU_DEP_2) | instskip(NEXT) | instid1(VALU_DEP_1)
	v_dual_add_nc_u32 v11, 1, v7 :: v_dual_cndmask_b32 v9, v9, v13, vcc_lo
	v_cndmask_b32_e32 v7, v7, v11, vcc_lo
	s_delay_alu instid0(VALU_DEP_2) | instskip(NEXT) | instid1(VALU_DEP_2)
	v_cmp_le_u32_e32 vcc_lo, s28, v9
	v_add_nc_u32_e32 v11, 1, v7
	s_delay_alu instid0(VALU_DEP_1)
	v_cndmask_b32_e32 v38, v7, v11, vcc_lo
	s_branch .LBB87_4421
.LBB87_4426:
	s_mov_b32 s24, -1
	s_mov_b32 s52, s50
	s_mov_b32 s0, exec_lo
	v_cmpx_gt_i32_e64 v30, v32
	s_cbranch_execz .LBB87_4433
; %bb.4427:
	s_delay_alu instid0(VALU_DEP_2) | instskip(SKIP_3) | instid1(VALU_DEP_1)
	v_lshlrev_b64_e32 v[28:29], 2, v[28:29]
	v_dual_ashrrev_i32 v33, 31, v32 :: v_dual_ashrrev_i32 v31, 31, v30
	s_mov_b32 s9, 0
	s_xor_b32 s24, s46, -1
                                        ; implicit-def: $sgpr1
                                        ; implicit-def: $sgpr26
                                        ; implicit-def: $sgpr25
	v_lshl_add_u64 v[32:33], v[32:33], 2, v[28:29]
	s_wait_kmcnt 0x0
	v_add_nc_u64_e32 v[34:35], s[22:23], v[28:29]
	s_delay_alu instid0(VALU_DEP_2) | instskip(NEXT) | instid1(VALU_DEP_2)
	v_add_nc_u64_e32 v[32:33], s[22:23], v[32:33]
	v_lshl_add_u64 v[30:31], v[30:31], 2, v[34:35]
	s_delay_alu instid0(VALU_DEP_2)
	v_add_nc_u64_e32 v[28:29], 4, v[32:33]
	s_branch .LBB87_4429
.LBB87_4428:                            ;   in Loop: Header=BB87_4429 Depth=1
	s_or_b32 exec_lo, exec_lo, s27
	s_xor_b32 s27, s25, -1
	s_and_b32 s28, exec_lo, s26
	s_delay_alu instid0(SALU_CYCLE_1) | instskip(SKIP_2) | instid1(SALU_CYCLE_1)
	s_or_b32 s9, s28, s9
	s_and_not1_b32 s1, s1, exec_lo
	s_and_b32 s27, s27, exec_lo
	s_or_b32 s1, s1, s27
	s_and_not1_b32 exec_lo, exec_lo, s9
	s_cbranch_execz .LBB87_4431
.LBB87_4429:                            ; =>This Inner Loop Header: Depth=1
	s_or_b32 s25, s25, exec_lo
	s_or_b32 s26, s26, exec_lo
	s_mov_b32 s27, exec_lo
	s_delay_alu instid0(VALU_DEP_1)
	v_cmpx_lt_u64_e64 v[28:29], v[30:31]
	s_cbranch_execz .LBB87_4428
; %bb.4430:                             ;   in Loop: Header=BB87_4429 Depth=1
	global_load_b64 v[32:33], v[28:29], off offset:-4
	s_wait_xcnt 0x0
	v_add_nc_u64_e32 v[28:29], 4, v[28:29]
	s_and_not1_b32 s26, s26, exec_lo
	s_and_not1_b32 s25, s25, exec_lo
	s_wait_loadcnt 0x0
	v_cmp_ge_i32_e32 vcc_lo, v32, v33
	s_or_b32 s28, s24, vcc_lo
	s_delay_alu instid0(SALU_CYCLE_1) | instskip(NEXT) | instid1(SALU_CYCLE_1)
	s_and_b32 s28, s28, exec_lo
	s_or_b32 s26, s26, s28
	s_branch .LBB87_4428
.LBB87_4431:
	s_or_b32 exec_lo, exec_lo, s9
	s_mov_b32 s9, -1
	s_mov_b32 s24, s50
	s_and_saveexec_b32 s25, s1
	s_delay_alu instid0(SALU_CYCLE_1)
	s_xor_b32 s1, exec_lo, s25
	s_cbranch_execnz .LBB87_4446
.LBB87_4432:
	s_or_b32 exec_lo, exec_lo, s1
	s_delay_alu instid0(SALU_CYCLE_1) | instskip(SKIP_1) | instid1(SALU_CYCLE_1)
	s_and_not1_b32 s1, s50, exec_lo
	s_and_b32 s24, s24, exec_lo
	s_or_b32 s52, s1, s24
	s_or_not1_b32 s24, s9, exec_lo
.LBB87_4433:
	s_or_b32 exec_lo, exec_lo, s0
	s_mov_b32 s1, 0
	s_mov_b32 s9, 0
                                        ; implicit-def: $vgpr38_vgpr39
                                        ; implicit-def: $sgpr0
	s_and_saveexec_b32 s53, s24
	s_cbranch_execz .LBB87_5083
; %bb.4434:
	v_mov_b32_e32 v27, 0
	s_cmp_lt_i32 s55, 11
	s_delay_alu instid0(VALU_DEP_1)
	v_add_nc_u64_e32 v[26:27], s[6:7], v[26:27]
	s_cbranch_scc1 .LBB87_4442
; %bb.4435:
	s_cmp_gt_i32 s55, 25
	s_cbranch_scc0 .LBB87_4443
; %bb.4436:
	s_cmp_gt_i32 s55, 28
	s_cbranch_scc0 .LBB87_4444
	;; [unrolled: 3-line block ×4, first 2 shown]
; %bb.4439:
	s_cmp_eq_u32 s55, 46
	s_mov_b32 s24, 0
	s_cbranch_scc0 .LBB87_4448
; %bb.4440:
	global_load_b32 v7, v[26:27], off
	s_mov_b32 s0, 0
	s_mov_b32 s9, -1
	s_wait_loadcnt 0x0
	v_lshlrev_b32_e32 v7, 16, v7
	s_delay_alu instid0(VALU_DEP_1)
	v_cvt_i32_f32_e32 v7, v7
	s_branch .LBB87_4450
.LBB87_4441:
	s_or_b32 s44, s44, exec_lo
	s_trap 2
	s_cbranch_execz .LBB87_4355
	s_branch .LBB87_4356
.LBB87_4442:
	s_mov_b32 s0, -1
	s_mov_b32 s54, s52
                                        ; implicit-def: $vgpr7
	s_branch .LBB87_4512
.LBB87_4443:
	s_mov_b32 s24, -1
	s_mov_b32 s0, 0
                                        ; implicit-def: $vgpr7
	s_branch .LBB87_4477
.LBB87_4444:
	s_mov_b32 s24, -1
	s_mov_b32 s0, 0
                                        ; implicit-def: $vgpr7
	s_branch .LBB87_4460
.LBB87_4445:
	s_mov_b32 s24, -1
	s_mov_b32 s0, 0
                                        ; implicit-def: $vgpr7
	s_branch .LBB87_4455
.LBB87_4446:
	s_or_b32 s24, s50, exec_lo
	s_xor_b32 s9, exec_lo, -1
	s_trap 2
	s_branch .LBB87_4432
.LBB87_4447:
	s_mov_b32 s24, -1
	s_mov_b32 s0, 0
	s_branch .LBB87_4449
.LBB87_4448:
	s_mov_b32 s0, -1
.LBB87_4449:
                                        ; implicit-def: $vgpr7
.LBB87_4450:
	s_and_b32 vcc_lo, exec_lo, s24
	s_cbranch_vccz .LBB87_4454
; %bb.4451:
	s_cmp_eq_u32 s55, 44
	s_cbranch_scc0 .LBB87_4453
; %bb.4452:
	global_load_u8 v7, v[26:27], off
	s_mov_b32 s0, 0
	s_mov_b32 s9, -1
	s_wait_loadcnt 0x0
	v_lshlrev_b32_e32 v9, 23, v7
	v_cmp_ne_u32_e32 vcc_lo, 0, v7
	s_delay_alu instid0(VALU_DEP_2) | instskip(NEXT) | instid1(VALU_DEP_1)
	v_cvt_i32_f32_e32 v9, v9
	v_cndmask_b32_e32 v7, 0, v9, vcc_lo
	s_branch .LBB87_4454
.LBB87_4453:
	s_mov_b32 s0, -1
                                        ; implicit-def: $vgpr7
.LBB87_4454:
	s_mov_b32 s24, 0
.LBB87_4455:
	s_delay_alu instid0(SALU_CYCLE_1)
	s_and_b32 vcc_lo, exec_lo, s24
	s_cbranch_vccz .LBB87_4459
; %bb.4456:
	s_cmp_eq_u32 s55, 29
	s_cbranch_scc0 .LBB87_4458
; %bb.4457:
	global_load_b32 v7, v[26:27], off
	s_mov_b32 s0, 0
	s_mov_b32 s9, -1
	s_branch .LBB87_4459
.LBB87_4458:
	s_mov_b32 s0, -1
                                        ; implicit-def: $vgpr7
.LBB87_4459:
	s_mov_b32 s24, 0
.LBB87_4460:
	s_delay_alu instid0(SALU_CYCLE_1)
	s_and_b32 vcc_lo, exec_lo, s24
	s_cbranch_vccz .LBB87_4476
; %bb.4461:
	s_cmp_lt_i32 s55, 27
	s_cbranch_scc1 .LBB87_4464
; %bb.4462:
	s_cmp_gt_i32 s55, 27
	s_cbranch_scc0 .LBB87_4465
; %bb.4463:
	s_wait_loadcnt 0x0
	global_load_b32 v7, v[26:27], off
	s_mov_b32 s9, 0
	s_branch .LBB87_4466
.LBB87_4464:
	s_mov_b32 s9, -1
                                        ; implicit-def: $vgpr7
	s_branch .LBB87_4469
.LBB87_4465:
	s_mov_b32 s9, -1
                                        ; implicit-def: $vgpr7
.LBB87_4466:
	s_delay_alu instid0(SALU_CYCLE_1)
	s_and_not1_b32 vcc_lo, exec_lo, s9
	s_cbranch_vccnz .LBB87_4468
; %bb.4467:
	s_wait_loadcnt 0x0
	global_load_u16 v7, v[26:27], off
.LBB87_4468:
	s_mov_b32 s9, 0
.LBB87_4469:
	s_delay_alu instid0(SALU_CYCLE_1)
	s_and_not1_b32 vcc_lo, exec_lo, s9
	s_cbranch_vccnz .LBB87_4475
; %bb.4470:
	global_load_u8 v9, v[26:27], off
	s_mov_b32 s24, 0
	s_mov_b32 s9, exec_lo
	s_wait_loadcnt 0x0
	v_cmpx_lt_i16_e32 0x7f, v9
	s_xor_b32 s9, exec_lo, s9
	s_cbranch_execz .LBB87_4487
; %bb.4471:
	v_cmp_ne_u16_e32 vcc_lo, 0x80, v9
	s_and_b32 s24, vcc_lo, exec_lo
	s_and_not1_saveexec_b32 s9, s9
	s_cbranch_execnz .LBB87_4488
.LBB87_4472:
	s_or_b32 exec_lo, exec_lo, s9
	v_mov_b32_e32 v7, 0
	s_and_saveexec_b32 s9, s24
	s_cbranch_execz .LBB87_4474
.LBB87_4473:
	v_and_b32_e32 v7, 0xffff, v9
	s_delay_alu instid0(VALU_DEP_1) | instskip(SKIP_1) | instid1(VALU_DEP_2)
	v_and_b32_e32 v11, 7, v7
	v_bfe_u32 v17, v7, 3, 4
	v_clz_i32_u32_e32 v13, v11
	s_delay_alu instid0(VALU_DEP_2) | instskip(NEXT) | instid1(VALU_DEP_2)
	v_cmp_eq_u32_e32 vcc_lo, 0, v17
	v_min_u32_e32 v13, 32, v13
	s_delay_alu instid0(VALU_DEP_1) | instskip(NEXT) | instid1(VALU_DEP_1)
	v_subrev_nc_u32_e32 v15, 28, v13
	v_dual_lshlrev_b32 v7, v15, v7 :: v_dual_sub_nc_u32 v13, 29, v13
	s_delay_alu instid0(VALU_DEP_1) | instskip(NEXT) | instid1(VALU_DEP_1)
	v_dual_lshlrev_b32 v9, 24, v9 :: v_dual_bitop2_b32 v7, 7, v7 bitop3:0x40
	v_dual_cndmask_b32 v7, v11, v7, vcc_lo :: v_dual_cndmask_b32 v13, v17, v13, vcc_lo
	s_delay_alu instid0(VALU_DEP_2) | instskip(NEXT) | instid1(VALU_DEP_2)
	v_and_b32_e32 v9, 0x80000000, v9
	v_lshlrev_b32_e32 v7, 20, v7
	s_delay_alu instid0(VALU_DEP_3) | instskip(NEXT) | instid1(VALU_DEP_1)
	v_lshl_add_u32 v11, v13, 23, 0x3b800000
	v_or3_b32 v7, v9, v11, v7
	s_delay_alu instid0(VALU_DEP_1)
	v_cvt_i32_f32_e32 v7, v7
.LBB87_4474:
	s_or_b32 exec_lo, exec_lo, s9
.LBB87_4475:
	s_mov_b32 s9, -1
.LBB87_4476:
	s_mov_b32 s24, 0
.LBB87_4477:
	s_delay_alu instid0(SALU_CYCLE_1)
	s_and_b32 vcc_lo, exec_lo, s24
	s_cbranch_vccz .LBB87_4508
; %bb.4478:
	s_cmp_gt_i32 s55, 22
	s_cbranch_scc0 .LBB87_4486
; %bb.4479:
	s_cmp_lt_i32 s55, 24
	s_cbranch_scc1 .LBB87_4489
; %bb.4480:
	s_cmp_gt_i32 s55, 24
	s_cbranch_scc0 .LBB87_4490
; %bb.4481:
	global_load_u8 v9, v[26:27], off
	s_mov_b32 s9, 0
	s_mov_b32 s1, exec_lo
	s_wait_loadcnt 0x0
	v_cmpx_lt_i16_e32 0x7f, v9
	s_xor_b32 s1, exec_lo, s1
	s_cbranch_execz .LBB87_4502
; %bb.4482:
	v_cmp_ne_u16_e32 vcc_lo, 0x80, v9
	s_and_b32 s9, vcc_lo, exec_lo
	s_and_not1_saveexec_b32 s1, s1
	s_cbranch_execnz .LBB87_4503
.LBB87_4483:
	s_or_b32 exec_lo, exec_lo, s1
	v_mov_b32_e32 v7, 0
	s_and_saveexec_b32 s1, s9
	s_cbranch_execz .LBB87_4485
.LBB87_4484:
	v_and_b32_e32 v7, 0xffff, v9
	s_delay_alu instid0(VALU_DEP_1) | instskip(SKIP_1) | instid1(VALU_DEP_2)
	v_and_b32_e32 v11, 3, v7
	v_bfe_u32 v17, v7, 2, 5
	v_clz_i32_u32_e32 v13, v11
	s_delay_alu instid0(VALU_DEP_2) | instskip(NEXT) | instid1(VALU_DEP_2)
	v_cmp_eq_u32_e32 vcc_lo, 0, v17
	v_min_u32_e32 v13, 32, v13
	s_delay_alu instid0(VALU_DEP_1) | instskip(NEXT) | instid1(VALU_DEP_1)
	v_subrev_nc_u32_e32 v15, 29, v13
	v_dual_lshlrev_b32 v7, v15, v7 :: v_dual_sub_nc_u32 v13, 30, v13
	s_delay_alu instid0(VALU_DEP_1) | instskip(NEXT) | instid1(VALU_DEP_1)
	v_dual_lshlrev_b32 v9, 24, v9 :: v_dual_bitop2_b32 v7, 3, v7 bitop3:0x40
	v_dual_cndmask_b32 v7, v11, v7, vcc_lo :: v_dual_cndmask_b32 v13, v17, v13, vcc_lo
	s_delay_alu instid0(VALU_DEP_2) | instskip(NEXT) | instid1(VALU_DEP_2)
	v_and_b32_e32 v9, 0x80000000, v9
	v_lshlrev_b32_e32 v7, 21, v7
	s_delay_alu instid0(VALU_DEP_3) | instskip(NEXT) | instid1(VALU_DEP_1)
	v_lshl_add_u32 v11, v13, 23, 0x37800000
	v_or3_b32 v7, v9, v11, v7
	s_delay_alu instid0(VALU_DEP_1)
	v_cvt_i32_f32_e32 v7, v7
.LBB87_4485:
	s_or_b32 exec_lo, exec_lo, s1
	s_mov_b32 s1, 0
	s_branch .LBB87_4491
.LBB87_4486:
	s_mov_b32 s1, -1
                                        ; implicit-def: $vgpr7
	s_branch .LBB87_4497
.LBB87_4487:
	s_and_not1_saveexec_b32 s9, s9
	s_cbranch_execz .LBB87_4472
.LBB87_4488:
	v_cmp_ne_u16_e32 vcc_lo, 0, v9
	s_and_not1_b32 s24, s24, exec_lo
	s_and_b32 s25, vcc_lo, exec_lo
	s_delay_alu instid0(SALU_CYCLE_1)
	s_or_b32 s24, s24, s25
	s_or_b32 exec_lo, exec_lo, s9
	v_mov_b32_e32 v7, 0
	s_and_saveexec_b32 s9, s24
	s_cbranch_execnz .LBB87_4473
	s_branch .LBB87_4474
.LBB87_4489:
	s_mov_b32 s1, -1
                                        ; implicit-def: $vgpr7
	s_branch .LBB87_4494
.LBB87_4490:
	s_mov_b32 s1, -1
                                        ; implicit-def: $vgpr7
.LBB87_4491:
	s_delay_alu instid0(SALU_CYCLE_1)
	s_and_b32 vcc_lo, exec_lo, s1
	s_cbranch_vccz .LBB87_4493
; %bb.4492:
	s_wait_loadcnt 0x0
	global_load_u8 v7, v[26:27], off
	s_wait_loadcnt 0x0
	v_lshlrev_b32_e32 v7, 24, v7
	s_delay_alu instid0(VALU_DEP_1) | instskip(NEXT) | instid1(VALU_DEP_1)
	v_and_b32_e32 v9, 0x7f000000, v7
	v_clz_i32_u32_e32 v11, v9
	v_add_nc_u32_e32 v15, 0x1000000, v9
	v_cmp_ne_u32_e32 vcc_lo, 0, v9
	s_delay_alu instid0(VALU_DEP_3) | instskip(NEXT) | instid1(VALU_DEP_1)
	v_min_u32_e32 v11, 32, v11
	v_sub_nc_u32_e64 v11, v11, 4 clamp
	s_delay_alu instid0(VALU_DEP_1) | instskip(NEXT) | instid1(VALU_DEP_1)
	v_dual_lshlrev_b32 v13, v11, v9 :: v_dual_lshlrev_b32 v11, 23, v11
	v_lshrrev_b32_e32 v13, 4, v13
	s_delay_alu instid0(VALU_DEP_1) | instskip(SKIP_1) | instid1(VALU_DEP_2)
	v_sub_nc_u32_e32 v11, v13, v11
	v_ashrrev_i32_e32 v13, 8, v15
	v_add_nc_u32_e32 v11, 0x3c000000, v11
	s_delay_alu instid0(VALU_DEP_1) | instskip(NEXT) | instid1(VALU_DEP_1)
	v_and_or_b32 v11, 0x7f800000, v13, v11
	v_cndmask_b32_e32 v9, 0, v11, vcc_lo
	s_delay_alu instid0(VALU_DEP_1) | instskip(NEXT) | instid1(VALU_DEP_1)
	v_and_or_b32 v7, 0x80000000, v7, v9
	v_cvt_i32_f32_e32 v7, v7
.LBB87_4493:
	s_mov_b32 s1, 0
.LBB87_4494:
	s_delay_alu instid0(SALU_CYCLE_1)
	s_and_not1_b32 vcc_lo, exec_lo, s1
	s_cbranch_vccnz .LBB87_4496
; %bb.4495:
	s_wait_loadcnt 0x0
	global_load_u8 v7, v[26:27], off
	s_wait_loadcnt 0x0
	v_lshlrev_b32_e32 v9, 25, v7
	v_lshlrev_b16 v7, 8, v7
	s_delay_alu instid0(VALU_DEP_1) | instskip(SKIP_1) | instid1(VALU_DEP_2)
	v_and_or_b32 v13, 0x7f00, v7, 0.5
	v_bfe_i32 v7, v7, 0, 16
	v_add_f32_e32 v13, -0.5, v13
	v_lshrrev_b32_e32 v11, 4, v9
	v_cmp_gt_u32_e32 vcc_lo, 0x8000000, v9
	s_delay_alu instid0(VALU_DEP_2) | instskip(NEXT) | instid1(VALU_DEP_1)
	v_or_b32_e32 v11, 0x70000000, v11
	v_mul_f32_e32 v11, 0x7800000, v11
	s_delay_alu instid0(VALU_DEP_1) | instskip(NEXT) | instid1(VALU_DEP_1)
	v_cndmask_b32_e32 v9, v11, v13, vcc_lo
	v_and_or_b32 v7, 0x80000000, v7, v9
	s_delay_alu instid0(VALU_DEP_1)
	v_cvt_i32_f32_e32 v7, v7
.LBB87_4496:
	s_mov_b32 s1, 0
	s_mov_b32 s9, -1
.LBB87_4497:
	s_and_not1_b32 vcc_lo, exec_lo, s1
	s_mov_b32 s1, 0
	s_cbranch_vccnz .LBB87_4508
; %bb.4498:
	s_cmp_gt_i32 s55, 14
	s_cbranch_scc0 .LBB87_4501
; %bb.4499:
	s_cmp_eq_u32 s55, 15
	s_cbranch_scc0 .LBB87_4504
; %bb.4500:
	s_wait_loadcnt 0x0
	global_load_u16 v7, v[26:27], off
	s_mov_b32 s0, 0
	s_mov_b32 s9, -1
	s_wait_loadcnt 0x0
	v_lshlrev_b32_e32 v7, 16, v7
	s_delay_alu instid0(VALU_DEP_1)
	v_cvt_i32_f32_e32 v7, v7
	s_branch .LBB87_4506
.LBB87_4501:
	s_mov_b32 s1, -1
	s_branch .LBB87_4505
.LBB87_4502:
	s_and_not1_saveexec_b32 s1, s1
	s_cbranch_execz .LBB87_4483
.LBB87_4503:
	v_cmp_ne_u16_e32 vcc_lo, 0, v9
	s_and_not1_b32 s9, s9, exec_lo
	s_and_b32 s24, vcc_lo, exec_lo
	s_delay_alu instid0(SALU_CYCLE_1)
	s_or_b32 s9, s9, s24
	s_or_b32 exec_lo, exec_lo, s1
	v_mov_b32_e32 v7, 0
	s_and_saveexec_b32 s1, s9
	s_cbranch_execnz .LBB87_4484
	s_branch .LBB87_4485
.LBB87_4504:
	s_mov_b32 s0, -1
.LBB87_4505:
                                        ; implicit-def: $vgpr7
.LBB87_4506:
	s_and_b32 vcc_lo, exec_lo, s1
	s_mov_b32 s1, 0
	s_cbranch_vccz .LBB87_4508
; %bb.4507:
	s_cmp_lg_u32 s55, 11
	s_mov_b32 s1, -1
	s_cselect_b32 s0, -1, 0
.LBB87_4508:
	s_delay_alu instid0(SALU_CYCLE_1)
	s_and_b32 vcc_lo, exec_lo, s0
	s_mov_b32 s54, s52
	s_cbranch_vccnz .LBB87_4573
; %bb.4509:
	s_and_not1_b32 vcc_lo, exec_lo, s1
	s_cbranch_vccnz .LBB87_4511
.LBB87_4510:
	s_wait_loadcnt 0x0
	global_load_u8 v7, v[26:27], off
	s_mov_b32 s9, -1
	s_wait_loadcnt 0x0
	v_cmp_ne_u16_e32 vcc_lo, 0, v7
	v_cndmask_b32_e64 v7, 0, 1, vcc_lo
.LBB87_4511:
	s_mov_b32 s0, 0
.LBB87_4512:
	s_delay_alu instid0(SALU_CYCLE_1)
	s_and_b32 vcc_lo, exec_lo, s0
	s_cbranch_vccz .LBB87_4561
; %bb.4513:
	s_cmp_lt_i32 s55, 5
	s_cbranch_scc1 .LBB87_4518
; %bb.4514:
	s_cmp_lt_i32 s55, 8
	s_cbranch_scc1 .LBB87_4519
	;; [unrolled: 3-line block ×3, first 2 shown]
; %bb.4516:
	s_cmp_gt_i32 s55, 9
	s_cbranch_scc0 .LBB87_4521
; %bb.4517:
	global_load_b64 v[28:29], v[26:27], off
	s_mov_b32 s0, 0
	s_wait_loadcnt 0x0
	v_cvt_i32_f64_e32 v7, v[28:29]
	s_branch .LBB87_4522
.LBB87_4518:
	s_mov_b32 s0, -1
                                        ; implicit-def: $vgpr7
	s_branch .LBB87_4540
.LBB87_4519:
	s_mov_b32 s0, -1
                                        ; implicit-def: $vgpr7
	s_branch .LBB87_4528
.LBB87_4520:
	s_mov_b32 s0, -1
                                        ; implicit-def: $vgpr7
	s_branch .LBB87_4525
.LBB87_4521:
	s_mov_b32 s0, -1
                                        ; implicit-def: $vgpr7
.LBB87_4522:
	s_delay_alu instid0(SALU_CYCLE_1)
	s_and_not1_b32 vcc_lo, exec_lo, s0
	s_cbranch_vccnz .LBB87_4524
; %bb.4523:
	s_wait_loadcnt 0x0
	global_load_b32 v7, v[26:27], off
	s_wait_loadcnt 0x0
	v_cvt_i32_f32_e32 v7, v7
.LBB87_4524:
	s_mov_b32 s0, 0
.LBB87_4525:
	s_delay_alu instid0(SALU_CYCLE_1)
	s_and_not1_b32 vcc_lo, exec_lo, s0
	s_cbranch_vccnz .LBB87_4527
; %bb.4526:
	s_wait_loadcnt 0x0
	global_load_b32 v7, v[26:27], off
	s_wait_loadcnt 0x0
	v_cvt_f32_f16_e32 v7, v7
	s_delay_alu instid0(VALU_DEP_1)
	v_cvt_i32_f32_e32 v7, v7
.LBB87_4527:
	s_mov_b32 s0, 0
.LBB87_4528:
	s_delay_alu instid0(SALU_CYCLE_1)
	s_and_not1_b32 vcc_lo, exec_lo, s0
	s_cbranch_vccnz .LBB87_4539
; %bb.4529:
	s_cmp_lt_i32 s55, 6
	s_cbranch_scc1 .LBB87_4532
; %bb.4530:
	s_cmp_gt_i32 s55, 6
	s_cbranch_scc0 .LBB87_4533
; %bb.4531:
	global_load_b64 v[28:29], v[26:27], off
	s_mov_b32 s0, 0
	s_wait_loadcnt 0x0
	v_cvt_i32_f64_e32 v7, v[28:29]
	s_branch .LBB87_4534
.LBB87_4532:
	s_mov_b32 s0, -1
                                        ; implicit-def: $vgpr7
	s_branch .LBB87_4537
.LBB87_4533:
	s_mov_b32 s0, -1
                                        ; implicit-def: $vgpr7
.LBB87_4534:
	s_delay_alu instid0(SALU_CYCLE_1)
	s_and_not1_b32 vcc_lo, exec_lo, s0
	s_cbranch_vccnz .LBB87_4536
; %bb.4535:
	s_wait_loadcnt 0x0
	global_load_b32 v7, v[26:27], off
	s_wait_loadcnt 0x0
	v_cvt_i32_f32_e32 v7, v7
.LBB87_4536:
	s_mov_b32 s0, 0
.LBB87_4537:
	s_delay_alu instid0(SALU_CYCLE_1)
	s_and_not1_b32 vcc_lo, exec_lo, s0
	s_cbranch_vccnz .LBB87_4539
; %bb.4538:
	s_wait_loadcnt 0x0
	global_load_u16 v7, v[26:27], off
	s_wait_loadcnt 0x0
	v_cvt_f32_f16_e32 v7, v7
	s_delay_alu instid0(VALU_DEP_1)
	v_cvt_i32_f32_e32 v7, v7
.LBB87_4539:
	s_mov_b32 s0, 0
.LBB87_4540:
	s_delay_alu instid0(SALU_CYCLE_1)
	s_and_not1_b32 vcc_lo, exec_lo, s0
	s_cbranch_vccnz .LBB87_4560
; %bb.4541:
	s_cmp_lt_i32 s55, 2
	s_cbranch_scc1 .LBB87_4545
; %bb.4542:
	s_cmp_lt_i32 s55, 3
	s_cbranch_scc1 .LBB87_4546
; %bb.4543:
	s_cmp_gt_i32 s55, 3
	s_cbranch_scc0 .LBB87_4547
; %bb.4544:
	s_wait_loadcnt 0x0
	global_load_b32 v7, v[26:27], off
	s_mov_b32 s0, 0
	s_branch .LBB87_4548
.LBB87_4545:
	s_mov_b32 s0, -1
                                        ; implicit-def: $vgpr7
	s_branch .LBB87_4554
.LBB87_4546:
	s_mov_b32 s0, -1
                                        ; implicit-def: $vgpr7
	s_branch .LBB87_4551
.LBB87_4547:
	s_mov_b32 s0, -1
                                        ; implicit-def: $vgpr7
.LBB87_4548:
	s_delay_alu instid0(SALU_CYCLE_1)
	s_and_not1_b32 vcc_lo, exec_lo, s0
	s_cbranch_vccnz .LBB87_4550
; %bb.4549:
	s_wait_loadcnt 0x0
	global_load_b32 v7, v[26:27], off
.LBB87_4550:
	s_mov_b32 s0, 0
.LBB87_4551:
	s_delay_alu instid0(SALU_CYCLE_1)
	s_and_not1_b32 vcc_lo, exec_lo, s0
	s_cbranch_vccnz .LBB87_4553
; %bb.4552:
	s_wait_loadcnt 0x0
	global_load_i16 v7, v[26:27], off
.LBB87_4553:
	s_mov_b32 s0, 0
.LBB87_4554:
	s_delay_alu instid0(SALU_CYCLE_1)
	s_and_not1_b32 vcc_lo, exec_lo, s0
	s_cbranch_vccnz .LBB87_4560
; %bb.4555:
	s_cmp_gt_i32 s55, 0
	s_mov_b32 s0, 0
	s_cbranch_scc0 .LBB87_4557
; %bb.4556:
	s_wait_loadcnt 0x0
	global_load_i8 v7, v[26:27], off
	s_branch .LBB87_4558
.LBB87_4557:
	s_mov_b32 s0, -1
                                        ; implicit-def: $vgpr7
.LBB87_4558:
	s_delay_alu instid0(SALU_CYCLE_1)
	s_and_not1_b32 vcc_lo, exec_lo, s0
	s_cbranch_vccnz .LBB87_4560
; %bb.4559:
	s_wait_loadcnt 0x0
	global_load_u8 v7, v[26:27], off
.LBB87_4560:
	s_mov_b32 s9, -1
.LBB87_4561:
	s_delay_alu instid0(SALU_CYCLE_1)
	s_and_not1_b32 vcc_lo, exec_lo, s9
	s_cbranch_vccnz .LBB87_5081
; %bb.4562:
	v_mov_b32_e32 v25, 0
	s_cmp_lt_i32 s56, 11
	s_delay_alu instid0(VALU_DEP_1)
	v_add_nc_u64_e32 v[24:25], s[12:13], v[24:25]
	s_cbranch_scc1 .LBB87_4569
; %bb.4563:
	s_cmp_gt_i32 s56, 25
	s_mov_b32 s1, 0
	s_cbranch_scc0 .LBB87_4570
; %bb.4564:
	s_cmp_gt_i32 s56, 28
	s_cbranch_scc0 .LBB87_4571
; %bb.4565:
	s_cmp_gt_i32 s56, 43
	;; [unrolled: 3-line block ×3, first 2 shown]
	s_cbranch_scc0 .LBB87_4574
; %bb.4567:
	s_cmp_eq_u32 s56, 46
	s_mov_b32 s24, 0
	s_cbranch_scc0 .LBB87_4576
; %bb.4568:
	global_load_b32 v9, v[24:25], off
	s_mov_b32 s0, 0
	s_mov_b32 s9, -1
	s_wait_loadcnt 0x0
	v_lshlrev_b32_e32 v9, 16, v9
	s_delay_alu instid0(VALU_DEP_1)
	v_cvt_i32_f32_e32 v9, v9
	s_branch .LBB87_4578
.LBB87_4569:
	s_mov_b32 s0, -1
	s_mov_b32 s9, 0
                                        ; implicit-def: $vgpr9
	s_branch .LBB87_4640
.LBB87_4570:
	s_mov_b32 s24, -1
	s_mov_b32 s9, 0
	s_mov_b32 s0, 0
                                        ; implicit-def: $vgpr9
	s_branch .LBB87_4605
.LBB87_4571:
	s_mov_b32 s24, -1
	s_mov_b32 s9, 0
	s_mov_b32 s0, 0
                                        ; implicit-def: $vgpr9
	s_branch .LBB87_4588
.LBB87_4572:
	s_mov_b32 s24, -1
	s_mov_b32 s9, 0
	s_mov_b32 s0, 0
                                        ; implicit-def: $vgpr9
	s_branch .LBB87_4583
.LBB87_4573:
	s_or_b32 s54, s52, exec_lo
	s_trap 2
	s_cbranch_execz .LBB87_4510
	s_branch .LBB87_4511
.LBB87_4574:
	s_mov_b32 s24, -1
	s_mov_b32 s9, 0
	s_mov_b32 s0, 0
	s_branch .LBB87_4577
.LBB87_4575:
	s_or_b32 s44, s44, exec_lo
	s_trap 2
                                        ; implicit-def: $vgpr9
                                        ; implicit-def: $vgpr32
                                        ; implicit-def: $vgpr30
                                        ; implicit-def: $vgpr34
                                        ; implicit-def: $vgpr5
                                        ; implicit-def: $vgpr6
                                        ; implicit-def: $vgpr4
                                        ; implicit-def: $vgpr20
                                        ; implicit-def: $vgpr18
                                        ; implicit-def: $vgpr24
                                        ; implicit-def: $vgpr22
                                        ; implicit-def: $vgpr2
                                        ; implicit-def: $vgpr26
                                        ; implicit-def: $vgpr10
                                        ; implicit-def: $vgpr8
                                        ; implicit-def: $vgpr14
                                        ; implicit-def: $vgpr12
                                        ; implicit-def: $vgpr0
                                        ; implicit-def: $vgpr16
                                        ; implicit-def: $vgpr1
                                        ; implicit-def: $vgpr3
	s_branch .LBB87_4408
.LBB87_4576:
	s_mov_b32 s0, -1
	s_mov_b32 s9, 0
.LBB87_4577:
                                        ; implicit-def: $vgpr9
.LBB87_4578:
	s_and_b32 vcc_lo, exec_lo, s24
	s_cbranch_vccz .LBB87_4582
; %bb.4579:
	s_cmp_eq_u32 s56, 44
	s_cbranch_scc0 .LBB87_4581
; %bb.4580:
	global_load_u8 v9, v[24:25], off
	s_mov_b32 s0, 0
	s_mov_b32 s9, -1
	s_wait_loadcnt 0x0
	v_lshlrev_b32_e32 v11, 23, v9
	v_cmp_ne_u32_e32 vcc_lo, 0, v9
	s_delay_alu instid0(VALU_DEP_2) | instskip(NEXT) | instid1(VALU_DEP_1)
	v_cvt_i32_f32_e32 v11, v11
	v_cndmask_b32_e32 v9, 0, v11, vcc_lo
	s_branch .LBB87_4582
.LBB87_4581:
	s_mov_b32 s0, -1
                                        ; implicit-def: $vgpr9
.LBB87_4582:
	s_mov_b32 s24, 0
.LBB87_4583:
	s_delay_alu instid0(SALU_CYCLE_1)
	s_and_b32 vcc_lo, exec_lo, s24
	s_cbranch_vccz .LBB87_4587
; %bb.4584:
	s_cmp_eq_u32 s56, 29
	s_cbranch_scc0 .LBB87_4586
; %bb.4585:
	global_load_b32 v9, v[24:25], off
	s_mov_b32 s0, 0
	s_mov_b32 s9, -1
	s_branch .LBB87_4587
.LBB87_4586:
	s_mov_b32 s0, -1
                                        ; implicit-def: $vgpr9
.LBB87_4587:
	s_mov_b32 s24, 0
.LBB87_4588:
	s_delay_alu instid0(SALU_CYCLE_1)
	s_and_b32 vcc_lo, exec_lo, s24
	s_cbranch_vccz .LBB87_4604
; %bb.4589:
	s_cmp_lt_i32 s56, 27
	s_cbranch_scc1 .LBB87_4592
; %bb.4590:
	s_cmp_gt_i32 s56, 27
	s_cbranch_scc0 .LBB87_4593
; %bb.4591:
	s_wait_loadcnt 0x0
	global_load_b32 v9, v[24:25], off
	s_mov_b32 s9, 0
	s_branch .LBB87_4594
.LBB87_4592:
	s_mov_b32 s9, -1
                                        ; implicit-def: $vgpr9
	s_branch .LBB87_4597
.LBB87_4593:
	s_mov_b32 s9, -1
                                        ; implicit-def: $vgpr9
.LBB87_4594:
	s_delay_alu instid0(SALU_CYCLE_1)
	s_and_not1_b32 vcc_lo, exec_lo, s9
	s_cbranch_vccnz .LBB87_4596
; %bb.4595:
	s_wait_loadcnt 0x0
	global_load_u16 v9, v[24:25], off
.LBB87_4596:
	s_mov_b32 s9, 0
.LBB87_4597:
	s_delay_alu instid0(SALU_CYCLE_1)
	s_and_not1_b32 vcc_lo, exec_lo, s9
	s_cbranch_vccnz .LBB87_4603
; %bb.4598:
	global_load_u8 v11, v[24:25], off
	s_mov_b32 s24, 0
	s_mov_b32 s9, exec_lo
	s_wait_loadcnt 0x0
	v_cmpx_lt_i16_e32 0x7f, v11
	s_xor_b32 s9, exec_lo, s9
	s_cbranch_execz .LBB87_4615
; %bb.4599:
	v_cmp_ne_u16_e32 vcc_lo, 0x80, v11
	s_and_b32 s24, vcc_lo, exec_lo
	s_and_not1_saveexec_b32 s9, s9
	s_cbranch_execnz .LBB87_4616
.LBB87_4600:
	s_or_b32 exec_lo, exec_lo, s9
	v_mov_b32_e32 v9, 0
	s_and_saveexec_b32 s9, s24
	s_cbranch_execz .LBB87_4602
.LBB87_4601:
	v_and_b32_e32 v9, 0xffff, v11
	s_delay_alu instid0(VALU_DEP_1) | instskip(SKIP_1) | instid1(VALU_DEP_2)
	v_and_b32_e32 v13, 7, v9
	v_bfe_u32 v19, v9, 3, 4
	v_clz_i32_u32_e32 v15, v13
	s_delay_alu instid0(VALU_DEP_2) | instskip(NEXT) | instid1(VALU_DEP_2)
	v_cmp_eq_u32_e32 vcc_lo, 0, v19
	v_min_u32_e32 v15, 32, v15
	s_delay_alu instid0(VALU_DEP_1) | instskip(NEXT) | instid1(VALU_DEP_1)
	v_subrev_nc_u32_e32 v17, 28, v15
	v_dual_lshlrev_b32 v9, v17, v9 :: v_dual_sub_nc_u32 v15, 29, v15
	s_delay_alu instid0(VALU_DEP_1) | instskip(NEXT) | instid1(VALU_DEP_1)
	v_dual_lshlrev_b32 v11, 24, v11 :: v_dual_bitop2_b32 v9, 7, v9 bitop3:0x40
	v_dual_cndmask_b32 v9, v13, v9, vcc_lo :: v_dual_cndmask_b32 v15, v19, v15, vcc_lo
	s_delay_alu instid0(VALU_DEP_2) | instskip(NEXT) | instid1(VALU_DEP_2)
	v_and_b32_e32 v11, 0x80000000, v11
	v_lshlrev_b32_e32 v9, 20, v9
	s_delay_alu instid0(VALU_DEP_3) | instskip(NEXT) | instid1(VALU_DEP_1)
	v_lshl_add_u32 v13, v15, 23, 0x3b800000
	v_or3_b32 v9, v11, v13, v9
	s_delay_alu instid0(VALU_DEP_1)
	v_cvt_i32_f32_e32 v9, v9
.LBB87_4602:
	s_or_b32 exec_lo, exec_lo, s9
.LBB87_4603:
	s_mov_b32 s9, -1
.LBB87_4604:
	s_mov_b32 s24, 0
.LBB87_4605:
	s_delay_alu instid0(SALU_CYCLE_1)
	s_and_b32 vcc_lo, exec_lo, s24
	s_cbranch_vccz .LBB87_4636
; %bb.4606:
	s_cmp_gt_i32 s56, 22
	s_cbranch_scc0 .LBB87_4614
; %bb.4607:
	s_cmp_lt_i32 s56, 24
	s_cbranch_scc1 .LBB87_4617
; %bb.4608:
	s_cmp_gt_i32 s56, 24
	s_cbranch_scc0 .LBB87_4618
; %bb.4609:
	global_load_u8 v11, v[24:25], off
	s_mov_b32 s9, 0
	s_mov_b32 s1, exec_lo
	s_wait_loadcnt 0x0
	v_cmpx_lt_i16_e32 0x7f, v11
	s_xor_b32 s1, exec_lo, s1
	s_cbranch_execz .LBB87_4630
; %bb.4610:
	v_cmp_ne_u16_e32 vcc_lo, 0x80, v11
	s_and_b32 s9, vcc_lo, exec_lo
	s_and_not1_saveexec_b32 s1, s1
	s_cbranch_execnz .LBB87_4631
.LBB87_4611:
	s_or_b32 exec_lo, exec_lo, s1
	v_mov_b32_e32 v9, 0
	s_and_saveexec_b32 s1, s9
	s_cbranch_execz .LBB87_4613
.LBB87_4612:
	v_and_b32_e32 v9, 0xffff, v11
	s_delay_alu instid0(VALU_DEP_1) | instskip(SKIP_1) | instid1(VALU_DEP_2)
	v_and_b32_e32 v13, 3, v9
	v_bfe_u32 v19, v9, 2, 5
	v_clz_i32_u32_e32 v15, v13
	s_delay_alu instid0(VALU_DEP_2) | instskip(NEXT) | instid1(VALU_DEP_2)
	v_cmp_eq_u32_e32 vcc_lo, 0, v19
	v_min_u32_e32 v15, 32, v15
	s_delay_alu instid0(VALU_DEP_1) | instskip(NEXT) | instid1(VALU_DEP_1)
	v_subrev_nc_u32_e32 v17, 29, v15
	v_dual_lshlrev_b32 v9, v17, v9 :: v_dual_sub_nc_u32 v15, 30, v15
	s_delay_alu instid0(VALU_DEP_1) | instskip(NEXT) | instid1(VALU_DEP_1)
	v_dual_lshlrev_b32 v11, 24, v11 :: v_dual_bitop2_b32 v9, 3, v9 bitop3:0x40
	v_dual_cndmask_b32 v9, v13, v9, vcc_lo :: v_dual_cndmask_b32 v15, v19, v15, vcc_lo
	s_delay_alu instid0(VALU_DEP_2) | instskip(NEXT) | instid1(VALU_DEP_2)
	v_and_b32_e32 v11, 0x80000000, v11
	v_lshlrev_b32_e32 v9, 21, v9
	s_delay_alu instid0(VALU_DEP_3) | instskip(NEXT) | instid1(VALU_DEP_1)
	v_lshl_add_u32 v13, v15, 23, 0x37800000
	v_or3_b32 v9, v11, v13, v9
	s_delay_alu instid0(VALU_DEP_1)
	v_cvt_i32_f32_e32 v9, v9
.LBB87_4613:
	s_or_b32 exec_lo, exec_lo, s1
	s_mov_b32 s1, 0
	s_branch .LBB87_4619
.LBB87_4614:
	s_mov_b32 s1, -1
                                        ; implicit-def: $vgpr9
	s_branch .LBB87_4625
.LBB87_4615:
	s_and_not1_saveexec_b32 s9, s9
	s_cbranch_execz .LBB87_4600
.LBB87_4616:
	v_cmp_ne_u16_e32 vcc_lo, 0, v11
	s_and_not1_b32 s24, s24, exec_lo
	s_and_b32 s25, vcc_lo, exec_lo
	s_delay_alu instid0(SALU_CYCLE_1)
	s_or_b32 s24, s24, s25
	s_or_b32 exec_lo, exec_lo, s9
	v_mov_b32_e32 v9, 0
	s_and_saveexec_b32 s9, s24
	s_cbranch_execnz .LBB87_4601
	s_branch .LBB87_4602
.LBB87_4617:
	s_mov_b32 s1, -1
                                        ; implicit-def: $vgpr9
	s_branch .LBB87_4622
.LBB87_4618:
	s_mov_b32 s1, -1
                                        ; implicit-def: $vgpr9
.LBB87_4619:
	s_delay_alu instid0(SALU_CYCLE_1)
	s_and_b32 vcc_lo, exec_lo, s1
	s_cbranch_vccz .LBB87_4621
; %bb.4620:
	s_wait_loadcnt 0x0
	global_load_u8 v9, v[24:25], off
	s_wait_loadcnt 0x0
	v_lshlrev_b32_e32 v9, 24, v9
	s_delay_alu instid0(VALU_DEP_1) | instskip(NEXT) | instid1(VALU_DEP_1)
	v_and_b32_e32 v11, 0x7f000000, v9
	v_clz_i32_u32_e32 v13, v11
	v_add_nc_u32_e32 v17, 0x1000000, v11
	v_cmp_ne_u32_e32 vcc_lo, 0, v11
	s_delay_alu instid0(VALU_DEP_3) | instskip(NEXT) | instid1(VALU_DEP_1)
	v_min_u32_e32 v13, 32, v13
	v_sub_nc_u32_e64 v13, v13, 4 clamp
	s_delay_alu instid0(VALU_DEP_1) | instskip(NEXT) | instid1(VALU_DEP_1)
	v_dual_lshlrev_b32 v15, v13, v11 :: v_dual_lshlrev_b32 v13, 23, v13
	v_lshrrev_b32_e32 v15, 4, v15
	s_delay_alu instid0(VALU_DEP_1) | instskip(SKIP_1) | instid1(VALU_DEP_2)
	v_sub_nc_u32_e32 v13, v15, v13
	v_ashrrev_i32_e32 v15, 8, v17
	v_add_nc_u32_e32 v13, 0x3c000000, v13
	s_delay_alu instid0(VALU_DEP_1) | instskip(NEXT) | instid1(VALU_DEP_1)
	v_and_or_b32 v13, 0x7f800000, v15, v13
	v_cndmask_b32_e32 v11, 0, v13, vcc_lo
	s_delay_alu instid0(VALU_DEP_1) | instskip(NEXT) | instid1(VALU_DEP_1)
	v_and_or_b32 v9, 0x80000000, v9, v11
	v_cvt_i32_f32_e32 v9, v9
.LBB87_4621:
	s_mov_b32 s1, 0
.LBB87_4622:
	s_delay_alu instid0(SALU_CYCLE_1)
	s_and_not1_b32 vcc_lo, exec_lo, s1
	s_cbranch_vccnz .LBB87_4624
; %bb.4623:
	s_wait_loadcnt 0x0
	global_load_u8 v9, v[24:25], off
	s_wait_loadcnt 0x0
	v_lshlrev_b32_e32 v11, 25, v9
	v_lshlrev_b16 v9, 8, v9
	s_delay_alu instid0(VALU_DEP_1) | instskip(SKIP_1) | instid1(VALU_DEP_2)
	v_and_or_b32 v15, 0x7f00, v9, 0.5
	v_bfe_i32 v9, v9, 0, 16
	v_add_f32_e32 v15, -0.5, v15
	v_lshrrev_b32_e32 v13, 4, v11
	v_cmp_gt_u32_e32 vcc_lo, 0x8000000, v11
	s_delay_alu instid0(VALU_DEP_2) | instskip(NEXT) | instid1(VALU_DEP_1)
	v_or_b32_e32 v13, 0x70000000, v13
	v_mul_f32_e32 v13, 0x7800000, v13
	s_delay_alu instid0(VALU_DEP_1) | instskip(NEXT) | instid1(VALU_DEP_1)
	v_cndmask_b32_e32 v11, v13, v15, vcc_lo
	v_and_or_b32 v9, 0x80000000, v9, v11
	s_delay_alu instid0(VALU_DEP_1)
	v_cvt_i32_f32_e32 v9, v9
.LBB87_4624:
	s_mov_b32 s1, 0
	s_mov_b32 s9, -1
.LBB87_4625:
	s_and_not1_b32 vcc_lo, exec_lo, s1
	s_mov_b32 s1, 0
	s_cbranch_vccnz .LBB87_4636
; %bb.4626:
	s_cmp_gt_i32 s56, 14
	s_cbranch_scc0 .LBB87_4629
; %bb.4627:
	s_cmp_eq_u32 s56, 15
	s_cbranch_scc0 .LBB87_4632
; %bb.4628:
	s_wait_loadcnt 0x0
	global_load_u16 v9, v[24:25], off
	s_mov_b32 s0, 0
	s_mov_b32 s9, -1
	s_wait_loadcnt 0x0
	v_lshlrev_b32_e32 v9, 16, v9
	s_delay_alu instid0(VALU_DEP_1)
	v_cvt_i32_f32_e32 v9, v9
	s_branch .LBB87_4634
.LBB87_4629:
	s_mov_b32 s1, -1
	s_branch .LBB87_4633
.LBB87_4630:
	s_and_not1_saveexec_b32 s1, s1
	s_cbranch_execz .LBB87_4611
.LBB87_4631:
	v_cmp_ne_u16_e32 vcc_lo, 0, v11
	s_and_not1_b32 s9, s9, exec_lo
	s_and_b32 s24, vcc_lo, exec_lo
	s_delay_alu instid0(SALU_CYCLE_1)
	s_or_b32 s9, s9, s24
	s_or_b32 exec_lo, exec_lo, s1
	v_mov_b32_e32 v9, 0
	s_and_saveexec_b32 s1, s9
	s_cbranch_execnz .LBB87_4612
	s_branch .LBB87_4613
.LBB87_4632:
	s_mov_b32 s0, -1
.LBB87_4633:
                                        ; implicit-def: $vgpr9
.LBB87_4634:
	s_and_b32 vcc_lo, exec_lo, s1
	s_mov_b32 s1, 0
	s_cbranch_vccz .LBB87_4636
; %bb.4635:
	s_cmp_lg_u32 s56, 11
	s_mov_b32 s1, -1
	s_cselect_b32 s0, -1, 0
.LBB87_4636:
	s_delay_alu instid0(SALU_CYCLE_1)
	s_and_b32 vcc_lo, exec_lo, s0
	s_cbranch_vccnz .LBB87_4701
; %bb.4637:
	s_and_not1_b32 vcc_lo, exec_lo, s1
	s_cbranch_vccnz .LBB87_4639
.LBB87_4638:
	s_wait_loadcnt 0x0
	global_load_u8 v9, v[24:25], off
	s_mov_b32 s9, -1
	s_wait_loadcnt 0x0
	v_cmp_ne_u16_e32 vcc_lo, 0, v9
	v_cndmask_b32_e64 v9, 0, 1, vcc_lo
.LBB87_4639:
	s_mov_b32 s0, 0
.LBB87_4640:
	s_delay_alu instid0(SALU_CYCLE_1)
	s_and_b32 vcc_lo, exec_lo, s0
	s_cbranch_vccz .LBB87_4689
; %bb.4641:
	s_cmp_lt_i32 s56, 5
	s_cbranch_scc1 .LBB87_4646
; %bb.4642:
	s_cmp_lt_i32 s56, 8
	s_cbranch_scc1 .LBB87_4647
	;; [unrolled: 3-line block ×3, first 2 shown]
; %bb.4644:
	s_cmp_gt_i32 s56, 9
	s_cbranch_scc0 .LBB87_4649
; %bb.4645:
	global_load_b64 v[26:27], v[24:25], off
	s_mov_b32 s0, 0
	s_wait_loadcnt 0x0
	v_cvt_i32_f64_e32 v9, v[26:27]
	s_branch .LBB87_4650
.LBB87_4646:
	s_mov_b32 s0, -1
                                        ; implicit-def: $vgpr9
	s_branch .LBB87_4668
.LBB87_4647:
	s_mov_b32 s0, -1
                                        ; implicit-def: $vgpr9
	s_branch .LBB87_4656
.LBB87_4648:
	s_mov_b32 s0, -1
                                        ; implicit-def: $vgpr9
	s_branch .LBB87_4653
.LBB87_4649:
	s_mov_b32 s0, -1
                                        ; implicit-def: $vgpr9
.LBB87_4650:
	s_delay_alu instid0(SALU_CYCLE_1)
	s_and_not1_b32 vcc_lo, exec_lo, s0
	s_cbranch_vccnz .LBB87_4652
; %bb.4651:
	s_wait_loadcnt 0x0
	global_load_b32 v9, v[24:25], off
	s_wait_loadcnt 0x0
	v_cvt_i32_f32_e32 v9, v9
.LBB87_4652:
	s_mov_b32 s0, 0
.LBB87_4653:
	s_delay_alu instid0(SALU_CYCLE_1)
	s_and_not1_b32 vcc_lo, exec_lo, s0
	s_cbranch_vccnz .LBB87_4655
; %bb.4654:
	s_wait_loadcnt 0x0
	global_load_b32 v9, v[24:25], off
	s_wait_loadcnt 0x0
	v_cvt_f32_f16_e32 v9, v9
	s_delay_alu instid0(VALU_DEP_1)
	v_cvt_i32_f32_e32 v9, v9
.LBB87_4655:
	s_mov_b32 s0, 0
.LBB87_4656:
	s_delay_alu instid0(SALU_CYCLE_1)
	s_and_not1_b32 vcc_lo, exec_lo, s0
	s_cbranch_vccnz .LBB87_4667
; %bb.4657:
	s_cmp_lt_i32 s56, 6
	s_cbranch_scc1 .LBB87_4660
; %bb.4658:
	s_cmp_gt_i32 s56, 6
	s_cbranch_scc0 .LBB87_4661
; %bb.4659:
	global_load_b64 v[26:27], v[24:25], off
	s_mov_b32 s0, 0
	s_wait_loadcnt 0x0
	v_cvt_i32_f64_e32 v9, v[26:27]
	s_branch .LBB87_4662
.LBB87_4660:
	s_mov_b32 s0, -1
                                        ; implicit-def: $vgpr9
	s_branch .LBB87_4665
.LBB87_4661:
	s_mov_b32 s0, -1
                                        ; implicit-def: $vgpr9
.LBB87_4662:
	s_delay_alu instid0(SALU_CYCLE_1)
	s_and_not1_b32 vcc_lo, exec_lo, s0
	s_cbranch_vccnz .LBB87_4664
; %bb.4663:
	s_wait_loadcnt 0x0
	global_load_b32 v9, v[24:25], off
	s_wait_loadcnt 0x0
	v_cvt_i32_f32_e32 v9, v9
.LBB87_4664:
	s_mov_b32 s0, 0
.LBB87_4665:
	s_delay_alu instid0(SALU_CYCLE_1)
	s_and_not1_b32 vcc_lo, exec_lo, s0
	s_cbranch_vccnz .LBB87_4667
; %bb.4666:
	s_wait_loadcnt 0x0
	global_load_u16 v9, v[24:25], off
	s_wait_loadcnt 0x0
	v_cvt_f32_f16_e32 v9, v9
	s_delay_alu instid0(VALU_DEP_1)
	v_cvt_i32_f32_e32 v9, v9
.LBB87_4667:
	s_mov_b32 s0, 0
.LBB87_4668:
	s_delay_alu instid0(SALU_CYCLE_1)
	s_and_not1_b32 vcc_lo, exec_lo, s0
	s_cbranch_vccnz .LBB87_4688
; %bb.4669:
	s_cmp_lt_i32 s56, 2
	s_cbranch_scc1 .LBB87_4673
; %bb.4670:
	s_cmp_lt_i32 s56, 3
	s_cbranch_scc1 .LBB87_4674
; %bb.4671:
	s_cmp_gt_i32 s56, 3
	s_cbranch_scc0 .LBB87_4675
; %bb.4672:
	s_wait_loadcnt 0x0
	global_load_b32 v9, v[24:25], off
	s_mov_b32 s0, 0
	s_branch .LBB87_4676
.LBB87_4673:
	s_mov_b32 s0, -1
                                        ; implicit-def: $vgpr9
	s_branch .LBB87_4682
.LBB87_4674:
	s_mov_b32 s0, -1
                                        ; implicit-def: $vgpr9
	s_branch .LBB87_4679
.LBB87_4675:
	s_mov_b32 s0, -1
                                        ; implicit-def: $vgpr9
.LBB87_4676:
	s_delay_alu instid0(SALU_CYCLE_1)
	s_and_not1_b32 vcc_lo, exec_lo, s0
	s_cbranch_vccnz .LBB87_4678
; %bb.4677:
	s_wait_loadcnt 0x0
	global_load_b32 v9, v[24:25], off
.LBB87_4678:
	s_mov_b32 s0, 0
.LBB87_4679:
	s_delay_alu instid0(SALU_CYCLE_1)
	s_and_not1_b32 vcc_lo, exec_lo, s0
	s_cbranch_vccnz .LBB87_4681
; %bb.4680:
	s_wait_loadcnt 0x0
	global_load_i16 v9, v[24:25], off
.LBB87_4681:
	s_mov_b32 s0, 0
.LBB87_4682:
	s_delay_alu instid0(SALU_CYCLE_1)
	s_and_not1_b32 vcc_lo, exec_lo, s0
	s_cbranch_vccnz .LBB87_4688
; %bb.4683:
	s_cmp_gt_i32 s56, 0
	s_mov_b32 s0, 0
	s_cbranch_scc0 .LBB87_4685
; %bb.4684:
	s_wait_loadcnt 0x0
	global_load_i8 v9, v[24:25], off
	s_branch .LBB87_4686
.LBB87_4685:
	s_mov_b32 s0, -1
                                        ; implicit-def: $vgpr9
.LBB87_4686:
	s_delay_alu instid0(SALU_CYCLE_1)
	s_and_not1_b32 vcc_lo, exec_lo, s0
	s_cbranch_vccnz .LBB87_4688
; %bb.4687:
	s_wait_loadcnt 0x0
	global_load_u8 v9, v[24:25], off
.LBB87_4688:
	s_mov_b32 s9, -1
.LBB87_4689:
	s_delay_alu instid0(SALU_CYCLE_1)
	s_and_not1_b32 vcc_lo, exec_lo, s9
	s_cbranch_vccnz .LBB87_5081
; %bb.4690:
	v_mov_b32_e32 v23, 0
	s_cmp_lt_i32 s57, 11
	s_wait_xcnt 0x0
	s_delay_alu instid0(VALU_DEP_1)
	v_add_nc_u64_e32 v[24:25], s[14:15], v[22:23]
	s_cbranch_scc1 .LBB87_4697
; %bb.4691:
	s_cmp_gt_i32 s57, 25
	s_mov_b32 s1, 0
	s_cbranch_scc0 .LBB87_4698
; %bb.4692:
	s_cmp_gt_i32 s57, 28
	s_cbranch_scc0 .LBB87_4699
; %bb.4693:
	s_cmp_gt_i32 s57, 43
	s_cbranch_scc0 .LBB87_4700
; %bb.4694:
	s_cmp_gt_i32 s57, 45
	s_cbranch_scc0 .LBB87_4702
; %bb.4695:
	s_cmp_eq_u32 s57, 46
	s_mov_b32 s24, 0
	s_cbranch_scc0 .LBB87_4704
; %bb.4696:
	global_load_b32 v11, v[24:25], off
	s_mov_b32 s0, 0
	s_mov_b32 s9, -1
	s_wait_loadcnt 0x0
	v_lshlrev_b32_e32 v11, 16, v11
	s_delay_alu instid0(VALU_DEP_1)
	v_cvt_i32_f32_e32 v22, v11
	s_branch .LBB87_4706
.LBB87_4697:
	s_mov_b32 s0, -1
	s_mov_b32 s9, 0
                                        ; implicit-def: $vgpr22
	s_branch .LBB87_4768
.LBB87_4698:
	s_mov_b32 s24, -1
	s_mov_b32 s9, 0
	s_mov_b32 s0, 0
                                        ; implicit-def: $vgpr22
	s_branch .LBB87_4733
.LBB87_4699:
	s_mov_b32 s24, -1
	s_mov_b32 s9, 0
	s_mov_b32 s0, 0
                                        ; implicit-def: $vgpr22
	s_branch .LBB87_4716
.LBB87_4700:
	s_mov_b32 s24, -1
	s_mov_b32 s9, 0
	s_mov_b32 s0, 0
                                        ; implicit-def: $vgpr22
	s_branch .LBB87_4711
.LBB87_4701:
	s_or_b32 s54, s54, exec_lo
	s_trap 2
	s_cbranch_execz .LBB87_4638
	s_branch .LBB87_4639
.LBB87_4702:
	s_mov_b32 s24, -1
	s_mov_b32 s9, 0
	s_mov_b32 s0, 0
	s_branch .LBB87_4705
.LBB87_4703:
	s_or_b32 s48, s44, exec_lo
	s_trap 2
                                        ; implicit-def: $vgpr32
                                        ; implicit-def: $vgpr30
                                        ; implicit-def: $vgpr34
                                        ; implicit-def: $vgpr5
                                        ; implicit-def: $vgpr6
                                        ; implicit-def: $vgpr4
                                        ; implicit-def: $vgpr20
                                        ; implicit-def: $vgpr18
                                        ; implicit-def: $vgpr24
                                        ; implicit-def: $vgpr22
                                        ; implicit-def: $vgpr2
                                        ; implicit-def: $vgpr26
                                        ; implicit-def: $vgpr10
                                        ; implicit-def: $vgpr8
                                        ; implicit-def: $vgpr14
                                        ; implicit-def: $vgpr12
                                        ; implicit-def: $vgpr0
                                        ; implicit-def: $vgpr16
                                        ; implicit-def: $vgpr1
                                        ; implicit-def: $vgpr3
	s_or_saveexec_b32 s49, s0
                                        ; implicit-def: $vgpr38_vgpr39
                                        ; implicit-def: $sgpr0
	s_delay_alu instid0(SALU_CYCLE_1)
	s_xor_b32 exec_lo, exec_lo, s49
	s_cbranch_execz .LBB87_5085
	s_branch .LBB87_4411
.LBB87_4704:
	s_mov_b32 s0, -1
	s_mov_b32 s9, 0
.LBB87_4705:
                                        ; implicit-def: $vgpr22
.LBB87_4706:
	s_and_b32 vcc_lo, exec_lo, s24
	s_cbranch_vccz .LBB87_4710
; %bb.4707:
	s_cmp_eq_u32 s57, 44
	s_cbranch_scc0 .LBB87_4709
; %bb.4708:
	global_load_u8 v11, v[24:25], off
	s_mov_b32 s0, 0
	s_mov_b32 s9, -1
	s_wait_loadcnt 0x0
	v_lshlrev_b32_e32 v13, 23, v11
	v_cmp_ne_u32_e32 vcc_lo, 0, v11
	s_delay_alu instid0(VALU_DEP_2) | instskip(NEXT) | instid1(VALU_DEP_1)
	v_cvt_i32_f32_e32 v13, v13
	v_cndmask_b32_e32 v22, 0, v13, vcc_lo
	s_branch .LBB87_4710
.LBB87_4709:
	s_mov_b32 s0, -1
                                        ; implicit-def: $vgpr22
.LBB87_4710:
	s_mov_b32 s24, 0
.LBB87_4711:
	s_delay_alu instid0(SALU_CYCLE_1)
	s_and_b32 vcc_lo, exec_lo, s24
	s_cbranch_vccz .LBB87_4715
; %bb.4712:
	s_cmp_eq_u32 s57, 29
	s_cbranch_scc0 .LBB87_4714
; %bb.4713:
	global_load_b32 v22, v[24:25], off
	s_mov_b32 s0, 0
	s_mov_b32 s9, -1
	s_branch .LBB87_4715
.LBB87_4714:
	s_mov_b32 s0, -1
                                        ; implicit-def: $vgpr22
.LBB87_4715:
	s_mov_b32 s24, 0
.LBB87_4716:
	s_delay_alu instid0(SALU_CYCLE_1)
	s_and_b32 vcc_lo, exec_lo, s24
	s_cbranch_vccz .LBB87_4732
; %bb.4717:
	s_cmp_lt_i32 s57, 27
	s_cbranch_scc1 .LBB87_4720
; %bb.4718:
	s_cmp_gt_i32 s57, 27
	s_cbranch_scc0 .LBB87_4721
; %bb.4719:
	s_wait_loadcnt 0x0
	global_load_b32 v22, v[24:25], off
	s_mov_b32 s9, 0
	s_branch .LBB87_4722
.LBB87_4720:
	s_mov_b32 s9, -1
                                        ; implicit-def: $vgpr22
	s_branch .LBB87_4725
.LBB87_4721:
	s_mov_b32 s9, -1
                                        ; implicit-def: $vgpr22
.LBB87_4722:
	s_delay_alu instid0(SALU_CYCLE_1)
	s_and_not1_b32 vcc_lo, exec_lo, s9
	s_cbranch_vccnz .LBB87_4724
; %bb.4723:
	s_wait_loadcnt 0x0
	global_load_u16 v22, v[24:25], off
.LBB87_4724:
	s_mov_b32 s9, 0
.LBB87_4725:
	s_delay_alu instid0(SALU_CYCLE_1)
	s_and_not1_b32 vcc_lo, exec_lo, s9
	s_cbranch_vccnz .LBB87_4731
; %bb.4726:
	global_load_u8 v11, v[24:25], off
	s_mov_b32 s24, 0
	s_mov_b32 s9, exec_lo
	s_wait_loadcnt 0x0
	v_cmpx_lt_i16_e32 0x7f, v11
	s_xor_b32 s9, exec_lo, s9
	s_cbranch_execz .LBB87_4743
; %bb.4727:
	v_cmp_ne_u16_e32 vcc_lo, 0x80, v11
	s_and_b32 s24, vcc_lo, exec_lo
	s_and_not1_saveexec_b32 s9, s9
	s_cbranch_execnz .LBB87_4744
.LBB87_4728:
	s_or_b32 exec_lo, exec_lo, s9
	v_mov_b32_e32 v22, 0
	s_and_saveexec_b32 s9, s24
	s_cbranch_execz .LBB87_4730
.LBB87_4729:
	v_and_b32_e32 v13, 0xffff, v11
	s_delay_alu instid0(VALU_DEP_1) | instskip(SKIP_1) | instid1(VALU_DEP_2)
	v_dual_lshlrev_b32 v11, 24, v11 :: v_dual_bitop2_b32 v15, 7, v13 bitop3:0x40
	v_bfe_u32 v21, v13, 3, 4
	v_and_b32_e32 v11, 0x80000000, v11
	s_delay_alu instid0(VALU_DEP_3) | instskip(NEXT) | instid1(VALU_DEP_3)
	v_clz_i32_u32_e32 v17, v15
	v_cmp_eq_u32_e32 vcc_lo, 0, v21
	s_delay_alu instid0(VALU_DEP_2) | instskip(NEXT) | instid1(VALU_DEP_1)
	v_min_u32_e32 v17, 32, v17
	v_subrev_nc_u32_e32 v19, 28, v17
	v_sub_nc_u32_e32 v17, 29, v17
	s_delay_alu instid0(VALU_DEP_2) | instskip(NEXT) | instid1(VALU_DEP_2)
	v_lshlrev_b32_e32 v13, v19, v13
	v_cndmask_b32_e32 v17, v21, v17, vcc_lo
	s_delay_alu instid0(VALU_DEP_2) | instskip(NEXT) | instid1(VALU_DEP_1)
	v_and_b32_e32 v13, 7, v13
	v_cndmask_b32_e32 v13, v15, v13, vcc_lo
	s_delay_alu instid0(VALU_DEP_3) | instskip(NEXT) | instid1(VALU_DEP_2)
	v_lshl_add_u32 v15, v17, 23, 0x3b800000
	v_lshlrev_b32_e32 v13, 20, v13
	s_delay_alu instid0(VALU_DEP_1) | instskip(NEXT) | instid1(VALU_DEP_1)
	v_or3_b32 v11, v11, v15, v13
	v_cvt_i32_f32_e32 v22, v11
.LBB87_4730:
	s_or_b32 exec_lo, exec_lo, s9
.LBB87_4731:
	s_mov_b32 s9, -1
.LBB87_4732:
	s_mov_b32 s24, 0
.LBB87_4733:
	s_delay_alu instid0(SALU_CYCLE_1)
	s_and_b32 vcc_lo, exec_lo, s24
	s_cbranch_vccz .LBB87_4764
; %bb.4734:
	s_cmp_gt_i32 s57, 22
	s_cbranch_scc0 .LBB87_4742
; %bb.4735:
	s_cmp_lt_i32 s57, 24
	s_cbranch_scc1 .LBB87_4745
; %bb.4736:
	s_cmp_gt_i32 s57, 24
	s_cbranch_scc0 .LBB87_4746
; %bb.4737:
	global_load_u8 v11, v[24:25], off
	s_mov_b32 s9, 0
	s_mov_b32 s1, exec_lo
	s_wait_loadcnt 0x0
	v_cmpx_lt_i16_e32 0x7f, v11
	s_xor_b32 s1, exec_lo, s1
	s_cbranch_execz .LBB87_4758
; %bb.4738:
	v_cmp_ne_u16_e32 vcc_lo, 0x80, v11
	s_and_b32 s9, vcc_lo, exec_lo
	s_and_not1_saveexec_b32 s1, s1
	s_cbranch_execnz .LBB87_4759
.LBB87_4739:
	s_or_b32 exec_lo, exec_lo, s1
	v_mov_b32_e32 v22, 0
	s_and_saveexec_b32 s1, s9
	s_cbranch_execz .LBB87_4741
.LBB87_4740:
	v_and_b32_e32 v13, 0xffff, v11
	s_delay_alu instid0(VALU_DEP_1) | instskip(SKIP_1) | instid1(VALU_DEP_2)
	v_dual_lshlrev_b32 v11, 24, v11 :: v_dual_bitop2_b32 v15, 3, v13 bitop3:0x40
	v_bfe_u32 v21, v13, 2, 5
	v_and_b32_e32 v11, 0x80000000, v11
	s_delay_alu instid0(VALU_DEP_3) | instskip(NEXT) | instid1(VALU_DEP_3)
	v_clz_i32_u32_e32 v17, v15
	v_cmp_eq_u32_e32 vcc_lo, 0, v21
	s_delay_alu instid0(VALU_DEP_2) | instskip(NEXT) | instid1(VALU_DEP_1)
	v_min_u32_e32 v17, 32, v17
	v_subrev_nc_u32_e32 v19, 29, v17
	v_sub_nc_u32_e32 v17, 30, v17
	s_delay_alu instid0(VALU_DEP_2) | instskip(NEXT) | instid1(VALU_DEP_2)
	v_lshlrev_b32_e32 v13, v19, v13
	v_cndmask_b32_e32 v17, v21, v17, vcc_lo
	s_delay_alu instid0(VALU_DEP_2) | instskip(NEXT) | instid1(VALU_DEP_1)
	v_and_b32_e32 v13, 3, v13
	v_cndmask_b32_e32 v13, v15, v13, vcc_lo
	s_delay_alu instid0(VALU_DEP_3) | instskip(NEXT) | instid1(VALU_DEP_2)
	v_lshl_add_u32 v15, v17, 23, 0x37800000
	v_lshlrev_b32_e32 v13, 21, v13
	s_delay_alu instid0(VALU_DEP_1) | instskip(NEXT) | instid1(VALU_DEP_1)
	v_or3_b32 v11, v11, v15, v13
	v_cvt_i32_f32_e32 v22, v11
.LBB87_4741:
	s_or_b32 exec_lo, exec_lo, s1
	s_mov_b32 s1, 0
	s_branch .LBB87_4747
.LBB87_4742:
	s_mov_b32 s1, -1
                                        ; implicit-def: $vgpr22
	s_branch .LBB87_4753
.LBB87_4743:
	s_and_not1_saveexec_b32 s9, s9
	s_cbranch_execz .LBB87_4728
.LBB87_4744:
	v_cmp_ne_u16_e32 vcc_lo, 0, v11
	s_and_not1_b32 s24, s24, exec_lo
	s_and_b32 s25, vcc_lo, exec_lo
	s_delay_alu instid0(SALU_CYCLE_1)
	s_or_b32 s24, s24, s25
	s_or_b32 exec_lo, exec_lo, s9
	v_mov_b32_e32 v22, 0
	s_and_saveexec_b32 s9, s24
	s_cbranch_execnz .LBB87_4729
	s_branch .LBB87_4730
.LBB87_4745:
	s_mov_b32 s1, -1
                                        ; implicit-def: $vgpr22
	s_branch .LBB87_4750
.LBB87_4746:
	s_mov_b32 s1, -1
                                        ; implicit-def: $vgpr22
.LBB87_4747:
	s_delay_alu instid0(SALU_CYCLE_1)
	s_and_b32 vcc_lo, exec_lo, s1
	s_cbranch_vccz .LBB87_4749
; %bb.4748:
	global_load_u8 v11, v[24:25], off
	s_wait_loadcnt 0x0
	v_lshlrev_b32_e32 v11, 24, v11
	s_delay_alu instid0(VALU_DEP_1) | instskip(NEXT) | instid1(VALU_DEP_1)
	v_and_b32_e32 v13, 0x7f000000, v11
	v_clz_i32_u32_e32 v15, v13
	v_add_nc_u32_e32 v19, 0x1000000, v13
	v_cmp_ne_u32_e32 vcc_lo, 0, v13
	s_delay_alu instid0(VALU_DEP_3) | instskip(NEXT) | instid1(VALU_DEP_1)
	v_min_u32_e32 v15, 32, v15
	v_sub_nc_u32_e64 v15, v15, 4 clamp
	s_delay_alu instid0(VALU_DEP_1) | instskip(NEXT) | instid1(VALU_DEP_1)
	v_dual_lshlrev_b32 v17, v15, v13 :: v_dual_lshlrev_b32 v15, 23, v15
	v_lshrrev_b32_e32 v17, 4, v17
	s_delay_alu instid0(VALU_DEP_1) | instskip(SKIP_1) | instid1(VALU_DEP_2)
	v_sub_nc_u32_e32 v15, v17, v15
	v_ashrrev_i32_e32 v17, 8, v19
	v_add_nc_u32_e32 v15, 0x3c000000, v15
	s_delay_alu instid0(VALU_DEP_1) | instskip(NEXT) | instid1(VALU_DEP_1)
	v_and_or_b32 v15, 0x7f800000, v17, v15
	v_cndmask_b32_e32 v13, 0, v15, vcc_lo
	s_delay_alu instid0(VALU_DEP_1) | instskip(NEXT) | instid1(VALU_DEP_1)
	v_and_or_b32 v11, 0x80000000, v11, v13
	v_cvt_i32_f32_e32 v22, v11
.LBB87_4749:
	s_mov_b32 s1, 0
.LBB87_4750:
	s_delay_alu instid0(SALU_CYCLE_1)
	s_and_not1_b32 vcc_lo, exec_lo, s1
	s_cbranch_vccnz .LBB87_4752
; %bb.4751:
	global_load_u8 v11, v[24:25], off
	s_wait_loadcnt 0x0
	v_lshlrev_b32_e32 v13, 25, v11
	v_lshlrev_b16 v11, 8, v11
	s_delay_alu instid0(VALU_DEP_1) | instskip(SKIP_1) | instid1(VALU_DEP_2)
	v_and_or_b32 v17, 0x7f00, v11, 0.5
	v_bfe_i32 v11, v11, 0, 16
	v_add_f32_e32 v17, -0.5, v17
	v_lshrrev_b32_e32 v15, 4, v13
	v_cmp_gt_u32_e32 vcc_lo, 0x8000000, v13
	s_delay_alu instid0(VALU_DEP_2) | instskip(NEXT) | instid1(VALU_DEP_1)
	v_or_b32_e32 v15, 0x70000000, v15
	v_mul_f32_e32 v15, 0x7800000, v15
	s_delay_alu instid0(VALU_DEP_1) | instskip(NEXT) | instid1(VALU_DEP_1)
	v_cndmask_b32_e32 v13, v15, v17, vcc_lo
	v_and_or_b32 v11, 0x80000000, v11, v13
	s_delay_alu instid0(VALU_DEP_1)
	v_cvt_i32_f32_e32 v22, v11
.LBB87_4752:
	s_mov_b32 s1, 0
	s_mov_b32 s9, -1
.LBB87_4753:
	s_and_not1_b32 vcc_lo, exec_lo, s1
	s_mov_b32 s1, 0
	s_cbranch_vccnz .LBB87_4764
; %bb.4754:
	s_cmp_gt_i32 s57, 14
	s_cbranch_scc0 .LBB87_4757
; %bb.4755:
	s_cmp_eq_u32 s57, 15
	s_cbranch_scc0 .LBB87_4760
; %bb.4756:
	global_load_u16 v11, v[24:25], off
	s_mov_b32 s0, 0
	s_mov_b32 s9, -1
	s_wait_loadcnt 0x0
	v_lshlrev_b32_e32 v11, 16, v11
	s_delay_alu instid0(VALU_DEP_1)
	v_cvt_i32_f32_e32 v22, v11
	s_branch .LBB87_4762
.LBB87_4757:
	s_mov_b32 s1, -1
	s_branch .LBB87_4761
.LBB87_4758:
	s_and_not1_saveexec_b32 s1, s1
	s_cbranch_execz .LBB87_4739
.LBB87_4759:
	v_cmp_ne_u16_e32 vcc_lo, 0, v11
	s_and_not1_b32 s9, s9, exec_lo
	s_and_b32 s24, vcc_lo, exec_lo
	s_delay_alu instid0(SALU_CYCLE_1)
	s_or_b32 s9, s9, s24
	s_or_b32 exec_lo, exec_lo, s1
	v_mov_b32_e32 v22, 0
	s_and_saveexec_b32 s1, s9
	s_cbranch_execnz .LBB87_4740
	s_branch .LBB87_4741
.LBB87_4760:
	s_mov_b32 s0, -1
.LBB87_4761:
                                        ; implicit-def: $vgpr22
.LBB87_4762:
	s_and_b32 vcc_lo, exec_lo, s1
	s_mov_b32 s1, 0
	s_cbranch_vccz .LBB87_4764
; %bb.4763:
	s_cmp_lg_u32 s57, 11
	s_mov_b32 s1, -1
	s_cselect_b32 s0, -1, 0
.LBB87_4764:
	s_delay_alu instid0(SALU_CYCLE_1)
	s_and_b32 vcc_lo, exec_lo, s0
	s_cbranch_vccnz .LBB87_4829
; %bb.4765:
	s_and_not1_b32 vcc_lo, exec_lo, s1
	s_cbranch_vccnz .LBB87_4767
.LBB87_4766:
	global_load_u8 v11, v[24:25], off
	s_mov_b32 s9, -1
	s_wait_loadcnt 0x0
	v_cmp_ne_u16_e32 vcc_lo, 0, v11
	v_cndmask_b32_e64 v22, 0, 1, vcc_lo
.LBB87_4767:
	s_mov_b32 s0, 0
.LBB87_4768:
	s_delay_alu instid0(SALU_CYCLE_1)
	s_and_b32 vcc_lo, exec_lo, s0
	s_cbranch_vccz .LBB87_4817
; %bb.4769:
	s_cmp_lt_i32 s57, 5
	s_cbranch_scc1 .LBB87_4774
; %bb.4770:
	s_cmp_lt_i32 s57, 8
	s_cbranch_scc1 .LBB87_4775
	;; [unrolled: 3-line block ×3, first 2 shown]
; %bb.4772:
	s_cmp_gt_i32 s57, 9
	s_cbranch_scc0 .LBB87_4777
; %bb.4773:
	s_wait_loadcnt 0x0
	global_load_b64 v[22:23], v[24:25], off
	s_mov_b32 s0, 0
	s_wait_loadcnt 0x0
	v_cvt_i32_f64_e32 v22, v[22:23]
	s_branch .LBB87_4778
.LBB87_4774:
	s_mov_b32 s0, -1
                                        ; implicit-def: $vgpr22
	s_branch .LBB87_4796
.LBB87_4775:
	s_mov_b32 s0, -1
                                        ; implicit-def: $vgpr22
	s_branch .LBB87_4784
.LBB87_4776:
	s_mov_b32 s0, -1
                                        ; implicit-def: $vgpr22
	s_branch .LBB87_4781
.LBB87_4777:
	s_mov_b32 s0, -1
                                        ; implicit-def: $vgpr22
.LBB87_4778:
	s_delay_alu instid0(SALU_CYCLE_1)
	s_and_not1_b32 vcc_lo, exec_lo, s0
	s_cbranch_vccnz .LBB87_4780
; %bb.4779:
	global_load_b32 v11, v[24:25], off
	s_wait_loadcnt 0x0
	v_cvt_i32_f32_e32 v22, v11
.LBB87_4780:
	s_mov_b32 s0, 0
.LBB87_4781:
	s_delay_alu instid0(SALU_CYCLE_1)
	s_and_not1_b32 vcc_lo, exec_lo, s0
	s_cbranch_vccnz .LBB87_4783
; %bb.4782:
	global_load_b32 v11, v[24:25], off
	s_wait_loadcnt 0x0
	v_cvt_f32_f16_e32 v11, v11
	s_delay_alu instid0(VALU_DEP_1)
	v_cvt_i32_f32_e32 v22, v11
.LBB87_4783:
	s_mov_b32 s0, 0
.LBB87_4784:
	s_delay_alu instid0(SALU_CYCLE_1)
	s_and_not1_b32 vcc_lo, exec_lo, s0
	s_cbranch_vccnz .LBB87_4795
; %bb.4785:
	s_cmp_lt_i32 s57, 6
	s_cbranch_scc1 .LBB87_4788
; %bb.4786:
	s_cmp_gt_i32 s57, 6
	s_cbranch_scc0 .LBB87_4789
; %bb.4787:
	s_wait_loadcnt 0x0
	global_load_b64 v[22:23], v[24:25], off
	s_mov_b32 s0, 0
	s_wait_loadcnt 0x0
	v_cvt_i32_f64_e32 v22, v[22:23]
	s_branch .LBB87_4790
.LBB87_4788:
	s_mov_b32 s0, -1
                                        ; implicit-def: $vgpr22
	s_branch .LBB87_4793
.LBB87_4789:
	s_mov_b32 s0, -1
                                        ; implicit-def: $vgpr22
.LBB87_4790:
	s_delay_alu instid0(SALU_CYCLE_1)
	s_and_not1_b32 vcc_lo, exec_lo, s0
	s_cbranch_vccnz .LBB87_4792
; %bb.4791:
	global_load_b32 v11, v[24:25], off
	s_wait_loadcnt 0x0
	v_cvt_i32_f32_e32 v22, v11
.LBB87_4792:
	s_mov_b32 s0, 0
.LBB87_4793:
	s_delay_alu instid0(SALU_CYCLE_1)
	s_and_not1_b32 vcc_lo, exec_lo, s0
	s_cbranch_vccnz .LBB87_4795
; %bb.4794:
	global_load_u16 v11, v[24:25], off
	s_wait_loadcnt 0x0
	v_cvt_f32_f16_e32 v11, v11
	s_delay_alu instid0(VALU_DEP_1)
	v_cvt_i32_f32_e32 v22, v11
.LBB87_4795:
	s_mov_b32 s0, 0
.LBB87_4796:
	s_delay_alu instid0(SALU_CYCLE_1)
	s_and_not1_b32 vcc_lo, exec_lo, s0
	s_cbranch_vccnz .LBB87_4816
; %bb.4797:
	s_cmp_lt_i32 s57, 2
	s_cbranch_scc1 .LBB87_4801
; %bb.4798:
	s_cmp_lt_i32 s57, 3
	s_cbranch_scc1 .LBB87_4802
; %bb.4799:
	s_cmp_gt_i32 s57, 3
	s_cbranch_scc0 .LBB87_4803
; %bb.4800:
	s_wait_loadcnt 0x0
	global_load_b32 v22, v[24:25], off
	s_mov_b32 s0, 0
	s_branch .LBB87_4804
.LBB87_4801:
	s_mov_b32 s0, -1
                                        ; implicit-def: $vgpr22
	s_branch .LBB87_4810
.LBB87_4802:
	s_mov_b32 s0, -1
                                        ; implicit-def: $vgpr22
	s_branch .LBB87_4807
.LBB87_4803:
	s_mov_b32 s0, -1
                                        ; implicit-def: $vgpr22
.LBB87_4804:
	s_delay_alu instid0(SALU_CYCLE_1)
	s_and_not1_b32 vcc_lo, exec_lo, s0
	s_cbranch_vccnz .LBB87_4806
; %bb.4805:
	s_wait_loadcnt 0x0
	global_load_b32 v22, v[24:25], off
.LBB87_4806:
	s_mov_b32 s0, 0
.LBB87_4807:
	s_delay_alu instid0(SALU_CYCLE_1)
	s_and_not1_b32 vcc_lo, exec_lo, s0
	s_cbranch_vccnz .LBB87_4809
; %bb.4808:
	s_wait_loadcnt 0x0
	global_load_i16 v22, v[24:25], off
.LBB87_4809:
	s_mov_b32 s0, 0
.LBB87_4810:
	s_delay_alu instid0(SALU_CYCLE_1)
	s_and_not1_b32 vcc_lo, exec_lo, s0
	s_cbranch_vccnz .LBB87_4816
; %bb.4811:
	s_cmp_gt_i32 s57, 0
	s_mov_b32 s0, 0
	s_cbranch_scc0 .LBB87_4813
; %bb.4812:
	s_wait_loadcnt 0x0
	global_load_i8 v22, v[24:25], off
	s_branch .LBB87_4814
.LBB87_4813:
	s_mov_b32 s0, -1
                                        ; implicit-def: $vgpr22
.LBB87_4814:
	s_delay_alu instid0(SALU_CYCLE_1)
	s_and_not1_b32 vcc_lo, exec_lo, s0
	s_cbranch_vccnz .LBB87_4816
; %bb.4815:
	s_wait_loadcnt 0x0
	global_load_u8 v22, v[24:25], off
.LBB87_4816:
	s_mov_b32 s9, -1
.LBB87_4817:
	s_delay_alu instid0(SALU_CYCLE_1)
	s_and_not1_b32 vcc_lo, exec_lo, s9
	s_cbranch_vccnz .LBB87_5081
; %bb.4818:
	v_mov_b32_e32 v21, 0
	s_cmp_lt_i32 s58, 11
	s_wait_xcnt 0x0
	s_delay_alu instid0(VALU_DEP_1)
	v_add_nc_u64_e32 v[24:25], s[16:17], v[20:21]
	s_cbranch_scc1 .LBB87_4825
; %bb.4819:
	s_cmp_gt_i32 s58, 25
	s_mov_b32 s1, 0
	s_cbranch_scc0 .LBB87_4826
; %bb.4820:
	s_cmp_gt_i32 s58, 28
	s_cbranch_scc0 .LBB87_4827
; %bb.4821:
	s_cmp_gt_i32 s58, 43
	;; [unrolled: 3-line block ×3, first 2 shown]
	s_cbranch_scc0 .LBB87_4830
; %bb.4823:
	s_cmp_eq_u32 s58, 46
	s_mov_b32 s24, 0
	s_cbranch_scc0 .LBB87_4832
; %bb.4824:
	global_load_b32 v11, v[24:25], off
	s_mov_b32 s0, 0
	s_mov_b32 s9, -1
	s_wait_loadcnt 0x0
	v_lshlrev_b32_e32 v11, 16, v11
	s_delay_alu instid0(VALU_DEP_1)
	v_cvt_i32_f32_e32 v20, v11
	s_branch .LBB87_4834
.LBB87_4825:
	s_mov_b32 s0, -1
	s_mov_b32 s9, 0
                                        ; implicit-def: $vgpr20
	s_branch .LBB87_4896
.LBB87_4826:
	s_mov_b32 s24, -1
	s_mov_b32 s9, 0
	s_mov_b32 s0, 0
                                        ; implicit-def: $vgpr20
	s_branch .LBB87_4861
.LBB87_4827:
	s_mov_b32 s24, -1
	s_mov_b32 s9, 0
	s_mov_b32 s0, 0
                                        ; implicit-def: $vgpr20
	s_branch .LBB87_4844
.LBB87_4828:
	s_mov_b32 s24, -1
	s_mov_b32 s9, 0
	s_mov_b32 s0, 0
                                        ; implicit-def: $vgpr20
	s_branch .LBB87_4839
.LBB87_4829:
	s_or_b32 s54, s54, exec_lo
	s_trap 2
	s_cbranch_execz .LBB87_4766
	s_branch .LBB87_4767
.LBB87_4830:
	s_mov_b32 s24, -1
	s_mov_b32 s9, 0
	s_mov_b32 s0, 0
	s_branch .LBB87_4833
.LBB87_4831:
	s_or_b32 s50, s48, exec_lo
	s_trap 2
                                        ; implicit-def: $vgpr32
                                        ; implicit-def: $vgpr30
                                        ; implicit-def: $vgpr34
                                        ; implicit-def: $vgpr5
                                        ; implicit-def: $vgpr6
                                        ; implicit-def: $vgpr4
                                        ; implicit-def: $vgpr20
                                        ; implicit-def: $vgpr18
                                        ; implicit-def: $vgpr24
                                        ; implicit-def: $vgpr22
                                        ; implicit-def: $vgpr2
                                        ; implicit-def: $vgpr26
                                        ; implicit-def: $vgpr10
                                        ; implicit-def: $vgpr8
                                        ; implicit-def: $vgpr14
                                        ; implicit-def: $vgpr12
                                        ; implicit-def: $vgpr0
                                        ; implicit-def: $vgpr16
                                        ; implicit-def: $vgpr1
                                        ; implicit-def: $vgpr3
	s_or_saveexec_b32 s51, s0
	s_mov_b32 s1, 0
                                        ; implicit-def: $vgpr38_vgpr39
                                        ; implicit-def: $sgpr0
	s_xor_b32 exec_lo, exec_lo, s51
	s_cbranch_execz .LBB87_5084
	s_branch .LBB87_4413
.LBB87_4832:
	s_mov_b32 s0, -1
	s_mov_b32 s9, 0
.LBB87_4833:
                                        ; implicit-def: $vgpr20
.LBB87_4834:
	s_and_b32 vcc_lo, exec_lo, s24
	s_cbranch_vccz .LBB87_4838
; %bb.4835:
	s_cmp_eq_u32 s58, 44
	s_cbranch_scc0 .LBB87_4837
; %bb.4836:
	global_load_u8 v11, v[24:25], off
	s_mov_b32 s0, 0
	s_mov_b32 s9, -1
	s_wait_loadcnt 0x0
	v_lshlrev_b32_e32 v13, 23, v11
	v_cmp_ne_u32_e32 vcc_lo, 0, v11
	s_delay_alu instid0(VALU_DEP_2) | instskip(NEXT) | instid1(VALU_DEP_1)
	v_cvt_i32_f32_e32 v13, v13
	v_cndmask_b32_e32 v20, 0, v13, vcc_lo
	s_branch .LBB87_4838
.LBB87_4837:
	s_mov_b32 s0, -1
                                        ; implicit-def: $vgpr20
.LBB87_4838:
	s_mov_b32 s24, 0
.LBB87_4839:
	s_delay_alu instid0(SALU_CYCLE_1)
	s_and_b32 vcc_lo, exec_lo, s24
	s_cbranch_vccz .LBB87_4843
; %bb.4840:
	s_cmp_eq_u32 s58, 29
	s_cbranch_scc0 .LBB87_4842
; %bb.4841:
	global_load_b32 v20, v[24:25], off
	s_mov_b32 s0, 0
	s_mov_b32 s9, -1
	s_branch .LBB87_4843
.LBB87_4842:
	s_mov_b32 s0, -1
                                        ; implicit-def: $vgpr20
.LBB87_4843:
	s_mov_b32 s24, 0
.LBB87_4844:
	s_delay_alu instid0(SALU_CYCLE_1)
	s_and_b32 vcc_lo, exec_lo, s24
	s_cbranch_vccz .LBB87_4860
; %bb.4845:
	s_cmp_lt_i32 s58, 27
	s_cbranch_scc1 .LBB87_4848
; %bb.4846:
	s_cmp_gt_i32 s58, 27
	s_cbranch_scc0 .LBB87_4849
; %bb.4847:
	s_wait_loadcnt 0x0
	global_load_b32 v20, v[24:25], off
	s_mov_b32 s9, 0
	s_branch .LBB87_4850
.LBB87_4848:
	s_mov_b32 s9, -1
                                        ; implicit-def: $vgpr20
	s_branch .LBB87_4853
.LBB87_4849:
	s_mov_b32 s9, -1
                                        ; implicit-def: $vgpr20
.LBB87_4850:
	s_delay_alu instid0(SALU_CYCLE_1)
	s_and_not1_b32 vcc_lo, exec_lo, s9
	s_cbranch_vccnz .LBB87_4852
; %bb.4851:
	s_wait_loadcnt 0x0
	global_load_u16 v20, v[24:25], off
.LBB87_4852:
	s_mov_b32 s9, 0
.LBB87_4853:
	s_delay_alu instid0(SALU_CYCLE_1)
	s_and_not1_b32 vcc_lo, exec_lo, s9
	s_cbranch_vccnz .LBB87_4859
; %bb.4854:
	global_load_u8 v11, v[24:25], off
	s_mov_b32 s24, 0
	s_mov_b32 s9, exec_lo
	s_wait_loadcnt 0x0
	v_cmpx_lt_i16_e32 0x7f, v11
	s_xor_b32 s9, exec_lo, s9
	s_cbranch_execz .LBB87_4871
; %bb.4855:
	v_cmp_ne_u16_e32 vcc_lo, 0x80, v11
	s_and_b32 s24, vcc_lo, exec_lo
	s_and_not1_saveexec_b32 s9, s9
	s_cbranch_execnz .LBB87_4872
.LBB87_4856:
	s_or_b32 exec_lo, exec_lo, s9
	v_mov_b32_e32 v20, 0
	s_and_saveexec_b32 s9, s24
	s_cbranch_execz .LBB87_4858
.LBB87_4857:
	v_and_b32_e32 v13, 0xffff, v11
	s_delay_alu instid0(VALU_DEP_1) | instskip(SKIP_1) | instid1(VALU_DEP_2)
	v_dual_lshlrev_b32 v11, 24, v11 :: v_dual_bitop2_b32 v15, 7, v13 bitop3:0x40
	v_bfe_u32 v20, v13, 3, 4
	v_and_b32_e32 v11, 0x80000000, v11
	s_delay_alu instid0(VALU_DEP_3) | instskip(NEXT) | instid1(VALU_DEP_3)
	v_clz_i32_u32_e32 v17, v15
	v_cmp_eq_u32_e32 vcc_lo, 0, v20
	s_delay_alu instid0(VALU_DEP_2) | instskip(NEXT) | instid1(VALU_DEP_1)
	v_min_u32_e32 v17, 32, v17
	v_subrev_nc_u32_e32 v19, 28, v17
	v_sub_nc_u32_e32 v17, 29, v17
	s_delay_alu instid0(VALU_DEP_2) | instskip(NEXT) | instid1(VALU_DEP_2)
	v_lshlrev_b32_e32 v13, v19, v13
	v_cndmask_b32_e32 v17, v20, v17, vcc_lo
	s_delay_alu instid0(VALU_DEP_2) | instskip(NEXT) | instid1(VALU_DEP_1)
	v_and_b32_e32 v13, 7, v13
	v_cndmask_b32_e32 v13, v15, v13, vcc_lo
	s_delay_alu instid0(VALU_DEP_3) | instskip(NEXT) | instid1(VALU_DEP_2)
	v_lshl_add_u32 v15, v17, 23, 0x3b800000
	v_lshlrev_b32_e32 v13, 20, v13
	s_delay_alu instid0(VALU_DEP_1) | instskip(NEXT) | instid1(VALU_DEP_1)
	v_or3_b32 v11, v11, v15, v13
	v_cvt_i32_f32_e32 v20, v11
.LBB87_4858:
	s_or_b32 exec_lo, exec_lo, s9
.LBB87_4859:
	s_mov_b32 s9, -1
.LBB87_4860:
	s_mov_b32 s24, 0
.LBB87_4861:
	s_delay_alu instid0(SALU_CYCLE_1)
	s_and_b32 vcc_lo, exec_lo, s24
	s_cbranch_vccz .LBB87_4892
; %bb.4862:
	s_cmp_gt_i32 s58, 22
	s_cbranch_scc0 .LBB87_4870
; %bb.4863:
	s_cmp_lt_i32 s58, 24
	s_cbranch_scc1 .LBB87_4873
; %bb.4864:
	s_cmp_gt_i32 s58, 24
	s_cbranch_scc0 .LBB87_4874
; %bb.4865:
	global_load_u8 v11, v[24:25], off
	s_mov_b32 s9, 0
	s_mov_b32 s1, exec_lo
	s_wait_loadcnt 0x0
	v_cmpx_lt_i16_e32 0x7f, v11
	s_xor_b32 s1, exec_lo, s1
	s_cbranch_execz .LBB87_4886
; %bb.4866:
	v_cmp_ne_u16_e32 vcc_lo, 0x80, v11
	s_and_b32 s9, vcc_lo, exec_lo
	s_and_not1_saveexec_b32 s1, s1
	s_cbranch_execnz .LBB87_4887
.LBB87_4867:
	s_or_b32 exec_lo, exec_lo, s1
	v_mov_b32_e32 v20, 0
	s_and_saveexec_b32 s1, s9
	s_cbranch_execz .LBB87_4869
.LBB87_4868:
	v_and_b32_e32 v13, 0xffff, v11
	s_delay_alu instid0(VALU_DEP_1) | instskip(SKIP_1) | instid1(VALU_DEP_2)
	v_dual_lshlrev_b32 v11, 24, v11 :: v_dual_bitop2_b32 v15, 3, v13 bitop3:0x40
	v_bfe_u32 v20, v13, 2, 5
	v_and_b32_e32 v11, 0x80000000, v11
	s_delay_alu instid0(VALU_DEP_3) | instskip(NEXT) | instid1(VALU_DEP_3)
	v_clz_i32_u32_e32 v17, v15
	v_cmp_eq_u32_e32 vcc_lo, 0, v20
	s_delay_alu instid0(VALU_DEP_2) | instskip(NEXT) | instid1(VALU_DEP_1)
	v_min_u32_e32 v17, 32, v17
	v_subrev_nc_u32_e32 v19, 29, v17
	v_sub_nc_u32_e32 v17, 30, v17
	s_delay_alu instid0(VALU_DEP_2) | instskip(NEXT) | instid1(VALU_DEP_2)
	v_lshlrev_b32_e32 v13, v19, v13
	v_cndmask_b32_e32 v17, v20, v17, vcc_lo
	s_delay_alu instid0(VALU_DEP_2) | instskip(NEXT) | instid1(VALU_DEP_1)
	v_and_b32_e32 v13, 3, v13
	v_cndmask_b32_e32 v13, v15, v13, vcc_lo
	s_delay_alu instid0(VALU_DEP_3) | instskip(NEXT) | instid1(VALU_DEP_2)
	v_lshl_add_u32 v15, v17, 23, 0x37800000
	v_lshlrev_b32_e32 v13, 21, v13
	s_delay_alu instid0(VALU_DEP_1) | instskip(NEXT) | instid1(VALU_DEP_1)
	v_or3_b32 v11, v11, v15, v13
	v_cvt_i32_f32_e32 v20, v11
.LBB87_4869:
	s_or_b32 exec_lo, exec_lo, s1
	s_mov_b32 s1, 0
	s_branch .LBB87_4875
.LBB87_4870:
	s_mov_b32 s1, -1
                                        ; implicit-def: $vgpr20
	s_branch .LBB87_4881
.LBB87_4871:
	s_and_not1_saveexec_b32 s9, s9
	s_cbranch_execz .LBB87_4856
.LBB87_4872:
	v_cmp_ne_u16_e32 vcc_lo, 0, v11
	s_and_not1_b32 s24, s24, exec_lo
	s_and_b32 s25, vcc_lo, exec_lo
	s_delay_alu instid0(SALU_CYCLE_1)
	s_or_b32 s24, s24, s25
	s_or_b32 exec_lo, exec_lo, s9
	v_mov_b32_e32 v20, 0
	s_and_saveexec_b32 s9, s24
	s_cbranch_execnz .LBB87_4857
	s_branch .LBB87_4858
.LBB87_4873:
	s_mov_b32 s1, -1
                                        ; implicit-def: $vgpr20
	s_branch .LBB87_4878
.LBB87_4874:
	s_mov_b32 s1, -1
                                        ; implicit-def: $vgpr20
.LBB87_4875:
	s_delay_alu instid0(SALU_CYCLE_1)
	s_and_b32 vcc_lo, exec_lo, s1
	s_cbranch_vccz .LBB87_4877
; %bb.4876:
	global_load_u8 v11, v[24:25], off
	s_wait_loadcnt 0x0
	v_lshlrev_b32_e32 v11, 24, v11
	s_delay_alu instid0(VALU_DEP_1) | instskip(NEXT) | instid1(VALU_DEP_1)
	v_and_b32_e32 v13, 0x7f000000, v11
	v_clz_i32_u32_e32 v15, v13
	v_add_nc_u32_e32 v19, 0x1000000, v13
	v_cmp_ne_u32_e32 vcc_lo, 0, v13
	s_delay_alu instid0(VALU_DEP_3) | instskip(NEXT) | instid1(VALU_DEP_1)
	v_min_u32_e32 v15, 32, v15
	v_sub_nc_u32_e64 v15, v15, 4 clamp
	s_delay_alu instid0(VALU_DEP_1) | instskip(NEXT) | instid1(VALU_DEP_1)
	v_dual_lshlrev_b32 v17, v15, v13 :: v_dual_lshlrev_b32 v15, 23, v15
	v_lshrrev_b32_e32 v17, 4, v17
	s_delay_alu instid0(VALU_DEP_1) | instskip(SKIP_1) | instid1(VALU_DEP_2)
	v_sub_nc_u32_e32 v15, v17, v15
	v_ashrrev_i32_e32 v17, 8, v19
	v_add_nc_u32_e32 v15, 0x3c000000, v15
	s_delay_alu instid0(VALU_DEP_1) | instskip(NEXT) | instid1(VALU_DEP_1)
	v_and_or_b32 v15, 0x7f800000, v17, v15
	v_cndmask_b32_e32 v13, 0, v15, vcc_lo
	s_delay_alu instid0(VALU_DEP_1) | instskip(NEXT) | instid1(VALU_DEP_1)
	v_and_or_b32 v11, 0x80000000, v11, v13
	v_cvt_i32_f32_e32 v20, v11
.LBB87_4877:
	s_mov_b32 s1, 0
.LBB87_4878:
	s_delay_alu instid0(SALU_CYCLE_1)
	s_and_not1_b32 vcc_lo, exec_lo, s1
	s_cbranch_vccnz .LBB87_4880
; %bb.4879:
	global_load_u8 v11, v[24:25], off
	s_wait_loadcnt 0x0
	v_lshlrev_b32_e32 v13, 25, v11
	v_lshlrev_b16 v11, 8, v11
	s_delay_alu instid0(VALU_DEP_1) | instskip(SKIP_1) | instid1(VALU_DEP_2)
	v_and_or_b32 v17, 0x7f00, v11, 0.5
	v_bfe_i32 v11, v11, 0, 16
	v_add_f32_e32 v17, -0.5, v17
	v_lshrrev_b32_e32 v15, 4, v13
	v_cmp_gt_u32_e32 vcc_lo, 0x8000000, v13
	s_delay_alu instid0(VALU_DEP_2) | instskip(NEXT) | instid1(VALU_DEP_1)
	v_or_b32_e32 v15, 0x70000000, v15
	v_mul_f32_e32 v15, 0x7800000, v15
	s_delay_alu instid0(VALU_DEP_1) | instskip(NEXT) | instid1(VALU_DEP_1)
	v_cndmask_b32_e32 v13, v15, v17, vcc_lo
	v_and_or_b32 v11, 0x80000000, v11, v13
	s_delay_alu instid0(VALU_DEP_1)
	v_cvt_i32_f32_e32 v20, v11
.LBB87_4880:
	s_mov_b32 s1, 0
	s_mov_b32 s9, -1
.LBB87_4881:
	s_and_not1_b32 vcc_lo, exec_lo, s1
	s_mov_b32 s1, 0
	s_cbranch_vccnz .LBB87_4892
; %bb.4882:
	s_cmp_gt_i32 s58, 14
	s_cbranch_scc0 .LBB87_4885
; %bb.4883:
	s_cmp_eq_u32 s58, 15
	s_cbranch_scc0 .LBB87_4888
; %bb.4884:
	global_load_u16 v11, v[24:25], off
	s_mov_b32 s0, 0
	s_mov_b32 s9, -1
	s_wait_loadcnt 0x0
	v_lshlrev_b32_e32 v11, 16, v11
	s_delay_alu instid0(VALU_DEP_1)
	v_cvt_i32_f32_e32 v20, v11
	s_branch .LBB87_4890
.LBB87_4885:
	s_mov_b32 s1, -1
	s_branch .LBB87_4889
.LBB87_4886:
	s_and_not1_saveexec_b32 s1, s1
	s_cbranch_execz .LBB87_4867
.LBB87_4887:
	v_cmp_ne_u16_e32 vcc_lo, 0, v11
	s_and_not1_b32 s9, s9, exec_lo
	s_and_b32 s24, vcc_lo, exec_lo
	s_delay_alu instid0(SALU_CYCLE_1)
	s_or_b32 s9, s9, s24
	s_or_b32 exec_lo, exec_lo, s1
	v_mov_b32_e32 v20, 0
	s_and_saveexec_b32 s1, s9
	s_cbranch_execnz .LBB87_4868
	s_branch .LBB87_4869
.LBB87_4888:
	s_mov_b32 s0, -1
.LBB87_4889:
                                        ; implicit-def: $vgpr20
.LBB87_4890:
	s_and_b32 vcc_lo, exec_lo, s1
	s_mov_b32 s1, 0
	s_cbranch_vccz .LBB87_4892
; %bb.4891:
	s_cmp_lg_u32 s58, 11
	s_mov_b32 s1, -1
	s_cselect_b32 s0, -1, 0
.LBB87_4892:
	s_delay_alu instid0(SALU_CYCLE_1)
	s_and_b32 vcc_lo, exec_lo, s0
	s_cbranch_vccnz .LBB87_4957
; %bb.4893:
	s_and_not1_b32 vcc_lo, exec_lo, s1
	s_cbranch_vccnz .LBB87_4895
.LBB87_4894:
	global_load_u8 v11, v[24:25], off
	s_mov_b32 s9, -1
	s_wait_loadcnt 0x0
	v_cmp_ne_u16_e32 vcc_lo, 0, v11
	v_cndmask_b32_e64 v20, 0, 1, vcc_lo
.LBB87_4895:
	s_mov_b32 s0, 0
.LBB87_4896:
	s_delay_alu instid0(SALU_CYCLE_1)
	s_and_b32 vcc_lo, exec_lo, s0
	s_cbranch_vccz .LBB87_4945
; %bb.4897:
	s_cmp_lt_i32 s58, 5
	s_cbranch_scc1 .LBB87_4902
; %bb.4898:
	s_cmp_lt_i32 s58, 8
	s_cbranch_scc1 .LBB87_4903
	;; [unrolled: 3-line block ×3, first 2 shown]
; %bb.4900:
	s_cmp_gt_i32 s58, 9
	s_cbranch_scc0 .LBB87_4905
; %bb.4901:
	s_wait_loadcnt 0x0
	global_load_b64 v[20:21], v[24:25], off
	s_mov_b32 s0, 0
	s_wait_loadcnt 0x0
	v_cvt_i32_f64_e32 v20, v[20:21]
	s_branch .LBB87_4906
.LBB87_4902:
	s_mov_b32 s0, -1
                                        ; implicit-def: $vgpr20
	s_branch .LBB87_4924
.LBB87_4903:
	s_mov_b32 s0, -1
                                        ; implicit-def: $vgpr20
	s_branch .LBB87_4912
.LBB87_4904:
	s_mov_b32 s0, -1
                                        ; implicit-def: $vgpr20
	s_branch .LBB87_4909
.LBB87_4905:
	s_mov_b32 s0, -1
                                        ; implicit-def: $vgpr20
.LBB87_4906:
	s_delay_alu instid0(SALU_CYCLE_1)
	s_and_not1_b32 vcc_lo, exec_lo, s0
	s_cbranch_vccnz .LBB87_4908
; %bb.4907:
	global_load_b32 v11, v[24:25], off
	s_wait_loadcnt 0x0
	v_cvt_i32_f32_e32 v20, v11
.LBB87_4908:
	s_mov_b32 s0, 0
.LBB87_4909:
	s_delay_alu instid0(SALU_CYCLE_1)
	s_and_not1_b32 vcc_lo, exec_lo, s0
	s_cbranch_vccnz .LBB87_4911
; %bb.4910:
	global_load_b32 v11, v[24:25], off
	s_wait_loadcnt 0x0
	v_cvt_f32_f16_e32 v11, v11
	s_delay_alu instid0(VALU_DEP_1)
	v_cvt_i32_f32_e32 v20, v11
.LBB87_4911:
	s_mov_b32 s0, 0
.LBB87_4912:
	s_delay_alu instid0(SALU_CYCLE_1)
	s_and_not1_b32 vcc_lo, exec_lo, s0
	s_cbranch_vccnz .LBB87_4923
; %bb.4913:
	s_cmp_lt_i32 s58, 6
	s_cbranch_scc1 .LBB87_4916
; %bb.4914:
	s_cmp_gt_i32 s58, 6
	s_cbranch_scc0 .LBB87_4917
; %bb.4915:
	s_wait_loadcnt 0x0
	global_load_b64 v[20:21], v[24:25], off
	s_mov_b32 s0, 0
	s_wait_loadcnt 0x0
	v_cvt_i32_f64_e32 v20, v[20:21]
	s_branch .LBB87_4918
.LBB87_4916:
	s_mov_b32 s0, -1
                                        ; implicit-def: $vgpr20
	s_branch .LBB87_4921
.LBB87_4917:
	s_mov_b32 s0, -1
                                        ; implicit-def: $vgpr20
.LBB87_4918:
	s_delay_alu instid0(SALU_CYCLE_1)
	s_and_not1_b32 vcc_lo, exec_lo, s0
	s_cbranch_vccnz .LBB87_4920
; %bb.4919:
	global_load_b32 v11, v[24:25], off
	s_wait_loadcnt 0x0
	v_cvt_i32_f32_e32 v20, v11
.LBB87_4920:
	s_mov_b32 s0, 0
.LBB87_4921:
	s_delay_alu instid0(SALU_CYCLE_1)
	s_and_not1_b32 vcc_lo, exec_lo, s0
	s_cbranch_vccnz .LBB87_4923
; %bb.4922:
	global_load_u16 v11, v[24:25], off
	s_wait_loadcnt 0x0
	v_cvt_f32_f16_e32 v11, v11
	s_delay_alu instid0(VALU_DEP_1)
	v_cvt_i32_f32_e32 v20, v11
.LBB87_4923:
	s_mov_b32 s0, 0
.LBB87_4924:
	s_delay_alu instid0(SALU_CYCLE_1)
	s_and_not1_b32 vcc_lo, exec_lo, s0
	s_cbranch_vccnz .LBB87_4944
; %bb.4925:
	s_cmp_lt_i32 s58, 2
	s_cbranch_scc1 .LBB87_4929
; %bb.4926:
	s_cmp_lt_i32 s58, 3
	s_cbranch_scc1 .LBB87_4930
; %bb.4927:
	s_cmp_gt_i32 s58, 3
	s_cbranch_scc0 .LBB87_4931
; %bb.4928:
	s_wait_loadcnt 0x0
	global_load_b32 v20, v[24:25], off
	s_mov_b32 s0, 0
	s_branch .LBB87_4932
.LBB87_4929:
	s_mov_b32 s0, -1
                                        ; implicit-def: $vgpr20
	s_branch .LBB87_4938
.LBB87_4930:
	s_mov_b32 s0, -1
                                        ; implicit-def: $vgpr20
	s_branch .LBB87_4935
.LBB87_4931:
	s_mov_b32 s0, -1
                                        ; implicit-def: $vgpr20
.LBB87_4932:
	s_delay_alu instid0(SALU_CYCLE_1)
	s_and_not1_b32 vcc_lo, exec_lo, s0
	s_cbranch_vccnz .LBB87_4934
; %bb.4933:
	s_wait_loadcnt 0x0
	global_load_b32 v20, v[24:25], off
.LBB87_4934:
	s_mov_b32 s0, 0
.LBB87_4935:
	s_delay_alu instid0(SALU_CYCLE_1)
	s_and_not1_b32 vcc_lo, exec_lo, s0
	s_cbranch_vccnz .LBB87_4937
; %bb.4936:
	s_wait_loadcnt 0x0
	global_load_i16 v20, v[24:25], off
.LBB87_4937:
	s_mov_b32 s0, 0
.LBB87_4938:
	s_delay_alu instid0(SALU_CYCLE_1)
	s_and_not1_b32 vcc_lo, exec_lo, s0
	s_cbranch_vccnz .LBB87_4944
; %bb.4939:
	s_cmp_gt_i32 s58, 0
	s_mov_b32 s0, 0
	s_cbranch_scc0 .LBB87_4941
; %bb.4940:
	s_wait_loadcnt 0x0
	global_load_i8 v20, v[24:25], off
	s_branch .LBB87_4942
.LBB87_4941:
	s_mov_b32 s0, -1
                                        ; implicit-def: $vgpr20
.LBB87_4942:
	s_delay_alu instid0(SALU_CYCLE_1)
	s_and_not1_b32 vcc_lo, exec_lo, s0
	s_cbranch_vccnz .LBB87_4944
; %bb.4943:
	s_wait_loadcnt 0x0
	global_load_u8 v20, v[24:25], off
.LBB87_4944:
	s_mov_b32 s9, -1
.LBB87_4945:
	s_delay_alu instid0(SALU_CYCLE_1)
	s_and_not1_b32 vcc_lo, exec_lo, s9
	s_cbranch_vccnz .LBB87_5081
; %bb.4946:
	v_mov_b32_e32 v19, 0
	s_cmp_lt_i32 s59, 11
	s_delay_alu instid0(VALU_DEP_1)
	v_add_nc_u64_e32 v[18:19], s[18:19], v[18:19]
	s_cbranch_scc1 .LBB87_4953
; %bb.4947:
	s_cmp_gt_i32 s59, 25
	s_mov_b32 s1, 0
	s_cbranch_scc0 .LBB87_4954
; %bb.4948:
	s_cmp_gt_i32 s59, 28
	s_cbranch_scc0 .LBB87_4955
; %bb.4949:
	s_cmp_gt_i32 s59, 43
	s_cbranch_scc0 .LBB87_4956
; %bb.4950:
	s_cmp_gt_i32 s59, 45
	s_cbranch_scc0 .LBB87_4958
; %bb.4951:
	s_cmp_eq_u32 s59, 46
	s_mov_b32 s24, 0
	s_cbranch_scc0 .LBB87_4959
; %bb.4952:
	global_load_b32 v11, v[18:19], off
	s_mov_b32 s0, 0
	s_mov_b32 s9, -1
	s_wait_loadcnt 0x0
	v_lshlrev_b32_e32 v11, 16, v11
	s_wait_xcnt 0x1
	s_delay_alu instid0(VALU_DEP_1)
	v_cvt_i32_f32_e32 v24, v11
	s_branch .LBB87_4961
.LBB87_4953:
	s_mov_b32 s0, -1
	s_mov_b32 s9, 0
                                        ; implicit-def: $vgpr24
	s_branch .LBB87_5023
.LBB87_4954:
	s_mov_b32 s24, -1
	s_mov_b32 s9, 0
	s_mov_b32 s0, 0
                                        ; implicit-def: $vgpr24
	s_branch .LBB87_4988
.LBB87_4955:
	s_mov_b32 s24, -1
	s_mov_b32 s9, 0
	s_mov_b32 s0, 0
                                        ; implicit-def: $vgpr24
	s_branch .LBB87_4971
.LBB87_4956:
	s_mov_b32 s24, -1
	s_mov_b32 s9, 0
	s_mov_b32 s0, 0
                                        ; implicit-def: $vgpr24
	s_branch .LBB87_4966
.LBB87_4957:
	s_or_b32 s54, s54, exec_lo
	s_trap 2
	s_cbranch_execz .LBB87_4894
	s_branch .LBB87_4895
.LBB87_4958:
	s_mov_b32 s24, -1
	s_mov_b32 s9, 0
	s_mov_b32 s0, 0
	s_branch .LBB87_4960
.LBB87_4959:
	s_mov_b32 s0, -1
	s_mov_b32 s9, 0
.LBB87_4960:
                                        ; implicit-def: $vgpr24
.LBB87_4961:
	s_and_b32 vcc_lo, exec_lo, s24
	s_cbranch_vccz .LBB87_4965
; %bb.4962:
	s_cmp_eq_u32 s59, 44
	s_cbranch_scc0 .LBB87_4964
; %bb.4963:
	global_load_u8 v11, v[18:19], off
	s_mov_b32 s0, 0
	s_mov_b32 s9, -1
	s_wait_loadcnt 0x0
	v_lshlrev_b32_e32 v13, 23, v11
	v_cmp_ne_u32_e32 vcc_lo, 0, v11
	s_delay_alu instid0(VALU_DEP_2) | instskip(SKIP_1) | instid1(VALU_DEP_1)
	v_cvt_i32_f32_e32 v13, v13
	s_wait_xcnt 0x1
	v_cndmask_b32_e32 v24, 0, v13, vcc_lo
	s_branch .LBB87_4965
.LBB87_4964:
	s_mov_b32 s0, -1
                                        ; implicit-def: $vgpr24
.LBB87_4965:
	s_mov_b32 s24, 0
.LBB87_4966:
	s_delay_alu instid0(SALU_CYCLE_1)
	s_and_b32 vcc_lo, exec_lo, s24
	s_cbranch_vccz .LBB87_4970
; %bb.4967:
	s_cmp_eq_u32 s59, 29
	s_cbranch_scc0 .LBB87_4969
; %bb.4968:
	global_load_b32 v24, v[18:19], off
	s_mov_b32 s0, 0
	s_mov_b32 s9, -1
	s_branch .LBB87_4970
.LBB87_4969:
	s_mov_b32 s0, -1
                                        ; implicit-def: $vgpr24
.LBB87_4970:
	s_mov_b32 s24, 0
.LBB87_4971:
	s_delay_alu instid0(SALU_CYCLE_1)
	s_and_b32 vcc_lo, exec_lo, s24
	s_cbranch_vccz .LBB87_4987
; %bb.4972:
	s_cmp_lt_i32 s59, 27
	s_cbranch_scc1 .LBB87_4975
; %bb.4973:
	s_cmp_gt_i32 s59, 27
	s_cbranch_scc0 .LBB87_4976
; %bb.4974:
	s_wait_loadcnt 0x0
	global_load_b32 v24, v[18:19], off
	s_mov_b32 s9, 0
	s_branch .LBB87_4977
.LBB87_4975:
	s_mov_b32 s9, -1
                                        ; implicit-def: $vgpr24
	s_branch .LBB87_4980
.LBB87_4976:
	s_mov_b32 s9, -1
                                        ; implicit-def: $vgpr24
.LBB87_4977:
	s_delay_alu instid0(SALU_CYCLE_1)
	s_and_not1_b32 vcc_lo, exec_lo, s9
	s_cbranch_vccnz .LBB87_4979
; %bb.4978:
	s_wait_loadcnt 0x0
	global_load_u16 v24, v[18:19], off
.LBB87_4979:
	s_mov_b32 s9, 0
.LBB87_4980:
	s_delay_alu instid0(SALU_CYCLE_1)
	s_and_not1_b32 vcc_lo, exec_lo, s9
	s_cbranch_vccnz .LBB87_4986
; %bb.4981:
	global_load_u8 v11, v[18:19], off
	s_mov_b32 s24, 0
	s_mov_b32 s9, exec_lo
	s_wait_loadcnt 0x0
	v_cmpx_lt_i16_e32 0x7f, v11
	s_xor_b32 s9, exec_lo, s9
	s_cbranch_execz .LBB87_4998
; %bb.4982:
	v_cmp_ne_u16_e32 vcc_lo, 0x80, v11
	s_and_b32 s24, vcc_lo, exec_lo
	s_and_not1_saveexec_b32 s9, s9
	s_cbranch_execnz .LBB87_4999
.LBB87_4983:
	s_or_b32 exec_lo, exec_lo, s9
	v_mov_b32_e32 v24, 0
	s_and_saveexec_b32 s9, s24
	s_cbranch_execz .LBB87_4985
.LBB87_4984:
	v_and_b32_e32 v13, 0xffff, v11
	s_delay_alu instid0(VALU_DEP_1) | instskip(SKIP_1) | instid1(VALU_DEP_2)
	v_dual_lshlrev_b32 v11, 24, v11 :: v_dual_bitop2_b32 v15, 7, v13 bitop3:0x40
	v_bfe_u32 v23, v13, 3, 4
	v_and_b32_e32 v11, 0x80000000, v11
	s_delay_alu instid0(VALU_DEP_3) | instskip(NEXT) | instid1(VALU_DEP_3)
	v_clz_i32_u32_e32 v17, v15
	v_cmp_eq_u32_e32 vcc_lo, 0, v23
	s_delay_alu instid0(VALU_DEP_2) | instskip(NEXT) | instid1(VALU_DEP_1)
	v_min_u32_e32 v17, 32, v17
	v_subrev_nc_u32_e32 v21, 28, v17
	v_sub_nc_u32_e32 v17, 29, v17
	s_delay_alu instid0(VALU_DEP_2) | instskip(NEXT) | instid1(VALU_DEP_2)
	v_lshlrev_b32_e32 v13, v21, v13
	v_cndmask_b32_e32 v17, v23, v17, vcc_lo
	s_delay_alu instid0(VALU_DEP_2) | instskip(NEXT) | instid1(VALU_DEP_1)
	v_and_b32_e32 v13, 7, v13
	v_cndmask_b32_e32 v13, v15, v13, vcc_lo
	s_delay_alu instid0(VALU_DEP_3) | instskip(NEXT) | instid1(VALU_DEP_2)
	v_lshl_add_u32 v15, v17, 23, 0x3b800000
	v_lshlrev_b32_e32 v13, 20, v13
	s_delay_alu instid0(VALU_DEP_1) | instskip(NEXT) | instid1(VALU_DEP_1)
	v_or3_b32 v11, v11, v15, v13
	v_cvt_i32_f32_e32 v24, v11
.LBB87_4985:
	s_or_b32 exec_lo, exec_lo, s9
.LBB87_4986:
	s_mov_b32 s9, -1
.LBB87_4987:
	s_mov_b32 s24, 0
.LBB87_4988:
	s_delay_alu instid0(SALU_CYCLE_1)
	s_and_b32 vcc_lo, exec_lo, s24
	s_cbranch_vccz .LBB87_5019
; %bb.4989:
	s_cmp_gt_i32 s59, 22
	s_cbranch_scc0 .LBB87_4997
; %bb.4990:
	s_cmp_lt_i32 s59, 24
	s_cbranch_scc1 .LBB87_5000
; %bb.4991:
	s_cmp_gt_i32 s59, 24
	s_cbranch_scc0 .LBB87_5001
; %bb.4992:
	global_load_u8 v11, v[18:19], off
	s_mov_b32 s9, 0
	s_mov_b32 s1, exec_lo
	s_wait_loadcnt 0x0
	v_cmpx_lt_i16_e32 0x7f, v11
	s_xor_b32 s1, exec_lo, s1
	s_cbranch_execz .LBB87_5013
; %bb.4993:
	v_cmp_ne_u16_e32 vcc_lo, 0x80, v11
	s_and_b32 s9, vcc_lo, exec_lo
	s_and_not1_saveexec_b32 s1, s1
	s_cbranch_execnz .LBB87_5014
.LBB87_4994:
	s_or_b32 exec_lo, exec_lo, s1
	v_mov_b32_e32 v24, 0
	s_and_saveexec_b32 s1, s9
	s_cbranch_execz .LBB87_4996
.LBB87_4995:
	v_and_b32_e32 v13, 0xffff, v11
	s_delay_alu instid0(VALU_DEP_1) | instskip(SKIP_1) | instid1(VALU_DEP_2)
	v_dual_lshlrev_b32 v11, 24, v11 :: v_dual_bitop2_b32 v15, 3, v13 bitop3:0x40
	v_bfe_u32 v23, v13, 2, 5
	v_and_b32_e32 v11, 0x80000000, v11
	s_delay_alu instid0(VALU_DEP_3) | instskip(NEXT) | instid1(VALU_DEP_3)
	v_clz_i32_u32_e32 v17, v15
	v_cmp_eq_u32_e32 vcc_lo, 0, v23
	s_delay_alu instid0(VALU_DEP_2) | instskip(NEXT) | instid1(VALU_DEP_1)
	v_min_u32_e32 v17, 32, v17
	v_subrev_nc_u32_e32 v21, 29, v17
	v_sub_nc_u32_e32 v17, 30, v17
	s_delay_alu instid0(VALU_DEP_2) | instskip(NEXT) | instid1(VALU_DEP_2)
	v_lshlrev_b32_e32 v13, v21, v13
	v_cndmask_b32_e32 v17, v23, v17, vcc_lo
	s_delay_alu instid0(VALU_DEP_2) | instskip(NEXT) | instid1(VALU_DEP_1)
	v_and_b32_e32 v13, 3, v13
	v_cndmask_b32_e32 v13, v15, v13, vcc_lo
	s_delay_alu instid0(VALU_DEP_3) | instskip(NEXT) | instid1(VALU_DEP_2)
	v_lshl_add_u32 v15, v17, 23, 0x37800000
	v_lshlrev_b32_e32 v13, 21, v13
	s_delay_alu instid0(VALU_DEP_1) | instskip(NEXT) | instid1(VALU_DEP_1)
	v_or3_b32 v11, v11, v15, v13
	v_cvt_i32_f32_e32 v24, v11
.LBB87_4996:
	s_or_b32 exec_lo, exec_lo, s1
	s_mov_b32 s1, 0
	s_branch .LBB87_5002
.LBB87_4997:
	s_mov_b32 s1, -1
                                        ; implicit-def: $vgpr24
	s_branch .LBB87_5008
.LBB87_4998:
	s_and_not1_saveexec_b32 s9, s9
	s_cbranch_execz .LBB87_4983
.LBB87_4999:
	v_cmp_ne_u16_e32 vcc_lo, 0, v11
	s_and_not1_b32 s24, s24, exec_lo
	s_and_b32 s25, vcc_lo, exec_lo
	s_delay_alu instid0(SALU_CYCLE_1)
	s_or_b32 s24, s24, s25
	s_or_b32 exec_lo, exec_lo, s9
	v_mov_b32_e32 v24, 0
	s_and_saveexec_b32 s9, s24
	s_cbranch_execnz .LBB87_4984
	s_branch .LBB87_4985
.LBB87_5000:
	s_mov_b32 s1, -1
                                        ; implicit-def: $vgpr24
	s_branch .LBB87_5005
.LBB87_5001:
	s_mov_b32 s1, -1
                                        ; implicit-def: $vgpr24
.LBB87_5002:
	s_delay_alu instid0(SALU_CYCLE_1)
	s_and_b32 vcc_lo, exec_lo, s1
	s_cbranch_vccz .LBB87_5004
; %bb.5003:
	global_load_u8 v11, v[18:19], off
	s_wait_loadcnt 0x0
	v_lshlrev_b32_e32 v11, 24, v11
	s_delay_alu instid0(VALU_DEP_1) | instskip(NEXT) | instid1(VALU_DEP_1)
	v_and_b32_e32 v13, 0x7f000000, v11
	v_clz_i32_u32_e32 v15, v13
	v_add_nc_u32_e32 v21, 0x1000000, v13
	v_cmp_ne_u32_e32 vcc_lo, 0, v13
	s_delay_alu instid0(VALU_DEP_3) | instskip(NEXT) | instid1(VALU_DEP_1)
	v_min_u32_e32 v15, 32, v15
	v_sub_nc_u32_e64 v15, v15, 4 clamp
	s_delay_alu instid0(VALU_DEP_1) | instskip(NEXT) | instid1(VALU_DEP_1)
	v_dual_lshlrev_b32 v17, v15, v13 :: v_dual_lshlrev_b32 v15, 23, v15
	v_lshrrev_b32_e32 v17, 4, v17
	s_delay_alu instid0(VALU_DEP_1) | instskip(NEXT) | instid1(VALU_DEP_1)
	v_dual_sub_nc_u32 v15, v17, v15 :: v_dual_ashrrev_i32 v17, 8, v21
	v_add_nc_u32_e32 v15, 0x3c000000, v15
	s_delay_alu instid0(VALU_DEP_1) | instskip(NEXT) | instid1(VALU_DEP_1)
	v_and_or_b32 v15, 0x7f800000, v17, v15
	v_cndmask_b32_e32 v13, 0, v15, vcc_lo
	s_delay_alu instid0(VALU_DEP_1) | instskip(SKIP_1) | instid1(VALU_DEP_1)
	v_and_or_b32 v11, 0x80000000, v11, v13
	s_wait_xcnt 0x1
	v_cvt_i32_f32_e32 v24, v11
.LBB87_5004:
	s_mov_b32 s1, 0
.LBB87_5005:
	s_delay_alu instid0(SALU_CYCLE_1)
	s_and_not1_b32 vcc_lo, exec_lo, s1
	s_cbranch_vccnz .LBB87_5007
; %bb.5006:
	global_load_u8 v11, v[18:19], off
	s_wait_loadcnt 0x0
	v_lshlrev_b32_e32 v13, 25, v11
	v_lshlrev_b16 v11, 8, v11
	s_delay_alu instid0(VALU_DEP_1) | instskip(SKIP_1) | instid1(VALU_DEP_2)
	v_and_or_b32 v17, 0x7f00, v11, 0.5
	v_bfe_i32 v11, v11, 0, 16
	v_add_f32_e32 v17, -0.5, v17
	v_lshrrev_b32_e32 v15, 4, v13
	v_cmp_gt_u32_e32 vcc_lo, 0x8000000, v13
	s_delay_alu instid0(VALU_DEP_2) | instskip(NEXT) | instid1(VALU_DEP_1)
	v_or_b32_e32 v15, 0x70000000, v15
	v_mul_f32_e32 v15, 0x7800000, v15
	s_delay_alu instid0(VALU_DEP_1) | instskip(NEXT) | instid1(VALU_DEP_1)
	v_cndmask_b32_e32 v13, v15, v17, vcc_lo
	v_and_or_b32 v11, 0x80000000, v11, v13
	s_wait_xcnt 0x1
	s_delay_alu instid0(VALU_DEP_1)
	v_cvt_i32_f32_e32 v24, v11
.LBB87_5007:
	s_mov_b32 s1, 0
	s_mov_b32 s9, -1
.LBB87_5008:
	s_and_not1_b32 vcc_lo, exec_lo, s1
	s_mov_b32 s1, 0
	s_cbranch_vccnz .LBB87_5019
; %bb.5009:
	s_cmp_gt_i32 s59, 14
	s_cbranch_scc0 .LBB87_5012
; %bb.5010:
	s_cmp_eq_u32 s59, 15
	s_cbranch_scc0 .LBB87_5015
; %bb.5011:
	global_load_u16 v11, v[18:19], off
	s_mov_b32 s0, 0
	s_mov_b32 s9, -1
	s_wait_loadcnt 0x0
	v_lshlrev_b32_e32 v11, 16, v11
	s_wait_xcnt 0x1
	s_delay_alu instid0(VALU_DEP_1)
	v_cvt_i32_f32_e32 v24, v11
	s_branch .LBB87_5017
.LBB87_5012:
	s_mov_b32 s1, -1
	s_branch .LBB87_5016
.LBB87_5013:
	s_and_not1_saveexec_b32 s1, s1
	s_cbranch_execz .LBB87_4994
.LBB87_5014:
	v_cmp_ne_u16_e32 vcc_lo, 0, v11
	s_and_not1_b32 s9, s9, exec_lo
	s_and_b32 s24, vcc_lo, exec_lo
	s_delay_alu instid0(SALU_CYCLE_1)
	s_or_b32 s9, s9, s24
	s_or_b32 exec_lo, exec_lo, s1
	v_mov_b32_e32 v24, 0
	s_and_saveexec_b32 s1, s9
	s_cbranch_execnz .LBB87_4995
	s_branch .LBB87_4996
.LBB87_5015:
	s_mov_b32 s0, -1
.LBB87_5016:
                                        ; implicit-def: $vgpr24
.LBB87_5017:
	s_and_b32 vcc_lo, exec_lo, s1
	s_mov_b32 s1, 0
	s_cbranch_vccz .LBB87_5019
; %bb.5018:
	s_cmp_lg_u32 s59, 11
	s_mov_b32 s1, -1
	s_cselect_b32 s0, -1, 0
.LBB87_5019:
	s_delay_alu instid0(SALU_CYCLE_1)
	s_and_b32 vcc_lo, exec_lo, s0
	s_cbranch_vccnz .LBB87_5107
; %bb.5020:
	s_and_not1_b32 vcc_lo, exec_lo, s1
	s_cbranch_vccnz .LBB87_5022
.LBB87_5021:
	global_load_u8 v11, v[18:19], off
	s_mov_b32 s9, -1
	s_wait_loadcnt 0x0
	v_cmp_ne_u16_e32 vcc_lo, 0, v11
	s_wait_xcnt 0x1
	v_cndmask_b32_e64 v24, 0, 1, vcc_lo
.LBB87_5022:
	s_mov_b32 s0, 0
.LBB87_5023:
	s_delay_alu instid0(SALU_CYCLE_1)
	s_and_b32 vcc_lo, exec_lo, s0
	s_cbranch_vccz .LBB87_5072
; %bb.5024:
	s_cmp_lt_i32 s59, 5
	s_cbranch_scc1 .LBB87_5029
; %bb.5025:
	s_cmp_lt_i32 s59, 8
	s_cbranch_scc1 .LBB87_5030
	;; [unrolled: 3-line block ×3, first 2 shown]
; %bb.5027:
	s_cmp_gt_i32 s59, 9
	s_cbranch_scc0 .LBB87_5032
; %bb.5028:
	s_wait_loadcnt 0x0
	global_load_b64 v[24:25], v[18:19], off
	s_mov_b32 s0, 0
	s_wait_loadcnt 0x0
	v_cvt_i32_f64_e32 v24, v[24:25]
	s_branch .LBB87_5033
.LBB87_5029:
	s_mov_b32 s0, -1
                                        ; implicit-def: $vgpr24
	s_branch .LBB87_5051
.LBB87_5030:
	s_mov_b32 s0, -1
                                        ; implicit-def: $vgpr24
	s_branch .LBB87_5039
.LBB87_5031:
	s_mov_b32 s0, -1
                                        ; implicit-def: $vgpr24
	s_branch .LBB87_5036
.LBB87_5032:
	s_mov_b32 s0, -1
                                        ; implicit-def: $vgpr24
.LBB87_5033:
	s_delay_alu instid0(SALU_CYCLE_1)
	s_and_not1_b32 vcc_lo, exec_lo, s0
	s_cbranch_vccnz .LBB87_5035
; %bb.5034:
	global_load_b32 v11, v[18:19], off
	s_wait_loadcnt 0x0
	s_wait_xcnt 0x1
	v_cvt_i32_f32_e32 v24, v11
.LBB87_5035:
	s_mov_b32 s0, 0
.LBB87_5036:
	s_delay_alu instid0(SALU_CYCLE_1)
	s_and_not1_b32 vcc_lo, exec_lo, s0
	s_cbranch_vccnz .LBB87_5038
; %bb.5037:
	global_load_b32 v11, v[18:19], off
	s_wait_loadcnt 0x0
	v_cvt_f32_f16_e32 v11, v11
	s_wait_xcnt 0x1
	s_delay_alu instid0(VALU_DEP_1)
	v_cvt_i32_f32_e32 v24, v11
.LBB87_5038:
	s_mov_b32 s0, 0
.LBB87_5039:
	s_delay_alu instid0(SALU_CYCLE_1)
	s_and_not1_b32 vcc_lo, exec_lo, s0
	s_cbranch_vccnz .LBB87_5050
; %bb.5040:
	s_cmp_lt_i32 s59, 6
	s_cbranch_scc1 .LBB87_5043
; %bb.5041:
	s_cmp_gt_i32 s59, 6
	s_cbranch_scc0 .LBB87_5044
; %bb.5042:
	s_wait_loadcnt 0x0
	global_load_b64 v[24:25], v[18:19], off
	s_mov_b32 s0, 0
	s_wait_loadcnt 0x0
	v_cvt_i32_f64_e32 v24, v[24:25]
	s_branch .LBB87_5045
.LBB87_5043:
	s_mov_b32 s0, -1
                                        ; implicit-def: $vgpr24
	s_branch .LBB87_5048
.LBB87_5044:
	s_mov_b32 s0, -1
                                        ; implicit-def: $vgpr24
.LBB87_5045:
	s_delay_alu instid0(SALU_CYCLE_1)
	s_and_not1_b32 vcc_lo, exec_lo, s0
	s_cbranch_vccnz .LBB87_5047
; %bb.5046:
	global_load_b32 v11, v[18:19], off
	s_wait_loadcnt 0x0
	s_wait_xcnt 0x1
	v_cvt_i32_f32_e32 v24, v11
.LBB87_5047:
	s_mov_b32 s0, 0
.LBB87_5048:
	s_delay_alu instid0(SALU_CYCLE_1)
	s_and_not1_b32 vcc_lo, exec_lo, s0
	s_cbranch_vccnz .LBB87_5050
; %bb.5049:
	global_load_u16 v11, v[18:19], off
	s_wait_loadcnt 0x0
	v_cvt_f32_f16_e32 v11, v11
	s_wait_xcnt 0x1
	s_delay_alu instid0(VALU_DEP_1)
	v_cvt_i32_f32_e32 v24, v11
.LBB87_5050:
	s_mov_b32 s0, 0
.LBB87_5051:
	s_delay_alu instid0(SALU_CYCLE_1)
	s_and_not1_b32 vcc_lo, exec_lo, s0
	s_cbranch_vccnz .LBB87_5071
; %bb.5052:
	s_cmp_lt_i32 s59, 2
	s_cbranch_scc1 .LBB87_5056
; %bb.5053:
	s_cmp_lt_i32 s59, 3
	s_cbranch_scc1 .LBB87_5057
; %bb.5054:
	s_cmp_gt_i32 s59, 3
	s_cbranch_scc0 .LBB87_5058
; %bb.5055:
	s_wait_loadcnt 0x0
	global_load_b32 v24, v[18:19], off
	s_mov_b32 s0, 0
	s_branch .LBB87_5059
.LBB87_5056:
	s_mov_b32 s0, -1
                                        ; implicit-def: $vgpr24
	s_branch .LBB87_5065
.LBB87_5057:
	s_mov_b32 s0, -1
                                        ; implicit-def: $vgpr24
	s_branch .LBB87_5062
.LBB87_5058:
	s_mov_b32 s0, -1
                                        ; implicit-def: $vgpr24
.LBB87_5059:
	s_delay_alu instid0(SALU_CYCLE_1)
	s_and_not1_b32 vcc_lo, exec_lo, s0
	s_cbranch_vccnz .LBB87_5061
; %bb.5060:
	s_wait_loadcnt 0x0
	global_load_b32 v24, v[18:19], off
.LBB87_5061:
	s_mov_b32 s0, 0
.LBB87_5062:
	s_delay_alu instid0(SALU_CYCLE_1)
	s_and_not1_b32 vcc_lo, exec_lo, s0
	s_cbranch_vccnz .LBB87_5064
; %bb.5063:
	s_wait_loadcnt 0x0
	global_load_i16 v24, v[18:19], off
.LBB87_5064:
	s_mov_b32 s0, 0
.LBB87_5065:
	s_delay_alu instid0(SALU_CYCLE_1)
	s_and_not1_b32 vcc_lo, exec_lo, s0
	s_cbranch_vccnz .LBB87_5071
; %bb.5066:
	s_cmp_gt_i32 s59, 0
	s_mov_b32 s0, 0
	s_cbranch_scc0 .LBB87_5068
; %bb.5067:
	s_wait_loadcnt 0x0
	global_load_i8 v24, v[18:19], off
	s_branch .LBB87_5069
.LBB87_5068:
	s_mov_b32 s0, -1
                                        ; implicit-def: $vgpr24
.LBB87_5069:
	s_delay_alu instid0(SALU_CYCLE_1)
	s_and_not1_b32 vcc_lo, exec_lo, s0
	s_cbranch_vccnz .LBB87_5071
; %bb.5070:
	s_wait_loadcnt 0x0
	global_load_u8 v24, v[18:19], off
.LBB87_5071:
	s_mov_b32 s9, -1
.LBB87_5072:
	s_delay_alu instid0(SALU_CYCLE_1)
	s_and_not1_b32 vcc_lo, exec_lo, s9
	s_cbranch_vccnz .LBB87_5081
; %bb.5073:
	s_mov_b32 s0, exec_lo
	s_wait_loadcnt 0x0
	v_cmpx_ne_u32_e64 v7, v1
	s_xor_b32 s0, exec_lo, s0
	s_cbranch_execnz .LBB87_5241
.LBB87_5074:
	s_or_saveexec_b32 s60, s0
	s_mov_b32 s1, 0
	s_mov_b32 s9, 0
                                        ; implicit-def: $vgpr38_vgpr39
                                        ; implicit-def: $sgpr0
	s_xor_b32 exec_lo, exec_lo, s60
	s_cbranch_execz .LBB87_5752
; %bb.5075:
	s_mov_b32 s61, s54
	s_mov_b32 s0, exec_lo
	v_cmpx_ne_u32_e64 v9, v3
	s_xor_b32 s0, exec_lo, s0
	s_cbranch_execnz .LBB87_5369
; %bb.5076:
	s_or_saveexec_b32 s62, s0
                                        ; implicit-def: $vgpr38_vgpr39
                                        ; implicit-def: $sgpr0
	s_delay_alu instid0(SALU_CYCLE_1)
	s_xor_b32 exec_lo, exec_lo, s62
	s_cbranch_execz .LBB87_5751
.LBB87_5077:
	v_sub_nc_u32_e32 v7, v20, v22
	s_mov_b32 s63, s61
	s_delay_alu instid0(VALU_DEP_1) | instskip(SKIP_2) | instid1(SALU_CYCLE_1)
	v_cmp_gt_i32_e32 vcc_lo, v1, v7
	v_cmp_lt_i32_e64 s0, s20, v7
	s_or_b32 s0, vcc_lo, s0
	s_and_saveexec_b32 s1, s0
	s_delay_alu instid0(SALU_CYCLE_1)
	s_xor_b32 s0, exec_lo, s1
	s_cbranch_execnz .LBB87_5497
.LBB87_5078:
	s_or_saveexec_b32 s64, s0
	s_mov_b32 s1, 0
	s_mov_b32 s24, 0
                                        ; implicit-def: $vgpr38_vgpr39
                                        ; implicit-def: $sgpr0
	s_xor_b32 exec_lo, exec_lo, s64
	s_cbranch_execz .LBB87_5750
; %bb.5079:
	v_cmp_ne_u32_e32 vcc_lo, 1, v5
	v_mov_b64_e32 v[18:19], 0
	s_cbranch_vccnz .LBB87_5092
; %bb.5080:
	v_ashrrev_i32_e32 v25, 31, v24
	s_mov_b32 s9, s1
	v_mov_b64_e32 v[18:19], 0
	s_lshl_b64 s[26:27], s[8:9], 3
	s_mov_b64 s[24:25], 0xffffffff
	v_mul_u64_e32 v[26:27], s[10:11], v[24:25]
	v_mov_b32_e32 v24, 0
	s_add_nc_u64 s[26:27], s[2:3], s[26:27]
	s_mov_b32 s9, s45
	s_add_nc_u64 s[26:27], s[26:27], 0x298
	s_branch .LBB87_5088
.LBB87_5081:
	s_mov_b32 s1, 0
	s_mov_b32 s9, 0
                                        ; implicit-def: $vgpr38_vgpr39
                                        ; implicit-def: $sgpr0
.LBB87_5082:
	s_and_not1_b32 s2, s52, exec_lo
	s_and_b32 s3, s54, exec_lo
	s_and_b32 s9, s9, exec_lo
	;; [unrolled: 1-line block ×3, first 2 shown]
	s_or_b32 s52, s2, s3
.LBB87_5083:
	s_wait_xcnt 0x0
	s_or_b32 exec_lo, exec_lo, s53
	s_delay_alu instid0(SALU_CYCLE_1)
	s_and_not1_b32 s2, s50, exec_lo
	s_and_b32 s3, s52, exec_lo
	s_and_b32 s9, s9, exec_lo
	;; [unrolled: 1-line block ×3, first 2 shown]
	s_or_b32 s50, s2, s3
.LBB87_5084:
	s_or_b32 exec_lo, exec_lo, s51
	s_delay_alu instid0(SALU_CYCLE_1)
	s_and_not1_b32 s2, s48, exec_lo
	s_and_b32 s3, s50, exec_lo
	s_and_b32 s9, s9, exec_lo
	;; [unrolled: 1-line block ×3, first 2 shown]
	s_or_b32 s48, s2, s3
.LBB87_5085:
	s_or_b32 exec_lo, exec_lo, s49
	s_delay_alu instid0(SALU_CYCLE_1)
	s_and_not1_b32 s2, s44, exec_lo
	s_and_b32 s3, s48, exec_lo
	s_and_b32 s9, s9, exec_lo
	s_and_b32 s1, s1, exec_lo
	s_or_b32 s44, s2, s3
.LBB87_5086:
	s_or_b32 exec_lo, exec_lo, s47
	s_branch .LBB87_4416
.LBB87_5087:                            ;   in Loop: Header=BB87_5088 Depth=1
	s_or_b32 exec_lo, exec_lo, s0
	s_delay_alu instid0(VALU_DEP_1)
	v_mul_u64_e32 v[30:31], s[28:29], v[28:29]
	s_load_b64 s[28:29], s[26:27], 0x40
	s_add_co_i32 s9, s9, -1
	s_wait_xcnt 0x0
	s_add_nc_u64 s[26:27], s[26:27], -8
	s_cmp_eq_u32 s9, 0
	s_delay_alu instid0(VALU_DEP_1) | instskip(SKIP_1) | instid1(VALU_DEP_1)
	v_sub_nc_u64_e32 v[26:27], v[26:27], v[30:31]
	s_wait_kmcnt 0x0
	v_mad_nc_u64_u32 v[18:19], v26, s28, v[18:19]
	s_delay_alu instid0(VALU_DEP_1) | instskip(NEXT) | instid1(VALU_DEP_1)
	v_mad_u32 v7, v27, s28, v19
	v_mad_u32 v19, v26, s29, v7
	v_mov_b64_e32 v[26:27], v[28:29]
	s_cbranch_scc1 .LBB87_5092
.LBB87_5088:                            ; =>This Inner Loop Header: Depth=1
	s_load_b64 s[28:29], s[26:27], 0x0
                                        ; implicit-def: $vgpr28_vgpr29
	s_mov_b32 s0, exec_lo
	s_wait_kmcnt 0x0
	s_delay_alu instid0(VALU_DEP_1) | instskip(NEXT) | instid1(VALU_DEP_1)
	v_or_b32_e32 v25, s29, v27
	v_cmpx_ne_u64_e32 0, v[24:25]
	s_xor_b32 s65, exec_lo, s0
	s_cbranch_execz .LBB87_5090
; %bb.5089:                             ;   in Loop: Header=BB87_5088 Depth=1
	s_ashr_i32 s30, s29, 31
	v_dual_mov_b32 v33, v24 :: v_dual_ashrrev_i32 v28, 31, v27
	s_mov_b32 s31, s30
	v_mov_b32_e32 v41, v24
	s_add_nc_u64 s[34:35], s[28:29], s[30:31]
	s_delay_alu instid0(VALU_DEP_2) | instskip(SKIP_1) | instid1(SALU_CYCLE_1)
	v_mov_b32_e32 v29, v28
	s_xor_b64 s[34:35], s[34:35], s[30:31]
	s_cvt_f32_u32 s0, s34
	s_cvt_f32_u32 s31, s35
	s_sub_nc_u64 s[68:69], 0, s[34:35]
	v_add_nc_u64_e32 v[30:31], v[26:27], v[28:29]
	v_mov_b32_e32 v37, v24
	s_fmamk_f32 s0, s31, 0x4f800000, s0
	s_delay_alu instid0(SALU_CYCLE_3) | instskip(NEXT) | instid1(VALU_DEP_2)
	v_s_rcp_f32 s0, s0
	v_xor_b32_e32 v32, v30, v28
	s_delay_alu instid0(VALU_DEP_3) | instskip(NEXT) | instid1(TRANS32_DEP_1)
	v_xor_b32_e32 v36, v31, v28
	s_mul_f32 s0, s0, 0x5f7ffffc
	s_delay_alu instid0(SALU_CYCLE_3) | instskip(NEXT) | instid1(SALU_CYCLE_3)
	s_mul_f32 s31, s0, 0x2f800000
	s_trunc_f32 s31, s31
	s_delay_alu instid0(SALU_CYCLE_3) | instskip(SKIP_1) | instid1(SALU_CYCLE_2)
	s_fmamk_f32 s0, s31, 0xcf800000, s0
	s_cvt_u32_f32 s67, s31
	s_cvt_u32_f32 s66, s0
	s_delay_alu instid0(SALU_CYCLE_3) | instskip(NEXT) | instid1(SALU_CYCLE_1)
	s_mul_u64 s[70:71], s[68:69], s[66:67]
	s_mul_hi_u32 s73, s66, s71
	s_mul_i32 s72, s66, s71
	s_mul_hi_u32 s0, s66, s70
	s_mul_i32 s74, s67, s70
	s_add_nc_u64 s[72:73], s[0:1], s[72:73]
	s_mul_hi_u32 s31, s67, s70
	s_mul_hi_u32 s75, s67, s71
	s_add_co_u32 s0, s72, s74
	s_add_co_ci_u32 s0, s73, s31
	s_mul_i32 s70, s67, s71
	s_add_co_ci_u32 s71, s75, 0
	s_delay_alu instid0(SALU_CYCLE_1) | instskip(NEXT) | instid1(SALU_CYCLE_1)
	s_add_nc_u64 s[70:71], s[0:1], s[70:71]
	s_add_co_u32 s66, s66, s70
	s_cselect_b32 s0, -1, 0
	s_delay_alu instid0(SALU_CYCLE_1) | instskip(SKIP_1) | instid1(SALU_CYCLE_1)
	s_cmp_lg_u32 s0, 0
	s_add_co_ci_u32 s67, s67, s71
	s_mul_u64 s[68:69], s[68:69], s[66:67]
	s_delay_alu instid0(SALU_CYCLE_1)
	s_mul_hi_u32 s71, s66, s69
	s_mul_i32 s70, s66, s69
	s_mul_hi_u32 s0, s66, s68
	s_mul_i32 s72, s67, s68
	s_add_nc_u64 s[70:71], s[0:1], s[70:71]
	s_mul_hi_u32 s31, s67, s68
	s_mul_hi_u32 s73, s67, s69
	s_add_co_u32 s0, s70, s72
	s_add_co_ci_u32 s0, s71, s31
	s_mul_i32 s68, s67, s69
	s_add_co_ci_u32 s69, s73, 0
	s_delay_alu instid0(SALU_CYCLE_1) | instskip(NEXT) | instid1(SALU_CYCLE_1)
	s_add_nc_u64 s[68:69], s[0:1], s[68:69]
	s_add_co_u32 s66, s66, s68
	s_cselect_b32 s0, -1, 0
	v_mul_hi_u32 v40, v32, s66
	s_cmp_lg_u32 s0, 0
	s_add_co_ci_u32 s0, s67, s69
	s_and_b64 s[68:69], s[66:67], s[24:25]
	v_mul_u64_e32 v[34:35], s[0:1], v[32:33]
	v_mul_u64_e32 v[30:31], s[68:69], v[36:37]
	;; [unrolled: 1-line block ×3, first 2 shown]
	s_delay_alu instid0(VALU_DEP_3) | instskip(NEXT) | instid1(VALU_DEP_1)
	v_add_nc_u64_e32 v[34:35], v[40:41], v[34:35]
	v_add_co_u32 v7, vcc_lo, v34, v30
	s_delay_alu instid0(VALU_DEP_2) | instskip(NEXT) | instid1(VALU_DEP_4)
	v_add_co_ci_u32_e32 v40, vcc_lo, v35, v31, vcc_lo
	v_add_co_ci_u32_e32 v39, vcc_lo, 0, v39, vcc_lo
	s_delay_alu instid0(VALU_DEP_1) | instskip(NEXT) | instid1(VALU_DEP_1)
	v_add_nc_u64_e32 v[30:31], v[40:41], v[38:39]
	v_mul_u64_e32 v[34:35], s[34:35], v[30:31]
	s_delay_alu instid0(VALU_DEP_1) | instskip(NEXT) | instid1(VALU_DEP_2)
	v_sub_nc_u32_e32 v7, v36, v35
	v_sub_co_u32 v9, vcc_lo, v32, v34
	s_delay_alu instid0(VALU_DEP_1) | instskip(NEXT) | instid1(VALU_DEP_3)
	v_sub_co_ci_u32_e64 v13, null, v36, v35, vcc_lo
	v_subrev_co_ci_u32_e64 v7, null, s35, v7, vcc_lo
	s_delay_alu instid0(VALU_DEP_3) | instskip(SKIP_1) | instid1(VALU_DEP_3)
	v_sub_co_u32 v11, s0, v9, s34
	v_add_nc_u64_e32 v[32:33], 2, v[30:31]
	v_subrev_co_ci_u32_e64 v7, null, 0, v7, s0
	s_delay_alu instid0(VALU_DEP_3) | instskip(SKIP_2) | instid1(VALU_DEP_4)
	v_cmp_le_u32_e32 vcc_lo, s34, v11
	v_add_nc_u64_e32 v[34:35], 1, v[30:31]
	v_cndmask_b32_e64 v11, 0, -1, vcc_lo
	v_cmp_le_u32_e32 vcc_lo, s35, v7
	v_cndmask_b32_e64 v15, 0, -1, vcc_lo
	v_cmp_le_u32_e32 vcc_lo, s34, v9
	;; [unrolled: 2-line block ×3, first 2 shown]
	v_cndmask_b32_e64 v17, 0, -1, vcc_lo
	v_cmp_eq_u32_e32 vcc_lo, s35, v7
	v_cndmask_b32_e32 v7, v15, v11, vcc_lo
	v_cmp_eq_u32_e32 vcc_lo, s35, v13
	s_delay_alu instid0(VALU_DEP_4) | instskip(NEXT) | instid1(VALU_DEP_3)
	v_cndmask_b32_e32 v9, v17, v9, vcc_lo
	v_cmp_ne_u32_e32 vcc_lo, 0, v7
	s_delay_alu instid0(VALU_DEP_2) | instskip(SKIP_1) | instid1(VALU_DEP_1)
	v_cmp_ne_u32_e64 s0, 0, v9
	v_dual_cndmask_b32 v7, v35, v33, vcc_lo :: v_dual_cndmask_b32 v9, v34, v32, vcc_lo
	v_dual_cndmask_b32 v7, v31, v7, s0 :: v_dual_bitop2_b32 v28, s30, v28 bitop3:0x14
	s_delay_alu instid0(VALU_DEP_1) | instskip(NEXT) | instid1(VALU_DEP_2)
	v_dual_cndmask_b32 v9, v30, v9, s0 :: v_dual_mov_b32 v29, v28
	v_xor_b32_e32 v31, v7, v28
	s_delay_alu instid0(VALU_DEP_2) | instskip(NEXT) | instid1(VALU_DEP_1)
	v_xor_b32_e32 v30, v9, v28
	v_sub_nc_u64_e32 v[28:29], v[30:31], v[28:29]
.LBB87_5090:                            ;   in Loop: Header=BB87_5088 Depth=1
	s_and_not1_saveexec_b32 s0, s65
	s_cbranch_execz .LBB87_5087
; %bb.5091:                             ;   in Loop: Header=BB87_5088 Depth=1
	v_cvt_f32_u32_e32 v7, s28
	s_sub_co_i32 s30, 0, s28
	v_mov_b32_e32 v29, v24
	s_delay_alu instid0(VALU_DEP_2) | instskip(SKIP_1) | instid1(TRANS32_DEP_1)
	v_rcp_iflag_f32_e32 v7, v7
	v_nop
	v_mul_f32_e32 v7, 0x4f7ffffe, v7
	s_delay_alu instid0(VALU_DEP_1) | instskip(NEXT) | instid1(VALU_DEP_1)
	v_cvt_u32_f32_e32 v7, v7
	v_mul_lo_u32 v9, s30, v7
	s_delay_alu instid0(VALU_DEP_1) | instskip(NEXT) | instid1(VALU_DEP_1)
	v_mul_hi_u32 v9, v7, v9
	v_add_nc_u32_e32 v7, v7, v9
	s_delay_alu instid0(VALU_DEP_1) | instskip(NEXT) | instid1(VALU_DEP_1)
	v_mul_hi_u32 v7, v26, v7
	v_mul_lo_u32 v9, v7, s28
	s_delay_alu instid0(VALU_DEP_1) | instskip(NEXT) | instid1(VALU_DEP_1)
	v_sub_nc_u32_e32 v9, v26, v9
	v_subrev_nc_u32_e32 v13, s28, v9
	v_cmp_le_u32_e32 vcc_lo, s28, v9
	s_delay_alu instid0(VALU_DEP_2) | instskip(NEXT) | instid1(VALU_DEP_1)
	v_dual_add_nc_u32 v11, 1, v7 :: v_dual_cndmask_b32 v9, v9, v13, vcc_lo
	v_cndmask_b32_e32 v7, v7, v11, vcc_lo
	s_delay_alu instid0(VALU_DEP_2) | instskip(NEXT) | instid1(VALU_DEP_2)
	v_cmp_le_u32_e32 vcc_lo, s28, v9
	v_add_nc_u32_e32 v11, 1, v7
	s_delay_alu instid0(VALU_DEP_1)
	v_cndmask_b32_e32 v28, v7, v11, vcc_lo
	s_branch .LBB87_5087
.LBB87_5092:
	s_mov_b32 s25, -1
	s_mov_b32 s1, s63
	s_mov_b32 s0, exec_lo
	v_cmpx_gt_i32_e64 v20, v22
	s_cbranch_execz .LBB87_5099
; %bb.5093:
	s_delay_alu instid0(VALU_DEP_2) | instskip(SKIP_3) | instid1(VALU_DEP_1)
	v_lshlrev_b64_e32 v[18:19], 2, v[18:19]
	v_dual_ashrrev_i32 v23, 31, v22 :: v_dual_ashrrev_i32 v21, 31, v20
	s_mov_b32 s9, 0
	s_xor_b32 s24, s46, -1
                                        ; implicit-def: $sgpr1
                                        ; implicit-def: $sgpr26
                                        ; implicit-def: $sgpr25
	v_lshl_add_u64 v[22:23], v[22:23], 2, v[18:19]
	s_wait_kmcnt 0x0
	v_add_nc_u64_e32 v[24:25], s[22:23], v[18:19]
	s_delay_alu instid0(VALU_DEP_2) | instskip(NEXT) | instid1(VALU_DEP_2)
	v_add_nc_u64_e32 v[22:23], s[22:23], v[22:23]
	v_lshl_add_u64 v[20:21], v[20:21], 2, v[24:25]
	s_delay_alu instid0(VALU_DEP_2)
	v_add_nc_u64_e32 v[18:19], 4, v[22:23]
	s_branch .LBB87_5095
.LBB87_5094:                            ;   in Loop: Header=BB87_5095 Depth=1
	s_or_b32 exec_lo, exec_lo, s27
	s_xor_b32 s27, s25, -1
	s_and_b32 s28, exec_lo, s26
	s_delay_alu instid0(SALU_CYCLE_1) | instskip(SKIP_2) | instid1(SALU_CYCLE_1)
	s_or_b32 s9, s28, s9
	s_and_not1_b32 s1, s1, exec_lo
	s_and_b32 s27, s27, exec_lo
	s_or_b32 s1, s1, s27
	s_and_not1_b32 exec_lo, exec_lo, s9
	s_cbranch_execz .LBB87_5097
.LBB87_5095:                            ; =>This Inner Loop Header: Depth=1
	s_or_b32 s25, s25, exec_lo
	s_or_b32 s26, s26, exec_lo
	s_mov_b32 s27, exec_lo
	s_delay_alu instid0(VALU_DEP_1)
	v_cmpx_lt_u64_e64 v[18:19], v[20:21]
	s_cbranch_execz .LBB87_5094
; %bb.5096:                             ;   in Loop: Header=BB87_5095 Depth=1
	global_load_b64 v[22:23], v[18:19], off offset:-4
	s_wait_xcnt 0x0
	v_add_nc_u64_e32 v[18:19], 4, v[18:19]
	s_and_not1_b32 s26, s26, exec_lo
	s_and_not1_b32 s25, s25, exec_lo
	s_wait_loadcnt 0x0
	v_cmp_ge_i32_e32 vcc_lo, v22, v23
	s_or_b32 s28, s24, vcc_lo
	s_delay_alu instid0(SALU_CYCLE_1) | instskip(NEXT) | instid1(SALU_CYCLE_1)
	s_and_b32 s28, s28, exec_lo
	s_or_b32 s26, s26, s28
	s_branch .LBB87_5094
.LBB87_5097:
	s_or_b32 exec_lo, exec_lo, s9
	s_mov_b32 s9, -1
	s_mov_b32 s24, s63
	s_and_saveexec_b32 s25, s1
	s_delay_alu instid0(SALU_CYCLE_1)
	s_xor_b32 s1, exec_lo, s25
	s_cbranch_execnz .LBB87_5112
.LBB87_5098:
	s_or_b32 exec_lo, exec_lo, s1
	s_delay_alu instid0(SALU_CYCLE_1)
	s_and_not1_b32 s1, s63, exec_lo
	s_and_b32 s24, s24, exec_lo
	s_or_not1_b32 s25, s9, exec_lo
	s_or_b32 s1, s1, s24
.LBB87_5099:
	s_or_b32 exec_lo, exec_lo, s0
	s_mov_b32 s9, 0
	s_mov_b32 s26, 0
                                        ; implicit-def: $vgpr38_vgpr39
                                        ; implicit-def: $sgpr0
	s_and_saveexec_b32 s24, s25
	s_cbranch_execz .LBB87_5749
; %bb.5100:
	v_mov_b32_e32 v17, 0
	s_cmp_lt_i32 s55, 11
	s_delay_alu instid0(VALU_DEP_1)
	v_add_nc_u64_e32 v[16:17], s[6:7], v[16:17]
	s_cbranch_scc1 .LBB87_5108
; %bb.5101:
	s_cmp_gt_i32 s55, 25
	s_mov_b32 s6, 0
	s_cbranch_scc0 .LBB87_5109
; %bb.5102:
	s_cmp_gt_i32 s55, 28
	s_cbranch_scc0 .LBB87_5110
; %bb.5103:
	s_cmp_gt_i32 s55, 43
	;; [unrolled: 3-line block ×3, first 2 shown]
	s_cbranch_scc0 .LBB87_5113
; %bb.5105:
	s_cmp_eq_u32 s55, 46
	s_cbranch_scc0 .LBB87_5114
; %bb.5106:
	global_load_b32 v7, v[16:17], off
	s_mov_b32 s0, 0
	s_mov_b32 s7, -1
	s_wait_loadcnt 0x0
	v_lshlrev_b32_e32 v7, 16, v7
	s_delay_alu instid0(VALU_DEP_1)
	v_cvt_i32_f32_e32 v7, v7
	s_branch .LBB87_5116
.LBB87_5107:
	s_or_b32 s54, s54, exec_lo
	s_trap 2
	s_cbranch_execz .LBB87_5021
	s_branch .LBB87_5022
.LBB87_5108:
	s_mov_b32 s0, -1
	s_mov_b32 s7, 0
	s_mov_b32 s25, s1
                                        ; implicit-def: $vgpr7
	s_branch .LBB87_5178
.LBB87_5109:
	s_mov_b32 s9, -1
	s_mov_b32 s7, 0
	s_mov_b32 s0, 0
                                        ; implicit-def: $vgpr7
	s_branch .LBB87_5143
.LBB87_5110:
	s_mov_b32 s9, -1
	s_mov_b32 s7, 0
	s_mov_b32 s0, 0
                                        ; implicit-def: $vgpr7
	s_branch .LBB87_5126
.LBB87_5111:
	s_mov_b32 s9, -1
	s_mov_b32 s7, 0
	s_mov_b32 s0, 0
                                        ; implicit-def: $vgpr7
	s_branch .LBB87_5121
.LBB87_5112:
	s_or_b32 s24, s63, exec_lo
	s_xor_b32 s9, exec_lo, -1
	s_trap 2
	s_branch .LBB87_5098
.LBB87_5113:
	s_mov_b32 s9, -1
	s_mov_b32 s7, 0
	s_mov_b32 s0, 0
	s_branch .LBB87_5115
.LBB87_5114:
	s_mov_b32 s0, -1
	s_mov_b32 s7, 0
.LBB87_5115:
                                        ; implicit-def: $vgpr7
.LBB87_5116:
	s_and_b32 vcc_lo, exec_lo, s9
	s_cbranch_vccz .LBB87_5120
; %bb.5117:
	s_cmp_eq_u32 s55, 44
	s_cbranch_scc0 .LBB87_5119
; %bb.5118:
	global_load_u8 v7, v[16:17], off
	s_mov_b32 s0, 0
	s_mov_b32 s7, -1
	s_wait_loadcnt 0x0
	v_lshlrev_b32_e32 v9, 23, v7
	v_cmp_ne_u32_e32 vcc_lo, 0, v7
	s_delay_alu instid0(VALU_DEP_2) | instskip(NEXT) | instid1(VALU_DEP_1)
	v_cvt_i32_f32_e32 v9, v9
	v_cndmask_b32_e32 v7, 0, v9, vcc_lo
	s_branch .LBB87_5120
.LBB87_5119:
	s_mov_b32 s0, -1
                                        ; implicit-def: $vgpr7
.LBB87_5120:
	s_mov_b32 s9, 0
.LBB87_5121:
	s_delay_alu instid0(SALU_CYCLE_1)
	s_and_b32 vcc_lo, exec_lo, s9
	s_cbranch_vccz .LBB87_5125
; %bb.5122:
	s_cmp_eq_u32 s55, 29
	s_cbranch_scc0 .LBB87_5124
; %bb.5123:
	global_load_b32 v7, v[16:17], off
	s_mov_b32 s0, 0
	s_mov_b32 s7, -1
	s_branch .LBB87_5125
.LBB87_5124:
	s_mov_b32 s0, -1
                                        ; implicit-def: $vgpr7
.LBB87_5125:
	s_mov_b32 s9, 0
.LBB87_5126:
	s_delay_alu instid0(SALU_CYCLE_1)
	s_and_b32 vcc_lo, exec_lo, s9
	s_cbranch_vccz .LBB87_5142
; %bb.5127:
	s_cmp_lt_i32 s55, 27
	s_cbranch_scc1 .LBB87_5130
; %bb.5128:
	s_cmp_gt_i32 s55, 27
	s_cbranch_scc0 .LBB87_5131
; %bb.5129:
	s_wait_loadcnt 0x0
	global_load_b32 v7, v[16:17], off
	s_mov_b32 s7, 0
	s_branch .LBB87_5132
.LBB87_5130:
	s_mov_b32 s7, -1
                                        ; implicit-def: $vgpr7
	s_branch .LBB87_5135
.LBB87_5131:
	s_mov_b32 s7, -1
                                        ; implicit-def: $vgpr7
.LBB87_5132:
	s_delay_alu instid0(SALU_CYCLE_1)
	s_and_not1_b32 vcc_lo, exec_lo, s7
	s_cbranch_vccnz .LBB87_5134
; %bb.5133:
	s_wait_loadcnt 0x0
	global_load_u16 v7, v[16:17], off
.LBB87_5134:
	s_mov_b32 s7, 0
.LBB87_5135:
	s_delay_alu instid0(SALU_CYCLE_1)
	s_and_not1_b32 vcc_lo, exec_lo, s7
	s_cbranch_vccnz .LBB87_5141
; %bb.5136:
	global_load_u8 v9, v[16:17], off
	s_mov_b32 s9, 0
	s_mov_b32 s7, exec_lo
	s_wait_loadcnt 0x0
	v_cmpx_lt_i16_e32 0x7f, v9
	s_xor_b32 s7, exec_lo, s7
	s_cbranch_execz .LBB87_5153
; %bb.5137:
	v_cmp_ne_u16_e32 vcc_lo, 0x80, v9
	s_and_b32 s9, vcc_lo, exec_lo
	s_and_not1_saveexec_b32 s7, s7
	s_cbranch_execnz .LBB87_5154
.LBB87_5138:
	s_or_b32 exec_lo, exec_lo, s7
	v_mov_b32_e32 v7, 0
	s_and_saveexec_b32 s7, s9
	s_cbranch_execz .LBB87_5140
.LBB87_5139:
	v_and_b32_e32 v7, 0xffff, v9
	s_delay_alu instid0(VALU_DEP_1) | instskip(SKIP_1) | instid1(VALU_DEP_2)
	v_and_b32_e32 v11, 7, v7
	v_bfe_u32 v18, v7, 3, 4
	v_clz_i32_u32_e32 v13, v11
	s_delay_alu instid0(VALU_DEP_2) | instskip(NEXT) | instid1(VALU_DEP_2)
	v_cmp_eq_u32_e32 vcc_lo, 0, v18
	v_min_u32_e32 v13, 32, v13
	s_delay_alu instid0(VALU_DEP_1) | instskip(NEXT) | instid1(VALU_DEP_1)
	v_subrev_nc_u32_e32 v15, 28, v13
	v_dual_lshlrev_b32 v7, v15, v7 :: v_dual_sub_nc_u32 v13, 29, v13
	s_delay_alu instid0(VALU_DEP_1) | instskip(NEXT) | instid1(VALU_DEP_1)
	v_dual_lshlrev_b32 v9, 24, v9 :: v_dual_bitop2_b32 v7, 7, v7 bitop3:0x40
	v_dual_cndmask_b32 v7, v11, v7, vcc_lo :: v_dual_cndmask_b32 v13, v18, v13, vcc_lo
	s_delay_alu instid0(VALU_DEP_2) | instskip(NEXT) | instid1(VALU_DEP_2)
	v_and_b32_e32 v9, 0x80000000, v9
	v_lshlrev_b32_e32 v7, 20, v7
	s_delay_alu instid0(VALU_DEP_3) | instskip(NEXT) | instid1(VALU_DEP_1)
	v_lshl_add_u32 v11, v13, 23, 0x3b800000
	v_or3_b32 v7, v9, v11, v7
	s_delay_alu instid0(VALU_DEP_1)
	v_cvt_i32_f32_e32 v7, v7
.LBB87_5140:
	s_or_b32 exec_lo, exec_lo, s7
.LBB87_5141:
	s_mov_b32 s7, -1
.LBB87_5142:
	s_mov_b32 s9, 0
.LBB87_5143:
	s_delay_alu instid0(SALU_CYCLE_1)
	s_and_b32 vcc_lo, exec_lo, s9
	s_cbranch_vccz .LBB87_5174
; %bb.5144:
	s_cmp_gt_i32 s55, 22
	s_cbranch_scc0 .LBB87_5152
; %bb.5145:
	s_cmp_lt_i32 s55, 24
	s_cbranch_scc1 .LBB87_5155
; %bb.5146:
	s_cmp_gt_i32 s55, 24
	s_cbranch_scc0 .LBB87_5156
; %bb.5147:
	global_load_u8 v9, v[16:17], off
	s_mov_b32 s7, 0
	s_mov_b32 s6, exec_lo
	s_wait_loadcnt 0x0
	v_cmpx_lt_i16_e32 0x7f, v9
	s_xor_b32 s6, exec_lo, s6
	s_cbranch_execz .LBB87_5168
; %bb.5148:
	v_cmp_ne_u16_e32 vcc_lo, 0x80, v9
	s_and_b32 s7, vcc_lo, exec_lo
	s_and_not1_saveexec_b32 s6, s6
	s_cbranch_execnz .LBB87_5169
.LBB87_5149:
	s_or_b32 exec_lo, exec_lo, s6
	v_mov_b32_e32 v7, 0
	s_and_saveexec_b32 s6, s7
	s_cbranch_execz .LBB87_5151
.LBB87_5150:
	v_and_b32_e32 v7, 0xffff, v9
	s_delay_alu instid0(VALU_DEP_1) | instskip(SKIP_1) | instid1(VALU_DEP_2)
	v_and_b32_e32 v11, 3, v7
	v_bfe_u32 v18, v7, 2, 5
	v_clz_i32_u32_e32 v13, v11
	s_delay_alu instid0(VALU_DEP_2) | instskip(NEXT) | instid1(VALU_DEP_2)
	v_cmp_eq_u32_e32 vcc_lo, 0, v18
	v_min_u32_e32 v13, 32, v13
	s_delay_alu instid0(VALU_DEP_1) | instskip(NEXT) | instid1(VALU_DEP_1)
	v_subrev_nc_u32_e32 v15, 29, v13
	v_dual_lshlrev_b32 v7, v15, v7 :: v_dual_sub_nc_u32 v13, 30, v13
	s_delay_alu instid0(VALU_DEP_1) | instskip(NEXT) | instid1(VALU_DEP_1)
	v_dual_lshlrev_b32 v9, 24, v9 :: v_dual_bitop2_b32 v7, 3, v7 bitop3:0x40
	v_dual_cndmask_b32 v7, v11, v7, vcc_lo :: v_dual_cndmask_b32 v13, v18, v13, vcc_lo
	s_delay_alu instid0(VALU_DEP_2) | instskip(NEXT) | instid1(VALU_DEP_2)
	v_and_b32_e32 v9, 0x80000000, v9
	v_lshlrev_b32_e32 v7, 21, v7
	s_delay_alu instid0(VALU_DEP_3) | instskip(NEXT) | instid1(VALU_DEP_1)
	v_lshl_add_u32 v11, v13, 23, 0x37800000
	v_or3_b32 v7, v9, v11, v7
	s_delay_alu instid0(VALU_DEP_1)
	v_cvt_i32_f32_e32 v7, v7
.LBB87_5151:
	s_or_b32 exec_lo, exec_lo, s6
	s_mov_b32 s6, 0
	s_branch .LBB87_5157
.LBB87_5152:
	s_mov_b32 s6, -1
                                        ; implicit-def: $vgpr7
	s_branch .LBB87_5163
.LBB87_5153:
	s_and_not1_saveexec_b32 s7, s7
	s_cbranch_execz .LBB87_5138
.LBB87_5154:
	v_cmp_ne_u16_e32 vcc_lo, 0, v9
	s_and_not1_b32 s9, s9, exec_lo
	s_and_b32 s25, vcc_lo, exec_lo
	s_delay_alu instid0(SALU_CYCLE_1)
	s_or_b32 s9, s9, s25
	s_or_b32 exec_lo, exec_lo, s7
	v_mov_b32_e32 v7, 0
	s_and_saveexec_b32 s7, s9
	s_cbranch_execnz .LBB87_5139
	s_branch .LBB87_5140
.LBB87_5155:
	s_mov_b32 s6, -1
                                        ; implicit-def: $vgpr7
	s_branch .LBB87_5160
.LBB87_5156:
	s_mov_b32 s6, -1
                                        ; implicit-def: $vgpr7
.LBB87_5157:
	s_delay_alu instid0(SALU_CYCLE_1)
	s_and_b32 vcc_lo, exec_lo, s6
	s_cbranch_vccz .LBB87_5159
; %bb.5158:
	s_wait_loadcnt 0x0
	global_load_u8 v7, v[16:17], off
	s_wait_loadcnt 0x0
	v_lshlrev_b32_e32 v7, 24, v7
	s_delay_alu instid0(VALU_DEP_1) | instskip(NEXT) | instid1(VALU_DEP_1)
	v_and_b32_e32 v9, 0x7f000000, v7
	v_clz_i32_u32_e32 v11, v9
	v_add_nc_u32_e32 v15, 0x1000000, v9
	v_cmp_ne_u32_e32 vcc_lo, 0, v9
	s_delay_alu instid0(VALU_DEP_3) | instskip(NEXT) | instid1(VALU_DEP_1)
	v_min_u32_e32 v11, 32, v11
	v_sub_nc_u32_e64 v11, v11, 4 clamp
	s_delay_alu instid0(VALU_DEP_1) | instskip(NEXT) | instid1(VALU_DEP_1)
	v_dual_lshlrev_b32 v13, v11, v9 :: v_dual_lshlrev_b32 v11, 23, v11
	v_lshrrev_b32_e32 v13, 4, v13
	s_delay_alu instid0(VALU_DEP_1) | instskip(SKIP_1) | instid1(VALU_DEP_2)
	v_sub_nc_u32_e32 v11, v13, v11
	v_ashrrev_i32_e32 v13, 8, v15
	v_add_nc_u32_e32 v11, 0x3c000000, v11
	s_delay_alu instid0(VALU_DEP_1) | instskip(NEXT) | instid1(VALU_DEP_1)
	v_and_or_b32 v11, 0x7f800000, v13, v11
	v_cndmask_b32_e32 v9, 0, v11, vcc_lo
	s_delay_alu instid0(VALU_DEP_1) | instskip(NEXT) | instid1(VALU_DEP_1)
	v_and_or_b32 v7, 0x80000000, v7, v9
	v_cvt_i32_f32_e32 v7, v7
.LBB87_5159:
	s_mov_b32 s6, 0
.LBB87_5160:
	s_delay_alu instid0(SALU_CYCLE_1)
	s_and_not1_b32 vcc_lo, exec_lo, s6
	s_cbranch_vccnz .LBB87_5162
; %bb.5161:
	s_wait_loadcnt 0x0
	global_load_u8 v7, v[16:17], off
	s_wait_loadcnt 0x0
	v_lshlrev_b32_e32 v9, 25, v7
	v_lshlrev_b16 v7, 8, v7
	s_delay_alu instid0(VALU_DEP_1) | instskip(SKIP_1) | instid1(VALU_DEP_2)
	v_and_or_b32 v13, 0x7f00, v7, 0.5
	v_bfe_i32 v7, v7, 0, 16
	v_add_f32_e32 v13, -0.5, v13
	v_lshrrev_b32_e32 v11, 4, v9
	v_cmp_gt_u32_e32 vcc_lo, 0x8000000, v9
	s_delay_alu instid0(VALU_DEP_2) | instskip(NEXT) | instid1(VALU_DEP_1)
	v_or_b32_e32 v11, 0x70000000, v11
	v_mul_f32_e32 v11, 0x7800000, v11
	s_delay_alu instid0(VALU_DEP_1) | instskip(NEXT) | instid1(VALU_DEP_1)
	v_cndmask_b32_e32 v9, v11, v13, vcc_lo
	v_and_or_b32 v7, 0x80000000, v7, v9
	s_delay_alu instid0(VALU_DEP_1)
	v_cvt_i32_f32_e32 v7, v7
.LBB87_5162:
	s_mov_b32 s6, 0
	s_mov_b32 s7, -1
.LBB87_5163:
	s_and_not1_b32 vcc_lo, exec_lo, s6
	s_mov_b32 s6, 0
	s_cbranch_vccnz .LBB87_5174
; %bb.5164:
	s_cmp_gt_i32 s55, 14
	s_cbranch_scc0 .LBB87_5167
; %bb.5165:
	s_cmp_eq_u32 s55, 15
	s_cbranch_scc0 .LBB87_5170
; %bb.5166:
	s_wait_loadcnt 0x0
	global_load_u16 v7, v[16:17], off
	s_mov_b32 s0, 0
	s_mov_b32 s7, -1
	s_wait_loadcnt 0x0
	v_lshlrev_b32_e32 v7, 16, v7
	s_delay_alu instid0(VALU_DEP_1)
	v_cvt_i32_f32_e32 v7, v7
	s_branch .LBB87_5172
.LBB87_5167:
	s_mov_b32 s6, -1
	s_branch .LBB87_5171
.LBB87_5168:
	s_and_not1_saveexec_b32 s6, s6
	s_cbranch_execz .LBB87_5149
.LBB87_5169:
	v_cmp_ne_u16_e32 vcc_lo, 0, v9
	s_and_not1_b32 s7, s7, exec_lo
	s_and_b32 s9, vcc_lo, exec_lo
	s_delay_alu instid0(SALU_CYCLE_1)
	s_or_b32 s7, s7, s9
	s_or_b32 exec_lo, exec_lo, s6
	v_mov_b32_e32 v7, 0
	s_and_saveexec_b32 s6, s7
	s_cbranch_execnz .LBB87_5150
	s_branch .LBB87_5151
.LBB87_5170:
	s_mov_b32 s0, -1
.LBB87_5171:
                                        ; implicit-def: $vgpr7
.LBB87_5172:
	s_and_b32 vcc_lo, exec_lo, s6
	s_mov_b32 s6, 0
	s_cbranch_vccz .LBB87_5174
; %bb.5173:
	s_cmp_lg_u32 s55, 11
	s_mov_b32 s6, -1
	s_cselect_b32 s0, -1, 0
.LBB87_5174:
	s_delay_alu instid0(SALU_CYCLE_1)
	s_and_b32 vcc_lo, exec_lo, s0
	s_mov_b32 s25, s1
	s_cbranch_vccnz .LBB87_5239
; %bb.5175:
	s_and_not1_b32 vcc_lo, exec_lo, s6
	s_cbranch_vccnz .LBB87_5177
.LBB87_5176:
	s_wait_loadcnt 0x0
	global_load_u8 v7, v[16:17], off
	s_mov_b32 s7, -1
	s_wait_loadcnt 0x0
	v_cmp_ne_u16_e32 vcc_lo, 0, v7
	v_cndmask_b32_e64 v7, 0, 1, vcc_lo
.LBB87_5177:
	s_mov_b32 s0, 0
.LBB87_5178:
	s_delay_alu instid0(SALU_CYCLE_1)
	s_and_b32 vcc_lo, exec_lo, s0
	s_cbranch_vccz .LBB87_5227
; %bb.5179:
	s_cmp_lt_i32 s55, 5
	s_cbranch_scc1 .LBB87_5184
; %bb.5180:
	s_cmp_lt_i32 s55, 8
	s_cbranch_scc1 .LBB87_5185
	;; [unrolled: 3-line block ×3, first 2 shown]
; %bb.5182:
	s_cmp_gt_i32 s55, 9
	s_cbranch_scc0 .LBB87_5187
; %bb.5183:
	global_load_b64 v[18:19], v[16:17], off
	s_mov_b32 s0, 0
	s_wait_loadcnt 0x0
	v_cvt_i32_f64_e32 v7, v[18:19]
	s_branch .LBB87_5188
.LBB87_5184:
	s_mov_b32 s0, -1
                                        ; implicit-def: $vgpr7
	s_branch .LBB87_5206
.LBB87_5185:
	s_mov_b32 s0, -1
                                        ; implicit-def: $vgpr7
	s_branch .LBB87_5194
.LBB87_5186:
	s_mov_b32 s0, -1
                                        ; implicit-def: $vgpr7
	s_branch .LBB87_5191
.LBB87_5187:
	s_mov_b32 s0, -1
                                        ; implicit-def: $vgpr7
.LBB87_5188:
	s_delay_alu instid0(SALU_CYCLE_1)
	s_and_not1_b32 vcc_lo, exec_lo, s0
	s_cbranch_vccnz .LBB87_5190
; %bb.5189:
	s_wait_loadcnt 0x0
	global_load_b32 v7, v[16:17], off
	s_wait_loadcnt 0x0
	v_cvt_i32_f32_e32 v7, v7
.LBB87_5190:
	s_mov_b32 s0, 0
.LBB87_5191:
	s_delay_alu instid0(SALU_CYCLE_1)
	s_and_not1_b32 vcc_lo, exec_lo, s0
	s_cbranch_vccnz .LBB87_5193
; %bb.5192:
	s_wait_loadcnt 0x0
	global_load_b32 v7, v[16:17], off
	s_wait_loadcnt 0x0
	v_cvt_f32_f16_e32 v7, v7
	s_delay_alu instid0(VALU_DEP_1)
	v_cvt_i32_f32_e32 v7, v7
.LBB87_5193:
	s_mov_b32 s0, 0
.LBB87_5194:
	s_delay_alu instid0(SALU_CYCLE_1)
	s_and_not1_b32 vcc_lo, exec_lo, s0
	s_cbranch_vccnz .LBB87_5205
; %bb.5195:
	s_cmp_lt_i32 s55, 6
	s_cbranch_scc1 .LBB87_5198
; %bb.5196:
	s_cmp_gt_i32 s55, 6
	s_cbranch_scc0 .LBB87_5199
; %bb.5197:
	global_load_b64 v[18:19], v[16:17], off
	s_mov_b32 s0, 0
	s_wait_loadcnt 0x0
	v_cvt_i32_f64_e32 v7, v[18:19]
	s_branch .LBB87_5200
.LBB87_5198:
	s_mov_b32 s0, -1
                                        ; implicit-def: $vgpr7
	s_branch .LBB87_5203
.LBB87_5199:
	s_mov_b32 s0, -1
                                        ; implicit-def: $vgpr7
.LBB87_5200:
	s_delay_alu instid0(SALU_CYCLE_1)
	s_and_not1_b32 vcc_lo, exec_lo, s0
	s_cbranch_vccnz .LBB87_5202
; %bb.5201:
	s_wait_loadcnt 0x0
	global_load_b32 v7, v[16:17], off
	s_wait_loadcnt 0x0
	v_cvt_i32_f32_e32 v7, v7
.LBB87_5202:
	s_mov_b32 s0, 0
.LBB87_5203:
	s_delay_alu instid0(SALU_CYCLE_1)
	s_and_not1_b32 vcc_lo, exec_lo, s0
	s_cbranch_vccnz .LBB87_5205
; %bb.5204:
	s_wait_loadcnt 0x0
	global_load_u16 v7, v[16:17], off
	s_wait_loadcnt 0x0
	v_cvt_f32_f16_e32 v7, v7
	s_delay_alu instid0(VALU_DEP_1)
	v_cvt_i32_f32_e32 v7, v7
.LBB87_5205:
	s_mov_b32 s0, 0
.LBB87_5206:
	s_delay_alu instid0(SALU_CYCLE_1)
	s_and_not1_b32 vcc_lo, exec_lo, s0
	s_cbranch_vccnz .LBB87_5226
; %bb.5207:
	s_cmp_lt_i32 s55, 2
	s_cbranch_scc1 .LBB87_5211
; %bb.5208:
	s_cmp_lt_i32 s55, 3
	s_cbranch_scc1 .LBB87_5212
; %bb.5209:
	s_cmp_gt_i32 s55, 3
	s_cbranch_scc0 .LBB87_5213
; %bb.5210:
	s_wait_loadcnt 0x0
	global_load_b32 v7, v[16:17], off
	s_mov_b32 s0, 0
	s_branch .LBB87_5214
.LBB87_5211:
	s_mov_b32 s0, -1
                                        ; implicit-def: $vgpr7
	s_branch .LBB87_5220
.LBB87_5212:
	s_mov_b32 s0, -1
                                        ; implicit-def: $vgpr7
	s_branch .LBB87_5217
.LBB87_5213:
	s_mov_b32 s0, -1
                                        ; implicit-def: $vgpr7
.LBB87_5214:
	s_delay_alu instid0(SALU_CYCLE_1)
	s_and_not1_b32 vcc_lo, exec_lo, s0
	s_cbranch_vccnz .LBB87_5216
; %bb.5215:
	s_wait_loadcnt 0x0
	global_load_b32 v7, v[16:17], off
.LBB87_5216:
	s_mov_b32 s0, 0
.LBB87_5217:
	s_delay_alu instid0(SALU_CYCLE_1)
	s_and_not1_b32 vcc_lo, exec_lo, s0
	s_cbranch_vccnz .LBB87_5219
; %bb.5218:
	s_wait_loadcnt 0x0
	global_load_i16 v7, v[16:17], off
.LBB87_5219:
	s_mov_b32 s0, 0
.LBB87_5220:
	s_delay_alu instid0(SALU_CYCLE_1)
	s_and_not1_b32 vcc_lo, exec_lo, s0
	s_cbranch_vccnz .LBB87_5226
; %bb.5221:
	s_cmp_gt_i32 s55, 0
	s_mov_b32 s0, 0
	s_cbranch_scc0 .LBB87_5223
; %bb.5222:
	s_wait_loadcnt 0x0
	global_load_i8 v7, v[16:17], off
	s_branch .LBB87_5224
.LBB87_5223:
	s_mov_b32 s0, -1
                                        ; implicit-def: $vgpr7
.LBB87_5224:
	s_delay_alu instid0(SALU_CYCLE_1)
	s_and_not1_b32 vcc_lo, exec_lo, s0
	s_cbranch_vccnz .LBB87_5226
; %bb.5225:
	s_wait_loadcnt 0x0
	global_load_u8 v7, v[16:17], off
.LBB87_5226:
	s_mov_b32 s7, -1
.LBB87_5227:
	s_delay_alu instid0(SALU_CYCLE_1)
	s_and_not1_b32 vcc_lo, exec_lo, s7
	s_cbranch_vccnz .LBB87_5747
; %bb.5228:
	v_mov_b32_e32 v15, 0
	s_cmp_lt_i32 s56, 11
	s_delay_alu instid0(VALU_DEP_1)
	v_add_nc_u64_e32 v[14:15], s[12:13], v[14:15]
	s_cbranch_scc1 .LBB87_5235
; %bb.5229:
	s_cmp_gt_i32 s56, 25
	s_mov_b32 s6, 0
	s_cbranch_scc0 .LBB87_5236
; %bb.5230:
	s_cmp_gt_i32 s56, 28
	s_cbranch_scc0 .LBB87_5237
; %bb.5231:
	s_cmp_gt_i32 s56, 43
	;; [unrolled: 3-line block ×3, first 2 shown]
	s_cbranch_scc0 .LBB87_5240
; %bb.5233:
	s_cmp_eq_u32 s56, 46
	s_mov_b32 s9, 0
	s_cbranch_scc0 .LBB87_5242
; %bb.5234:
	global_load_b32 v9, v[14:15], off
	s_mov_b32 s0, 0
	s_mov_b32 s7, -1
	s_wait_loadcnt 0x0
	v_lshlrev_b32_e32 v9, 16, v9
	s_wait_xcnt 0x1
	s_delay_alu instid0(VALU_DEP_1)
	v_cvt_i32_f32_e32 v16, v9
	s_branch .LBB87_5244
.LBB87_5235:
	s_mov_b32 s0, -1
	s_mov_b32 s7, 0
                                        ; implicit-def: $vgpr16
	s_branch .LBB87_5306
.LBB87_5236:
	s_mov_b32 s9, -1
	s_mov_b32 s7, 0
	s_mov_b32 s0, 0
                                        ; implicit-def: $vgpr16
	s_branch .LBB87_5271
.LBB87_5237:
	s_mov_b32 s9, -1
	s_mov_b32 s7, 0
	s_mov_b32 s0, 0
                                        ; implicit-def: $vgpr16
	s_branch .LBB87_5254
.LBB87_5238:
	s_mov_b32 s9, -1
	s_mov_b32 s7, 0
	s_mov_b32 s0, 0
                                        ; implicit-def: $vgpr16
	s_branch .LBB87_5249
.LBB87_5239:
	s_or_b32 s25, s1, exec_lo
	s_trap 2
	s_cbranch_execz .LBB87_5176
	s_branch .LBB87_5177
.LBB87_5240:
	s_mov_b32 s9, -1
	s_mov_b32 s7, 0
	s_mov_b32 s0, 0
	s_branch .LBB87_5243
.LBB87_5241:
	s_or_b32 s54, s54, exec_lo
	s_trap 2
                                        ; implicit-def: $vgpr9
                                        ; implicit-def: $vgpr22
                                        ; implicit-def: $vgpr20
                                        ; implicit-def: $vgpr24
                                        ; implicit-def: $vgpr5
                                        ; implicit-def: $vgpr6
                                        ; implicit-def: $vgpr4
                                        ; implicit-def: $vgpr2
                                        ; implicit-def: $vgpr10
                                        ; implicit-def: $vgpr8
                                        ; implicit-def: $vgpr14
                                        ; implicit-def: $vgpr12
                                        ; implicit-def: $vgpr0
                                        ; implicit-def: $vgpr16
                                        ; implicit-def: $vgpr1
                                        ; implicit-def: $vgpr3
	s_branch .LBB87_5074
.LBB87_5242:
	s_mov_b32 s0, -1
	s_mov_b32 s7, 0
.LBB87_5243:
                                        ; implicit-def: $vgpr16
.LBB87_5244:
	s_and_b32 vcc_lo, exec_lo, s9
	s_cbranch_vccz .LBB87_5248
; %bb.5245:
	s_cmp_eq_u32 s56, 44
	s_cbranch_scc0 .LBB87_5247
; %bb.5246:
	global_load_u8 v9, v[14:15], off
	s_mov_b32 s0, 0
	s_mov_b32 s7, -1
	s_wait_loadcnt 0x0
	v_lshlrev_b32_e32 v11, 23, v9
	v_cmp_ne_u32_e32 vcc_lo, 0, v9
	s_delay_alu instid0(VALU_DEP_2) | instskip(SKIP_1) | instid1(VALU_DEP_1)
	v_cvt_i32_f32_e32 v11, v11
	s_wait_xcnt 0x1
	v_cndmask_b32_e32 v16, 0, v11, vcc_lo
	s_branch .LBB87_5248
.LBB87_5247:
	s_mov_b32 s0, -1
                                        ; implicit-def: $vgpr16
.LBB87_5248:
	s_mov_b32 s9, 0
.LBB87_5249:
	s_delay_alu instid0(SALU_CYCLE_1)
	s_and_b32 vcc_lo, exec_lo, s9
	s_cbranch_vccz .LBB87_5253
; %bb.5250:
	s_cmp_eq_u32 s56, 29
	s_cbranch_scc0 .LBB87_5252
; %bb.5251:
	global_load_b32 v16, v[14:15], off
	s_mov_b32 s0, 0
	s_mov_b32 s7, -1
	s_branch .LBB87_5253
.LBB87_5252:
	s_mov_b32 s0, -1
                                        ; implicit-def: $vgpr16
.LBB87_5253:
	s_mov_b32 s9, 0
.LBB87_5254:
	s_delay_alu instid0(SALU_CYCLE_1)
	s_and_b32 vcc_lo, exec_lo, s9
	s_cbranch_vccz .LBB87_5270
; %bb.5255:
	s_cmp_lt_i32 s56, 27
	s_cbranch_scc1 .LBB87_5258
; %bb.5256:
	s_cmp_gt_i32 s56, 27
	s_cbranch_scc0 .LBB87_5259
; %bb.5257:
	s_wait_loadcnt 0x0
	global_load_b32 v16, v[14:15], off
	s_mov_b32 s7, 0
	s_branch .LBB87_5260
.LBB87_5258:
	s_mov_b32 s7, -1
                                        ; implicit-def: $vgpr16
	s_branch .LBB87_5263
.LBB87_5259:
	s_mov_b32 s7, -1
                                        ; implicit-def: $vgpr16
.LBB87_5260:
	s_delay_alu instid0(SALU_CYCLE_1)
	s_and_not1_b32 vcc_lo, exec_lo, s7
	s_cbranch_vccnz .LBB87_5262
; %bb.5261:
	s_wait_loadcnt 0x0
	global_load_u16 v16, v[14:15], off
.LBB87_5262:
	s_mov_b32 s7, 0
.LBB87_5263:
	s_delay_alu instid0(SALU_CYCLE_1)
	s_and_not1_b32 vcc_lo, exec_lo, s7
	s_cbranch_vccnz .LBB87_5269
; %bb.5264:
	global_load_u8 v9, v[14:15], off
	s_mov_b32 s9, 0
	s_mov_b32 s7, exec_lo
	s_wait_loadcnt 0x0
	v_cmpx_lt_i16_e32 0x7f, v9
	s_xor_b32 s7, exec_lo, s7
	s_cbranch_execz .LBB87_5281
; %bb.5265:
	v_cmp_ne_u16_e32 vcc_lo, 0x80, v9
	s_and_b32 s9, vcc_lo, exec_lo
	s_and_not1_saveexec_b32 s7, s7
	s_cbranch_execnz .LBB87_5282
.LBB87_5266:
	s_or_b32 exec_lo, exec_lo, s7
	v_mov_b32_e32 v16, 0
	s_and_saveexec_b32 s7, s9
	s_cbranch_execz .LBB87_5268
.LBB87_5267:
	v_and_b32_e32 v11, 0xffff, v9
	s_delay_alu instid0(VALU_DEP_1) | instskip(SKIP_1) | instid1(VALU_DEP_2)
	v_and_b32_e32 v13, 7, v11
	v_bfe_u32 v18, v11, 3, 4
	v_clz_i32_u32_e32 v16, v13
	s_delay_alu instid0(VALU_DEP_2) | instskip(NEXT) | instid1(VALU_DEP_2)
	v_cmp_eq_u32_e32 vcc_lo, 0, v18
	v_min_u32_e32 v16, 32, v16
	s_delay_alu instid0(VALU_DEP_1) | instskip(NEXT) | instid1(VALU_DEP_1)
	v_subrev_nc_u32_e32 v17, 28, v16
	v_dual_lshlrev_b32 v11, v17, v11 :: v_dual_sub_nc_u32 v16, 29, v16
	s_delay_alu instid0(VALU_DEP_1) | instskip(NEXT) | instid1(VALU_DEP_1)
	v_dual_lshlrev_b32 v9, 24, v9 :: v_dual_bitop2_b32 v11, 7, v11 bitop3:0x40
	v_dual_cndmask_b32 v16, v18, v16 :: v_dual_cndmask_b32 v11, v13, v11
	s_delay_alu instid0(VALU_DEP_2) | instskip(NEXT) | instid1(VALU_DEP_2)
	v_and_b32_e32 v9, 0x80000000, v9
	v_lshl_add_u32 v13, v16, 23, 0x3b800000
	s_delay_alu instid0(VALU_DEP_3) | instskip(NEXT) | instid1(VALU_DEP_1)
	v_lshlrev_b32_e32 v11, 20, v11
	v_or3_b32 v9, v9, v13, v11
	s_delay_alu instid0(VALU_DEP_1)
	v_cvt_i32_f32_e32 v16, v9
.LBB87_5268:
	s_or_b32 exec_lo, exec_lo, s7
.LBB87_5269:
	s_mov_b32 s7, -1
.LBB87_5270:
	s_mov_b32 s9, 0
.LBB87_5271:
	s_delay_alu instid0(SALU_CYCLE_1)
	s_and_b32 vcc_lo, exec_lo, s9
	s_cbranch_vccz .LBB87_5302
; %bb.5272:
	s_cmp_gt_i32 s56, 22
	s_cbranch_scc0 .LBB87_5280
; %bb.5273:
	s_cmp_lt_i32 s56, 24
	s_cbranch_scc1 .LBB87_5283
; %bb.5274:
	s_cmp_gt_i32 s56, 24
	s_cbranch_scc0 .LBB87_5284
; %bb.5275:
	global_load_u8 v9, v[14:15], off
	s_mov_b32 s7, 0
	s_mov_b32 s6, exec_lo
	s_wait_loadcnt 0x0
	v_cmpx_lt_i16_e32 0x7f, v9
	s_xor_b32 s6, exec_lo, s6
	s_cbranch_execz .LBB87_5296
; %bb.5276:
	v_cmp_ne_u16_e32 vcc_lo, 0x80, v9
	s_and_b32 s7, vcc_lo, exec_lo
	s_and_not1_saveexec_b32 s6, s6
	s_cbranch_execnz .LBB87_5297
.LBB87_5277:
	s_or_b32 exec_lo, exec_lo, s6
	v_mov_b32_e32 v16, 0
	s_and_saveexec_b32 s6, s7
	s_cbranch_execz .LBB87_5279
.LBB87_5278:
	v_and_b32_e32 v11, 0xffff, v9
	s_delay_alu instid0(VALU_DEP_1) | instskip(SKIP_1) | instid1(VALU_DEP_2)
	v_and_b32_e32 v13, 3, v11
	v_bfe_u32 v18, v11, 2, 5
	v_clz_i32_u32_e32 v16, v13
	s_delay_alu instid0(VALU_DEP_2) | instskip(NEXT) | instid1(VALU_DEP_2)
	v_cmp_eq_u32_e32 vcc_lo, 0, v18
	v_min_u32_e32 v16, 32, v16
	s_delay_alu instid0(VALU_DEP_1) | instskip(NEXT) | instid1(VALU_DEP_1)
	v_subrev_nc_u32_e32 v17, 29, v16
	v_dual_lshlrev_b32 v11, v17, v11 :: v_dual_sub_nc_u32 v16, 30, v16
	s_delay_alu instid0(VALU_DEP_1) | instskip(NEXT) | instid1(VALU_DEP_1)
	v_dual_lshlrev_b32 v9, 24, v9 :: v_dual_bitop2_b32 v11, 3, v11 bitop3:0x40
	v_dual_cndmask_b32 v16, v18, v16 :: v_dual_cndmask_b32 v11, v13, v11
	s_delay_alu instid0(VALU_DEP_2) | instskip(NEXT) | instid1(VALU_DEP_2)
	v_and_b32_e32 v9, 0x80000000, v9
	v_lshl_add_u32 v13, v16, 23, 0x37800000
	s_delay_alu instid0(VALU_DEP_3) | instskip(NEXT) | instid1(VALU_DEP_1)
	v_lshlrev_b32_e32 v11, 21, v11
	v_or3_b32 v9, v9, v13, v11
	s_delay_alu instid0(VALU_DEP_1)
	v_cvt_i32_f32_e32 v16, v9
.LBB87_5279:
	s_or_b32 exec_lo, exec_lo, s6
	s_mov_b32 s6, 0
	s_branch .LBB87_5285
.LBB87_5280:
	s_mov_b32 s6, -1
                                        ; implicit-def: $vgpr16
	s_branch .LBB87_5291
.LBB87_5281:
	s_and_not1_saveexec_b32 s7, s7
	s_cbranch_execz .LBB87_5266
.LBB87_5282:
	v_cmp_ne_u16_e32 vcc_lo, 0, v9
	s_and_not1_b32 s9, s9, exec_lo
	s_and_b32 s12, vcc_lo, exec_lo
	s_delay_alu instid0(SALU_CYCLE_1)
	s_or_b32 s9, s9, s12
	s_or_b32 exec_lo, exec_lo, s7
	v_mov_b32_e32 v16, 0
	s_and_saveexec_b32 s7, s9
	s_cbranch_execnz .LBB87_5267
	s_branch .LBB87_5268
.LBB87_5283:
	s_mov_b32 s6, -1
                                        ; implicit-def: $vgpr16
	s_branch .LBB87_5288
.LBB87_5284:
	s_mov_b32 s6, -1
                                        ; implicit-def: $vgpr16
.LBB87_5285:
	s_delay_alu instid0(SALU_CYCLE_1)
	s_and_b32 vcc_lo, exec_lo, s6
	s_cbranch_vccz .LBB87_5287
; %bb.5286:
	global_load_u8 v9, v[14:15], off
	s_wait_loadcnt 0x0
	v_lshlrev_b32_e32 v9, 24, v9
	s_delay_alu instid0(VALU_DEP_1) | instskip(NEXT) | instid1(VALU_DEP_1)
	v_and_b32_e32 v11, 0x7f000000, v9
	v_clz_i32_u32_e32 v13, v11
	s_wait_xcnt 0x1
	v_add_nc_u32_e32 v17, 0x1000000, v11
	v_cmp_ne_u32_e32 vcc_lo, 0, v11
	s_delay_alu instid0(VALU_DEP_3) | instskip(NEXT) | instid1(VALU_DEP_1)
	v_min_u32_e32 v13, 32, v13
	v_sub_nc_u32_e64 v13, v13, 4 clamp
	s_delay_alu instid0(VALU_DEP_1) | instskip(NEXT) | instid1(VALU_DEP_1)
	v_dual_lshlrev_b32 v16, v13, v11 :: v_dual_lshlrev_b32 v13, 23, v13
	v_lshrrev_b32_e32 v16, 4, v16
	s_delay_alu instid0(VALU_DEP_1) | instskip(SKIP_1) | instid1(VALU_DEP_2)
	v_sub_nc_u32_e32 v13, v16, v13
	v_ashrrev_i32_e32 v16, 8, v17
	v_add_nc_u32_e32 v13, 0x3c000000, v13
	s_delay_alu instid0(VALU_DEP_1) | instskip(NEXT) | instid1(VALU_DEP_1)
	v_and_or_b32 v13, 0x7f800000, v16, v13
	v_cndmask_b32_e32 v11, 0, v13, vcc_lo
	s_delay_alu instid0(VALU_DEP_1) | instskip(NEXT) | instid1(VALU_DEP_1)
	v_and_or_b32 v9, 0x80000000, v9, v11
	v_cvt_i32_f32_e32 v16, v9
.LBB87_5287:
	s_mov_b32 s6, 0
.LBB87_5288:
	s_delay_alu instid0(SALU_CYCLE_1)
	s_and_not1_b32 vcc_lo, exec_lo, s6
	s_cbranch_vccnz .LBB87_5290
; %bb.5289:
	global_load_u8 v9, v[14:15], off
	s_wait_loadcnt 0x0
	v_lshlrev_b32_e32 v11, 25, v9
	v_lshlrev_b16 v9, 8, v9
	s_wait_xcnt 0x1
	s_delay_alu instid0(VALU_DEP_1) | instskip(SKIP_1) | instid1(VALU_DEP_2)
	v_and_or_b32 v16, 0x7f00, v9, 0.5
	v_bfe_i32 v9, v9, 0, 16
	v_dual_add_f32 v16, -0.5, v16 :: v_dual_lshrrev_b32 v13, 4, v11
	v_cmp_gt_u32_e32 vcc_lo, 0x8000000, v11
	s_delay_alu instid0(VALU_DEP_2) | instskip(NEXT) | instid1(VALU_DEP_1)
	v_or_b32_e32 v13, 0x70000000, v13
	v_mul_f32_e32 v13, 0x7800000, v13
	s_delay_alu instid0(VALU_DEP_1) | instskip(NEXT) | instid1(VALU_DEP_1)
	v_cndmask_b32_e32 v11, v13, v16, vcc_lo
	v_and_or_b32 v9, 0x80000000, v9, v11
	s_delay_alu instid0(VALU_DEP_1)
	v_cvt_i32_f32_e32 v16, v9
.LBB87_5290:
	s_mov_b32 s6, 0
	s_mov_b32 s7, -1
.LBB87_5291:
	s_and_not1_b32 vcc_lo, exec_lo, s6
	s_mov_b32 s6, 0
	s_cbranch_vccnz .LBB87_5302
; %bb.5292:
	s_cmp_gt_i32 s56, 14
	s_cbranch_scc0 .LBB87_5295
; %bb.5293:
	s_cmp_eq_u32 s56, 15
	s_cbranch_scc0 .LBB87_5298
; %bb.5294:
	global_load_u16 v9, v[14:15], off
	s_mov_b32 s0, 0
	s_mov_b32 s7, -1
	s_wait_loadcnt 0x0
	v_lshlrev_b32_e32 v9, 16, v9
	s_wait_xcnt 0x1
	s_delay_alu instid0(VALU_DEP_1)
	v_cvt_i32_f32_e32 v16, v9
	s_branch .LBB87_5300
.LBB87_5295:
	s_mov_b32 s6, -1
	s_branch .LBB87_5299
.LBB87_5296:
	s_and_not1_saveexec_b32 s6, s6
	s_cbranch_execz .LBB87_5277
.LBB87_5297:
	v_cmp_ne_u16_e32 vcc_lo, 0, v9
	s_and_not1_b32 s7, s7, exec_lo
	s_and_b32 s9, vcc_lo, exec_lo
	s_delay_alu instid0(SALU_CYCLE_1)
	s_or_b32 s7, s7, s9
	s_or_b32 exec_lo, exec_lo, s6
	v_mov_b32_e32 v16, 0
	s_and_saveexec_b32 s6, s7
	s_cbranch_execnz .LBB87_5278
	s_branch .LBB87_5279
.LBB87_5298:
	s_mov_b32 s0, -1
.LBB87_5299:
                                        ; implicit-def: $vgpr16
.LBB87_5300:
	s_and_b32 vcc_lo, exec_lo, s6
	s_mov_b32 s6, 0
	s_cbranch_vccz .LBB87_5302
; %bb.5301:
	s_cmp_lg_u32 s56, 11
	s_mov_b32 s6, -1
	s_cselect_b32 s0, -1, 0
.LBB87_5302:
	s_delay_alu instid0(SALU_CYCLE_1)
	s_and_b32 vcc_lo, exec_lo, s0
	s_cbranch_vccnz .LBB87_5367
; %bb.5303:
	s_and_not1_b32 vcc_lo, exec_lo, s6
	s_cbranch_vccnz .LBB87_5305
.LBB87_5304:
	global_load_u8 v9, v[14:15], off
	s_mov_b32 s7, -1
	s_wait_loadcnt 0x0
	v_cmp_ne_u16_e32 vcc_lo, 0, v9
	s_wait_xcnt 0x1
	v_cndmask_b32_e64 v16, 0, 1, vcc_lo
.LBB87_5305:
	s_mov_b32 s0, 0
.LBB87_5306:
	s_delay_alu instid0(SALU_CYCLE_1)
	s_and_b32 vcc_lo, exec_lo, s0
	s_cbranch_vccz .LBB87_5355
; %bb.5307:
	s_cmp_lt_i32 s56, 5
	s_cbranch_scc1 .LBB87_5312
; %bb.5308:
	s_cmp_lt_i32 s56, 8
	s_cbranch_scc1 .LBB87_5313
	;; [unrolled: 3-line block ×3, first 2 shown]
; %bb.5310:
	s_cmp_gt_i32 s56, 9
	s_cbranch_scc0 .LBB87_5315
; %bb.5311:
	s_wait_loadcnt 0x0
	global_load_b64 v[16:17], v[14:15], off
	s_mov_b32 s0, 0
	s_wait_loadcnt 0x0
	v_cvt_i32_f64_e32 v16, v[16:17]
	s_branch .LBB87_5316
.LBB87_5312:
	s_mov_b32 s0, -1
                                        ; implicit-def: $vgpr16
	s_branch .LBB87_5334
.LBB87_5313:
	s_mov_b32 s0, -1
                                        ; implicit-def: $vgpr16
	s_branch .LBB87_5322
.LBB87_5314:
	s_mov_b32 s0, -1
                                        ; implicit-def: $vgpr16
	s_branch .LBB87_5319
.LBB87_5315:
	s_mov_b32 s0, -1
                                        ; implicit-def: $vgpr16
.LBB87_5316:
	s_delay_alu instid0(SALU_CYCLE_1)
	s_and_not1_b32 vcc_lo, exec_lo, s0
	s_cbranch_vccnz .LBB87_5318
; %bb.5317:
	global_load_b32 v9, v[14:15], off
	s_wait_loadcnt 0x0
	s_wait_xcnt 0x1
	v_cvt_i32_f32_e32 v16, v9
.LBB87_5318:
	s_mov_b32 s0, 0
.LBB87_5319:
	s_delay_alu instid0(SALU_CYCLE_1)
	s_and_not1_b32 vcc_lo, exec_lo, s0
	s_cbranch_vccnz .LBB87_5321
; %bb.5320:
	global_load_b32 v9, v[14:15], off
	s_wait_loadcnt 0x0
	v_cvt_f32_f16_e32 v9, v9
	s_wait_xcnt 0x1
	s_delay_alu instid0(VALU_DEP_1)
	v_cvt_i32_f32_e32 v16, v9
.LBB87_5321:
	s_mov_b32 s0, 0
.LBB87_5322:
	s_delay_alu instid0(SALU_CYCLE_1)
	s_and_not1_b32 vcc_lo, exec_lo, s0
	s_cbranch_vccnz .LBB87_5333
; %bb.5323:
	s_cmp_lt_i32 s56, 6
	s_cbranch_scc1 .LBB87_5326
; %bb.5324:
	s_cmp_gt_i32 s56, 6
	s_cbranch_scc0 .LBB87_5327
; %bb.5325:
	s_wait_loadcnt 0x0
	global_load_b64 v[16:17], v[14:15], off
	s_mov_b32 s0, 0
	s_wait_loadcnt 0x0
	v_cvt_i32_f64_e32 v16, v[16:17]
	s_branch .LBB87_5328
.LBB87_5326:
	s_mov_b32 s0, -1
                                        ; implicit-def: $vgpr16
	s_branch .LBB87_5331
.LBB87_5327:
	s_mov_b32 s0, -1
                                        ; implicit-def: $vgpr16
.LBB87_5328:
	s_delay_alu instid0(SALU_CYCLE_1)
	s_and_not1_b32 vcc_lo, exec_lo, s0
	s_cbranch_vccnz .LBB87_5330
; %bb.5329:
	global_load_b32 v9, v[14:15], off
	s_wait_loadcnt 0x0
	s_wait_xcnt 0x1
	v_cvt_i32_f32_e32 v16, v9
.LBB87_5330:
	s_mov_b32 s0, 0
.LBB87_5331:
	s_delay_alu instid0(SALU_CYCLE_1)
	s_and_not1_b32 vcc_lo, exec_lo, s0
	s_cbranch_vccnz .LBB87_5333
; %bb.5332:
	global_load_u16 v9, v[14:15], off
	s_wait_loadcnt 0x0
	v_cvt_f32_f16_e32 v9, v9
	s_wait_xcnt 0x1
	s_delay_alu instid0(VALU_DEP_1)
	v_cvt_i32_f32_e32 v16, v9
.LBB87_5333:
	s_mov_b32 s0, 0
.LBB87_5334:
	s_delay_alu instid0(SALU_CYCLE_1)
	s_and_not1_b32 vcc_lo, exec_lo, s0
	s_cbranch_vccnz .LBB87_5354
; %bb.5335:
	s_cmp_lt_i32 s56, 2
	s_cbranch_scc1 .LBB87_5339
; %bb.5336:
	s_cmp_lt_i32 s56, 3
	s_cbranch_scc1 .LBB87_5340
; %bb.5337:
	s_cmp_gt_i32 s56, 3
	s_cbranch_scc0 .LBB87_5341
; %bb.5338:
	s_wait_loadcnt 0x0
	global_load_b32 v16, v[14:15], off
	s_mov_b32 s0, 0
	s_branch .LBB87_5342
.LBB87_5339:
	s_mov_b32 s0, -1
                                        ; implicit-def: $vgpr16
	s_branch .LBB87_5348
.LBB87_5340:
	s_mov_b32 s0, -1
                                        ; implicit-def: $vgpr16
	s_branch .LBB87_5345
.LBB87_5341:
	s_mov_b32 s0, -1
                                        ; implicit-def: $vgpr16
.LBB87_5342:
	s_delay_alu instid0(SALU_CYCLE_1)
	s_and_not1_b32 vcc_lo, exec_lo, s0
	s_cbranch_vccnz .LBB87_5344
; %bb.5343:
	s_wait_loadcnt 0x0
	global_load_b32 v16, v[14:15], off
.LBB87_5344:
	s_mov_b32 s0, 0
.LBB87_5345:
	s_delay_alu instid0(SALU_CYCLE_1)
	s_and_not1_b32 vcc_lo, exec_lo, s0
	s_cbranch_vccnz .LBB87_5347
; %bb.5346:
	s_wait_loadcnt 0x0
	global_load_i16 v16, v[14:15], off
.LBB87_5347:
	s_mov_b32 s0, 0
.LBB87_5348:
	s_delay_alu instid0(SALU_CYCLE_1)
	s_and_not1_b32 vcc_lo, exec_lo, s0
	s_cbranch_vccnz .LBB87_5354
; %bb.5349:
	s_cmp_gt_i32 s56, 0
	s_mov_b32 s0, 0
	s_cbranch_scc0 .LBB87_5351
; %bb.5350:
	s_wait_loadcnt 0x0
	global_load_i8 v16, v[14:15], off
	s_branch .LBB87_5352
.LBB87_5351:
	s_mov_b32 s0, -1
                                        ; implicit-def: $vgpr16
.LBB87_5352:
	s_delay_alu instid0(SALU_CYCLE_1)
	s_and_not1_b32 vcc_lo, exec_lo, s0
	s_cbranch_vccnz .LBB87_5354
; %bb.5353:
	s_wait_loadcnt 0x0
	global_load_u8 v16, v[14:15], off
.LBB87_5354:
	s_mov_b32 s7, -1
.LBB87_5355:
	s_delay_alu instid0(SALU_CYCLE_1)
	s_and_not1_b32 vcc_lo, exec_lo, s7
	s_cbranch_vccnz .LBB87_5747
; %bb.5356:
	v_mov_b32_e32 v13, 0
	s_cmp_lt_i32 s57, 11
	s_wait_xcnt 0x0
	s_delay_alu instid0(VALU_DEP_1)
	v_add_nc_u64_e32 v[14:15], s[14:15], v[12:13]
	s_cbranch_scc1 .LBB87_5363
; %bb.5357:
	s_cmp_gt_i32 s57, 25
	s_mov_b32 s6, 0
	s_cbranch_scc0 .LBB87_5364
; %bb.5358:
	s_cmp_gt_i32 s57, 28
	s_cbranch_scc0 .LBB87_5365
; %bb.5359:
	s_cmp_gt_i32 s57, 43
	;; [unrolled: 3-line block ×3, first 2 shown]
	s_cbranch_scc0 .LBB87_5368
; %bb.5361:
	s_cmp_eq_u32 s57, 46
	s_mov_b32 s9, 0
	s_cbranch_scc0 .LBB87_5370
; %bb.5362:
	global_load_b32 v9, v[14:15], off
	s_mov_b32 s0, 0
	s_mov_b32 s7, -1
	s_wait_loadcnt 0x0
	v_lshlrev_b32_e32 v9, 16, v9
	s_delay_alu instid0(VALU_DEP_1)
	v_cvt_i32_f32_e32 v12, v9
	s_branch .LBB87_5372
.LBB87_5363:
	s_mov_b32 s0, -1
	s_mov_b32 s7, 0
                                        ; implicit-def: $vgpr12
	s_branch .LBB87_5434
.LBB87_5364:
	s_mov_b32 s9, -1
	s_mov_b32 s7, 0
	s_mov_b32 s0, 0
                                        ; implicit-def: $vgpr12
	s_branch .LBB87_5399
.LBB87_5365:
	s_mov_b32 s9, -1
	s_mov_b32 s7, 0
	s_mov_b32 s0, 0
                                        ; implicit-def: $vgpr12
	s_branch .LBB87_5382
.LBB87_5366:
	s_mov_b32 s9, -1
	s_mov_b32 s7, 0
	s_mov_b32 s0, 0
                                        ; implicit-def: $vgpr12
	s_branch .LBB87_5377
.LBB87_5367:
	s_or_b32 s25, s25, exec_lo
	s_trap 2
	s_cbranch_execz .LBB87_5304
	s_branch .LBB87_5305
.LBB87_5368:
	s_mov_b32 s9, -1
	s_mov_b32 s7, 0
	s_mov_b32 s0, 0
	s_branch .LBB87_5371
.LBB87_5369:
	s_or_b32 s61, s54, exec_lo
	s_trap 2
                                        ; implicit-def: $vgpr22
                                        ; implicit-def: $vgpr20
                                        ; implicit-def: $vgpr24
                                        ; implicit-def: $vgpr5
                                        ; implicit-def: $vgpr6
                                        ; implicit-def: $vgpr4
                                        ; implicit-def: $vgpr2
                                        ; implicit-def: $vgpr10
                                        ; implicit-def: $vgpr8
                                        ; implicit-def: $vgpr14
                                        ; implicit-def: $vgpr12
                                        ; implicit-def: $vgpr0
                                        ; implicit-def: $vgpr16
                                        ; implicit-def: $vgpr1
                                        ; implicit-def: $vgpr3
	s_or_saveexec_b32 s62, s0
                                        ; implicit-def: $vgpr38_vgpr39
                                        ; implicit-def: $sgpr0
	s_delay_alu instid0(SALU_CYCLE_1)
	s_xor_b32 exec_lo, exec_lo, s62
	s_cbranch_execz .LBB87_5751
	s_branch .LBB87_5077
.LBB87_5370:
	s_mov_b32 s0, -1
	s_mov_b32 s7, 0
.LBB87_5371:
                                        ; implicit-def: $vgpr12
.LBB87_5372:
	s_and_b32 vcc_lo, exec_lo, s9
	s_cbranch_vccz .LBB87_5376
; %bb.5373:
	s_cmp_eq_u32 s57, 44
	s_cbranch_scc0 .LBB87_5375
; %bb.5374:
	global_load_u8 v9, v[14:15], off
	s_mov_b32 s0, 0
	s_mov_b32 s7, -1
	s_wait_loadcnt 0x0
	v_lshlrev_b32_e32 v11, 23, v9
	v_cmp_ne_u32_e32 vcc_lo, 0, v9
	s_delay_alu instid0(VALU_DEP_2) | instskip(NEXT) | instid1(VALU_DEP_1)
	v_cvt_i32_f32_e32 v11, v11
	v_cndmask_b32_e32 v12, 0, v11, vcc_lo
	s_branch .LBB87_5376
.LBB87_5375:
	s_mov_b32 s0, -1
                                        ; implicit-def: $vgpr12
.LBB87_5376:
	s_mov_b32 s9, 0
.LBB87_5377:
	s_delay_alu instid0(SALU_CYCLE_1)
	s_and_b32 vcc_lo, exec_lo, s9
	s_cbranch_vccz .LBB87_5381
; %bb.5378:
	s_cmp_eq_u32 s57, 29
	s_cbranch_scc0 .LBB87_5380
; %bb.5379:
	global_load_b32 v12, v[14:15], off
	s_mov_b32 s0, 0
	s_mov_b32 s7, -1
	s_branch .LBB87_5381
.LBB87_5380:
	s_mov_b32 s0, -1
                                        ; implicit-def: $vgpr12
.LBB87_5381:
	s_mov_b32 s9, 0
.LBB87_5382:
	s_delay_alu instid0(SALU_CYCLE_1)
	s_and_b32 vcc_lo, exec_lo, s9
	s_cbranch_vccz .LBB87_5398
; %bb.5383:
	s_cmp_lt_i32 s57, 27
	s_cbranch_scc1 .LBB87_5386
; %bb.5384:
	s_cmp_gt_i32 s57, 27
	s_cbranch_scc0 .LBB87_5387
; %bb.5385:
	s_wait_loadcnt 0x0
	global_load_b32 v12, v[14:15], off
	s_mov_b32 s7, 0
	s_branch .LBB87_5388
.LBB87_5386:
	s_mov_b32 s7, -1
                                        ; implicit-def: $vgpr12
	s_branch .LBB87_5391
.LBB87_5387:
	s_mov_b32 s7, -1
                                        ; implicit-def: $vgpr12
.LBB87_5388:
	s_delay_alu instid0(SALU_CYCLE_1)
	s_and_not1_b32 vcc_lo, exec_lo, s7
	s_cbranch_vccnz .LBB87_5390
; %bb.5389:
	s_wait_loadcnt 0x0
	global_load_u16 v12, v[14:15], off
.LBB87_5390:
	s_mov_b32 s7, 0
.LBB87_5391:
	s_delay_alu instid0(SALU_CYCLE_1)
	s_and_not1_b32 vcc_lo, exec_lo, s7
	s_cbranch_vccnz .LBB87_5397
; %bb.5392:
	global_load_u8 v9, v[14:15], off
	s_mov_b32 s9, 0
	s_mov_b32 s7, exec_lo
	s_wait_loadcnt 0x0
	v_cmpx_lt_i16_e32 0x7f, v9
	s_xor_b32 s7, exec_lo, s7
	s_cbranch_execz .LBB87_5409
; %bb.5393:
	v_cmp_ne_u16_e32 vcc_lo, 0x80, v9
	s_and_b32 s9, vcc_lo, exec_lo
	s_and_not1_saveexec_b32 s7, s7
	s_cbranch_execnz .LBB87_5410
.LBB87_5394:
	s_or_b32 exec_lo, exec_lo, s7
	v_mov_b32_e32 v12, 0
	s_and_saveexec_b32 s7, s9
	s_cbranch_execz .LBB87_5396
.LBB87_5395:
	v_and_b32_e32 v11, 0xffff, v9
	s_delay_alu instid0(VALU_DEP_1) | instskip(SKIP_1) | instid1(VALU_DEP_2)
	v_and_b32_e32 v12, 7, v11
	v_bfe_u32 v18, v11, 3, 4
	v_clz_i32_u32_e32 v13, v12
	s_delay_alu instid0(VALU_DEP_2) | instskip(NEXT) | instid1(VALU_DEP_2)
	v_cmp_eq_u32_e32 vcc_lo, 0, v18
	v_min_u32_e32 v13, 32, v13
	s_delay_alu instid0(VALU_DEP_1) | instskip(NEXT) | instid1(VALU_DEP_1)
	v_subrev_nc_u32_e32 v17, 28, v13
	v_dual_lshlrev_b32 v11, v17, v11 :: v_dual_sub_nc_u32 v13, 29, v13
	s_delay_alu instid0(VALU_DEP_1) | instskip(NEXT) | instid1(VALU_DEP_1)
	v_dual_lshlrev_b32 v9, 24, v9 :: v_dual_bitop2_b32 v11, 7, v11 bitop3:0x40
	v_dual_cndmask_b32 v11, v12, v11, vcc_lo :: v_dual_cndmask_b32 v13, v18, v13, vcc_lo
	s_delay_alu instid0(VALU_DEP_2) | instskip(NEXT) | instid1(VALU_DEP_2)
	v_and_b32_e32 v9, 0x80000000, v9
	v_lshlrev_b32_e32 v11, 20, v11
	s_delay_alu instid0(VALU_DEP_3) | instskip(NEXT) | instid1(VALU_DEP_1)
	v_lshl_add_u32 v12, v13, 23, 0x3b800000
	v_or3_b32 v9, v9, v12, v11
	s_delay_alu instid0(VALU_DEP_1)
	v_cvt_i32_f32_e32 v12, v9
.LBB87_5396:
	s_or_b32 exec_lo, exec_lo, s7
.LBB87_5397:
	s_mov_b32 s7, -1
.LBB87_5398:
	s_mov_b32 s9, 0
.LBB87_5399:
	s_delay_alu instid0(SALU_CYCLE_1)
	s_and_b32 vcc_lo, exec_lo, s9
	s_cbranch_vccz .LBB87_5430
; %bb.5400:
	s_cmp_gt_i32 s57, 22
	s_cbranch_scc0 .LBB87_5408
; %bb.5401:
	s_cmp_lt_i32 s57, 24
	s_cbranch_scc1 .LBB87_5411
; %bb.5402:
	s_cmp_gt_i32 s57, 24
	s_cbranch_scc0 .LBB87_5412
; %bb.5403:
	global_load_u8 v9, v[14:15], off
	s_mov_b32 s7, 0
	s_mov_b32 s6, exec_lo
	s_wait_loadcnt 0x0
	v_cmpx_lt_i16_e32 0x7f, v9
	s_xor_b32 s6, exec_lo, s6
	s_cbranch_execz .LBB87_5424
; %bb.5404:
	v_cmp_ne_u16_e32 vcc_lo, 0x80, v9
	s_and_b32 s7, vcc_lo, exec_lo
	s_and_not1_saveexec_b32 s6, s6
	s_cbranch_execnz .LBB87_5425
.LBB87_5405:
	s_or_b32 exec_lo, exec_lo, s6
	v_mov_b32_e32 v12, 0
	s_and_saveexec_b32 s6, s7
	s_cbranch_execz .LBB87_5407
.LBB87_5406:
	v_and_b32_e32 v11, 0xffff, v9
	s_delay_alu instid0(VALU_DEP_1) | instskip(SKIP_1) | instid1(VALU_DEP_2)
	v_and_b32_e32 v12, 3, v11
	v_bfe_u32 v18, v11, 2, 5
	v_clz_i32_u32_e32 v13, v12
	s_delay_alu instid0(VALU_DEP_2) | instskip(NEXT) | instid1(VALU_DEP_2)
	v_cmp_eq_u32_e32 vcc_lo, 0, v18
	v_min_u32_e32 v13, 32, v13
	s_delay_alu instid0(VALU_DEP_1) | instskip(NEXT) | instid1(VALU_DEP_1)
	v_subrev_nc_u32_e32 v17, 29, v13
	v_dual_lshlrev_b32 v11, v17, v11 :: v_dual_sub_nc_u32 v13, 30, v13
	s_delay_alu instid0(VALU_DEP_1) | instskip(NEXT) | instid1(VALU_DEP_1)
	v_dual_lshlrev_b32 v9, 24, v9 :: v_dual_bitop2_b32 v11, 3, v11 bitop3:0x40
	v_dual_cndmask_b32 v11, v12, v11, vcc_lo :: v_dual_cndmask_b32 v13, v18, v13, vcc_lo
	s_delay_alu instid0(VALU_DEP_2) | instskip(NEXT) | instid1(VALU_DEP_2)
	v_and_b32_e32 v9, 0x80000000, v9
	v_lshlrev_b32_e32 v11, 21, v11
	s_delay_alu instid0(VALU_DEP_3) | instskip(NEXT) | instid1(VALU_DEP_1)
	v_lshl_add_u32 v12, v13, 23, 0x37800000
	v_or3_b32 v9, v9, v12, v11
	s_delay_alu instid0(VALU_DEP_1)
	v_cvt_i32_f32_e32 v12, v9
.LBB87_5407:
	s_or_b32 exec_lo, exec_lo, s6
	s_mov_b32 s6, 0
	s_branch .LBB87_5413
.LBB87_5408:
	s_mov_b32 s6, -1
                                        ; implicit-def: $vgpr12
	s_branch .LBB87_5419
.LBB87_5409:
	s_and_not1_saveexec_b32 s7, s7
	s_cbranch_execz .LBB87_5394
.LBB87_5410:
	v_cmp_ne_u16_e32 vcc_lo, 0, v9
	s_and_not1_b32 s9, s9, exec_lo
	s_and_b32 s12, vcc_lo, exec_lo
	s_delay_alu instid0(SALU_CYCLE_1)
	s_or_b32 s9, s9, s12
	s_or_b32 exec_lo, exec_lo, s7
	v_mov_b32_e32 v12, 0
	s_and_saveexec_b32 s7, s9
	s_cbranch_execnz .LBB87_5395
	s_branch .LBB87_5396
.LBB87_5411:
	s_mov_b32 s6, -1
                                        ; implicit-def: $vgpr12
	s_branch .LBB87_5416
.LBB87_5412:
	s_mov_b32 s6, -1
                                        ; implicit-def: $vgpr12
.LBB87_5413:
	s_delay_alu instid0(SALU_CYCLE_1)
	s_and_b32 vcc_lo, exec_lo, s6
	s_cbranch_vccz .LBB87_5415
; %bb.5414:
	global_load_u8 v9, v[14:15], off
	s_wait_loadcnt 0x0
	v_lshlrev_b32_e32 v9, 24, v9
	s_delay_alu instid0(VALU_DEP_1) | instskip(NEXT) | instid1(VALU_DEP_1)
	v_and_b32_e32 v11, 0x7f000000, v9
	v_clz_i32_u32_e32 v12, v11
	v_add_nc_u32_e32 v17, 0x1000000, v11
	v_cmp_ne_u32_e32 vcc_lo, 0, v11
	s_delay_alu instid0(VALU_DEP_3) | instskip(NEXT) | instid1(VALU_DEP_1)
	v_min_u32_e32 v12, 32, v12
	v_sub_nc_u32_e64 v12, v12, 4 clamp
	s_delay_alu instid0(VALU_DEP_1) | instskip(NEXT) | instid1(VALU_DEP_1)
	v_dual_lshlrev_b32 v13, v12, v11 :: v_dual_lshlrev_b32 v12, 23, v12
	v_lshrrev_b32_e32 v13, 4, v13
	s_delay_alu instid0(VALU_DEP_1) | instskip(NEXT) | instid1(VALU_DEP_1)
	v_dual_sub_nc_u32 v12, v13, v12 :: v_dual_ashrrev_i32 v13, 8, v17
	v_add_nc_u32_e32 v12, 0x3c000000, v12
	s_delay_alu instid0(VALU_DEP_1) | instskip(NEXT) | instid1(VALU_DEP_1)
	v_and_or_b32 v12, 0x7f800000, v13, v12
	v_cndmask_b32_e32 v11, 0, v12, vcc_lo
	s_delay_alu instid0(VALU_DEP_1) | instskip(NEXT) | instid1(VALU_DEP_1)
	v_and_or_b32 v9, 0x80000000, v9, v11
	v_cvt_i32_f32_e32 v12, v9
.LBB87_5415:
	s_mov_b32 s6, 0
.LBB87_5416:
	s_delay_alu instid0(SALU_CYCLE_1)
	s_and_not1_b32 vcc_lo, exec_lo, s6
	s_cbranch_vccnz .LBB87_5418
; %bb.5417:
	global_load_u8 v9, v[14:15], off
	s_wait_loadcnt 0x0
	v_lshlrev_b32_e32 v11, 25, v9
	v_lshlrev_b16 v9, 8, v9
	s_delay_alu instid0(VALU_DEP_1) | instskip(NEXT) | instid1(VALU_DEP_3)
	v_and_or_b32 v13, 0x7f00, v9, 0.5
	v_lshrrev_b32_e32 v12, 4, v11
	v_bfe_i32 v9, v9, 0, 16
	s_delay_alu instid0(VALU_DEP_3) | instskip(NEXT) | instid1(VALU_DEP_3)
	v_add_f32_e32 v13, -0.5, v13
	v_or_b32_e32 v12, 0x70000000, v12
	s_delay_alu instid0(VALU_DEP_1) | instskip(SKIP_1) | instid1(VALU_DEP_2)
	v_mul_f32_e32 v12, 0x7800000, v12
	v_cmp_gt_u32_e32 vcc_lo, 0x8000000, v11
	v_cndmask_b32_e32 v11, v12, v13, vcc_lo
	s_delay_alu instid0(VALU_DEP_1) | instskip(NEXT) | instid1(VALU_DEP_1)
	v_and_or_b32 v9, 0x80000000, v9, v11
	v_cvt_i32_f32_e32 v12, v9
.LBB87_5418:
	s_mov_b32 s6, 0
	s_mov_b32 s7, -1
.LBB87_5419:
	s_and_not1_b32 vcc_lo, exec_lo, s6
	s_mov_b32 s6, 0
	s_cbranch_vccnz .LBB87_5430
; %bb.5420:
	s_cmp_gt_i32 s57, 14
	s_cbranch_scc0 .LBB87_5423
; %bb.5421:
	s_cmp_eq_u32 s57, 15
	s_cbranch_scc0 .LBB87_5426
; %bb.5422:
	global_load_u16 v9, v[14:15], off
	s_mov_b32 s0, 0
	s_mov_b32 s7, -1
	s_wait_loadcnt 0x0
	v_lshlrev_b32_e32 v9, 16, v9
	s_delay_alu instid0(VALU_DEP_1)
	v_cvt_i32_f32_e32 v12, v9
	s_branch .LBB87_5428
.LBB87_5423:
	s_mov_b32 s6, -1
	s_branch .LBB87_5427
.LBB87_5424:
	s_and_not1_saveexec_b32 s6, s6
	s_cbranch_execz .LBB87_5405
.LBB87_5425:
	v_cmp_ne_u16_e32 vcc_lo, 0, v9
	s_and_not1_b32 s7, s7, exec_lo
	s_and_b32 s9, vcc_lo, exec_lo
	s_delay_alu instid0(SALU_CYCLE_1)
	s_or_b32 s7, s7, s9
	s_or_b32 exec_lo, exec_lo, s6
	v_mov_b32_e32 v12, 0
	s_and_saveexec_b32 s6, s7
	s_cbranch_execnz .LBB87_5406
	s_branch .LBB87_5407
.LBB87_5426:
	s_mov_b32 s0, -1
.LBB87_5427:
                                        ; implicit-def: $vgpr12
.LBB87_5428:
	s_and_b32 vcc_lo, exec_lo, s6
	s_mov_b32 s6, 0
	s_cbranch_vccz .LBB87_5430
; %bb.5429:
	s_cmp_lg_u32 s57, 11
	s_mov_b32 s6, -1
	s_cselect_b32 s0, -1, 0
.LBB87_5430:
	s_delay_alu instid0(SALU_CYCLE_1)
	s_and_b32 vcc_lo, exec_lo, s0
	s_cbranch_vccnz .LBB87_5495
; %bb.5431:
	s_and_not1_b32 vcc_lo, exec_lo, s6
	s_cbranch_vccnz .LBB87_5433
.LBB87_5432:
	global_load_u8 v9, v[14:15], off
	s_mov_b32 s7, -1
	s_wait_loadcnt 0x0
	v_cmp_ne_u16_e32 vcc_lo, 0, v9
	v_cndmask_b32_e64 v12, 0, 1, vcc_lo
.LBB87_5433:
	s_mov_b32 s0, 0
.LBB87_5434:
	s_delay_alu instid0(SALU_CYCLE_1)
	s_and_b32 vcc_lo, exec_lo, s0
	s_cbranch_vccz .LBB87_5483
; %bb.5435:
	s_cmp_lt_i32 s57, 5
	s_cbranch_scc1 .LBB87_5440
; %bb.5436:
	s_cmp_lt_i32 s57, 8
	s_cbranch_scc1 .LBB87_5441
	;; [unrolled: 3-line block ×3, first 2 shown]
; %bb.5438:
	s_cmp_gt_i32 s57, 9
	s_cbranch_scc0 .LBB87_5443
; %bb.5439:
	s_wait_loadcnt 0x0
	global_load_b64 v[12:13], v[14:15], off
	s_mov_b32 s0, 0
	s_wait_loadcnt 0x0
	v_cvt_i32_f64_e32 v12, v[12:13]
	s_branch .LBB87_5444
.LBB87_5440:
	s_mov_b32 s0, -1
                                        ; implicit-def: $vgpr12
	s_branch .LBB87_5462
.LBB87_5441:
	s_mov_b32 s0, -1
                                        ; implicit-def: $vgpr12
	s_branch .LBB87_5450
.LBB87_5442:
	s_mov_b32 s0, -1
                                        ; implicit-def: $vgpr12
	s_branch .LBB87_5447
.LBB87_5443:
	s_mov_b32 s0, -1
                                        ; implicit-def: $vgpr12
.LBB87_5444:
	s_delay_alu instid0(SALU_CYCLE_1)
	s_and_not1_b32 vcc_lo, exec_lo, s0
	s_cbranch_vccnz .LBB87_5446
; %bb.5445:
	global_load_b32 v9, v[14:15], off
	s_wait_loadcnt 0x0
	v_cvt_i32_f32_e32 v12, v9
.LBB87_5446:
	s_mov_b32 s0, 0
.LBB87_5447:
	s_delay_alu instid0(SALU_CYCLE_1)
	s_and_not1_b32 vcc_lo, exec_lo, s0
	s_cbranch_vccnz .LBB87_5449
; %bb.5448:
	global_load_b32 v9, v[14:15], off
	s_wait_loadcnt 0x0
	v_cvt_f32_f16_e32 v9, v9
	s_delay_alu instid0(VALU_DEP_1)
	v_cvt_i32_f32_e32 v12, v9
.LBB87_5449:
	s_mov_b32 s0, 0
.LBB87_5450:
	s_delay_alu instid0(SALU_CYCLE_1)
	s_and_not1_b32 vcc_lo, exec_lo, s0
	s_cbranch_vccnz .LBB87_5461
; %bb.5451:
	s_cmp_lt_i32 s57, 6
	s_cbranch_scc1 .LBB87_5454
; %bb.5452:
	s_cmp_gt_i32 s57, 6
	s_cbranch_scc0 .LBB87_5455
; %bb.5453:
	s_wait_loadcnt 0x0
	global_load_b64 v[12:13], v[14:15], off
	s_mov_b32 s0, 0
	s_wait_loadcnt 0x0
	v_cvt_i32_f64_e32 v12, v[12:13]
	s_branch .LBB87_5456
.LBB87_5454:
	s_mov_b32 s0, -1
                                        ; implicit-def: $vgpr12
	s_branch .LBB87_5459
.LBB87_5455:
	s_mov_b32 s0, -1
                                        ; implicit-def: $vgpr12
.LBB87_5456:
	s_delay_alu instid0(SALU_CYCLE_1)
	s_and_not1_b32 vcc_lo, exec_lo, s0
	s_cbranch_vccnz .LBB87_5458
; %bb.5457:
	global_load_b32 v9, v[14:15], off
	s_wait_loadcnt 0x0
	v_cvt_i32_f32_e32 v12, v9
.LBB87_5458:
	s_mov_b32 s0, 0
.LBB87_5459:
	s_delay_alu instid0(SALU_CYCLE_1)
	s_and_not1_b32 vcc_lo, exec_lo, s0
	s_cbranch_vccnz .LBB87_5461
; %bb.5460:
	global_load_u16 v9, v[14:15], off
	s_wait_loadcnt 0x0
	v_cvt_f32_f16_e32 v9, v9
	s_delay_alu instid0(VALU_DEP_1)
	v_cvt_i32_f32_e32 v12, v9
.LBB87_5461:
	s_mov_b32 s0, 0
.LBB87_5462:
	s_delay_alu instid0(SALU_CYCLE_1)
	s_and_not1_b32 vcc_lo, exec_lo, s0
	s_cbranch_vccnz .LBB87_5482
; %bb.5463:
	s_cmp_lt_i32 s57, 2
	s_cbranch_scc1 .LBB87_5467
; %bb.5464:
	s_cmp_lt_i32 s57, 3
	s_cbranch_scc1 .LBB87_5468
; %bb.5465:
	s_cmp_gt_i32 s57, 3
	s_cbranch_scc0 .LBB87_5469
; %bb.5466:
	s_wait_loadcnt 0x0
	global_load_b32 v12, v[14:15], off
	s_mov_b32 s0, 0
	s_branch .LBB87_5470
.LBB87_5467:
	s_mov_b32 s0, -1
                                        ; implicit-def: $vgpr12
	s_branch .LBB87_5476
.LBB87_5468:
	s_mov_b32 s0, -1
                                        ; implicit-def: $vgpr12
	s_branch .LBB87_5473
.LBB87_5469:
	s_mov_b32 s0, -1
                                        ; implicit-def: $vgpr12
.LBB87_5470:
	s_delay_alu instid0(SALU_CYCLE_1)
	s_and_not1_b32 vcc_lo, exec_lo, s0
	s_cbranch_vccnz .LBB87_5472
; %bb.5471:
	s_wait_loadcnt 0x0
	global_load_b32 v12, v[14:15], off
.LBB87_5472:
	s_mov_b32 s0, 0
.LBB87_5473:
	s_delay_alu instid0(SALU_CYCLE_1)
	s_and_not1_b32 vcc_lo, exec_lo, s0
	s_cbranch_vccnz .LBB87_5475
; %bb.5474:
	s_wait_loadcnt 0x0
	global_load_i16 v12, v[14:15], off
.LBB87_5475:
	s_mov_b32 s0, 0
.LBB87_5476:
	s_delay_alu instid0(SALU_CYCLE_1)
	s_and_not1_b32 vcc_lo, exec_lo, s0
	s_cbranch_vccnz .LBB87_5482
; %bb.5477:
	s_cmp_gt_i32 s57, 0
	s_mov_b32 s0, 0
	s_cbranch_scc0 .LBB87_5479
; %bb.5478:
	s_wait_loadcnt 0x0
	global_load_i8 v12, v[14:15], off
	s_branch .LBB87_5480
.LBB87_5479:
	s_mov_b32 s0, -1
                                        ; implicit-def: $vgpr12
.LBB87_5480:
	s_delay_alu instid0(SALU_CYCLE_1)
	s_and_not1_b32 vcc_lo, exec_lo, s0
	s_cbranch_vccnz .LBB87_5482
; %bb.5481:
	s_wait_loadcnt 0x0
	global_load_u8 v12, v[14:15], off
.LBB87_5482:
	s_mov_b32 s7, -1
.LBB87_5483:
	s_delay_alu instid0(SALU_CYCLE_1)
	s_and_not1_b32 vcc_lo, exec_lo, s7
	s_cbranch_vccnz .LBB87_5747
; %bb.5484:
	v_mov_b32_e32 v11, 0
	s_cmp_lt_i32 s58, 11
	s_wait_xcnt 0x0
	s_delay_alu instid0(VALU_DEP_1)
	v_add_nc_u64_e32 v[14:15], s[16:17], v[10:11]
	s_cbranch_scc1 .LBB87_5491
; %bb.5485:
	s_cmp_gt_i32 s58, 25
	s_mov_b32 s6, 0
	s_cbranch_scc0 .LBB87_5492
; %bb.5486:
	s_cmp_gt_i32 s58, 28
	s_cbranch_scc0 .LBB87_5493
; %bb.5487:
	s_cmp_gt_i32 s58, 43
	;; [unrolled: 3-line block ×3, first 2 shown]
	s_cbranch_scc0 .LBB87_5496
; %bb.5489:
	s_cmp_eq_u32 s58, 46
	s_mov_b32 s9, 0
	s_cbranch_scc0 .LBB87_5498
; %bb.5490:
	global_load_b32 v9, v[14:15], off
	s_mov_b32 s0, 0
	s_mov_b32 s7, -1
	s_wait_loadcnt 0x0
	v_lshlrev_b32_e32 v9, 16, v9
	s_delay_alu instid0(VALU_DEP_1)
	v_cvt_i32_f32_e32 v10, v9
	s_branch .LBB87_5500
.LBB87_5491:
	s_mov_b32 s0, -1
	s_mov_b32 s7, 0
                                        ; implicit-def: $vgpr10
	s_branch .LBB87_5562
.LBB87_5492:
	s_mov_b32 s9, -1
	s_mov_b32 s7, 0
	s_mov_b32 s0, 0
                                        ; implicit-def: $vgpr10
	s_branch .LBB87_5527
.LBB87_5493:
	s_mov_b32 s9, -1
	s_mov_b32 s7, 0
	s_mov_b32 s0, 0
                                        ; implicit-def: $vgpr10
	s_branch .LBB87_5510
.LBB87_5494:
	s_mov_b32 s9, -1
	s_mov_b32 s7, 0
	s_mov_b32 s0, 0
                                        ; implicit-def: $vgpr10
	s_branch .LBB87_5505
.LBB87_5495:
	s_or_b32 s25, s25, exec_lo
	s_trap 2
	s_cbranch_execz .LBB87_5432
	s_branch .LBB87_5433
.LBB87_5496:
	s_mov_b32 s9, -1
	s_mov_b32 s7, 0
	s_mov_b32 s0, 0
	s_branch .LBB87_5499
.LBB87_5497:
	s_or_b32 s63, s61, exec_lo
	s_trap 2
                                        ; implicit-def: $vgpr22
                                        ; implicit-def: $vgpr20
                                        ; implicit-def: $vgpr24
                                        ; implicit-def: $vgpr5
                                        ; implicit-def: $vgpr6
                                        ; implicit-def: $vgpr4
                                        ; implicit-def: $vgpr2
                                        ; implicit-def: $vgpr10
                                        ; implicit-def: $vgpr8
                                        ; implicit-def: $vgpr14
                                        ; implicit-def: $vgpr12
                                        ; implicit-def: $vgpr0
                                        ; implicit-def: $vgpr16
                                        ; implicit-def: $vgpr1
                                        ; implicit-def: $vgpr3
	s_branch .LBB87_5078
.LBB87_5498:
	s_mov_b32 s0, -1
	s_mov_b32 s7, 0
.LBB87_5499:
                                        ; implicit-def: $vgpr10
.LBB87_5500:
	s_and_b32 vcc_lo, exec_lo, s9
	s_cbranch_vccz .LBB87_5504
; %bb.5501:
	s_cmp_eq_u32 s58, 44
	s_cbranch_scc0 .LBB87_5503
; %bb.5502:
	global_load_u8 v9, v[14:15], off
	s_mov_b32 s0, 0
	s_mov_b32 s7, -1
	s_wait_loadcnt 0x0
	v_lshlrev_b32_e32 v10, 23, v9
	v_cmp_ne_u32_e32 vcc_lo, 0, v9
	s_delay_alu instid0(VALU_DEP_2) | instskip(NEXT) | instid1(VALU_DEP_1)
	v_cvt_i32_f32_e32 v10, v10
	v_cndmask_b32_e32 v10, 0, v10, vcc_lo
	s_branch .LBB87_5504
.LBB87_5503:
	s_mov_b32 s0, -1
                                        ; implicit-def: $vgpr10
.LBB87_5504:
	s_mov_b32 s9, 0
.LBB87_5505:
	s_delay_alu instid0(SALU_CYCLE_1)
	s_and_b32 vcc_lo, exec_lo, s9
	s_cbranch_vccz .LBB87_5509
; %bb.5506:
	s_cmp_eq_u32 s58, 29
	s_cbranch_scc0 .LBB87_5508
; %bb.5507:
	global_load_b32 v10, v[14:15], off
	s_mov_b32 s0, 0
	s_mov_b32 s7, -1
	s_branch .LBB87_5509
.LBB87_5508:
	s_mov_b32 s0, -1
                                        ; implicit-def: $vgpr10
.LBB87_5509:
	s_mov_b32 s9, 0
.LBB87_5510:
	s_delay_alu instid0(SALU_CYCLE_1)
	s_and_b32 vcc_lo, exec_lo, s9
	s_cbranch_vccz .LBB87_5526
; %bb.5511:
	s_cmp_lt_i32 s58, 27
	s_cbranch_scc1 .LBB87_5514
; %bb.5512:
	s_cmp_gt_i32 s58, 27
	s_cbranch_scc0 .LBB87_5515
; %bb.5513:
	s_wait_loadcnt 0x0
	global_load_b32 v10, v[14:15], off
	s_mov_b32 s7, 0
	s_branch .LBB87_5516
.LBB87_5514:
	s_mov_b32 s7, -1
                                        ; implicit-def: $vgpr10
	s_branch .LBB87_5519
.LBB87_5515:
	s_mov_b32 s7, -1
                                        ; implicit-def: $vgpr10
.LBB87_5516:
	s_delay_alu instid0(SALU_CYCLE_1)
	s_and_not1_b32 vcc_lo, exec_lo, s7
	s_cbranch_vccnz .LBB87_5518
; %bb.5517:
	s_wait_loadcnt 0x0
	global_load_u16 v10, v[14:15], off
.LBB87_5518:
	s_mov_b32 s7, 0
.LBB87_5519:
	s_delay_alu instid0(SALU_CYCLE_1)
	s_and_not1_b32 vcc_lo, exec_lo, s7
	s_cbranch_vccnz .LBB87_5525
; %bb.5520:
	global_load_u8 v9, v[14:15], off
	s_mov_b32 s9, 0
	s_mov_b32 s7, exec_lo
	s_wait_loadcnt 0x0
	v_cmpx_lt_i16_e32 0x7f, v9
	s_xor_b32 s7, exec_lo, s7
	s_cbranch_execz .LBB87_5537
; %bb.5521:
	v_cmp_ne_u16_e32 vcc_lo, 0x80, v9
	s_and_b32 s9, vcc_lo, exec_lo
	s_and_not1_saveexec_b32 s7, s7
	s_cbranch_execnz .LBB87_5538
.LBB87_5522:
	s_or_b32 exec_lo, exec_lo, s7
	v_mov_b32_e32 v10, 0
	s_and_saveexec_b32 s7, s9
	s_cbranch_execz .LBB87_5524
.LBB87_5523:
	v_and_b32_e32 v10, 0xffff, v9
	s_delay_alu instid0(VALU_DEP_1) | instskip(SKIP_1) | instid1(VALU_DEP_2)
	v_and_b32_e32 v11, 7, v10
	v_bfe_u32 v18, v10, 3, 4
	v_clz_i32_u32_e32 v13, v11
	s_delay_alu instid0(VALU_DEP_2) | instskip(NEXT) | instid1(VALU_DEP_2)
	v_cmp_eq_u32_e32 vcc_lo, 0, v18
	v_min_u32_e32 v13, 32, v13
	s_delay_alu instid0(VALU_DEP_1) | instskip(NEXT) | instid1(VALU_DEP_1)
	v_subrev_nc_u32_e32 v17, 28, v13
	v_dual_lshlrev_b32 v10, v17, v10 :: v_dual_sub_nc_u32 v13, 29, v13
	s_delay_alu instid0(VALU_DEP_1) | instskip(NEXT) | instid1(VALU_DEP_1)
	v_dual_lshlrev_b32 v9, 24, v9 :: v_dual_bitop2_b32 v10, 7, v10 bitop3:0x40
	v_dual_cndmask_b32 v10, v11, v10 :: v_dual_cndmask_b32 v13, v18, v13
	s_delay_alu instid0(VALU_DEP_2) | instskip(NEXT) | instid1(VALU_DEP_2)
	v_and_b32_e32 v9, 0x80000000, v9
	v_lshlrev_b32_e32 v10, 20, v10
	s_delay_alu instid0(VALU_DEP_3) | instskip(NEXT) | instid1(VALU_DEP_1)
	v_lshl_add_u32 v11, v13, 23, 0x3b800000
	v_or3_b32 v9, v9, v11, v10
	s_delay_alu instid0(VALU_DEP_1)
	v_cvt_i32_f32_e32 v10, v9
.LBB87_5524:
	s_or_b32 exec_lo, exec_lo, s7
.LBB87_5525:
	s_mov_b32 s7, -1
.LBB87_5526:
	s_mov_b32 s9, 0
.LBB87_5527:
	s_delay_alu instid0(SALU_CYCLE_1)
	s_and_b32 vcc_lo, exec_lo, s9
	s_cbranch_vccz .LBB87_5558
; %bb.5528:
	s_cmp_gt_i32 s58, 22
	s_cbranch_scc0 .LBB87_5536
; %bb.5529:
	s_cmp_lt_i32 s58, 24
	s_cbranch_scc1 .LBB87_5539
; %bb.5530:
	s_cmp_gt_i32 s58, 24
	s_cbranch_scc0 .LBB87_5540
; %bb.5531:
	global_load_u8 v9, v[14:15], off
	s_mov_b32 s7, 0
	s_mov_b32 s6, exec_lo
	s_wait_loadcnt 0x0
	v_cmpx_lt_i16_e32 0x7f, v9
	s_xor_b32 s6, exec_lo, s6
	s_cbranch_execz .LBB87_5552
; %bb.5532:
	v_cmp_ne_u16_e32 vcc_lo, 0x80, v9
	s_and_b32 s7, vcc_lo, exec_lo
	s_and_not1_saveexec_b32 s6, s6
	s_cbranch_execnz .LBB87_5553
.LBB87_5533:
	s_or_b32 exec_lo, exec_lo, s6
	v_mov_b32_e32 v10, 0
	s_and_saveexec_b32 s6, s7
	s_cbranch_execz .LBB87_5535
.LBB87_5534:
	v_and_b32_e32 v10, 0xffff, v9
	s_delay_alu instid0(VALU_DEP_1) | instskip(SKIP_1) | instid1(VALU_DEP_2)
	v_and_b32_e32 v11, 3, v10
	v_bfe_u32 v18, v10, 2, 5
	v_clz_i32_u32_e32 v13, v11
	s_delay_alu instid0(VALU_DEP_2) | instskip(NEXT) | instid1(VALU_DEP_2)
	v_cmp_eq_u32_e32 vcc_lo, 0, v18
	v_min_u32_e32 v13, 32, v13
	s_delay_alu instid0(VALU_DEP_1) | instskip(NEXT) | instid1(VALU_DEP_1)
	v_subrev_nc_u32_e32 v17, 29, v13
	v_dual_lshlrev_b32 v10, v17, v10 :: v_dual_sub_nc_u32 v13, 30, v13
	s_delay_alu instid0(VALU_DEP_1) | instskip(NEXT) | instid1(VALU_DEP_1)
	v_dual_lshlrev_b32 v9, 24, v9 :: v_dual_bitop2_b32 v10, 3, v10 bitop3:0x40
	v_dual_cndmask_b32 v10, v11, v10 :: v_dual_cndmask_b32 v13, v18, v13
	s_delay_alu instid0(VALU_DEP_2) | instskip(NEXT) | instid1(VALU_DEP_2)
	v_and_b32_e32 v9, 0x80000000, v9
	v_lshlrev_b32_e32 v10, 21, v10
	s_delay_alu instid0(VALU_DEP_3) | instskip(NEXT) | instid1(VALU_DEP_1)
	v_lshl_add_u32 v11, v13, 23, 0x37800000
	v_or3_b32 v9, v9, v11, v10
	s_delay_alu instid0(VALU_DEP_1)
	v_cvt_i32_f32_e32 v10, v9
.LBB87_5535:
	s_or_b32 exec_lo, exec_lo, s6
	s_mov_b32 s6, 0
	s_branch .LBB87_5541
.LBB87_5536:
	s_mov_b32 s6, -1
                                        ; implicit-def: $vgpr10
	s_branch .LBB87_5547
.LBB87_5537:
	s_and_not1_saveexec_b32 s7, s7
	s_cbranch_execz .LBB87_5522
.LBB87_5538:
	v_cmp_ne_u16_e32 vcc_lo, 0, v9
	s_and_not1_b32 s9, s9, exec_lo
	s_and_b32 s12, vcc_lo, exec_lo
	s_delay_alu instid0(SALU_CYCLE_1)
	s_or_b32 s9, s9, s12
	s_or_b32 exec_lo, exec_lo, s7
	v_mov_b32_e32 v10, 0
	s_and_saveexec_b32 s7, s9
	s_cbranch_execnz .LBB87_5523
	s_branch .LBB87_5524
.LBB87_5539:
	s_mov_b32 s6, -1
                                        ; implicit-def: $vgpr10
	s_branch .LBB87_5544
.LBB87_5540:
	s_mov_b32 s6, -1
                                        ; implicit-def: $vgpr10
.LBB87_5541:
	s_delay_alu instid0(SALU_CYCLE_1)
	s_and_b32 vcc_lo, exec_lo, s6
	s_cbranch_vccz .LBB87_5543
; %bb.5542:
	global_load_u8 v9, v[14:15], off
	s_wait_loadcnt 0x0
	v_lshlrev_b32_e32 v9, 24, v9
	s_delay_alu instid0(VALU_DEP_1) | instskip(NEXT) | instid1(VALU_DEP_1)
	v_and_b32_e32 v10, 0x7f000000, v9
	v_clz_i32_u32_e32 v11, v10
	v_cmp_ne_u32_e32 vcc_lo, 0, v10
	v_add_nc_u32_e32 v17, 0x1000000, v10
	s_delay_alu instid0(VALU_DEP_3) | instskip(NEXT) | instid1(VALU_DEP_1)
	v_min_u32_e32 v11, 32, v11
	v_sub_nc_u32_e64 v11, v11, 4 clamp
	s_delay_alu instid0(VALU_DEP_1) | instskip(NEXT) | instid1(VALU_DEP_1)
	v_dual_lshlrev_b32 v13, v11, v10 :: v_dual_lshlrev_b32 v11, 23, v11
	v_lshrrev_b32_e32 v13, 4, v13
	s_delay_alu instid0(VALU_DEP_1) | instskip(NEXT) | instid1(VALU_DEP_1)
	v_dual_sub_nc_u32 v11, v13, v11 :: v_dual_ashrrev_i32 v13, 8, v17
	v_add_nc_u32_e32 v11, 0x3c000000, v11
	s_delay_alu instid0(VALU_DEP_1) | instskip(NEXT) | instid1(VALU_DEP_1)
	v_and_or_b32 v11, 0x7f800000, v13, v11
	v_cndmask_b32_e32 v10, 0, v11, vcc_lo
	s_delay_alu instid0(VALU_DEP_1) | instskip(NEXT) | instid1(VALU_DEP_1)
	v_and_or_b32 v9, 0x80000000, v9, v10
	v_cvt_i32_f32_e32 v10, v9
.LBB87_5543:
	s_mov_b32 s6, 0
.LBB87_5544:
	s_delay_alu instid0(SALU_CYCLE_1)
	s_and_not1_b32 vcc_lo, exec_lo, s6
	s_cbranch_vccnz .LBB87_5546
; %bb.5545:
	global_load_u8 v9, v[14:15], off
	s_wait_loadcnt 0x0
	v_lshlrev_b32_e32 v10, 25, v9
	v_lshlrev_b16 v9, 8, v9
	s_delay_alu instid0(VALU_DEP_1) | instskip(NEXT) | instid1(VALU_DEP_3)
	v_and_or_b32 v13, 0x7f00, v9, 0.5
	v_lshrrev_b32_e32 v11, 4, v10
	v_bfe_i32 v9, v9, 0, 16
	s_delay_alu instid0(VALU_DEP_3) | instskip(NEXT) | instid1(VALU_DEP_3)
	v_add_f32_e32 v13, -0.5, v13
	v_or_b32_e32 v11, 0x70000000, v11
	s_delay_alu instid0(VALU_DEP_1) | instskip(SKIP_1) | instid1(VALU_DEP_2)
	v_mul_f32_e32 v11, 0x7800000, v11
	v_cmp_gt_u32_e32 vcc_lo, 0x8000000, v10
	v_cndmask_b32_e32 v10, v11, v13, vcc_lo
	s_delay_alu instid0(VALU_DEP_1) | instskip(NEXT) | instid1(VALU_DEP_1)
	v_and_or_b32 v9, 0x80000000, v9, v10
	v_cvt_i32_f32_e32 v10, v9
.LBB87_5546:
	s_mov_b32 s6, 0
	s_mov_b32 s7, -1
.LBB87_5547:
	s_and_not1_b32 vcc_lo, exec_lo, s6
	s_mov_b32 s6, 0
	s_cbranch_vccnz .LBB87_5558
; %bb.5548:
	s_cmp_gt_i32 s58, 14
	s_cbranch_scc0 .LBB87_5551
; %bb.5549:
	s_cmp_eq_u32 s58, 15
	s_cbranch_scc0 .LBB87_5554
; %bb.5550:
	global_load_u16 v9, v[14:15], off
	s_mov_b32 s0, 0
	s_mov_b32 s7, -1
	s_wait_loadcnt 0x0
	v_lshlrev_b32_e32 v9, 16, v9
	s_delay_alu instid0(VALU_DEP_1)
	v_cvt_i32_f32_e32 v10, v9
	s_branch .LBB87_5556
.LBB87_5551:
	s_mov_b32 s6, -1
	s_branch .LBB87_5555
.LBB87_5552:
	s_and_not1_saveexec_b32 s6, s6
	s_cbranch_execz .LBB87_5533
.LBB87_5553:
	v_cmp_ne_u16_e32 vcc_lo, 0, v9
	s_and_not1_b32 s7, s7, exec_lo
	s_and_b32 s9, vcc_lo, exec_lo
	s_delay_alu instid0(SALU_CYCLE_1)
	s_or_b32 s7, s7, s9
	s_or_b32 exec_lo, exec_lo, s6
	v_mov_b32_e32 v10, 0
	s_and_saveexec_b32 s6, s7
	s_cbranch_execnz .LBB87_5534
	s_branch .LBB87_5535
.LBB87_5554:
	s_mov_b32 s0, -1
.LBB87_5555:
                                        ; implicit-def: $vgpr10
.LBB87_5556:
	s_and_b32 vcc_lo, exec_lo, s6
	s_mov_b32 s6, 0
	s_cbranch_vccz .LBB87_5558
; %bb.5557:
	s_cmp_lg_u32 s58, 11
	s_mov_b32 s6, -1
	s_cselect_b32 s0, -1, 0
.LBB87_5558:
	s_delay_alu instid0(SALU_CYCLE_1)
	s_and_b32 vcc_lo, exec_lo, s0
	s_cbranch_vccnz .LBB87_5623
; %bb.5559:
	s_and_not1_b32 vcc_lo, exec_lo, s6
	s_cbranch_vccnz .LBB87_5561
.LBB87_5560:
	global_load_u8 v9, v[14:15], off
	s_mov_b32 s7, -1
	s_wait_loadcnt 0x0
	v_cmp_ne_u16_e32 vcc_lo, 0, v9
	v_cndmask_b32_e64 v10, 0, 1, vcc_lo
.LBB87_5561:
	s_mov_b32 s0, 0
.LBB87_5562:
	s_delay_alu instid0(SALU_CYCLE_1)
	s_and_b32 vcc_lo, exec_lo, s0
	s_cbranch_vccz .LBB87_5611
; %bb.5563:
	s_cmp_lt_i32 s58, 5
	s_cbranch_scc1 .LBB87_5568
; %bb.5564:
	s_cmp_lt_i32 s58, 8
	s_cbranch_scc1 .LBB87_5569
	;; [unrolled: 3-line block ×3, first 2 shown]
; %bb.5566:
	s_cmp_gt_i32 s58, 9
	s_cbranch_scc0 .LBB87_5571
; %bb.5567:
	s_wait_loadcnt 0x0
	global_load_b64 v[10:11], v[14:15], off
	s_mov_b32 s0, 0
	s_wait_loadcnt 0x0
	v_cvt_i32_f64_e32 v10, v[10:11]
	s_branch .LBB87_5572
.LBB87_5568:
	s_mov_b32 s0, -1
                                        ; implicit-def: $vgpr10
	s_branch .LBB87_5590
.LBB87_5569:
	s_mov_b32 s0, -1
                                        ; implicit-def: $vgpr10
	s_branch .LBB87_5578
.LBB87_5570:
	s_mov_b32 s0, -1
                                        ; implicit-def: $vgpr10
	s_branch .LBB87_5575
.LBB87_5571:
	s_mov_b32 s0, -1
                                        ; implicit-def: $vgpr10
.LBB87_5572:
	s_delay_alu instid0(SALU_CYCLE_1)
	s_and_not1_b32 vcc_lo, exec_lo, s0
	s_cbranch_vccnz .LBB87_5574
; %bb.5573:
	global_load_b32 v9, v[14:15], off
	s_wait_loadcnt 0x0
	v_cvt_i32_f32_e32 v10, v9
.LBB87_5574:
	s_mov_b32 s0, 0
.LBB87_5575:
	s_delay_alu instid0(SALU_CYCLE_1)
	s_and_not1_b32 vcc_lo, exec_lo, s0
	s_cbranch_vccnz .LBB87_5577
; %bb.5576:
	global_load_b32 v9, v[14:15], off
	s_wait_loadcnt 0x0
	v_cvt_f32_f16_e32 v9, v9
	s_delay_alu instid0(VALU_DEP_1)
	v_cvt_i32_f32_e32 v10, v9
.LBB87_5577:
	s_mov_b32 s0, 0
.LBB87_5578:
	s_delay_alu instid0(SALU_CYCLE_1)
	s_and_not1_b32 vcc_lo, exec_lo, s0
	s_cbranch_vccnz .LBB87_5589
; %bb.5579:
	s_cmp_lt_i32 s58, 6
	s_cbranch_scc1 .LBB87_5582
; %bb.5580:
	s_cmp_gt_i32 s58, 6
	s_cbranch_scc0 .LBB87_5583
; %bb.5581:
	s_wait_loadcnt 0x0
	global_load_b64 v[10:11], v[14:15], off
	s_mov_b32 s0, 0
	s_wait_loadcnt 0x0
	v_cvt_i32_f64_e32 v10, v[10:11]
	s_branch .LBB87_5584
.LBB87_5582:
	s_mov_b32 s0, -1
                                        ; implicit-def: $vgpr10
	s_branch .LBB87_5587
.LBB87_5583:
	s_mov_b32 s0, -1
                                        ; implicit-def: $vgpr10
.LBB87_5584:
	s_delay_alu instid0(SALU_CYCLE_1)
	s_and_not1_b32 vcc_lo, exec_lo, s0
	s_cbranch_vccnz .LBB87_5586
; %bb.5585:
	global_load_b32 v9, v[14:15], off
	s_wait_loadcnt 0x0
	v_cvt_i32_f32_e32 v10, v9
.LBB87_5586:
	s_mov_b32 s0, 0
.LBB87_5587:
	s_delay_alu instid0(SALU_CYCLE_1)
	s_and_not1_b32 vcc_lo, exec_lo, s0
	s_cbranch_vccnz .LBB87_5589
; %bb.5588:
	global_load_u16 v9, v[14:15], off
	s_wait_loadcnt 0x0
	v_cvt_f32_f16_e32 v9, v9
	s_delay_alu instid0(VALU_DEP_1)
	v_cvt_i32_f32_e32 v10, v9
.LBB87_5589:
	s_mov_b32 s0, 0
.LBB87_5590:
	s_delay_alu instid0(SALU_CYCLE_1)
	s_and_not1_b32 vcc_lo, exec_lo, s0
	s_cbranch_vccnz .LBB87_5610
; %bb.5591:
	s_cmp_lt_i32 s58, 2
	s_cbranch_scc1 .LBB87_5595
; %bb.5592:
	s_cmp_lt_i32 s58, 3
	s_cbranch_scc1 .LBB87_5596
; %bb.5593:
	s_cmp_gt_i32 s58, 3
	s_cbranch_scc0 .LBB87_5597
; %bb.5594:
	s_wait_loadcnt 0x0
	global_load_b32 v10, v[14:15], off
	s_mov_b32 s0, 0
	s_branch .LBB87_5598
.LBB87_5595:
	s_mov_b32 s0, -1
                                        ; implicit-def: $vgpr10
	s_branch .LBB87_5604
.LBB87_5596:
	s_mov_b32 s0, -1
                                        ; implicit-def: $vgpr10
	s_branch .LBB87_5601
.LBB87_5597:
	s_mov_b32 s0, -1
                                        ; implicit-def: $vgpr10
.LBB87_5598:
	s_delay_alu instid0(SALU_CYCLE_1)
	s_and_not1_b32 vcc_lo, exec_lo, s0
	s_cbranch_vccnz .LBB87_5600
; %bb.5599:
	s_wait_loadcnt 0x0
	global_load_b32 v10, v[14:15], off
.LBB87_5600:
	s_mov_b32 s0, 0
.LBB87_5601:
	s_delay_alu instid0(SALU_CYCLE_1)
	s_and_not1_b32 vcc_lo, exec_lo, s0
	s_cbranch_vccnz .LBB87_5603
; %bb.5602:
	s_wait_loadcnt 0x0
	global_load_i16 v10, v[14:15], off
.LBB87_5603:
	s_mov_b32 s0, 0
.LBB87_5604:
	s_delay_alu instid0(SALU_CYCLE_1)
	s_and_not1_b32 vcc_lo, exec_lo, s0
	s_cbranch_vccnz .LBB87_5610
; %bb.5605:
	s_cmp_gt_i32 s58, 0
	s_mov_b32 s0, 0
	s_cbranch_scc0 .LBB87_5607
; %bb.5606:
	s_wait_loadcnt 0x0
	global_load_i8 v10, v[14:15], off
	s_branch .LBB87_5608
.LBB87_5607:
	s_mov_b32 s0, -1
                                        ; implicit-def: $vgpr10
.LBB87_5608:
	s_delay_alu instid0(SALU_CYCLE_1)
	s_and_not1_b32 vcc_lo, exec_lo, s0
	s_cbranch_vccnz .LBB87_5610
; %bb.5609:
	s_wait_loadcnt 0x0
	global_load_u8 v10, v[14:15], off
.LBB87_5610:
	s_mov_b32 s7, -1
.LBB87_5611:
	s_delay_alu instid0(SALU_CYCLE_1)
	s_and_not1_b32 vcc_lo, exec_lo, s7
	s_cbranch_vccnz .LBB87_5747
; %bb.5612:
	v_mov_b32_e32 v9, 0
	s_cmp_lt_i32 s59, 11
	s_delay_alu instid0(VALU_DEP_1)
	v_add_nc_u64_e32 v[8:9], s[18:19], v[8:9]
	s_cbranch_scc1 .LBB87_5619
; %bb.5613:
	s_cmp_gt_i32 s59, 25
	s_mov_b32 s6, 0
	s_cbranch_scc0 .LBB87_5620
; %bb.5614:
	s_cmp_gt_i32 s59, 28
	s_cbranch_scc0 .LBB87_5621
; %bb.5615:
	s_cmp_gt_i32 s59, 43
	;; [unrolled: 3-line block ×3, first 2 shown]
	s_cbranch_scc0 .LBB87_5624
; %bb.5617:
	s_cmp_eq_u32 s59, 46
	s_mov_b32 s9, 0
	s_cbranch_scc0 .LBB87_5625
; %bb.5618:
	global_load_b32 v11, v[8:9], off
	s_mov_b32 s0, 0
	s_mov_b32 s7, -1
	s_wait_loadcnt 0x0
	v_lshlrev_b32_e32 v11, 16, v11
	s_wait_xcnt 0x1
	s_delay_alu instid0(VALU_DEP_1)
	v_cvt_i32_f32_e32 v14, v11
	s_branch .LBB87_5627
.LBB87_5619:
	s_mov_b32 s0, -1
	s_mov_b32 s7, 0
                                        ; implicit-def: $vgpr14
	s_branch .LBB87_5689
.LBB87_5620:
	s_mov_b32 s9, -1
	s_mov_b32 s7, 0
	s_mov_b32 s0, 0
                                        ; implicit-def: $vgpr14
	s_branch .LBB87_5654
.LBB87_5621:
	s_mov_b32 s9, -1
	s_mov_b32 s7, 0
	s_mov_b32 s0, 0
                                        ; implicit-def: $vgpr14
	s_branch .LBB87_5637
.LBB87_5622:
	s_mov_b32 s9, -1
	s_mov_b32 s7, 0
	s_mov_b32 s0, 0
                                        ; implicit-def: $vgpr14
	s_branch .LBB87_5632
.LBB87_5623:
	s_or_b32 s25, s25, exec_lo
	s_trap 2
	s_cbranch_execz .LBB87_5560
	s_branch .LBB87_5561
.LBB87_5624:
	s_mov_b32 s9, -1
	s_mov_b32 s7, 0
	s_mov_b32 s0, 0
	s_branch .LBB87_5626
.LBB87_5625:
	s_mov_b32 s0, -1
	s_mov_b32 s7, 0
.LBB87_5626:
                                        ; implicit-def: $vgpr14
.LBB87_5627:
	s_and_b32 vcc_lo, exec_lo, s9
	s_cbranch_vccz .LBB87_5631
; %bb.5628:
	s_cmp_eq_u32 s59, 44
	s_cbranch_scc0 .LBB87_5630
; %bb.5629:
	global_load_u8 v11, v[8:9], off
	s_mov_b32 s0, 0
	s_mov_b32 s7, -1
	s_wait_loadcnt 0x0
	v_lshlrev_b32_e32 v13, 23, v11
	v_cmp_ne_u32_e32 vcc_lo, 0, v11
	s_delay_alu instid0(VALU_DEP_2) | instskip(SKIP_1) | instid1(VALU_DEP_1)
	v_cvt_i32_f32_e32 v13, v13
	s_wait_xcnt 0x1
	v_cndmask_b32_e32 v14, 0, v13, vcc_lo
	s_branch .LBB87_5631
.LBB87_5630:
	s_mov_b32 s0, -1
                                        ; implicit-def: $vgpr14
.LBB87_5631:
	s_mov_b32 s9, 0
.LBB87_5632:
	s_delay_alu instid0(SALU_CYCLE_1)
	s_and_b32 vcc_lo, exec_lo, s9
	s_cbranch_vccz .LBB87_5636
; %bb.5633:
	s_cmp_eq_u32 s59, 29
	s_cbranch_scc0 .LBB87_5635
; %bb.5634:
	global_load_b32 v14, v[8:9], off
	s_mov_b32 s0, 0
	s_mov_b32 s7, -1
	s_branch .LBB87_5636
.LBB87_5635:
	s_mov_b32 s0, -1
                                        ; implicit-def: $vgpr14
.LBB87_5636:
	s_mov_b32 s9, 0
.LBB87_5637:
	s_delay_alu instid0(SALU_CYCLE_1)
	s_and_b32 vcc_lo, exec_lo, s9
	s_cbranch_vccz .LBB87_5653
; %bb.5638:
	s_cmp_lt_i32 s59, 27
	s_cbranch_scc1 .LBB87_5641
; %bb.5639:
	s_cmp_gt_i32 s59, 27
	s_cbranch_scc0 .LBB87_5642
; %bb.5640:
	s_wait_loadcnt 0x0
	global_load_b32 v14, v[8:9], off
	s_mov_b32 s7, 0
	s_branch .LBB87_5643
.LBB87_5641:
	s_mov_b32 s7, -1
                                        ; implicit-def: $vgpr14
	s_branch .LBB87_5646
.LBB87_5642:
	s_mov_b32 s7, -1
                                        ; implicit-def: $vgpr14
.LBB87_5643:
	s_delay_alu instid0(SALU_CYCLE_1)
	s_and_not1_b32 vcc_lo, exec_lo, s7
	s_cbranch_vccnz .LBB87_5645
; %bb.5644:
	s_wait_loadcnt 0x0
	global_load_u16 v14, v[8:9], off
.LBB87_5645:
	s_mov_b32 s7, 0
.LBB87_5646:
	s_delay_alu instid0(SALU_CYCLE_1)
	s_and_not1_b32 vcc_lo, exec_lo, s7
	s_cbranch_vccnz .LBB87_5652
; %bb.5647:
	global_load_u8 v11, v[8:9], off
	s_mov_b32 s9, 0
	s_mov_b32 s7, exec_lo
	s_wait_loadcnt 0x0
	v_cmpx_lt_i16_e32 0x7f, v11
	s_xor_b32 s7, exec_lo, s7
	s_cbranch_execz .LBB87_5664
; %bb.5648:
	v_cmp_ne_u16_e32 vcc_lo, 0x80, v11
	s_and_b32 s9, vcc_lo, exec_lo
	s_and_not1_saveexec_b32 s7, s7
	s_cbranch_execnz .LBB87_5665
.LBB87_5649:
	s_or_b32 exec_lo, exec_lo, s7
	v_mov_b32_e32 v14, 0
	s_and_saveexec_b32 s7, s9
	s_cbranch_execz .LBB87_5651
.LBB87_5650:
	v_and_b32_e32 v13, 0xffff, v11
	s_delay_alu instid0(VALU_DEP_1) | instskip(SKIP_1) | instid1(VALU_DEP_2)
	v_and_b32_e32 v14, 7, v13
	v_bfe_u32 v18, v13, 3, 4
	v_clz_i32_u32_e32 v15, v14
	s_delay_alu instid0(VALU_DEP_2) | instskip(NEXT) | instid1(VALU_DEP_2)
	v_cmp_eq_u32_e32 vcc_lo, 0, v18
	v_min_u32_e32 v15, 32, v15
	s_delay_alu instid0(VALU_DEP_1) | instskip(NEXT) | instid1(VALU_DEP_1)
	v_subrev_nc_u32_e32 v17, 28, v15
	v_dual_lshlrev_b32 v13, v17, v13 :: v_dual_sub_nc_u32 v15, 29, v15
	s_delay_alu instid0(VALU_DEP_1) | instskip(NEXT) | instid1(VALU_DEP_1)
	v_dual_lshlrev_b32 v11, 24, v11 :: v_dual_bitop2_b32 v13, 7, v13 bitop3:0x40
	v_cndmask_b32_e32 v13, v14, v13, vcc_lo
	s_delay_alu instid0(VALU_DEP_3) | instskip(NEXT) | instid1(VALU_DEP_3)
	v_cndmask_b32_e32 v15, v18, v15, vcc_lo
	v_and_b32_e32 v11, 0x80000000, v11
	s_delay_alu instid0(VALU_DEP_3) | instskip(NEXT) | instid1(VALU_DEP_3)
	v_lshlrev_b32_e32 v13, 20, v13
	v_lshl_add_u32 v14, v15, 23, 0x3b800000
	s_delay_alu instid0(VALU_DEP_1) | instskip(NEXT) | instid1(VALU_DEP_1)
	v_or3_b32 v11, v11, v14, v13
	v_cvt_i32_f32_e32 v14, v11
.LBB87_5651:
	s_or_b32 exec_lo, exec_lo, s7
.LBB87_5652:
	s_mov_b32 s7, -1
.LBB87_5653:
	s_mov_b32 s9, 0
.LBB87_5654:
	s_delay_alu instid0(SALU_CYCLE_1)
	s_and_b32 vcc_lo, exec_lo, s9
	s_cbranch_vccz .LBB87_5685
; %bb.5655:
	s_cmp_gt_i32 s59, 22
	s_cbranch_scc0 .LBB87_5663
; %bb.5656:
	s_cmp_lt_i32 s59, 24
	s_cbranch_scc1 .LBB87_5666
; %bb.5657:
	s_cmp_gt_i32 s59, 24
	s_cbranch_scc0 .LBB87_5667
; %bb.5658:
	global_load_u8 v11, v[8:9], off
	s_mov_b32 s7, 0
	s_mov_b32 s6, exec_lo
	s_wait_loadcnt 0x0
	v_cmpx_lt_i16_e32 0x7f, v11
	s_xor_b32 s6, exec_lo, s6
	s_cbranch_execz .LBB87_5679
; %bb.5659:
	v_cmp_ne_u16_e32 vcc_lo, 0x80, v11
	s_and_b32 s7, vcc_lo, exec_lo
	s_and_not1_saveexec_b32 s6, s6
	s_cbranch_execnz .LBB87_5680
.LBB87_5660:
	s_or_b32 exec_lo, exec_lo, s6
	v_mov_b32_e32 v14, 0
	s_and_saveexec_b32 s6, s7
	s_cbranch_execz .LBB87_5662
.LBB87_5661:
	v_and_b32_e32 v13, 0xffff, v11
	s_delay_alu instid0(VALU_DEP_1) | instskip(SKIP_1) | instid1(VALU_DEP_2)
	v_and_b32_e32 v14, 3, v13
	v_bfe_u32 v18, v13, 2, 5
	v_clz_i32_u32_e32 v15, v14
	s_delay_alu instid0(VALU_DEP_2) | instskip(NEXT) | instid1(VALU_DEP_2)
	v_cmp_eq_u32_e32 vcc_lo, 0, v18
	v_min_u32_e32 v15, 32, v15
	s_delay_alu instid0(VALU_DEP_1) | instskip(NEXT) | instid1(VALU_DEP_1)
	v_subrev_nc_u32_e32 v17, 29, v15
	v_dual_lshlrev_b32 v13, v17, v13 :: v_dual_sub_nc_u32 v15, 30, v15
	s_delay_alu instid0(VALU_DEP_1) | instskip(NEXT) | instid1(VALU_DEP_1)
	v_dual_lshlrev_b32 v11, 24, v11 :: v_dual_bitop2_b32 v13, 3, v13 bitop3:0x40
	v_cndmask_b32_e32 v13, v14, v13, vcc_lo
	s_delay_alu instid0(VALU_DEP_3) | instskip(NEXT) | instid1(VALU_DEP_3)
	v_cndmask_b32_e32 v15, v18, v15, vcc_lo
	v_and_b32_e32 v11, 0x80000000, v11
	s_delay_alu instid0(VALU_DEP_3) | instskip(NEXT) | instid1(VALU_DEP_3)
	v_lshlrev_b32_e32 v13, 21, v13
	v_lshl_add_u32 v14, v15, 23, 0x37800000
	s_delay_alu instid0(VALU_DEP_1) | instskip(NEXT) | instid1(VALU_DEP_1)
	v_or3_b32 v11, v11, v14, v13
	v_cvt_i32_f32_e32 v14, v11
.LBB87_5662:
	s_or_b32 exec_lo, exec_lo, s6
	s_mov_b32 s6, 0
	s_branch .LBB87_5668
.LBB87_5663:
	s_mov_b32 s6, -1
                                        ; implicit-def: $vgpr14
	s_branch .LBB87_5674
.LBB87_5664:
	s_and_not1_saveexec_b32 s7, s7
	s_cbranch_execz .LBB87_5649
.LBB87_5665:
	v_cmp_ne_u16_e32 vcc_lo, 0, v11
	s_and_not1_b32 s9, s9, exec_lo
	s_and_b32 s12, vcc_lo, exec_lo
	s_delay_alu instid0(SALU_CYCLE_1)
	s_or_b32 s9, s9, s12
	s_or_b32 exec_lo, exec_lo, s7
	v_mov_b32_e32 v14, 0
	s_and_saveexec_b32 s7, s9
	s_cbranch_execnz .LBB87_5650
	s_branch .LBB87_5651
.LBB87_5666:
	s_mov_b32 s6, -1
                                        ; implicit-def: $vgpr14
	s_branch .LBB87_5671
.LBB87_5667:
	s_mov_b32 s6, -1
                                        ; implicit-def: $vgpr14
.LBB87_5668:
	s_delay_alu instid0(SALU_CYCLE_1)
	s_and_b32 vcc_lo, exec_lo, s6
	s_cbranch_vccz .LBB87_5670
; %bb.5669:
	global_load_u8 v11, v[8:9], off
	s_wait_loadcnt 0x0
	v_lshlrev_b32_e32 v11, 24, v11
	s_delay_alu instid0(VALU_DEP_1) | instskip(SKIP_1) | instid1(VALU_DEP_1)
	v_and_b32_e32 v13, 0x7f000000, v11
	s_wait_xcnt 0x1
	v_clz_i32_u32_e32 v14, v13
	v_add_nc_u32_e32 v17, 0x1000000, v13
	v_cmp_ne_u32_e32 vcc_lo, 0, v13
	s_delay_alu instid0(VALU_DEP_3) | instskip(NEXT) | instid1(VALU_DEP_1)
	v_min_u32_e32 v14, 32, v14
	v_sub_nc_u32_e64 v14, v14, 4 clamp
	s_delay_alu instid0(VALU_DEP_1) | instskip(NEXT) | instid1(VALU_DEP_1)
	v_dual_lshlrev_b32 v15, v14, v13 :: v_dual_lshlrev_b32 v14, 23, v14
	v_lshrrev_b32_e32 v15, 4, v15
	s_delay_alu instid0(VALU_DEP_1) | instskip(NEXT) | instid1(VALU_DEP_1)
	v_dual_sub_nc_u32 v14, v15, v14 :: v_dual_ashrrev_i32 v15, 8, v17
	v_add_nc_u32_e32 v14, 0x3c000000, v14
	s_delay_alu instid0(VALU_DEP_1) | instskip(NEXT) | instid1(VALU_DEP_1)
	v_and_or_b32 v14, 0x7f800000, v15, v14
	v_cndmask_b32_e32 v13, 0, v14, vcc_lo
	s_delay_alu instid0(VALU_DEP_1) | instskip(NEXT) | instid1(VALU_DEP_1)
	v_and_or_b32 v11, 0x80000000, v11, v13
	v_cvt_i32_f32_e32 v14, v11
.LBB87_5670:
	s_mov_b32 s6, 0
.LBB87_5671:
	s_delay_alu instid0(SALU_CYCLE_1)
	s_and_not1_b32 vcc_lo, exec_lo, s6
	s_cbranch_vccnz .LBB87_5673
; %bb.5672:
	global_load_u8 v11, v[8:9], off
	s_wait_loadcnt 0x0
	v_lshlrev_b32_e32 v13, 25, v11
	v_lshlrev_b16 v11, 8, v11
	s_wait_xcnt 0x1
	s_delay_alu instid0(VALU_DEP_1) | instskip(NEXT) | instid1(VALU_DEP_3)
	v_and_or_b32 v15, 0x7f00, v11, 0.5
	v_lshrrev_b32_e32 v14, 4, v13
	v_bfe_i32 v11, v11, 0, 16
	s_delay_alu instid0(VALU_DEP_3) | instskip(NEXT) | instid1(VALU_DEP_3)
	v_add_f32_e32 v15, -0.5, v15
	v_or_b32_e32 v14, 0x70000000, v14
	s_delay_alu instid0(VALU_DEP_1) | instskip(SKIP_1) | instid1(VALU_DEP_2)
	v_mul_f32_e32 v14, 0x7800000, v14
	v_cmp_gt_u32_e32 vcc_lo, 0x8000000, v13
	v_cndmask_b32_e32 v13, v14, v15, vcc_lo
	s_delay_alu instid0(VALU_DEP_1) | instskip(NEXT) | instid1(VALU_DEP_1)
	v_and_or_b32 v11, 0x80000000, v11, v13
	v_cvt_i32_f32_e32 v14, v11
.LBB87_5673:
	s_mov_b32 s6, 0
	s_mov_b32 s7, -1
.LBB87_5674:
	s_and_not1_b32 vcc_lo, exec_lo, s6
	s_mov_b32 s6, 0
	s_cbranch_vccnz .LBB87_5685
; %bb.5675:
	s_cmp_gt_i32 s59, 14
	s_cbranch_scc0 .LBB87_5678
; %bb.5676:
	s_cmp_eq_u32 s59, 15
	s_cbranch_scc0 .LBB87_5681
; %bb.5677:
	global_load_u16 v11, v[8:9], off
	s_mov_b32 s0, 0
	s_mov_b32 s7, -1
	s_wait_loadcnt 0x0
	v_lshlrev_b32_e32 v11, 16, v11
	s_wait_xcnt 0x1
	s_delay_alu instid0(VALU_DEP_1)
	v_cvt_i32_f32_e32 v14, v11
	s_branch .LBB87_5683
.LBB87_5678:
	s_mov_b32 s6, -1
	s_branch .LBB87_5682
.LBB87_5679:
	s_and_not1_saveexec_b32 s6, s6
	s_cbranch_execz .LBB87_5660
.LBB87_5680:
	v_cmp_ne_u16_e32 vcc_lo, 0, v11
	s_and_not1_b32 s7, s7, exec_lo
	s_and_b32 s9, vcc_lo, exec_lo
	s_delay_alu instid0(SALU_CYCLE_1)
	s_or_b32 s7, s7, s9
	s_or_b32 exec_lo, exec_lo, s6
	v_mov_b32_e32 v14, 0
	s_and_saveexec_b32 s6, s7
	s_cbranch_execnz .LBB87_5661
	s_branch .LBB87_5662
.LBB87_5681:
	s_mov_b32 s0, -1
.LBB87_5682:
                                        ; implicit-def: $vgpr14
.LBB87_5683:
	s_and_b32 vcc_lo, exec_lo, s6
	s_mov_b32 s6, 0
	s_cbranch_vccz .LBB87_5685
; %bb.5684:
	s_cmp_lg_u32 s59, 11
	s_mov_b32 s6, -1
	s_cselect_b32 s0, -1, 0
.LBB87_5685:
	s_delay_alu instid0(SALU_CYCLE_1)
	s_and_b32 vcc_lo, exec_lo, s0
	s_cbranch_vccnz .LBB87_5814
; %bb.5686:
	s_and_not1_b32 vcc_lo, exec_lo, s6
	s_cbranch_vccnz .LBB87_5688
.LBB87_5687:
	global_load_u8 v11, v[8:9], off
	s_mov_b32 s7, -1
	s_wait_loadcnt 0x0
	v_cmp_ne_u16_e32 vcc_lo, 0, v11
	s_wait_xcnt 0x1
	v_cndmask_b32_e64 v14, 0, 1, vcc_lo
.LBB87_5688:
	s_mov_b32 s0, 0
.LBB87_5689:
	s_delay_alu instid0(SALU_CYCLE_1)
	s_and_b32 vcc_lo, exec_lo, s0
	s_cbranch_vccz .LBB87_5738
; %bb.5690:
	s_cmp_lt_i32 s59, 5
	s_cbranch_scc1 .LBB87_5695
; %bb.5691:
	s_cmp_lt_i32 s59, 8
	s_cbranch_scc1 .LBB87_5696
	;; [unrolled: 3-line block ×3, first 2 shown]
; %bb.5693:
	s_cmp_gt_i32 s59, 9
	s_cbranch_scc0 .LBB87_5698
; %bb.5694:
	s_wait_loadcnt 0x0
	global_load_b64 v[14:15], v[8:9], off
	s_mov_b32 s0, 0
	s_wait_loadcnt 0x0
	v_cvt_i32_f64_e32 v14, v[14:15]
	s_branch .LBB87_5699
.LBB87_5695:
	s_mov_b32 s0, -1
                                        ; implicit-def: $vgpr14
	s_branch .LBB87_5717
.LBB87_5696:
	s_mov_b32 s0, -1
                                        ; implicit-def: $vgpr14
	s_branch .LBB87_5705
.LBB87_5697:
	s_mov_b32 s0, -1
                                        ; implicit-def: $vgpr14
	s_branch .LBB87_5702
.LBB87_5698:
	s_mov_b32 s0, -1
                                        ; implicit-def: $vgpr14
.LBB87_5699:
	s_delay_alu instid0(SALU_CYCLE_1)
	s_and_not1_b32 vcc_lo, exec_lo, s0
	s_cbranch_vccnz .LBB87_5701
; %bb.5700:
	global_load_b32 v11, v[8:9], off
	s_wait_loadcnt 0x0
	s_wait_xcnt 0x1
	v_cvt_i32_f32_e32 v14, v11
.LBB87_5701:
	s_mov_b32 s0, 0
.LBB87_5702:
	s_delay_alu instid0(SALU_CYCLE_1)
	s_and_not1_b32 vcc_lo, exec_lo, s0
	s_cbranch_vccnz .LBB87_5704
; %bb.5703:
	global_load_b32 v11, v[8:9], off
	s_wait_loadcnt 0x0
	v_cvt_f32_f16_e32 v11, v11
	s_wait_xcnt 0x1
	s_delay_alu instid0(VALU_DEP_1)
	v_cvt_i32_f32_e32 v14, v11
.LBB87_5704:
	s_mov_b32 s0, 0
.LBB87_5705:
	s_delay_alu instid0(SALU_CYCLE_1)
	s_and_not1_b32 vcc_lo, exec_lo, s0
	s_cbranch_vccnz .LBB87_5716
; %bb.5706:
	s_cmp_lt_i32 s59, 6
	s_cbranch_scc1 .LBB87_5709
; %bb.5707:
	s_cmp_gt_i32 s59, 6
	s_cbranch_scc0 .LBB87_5710
; %bb.5708:
	s_wait_loadcnt 0x0
	global_load_b64 v[14:15], v[8:9], off
	s_mov_b32 s0, 0
	s_wait_loadcnt 0x0
	v_cvt_i32_f64_e32 v14, v[14:15]
	s_branch .LBB87_5711
.LBB87_5709:
	s_mov_b32 s0, -1
                                        ; implicit-def: $vgpr14
	s_branch .LBB87_5714
.LBB87_5710:
	s_mov_b32 s0, -1
                                        ; implicit-def: $vgpr14
.LBB87_5711:
	s_delay_alu instid0(SALU_CYCLE_1)
	s_and_not1_b32 vcc_lo, exec_lo, s0
	s_cbranch_vccnz .LBB87_5713
; %bb.5712:
	global_load_b32 v11, v[8:9], off
	s_wait_loadcnt 0x0
	s_wait_xcnt 0x1
	v_cvt_i32_f32_e32 v14, v11
.LBB87_5713:
	s_mov_b32 s0, 0
.LBB87_5714:
	s_delay_alu instid0(SALU_CYCLE_1)
	s_and_not1_b32 vcc_lo, exec_lo, s0
	s_cbranch_vccnz .LBB87_5716
; %bb.5715:
	global_load_u16 v11, v[8:9], off
	s_wait_loadcnt 0x0
	v_cvt_f32_f16_e32 v11, v11
	s_wait_xcnt 0x1
	s_delay_alu instid0(VALU_DEP_1)
	v_cvt_i32_f32_e32 v14, v11
.LBB87_5716:
	s_mov_b32 s0, 0
.LBB87_5717:
	s_delay_alu instid0(SALU_CYCLE_1)
	s_and_not1_b32 vcc_lo, exec_lo, s0
	s_cbranch_vccnz .LBB87_5737
; %bb.5718:
	s_cmp_lt_i32 s59, 2
	s_cbranch_scc1 .LBB87_5722
; %bb.5719:
	s_cmp_lt_i32 s59, 3
	s_cbranch_scc1 .LBB87_5723
; %bb.5720:
	s_cmp_gt_i32 s59, 3
	s_cbranch_scc0 .LBB87_5724
; %bb.5721:
	s_wait_loadcnt 0x0
	global_load_b32 v14, v[8:9], off
	s_mov_b32 s0, 0
	s_branch .LBB87_5725
.LBB87_5722:
	s_mov_b32 s0, -1
                                        ; implicit-def: $vgpr14
	s_branch .LBB87_5731
.LBB87_5723:
	s_mov_b32 s0, -1
                                        ; implicit-def: $vgpr14
	s_branch .LBB87_5728
.LBB87_5724:
	s_mov_b32 s0, -1
                                        ; implicit-def: $vgpr14
.LBB87_5725:
	s_delay_alu instid0(SALU_CYCLE_1)
	s_and_not1_b32 vcc_lo, exec_lo, s0
	s_cbranch_vccnz .LBB87_5727
; %bb.5726:
	s_wait_loadcnt 0x0
	global_load_b32 v14, v[8:9], off
.LBB87_5727:
	s_mov_b32 s0, 0
.LBB87_5728:
	s_delay_alu instid0(SALU_CYCLE_1)
	s_and_not1_b32 vcc_lo, exec_lo, s0
	s_cbranch_vccnz .LBB87_5730
; %bb.5729:
	s_wait_loadcnt 0x0
	global_load_i16 v14, v[8:9], off
.LBB87_5730:
	s_mov_b32 s0, 0
.LBB87_5731:
	s_delay_alu instid0(SALU_CYCLE_1)
	s_and_not1_b32 vcc_lo, exec_lo, s0
	s_cbranch_vccnz .LBB87_5737
; %bb.5732:
	s_cmp_gt_i32 s59, 0
	s_mov_b32 s0, 0
	s_cbranch_scc0 .LBB87_5734
; %bb.5733:
	s_wait_loadcnt 0x0
	global_load_i8 v14, v[8:9], off
	s_branch .LBB87_5735
.LBB87_5734:
	s_mov_b32 s0, -1
                                        ; implicit-def: $vgpr14
.LBB87_5735:
	s_delay_alu instid0(SALU_CYCLE_1)
	s_and_not1_b32 vcc_lo, exec_lo, s0
	s_cbranch_vccnz .LBB87_5737
; %bb.5736:
	s_wait_loadcnt 0x0
	global_load_u8 v14, v[8:9], off
.LBB87_5737:
	s_mov_b32 s7, -1
.LBB87_5738:
	s_delay_alu instid0(SALU_CYCLE_1)
	s_and_not1_b32 vcc_lo, exec_lo, s7
	s_cbranch_vccnz .LBB87_5747
; %bb.5739:
	s_mov_b32 s0, exec_lo
	s_wait_loadcnt 0x0
	v_cmpx_ne_u32_e64 v7, v1
	s_xor_b32 s0, exec_lo, s0
	s_cbranch_execnz .LBB87_6090
.LBB87_5740:
	s_or_saveexec_b32 s18, s0
	s_mov_b32 s6, 0
	s_mov_b32 s7, 0
                                        ; implicit-def: $vgpr38_vgpr39
                                        ; implicit-def: $sgpr0
	s_xor_b32 exec_lo, exec_lo, s18
	s_cbranch_execz .LBB87_6085
; %bb.5741:
	s_mov_b32 s19, s25
	s_mov_b32 s0, exec_lo
	v_cmpx_ne_u32_e64 v16, v3
	s_xor_b32 s0, exec_lo, s0
	s_cbranch_execnz .LBB87_6092
; %bb.5742:
	s_or_saveexec_b32 s26, s0
                                        ; implicit-def: $vgpr38_vgpr39
                                        ; implicit-def: $sgpr0
	s_delay_alu instid0(SALU_CYCLE_1)
	s_xor_b32 exec_lo, exec_lo, s26
	s_cbranch_execz .LBB87_6084
.LBB87_5743:
	v_sub_nc_u32_e32 v3, v10, v12
	s_delay_alu instid0(VALU_DEP_1) | instskip(SKIP_3) | instid1(SALU_CYCLE_1)
	v_cmp_gt_i32_e32 vcc_lo, v1, v3
	v_cmp_lt_i32_e64 s0, s20, v3
	s_mov_b32 s20, s19
	s_or_b32 s0, vcc_lo, s0
	s_and_saveexec_b32 s6, s0
	s_delay_alu instid0(SALU_CYCLE_1)
	s_xor_b32 s0, exec_lo, s6
	s_cbranch_execnz .LBB87_6094
; %bb.5744:
	s_or_saveexec_b32 s27, s0
	s_mov_b32 s6, 0
                                        ; implicit-def: $vgpr38_vgpr39
                                        ; implicit-def: $sgpr0
	s_xor_b32 exec_lo, exec_lo, s27
	s_cbranch_execz .LBB87_6083
.LBB87_5745:
	v_cmp_ne_u32_e32 vcc_lo, 1, v5
	v_mov_b64_e32 v[8:9], 0
	s_cbranch_vccnz .LBB87_5758
; %bb.5746:
	v_ashrrev_i32_e32 v15, 31, v14
	s_mov_b32 s9, 0
	v_mov_b64_e32 v[8:9], 0
	s_mov_b64 s[6:7], 0xffffffff
	s_delay_alu instid0(VALU_DEP_2) | instskip(SKIP_3) | instid1(SALU_CYCLE_1)
	v_mul_u64_e32 v[16:17], s[10:11], v[14:15]
	s_lshl_b64 s[10:11], s[8:9], 3
	v_mov_b32_e32 v14, 0
	s_add_nc_u64 s[10:11], s[2:3], s[10:11]
	s_add_nc_u64 s[10:11], s[10:11], 0x298
	s_branch .LBB87_5754
.LBB87_5747:
	s_mov_b32 s6, 0
	s_mov_b32 s7, 0
                                        ; implicit-def: $vgpr38_vgpr39
                                        ; implicit-def: $sgpr0
.LBB87_5748:
	s_and_not1_b32 s1, s1, exec_lo
	s_and_b32 s2, s25, exec_lo
	s_and_b32 s26, s7, exec_lo
	;; [unrolled: 1-line block ×3, first 2 shown]
	s_or_b32 s1, s1, s2
.LBB87_5749:
	s_wait_xcnt 0x0
	s_or_b32 exec_lo, exec_lo, s24
	s_delay_alu instid0(SALU_CYCLE_1)
	s_and_not1_b32 s2, s63, exec_lo
	s_and_b32 s3, s1, exec_lo
	s_and_b32 s24, s26, exec_lo
	;; [unrolled: 1-line block ×3, first 2 shown]
	s_or_b32 s63, s2, s3
.LBB87_5750:
	s_or_b32 exec_lo, exec_lo, s64
	s_delay_alu instid0(SALU_CYCLE_1)
	s_and_not1_b32 s2, s61, exec_lo
	s_and_b32 s3, s63, exec_lo
	s_and_b32 s9, s24, exec_lo
	;; [unrolled: 1-line block ×3, first 2 shown]
	s_or_b32 s61, s2, s3
.LBB87_5751:
	s_or_b32 exec_lo, exec_lo, s62
	s_delay_alu instid0(SALU_CYCLE_1)
	s_and_not1_b32 s2, s54, exec_lo
	s_and_b32 s3, s61, exec_lo
	s_and_b32 s9, s9, exec_lo
	;; [unrolled: 1-line block ×3, first 2 shown]
	s_or_b32 s54, s2, s3
.LBB87_5752:
	s_or_b32 exec_lo, exec_lo, s60
	s_branch .LBB87_5082
.LBB87_5753:                            ;   in Loop: Header=BB87_5754 Depth=1
	s_or_b32 exec_lo, exec_lo, s0
	s_delay_alu instid0(VALU_DEP_1)
	v_mul_u64_e32 v[20:21], s[12:13], v[18:19]
	s_load_b64 s[12:13], s[10:11], 0x40
	s_add_co_i32 s45, s45, -1
	s_wait_xcnt 0x0
	s_add_nc_u64 s[10:11], s[10:11], -8
	s_cmp_eq_u32 s45, 0
	s_delay_alu instid0(VALU_DEP_1) | instskip(SKIP_1) | instid1(VALU_DEP_1)
	v_sub_nc_u64_e32 v[16:17], v[16:17], v[20:21]
	s_wait_kmcnt 0x0
	v_mad_nc_u64_u32 v[8:9], v16, s12, v[8:9]
	s_delay_alu instid0(VALU_DEP_1) | instskip(NEXT) | instid1(VALU_DEP_1)
	v_mad_u32 v1, v17, s12, v9
	v_mad_u32 v9, v16, s13, v1
	v_mov_b64_e32 v[16:17], v[18:19]
	s_cbranch_scc1 .LBB87_5758
.LBB87_5754:                            ; =>This Inner Loop Header: Depth=1
	s_load_b64 s[12:13], s[10:11], 0x0
                                        ; implicit-def: $vgpr18_vgpr19
	s_mov_b32 s0, exec_lo
	s_wait_kmcnt 0x0
	s_delay_alu instid0(VALU_DEP_1) | instskip(NEXT) | instid1(VALU_DEP_1)
	v_or_b32_e32 v15, s13, v17
	v_cmpx_ne_u64_e32 0, v[14:15]
	s_xor_b32 s28, exec_lo, s0
	s_cbranch_execz .LBB87_5756
; %bb.5755:                             ;   in Loop: Header=BB87_5754 Depth=1
	s_ashr_i32 s14, s13, 31
	v_dual_mov_b32 v23, v14 :: v_dual_ashrrev_i32 v18, 31, v17
	s_mov_b32 s15, s14
	v_mov_b32_e32 v31, v14
	s_add_nc_u64 s[16:17], s[12:13], s[14:15]
	s_delay_alu instid0(VALU_DEP_2) | instskip(SKIP_1) | instid1(SALU_CYCLE_1)
	v_mov_b32_e32 v19, v18
	s_xor_b64 s[16:17], s[16:17], s[14:15]
	s_cvt_f32_u32 s0, s16
	s_cvt_f32_u32 s8, s17
	s_sub_nc_u64 s[34:35], 0, s[16:17]
	v_add_nc_u64_e32 v[20:21], v[16:17], v[18:19]
	v_mov_b32_e32 v27, v14
	s_fmamk_f32 s0, s8, 0x4f800000, s0
	s_delay_alu instid0(SALU_CYCLE_3) | instskip(NEXT) | instid1(VALU_DEP_2)
	v_s_rcp_f32 s0, s0
	v_xor_b32_e32 v22, v20, v18
	s_delay_alu instid0(VALU_DEP_3) | instskip(NEXT) | instid1(TRANS32_DEP_1)
	v_xor_b32_e32 v26, v21, v18
	s_mul_f32 s0, s0, 0x5f7ffffc
	s_delay_alu instid0(SALU_CYCLE_3) | instskip(NEXT) | instid1(SALU_CYCLE_3)
	s_mul_f32 s8, s0, 0x2f800000
	s_trunc_f32 s8, s8
	s_delay_alu instid0(SALU_CYCLE_3) | instskip(SKIP_1) | instid1(SALU_CYCLE_2)
	s_fmamk_f32 s0, s8, 0xcf800000, s0
	s_cvt_u32_f32 s31, s8
	s_cvt_u32_f32 s30, s0
	s_delay_alu instid0(SALU_CYCLE_3) | instskip(NEXT) | instid1(SALU_CYCLE_1)
	s_mul_u64 s[56:57], s[34:35], s[30:31]
	s_mul_hi_u32 s59, s30, s57
	s_mul_i32 s58, s30, s57
	s_mul_hi_u32 s8, s30, s56
	s_mul_i32 s15, s31, s56
	s_add_nc_u64 s[58:59], s[8:9], s[58:59]
	s_mul_hi_u32 s0, s31, s56
	s_mul_hi_u32 s29, s31, s57
	s_add_co_u32 s8, s58, s15
	s_add_co_ci_u32 s8, s59, s0
	s_mul_i32 s56, s31, s57
	s_add_co_ci_u32 s57, s29, 0
	s_delay_alu instid0(SALU_CYCLE_1) | instskip(NEXT) | instid1(SALU_CYCLE_1)
	s_add_nc_u64 s[56:57], s[8:9], s[56:57]
	s_add_co_u32 s30, s30, s56
	s_cselect_b32 s0, -1, 0
	s_delay_alu instid0(SALU_CYCLE_1) | instskip(SKIP_1) | instid1(SALU_CYCLE_1)
	s_cmp_lg_u32 s0, 0
	s_add_co_ci_u32 s31, s31, s57
	s_mul_u64 s[34:35], s[34:35], s[30:31]
	s_delay_alu instid0(SALU_CYCLE_1)
	s_mul_hi_u32 s57, s30, s35
	s_mul_i32 s56, s30, s35
	s_mul_hi_u32 s8, s30, s34
	s_mul_i32 s15, s31, s34
	s_add_nc_u64 s[56:57], s[8:9], s[56:57]
	s_mul_hi_u32 s0, s31, s34
	s_mul_hi_u32 s29, s31, s35
	s_add_co_u32 s8, s56, s15
	s_add_co_ci_u32 s8, s57, s0
	s_mul_i32 s34, s31, s35
	s_add_co_ci_u32 s35, s29, 0
	s_delay_alu instid0(SALU_CYCLE_1) | instskip(NEXT) | instid1(SALU_CYCLE_1)
	s_add_nc_u64 s[34:35], s[8:9], s[34:35]
	s_add_co_u32 s0, s30, s34
	s_cselect_b32 s8, -1, 0
	v_mul_hi_u32 v30, v22, s0
	s_cmp_lg_u32 s8, 0
	s_add_co_ci_u32 s8, s31, s35
	s_and_b64 s[30:31], s[0:1], s[6:7]
	v_mul_u64_e32 v[24:25], s[8:9], v[22:23]
	v_mul_u64_e32 v[20:21], s[30:31], v[26:27]
	;; [unrolled: 1-line block ×3, first 2 shown]
	s_delay_alu instid0(VALU_DEP_3) | instskip(NEXT) | instid1(VALU_DEP_1)
	v_add_nc_u64_e32 v[24:25], v[30:31], v[24:25]
	v_add_co_u32 v1, vcc_lo, v24, v20
	s_delay_alu instid0(VALU_DEP_2) | instskip(NEXT) | instid1(VALU_DEP_4)
	v_add_co_ci_u32_e32 v30, vcc_lo, v25, v21, vcc_lo
	v_add_co_ci_u32_e32 v29, vcc_lo, 0, v29, vcc_lo
	s_delay_alu instid0(VALU_DEP_1) | instskip(NEXT) | instid1(VALU_DEP_1)
	v_add_nc_u64_e32 v[20:21], v[30:31], v[28:29]
	v_mul_u64_e32 v[24:25], s[16:17], v[20:21]
	s_delay_alu instid0(VALU_DEP_1) | instskip(NEXT) | instid1(VALU_DEP_2)
	v_sub_nc_u32_e32 v1, v26, v25
	v_sub_co_u32 v3, vcc_lo, v22, v24
	s_delay_alu instid0(VALU_DEP_1) | instskip(NEXT) | instid1(VALU_DEP_3)
	v_sub_co_ci_u32_e64 v7, null, v26, v25, vcc_lo
	v_subrev_co_ci_u32_e64 v1, null, s17, v1, vcc_lo
	s_delay_alu instid0(VALU_DEP_3) | instskip(SKIP_1) | instid1(VALU_DEP_3)
	v_sub_co_u32 v5, s0, v3, s16
	v_add_nc_u64_e32 v[22:23], 2, v[20:21]
	v_subrev_co_ci_u32_e64 v1, null, 0, v1, s0
	s_delay_alu instid0(VALU_DEP_3) | instskip(SKIP_2) | instid1(VALU_DEP_4)
	v_cmp_le_u32_e32 vcc_lo, s16, v5
	v_add_nc_u64_e32 v[24:25], 1, v[20:21]
	v_cndmask_b32_e64 v5, 0, -1, vcc_lo
	v_cmp_le_u32_e32 vcc_lo, s17, v1
	v_cndmask_b32_e64 v11, 0, -1, vcc_lo
	v_cmp_le_u32_e32 vcc_lo, s16, v3
	v_cndmask_b32_e64 v3, 0, -1, vcc_lo
	v_cmp_le_u32_e32 vcc_lo, s17, v7
	v_cndmask_b32_e64 v13, 0, -1, vcc_lo
	v_cmp_eq_u32_e32 vcc_lo, s17, v1
	v_cndmask_b32_e32 v1, v11, v5, vcc_lo
	v_cmp_eq_u32_e32 vcc_lo, s17, v7
	s_delay_alu instid0(VALU_DEP_4) | instskip(NEXT) | instid1(VALU_DEP_3)
	v_cndmask_b32_e32 v3, v13, v3, vcc_lo
	v_cmp_ne_u32_e32 vcc_lo, 0, v1
	s_delay_alu instid0(VALU_DEP_2) | instskip(SKIP_1) | instid1(VALU_DEP_1)
	v_cmp_ne_u32_e64 s0, 0, v3
	v_dual_cndmask_b32 v1, v25, v23, vcc_lo :: v_dual_cndmask_b32 v3, v24, v22, vcc_lo
	v_dual_cndmask_b32 v1, v21, v1, s0 :: v_dual_bitop2_b32 v18, s14, v18 bitop3:0x14
	s_delay_alu instid0(VALU_DEP_1) | instskip(NEXT) | instid1(VALU_DEP_2)
	v_dual_cndmask_b32 v3, v20, v3, s0 :: v_dual_mov_b32 v19, v18
	v_xor_b32_e32 v21, v1, v18
	s_delay_alu instid0(VALU_DEP_2) | instskip(NEXT) | instid1(VALU_DEP_1)
	v_xor_b32_e32 v20, v3, v18
	v_sub_nc_u64_e32 v[18:19], v[20:21], v[18:19]
.LBB87_5756:                            ;   in Loop: Header=BB87_5754 Depth=1
	s_and_not1_saveexec_b32 s0, s28
	s_cbranch_execz .LBB87_5753
; %bb.5757:                             ;   in Loop: Header=BB87_5754 Depth=1
	v_cvt_f32_u32_e32 v1, s12
	s_sub_co_i32 s8, 0, s12
	v_mov_b32_e32 v19, v14
	s_delay_alu instid0(VALU_DEP_2) | instskip(SKIP_1) | instid1(TRANS32_DEP_1)
	v_rcp_iflag_f32_e32 v1, v1
	v_nop
	v_mul_f32_e32 v1, 0x4f7ffffe, v1
	s_delay_alu instid0(VALU_DEP_1) | instskip(NEXT) | instid1(VALU_DEP_1)
	v_cvt_u32_f32_e32 v1, v1
	v_mul_lo_u32 v3, s8, v1
	s_delay_alu instid0(VALU_DEP_1) | instskip(NEXT) | instid1(VALU_DEP_1)
	v_mul_hi_u32 v3, v1, v3
	v_add_nc_u32_e32 v1, v1, v3
	s_delay_alu instid0(VALU_DEP_1) | instskip(NEXT) | instid1(VALU_DEP_1)
	v_mul_hi_u32 v1, v16, v1
	v_mul_lo_u32 v3, v1, s12
	s_delay_alu instid0(VALU_DEP_1) | instskip(NEXT) | instid1(VALU_DEP_1)
	v_sub_nc_u32_e32 v3, v16, v3
	v_subrev_nc_u32_e32 v7, s12, v3
	v_cmp_le_u32_e32 vcc_lo, s12, v3
	s_delay_alu instid0(VALU_DEP_2) | instskip(NEXT) | instid1(VALU_DEP_1)
	v_dual_add_nc_u32 v5, 1, v1 :: v_dual_cndmask_b32 v3, v3, v7, vcc_lo
	v_cndmask_b32_e32 v1, v1, v5, vcc_lo
	s_delay_alu instid0(VALU_DEP_2) | instskip(NEXT) | instid1(VALU_DEP_2)
	v_cmp_le_u32_e32 vcc_lo, s12, v3
	v_add_nc_u32_e32 v5, 1, v1
	s_delay_alu instid0(VALU_DEP_1)
	v_cndmask_b32_e32 v18, v1, v5, vcc_lo
	s_branch .LBB87_5753
.LBB87_5758:
	s_mov_b32 s10, -1
	s_mov_b32 s6, s20
	s_mov_b32 s0, exec_lo
	v_cmpx_gt_i32_e64 v10, v12
	s_cbranch_execz .LBB87_5765
; %bb.5759:
	s_delay_alu instid0(VALU_DEP_2) | instskip(SKIP_3) | instid1(VALU_DEP_1)
	v_lshlrev_b64_e32 v[8:9], 2, v[8:9]
	v_dual_ashrrev_i32 v13, 31, v12 :: v_dual_ashrrev_i32 v11, 31, v10
	s_mov_b32 s7, 0
	s_xor_b32 s8, s46, -1
                                        ; implicit-def: $sgpr6
                                        ; implicit-def: $sgpr10
                                        ; implicit-def: $sgpr9
	v_lshl_add_u64 v[12:13], v[12:13], 2, v[8:9]
	s_wait_kmcnt 0x0
	v_add_nc_u64_e32 v[14:15], s[22:23], v[8:9]
	s_delay_alu instid0(VALU_DEP_2) | instskip(NEXT) | instid1(VALU_DEP_2)
	v_add_nc_u64_e32 v[12:13], s[22:23], v[12:13]
	v_lshl_add_u64 v[10:11], v[10:11], 2, v[14:15]
	s_delay_alu instid0(VALU_DEP_2)
	v_add_nc_u64_e32 v[8:9], 4, v[12:13]
	s_branch .LBB87_5761
.LBB87_5760:                            ;   in Loop: Header=BB87_5761 Depth=1
	s_or_b32 exec_lo, exec_lo, s11
	s_xor_b32 s11, s9, -1
	s_and_b32 s12, exec_lo, s10
	s_delay_alu instid0(SALU_CYCLE_1) | instskip(SKIP_2) | instid1(SALU_CYCLE_1)
	s_or_b32 s7, s12, s7
	s_and_not1_b32 s6, s6, exec_lo
	s_and_b32 s11, s11, exec_lo
	s_or_b32 s6, s6, s11
	s_and_not1_b32 exec_lo, exec_lo, s7
	s_cbranch_execz .LBB87_5763
.LBB87_5761:                            ; =>This Inner Loop Header: Depth=1
	s_or_b32 s9, s9, exec_lo
	s_or_b32 s10, s10, exec_lo
	s_mov_b32 s11, exec_lo
	s_delay_alu instid0(VALU_DEP_1)
	v_cmpx_lt_u64_e64 v[8:9], v[10:11]
	s_cbranch_execz .LBB87_5760
; %bb.5762:                             ;   in Loop: Header=BB87_5761 Depth=1
	global_load_b64 v[12:13], v[8:9], off offset:-4
	s_wait_xcnt 0x0
	v_add_nc_u64_e32 v[8:9], 4, v[8:9]
	s_and_not1_b32 s10, s10, exec_lo
	s_and_not1_b32 s9, s9, exec_lo
	s_wait_loadcnt 0x0
	v_cmp_ge_i32_e32 vcc_lo, v12, v13
	s_or_b32 s12, s8, vcc_lo
	s_delay_alu instid0(SALU_CYCLE_1) | instskip(NEXT) | instid1(SALU_CYCLE_1)
	s_and_b32 s12, s12, exec_lo
	s_or_b32 s10, s10, s12
	s_branch .LBB87_5760
.LBB87_5763:
	s_or_b32 exec_lo, exec_lo, s7
	s_mov_b32 s7, -1
	s_mov_b32 s8, s20
	s_and_saveexec_b32 s9, s6
	s_delay_alu instid0(SALU_CYCLE_1)
	s_xor_b32 s6, exec_lo, s9
	s_cbranch_execnz .LBB87_6087
.LBB87_5764:
	s_or_b32 exec_lo, exec_lo, s6
	s_delay_alu instid0(SALU_CYCLE_1)
	s_and_not1_b32 s6, s20, exec_lo
	s_and_b32 s8, s8, exec_lo
	s_or_not1_b32 s10, s7, exec_lo
	s_or_b32 s6, s6, s8
.LBB87_5765:
	s_or_b32 exec_lo, exec_lo, s0
	s_mov_b32 s8, 0
	s_mov_b32 s9, 0
                                        ; implicit-def: $vgpr38_vgpr39
                                        ; implicit-def: $sgpr0
	s_and_saveexec_b32 s7, s10
	s_cbranch_execz .LBB87_6082
; %bb.5766:
	s_load_b32 s0, s[2:3], 0x320
	v_mov_b32_e32 v7, 0
	s_delay_alu instid0(VALU_DEP_1) | instskip(SKIP_2) | instid1(SALU_CYCLE_1)
	v_add_nc_u64_e32 v[6:7], s[4:5], v[6:7]
	s_wait_kmcnt 0x0
	s_and_b32 s0, s0, 0xff
	s_cmp_lt_i32 s0, 11
	s_cbranch_scc1 .LBB87_5815
; %bb.5767:
	s_and_b32 s2, 0xffff, s0
	s_mov_b32 s10, -1
	s_cmp_gt_i32 s2, 25
	s_mov_b32 s3, 0
	s_cbranch_scc0 .LBB87_5792
; %bb.5768:
	s_cmp_gt_i32 s2, 28
	s_cbranch_scc0 .LBB87_5781
; %bb.5769:
	s_cmp_gt_i32 s2, 43
	;; [unrolled: 3-line block ×3, first 2 shown]
	s_cbranch_scc0 .LBB87_5773
; %bb.5771:
	s_mov_b32 s3, -1
	s_mov_b32 s10, 0
	s_cmp_eq_u32 s2, 46
	s_cbranch_scc0 .LBB87_5773
; %bb.5772:
	v_mov_b32_e32 v1, 0
	s_mov_b32 s3, 0
	s_mov_b32 s8, -1
	global_store_b32 v[6:7], v1, off
.LBB87_5773:
	s_and_b32 vcc_lo, exec_lo, s10
	s_cbranch_vccz .LBB87_5776
; %bb.5774:
	s_cmp_eq_u32 s2, 44
	s_mov_b32 s3, -1
	s_cbranch_scc0 .LBB87_5776
; %bb.5775:
	s_wait_xcnt 0x0
	v_mov_b32_e32 v1, 0
	s_mov_b32 s3, 0
	s_mov_b32 s8, -1
	global_store_b8 v[6:7], v1, off
.LBB87_5776:
	s_mov_b32 s10, 0
.LBB87_5777:
	s_delay_alu instid0(SALU_CYCLE_1)
	s_and_b32 vcc_lo, exec_lo, s10
	s_cbranch_vccz .LBB87_5780
; %bb.5778:
	s_cmp_eq_u32 s2, 29
	s_mov_b32 s3, -1
	s_cbranch_scc0 .LBB87_5780
; %bb.5779:
	v_mov_b64_e32 v[8:9], 0
	s_mov_b32 s3, 0
	s_mov_b32 s8, -1
	global_store_b64 v[6:7], v[8:9], off
.LBB87_5780:
	s_mov_b32 s10, 0
.LBB87_5781:
	s_delay_alu instid0(SALU_CYCLE_1)
	s_and_b32 vcc_lo, exec_lo, s10
	s_cbranch_vccz .LBB87_5791
; %bb.5782:
	s_cmp_lt_i32 s2, 27
	s_mov_b32 s8, -1
	s_cbranch_scc1 .LBB87_5788
; %bb.5783:
	s_cmp_gt_i32 s2, 27
	s_cbranch_scc0 .LBB87_5785
; %bb.5784:
	s_wait_xcnt 0x0
	v_mov_b32_e32 v1, 0
	s_mov_b32 s8, 0
	global_store_b32 v[6:7], v1, off
.LBB87_5785:
	s_and_not1_b32 vcc_lo, exec_lo, s8
	s_cbranch_vccnz .LBB87_5787
; %bb.5786:
	s_wait_xcnt 0x0
	v_mov_b32_e32 v1, 0
	global_store_b16 v[6:7], v1, off
.LBB87_5787:
	s_mov_b32 s8, 0
.LBB87_5788:
	s_delay_alu instid0(SALU_CYCLE_1)
	s_and_not1_b32 vcc_lo, exec_lo, s8
	s_cbranch_vccnz .LBB87_5790
; %bb.5789:
	s_wait_xcnt 0x0
	v_mov_b32_e32 v1, 0
	global_store_b8 v[6:7], v1, off
.LBB87_5790:
	s_mov_b32 s8, -1
.LBB87_5791:
	s_mov_b32 s10, 0
.LBB87_5792:
	s_delay_alu instid0(SALU_CYCLE_1)
	s_and_b32 vcc_lo, exec_lo, s10
	s_cbranch_vccz .LBB87_5810
; %bb.5793:
	s_cmp_gt_i32 s2, 22
	s_mov_b32 s9, -1
	s_cbranch_scc0 .LBB87_5803
; %bb.5794:
	s_cmp_lt_i32 s2, 24
	s_mov_b32 s8, -1
	s_cbranch_scc1 .LBB87_5800
; %bb.5795:
	s_cmp_gt_i32 s2, 24
	s_cbranch_scc0 .LBB87_5797
; %bb.5796:
	s_wait_xcnt 0x0
	v_mov_b32_e32 v1, 0
	s_mov_b32 s8, 0
	global_store_b8 v[6:7], v1, off
.LBB87_5797:
	s_and_not1_b32 vcc_lo, exec_lo, s8
	s_cbranch_vccnz .LBB87_5799
; %bb.5798:
	s_wait_xcnt 0x0
	v_mov_b32_e32 v1, 0
	global_store_b8 v[6:7], v1, off
.LBB87_5799:
	s_mov_b32 s8, 0
.LBB87_5800:
	s_delay_alu instid0(SALU_CYCLE_1)
	s_and_not1_b32 vcc_lo, exec_lo, s8
	s_cbranch_vccnz .LBB87_5802
; %bb.5801:
	s_wait_xcnt 0x0
	v_mov_b32_e32 v1, 0
	global_store_b8 v[6:7], v1, off
.LBB87_5802:
	s_mov_b32 s9, 0
	s_mov_b32 s8, -1
.LBB87_5803:
	s_and_not1_b32 vcc_lo, exec_lo, s9
	s_mov_b32 s9, 0
	s_cbranch_vccnz .LBB87_5810
; %bb.5804:
	s_cmp_gt_i32 s2, 14
	s_mov_b32 s9, -1
	s_cbranch_scc0 .LBB87_5808
; %bb.5805:
	s_cmp_eq_u32 s2, 15
	s_mov_b32 s3, -1
	s_cbranch_scc0 .LBB87_5807
; %bb.5806:
	s_wait_xcnt 0x0
	v_mov_b32_e32 v1, 0
	s_mov_b32 s3, 0
	s_mov_b32 s8, -1
	global_store_b16 v[6:7], v1, off
.LBB87_5807:
	s_mov_b32 s9, 0
.LBB87_5808:
	s_delay_alu instid0(SALU_CYCLE_1)
	s_and_b32 vcc_lo, exec_lo, s9
	s_mov_b32 s9, 0
	s_cbranch_vccz .LBB87_5810
; %bb.5809:
	s_cmp_lg_u32 s2, 11
	s_mov_b32 s9, -1
	s_cselect_b32 s3, -1, 0
.LBB87_5810:
	s_delay_alu instid0(SALU_CYCLE_1)
	s_and_b32 vcc_lo, exec_lo, s3
	s_mov_b32 s2, s6
	s_cbranch_vccnz .LBB87_6088
; %bb.5811:
	s_and_not1_b32 vcc_lo, exec_lo, s9
	s_cbranch_vccnz .LBB87_5813
.LBB87_5812:
	s_wait_xcnt 0x0
	v_mov_b32_e32 v1, 0
	s_mov_b32 s8, -1
	global_store_b8 v[6:7], v1, off
.LBB87_5813:
	s_mov_b32 s3, 0
	s_branch .LBB87_5816
.LBB87_5814:
	s_or_b32 s25, s25, exec_lo
	s_trap 2
	s_cbranch_execz .LBB87_5687
	s_branch .LBB87_5688
.LBB87_5815:
	s_mov_b32 s3, -1
	s_mov_b32 s2, s6
.LBB87_5816:
	s_and_b32 vcc_lo, exec_lo, s3
	s_cbranch_vccz .LBB87_5855
; %bb.5817:
	s_and_b32 s3, 0xffff, s0
	s_mov_b32 s8, -1
	s_cmp_lt_i32 s3, 5
	s_cbranch_scc1 .LBB87_5838
; %bb.5818:
	s_cmp_lt_i32 s3, 8
	s_cbranch_scc1 .LBB87_5828
; %bb.5819:
	;; [unrolled: 3-line block ×3, first 2 shown]
	s_cmp_gt_i32 s3, 9
	s_cbranch_scc0 .LBB87_5822
; %bb.5821:
	s_wait_xcnt 0x0
	v_mov_b32_e32 v8, 0
	s_mov_b32 s8, 0
	s_delay_alu instid0(VALU_DEP_1)
	v_dual_mov_b32 v9, v8 :: v_dual_mov_b32 v10, v8
	v_mov_b32_e32 v11, v8
	global_store_b128 v[6:7], v[8:11], off
.LBB87_5822:
	s_and_not1_b32 vcc_lo, exec_lo, s8
	s_cbranch_vccnz .LBB87_5824
; %bb.5823:
	s_wait_xcnt 0x0
	v_mov_b64_e32 v[8:9], 0
	global_store_b64 v[6:7], v[8:9], off
.LBB87_5824:
	s_mov_b32 s8, 0
.LBB87_5825:
	s_delay_alu instid0(SALU_CYCLE_1)
	s_and_not1_b32 vcc_lo, exec_lo, s8
	s_cbranch_vccnz .LBB87_5827
; %bb.5826:
	s_wait_xcnt 0x0
	v_mov_b32_e32 v1, 0
	global_store_b32 v[6:7], v1, off
.LBB87_5827:
	s_mov_b32 s8, 0
.LBB87_5828:
	s_delay_alu instid0(SALU_CYCLE_1)
	s_and_not1_b32 vcc_lo, exec_lo, s8
	s_cbranch_vccnz .LBB87_5837
; %bb.5829:
	s_cmp_lt_i32 s3, 6
	s_mov_b32 s8, -1
	s_cbranch_scc1 .LBB87_5835
; %bb.5830:
	s_cmp_gt_i32 s3, 6
	s_cbranch_scc0 .LBB87_5832
; %bb.5831:
	s_wait_xcnt 0x0
	v_mov_b64_e32 v[8:9], 0
	s_mov_b32 s8, 0
	global_store_b64 v[6:7], v[8:9], off
.LBB87_5832:
	s_and_not1_b32 vcc_lo, exec_lo, s8
	s_cbranch_vccnz .LBB87_5834
; %bb.5833:
	s_wait_xcnt 0x0
	v_mov_b32_e32 v1, 0
	global_store_b32 v[6:7], v1, off
.LBB87_5834:
	s_mov_b32 s8, 0
.LBB87_5835:
	s_delay_alu instid0(SALU_CYCLE_1)
	s_and_not1_b32 vcc_lo, exec_lo, s8
	s_cbranch_vccnz .LBB87_5837
; %bb.5836:
	s_wait_xcnt 0x0
	v_mov_b32_e32 v1, 0
	global_store_b16 v[6:7], v1, off
.LBB87_5837:
	s_mov_b32 s8, 0
.LBB87_5838:
	s_delay_alu instid0(SALU_CYCLE_1)
	s_and_not1_b32 vcc_lo, exec_lo, s8
	s_cbranch_vccnz .LBB87_5854
; %bb.5839:
	s_cmp_lt_i32 s3, 2
	s_mov_b32 s8, -1
	s_cbranch_scc1 .LBB87_5849
; %bb.5840:
	s_cmp_lt_i32 s3, 3
	s_cbranch_scc1 .LBB87_5846
; %bb.5841:
	s_cmp_gt_i32 s3, 3
	s_cbranch_scc0 .LBB87_5843
; %bb.5842:
	s_wait_xcnt 0x0
	v_mov_b64_e32 v[8:9], 0
	s_mov_b32 s8, 0
	global_store_b64 v[6:7], v[8:9], off
.LBB87_5843:
	s_and_not1_b32 vcc_lo, exec_lo, s8
	s_cbranch_vccnz .LBB87_5845
; %bb.5844:
	s_wait_xcnt 0x0
	v_mov_b32_e32 v1, 0
	global_store_b32 v[6:7], v1, off
.LBB87_5845:
	s_mov_b32 s8, 0
.LBB87_5846:
	s_delay_alu instid0(SALU_CYCLE_1)
	s_and_not1_b32 vcc_lo, exec_lo, s8
	s_cbranch_vccnz .LBB87_5848
; %bb.5847:
	s_wait_xcnt 0x0
	v_mov_b32_e32 v1, 0
	global_store_b16 v[6:7], v1, off
.LBB87_5848:
	s_mov_b32 s8, 0
.LBB87_5849:
	s_delay_alu instid0(SALU_CYCLE_1)
	s_and_not1_b32 vcc_lo, exec_lo, s8
	s_cbranch_vccnz .LBB87_5854
; %bb.5850:
	s_cmp_gt_i32 s3, 0
	s_mov_b32 s3, -1
	s_cbranch_scc0 .LBB87_5852
; %bb.5851:
	s_wait_xcnt 0x0
	v_mov_b32_e32 v1, 0
	s_mov_b32 s3, 0
	global_store_b8 v[6:7], v1, off
.LBB87_5852:
	s_and_not1_b32 vcc_lo, exec_lo, s3
	s_cbranch_vccnz .LBB87_5854
; %bb.5853:
	s_wait_xcnt 0x0
	v_mov_b32_e32 v1, 0
	global_store_b8 v[6:7], v1, off
.LBB87_5854:
	s_mov_b32 s8, -1
.LBB87_5855:
	s_delay_alu instid0(SALU_CYCLE_1)
	s_and_not1_b32 vcc_lo, exec_lo, s8
	s_cbranch_vccnz .LBB87_6080
; %bb.5856:
	v_mov_b32_e32 v5, 0
	s_and_b32 s3, 0xffff, s0
	s_delay_alu instid0(SALU_CYCLE_1) | instskip(NEXT) | instid1(VALU_DEP_1)
	s_cmp_lt_i32 s3, 11
	v_add_nc_u64_e32 v[4:5], s[4:5], v[4:5]
	s_cbranch_scc1 .LBB87_5904
; %bb.5857:
	s_mov_b32 s11, -1
	s_mov_b32 s10, 0
	s_cmp_gt_i32 s3, 25
	s_mov_b32 s9, 0
	s_mov_b32 s8, 0
	s_cbranch_scc0 .LBB87_5882
; %bb.5858:
	s_cmp_gt_i32 s3, 28
	s_cbranch_scc0 .LBB87_5871
; %bb.5859:
	s_cmp_gt_i32 s3, 43
	;; [unrolled: 3-line block ×3, first 2 shown]
	s_cbranch_scc0 .LBB87_5863
; %bb.5861:
	s_mov_b32 s8, -1
	s_mov_b32 s11, 0
	s_cmp_eq_u32 s3, 46
	s_cbranch_scc0 .LBB87_5863
; %bb.5862:
	s_wait_xcnt 0x0
	v_mov_b32_e32 v1, 0
	s_mov_b32 s8, 0
	s_mov_b32 s9, -1
	global_store_b32 v[4:5], v1, off
.LBB87_5863:
	s_and_b32 vcc_lo, exec_lo, s11
	s_cbranch_vccz .LBB87_5866
; %bb.5864:
	s_cmp_eq_u32 s3, 44
	s_mov_b32 s8, -1
	s_cbranch_scc0 .LBB87_5866
; %bb.5865:
	s_wait_xcnt 0x0
	v_mov_b32_e32 v1, 0
	s_mov_b32 s8, 0
	s_mov_b32 s9, -1
	global_store_b8 v[4:5], v1, off
.LBB87_5866:
	s_mov_b32 s11, 0
.LBB87_5867:
	s_delay_alu instid0(SALU_CYCLE_1)
	s_and_b32 vcc_lo, exec_lo, s11
	s_cbranch_vccz .LBB87_5870
; %bb.5868:
	s_cmp_eq_u32 s3, 29
	s_mov_b32 s8, -1
	s_cbranch_scc0 .LBB87_5870
; %bb.5869:
	s_wait_xcnt 0x0
	v_mov_b64_e32 v[6:7], 0
	s_mov_b32 s8, 0
	s_mov_b32 s9, -1
	global_store_b64 v[4:5], v[6:7], off
.LBB87_5870:
	s_mov_b32 s11, 0
.LBB87_5871:
	s_delay_alu instid0(SALU_CYCLE_1)
	s_and_b32 vcc_lo, exec_lo, s11
	s_cbranch_vccz .LBB87_5881
; %bb.5872:
	s_cmp_lt_i32 s3, 27
	s_mov_b32 s9, -1
	s_cbranch_scc1 .LBB87_5878
; %bb.5873:
	s_cmp_gt_i32 s3, 27
	s_cbranch_scc0 .LBB87_5875
; %bb.5874:
	s_wait_xcnt 0x0
	v_mov_b32_e32 v1, 0
	s_mov_b32 s9, 0
	global_store_b32 v[4:5], v1, off
.LBB87_5875:
	s_and_not1_b32 vcc_lo, exec_lo, s9
	s_cbranch_vccnz .LBB87_5877
; %bb.5876:
	s_wait_xcnt 0x0
	v_mov_b32_e32 v1, 0
	global_store_b16 v[4:5], v1, off
.LBB87_5877:
	s_mov_b32 s9, 0
.LBB87_5878:
	s_delay_alu instid0(SALU_CYCLE_1)
	s_and_not1_b32 vcc_lo, exec_lo, s9
	s_cbranch_vccnz .LBB87_5880
; %bb.5879:
	s_wait_xcnt 0x0
	v_mov_b32_e32 v1, 0
	global_store_b8 v[4:5], v1, off
.LBB87_5880:
	s_mov_b32 s9, -1
.LBB87_5881:
	s_mov_b32 s11, 0
.LBB87_5882:
	s_delay_alu instid0(SALU_CYCLE_1)
	s_and_b32 vcc_lo, exec_lo, s11
	s_cbranch_vccz .LBB87_5900
; %bb.5883:
	s_cmp_gt_i32 s3, 22
	s_mov_b32 s10, -1
	s_cbranch_scc0 .LBB87_5893
; %bb.5884:
	s_cmp_lt_i32 s3, 24
	s_mov_b32 s9, -1
	s_cbranch_scc1 .LBB87_5890
; %bb.5885:
	s_cmp_gt_i32 s3, 24
	s_cbranch_scc0 .LBB87_5887
; %bb.5886:
	s_wait_xcnt 0x0
	v_mov_b32_e32 v1, 0
	s_mov_b32 s9, 0
	global_store_b8 v[4:5], v1, off
.LBB87_5887:
	s_and_not1_b32 vcc_lo, exec_lo, s9
	s_cbranch_vccnz .LBB87_5889
; %bb.5888:
	s_wait_xcnt 0x0
	v_mov_b32_e32 v1, 0
	global_store_b8 v[4:5], v1, off
.LBB87_5889:
	s_mov_b32 s9, 0
.LBB87_5890:
	s_delay_alu instid0(SALU_CYCLE_1)
	s_and_not1_b32 vcc_lo, exec_lo, s9
	s_cbranch_vccnz .LBB87_5892
; %bb.5891:
	s_wait_xcnt 0x0
	v_mov_b32_e32 v1, 0
	global_store_b8 v[4:5], v1, off
.LBB87_5892:
	s_mov_b32 s10, 0
	s_mov_b32 s9, -1
.LBB87_5893:
	s_and_not1_b32 vcc_lo, exec_lo, s10
	s_mov_b32 s10, 0
	s_cbranch_vccnz .LBB87_5900
; %bb.5894:
	s_cmp_gt_i32 s3, 14
	s_mov_b32 s10, -1
	s_cbranch_scc0 .LBB87_5898
; %bb.5895:
	s_cmp_eq_u32 s3, 15
	s_mov_b32 s8, -1
	s_cbranch_scc0 .LBB87_5897
; %bb.5896:
	s_wait_xcnt 0x0
	v_mov_b32_e32 v1, 0
	s_mov_b32 s8, 0
	s_mov_b32 s9, -1
	global_store_b16 v[4:5], v1, off
.LBB87_5897:
	s_mov_b32 s10, 0
.LBB87_5898:
	s_delay_alu instid0(SALU_CYCLE_1)
	s_and_b32 vcc_lo, exec_lo, s10
	s_mov_b32 s10, 0
	s_cbranch_vccz .LBB87_5900
; %bb.5899:
	s_cmp_lg_u32 s3, 11
	s_mov_b32 s10, -1
	s_cselect_b32 s8, -1, 0
.LBB87_5900:
	s_delay_alu instid0(SALU_CYCLE_1)
	s_and_b32 vcc_lo, exec_lo, s8
	s_cbranch_vccnz .LBB87_6089
; %bb.5901:
	s_and_not1_b32 vcc_lo, exec_lo, s10
	s_cbranch_vccnz .LBB87_5903
.LBB87_5902:
	s_wait_xcnt 0x0
	v_mov_b32_e32 v1, 0
	s_mov_b32 s9, -1
	global_store_b8 v[4:5], v1, off
.LBB87_5903:
	s_mov_b32 s8, 0
	s_branch .LBB87_5905
.LBB87_5904:
	s_mov_b32 s8, -1
	s_mov_b32 s9, 0
.LBB87_5905:
	s_and_b32 vcc_lo, exec_lo, s8
	s_cbranch_vccz .LBB87_5944
; %bb.5906:
	s_cmp_lt_i32 s3, 5
	s_mov_b32 s8, -1
	s_cbranch_scc1 .LBB87_5927
; %bb.5907:
	s_cmp_lt_i32 s3, 8
	s_cbranch_scc1 .LBB87_5917
; %bb.5908:
	s_cmp_lt_i32 s3, 9
	s_cbranch_scc1 .LBB87_5914
; %bb.5909:
	s_cmp_gt_i32 s3, 9
	s_cbranch_scc0 .LBB87_5911
; %bb.5910:
	s_wait_xcnt 0x0
	v_mov_b32_e32 v6, 0
	s_mov_b32 s8, 0
	s_delay_alu instid0(VALU_DEP_1)
	v_dual_mov_b32 v7, v6 :: v_dual_mov_b32 v8, v6
	v_mov_b32_e32 v9, v6
	global_store_b128 v[4:5], v[6:9], off
.LBB87_5911:
	s_and_not1_b32 vcc_lo, exec_lo, s8
	s_cbranch_vccnz .LBB87_5913
; %bb.5912:
	s_wait_xcnt 0x0
	v_mov_b64_e32 v[6:7], 0
	global_store_b64 v[4:5], v[6:7], off
.LBB87_5913:
	s_mov_b32 s8, 0
.LBB87_5914:
	s_delay_alu instid0(SALU_CYCLE_1)
	s_and_not1_b32 vcc_lo, exec_lo, s8
	s_cbranch_vccnz .LBB87_5916
; %bb.5915:
	s_wait_xcnt 0x0
	v_mov_b32_e32 v1, 0
	global_store_b32 v[4:5], v1, off
.LBB87_5916:
	s_mov_b32 s8, 0
.LBB87_5917:
	s_delay_alu instid0(SALU_CYCLE_1)
	s_and_not1_b32 vcc_lo, exec_lo, s8
	s_cbranch_vccnz .LBB87_5926
; %bb.5918:
	s_cmp_lt_i32 s3, 6
	s_mov_b32 s8, -1
	s_cbranch_scc1 .LBB87_5924
; %bb.5919:
	s_cmp_gt_i32 s3, 6
	s_cbranch_scc0 .LBB87_5921
; %bb.5920:
	s_wait_xcnt 0x0
	v_mov_b64_e32 v[6:7], 0
	s_mov_b32 s8, 0
	global_store_b64 v[4:5], v[6:7], off
.LBB87_5921:
	s_and_not1_b32 vcc_lo, exec_lo, s8
	s_cbranch_vccnz .LBB87_5923
; %bb.5922:
	s_wait_xcnt 0x0
	v_mov_b32_e32 v1, 0
	global_store_b32 v[4:5], v1, off
.LBB87_5923:
	s_mov_b32 s8, 0
.LBB87_5924:
	s_delay_alu instid0(SALU_CYCLE_1)
	s_and_not1_b32 vcc_lo, exec_lo, s8
	s_cbranch_vccnz .LBB87_5926
; %bb.5925:
	s_wait_xcnt 0x0
	v_mov_b32_e32 v1, 0
	global_store_b16 v[4:5], v1, off
.LBB87_5926:
	s_mov_b32 s8, 0
.LBB87_5927:
	s_delay_alu instid0(SALU_CYCLE_1)
	s_and_not1_b32 vcc_lo, exec_lo, s8
	s_cbranch_vccnz .LBB87_5943
; %bb.5928:
	s_cmp_lt_i32 s3, 2
	s_mov_b32 s8, -1
	s_cbranch_scc1 .LBB87_5938
; %bb.5929:
	s_cmp_lt_i32 s3, 3
	s_cbranch_scc1 .LBB87_5935
; %bb.5930:
	s_cmp_gt_i32 s3, 3
	s_cbranch_scc0 .LBB87_5932
; %bb.5931:
	s_wait_xcnt 0x0
	v_mov_b64_e32 v[6:7], 0
	s_mov_b32 s8, 0
	global_store_b64 v[4:5], v[6:7], off
.LBB87_5932:
	s_and_not1_b32 vcc_lo, exec_lo, s8
	s_cbranch_vccnz .LBB87_5934
; %bb.5933:
	s_wait_xcnt 0x0
	v_mov_b32_e32 v1, 0
	global_store_b32 v[4:5], v1, off
.LBB87_5934:
	s_mov_b32 s8, 0
.LBB87_5935:
	s_delay_alu instid0(SALU_CYCLE_1)
	s_and_not1_b32 vcc_lo, exec_lo, s8
	s_cbranch_vccnz .LBB87_5937
; %bb.5936:
	s_wait_xcnt 0x0
	v_mov_b32_e32 v1, 0
	global_store_b16 v[4:5], v1, off
.LBB87_5937:
	s_mov_b32 s8, 0
.LBB87_5938:
	s_delay_alu instid0(SALU_CYCLE_1)
	s_and_not1_b32 vcc_lo, exec_lo, s8
	s_cbranch_vccnz .LBB87_5943
; %bb.5939:
	s_cmp_gt_i32 s3, 0
	s_mov_b32 s8, -1
	s_cbranch_scc0 .LBB87_5941
; %bb.5940:
	s_wait_xcnt 0x0
	v_mov_b32_e32 v1, 0
	s_mov_b32 s8, 0
	global_store_b8 v[4:5], v1, off
.LBB87_5941:
	s_and_not1_b32 vcc_lo, exec_lo, s8
	s_cbranch_vccnz .LBB87_5943
; %bb.5942:
	s_wait_xcnt 0x0
	v_mov_b32_e32 v1, 0
	global_store_b8 v[4:5], v1, off
.LBB87_5943:
	s_mov_b32 s9, -1
.LBB87_5944:
	s_delay_alu instid0(SALU_CYCLE_1)
	s_and_not1_b32 vcc_lo, exec_lo, s9
	s_cbranch_vccnz .LBB87_6080
; %bb.5945:
	v_mov_b32_e32 v3, 0
	s_cmp_lt_i32 s3, 11
	s_delay_alu instid0(VALU_DEP_1)
	v_add_nc_u64_e32 v[2:3], s[4:5], v[2:3]
	s_cbranch_scc1 .LBB87_5993
; %bb.5946:
	s_mov_b32 s11, -1
	s_mov_b32 s10, 0
	s_cmp_gt_i32 s3, 25
	s_mov_b32 s9, 0
	s_mov_b32 s8, 0
	s_cbranch_scc0 .LBB87_5971
; %bb.5947:
	s_cmp_gt_i32 s3, 28
	s_cbranch_scc0 .LBB87_5960
; %bb.5948:
	s_cmp_gt_i32 s3, 43
	;; [unrolled: 3-line block ×3, first 2 shown]
	s_cbranch_scc0 .LBB87_5952
; %bb.5950:
	s_mov_b32 s8, -1
	s_mov_b32 s11, 0
	s_cmp_eq_u32 s3, 46
	s_cbranch_scc0 .LBB87_5952
; %bb.5951:
	s_wait_xcnt 0x0
	v_mov_b32_e32 v1, 0
	s_mov_b32 s8, 0
	s_mov_b32 s9, -1
	global_store_b32 v[2:3], v1, off
.LBB87_5952:
	s_and_b32 vcc_lo, exec_lo, s11
	s_cbranch_vccz .LBB87_5955
; %bb.5953:
	s_cmp_eq_u32 s3, 44
	s_mov_b32 s8, -1
	s_cbranch_scc0 .LBB87_5955
; %bb.5954:
	s_wait_xcnt 0x0
	v_mov_b32_e32 v1, 0
	s_mov_b32 s8, 0
	s_mov_b32 s9, -1
	global_store_b8 v[2:3], v1, off
.LBB87_5955:
	s_mov_b32 s11, 0
.LBB87_5956:
	s_delay_alu instid0(SALU_CYCLE_1)
	s_and_b32 vcc_lo, exec_lo, s11
	s_cbranch_vccz .LBB87_5959
; %bb.5957:
	s_cmp_eq_u32 s3, 29
	s_mov_b32 s8, -1
	s_cbranch_scc0 .LBB87_5959
; %bb.5958:
	s_wait_xcnt 0x0
	v_mov_b64_e32 v[4:5], 0
	s_mov_b32 s8, 0
	s_mov_b32 s9, -1
	global_store_b64 v[2:3], v[4:5], off
.LBB87_5959:
	s_mov_b32 s11, 0
.LBB87_5960:
	s_delay_alu instid0(SALU_CYCLE_1)
	s_and_b32 vcc_lo, exec_lo, s11
	s_cbranch_vccz .LBB87_5970
; %bb.5961:
	s_cmp_lt_i32 s3, 27
	s_mov_b32 s9, -1
	s_cbranch_scc1 .LBB87_5967
; %bb.5962:
	s_cmp_gt_i32 s3, 27
	s_cbranch_scc0 .LBB87_5964
; %bb.5963:
	s_wait_xcnt 0x0
	v_mov_b32_e32 v1, 0
	s_mov_b32 s9, 0
	global_store_b32 v[2:3], v1, off
.LBB87_5964:
	s_and_not1_b32 vcc_lo, exec_lo, s9
	s_cbranch_vccnz .LBB87_5966
; %bb.5965:
	s_wait_xcnt 0x0
	v_mov_b32_e32 v1, 0
	global_store_b16 v[2:3], v1, off
.LBB87_5966:
	s_mov_b32 s9, 0
.LBB87_5967:
	s_delay_alu instid0(SALU_CYCLE_1)
	s_and_not1_b32 vcc_lo, exec_lo, s9
	s_cbranch_vccnz .LBB87_5969
; %bb.5968:
	s_wait_xcnt 0x0
	v_mov_b32_e32 v1, 0
	global_store_b8 v[2:3], v1, off
.LBB87_5969:
	s_mov_b32 s9, -1
.LBB87_5970:
	s_mov_b32 s11, 0
.LBB87_5971:
	s_delay_alu instid0(SALU_CYCLE_1)
	s_and_b32 vcc_lo, exec_lo, s11
	s_cbranch_vccz .LBB87_5989
; %bb.5972:
	s_cmp_gt_i32 s3, 22
	s_mov_b32 s10, -1
	s_cbranch_scc0 .LBB87_5982
; %bb.5973:
	s_cmp_lt_i32 s3, 24
	s_mov_b32 s9, -1
	s_cbranch_scc1 .LBB87_5979
; %bb.5974:
	s_cmp_gt_i32 s3, 24
	s_cbranch_scc0 .LBB87_5976
; %bb.5975:
	s_wait_xcnt 0x0
	v_mov_b32_e32 v1, 0
	s_mov_b32 s9, 0
	global_store_b8 v[2:3], v1, off
.LBB87_5976:
	s_and_not1_b32 vcc_lo, exec_lo, s9
	s_cbranch_vccnz .LBB87_5978
; %bb.5977:
	s_wait_xcnt 0x0
	v_mov_b32_e32 v1, 0
	global_store_b8 v[2:3], v1, off
.LBB87_5978:
	s_mov_b32 s9, 0
.LBB87_5979:
	s_delay_alu instid0(SALU_CYCLE_1)
	s_and_not1_b32 vcc_lo, exec_lo, s9
	s_cbranch_vccnz .LBB87_5981
; %bb.5980:
	s_wait_xcnt 0x0
	v_mov_b32_e32 v1, 0
	global_store_b8 v[2:3], v1, off
.LBB87_5981:
	s_mov_b32 s10, 0
	s_mov_b32 s9, -1
.LBB87_5982:
	s_and_not1_b32 vcc_lo, exec_lo, s10
	s_mov_b32 s10, 0
	s_cbranch_vccnz .LBB87_5989
; %bb.5983:
	s_cmp_gt_i32 s3, 14
	s_mov_b32 s10, -1
	s_cbranch_scc0 .LBB87_5987
; %bb.5984:
	s_cmp_eq_u32 s3, 15
	s_mov_b32 s8, -1
	s_cbranch_scc0 .LBB87_5986
; %bb.5985:
	s_wait_xcnt 0x0
	v_mov_b32_e32 v1, 0
	s_mov_b32 s8, 0
	s_mov_b32 s9, -1
	global_store_b16 v[2:3], v1, off
.LBB87_5986:
	s_mov_b32 s10, 0
.LBB87_5987:
	s_delay_alu instid0(SALU_CYCLE_1)
	s_and_b32 vcc_lo, exec_lo, s10
	s_mov_b32 s10, 0
	s_cbranch_vccz .LBB87_5989
; %bb.5988:
	s_cmp_lg_u32 s3, 11
	s_mov_b32 s10, -1
	s_cselect_b32 s8, -1, 0
.LBB87_5989:
	s_delay_alu instid0(SALU_CYCLE_1)
	s_and_b32 vcc_lo, exec_lo, s8
	s_cbranch_vccnz .LBB87_6091
; %bb.5990:
	s_and_not1_b32 vcc_lo, exec_lo, s10
	s_cbranch_vccnz .LBB87_5992
.LBB87_5991:
	s_wait_xcnt 0x0
	v_mov_b32_e32 v1, 0
	s_mov_b32 s9, -1
	global_store_b8 v[2:3], v1, off
.LBB87_5992:
	s_mov_b32 s8, 0
	s_branch .LBB87_5994
.LBB87_5993:
	s_mov_b32 s8, -1
	s_mov_b32 s9, 0
.LBB87_5994:
	s_and_b32 vcc_lo, exec_lo, s8
	s_cbranch_vccz .LBB87_6033
; %bb.5995:
	s_cmp_lt_i32 s3, 5
	s_mov_b32 s8, -1
	s_cbranch_scc1 .LBB87_6016
; %bb.5996:
	s_cmp_lt_i32 s3, 8
	s_cbranch_scc1 .LBB87_6006
; %bb.5997:
	s_cmp_lt_i32 s3, 9
	s_cbranch_scc1 .LBB87_6003
; %bb.5998:
	s_cmp_gt_i32 s3, 9
	s_cbranch_scc0 .LBB87_6000
; %bb.5999:
	s_wait_xcnt 0x0
	v_mov_b32_e32 v4, 0
	s_mov_b32 s8, 0
	s_delay_alu instid0(VALU_DEP_1)
	v_dual_mov_b32 v5, v4 :: v_dual_mov_b32 v6, v4
	v_mov_b32_e32 v7, v4
	global_store_b128 v[2:3], v[4:7], off
.LBB87_6000:
	s_and_not1_b32 vcc_lo, exec_lo, s8
	s_cbranch_vccnz .LBB87_6002
; %bb.6001:
	s_wait_xcnt 0x0
	v_mov_b64_e32 v[4:5], 0
	global_store_b64 v[2:3], v[4:5], off
.LBB87_6002:
	s_mov_b32 s8, 0
.LBB87_6003:
	s_delay_alu instid0(SALU_CYCLE_1)
	s_and_not1_b32 vcc_lo, exec_lo, s8
	s_cbranch_vccnz .LBB87_6005
; %bb.6004:
	s_wait_xcnt 0x0
	v_mov_b32_e32 v1, 0
	global_store_b32 v[2:3], v1, off
.LBB87_6005:
	s_mov_b32 s8, 0
.LBB87_6006:
	s_delay_alu instid0(SALU_CYCLE_1)
	s_and_not1_b32 vcc_lo, exec_lo, s8
	s_cbranch_vccnz .LBB87_6015
; %bb.6007:
	s_cmp_lt_i32 s3, 6
	s_mov_b32 s8, -1
	s_cbranch_scc1 .LBB87_6013
; %bb.6008:
	s_cmp_gt_i32 s3, 6
	s_cbranch_scc0 .LBB87_6010
; %bb.6009:
	s_wait_xcnt 0x0
	v_mov_b64_e32 v[4:5], 0
	s_mov_b32 s8, 0
	global_store_b64 v[2:3], v[4:5], off
.LBB87_6010:
	s_and_not1_b32 vcc_lo, exec_lo, s8
	s_cbranch_vccnz .LBB87_6012
; %bb.6011:
	s_wait_xcnt 0x0
	v_mov_b32_e32 v1, 0
	global_store_b32 v[2:3], v1, off
.LBB87_6012:
	s_mov_b32 s8, 0
.LBB87_6013:
	s_delay_alu instid0(SALU_CYCLE_1)
	s_and_not1_b32 vcc_lo, exec_lo, s8
	s_cbranch_vccnz .LBB87_6015
; %bb.6014:
	s_wait_xcnt 0x0
	v_mov_b32_e32 v1, 0
	global_store_b16 v[2:3], v1, off
.LBB87_6015:
	s_mov_b32 s8, 0
.LBB87_6016:
	s_delay_alu instid0(SALU_CYCLE_1)
	s_and_not1_b32 vcc_lo, exec_lo, s8
	s_cbranch_vccnz .LBB87_6032
; %bb.6017:
	s_cmp_lt_i32 s3, 2
	s_mov_b32 s8, -1
	s_cbranch_scc1 .LBB87_6027
; %bb.6018:
	s_cmp_lt_i32 s3, 3
	s_cbranch_scc1 .LBB87_6024
; %bb.6019:
	s_cmp_gt_i32 s3, 3
	s_cbranch_scc0 .LBB87_6021
; %bb.6020:
	s_wait_xcnt 0x0
	v_mov_b64_e32 v[4:5], 0
	s_mov_b32 s8, 0
	global_store_b64 v[2:3], v[4:5], off
.LBB87_6021:
	s_and_not1_b32 vcc_lo, exec_lo, s8
	s_cbranch_vccnz .LBB87_6023
; %bb.6022:
	s_wait_xcnt 0x0
	v_mov_b32_e32 v1, 0
	global_store_b32 v[2:3], v1, off
.LBB87_6023:
	s_mov_b32 s8, 0
.LBB87_6024:
	s_delay_alu instid0(SALU_CYCLE_1)
	s_and_not1_b32 vcc_lo, exec_lo, s8
	s_cbranch_vccnz .LBB87_6026
; %bb.6025:
	s_wait_xcnt 0x0
	v_mov_b32_e32 v1, 0
	global_store_b16 v[2:3], v1, off
.LBB87_6026:
	s_mov_b32 s8, 0
.LBB87_6027:
	s_delay_alu instid0(SALU_CYCLE_1)
	s_and_not1_b32 vcc_lo, exec_lo, s8
	s_cbranch_vccnz .LBB87_6032
; %bb.6028:
	s_cmp_gt_i32 s3, 0
	s_mov_b32 s8, -1
	s_cbranch_scc0 .LBB87_6030
; %bb.6029:
	s_wait_xcnt 0x0
	v_mov_b32_e32 v1, 0
	s_mov_b32 s8, 0
	global_store_b8 v[2:3], v1, off
.LBB87_6030:
	s_and_not1_b32 vcc_lo, exec_lo, s8
	s_cbranch_vccnz .LBB87_6032
; %bb.6031:
	s_wait_xcnt 0x0
	v_mov_b32_e32 v1, 0
	global_store_b8 v[2:3], v1, off
.LBB87_6032:
	s_mov_b32 s9, -1
.LBB87_6033:
	s_delay_alu instid0(SALU_CYCLE_1)
	s_and_not1_b32 vcc_lo, exec_lo, s9
	s_cbranch_vccnz .LBB87_6080
; %bb.6034:
	s_wait_xcnt 0x0
	v_mov_b32_e32 v1, 0
	s_cmp_lt_i32 s3, 11
	s_delay_alu instid0(VALU_DEP_1)
	v_add_nc_u64_e32 v[38:39], s[4:5], v[0:1]
	s_cbranch_scc1 .LBB87_6086
; %bb.6035:
	s_mov_b32 s8, -1
	s_mov_b32 s4, 0
	s_cmp_gt_i32 s3, 25
	s_mov_b32 s5, 0
	s_cbranch_scc0 .LBB87_6060
; %bb.6036:
	s_cmp_gt_i32 s3, 28
	s_cbranch_scc0 .LBB87_6050
; %bb.6037:
	s_cmp_gt_i32 s3, 43
	;; [unrolled: 3-line block ×3, first 2 shown]
	s_cbranch_scc0 .LBB87_6042
; %bb.6039:
	s_cmp_eq_u32 s3, 46
	s_mov_b32 s5, -1
	s_cbranch_scc0 .LBB87_6041
; %bb.6040:
	v_mov_b32_e32 v0, 0
	s_mov_b32 s5, 0
	global_store_b32 v[38:39], v0, off
.LBB87_6041:
	s_mov_b32 s8, 0
.LBB87_6042:
	s_delay_alu instid0(SALU_CYCLE_1)
	s_and_b32 vcc_lo, exec_lo, s8
	s_cbranch_vccz .LBB87_6045
; %bb.6043:
	s_cmp_eq_u32 s3, 44
	s_mov_b32 s5, -1
	s_cbranch_scc0 .LBB87_6045
; %bb.6044:
	s_wait_xcnt 0x0
	v_mov_b32_e32 v0, 0
	s_mov_b32 s5, 0
	global_store_b8 v[38:39], v0, off
.LBB87_6045:
	s_mov_b32 s8, 0
.LBB87_6046:
	s_delay_alu instid0(SALU_CYCLE_1)
	s_and_b32 vcc_lo, exec_lo, s8
	s_cbranch_vccz .LBB87_6049
; %bb.6047:
	s_cmp_eq_u32 s3, 29
	s_mov_b32 s5, -1
	s_cbranch_scc0 .LBB87_6049
; %bb.6048:
	s_wait_xcnt 0x0
	v_mov_b64_e32 v[0:1], 0
	s_mov_b32 s5, 0
	global_store_b64 v[38:39], v[0:1], off
.LBB87_6049:
	s_mov_b32 s8, 0
.LBB87_6050:
	s_delay_alu instid0(SALU_CYCLE_1)
	s_and_b32 vcc_lo, exec_lo, s8
	s_cbranch_vccz .LBB87_6059
; %bb.6051:
	s_cmp_lt_i32 s3, 27
	s_mov_b32 s8, -1
	s_cbranch_scc1 .LBB87_6057
; %bb.6052:
	s_cmp_gt_i32 s3, 27
	s_cbranch_scc0 .LBB87_6054
; %bb.6053:
	s_wait_xcnt 0x0
	v_mov_b32_e32 v0, 0
	s_mov_b32 s8, 0
	global_store_b32 v[38:39], v0, off
.LBB87_6054:
	s_and_not1_b32 vcc_lo, exec_lo, s8
	s_cbranch_vccnz .LBB87_6056
; %bb.6055:
	s_wait_xcnt 0x0
	v_mov_b32_e32 v0, 0
	global_store_b16 v[38:39], v0, off
.LBB87_6056:
	s_mov_b32 s8, 0
.LBB87_6057:
	s_delay_alu instid0(SALU_CYCLE_1)
	s_and_not1_b32 vcc_lo, exec_lo, s8
	s_cbranch_vccnz .LBB87_6059
; %bb.6058:
	s_wait_xcnt 0x0
	v_mov_b32_e32 v0, 0
	global_store_b8 v[38:39], v0, off
.LBB87_6059:
	s_mov_b32 s8, 0
.LBB87_6060:
	s_delay_alu instid0(SALU_CYCLE_1)
	s_and_b32 vcc_lo, exec_lo, s8
	s_cbranch_vccz .LBB87_6078
; %bb.6061:
	s_cmp_gt_i32 s3, 22
	s_mov_b32 s4, -1
	s_cbranch_scc0 .LBB87_6071
; %bb.6062:
	s_cmp_lt_i32 s3, 24
	s_cbranch_scc1 .LBB87_6068
; %bb.6063:
	s_cmp_gt_i32 s3, 24
	s_cbranch_scc0 .LBB87_6065
; %bb.6064:
	s_wait_xcnt 0x0
	v_mov_b32_e32 v0, 0
	s_mov_b32 s4, 0
	global_store_b8 v[38:39], v0, off
.LBB87_6065:
	s_and_not1_b32 vcc_lo, exec_lo, s4
	s_cbranch_vccnz .LBB87_6067
; %bb.6066:
	s_wait_xcnt 0x0
	v_mov_b32_e32 v0, 0
	global_store_b8 v[38:39], v0, off
.LBB87_6067:
	s_mov_b32 s4, 0
.LBB87_6068:
	s_delay_alu instid0(SALU_CYCLE_1)
	s_and_not1_b32 vcc_lo, exec_lo, s4
	s_cbranch_vccnz .LBB87_6070
; %bb.6069:
	s_wait_xcnt 0x0
	v_mov_b32_e32 v0, 0
	global_store_b8 v[38:39], v0, off
.LBB87_6070:
	s_mov_b32 s4, 0
.LBB87_6071:
	s_delay_alu instid0(SALU_CYCLE_1)
	s_and_not1_b32 vcc_lo, exec_lo, s4
	s_mov_b32 s4, 0
	s_cbranch_vccnz .LBB87_6078
; %bb.6072:
	s_cmp_gt_i32 s3, 14
	s_mov_b32 s4, -1
	s_cbranch_scc0 .LBB87_6076
; %bb.6073:
	s_cmp_eq_u32 s3, 15
	s_mov_b32 s5, -1
	s_cbranch_scc0 .LBB87_6075
; %bb.6074:
	s_wait_xcnt 0x0
	v_mov_b32_e32 v0, 0
	s_mov_b32 s5, 0
	global_store_b16 v[38:39], v0, off
.LBB87_6075:
	s_mov_b32 s4, 0
.LBB87_6076:
	s_delay_alu instid0(SALU_CYCLE_1)
	s_and_b32 vcc_lo, exec_lo, s4
	s_mov_b32 s4, 0
	s_cbranch_vccz .LBB87_6078
; %bb.6077:
	s_cmp_lg_u32 s3, 11
	s_mov_b32 s4, -1
	s_cselect_b32 s5, -1, 0
.LBB87_6078:
	s_delay_alu instid0(SALU_CYCLE_1)
	s_and_b32 vcc_lo, exec_lo, s5
	s_cbranch_vccnz .LBB87_6093
.LBB87_6079:
	s_mov_b32 s3, 0
	s_branch .LBB87_6081
.LBB87_6080:
	s_mov_b32 s3, 0
	s_mov_b32 s4, 0
                                        ; implicit-def: $vgpr38_vgpr39
                                        ; implicit-def: $sgpr0
.LBB87_6081:
	s_and_b32 s9, s3, exec_lo
	s_and_not1_b32 s3, s6, exec_lo
	s_and_b32 s2, s2, exec_lo
	s_and_b32 s8, s4, exec_lo
	s_or_b32 s6, s3, s2
.LBB87_6082:
	s_wait_xcnt 0x0
	s_or_b32 exec_lo, exec_lo, s7
	s_delay_alu instid0(SALU_CYCLE_1)
	s_and_not1_b32 s2, s20, exec_lo
	s_and_b32 s3, s6, exec_lo
	s_and_b32 s7, s9, exec_lo
	;; [unrolled: 1-line block ×3, first 2 shown]
	s_or_b32 s20, s2, s3
.LBB87_6083:
	s_or_b32 exec_lo, exec_lo, s27
	s_delay_alu instid0(SALU_CYCLE_1)
	s_and_not1_b32 s2, s19, exec_lo
	s_and_b32 s3, s20, exec_lo
	s_and_b32 s7, s7, exec_lo
	;; [unrolled: 1-line block ×3, first 2 shown]
	s_or_b32 s19, s2, s3
.LBB87_6084:
	s_or_b32 exec_lo, exec_lo, s26
	s_delay_alu instid0(SALU_CYCLE_1)
	s_and_not1_b32 s2, s25, exec_lo
	s_and_b32 s3, s19, exec_lo
	s_and_b32 s7, s7, exec_lo
	s_and_b32 s6, s6, exec_lo
	s_or_b32 s25, s2, s3
.LBB87_6085:
	s_or_b32 exec_lo, exec_lo, s18
	s_branch .LBB87_5748
.LBB87_6086:
	s_mov_b32 s4, 0
	s_mov_b32 s3, -1
	s_branch .LBB87_6081
.LBB87_6087:
	s_or_b32 s8, s20, exec_lo
	s_xor_b32 s7, exec_lo, -1
	s_trap 2
	s_branch .LBB87_5764
.LBB87_6088:
	s_or_b32 s2, s6, exec_lo
	s_trap 2
	s_cbranch_execz .LBB87_5812
	s_branch .LBB87_5813
.LBB87_6089:
	s_or_b32 s2, s2, exec_lo
	s_trap 2
	s_cbranch_execz .LBB87_5902
	s_branch .LBB87_5903
.LBB87_6090:
	s_or_b32 s25, s25, exec_lo
	s_trap 2
                                        ; implicit-def: $vgpr16
                                        ; implicit-def: $vgpr12
                                        ; implicit-def: $vgpr10
                                        ; implicit-def: $vgpr14
                                        ; implicit-def: $vgpr5
                                        ; implicit-def: $vgpr6
                                        ; implicit-def: $vgpr4
                                        ; implicit-def: $vgpr2
                                        ; implicit-def: $vgpr0
                                        ; implicit-def: $vgpr1
                                        ; implicit-def: $vgpr3
	s_branch .LBB87_5740
.LBB87_6091:
	s_or_b32 s2, s2, exec_lo
	s_trap 2
	s_cbranch_execz .LBB87_5991
	s_branch .LBB87_5992
.LBB87_6092:
	s_or_b32 s19, s25, exec_lo
	s_trap 2
                                        ; implicit-def: $vgpr12
                                        ; implicit-def: $vgpr10
                                        ; implicit-def: $vgpr14
                                        ; implicit-def: $vgpr5
                                        ; implicit-def: $vgpr6
                                        ; implicit-def: $vgpr4
                                        ; implicit-def: $vgpr2
                                        ; implicit-def: $vgpr0
                                        ; implicit-def: $vgpr1
	s_or_saveexec_b32 s26, s0
                                        ; implicit-def: $vgpr38_vgpr39
                                        ; implicit-def: $sgpr0
	s_delay_alu instid0(SALU_CYCLE_1)
	s_xor_b32 exec_lo, exec_lo, s26
	s_cbranch_execz .LBB87_6084
	s_branch .LBB87_5743
.LBB87_6093:
	s_mov_b32 s4, 0
	s_or_b32 s2, s2, exec_lo
	s_trap 2
	s_branch .LBB87_6079
.LBB87_6094:
	s_or_b32 s20, s19, exec_lo
	s_trap 2
                                        ; implicit-def: $vgpr10
                                        ; implicit-def: $vgpr12
                                        ; implicit-def: $vgpr5
                                        ; implicit-def: $vgpr0
                                        ; implicit-def: $vgpr6
                                        ; implicit-def: $vgpr4
                                        ; implicit-def: $vgpr14
                                        ; implicit-def: $vgpr2
	s_or_saveexec_b32 s27, s0
	s_mov_b32 s6, 0
                                        ; implicit-def: $vgpr38_vgpr39
                                        ; implicit-def: $sgpr0
	s_xor_b32 exec_lo, exec_lo, s27
	s_cbranch_execz .LBB87_6083
	s_branch .LBB87_5745
	.section	.rodata,"a",@progbits
	.p2align	6, 0x0
	.amdhsa_kernel _ZN2at6native32elementwise_kernel_manual_unrollILi128ELi4EZNS0_15gpu_kernel_implIZZZNS0_12_GLOBAL__N_142_validate_compressed_sparse_indices_kernelILNS3_8CDimNameE1ENS3_18CUDAKernelLauncherENS3_14EmptyVecKernelENS3_8DummyVecELm8EEEvRKNS_6TensorESB_lllENKUlvE1_clEvENKUlvE_clEvEUliiiiiE_EEvRNS_18TensorIteratorBaseERKT_EUlibE0_EEviT1_
		.amdhsa_group_segment_fixed_size 0
		.amdhsa_private_segment_fixed_size 0
		.amdhsa_kernarg_size 816
		.amdhsa_user_sgpr_count 2
		.amdhsa_user_sgpr_dispatch_ptr 0
		.amdhsa_user_sgpr_queue_ptr 0
		.amdhsa_user_sgpr_kernarg_segment_ptr 1
		.amdhsa_user_sgpr_dispatch_id 0
		.amdhsa_user_sgpr_kernarg_preload_length 0
		.amdhsa_user_sgpr_kernarg_preload_offset 0
		.amdhsa_user_sgpr_private_segment_size 0
		.amdhsa_wavefront_size32 1
		.amdhsa_uses_dynamic_stack 0
		.amdhsa_enable_private_segment 0
		.amdhsa_system_sgpr_workgroup_id_x 1
		.amdhsa_system_sgpr_workgroup_id_y 0
		.amdhsa_system_sgpr_workgroup_id_z 0
		.amdhsa_system_sgpr_workgroup_info 0
		.amdhsa_system_vgpr_workitem_id 0
		.amdhsa_next_free_vgpr 62
		.amdhsa_next_free_sgpr 105
		.amdhsa_named_barrier_count 0
		.amdhsa_reserve_vcc 1
		.amdhsa_float_round_mode_32 0
		.amdhsa_float_round_mode_16_64 0
		.amdhsa_float_denorm_mode_32 3
		.amdhsa_float_denorm_mode_16_64 3
		.amdhsa_fp16_overflow 0
		.amdhsa_memory_ordered 1
		.amdhsa_forward_progress 1
		.amdhsa_inst_pref_size 255
		.amdhsa_round_robin_scheduling 0
		.amdhsa_exception_fp_ieee_invalid_op 0
		.amdhsa_exception_fp_denorm_src 0
		.amdhsa_exception_fp_ieee_div_zero 0
		.amdhsa_exception_fp_ieee_overflow 0
		.amdhsa_exception_fp_ieee_underflow 0
		.amdhsa_exception_fp_ieee_inexact 0
		.amdhsa_exception_int_div_zero 0
	.end_amdhsa_kernel
	.section	.text._ZN2at6native32elementwise_kernel_manual_unrollILi128ELi4EZNS0_15gpu_kernel_implIZZZNS0_12_GLOBAL__N_142_validate_compressed_sparse_indices_kernelILNS3_8CDimNameE1ENS3_18CUDAKernelLauncherENS3_14EmptyVecKernelENS3_8DummyVecELm8EEEvRKNS_6TensorESB_lllENKUlvE1_clEvENKUlvE_clEvEUliiiiiE_EEvRNS_18TensorIteratorBaseERKT_EUlibE0_EEviT1_,"axG",@progbits,_ZN2at6native32elementwise_kernel_manual_unrollILi128ELi4EZNS0_15gpu_kernel_implIZZZNS0_12_GLOBAL__N_142_validate_compressed_sparse_indices_kernelILNS3_8CDimNameE1ENS3_18CUDAKernelLauncherENS3_14EmptyVecKernelENS3_8DummyVecELm8EEEvRKNS_6TensorESB_lllENKUlvE1_clEvENKUlvE_clEvEUliiiiiE_EEvRNS_18TensorIteratorBaseERKT_EUlibE0_EEviT1_,comdat
.Lfunc_end87:
	.size	_ZN2at6native32elementwise_kernel_manual_unrollILi128ELi4EZNS0_15gpu_kernel_implIZZZNS0_12_GLOBAL__N_142_validate_compressed_sparse_indices_kernelILNS3_8CDimNameE1ENS3_18CUDAKernelLauncherENS3_14EmptyVecKernelENS3_8DummyVecELm8EEEvRKNS_6TensorESB_lllENKUlvE1_clEvENKUlvE_clEvEUliiiiiE_EEvRNS_18TensorIteratorBaseERKT_EUlibE0_EEviT1_, .Lfunc_end87-_ZN2at6native32elementwise_kernel_manual_unrollILi128ELi4EZNS0_15gpu_kernel_implIZZZNS0_12_GLOBAL__N_142_validate_compressed_sparse_indices_kernelILNS3_8CDimNameE1ENS3_18CUDAKernelLauncherENS3_14EmptyVecKernelENS3_8DummyVecELm8EEEvRKNS_6TensorESB_lllENKUlvE1_clEvENKUlvE_clEvEUliiiiiE_EEvRNS_18TensorIteratorBaseERKT_EUlibE0_EEviT1_
                                        ; -- End function
	.set _ZN2at6native32elementwise_kernel_manual_unrollILi128ELi4EZNS0_15gpu_kernel_implIZZZNS0_12_GLOBAL__N_142_validate_compressed_sparse_indices_kernelILNS3_8CDimNameE1ENS3_18CUDAKernelLauncherENS3_14EmptyVecKernelENS3_8DummyVecELm8EEEvRKNS_6TensorESB_lllENKUlvE1_clEvENKUlvE_clEvEUliiiiiE_EEvRNS_18TensorIteratorBaseERKT_EUlibE0_EEviT1_.num_vgpr, 62
	.set _ZN2at6native32elementwise_kernel_manual_unrollILi128ELi4EZNS0_15gpu_kernel_implIZZZNS0_12_GLOBAL__N_142_validate_compressed_sparse_indices_kernelILNS3_8CDimNameE1ENS3_18CUDAKernelLauncherENS3_14EmptyVecKernelENS3_8DummyVecELm8EEEvRKNS_6TensorESB_lllENKUlvE1_clEvENKUlvE_clEvEUliiiiiE_EEvRNS_18TensorIteratorBaseERKT_EUlibE0_EEviT1_.num_agpr, 0
	.set _ZN2at6native32elementwise_kernel_manual_unrollILi128ELi4EZNS0_15gpu_kernel_implIZZZNS0_12_GLOBAL__N_142_validate_compressed_sparse_indices_kernelILNS3_8CDimNameE1ENS3_18CUDAKernelLauncherENS3_14EmptyVecKernelENS3_8DummyVecELm8EEEvRKNS_6TensorESB_lllENKUlvE1_clEvENKUlvE_clEvEUliiiiiE_EEvRNS_18TensorIteratorBaseERKT_EUlibE0_EEviT1_.numbered_sgpr, 105
	.set _ZN2at6native32elementwise_kernel_manual_unrollILi128ELi4EZNS0_15gpu_kernel_implIZZZNS0_12_GLOBAL__N_142_validate_compressed_sparse_indices_kernelILNS3_8CDimNameE1ENS3_18CUDAKernelLauncherENS3_14EmptyVecKernelENS3_8DummyVecELm8EEEvRKNS_6TensorESB_lllENKUlvE1_clEvENKUlvE_clEvEUliiiiiE_EEvRNS_18TensorIteratorBaseERKT_EUlibE0_EEviT1_.num_named_barrier, 0
	.set _ZN2at6native32elementwise_kernel_manual_unrollILi128ELi4EZNS0_15gpu_kernel_implIZZZNS0_12_GLOBAL__N_142_validate_compressed_sparse_indices_kernelILNS3_8CDimNameE1ENS3_18CUDAKernelLauncherENS3_14EmptyVecKernelENS3_8DummyVecELm8EEEvRKNS_6TensorESB_lllENKUlvE1_clEvENKUlvE_clEvEUliiiiiE_EEvRNS_18TensorIteratorBaseERKT_EUlibE0_EEviT1_.private_seg_size, 0
	.set _ZN2at6native32elementwise_kernel_manual_unrollILi128ELi4EZNS0_15gpu_kernel_implIZZZNS0_12_GLOBAL__N_142_validate_compressed_sparse_indices_kernelILNS3_8CDimNameE1ENS3_18CUDAKernelLauncherENS3_14EmptyVecKernelENS3_8DummyVecELm8EEEvRKNS_6TensorESB_lllENKUlvE1_clEvENKUlvE_clEvEUliiiiiE_EEvRNS_18TensorIteratorBaseERKT_EUlibE0_EEviT1_.uses_vcc, 1
	.set _ZN2at6native32elementwise_kernel_manual_unrollILi128ELi4EZNS0_15gpu_kernel_implIZZZNS0_12_GLOBAL__N_142_validate_compressed_sparse_indices_kernelILNS3_8CDimNameE1ENS3_18CUDAKernelLauncherENS3_14EmptyVecKernelENS3_8DummyVecELm8EEEvRKNS_6TensorESB_lllENKUlvE1_clEvENKUlvE_clEvEUliiiiiE_EEvRNS_18TensorIteratorBaseERKT_EUlibE0_EEviT1_.uses_flat_scratch, 0
	.set _ZN2at6native32elementwise_kernel_manual_unrollILi128ELi4EZNS0_15gpu_kernel_implIZZZNS0_12_GLOBAL__N_142_validate_compressed_sparse_indices_kernelILNS3_8CDimNameE1ENS3_18CUDAKernelLauncherENS3_14EmptyVecKernelENS3_8DummyVecELm8EEEvRKNS_6TensorESB_lllENKUlvE1_clEvENKUlvE_clEvEUliiiiiE_EEvRNS_18TensorIteratorBaseERKT_EUlibE0_EEviT1_.has_dyn_sized_stack, 0
	.set _ZN2at6native32elementwise_kernel_manual_unrollILi128ELi4EZNS0_15gpu_kernel_implIZZZNS0_12_GLOBAL__N_142_validate_compressed_sparse_indices_kernelILNS3_8CDimNameE1ENS3_18CUDAKernelLauncherENS3_14EmptyVecKernelENS3_8DummyVecELm8EEEvRKNS_6TensorESB_lllENKUlvE1_clEvENKUlvE_clEvEUliiiiiE_EEvRNS_18TensorIteratorBaseERKT_EUlibE0_EEviT1_.has_recursion, 0
	.set _ZN2at6native32elementwise_kernel_manual_unrollILi128ELi4EZNS0_15gpu_kernel_implIZZZNS0_12_GLOBAL__N_142_validate_compressed_sparse_indices_kernelILNS3_8CDimNameE1ENS3_18CUDAKernelLauncherENS3_14EmptyVecKernelENS3_8DummyVecELm8EEEvRKNS_6TensorESB_lllENKUlvE1_clEvENKUlvE_clEvEUliiiiiE_EEvRNS_18TensorIteratorBaseERKT_EUlibE0_EEviT1_.has_indirect_call, 0
	.section	.AMDGPU.csdata,"",@progbits
; Kernel info:
; codeLenInByte = 114332
; TotalNumSgprs: 107
; NumVgprs: 62
; ScratchSize: 0
; MemoryBound: 1
; FloatMode: 240
; IeeeMode: 1
; LDSByteSize: 0 bytes/workgroup (compile time only)
; SGPRBlocks: 0
; VGPRBlocks: 3
; NumSGPRsForWavesPerEU: 107
; NumVGPRsForWavesPerEU: 62
; NamedBarCnt: 0
; Occupancy: 16
; WaveLimiterHint : 1
; COMPUTE_PGM_RSRC2:SCRATCH_EN: 0
; COMPUTE_PGM_RSRC2:USER_SGPR: 2
; COMPUTE_PGM_RSRC2:TRAP_HANDLER: 0
; COMPUTE_PGM_RSRC2:TGID_X_EN: 1
; COMPUTE_PGM_RSRC2:TGID_Y_EN: 0
; COMPUTE_PGM_RSRC2:TGID_Z_EN: 0
; COMPUTE_PGM_RSRC2:TIDIG_COMP_CNT: 0
	.section	.text._ZN2at6native29vectorized_elementwise_kernelILi16EZZZNS0_12_GLOBAL__N_142_validate_compressed_sparse_indices_kernelILNS2_8CDimNameE1ENS2_18CUDAKernelLauncherENS2_14EmptyVecKernelENS2_8DummyVecELm8EEEvRKNS_6TensorESA_lllENKUlvE1_clEvENKUlvE0_clEvEUllllllE_St5arrayIPcLm6EEEEviT0_T1_,"axG",@progbits,_ZN2at6native29vectorized_elementwise_kernelILi16EZZZNS0_12_GLOBAL__N_142_validate_compressed_sparse_indices_kernelILNS2_8CDimNameE1ENS2_18CUDAKernelLauncherENS2_14EmptyVecKernelENS2_8DummyVecELm8EEEvRKNS_6TensorESA_lllENKUlvE1_clEvENKUlvE0_clEvEUllllllE_St5arrayIPcLm6EEEEviT0_T1_,comdat
	.globl	_ZN2at6native29vectorized_elementwise_kernelILi16EZZZNS0_12_GLOBAL__N_142_validate_compressed_sparse_indices_kernelILNS2_8CDimNameE1ENS2_18CUDAKernelLauncherENS2_14EmptyVecKernelENS2_8DummyVecELm8EEEvRKNS_6TensorESA_lllENKUlvE1_clEvENKUlvE0_clEvEUllllllE_St5arrayIPcLm6EEEEviT0_T1_ ; -- Begin function _ZN2at6native29vectorized_elementwise_kernelILi16EZZZNS0_12_GLOBAL__N_142_validate_compressed_sparse_indices_kernelILNS2_8CDimNameE1ENS2_18CUDAKernelLauncherENS2_14EmptyVecKernelENS2_8DummyVecELm8EEEvRKNS_6TensorESA_lllENKUlvE1_clEvENKUlvE0_clEvEUllllllE_St5arrayIPcLm6EEEEviT0_T1_
	.p2align	8
	.type	_ZN2at6native29vectorized_elementwise_kernelILi16EZZZNS0_12_GLOBAL__N_142_validate_compressed_sparse_indices_kernelILNS2_8CDimNameE1ENS2_18CUDAKernelLauncherENS2_14EmptyVecKernelENS2_8DummyVecELm8EEEvRKNS_6TensorESA_lllENKUlvE1_clEvENKUlvE0_clEvEUllllllE_St5arrayIPcLm6EEEEviT0_T1_,@function
_ZN2at6native29vectorized_elementwise_kernelILi16EZZZNS0_12_GLOBAL__N_142_validate_compressed_sparse_indices_kernelILNS2_8CDimNameE1ENS2_18CUDAKernelLauncherENS2_14EmptyVecKernelENS2_8DummyVecELm8EEEvRKNS_6TensorESA_lllENKUlvE1_clEvENKUlvE0_clEvEUllllllE_St5arrayIPcLm6EEEEviT0_T1_: ; @_ZN2at6native29vectorized_elementwise_kernelILi16EZZZNS0_12_GLOBAL__N_142_validate_compressed_sparse_indices_kernelILNS2_8CDimNameE1ENS2_18CUDAKernelLauncherENS2_14EmptyVecKernelENS2_8DummyVecELm8EEEvRKNS_6TensorESA_lllENKUlvE1_clEvENKUlvE0_clEvEUllllllE_St5arrayIPcLm6EEEEviT0_T1_
; %bb.0:
	s_clause 0x2
	s_load_b32 s2, s[0:1], 0x0
	s_load_b128 s[12:15], s[0:1], 0xd0
	s_load_b256 s[4:11], s[0:1], 0xb0
	s_bfe_u32 s3, ttmp6, 0x4000c
	s_and_b32 s16, ttmp6, 15
	s_add_co_i32 s3, s3, 1
	s_getreg_b32 s17, hwreg(HW_REG_IB_STS2, 6, 4)
	s_mul_i32 s3, ttmp9, s3
	s_or_b64 s[18:19], s[0:1], 8
	s_add_co_i32 s16, s16, s3
	s_cmp_eq_u32 s17, 0
	s_mov_b32 s40, 0
	s_wait_xcnt 0x0
	s_cselect_b32 s0, ttmp9, s16
	s_mov_b32 s17, 0
	s_lshl_b32 s16, s0, 10
	s_mov_b32 s0, -1
	s_get_pc_i64 s[20:21]
	s_add_nc_u64 s[20:21], s[20:21], .str.6@rel64+4
	s_wait_kmcnt 0x0
	s_sub_co_i32 s33, s2, s16
	s_delay_alu instid0(SALU_CYCLE_1)
	s_cmp_gt_i32 s33, 0x3ff
	s_cbranch_scc0 .LBB88_75
; %bb.1:
	s_ashr_i32 s17, s16, 31
	v_lshlrev_b32_e32 v1, 5, v0
	s_lshl_b64 s[22:23], s[16:17], 3
	s_cmp_lg_u64 s[20:21], 0
	s_add_nc_u64 s[0:1], s[6:7], s[22:23]
	s_mov_b32 s29, -1
	s_clause 0x1
	global_load_b128 v[38:41], v1, s[0:1]
	global_load_b128 v[42:45], v1, s[0:1] offset:16
	s_wait_xcnt 0x0
	s_load_b128 s[0:3], s[18:19], 0x0
	s_mov_b32 s17, 0
	s_mov_b32 s28, 0
	;; [unrolled: 1-line block ×4, first 2 shown]
                                        ; implicit-def: $sgpr42
                                        ; implicit-def: $sgpr26
                                        ; implicit-def: $sgpr41
                                        ; implicit-def: $sgpr24_sgpr25
                                        ; implicit-def: $vgpr18_vgpr19_vgpr20_vgpr21_vgpr22_vgpr23_vgpr24_vgpr25
                                        ; implicit-def: $vgpr2_vgpr3_vgpr4_vgpr5_vgpr6_vgpr7_vgpr8_vgpr9
                                        ; implicit-def: $vgpr10_vgpr11_vgpr12_vgpr13_vgpr14_vgpr15_vgpr16_vgpr17
                                        ; implicit-def: $vgpr34_vgpr35
                                        ; implicit-def: $vgpr26_vgpr27_vgpr28_vgpr29_vgpr30_vgpr31_vgpr32_vgpr33
	s_wait_loadcnt 0x1
	s_wait_kmcnt 0x0
	v_cmp_eq_u64_e32 vcc_lo, s[0:1], v[38:39]
	s_cselect_b32 s1, -1, 0
	s_mov_b32 s0, 0
	s_and_b32 s30, s1, vcc_lo
                                        ; implicit-def: $sgpr1
	s_delay_alu instid0(SALU_CYCLE_1)
	s_and_saveexec_b32 s43, s30
	s_cbranch_execz .LBB88_64
; %bb.2:
	s_add_nc_u64 s[0:1], s[8:9], s[22:23]
	s_get_pc_i64 s[24:25]
	s_add_nc_u64 s[24:25], s[24:25], .str.7@rel64+4
	s_clause 0x1
	global_load_b128 v[34:37], v1, s[0:1]
	global_load_b128 v[30:33], v1, s[0:1] offset:16
	s_wait_xcnt 0x0
	s_load_b64 s[0:1], s[18:19], 0x10
	s_cmp_lg_u64 s[24:25], 0
	s_mov_b32 s29, 0
	s_mov_b32 s30, 0
                                        ; implicit-def: $sgpr31
                                        ; implicit-def: $sgpr42
                                        ; implicit-def: $sgpr26
                                        ; implicit-def: $sgpr41
                                        ; implicit-def: $sgpr24_sgpr25
                                        ; implicit-def: $vgpr18_vgpr19_vgpr20_vgpr21_vgpr22_vgpr23_vgpr24_vgpr25
                                        ; implicit-def: $vgpr2_vgpr3_vgpr4_vgpr5_vgpr6_vgpr7_vgpr8_vgpr9
                                        ; implicit-def: $vgpr10_vgpr11_vgpr12_vgpr13_vgpr14_vgpr15_vgpr16_vgpr17
	s_wait_loadcnt 0x1
	s_wait_kmcnt 0x0
	v_cmp_eq_u64_e32 vcc_lo, s[0:1], v[34:35]
	s_cselect_b32 s1, -1, 0
	s_mov_b32 s0, -1
	s_and_b32 s1, s1, vcc_lo
	s_delay_alu instid0(SALU_CYCLE_1)
	s_and_saveexec_b32 s44, s1
	s_cbranch_execz .LBB88_63
; %bb.3:
	s_add_nc_u64 s[0:1], s[12:13], s[22:23]
	s_add_nc_u64 s[24:25], s[10:11], s[22:23]
	s_clause 0x3
	global_load_b128 v[2:5], v1, s[0:1]
	global_load_b128 v[10:13], v1, s[24:25]
	global_load_b128 v[14:17], v1, s[24:25] offset:16
	global_load_b128 v[6:9], v1, s[0:1] offset:16
	s_wait_xcnt 0x1
	s_get_pc_i64 s[24:25]
	s_add_nc_u64 s[24:25], s[24:25], .str.8@rel64+4
	s_wait_xcnt 0x0
	s_mov_b32 s1, -1
	s_cmp_lg_u64 s[24:25], 0
	s_mov_b32 s34, 0
	s_cselect_b32 s24, -1, 0
                                        ; implicit-def: $sgpr30
                                        ; implicit-def: $sgpr42
                                        ; implicit-def: $sgpr26
                                        ; implicit-def: $sgpr41
	s_wait_loadcnt 0x2
	v_sub_nc_u64_e32 v[18:19], v[2:3], v[10:11]
	s_delay_alu instid0(VALU_DEP_1) | instskip(SKIP_2) | instid1(SALU_CYCLE_1)
	v_cmp_le_i64_e32 vcc_lo, v[38:39], v[18:19]
	v_cmp_ge_i64_e64 s0, s[2:3], v[18:19]
                                        ; implicit-def: $vgpr18_vgpr19_vgpr20_vgpr21_vgpr22_vgpr23_vgpr24_vgpr25
	s_and_b32 s0, vcc_lo, s0
	s_and_b32 s0, s24, s0
                                        ; implicit-def: $sgpr24_sgpr25
	s_delay_alu instid0(SALU_CYCLE_1)
	s_and_saveexec_b32 s45, s0
	s_cbranch_execz .LBB88_62
; %bb.4:
	s_add_nc_u64 s[0:1], s[14:15], s[22:23]
	v_cmp_lt_i64_e32 vcc_lo, 0, v[34:35]
	s_clause 0x1
	global_load_b128 v[22:25], v1, s[0:1] offset:16
	global_load_b128 v[18:21], v1, s[0:1]
	s_clause 0x1
	s_load_b32 s41, s[18:19], 0x18
	s_load_b64 s[24:25], s[18:19], 0xa0
	v_mov_b64_e32 v[26:27], 0
	s_wait_kmcnt 0x0
	s_add_co_i32 s26, s41, -1
	s_delay_alu instid0(SALU_CYCLE_1) | instskip(SKIP_1) | instid1(SALU_CYCLE_1)
	s_cmp_gt_i32 s26, -1
	s_cselect_b32 s0, -1, 0
	s_and_b32 s46, vcc_lo, s0
	s_delay_alu instid0(SALU_CYCLE_1)
	s_and_saveexec_b32 s42, s46
	s_cbranch_execz .LBB88_11
; %bb.5:
	s_wait_loadcnt 0x0
	v_mul_u64_e32 v[28:29], v[18:19], v[34:35]
	s_ashr_i32 s27, s26, 31
	v_mov_b64_e32 v[26:27], 0
	s_lshl_b64 s[0:1], s[26:27], 3
	v_mov_b32_e32 v18, 0
	s_add_nc_u64 s[0:1], s[18:19], s[0:1]
	s_mov_b64 s[28:29], 0xffffffff
	s_add_nc_u64 s[30:31], s[0:1], 32
	s_mov_b32 s1, 0
	s_mov_b32 s27, s41
	s_branch .LBB88_7
.LBB88_6:                               ;   in Loop: Header=BB88_7 Depth=1
	s_or_b32 exec_lo, exec_lo, s0
	s_delay_alu instid0(VALU_DEP_1)
	v_mul_u64_e32 v[48:49], s[34:35], v[46:47]
	s_load_b64 s[34:35], s[30:31], 0x40
	s_add_co_i32 s27, s27, -1
	s_wait_xcnt 0x0
	s_add_nc_u64 s[30:31], s[30:31], -8
	s_cmp_eq_u32 s27, 0
	s_delay_alu instid0(VALU_DEP_1) | instskip(SKIP_1) | instid1(VALU_DEP_1)
	v_sub_nc_u64_e32 v[28:29], v[28:29], v[48:49]
	s_wait_kmcnt 0x0
	v_mad_nc_u64_u32 v[26:27], v28, s34, v[26:27]
	s_delay_alu instid0(VALU_DEP_1) | instskip(NEXT) | instid1(VALU_DEP_1)
	v_mad_u32 v19, v29, s34, v27
	v_mad_u32 v27, v28, s35, v19
	v_mov_b64_e32 v[28:29], v[46:47]
	s_cbranch_scc1 .LBB88_11
.LBB88_7:                               ; =>This Inner Loop Header: Depth=1
	s_load_b64 s[34:35], s[30:31], 0x0
                                        ; implicit-def: $vgpr46_vgpr47
	s_mov_b32 s0, exec_lo
	s_wait_kmcnt 0x0
	s_delay_alu instid0(VALU_DEP_1) | instskip(NEXT) | instid1(VALU_DEP_1)
	v_or_b32_e32 v19, s35, v29
	v_cmpx_ne_u64_e32 0, v[18:19]
	s_xor_b32 s47, exec_lo, s0
	s_cbranch_execz .LBB88_9
; %bb.8:                                ;   in Loop: Header=BB88_7 Depth=1
	s_ashr_i32 s36, s35, 31
	v_dual_mov_b32 v51, v18 :: v_dual_ashrrev_i32 v46, 31, v29
	s_mov_b32 s37, s36
	v_mov_b32_e32 v59, v18
	s_add_nc_u64 s[38:39], s[34:35], s[36:37]
	s_delay_alu instid0(VALU_DEP_2) | instskip(SKIP_1) | instid1(SALU_CYCLE_1)
	v_mov_b32_e32 v47, v46
	s_xor_b64 s[38:39], s[38:39], s[36:37]
	s_cvt_f32_u32 s0, s38
	s_cvt_f32_u32 s37, s39
	s_sub_nc_u64 s[50:51], 0, s[38:39]
	v_add_nc_u64_e32 v[48:49], v[28:29], v[46:47]
	v_mov_b32_e32 v55, v18
	s_fmamk_f32 s0, s37, 0x4f800000, s0
	s_delay_alu instid0(SALU_CYCLE_3) | instskip(NEXT) | instid1(VALU_DEP_2)
	v_s_rcp_f32 s0, s0
	v_xor_b32_e32 v50, v48, v46
	s_delay_alu instid0(VALU_DEP_3) | instskip(NEXT) | instid1(TRANS32_DEP_1)
	v_xor_b32_e32 v54, v49, v46
	s_mul_f32 s0, s0, 0x5f7ffffc
	s_delay_alu instid0(SALU_CYCLE_3) | instskip(NEXT) | instid1(SALU_CYCLE_3)
	s_mul_f32 s37, s0, 0x2f800000
	s_trunc_f32 s37, s37
	s_delay_alu instid0(SALU_CYCLE_3) | instskip(SKIP_1) | instid1(SALU_CYCLE_2)
	s_fmamk_f32 s0, s37, 0xcf800000, s0
	s_cvt_u32_f32 s49, s37
	s_cvt_u32_f32 s48, s0
	s_delay_alu instid0(SALU_CYCLE_3) | instskip(NEXT) | instid1(SALU_CYCLE_1)
	s_mul_u64 s[52:53], s[50:51], s[48:49]
	s_mul_hi_u32 s55, s48, s53
	s_mul_i32 s54, s48, s53
	s_mul_hi_u32 s0, s48, s52
	s_mul_i32 s56, s49, s52
	s_add_nc_u64 s[54:55], s[0:1], s[54:55]
	s_mul_hi_u32 s37, s49, s52
	s_mul_hi_u32 s57, s49, s53
	s_add_co_u32 s0, s54, s56
	s_add_co_ci_u32 s0, s55, s37
	s_mul_i32 s52, s49, s53
	s_add_co_ci_u32 s53, s57, 0
	s_delay_alu instid0(SALU_CYCLE_1) | instskip(NEXT) | instid1(SALU_CYCLE_1)
	s_add_nc_u64 s[52:53], s[0:1], s[52:53]
	s_add_co_u32 s48, s48, s52
	s_cselect_b32 s0, -1, 0
	s_delay_alu instid0(SALU_CYCLE_1) | instskip(SKIP_1) | instid1(SALU_CYCLE_1)
	s_cmp_lg_u32 s0, 0
	s_add_co_ci_u32 s49, s49, s53
	s_mul_u64 s[50:51], s[50:51], s[48:49]
	s_delay_alu instid0(SALU_CYCLE_1)
	s_mul_hi_u32 s53, s48, s51
	s_mul_i32 s52, s48, s51
	s_mul_hi_u32 s0, s48, s50
	s_mul_i32 s54, s49, s50
	s_add_nc_u64 s[52:53], s[0:1], s[52:53]
	s_mul_hi_u32 s37, s49, s50
	s_mul_hi_u32 s55, s49, s51
	s_add_co_u32 s0, s52, s54
	s_add_co_ci_u32 s0, s53, s37
	s_mul_i32 s50, s49, s51
	s_add_co_ci_u32 s51, s55, 0
	s_delay_alu instid0(SALU_CYCLE_1) | instskip(NEXT) | instid1(SALU_CYCLE_1)
	s_add_nc_u64 s[50:51], s[0:1], s[50:51]
	s_add_co_u32 s48, s48, s50
	s_cselect_b32 s0, -1, 0
	v_mul_hi_u32 v58, v50, s48
	s_cmp_lg_u32 s0, 0
	s_add_co_ci_u32 s0, s49, s51
	s_and_b64 s[50:51], s[48:49], s[28:29]
	v_mul_u64_e32 v[52:53], s[0:1], v[50:51]
	v_mul_u64_e32 v[48:49], s[50:51], v[54:55]
	;; [unrolled: 1-line block ×3, first 2 shown]
	s_delay_alu instid0(VALU_DEP_3) | instskip(NEXT) | instid1(VALU_DEP_1)
	v_add_nc_u64_e32 v[52:53], v[58:59], v[52:53]
	v_add_co_u32 v19, vcc_lo, v52, v48
	s_delay_alu instid0(VALU_DEP_2) | instskip(NEXT) | instid1(VALU_DEP_4)
	v_add_co_ci_u32_e32 v58, vcc_lo, v53, v49, vcc_lo
	v_add_co_ci_u32_e32 v57, vcc_lo, 0, v57, vcc_lo
	s_delay_alu instid0(VALU_DEP_1) | instskip(NEXT) | instid1(VALU_DEP_1)
	v_add_nc_u64_e32 v[48:49], v[58:59], v[56:57]
	v_mul_u64_e32 v[52:53], s[38:39], v[48:49]
	s_delay_alu instid0(VALU_DEP_1) | instskip(NEXT) | instid1(VALU_DEP_2)
	v_sub_nc_u32_e32 v19, v54, v53
	v_sub_co_u32 v47, vcc_lo, v50, v52
	s_delay_alu instid0(VALU_DEP_1) | instskip(NEXT) | instid1(VALU_DEP_3)
	v_sub_co_ci_u32_e64 v54, null, v54, v53, vcc_lo
	v_subrev_co_ci_u32_e64 v19, null, s39, v19, vcc_lo
	s_delay_alu instid0(VALU_DEP_3) | instskip(SKIP_1) | instid1(VALU_DEP_3)
	v_sub_co_u32 v50, s0, v47, s38
	v_add_nc_u64_e32 v[52:53], 1, v[48:49]
	v_subrev_co_ci_u32_e64 v19, null, 0, v19, s0
	s_delay_alu instid0(VALU_DEP_3) | instskip(SKIP_1) | instid1(VALU_DEP_3)
	v_cmp_le_u32_e32 vcc_lo, s38, v50
	v_cndmask_b32_e64 v50, 0, -1, vcc_lo
	v_cmp_le_u32_e32 vcc_lo, s39, v19
	v_cndmask_b32_e64 v51, 0, -1, vcc_lo
	;; [unrolled: 2-line block ×4, first 2 shown]
	v_cmp_eq_u32_e32 vcc_lo, s39, v19
	v_cndmask_b32_e32 v19, v51, v50, vcc_lo
	v_cmp_eq_u32_e32 vcc_lo, s39, v54
	v_add_nc_u64_e32 v[50:51], 2, v[48:49]
	v_cndmask_b32_e32 v47, v55, v47, vcc_lo
	s_delay_alu instid0(VALU_DEP_4) | instskip(NEXT) | instid1(VALU_DEP_2)
	v_cmp_ne_u32_e32 vcc_lo, 0, v19
	v_cmp_ne_u32_e64 s0, 0, v47
	s_delay_alu instid0(VALU_DEP_4) | instskip(NEXT) | instid1(VALU_DEP_1)
	v_dual_cndmask_b32 v19, v53, v51, vcc_lo :: v_dual_cndmask_b32 v47, v52, v50, vcc_lo
	v_dual_cndmask_b32 v19, v49, v19, s0 :: v_dual_bitop2_b32 v46, s36, v46 bitop3:0x14
	s_delay_alu instid0(VALU_DEP_1) | instskip(NEXT) | instid1(VALU_DEP_2)
	v_dual_cndmask_b32 v48, v48, v47, s0 :: v_dual_mov_b32 v47, v46
	v_xor_b32_e32 v49, v19, v46
	s_delay_alu instid0(VALU_DEP_2) | instskip(NEXT) | instid1(VALU_DEP_1)
	v_xor_b32_e32 v48, v48, v46
	v_sub_nc_u64_e32 v[46:47], v[48:49], v[46:47]
.LBB88_9:                               ;   in Loop: Header=BB88_7 Depth=1
	s_and_not1_saveexec_b32 s0, s47
	s_cbranch_execz .LBB88_6
; %bb.10:                               ;   in Loop: Header=BB88_7 Depth=1
	v_cvt_f32_u32_e32 v19, s34
	s_sub_co_i32 s36, 0, s34
	s_delay_alu instid0(VALU_DEP_1) | instskip(SKIP_1) | instid1(TRANS32_DEP_1)
	v_rcp_iflag_f32_e32 v19, v19
	v_nop
	v_mul_f32_e32 v19, 0x4f7ffffe, v19
	s_delay_alu instid0(VALU_DEP_1) | instskip(NEXT) | instid1(VALU_DEP_1)
	v_cvt_u32_f32_e32 v19, v19
	v_mul_lo_u32 v46, s36, v19
	s_delay_alu instid0(VALU_DEP_1) | instskip(NEXT) | instid1(VALU_DEP_1)
	v_mul_hi_u32 v46, v19, v46
	v_add_nc_u32_e32 v19, v19, v46
	s_delay_alu instid0(VALU_DEP_1) | instskip(NEXT) | instid1(VALU_DEP_1)
	v_mul_hi_u32 v19, v28, v19
	v_mul_lo_u32 v46, v19, s34
	s_delay_alu instid0(VALU_DEP_1) | instskip(NEXT) | instid1(VALU_DEP_1)
	v_dual_add_nc_u32 v47, 1, v19 :: v_dual_sub_nc_u32 v46, v28, v46
	v_subrev_nc_u32_e32 v48, s34, v46
	v_cmp_le_u32_e32 vcc_lo, s34, v46
	s_delay_alu instid0(VALU_DEP_2) | instskip(NEXT) | instid1(VALU_DEP_1)
	v_dual_cndmask_b32 v46, v46, v48 :: v_dual_cndmask_b32 v19, v19, v47
	v_cmp_le_u32_e32 vcc_lo, s34, v46
	s_delay_alu instid0(VALU_DEP_2) | instskip(NEXT) | instid1(VALU_DEP_1)
	v_add_nc_u32_e32 v47, 1, v19
	v_dual_cndmask_b32 v46, v19, v47 :: v_dual_mov_b32 v47, v18
	s_branch .LBB88_6
.LBB88_11:
	s_or_b32 exec_lo, exec_lo, s42
	s_get_pc_i64 s[0:1]
	s_add_nc_u64 s[0:1], s[0:1], .str.9@rel64+4
	s_mov_b32 s27, -1
	s_cmp_lg_u64 s[0:1], 0
	s_mov_b32 s0, 0
	s_cselect_b32 s42, -1, 0
	s_mov_b32 s47, 0
	s_mov_b32 s1, exec_lo
	v_cmpx_gt_i64_e64 v[2:3], v[10:11]
	s_cbranch_execz .LBB88_17
; %bb.12:
	s_wait_loadcnt 0x0
	v_lshlrev_b64_e32 v[18:19], 3, v[26:27]
	s_mov_b32 s27, 0
	s_xor_b32 s29, s42, -1
                                        ; implicit-def: $sgpr28
                                        ; implicit-def: $sgpr31
                                        ; implicit-def: $sgpr30
	s_delay_alu instid0(VALU_DEP_1) | instskip(SKIP_1) | instid1(VALU_DEP_2)
	v_lshl_add_u64 v[10:11], v[10:11], 3, v[18:19]
	v_add_nc_u64_e32 v[18:19], s[24:25], v[18:19]
	v_add_nc_u64_e32 v[10:11], s[24:25], v[10:11]
	s_delay_alu instid0(VALU_DEP_2) | instskip(NEXT) | instid1(VALU_DEP_2)
	v_lshl_add_u64 v[2:3], v[2:3], 3, v[18:19]
	v_add_nc_u64_e32 v[10:11], 8, v[10:11]
	s_branch .LBB88_14
.LBB88_13:                              ;   in Loop: Header=BB88_14 Depth=1
	s_or_b32 exec_lo, exec_lo, s34
	s_delay_alu instid0(SALU_CYCLE_1) | instskip(NEXT) | instid1(SALU_CYCLE_1)
	s_and_b32 s34, exec_lo, s31
	s_or_b32 s27, s34, s27
	s_and_not1_b32 s28, s28, exec_lo
	s_and_b32 s34, s30, exec_lo
	s_delay_alu instid0(SALU_CYCLE_1)
	s_or_b32 s28, s28, s34
	s_and_not1_b32 exec_lo, exec_lo, s27
	s_cbranch_execz .LBB88_16
.LBB88_14:                              ; =>This Inner Loop Header: Depth=1
	s_or_b32 s30, s30, exec_lo
	s_or_b32 s31, s31, exec_lo
	s_mov_b32 s34, exec_lo
	s_delay_alu instid0(VALU_DEP_1)
	v_cmpx_lt_u64_e64 v[10:11], v[2:3]
	s_cbranch_execz .LBB88_13
; %bb.15:                               ;   in Loop: Header=BB88_14 Depth=1
	global_load_b128 v[26:29], v[10:11], off offset:-8
	s_wait_xcnt 0x0
	v_add_nc_u64_e32 v[10:11], 8, v[10:11]
	s_and_not1_b32 s31, s31, exec_lo
	s_and_not1_b32 s30, s30, exec_lo
	s_wait_loadcnt 0x0
	v_cmp_ge_i64_e32 vcc_lo, v[26:27], v[28:29]
	s_or_b32 s35, s29, vcc_lo
	s_delay_alu instid0(SALU_CYCLE_1) | instskip(NEXT) | instid1(SALU_CYCLE_1)
	s_and_b32 s35, s35, exec_lo
	s_or_b32 s31, s31, s35
	s_branch .LBB88_13
.LBB88_16:
	s_or_b32 exec_lo, exec_lo, s27
	s_delay_alu instid0(SALU_CYCLE_1)
	s_mov_b32 s47, exec_lo
	s_or_not1_b32 s27, s28, exec_lo
.LBB88_17:
	s_or_b32 exec_lo, exec_lo, s1
	s_mov_b32 s28, 0
	s_mov_b32 s29, 0
	;; [unrolled: 1-line block ×3, first 2 shown]
	s_and_saveexec_b32 s48, s27
	s_cbranch_execz .LBB88_61
; %bb.18:
	s_mov_b32 s0, -1
	s_mov_b32 s1, 0
	s_mov_b32 s27, 0
	s_mov_b32 s30, 0
	s_mov_b32 s49, exec_lo
	v_cmpx_eq_u64_e64 v[40:41], v[38:39]
	s_cbranch_execz .LBB88_60
; %bb.19:
	s_mov_b32 s1, -1
	s_mov_b32 s0, 0
	s_mov_b32 s50, exec_lo
	v_cmpx_eq_u64_e64 v[36:37], v[34:35]
	s_cbranch_execz .LBB88_59
; %bb.20:
	v_sub_nc_u64_e32 v[2:3], v[4:5], v[12:13]
	s_delay_alu instid0(VALU_DEP_1) | instskip(SKIP_2) | instid1(SALU_CYCLE_1)
	v_cmp_le_i64_e32 vcc_lo, v[38:39], v[2:3]
	v_cmp_ge_i64_e64 s0, s[2:3], v[2:3]
	s_and_b32 s0, vcc_lo, s0
	s_and_saveexec_b32 s51, s0
	s_cbranch_execz .LBB88_58
; %bb.21:
	v_mov_b64_e32 v[2:3], 0
	s_and_saveexec_b32 s52, s46
	s_cbranch_execz .LBB88_28
; %bb.22:
	s_wait_loadcnt 0x0
	v_mul_u64_e32 v[18:19], v[20:21], v[34:35]
	s_ashr_i32 s27, s26, 31
	v_mov_b64_e32 v[2:3], 0
	s_lshl_b64 s[0:1], s[26:27], 3
	v_mov_b32_e32 v10, 0
	s_add_nc_u64 s[0:1], s[18:19], s[0:1]
	s_mov_b64 s[28:29], 0xffffffff
	s_add_nc_u64 s[30:31], s[0:1], 32
	s_mov_b32 s1, 0
	s_mov_b32 s27, s41
	s_branch .LBB88_24
.LBB88_23:                              ;   in Loop: Header=BB88_24 Depth=1
	s_or_b32 exec_lo, exec_lo, s0
	s_delay_alu instid0(VALU_DEP_1)
	v_mul_u64_e32 v[26:27], s[34:35], v[20:21]
	s_load_b64 s[34:35], s[30:31], 0x40
	s_add_co_i32 s27, s27, -1
	s_wait_xcnt 0x0
	s_add_nc_u64 s[30:31], s[30:31], -8
	s_cmp_lg_u32 s27, 0
	s_delay_alu instid0(VALU_DEP_1) | instskip(SKIP_1) | instid1(VALU_DEP_1)
	v_sub_nc_u64_e32 v[18:19], v[18:19], v[26:27]
	s_wait_kmcnt 0x0
	v_mad_nc_u64_u32 v[2:3], v18, s34, v[2:3]
	s_delay_alu instid0(VALU_DEP_1) | instskip(NEXT) | instid1(VALU_DEP_1)
	v_mad_u32 v3, v19, s34, v3
	v_mad_u32 v3, v18, s35, v3
	v_mov_b64_e32 v[18:19], v[20:21]
	s_cbranch_scc0 .LBB88_28
.LBB88_24:                              ; =>This Inner Loop Header: Depth=1
	s_load_b64 s[34:35], s[30:31], 0x0
                                        ; implicit-def: $vgpr20_vgpr21
	s_mov_b32 s0, exec_lo
	s_wait_kmcnt 0x0
	s_delay_alu instid0(VALU_DEP_1) | instskip(NEXT) | instid1(VALU_DEP_1)
	v_or_b32_e32 v11, s35, v19
	v_cmpx_ne_u64_e32 0, v[10:11]
	s_xor_b32 s53, exec_lo, s0
	s_cbranch_execz .LBB88_26
; %bb.25:                               ;   in Loop: Header=BB88_24 Depth=1
	s_ashr_i32 s36, s35, 31
	v_dual_mov_b32 v29, v10 :: v_dual_ashrrev_i32 v20, 31, v19
	s_mov_b32 s37, s36
	s_delay_alu instid0(SALU_CYCLE_1) | instskip(NEXT) | instid1(VALU_DEP_1)
	s_add_nc_u64 s[38:39], s[34:35], s[36:37]
	v_mov_b32_e32 v21, v20
	s_xor_b64 s[38:39], s[38:39], s[36:37]
	s_delay_alu instid0(SALU_CYCLE_1)
	s_cvt_f32_u32 s0, s38
	s_cvt_f32_u32 s37, s39
	s_sub_nc_u64 s[56:57], 0, s[38:39]
	v_add_nc_u64_e32 v[26:27], v[18:19], v[20:21]
	v_mov_b32_e32 v41, v10
	s_fmamk_f32 s0, s37, 0x4f800000, s0
	s_delay_alu instid0(SALU_CYCLE_3) | instskip(NEXT) | instid1(VALU_DEP_2)
	v_s_rcp_f32 s0, s0
	v_xor_b32_e32 v28, v26, v20
	s_delay_alu instid0(VALU_DEP_3) | instskip(SKIP_1) | instid1(TRANS32_DEP_1)
	v_dual_mov_b32 v49, v10 :: v_dual_bitop2_b32 v40, v27, v20 bitop3:0x14
	v_xor_b32_e32 v20, s36, v20
	s_mul_f32 s0, s0, 0x5f7ffffc
	s_delay_alu instid0(SALU_CYCLE_3) | instskip(NEXT) | instid1(SALU_CYCLE_3)
	s_mul_f32 s37, s0, 0x2f800000
	s_trunc_f32 s37, s37
	s_delay_alu instid0(SALU_CYCLE_3) | instskip(SKIP_1) | instid1(SALU_CYCLE_2)
	s_fmamk_f32 s0, s37, 0xcf800000, s0
	s_cvt_u32_f32 s55, s37
	s_cvt_u32_f32 s54, s0
	s_delay_alu instid0(SALU_CYCLE_3) | instskip(NEXT) | instid1(SALU_CYCLE_1)
	s_mul_u64 s[58:59], s[56:57], s[54:55]
	s_mul_hi_u32 s61, s54, s59
	s_mul_i32 s60, s54, s59
	s_mul_hi_u32 s0, s54, s58
	s_mul_i32 s62, s55, s58
	s_add_nc_u64 s[60:61], s[0:1], s[60:61]
	s_mul_hi_u32 s37, s55, s58
	s_mul_hi_u32 s63, s55, s59
	s_add_co_u32 s0, s60, s62
	s_add_co_ci_u32 s0, s61, s37
	s_mul_i32 s58, s55, s59
	s_add_co_ci_u32 s59, s63, 0
	s_delay_alu instid0(SALU_CYCLE_1) | instskip(NEXT) | instid1(SALU_CYCLE_1)
	s_add_nc_u64 s[58:59], s[0:1], s[58:59]
	s_add_co_u32 s54, s54, s58
	s_cselect_b32 s0, -1, 0
	s_delay_alu instid0(SALU_CYCLE_1) | instskip(SKIP_1) | instid1(SALU_CYCLE_1)
	s_cmp_lg_u32 s0, 0
	s_add_co_ci_u32 s55, s55, s59
	s_mul_u64 s[56:57], s[56:57], s[54:55]
	s_delay_alu instid0(SALU_CYCLE_1)
	s_mul_hi_u32 s59, s54, s57
	s_mul_i32 s58, s54, s57
	s_mul_hi_u32 s0, s54, s56
	s_mul_i32 s60, s55, s56
	s_add_nc_u64 s[58:59], s[0:1], s[58:59]
	s_mul_hi_u32 s37, s55, s56
	s_mul_hi_u32 s61, s55, s57
	s_add_co_u32 s0, s58, s60
	s_add_co_ci_u32 s0, s59, s37
	s_mul_i32 s56, s55, s57
	s_add_co_ci_u32 s57, s61, 0
	s_delay_alu instid0(SALU_CYCLE_1) | instskip(NEXT) | instid1(SALU_CYCLE_1)
	s_add_nc_u64 s[56:57], s[0:1], s[56:57]
	s_add_co_u32 s54, s54, s56
	s_cselect_b32 s0, -1, 0
	v_mul_hi_u32 v48, v28, s54
	s_cmp_lg_u32 s0, 0
	s_add_co_ci_u32 s0, s55, s57
	s_and_b64 s[56:57], s[54:55], s[28:29]
	v_mul_u64_e32 v[36:37], s[0:1], v[28:29]
	v_mul_u64_e32 v[26:27], s[56:57], v[40:41]
	;; [unrolled: 1-line block ×3, first 2 shown]
	s_delay_alu instid0(VALU_DEP_3) | instskip(NEXT) | instid1(VALU_DEP_1)
	v_add_nc_u64_e32 v[36:37], v[48:49], v[36:37]
	v_add_co_u32 v11, vcc_lo, v36, v26
	s_delay_alu instid0(VALU_DEP_2) | instskip(NEXT) | instid1(VALU_DEP_4)
	v_add_co_ci_u32_e32 v48, vcc_lo, v37, v27, vcc_lo
	v_add_co_ci_u32_e32 v47, vcc_lo, 0, v47, vcc_lo
	s_delay_alu instid0(VALU_DEP_1) | instskip(NEXT) | instid1(VALU_DEP_1)
	v_add_nc_u64_e32 v[26:27], v[48:49], v[46:47]
	v_mul_u64_e32 v[36:37], s[38:39], v[26:27]
	s_delay_alu instid0(VALU_DEP_1) | instskip(NEXT) | instid1(VALU_DEP_2)
	v_sub_nc_u32_e32 v11, v40, v37
	v_sub_co_u32 v21, vcc_lo, v28, v36
	s_delay_alu instid0(VALU_DEP_1) | instskip(NEXT) | instid1(VALU_DEP_3)
	v_sub_co_ci_u32_e64 v40, null, v40, v37, vcc_lo
	v_subrev_co_ci_u32_e64 v11, null, s39, v11, vcc_lo
	s_delay_alu instid0(VALU_DEP_3) | instskip(SKIP_1) | instid1(VALU_DEP_3)
	v_sub_co_u32 v28, s0, v21, s38
	v_add_nc_u64_e32 v[36:37], 1, v[26:27]
	v_subrev_co_ci_u32_e64 v11, null, 0, v11, s0
	s_delay_alu instid0(VALU_DEP_3) | instskip(SKIP_1) | instid1(VALU_DEP_3)
	v_cmp_le_u32_e32 vcc_lo, s38, v28
	v_cndmask_b32_e64 v28, 0, -1, vcc_lo
	v_cmp_le_u32_e32 vcc_lo, s39, v11
	v_cndmask_b32_e64 v29, 0, -1, vcc_lo
	;; [unrolled: 2-line block ×4, first 2 shown]
	v_cmp_eq_u32_e32 vcc_lo, s39, v11
	v_cndmask_b32_e32 v11, v29, v28, vcc_lo
	v_cmp_eq_u32_e32 vcc_lo, s39, v40
	v_add_nc_u64_e32 v[28:29], 2, v[26:27]
	v_cndmask_b32_e32 v21, v41, v21, vcc_lo
	s_delay_alu instid0(VALU_DEP_4) | instskip(NEXT) | instid1(VALU_DEP_2)
	v_cmp_ne_u32_e32 vcc_lo, 0, v11
	v_cmp_ne_u32_e64 s0, 0, v21
	s_delay_alu instid0(VALU_DEP_4) | instskip(NEXT) | instid1(VALU_DEP_1)
	v_dual_cndmask_b32 v11, v37, v29, vcc_lo :: v_dual_cndmask_b32 v21, v36, v28, vcc_lo
	v_dual_cndmask_b32 v26, v26, v21, s0 :: v_dual_mov_b32 v21, v20
	s_delay_alu instid0(VALU_DEP_1) | instskip(NEXT) | instid1(VALU_DEP_1)
	v_dual_cndmask_b32 v11, v27, v11, s0 :: v_dual_bitop2_b32 v26, v26, v20 bitop3:0x14
	v_xor_b32_e32 v27, v11, v20
	s_delay_alu instid0(VALU_DEP_1)
	v_sub_nc_u64_e32 v[20:21], v[26:27], v[20:21]
.LBB88_26:                              ;   in Loop: Header=BB88_24 Depth=1
	s_and_not1_saveexec_b32 s0, s53
	s_cbranch_execz .LBB88_23
; %bb.27:                               ;   in Loop: Header=BB88_24 Depth=1
	v_cvt_f32_u32_e32 v11, s34
	s_sub_co_i32 s36, 0, s34
	s_delay_alu instid0(VALU_DEP_1) | instskip(SKIP_1) | instid1(TRANS32_DEP_1)
	v_rcp_iflag_f32_e32 v11, v11
	v_nop
	v_mul_f32_e32 v11, 0x4f7ffffe, v11
	s_delay_alu instid0(VALU_DEP_1) | instskip(NEXT) | instid1(VALU_DEP_1)
	v_cvt_u32_f32_e32 v11, v11
	v_mul_lo_u32 v20, s36, v11
	s_delay_alu instid0(VALU_DEP_1) | instskip(NEXT) | instid1(VALU_DEP_1)
	v_mul_hi_u32 v20, v11, v20
	v_add_nc_u32_e32 v11, v11, v20
	s_delay_alu instid0(VALU_DEP_1) | instskip(NEXT) | instid1(VALU_DEP_1)
	v_mul_hi_u32 v11, v18, v11
	v_mul_lo_u32 v20, v11, s34
	s_delay_alu instid0(VALU_DEP_1) | instskip(NEXT) | instid1(VALU_DEP_1)
	v_dual_add_nc_u32 v21, 1, v11 :: v_dual_sub_nc_u32 v20, v18, v20
	v_subrev_nc_u32_e32 v26, s34, v20
	v_cmp_le_u32_e32 vcc_lo, s34, v20
	s_delay_alu instid0(VALU_DEP_2) | instskip(NEXT) | instid1(VALU_DEP_1)
	v_dual_cndmask_b32 v20, v20, v26 :: v_dual_cndmask_b32 v11, v11, v21
	v_cmp_le_u32_e32 vcc_lo, s34, v20
	s_delay_alu instid0(VALU_DEP_2) | instskip(NEXT) | instid1(VALU_DEP_1)
	v_add_nc_u32_e32 v21, 1, v11
	v_dual_cndmask_b32 v20, v11, v21 :: v_dual_mov_b32 v21, v10
	s_branch .LBB88_23
.LBB88_28:
	s_or_b32 exec_lo, exec_lo, s52
	s_mov_b32 s30, -1
	s_mov_b32 s0, 0
	s_mov_b32 s52, 0
	s_mov_b32 s1, exec_lo
	v_cmpx_gt_i64_e64 v[4:5], v[12:13]
	s_cbranch_execz .LBB88_34
; %bb.29:
	s_delay_alu instid0(VALU_DEP_2) | instskip(SKIP_2) | instid1(VALU_DEP_1)
	v_lshlrev_b64_e32 v[2:3], 3, v[2:3]
	s_mov_b32 s27, 0
	s_xor_b32 s29, s42, -1
                                        ; implicit-def: $sgpr28
                                        ; implicit-def: $sgpr31
                                        ; implicit-def: $sgpr30
	v_lshl_add_u64 v[10:11], v[12:13], 3, v[2:3]
	v_add_nc_u64_e32 v[12:13], s[24:25], v[2:3]
	s_delay_alu instid0(VALU_DEP_2) | instskip(NEXT) | instid1(VALU_DEP_2)
	v_add_nc_u64_e32 v[10:11], s[24:25], v[10:11]
	v_lshl_add_u64 v[4:5], v[4:5], 3, v[12:13]
	s_delay_alu instid0(VALU_DEP_2)
	v_add_nc_u64_e32 v[2:3], 8, v[10:11]
	s_branch .LBB88_31
.LBB88_30:                              ;   in Loop: Header=BB88_31 Depth=1
	s_or_b32 exec_lo, exec_lo, s34
	s_delay_alu instid0(SALU_CYCLE_1) | instskip(NEXT) | instid1(SALU_CYCLE_1)
	s_and_b32 s34, exec_lo, s31
	s_or_b32 s27, s34, s27
	s_and_not1_b32 s28, s28, exec_lo
	s_and_b32 s34, s30, exec_lo
	s_delay_alu instid0(SALU_CYCLE_1)
	s_or_b32 s28, s28, s34
	s_and_not1_b32 exec_lo, exec_lo, s27
	s_cbranch_execz .LBB88_33
.LBB88_31:                              ; =>This Inner Loop Header: Depth=1
	s_or_b32 s30, s30, exec_lo
	s_or_b32 s31, s31, exec_lo
	s_mov_b32 s34, exec_lo
	s_delay_alu instid0(VALU_DEP_1)
	v_cmpx_lt_u64_e64 v[2:3], v[4:5]
	s_cbranch_execz .LBB88_30
; %bb.32:                               ;   in Loop: Header=BB88_31 Depth=1
	global_load_b128 v[10:13], v[2:3], off offset:-8
	s_and_not1_b32 s31, s31, exec_lo
	s_wait_xcnt 0x0
	v_add_nc_u64_e32 v[2:3], 8, v[2:3]
	s_and_not1_b32 s30, s30, exec_lo
	s_wait_loadcnt 0x0
	v_cmp_ge_i64_e32 vcc_lo, v[10:11], v[12:13]
	s_or_b32 s35, s29, vcc_lo
	s_delay_alu instid0(SALU_CYCLE_1) | instskip(NEXT) | instid1(SALU_CYCLE_1)
	s_and_b32 s35, s35, exec_lo
	s_or_b32 s31, s31, s35
	s_branch .LBB88_30
.LBB88_33:
	s_or_b32 exec_lo, exec_lo, s27
	s_delay_alu instid0(SALU_CYCLE_1)
	s_mov_b32 s52, exec_lo
	s_or_not1_b32 s30, s28, exec_lo
.LBB88_34:
	s_or_b32 exec_lo, exec_lo, s1
	s_mov_b32 s27, 0
	s_mov_b32 s28, 0
	;; [unrolled: 1-line block ×3, first 2 shown]
	s_and_saveexec_b32 s53, s30
	s_cbranch_execz .LBB88_57
; %bb.35:
	s_mov_b32 s0, -1
	s_mov_b32 s1, 0
	s_mov_b32 s30, 0
	s_mov_b32 s54, exec_lo
	v_cmpx_eq_u64_e64 v[42:43], v[38:39]
	s_cbranch_execz .LBB88_56
; %bb.36:
	s_mov_b32 s1, -1
	s_mov_b32 s0, 0
	s_mov_b32 s55, exec_lo
	v_cmpx_eq_u64_e64 v[30:31], v[34:35]
	s_cbranch_execz .LBB88_55
; %bb.37:
	s_wait_loadcnt 0x2
	v_sub_nc_u64_e32 v[2:3], v[6:7], v[14:15]
	s_delay_alu instid0(VALU_DEP_1) | instskip(SKIP_2) | instid1(SALU_CYCLE_1)
	v_cmp_le_i64_e32 vcc_lo, v[38:39], v[2:3]
	v_cmp_ge_i64_e64 s0, s[2:3], v[2:3]
	s_and_b32 s0, vcc_lo, s0
	s_and_saveexec_b32 s56, s0
	s_cbranch_execz .LBB88_54
; %bb.38:
	v_mov_b64_e32 v[2:3], 0
	s_and_saveexec_b32 s57, s46
	s_cbranch_execz .LBB88_45
; %bb.39:
	s_wait_loadcnt 0x1
	v_mul_u64_e32 v[10:11], v[22:23], v[34:35]
	s_ashr_i32 s27, s26, 31
	v_mov_b64_e32 v[2:3], 0
	s_lshl_b64 s[0:1], s[26:27], 3
	v_mov_b32_e32 v4, 0
	s_add_nc_u64 s[0:1], s[18:19], s[0:1]
	s_mov_b64 s[28:29], 0xffffffff
	s_add_nc_u64 s[30:31], s[0:1], 32
	s_mov_b32 s1, 0
	s_mov_b32 s27, s41
	s_branch .LBB88_41
.LBB88_40:                              ;   in Loop: Header=BB88_41 Depth=1
	s_or_b32 exec_lo, exec_lo, s0
	s_wait_loadcnt 0x0
	s_delay_alu instid0(VALU_DEP_1)
	v_mul_u64_e32 v[18:19], s[34:35], v[12:13]
	s_load_b64 s[34:35], s[30:31], 0x40
	s_add_co_i32 s27, s27, -1
	s_wait_xcnt 0x0
	s_add_nc_u64 s[30:31], s[30:31], -8
	s_cmp_lg_u32 s27, 0
	s_delay_alu instid0(VALU_DEP_1) | instskip(SKIP_1) | instid1(VALU_DEP_1)
	v_sub_nc_u64_e32 v[10:11], v[10:11], v[18:19]
	s_wait_kmcnt 0x0
	v_mad_nc_u64_u32 v[2:3], v10, s34, v[2:3]
	s_delay_alu instid0(VALU_DEP_1) | instskip(NEXT) | instid1(VALU_DEP_1)
	v_mad_u32 v3, v11, s34, v3
	v_mad_u32 v3, v10, s35, v3
	v_mov_b64_e32 v[10:11], v[12:13]
	s_cbranch_scc0 .LBB88_45
.LBB88_41:                              ; =>This Inner Loop Header: Depth=1
	s_load_b64 s[34:35], s[30:31], 0x0
                                        ; implicit-def: $vgpr12_vgpr13
	s_mov_b32 s0, exec_lo
	s_wait_kmcnt 0x0
	s_delay_alu instid0(VALU_DEP_1) | instskip(NEXT) | instid1(VALU_DEP_1)
	v_or_b32_e32 v5, s35, v11
	v_cmpx_ne_u64_e32 0, v[4:5]
	s_xor_b32 s58, exec_lo, s0
	s_cbranch_execz .LBB88_43
; %bb.42:                               ;   in Loop: Header=BB88_41 Depth=1
	s_ashr_i32 s36, s35, 31
	s_wait_loadcnt 0x0
	v_dual_mov_b32 v21, v4 :: v_dual_ashrrev_i32 v12, 31, v11
	s_mov_b32 s37, s36
	s_delay_alu instid0(SALU_CYCLE_1) | instskip(NEXT) | instid1(VALU_DEP_1)
	s_add_nc_u64 s[38:39], s[34:35], s[36:37]
	v_mov_b32_e32 v13, v12
	s_xor_b64 s[38:39], s[38:39], s[36:37]
	s_delay_alu instid0(SALU_CYCLE_1)
	s_cvt_f32_u32 s0, s38
	s_cvt_f32_u32 s37, s39
	s_sub_nc_u64 s[62:63], 0, s[38:39]
	v_add_nc_u64_e32 v[18:19], v[10:11], v[12:13]
	v_mov_b32_e32 v27, v4
	s_fmamk_f32 s0, s37, 0x4f800000, s0
	s_delay_alu instid0(SALU_CYCLE_3) | instskip(NEXT) | instid1(VALU_DEP_2)
	v_s_rcp_f32 s0, s0
	v_xor_b32_e32 v20, v18, v12
	s_delay_alu instid0(VALU_DEP_3) | instskip(NEXT) | instid1(TRANS32_DEP_1)
	v_dual_mov_b32 v31, v4 :: v_dual_bitop2_b32 v26, v19, v12 bitop3:0x14
	s_mul_f32 s0, s0, 0x5f7ffffc
	s_delay_alu instid0(SALU_CYCLE_3) | instskip(NEXT) | instid1(SALU_CYCLE_3)
	s_mul_f32 s37, s0, 0x2f800000
	s_trunc_f32 s37, s37
	s_delay_alu instid0(SALU_CYCLE_3) | instskip(SKIP_1) | instid1(SALU_CYCLE_2)
	s_fmamk_f32 s0, s37, 0xcf800000, s0
	s_cvt_u32_f32 s61, s37
	s_cvt_u32_f32 s60, s0
	s_delay_alu instid0(SALU_CYCLE_3) | instskip(NEXT) | instid1(SALU_CYCLE_1)
	s_mul_u64 s[64:65], s[62:63], s[60:61]
	s_mul_hi_u32 s67, s60, s65
	s_mul_i32 s66, s60, s65
	s_mul_hi_u32 s0, s60, s64
	s_mul_i32 s59, s61, s64
	s_add_nc_u64 s[66:67], s[0:1], s[66:67]
	s_mul_hi_u32 s37, s61, s64
	s_mul_hi_u32 s68, s61, s65
	s_add_co_u32 s0, s66, s59
	s_add_co_ci_u32 s0, s67, s37
	s_mul_i32 s64, s61, s65
	s_add_co_ci_u32 s65, s68, 0
	s_delay_alu instid0(SALU_CYCLE_1) | instskip(NEXT) | instid1(SALU_CYCLE_1)
	s_add_nc_u64 s[64:65], s[0:1], s[64:65]
	s_add_co_u32 s60, s60, s64
	s_cselect_b32 s0, -1, 0
	s_delay_alu instid0(SALU_CYCLE_1) | instskip(SKIP_1) | instid1(SALU_CYCLE_1)
	s_cmp_lg_u32 s0, 0
	s_add_co_ci_u32 s61, s61, s65
	s_mul_u64 s[62:63], s[62:63], s[60:61]
	s_delay_alu instid0(SALU_CYCLE_1)
	s_mul_hi_u32 s65, s60, s63
	s_mul_i32 s64, s60, s63
	s_mul_hi_u32 s0, s60, s62
	s_mul_i32 s59, s61, s62
	s_add_nc_u64 s[64:65], s[0:1], s[64:65]
	s_mul_hi_u32 s37, s61, s62
	s_mul_hi_u32 s66, s61, s63
	s_add_co_u32 s0, s64, s59
	s_add_co_ci_u32 s0, s65, s37
	s_mul_i32 s62, s61, s63
	s_add_co_ci_u32 s63, s66, 0
	s_delay_alu instid0(SALU_CYCLE_1) | instskip(NEXT) | instid1(SALU_CYCLE_1)
	s_add_nc_u64 s[62:63], s[0:1], s[62:63]
	s_add_co_u32 s60, s60, s62
	s_cselect_b32 s0, -1, 0
	v_mul_hi_u32 v30, v20, s60
	s_cmp_lg_u32 s0, 0
	s_add_co_ci_u32 s0, s61, s63
	s_and_b64 s[62:63], s[60:61], s[28:29]
	v_mul_u64_e32 v[22:23], s[0:1], v[20:21]
	v_mul_u64_e32 v[18:19], s[62:63], v[26:27]
	;; [unrolled: 1-line block ×3, first 2 shown]
	s_delay_alu instid0(VALU_DEP_3) | instskip(NEXT) | instid1(VALU_DEP_1)
	v_add_nc_u64_e32 v[22:23], v[30:31], v[22:23]
	v_add_co_u32 v5, vcc_lo, v22, v18
	s_delay_alu instid0(VALU_DEP_2) | instskip(NEXT) | instid1(VALU_DEP_4)
	v_add_co_ci_u32_e32 v30, vcc_lo, v23, v19, vcc_lo
	v_add_co_ci_u32_e32 v29, vcc_lo, 0, v29, vcc_lo
	s_delay_alu instid0(VALU_DEP_1) | instskip(NEXT) | instid1(VALU_DEP_1)
	v_add_nc_u64_e32 v[18:19], v[30:31], v[28:29]
	v_mul_u64_e32 v[22:23], s[38:39], v[18:19]
	s_delay_alu instid0(VALU_DEP_1) | instskip(NEXT) | instid1(VALU_DEP_2)
	v_sub_nc_u32_e32 v5, v26, v23
	v_sub_co_u32 v13, vcc_lo, v20, v22
	s_delay_alu instid0(VALU_DEP_1) | instskip(NEXT) | instid1(VALU_DEP_3)
	v_sub_co_ci_u32_e64 v26, null, v26, v23, vcc_lo
	v_subrev_co_ci_u32_e64 v5, null, s39, v5, vcc_lo
	s_delay_alu instid0(VALU_DEP_3) | instskip(SKIP_1) | instid1(VALU_DEP_3)
	v_sub_co_u32 v20, s0, v13, s38
	v_add_nc_u64_e32 v[22:23], 1, v[18:19]
	v_subrev_co_ci_u32_e64 v5, null, 0, v5, s0
	s_delay_alu instid0(VALU_DEP_3) | instskip(SKIP_1) | instid1(VALU_DEP_3)
	v_cmp_le_u32_e32 vcc_lo, s38, v20
	v_cndmask_b32_e64 v20, 0, -1, vcc_lo
	v_cmp_le_u32_e32 vcc_lo, s39, v5
	v_cndmask_b32_e64 v21, 0, -1, vcc_lo
	;; [unrolled: 2-line block ×4, first 2 shown]
	v_cmp_eq_u32_e32 vcc_lo, s39, v5
	v_cndmask_b32_e32 v5, v21, v20, vcc_lo
	v_cmp_eq_u32_e32 vcc_lo, s39, v26
	v_add_nc_u64_e32 v[20:21], 2, v[18:19]
	v_cndmask_b32_e32 v13, v27, v13, vcc_lo
	s_delay_alu instid0(VALU_DEP_4) | instskip(NEXT) | instid1(VALU_DEP_2)
	v_cmp_ne_u32_e32 vcc_lo, 0, v5
	v_cmp_ne_u32_e64 s0, 0, v13
	s_delay_alu instid0(VALU_DEP_4) | instskip(NEXT) | instid1(VALU_DEP_1)
	v_dual_cndmask_b32 v5, v23, v21, vcc_lo :: v_dual_cndmask_b32 v13, v22, v20, vcc_lo
	v_dual_cndmask_b32 v5, v19, v5, s0 :: v_dual_bitop2_b32 v12, s36, v12 bitop3:0x14
	s_delay_alu instid0(VALU_DEP_1) | instskip(NEXT) | instid1(VALU_DEP_2)
	v_dual_cndmask_b32 v18, v18, v13, s0 :: v_dual_mov_b32 v13, v12
	v_xor_b32_e32 v19, v5, v12
	s_delay_alu instid0(VALU_DEP_2) | instskip(NEXT) | instid1(VALU_DEP_1)
	v_xor_b32_e32 v18, v18, v12
	v_sub_nc_u64_e32 v[12:13], v[18:19], v[12:13]
.LBB88_43:                              ;   in Loop: Header=BB88_41 Depth=1
	s_and_not1_saveexec_b32 s0, s58
	s_cbranch_execz .LBB88_40
; %bb.44:                               ;   in Loop: Header=BB88_41 Depth=1
	v_cvt_f32_u32_e32 v5, s34
	s_sub_co_i32 s36, 0, s34
	s_delay_alu instid0(VALU_DEP_1) | instskip(SKIP_1) | instid1(TRANS32_DEP_1)
	v_rcp_iflag_f32_e32 v5, v5
	v_nop
	v_mul_f32_e32 v5, 0x4f7ffffe, v5
	s_delay_alu instid0(VALU_DEP_1) | instskip(NEXT) | instid1(VALU_DEP_1)
	v_cvt_u32_f32_e32 v5, v5
	v_mul_lo_u32 v12, s36, v5
	s_delay_alu instid0(VALU_DEP_1) | instskip(NEXT) | instid1(VALU_DEP_1)
	v_mul_hi_u32 v12, v5, v12
	v_add_nc_u32_e32 v5, v5, v12
	s_delay_alu instid0(VALU_DEP_1) | instskip(NEXT) | instid1(VALU_DEP_1)
	v_mul_hi_u32 v5, v10, v5
	v_mul_lo_u32 v12, v5, s34
	s_delay_alu instid0(VALU_DEP_1) | instskip(SKIP_1) | instid1(VALU_DEP_1)
	v_dual_add_nc_u32 v13, 1, v5 :: v_dual_sub_nc_u32 v12, v10, v12
	s_wait_loadcnt 0x0
	v_subrev_nc_u32_e32 v18, s34, v12
	v_cmp_le_u32_e32 vcc_lo, s34, v12
	s_delay_alu instid0(VALU_DEP_2) | instskip(NEXT) | instid1(VALU_DEP_1)
	v_dual_cndmask_b32 v12, v12, v18 :: v_dual_cndmask_b32 v5, v5, v13
	v_cmp_le_u32_e32 vcc_lo, s34, v12
	s_delay_alu instid0(VALU_DEP_2) | instskip(NEXT) | instid1(VALU_DEP_1)
	v_add_nc_u32_e32 v13, 1, v5
	v_dual_cndmask_b32 v12, v5, v13 :: v_dual_mov_b32 v13, v4
	s_branch .LBB88_40
.LBB88_45:
	s_or_b32 exec_lo, exec_lo, s57
	s_mov_b32 s29, -1
	s_mov_b32 s0, 0
	s_mov_b32 s27, 0
	s_mov_b32 s1, exec_lo
	v_cmpx_gt_i64_e64 v[6:7], v[14:15]
	s_cbranch_execz .LBB88_51
; %bb.46:
	s_delay_alu instid0(VALU_DEP_2) | instskip(SKIP_1) | instid1(VALU_DEP_1)
	v_lshlrev_b64_e32 v[2:3], 3, v[2:3]
	s_xor_b32 s29, s42, -1
                                        ; implicit-def: $sgpr28
                                        ; implicit-def: $sgpr31
                                        ; implicit-def: $sgpr30
	v_lshl_add_u64 v[4:5], v[14:15], 3, v[2:3]
	v_add_nc_u64_e32 v[10:11], s[24:25], v[2:3]
	s_delay_alu instid0(VALU_DEP_2) | instskip(NEXT) | instid1(VALU_DEP_1)
	v_add_nc_u64_e32 v[4:5], s[24:25], v[4:5]
	v_add_nc_u64_e32 v[2:3], 8, v[4:5]
	s_delay_alu instid0(VALU_DEP_3)
	v_lshl_add_u64 v[4:5], v[6:7], 3, v[10:11]
	s_branch .LBB88_48
.LBB88_47:                              ;   in Loop: Header=BB88_48 Depth=1
	s_or_b32 exec_lo, exec_lo, s34
	s_delay_alu instid0(SALU_CYCLE_1) | instskip(NEXT) | instid1(SALU_CYCLE_1)
	s_and_b32 s34, exec_lo, s31
	s_or_b32 s27, s34, s27
	s_and_not1_b32 s28, s28, exec_lo
	s_and_b32 s34, s30, exec_lo
	s_delay_alu instid0(SALU_CYCLE_1)
	s_or_b32 s28, s28, s34
	s_and_not1_b32 exec_lo, exec_lo, s27
	s_cbranch_execz .LBB88_50
.LBB88_48:                              ; =>This Inner Loop Header: Depth=1
	s_or_b32 s30, s30, exec_lo
	s_or_b32 s31, s31, exec_lo
	s_mov_b32 s34, exec_lo
	s_delay_alu instid0(VALU_DEP_2)
	v_cmpx_lt_u64_e64 v[2:3], v[4:5]
	s_cbranch_execz .LBB88_47
; %bb.49:                               ;   in Loop: Header=BB88_48 Depth=1
	global_load_b128 v[10:13], v[2:3], off offset:-8
	s_and_not1_b32 s31, s31, exec_lo
	s_wait_xcnt 0x0
	v_add_nc_u64_e32 v[2:3], 8, v[2:3]
	s_and_not1_b32 s30, s30, exec_lo
	s_wait_loadcnt 0x0
	v_cmp_ge_i64_e32 vcc_lo, v[10:11], v[12:13]
	s_or_b32 s35, s29, vcc_lo
	s_delay_alu instid0(SALU_CYCLE_1) | instskip(NEXT) | instid1(SALU_CYCLE_1)
	s_and_b32 s35, s35, exec_lo
	s_or_b32 s31, s31, s35
	s_branch .LBB88_47
.LBB88_50:
	s_or_b32 exec_lo, exec_lo, s27
	s_delay_alu instid0(SALU_CYCLE_1)
	s_mov_b32 s27, exec_lo
	s_or_not1_b32 s29, s28, exec_lo
.LBB88_51:
	s_or_b32 exec_lo, exec_lo, s1
	s_mov_b32 s28, 0
	s_and_saveexec_b32 s1, s29
	s_delay_alu instid0(SALU_CYCLE_1)
	s_xor_b32 s1, exec_lo, s1
; %bb.52:
	v_cmp_ne_u64_e32 vcc_lo, v[44:45], v[38:39]
	s_mov_b32 s28, exec_lo
	s_and_not1_b32 s27, s27, exec_lo
	s_and_b32 s0, vcc_lo, exec_lo
; %bb.53:
	s_or_b32 exec_lo, exec_lo, s1
	s_delay_alu instid0(SALU_CYCLE_1)
	s_and_b32 s29, s27, exec_lo
	s_xor_b32 s1, exec_lo, -1
	s_and_b32 s27, s28, exec_lo
	s_and_b32 s28, s0, exec_lo
.LBB88_54:
	s_or_b32 exec_lo, exec_lo, s56
	s_delay_alu instid0(SALU_CYCLE_1)
	s_and_b32 s30, s29, exec_lo
	s_and_b32 s29, s1, exec_lo
	s_xor_b32 s1, exec_lo, -1
	s_and_b32 s27, s27, exec_lo
	s_and_b32 s0, s28, exec_lo
.LBB88_55:
	s_or_b32 exec_lo, exec_lo, s55
	s_delay_alu instid0(SALU_CYCLE_1)
	s_and_b32 s30, s30, exec_lo
	s_and_b32 s29, s29, exec_lo
	;; [unrolled: 1-line block ×4, first 2 shown]
	s_or_not1_b32 s0, s0, exec_lo
.LBB88_56:
	s_or_b32 exec_lo, exec_lo, s54
	s_delay_alu instid0(SALU_CYCLE_1)
	s_and_not1_b32 s27, s52, exec_lo
	s_and_b32 s30, s30, exec_lo
	s_and_b32 s29, s29, exec_lo
	s_or_b32 s52, s27, s30
	s_and_b32 s28, s28, exec_lo
	s_and_b32 s27, s1, exec_lo
	;; [unrolled: 1-line block ×3, first 2 shown]
.LBB88_57:
	s_or_b32 exec_lo, exec_lo, s53
	s_delay_alu instid0(SALU_CYCLE_1)
	s_and_b32 s30, s52, exec_lo
	s_or_not1_b32 s1, s29, exec_lo
	s_and_b32 s29, s28, exec_lo
	s_and_b32 s28, s27, exec_lo
	;; [unrolled: 1-line block ×3, first 2 shown]
.LBB88_58:
	s_or_b32 exec_lo, exec_lo, s51
	s_delay_alu instid0(SALU_CYCLE_1)
	s_and_b32 s30, s30, exec_lo
	s_and_b32 s31, s1, exec_lo
	s_or_not1_b32 s1, s29, exec_lo
	s_and_b32 s28, s28, exec_lo
	s_and_b32 s0, s27, exec_lo
.LBB88_59:
	s_or_b32 exec_lo, exec_lo, s50
	s_delay_alu instid0(SALU_CYCLE_1)
	s_and_b32 s30, s30, exec_lo
	s_and_b32 s29, s31, exec_lo
	;; [unrolled: 1-line block ×4, first 2 shown]
	s_or_not1_b32 s0, s0, exec_lo
.LBB88_60:
	s_or_b32 exec_lo, exec_lo, s49
	s_delay_alu instid0(SALU_CYCLE_1)
	s_and_not1_b32 s28, s47, exec_lo
	s_and_b32 s30, s30, exec_lo
	s_and_b32 s31, s29, exec_lo
	s_or_b32 s47, s28, s30
	s_and_b32 s29, s27, exec_lo
	s_and_b32 s28, s1, exec_lo
	;; [unrolled: 1-line block ×3, first 2 shown]
.LBB88_61:
	s_or_b32 exec_lo, exec_lo, s48
	s_delay_alu instid0(SALU_CYCLE_1)
	s_and_b32 s30, s46, exec_lo
	s_and_b32 s27, s47, exec_lo
	s_or_not1_b32 s1, s31, exec_lo
	s_and_b32 s34, s29, exec_lo
	s_and_b32 s28, s28, exec_lo
	;; [unrolled: 1-line block ×3, first 2 shown]
.LBB88_62:
	s_or_b32 exec_lo, exec_lo, s45
	s_delay_alu instid0(SALU_CYCLE_1)
	s_and_b32 s31, s30, exec_lo
	s_and_b32 s30, s27, exec_lo
	;; [unrolled: 1-line block ×3, first 2 shown]
	s_or_not1_b32 s0, s34, exec_lo
	s_and_b32 s28, s28, exec_lo
	s_and_b32 s29, s29, exec_lo
.LBB88_63:
	s_or_b32 exec_lo, exec_lo, s44
	s_delay_alu instid0(SALU_CYCLE_1)
	s_and_b32 s1, s31, exec_lo
	s_and_b32 s36, s30, exec_lo
	;; [unrolled: 1-line block ×5, first 2 shown]
	s_or_not1_b32 s29, s29, exec_lo
.LBB88_64:
	s_or_b32 exec_lo, exec_lo, s43
	s_and_saveexec_b32 s30, s29
	s_cbranch_execnz .LBB88_211
.LBB88_65:
	s_or_b32 exec_lo, exec_lo, s30
	s_mov_b32 s29, 0
	s_and_saveexec_b32 s30, s28
	s_delay_alu instid0(SALU_CYCLE_1)
	s_xor_b32 s28, exec_lo, s30
	s_cbranch_execz .LBB88_67
; %bb.66:
	s_wait_loadcnt 0x0
	v_cmp_ne_u64_e32 vcc_lo, v[32:33], v[34:35]
	s_and_not1_b32 s0, s0, exec_lo
	s_mov_b32 s29, exec_lo
	s_and_b32 s30, vcc_lo, exec_lo
	s_delay_alu instid0(SALU_CYCLE_1)
	s_or_b32 s0, s0, s30
.LBB88_67:
	s_or_b32 exec_lo, exec_lo, s28
	s_and_saveexec_b32 s28, s0
	s_cbranch_execnz .LBB88_212
.LBB88_68:
	s_or_b32 exec_lo, exec_lo, s28
	s_mov_b32 s28, 0
	s_and_saveexec_b32 s0, s29
	s_delay_alu instid0(SALU_CYCLE_1)
	s_xor_b32 s29, exec_lo, s0
	s_cbranch_execnz .LBB88_104
; %bb.69:
	s_or_b32 exec_lo, exec_lo, s29
	s_and_saveexec_b32 s0, s27
	s_cbranch_execnz .LBB88_105
.LBB88_70:
	s_or_b32 exec_lo, exec_lo, s0
	s_mov_b32 s0, 0
	s_and_saveexec_b32 s37, s28
	s_cbranch_execnz .LBB88_106
.LBB88_71:
	s_or_b32 exec_lo, exec_lo, s37
	s_and_saveexec_b32 s1, s36
	s_cbranch_execnz .LBB88_152
.LBB88_72:
	s_or_b32 exec_lo, exec_lo, s1
	s_and_saveexec_b32 s1, s0
	s_delay_alu instid0(SALU_CYCLE_1)
	s_xor_b32 s0, exec_lo, s1
	s_cbranch_execz .LBB88_74
.LBB88_73:
	s_mov_b32 s24, 0
	s_add_nc_u64 s[2:3], s[4:5], s[22:23]
	s_mov_b32 s25, s24
	s_mov_b32 s26, s24
	;; [unrolled: 1-line block ×3, first 2 shown]
	v_mov_b64_e32 v[2:3], s[24:25]
	v_mov_b64_e32 v[4:5], s[26:27]
	s_clause 0x1
	global_store_b128 v1, v[2:5], s[2:3]
	global_store_b128 v1, v[2:5], s[2:3] offset:16
.LBB88_74:
	s_wait_xcnt 0x0
	s_or_b32 exec_lo, exec_lo, s0
	s_mov_b32 s0, 0
.LBB88_75:
	s_delay_alu instid0(SALU_CYCLE_1)
	s_and_b32 vcc_lo, exec_lo, s0
	s_cbranch_vccz .LBB88_95
; %bb.76:
	v_mov_b64_e32 v[26:27], 0
	v_mov_b64_e32 v[36:37], 0
	;; [unrolled: 1-line block ×3, first 2 shown]
	s_wait_loadcnt 0x0
	v_mov_b64_e32 v[32:33], 0
	v_mov_b64_e32 v[34:35], 0
	;; [unrolled: 1-line block ×3, first 2 shown]
	v_cmp_gt_i32_e64 s0, s33, v0
	v_or_b32_e32 v1, 0x100, v0
	v_mov_b32_e32 v42, v0
	s_and_saveexec_b32 s1, s0
	s_cbranch_execz .LBB88_78
; %bb.77:
	v_or_b32_e32 v2, s16, v0
	v_or_b32_e32 v42, 0x100, v0
	s_clause 0x4
	global_load_b64 v[32:33], v2, s[10:11] scale_offset
	global_load_b64 v[36:37], v2, s[6:7] scale_offset
	global_load_b64 v[38:39], v2, s[8:9] scale_offset
	global_load_b64 v[34:35], v2, s[12:13] scale_offset
	global_load_b64 v[40:41], v2, s[14:15] scale_offset
.LBB88_78:
	s_wait_xcnt 0x0
	s_or_b32 exec_lo, exec_lo, s1
	v_mov_b64_e32 v[28:29], 0
	v_mov_b64_e32 v[22:23], 0
	;; [unrolled: 1-line block ×4, first 2 shown]
	s_mov_b32 s1, exec_lo
	v_cmpx_gt_i32_e64 s33, v42
	s_cbranch_execz .LBB88_80
; %bb.79:
	v_add_nc_u32_e32 v2, s16, v42
	v_add_nc_u32_e32 v42, 0x100, v42
	s_clause 0x4
	global_load_b64 v[22:23], v2, s[10:11] scale_offset
	global_load_b64 v[26:27], v2, s[6:7] scale_offset
	global_load_b64 v[28:29], v2, s[8:9] scale_offset
	global_load_b64 v[24:25], v2, s[12:13] scale_offset
	global_load_b64 v[30:31], v2, s[14:15] scale_offset
.LBB88_80:
	s_wait_xcnt 0x0
	s_or_b32 exec_lo, exec_lo, s1
	v_mov_b64_e32 v[10:11], 0
	v_mov_b64_e32 v[20:21], 0
	v_mov_b64_e32 v[16:17], 0
	v_mov_b64_e32 v[12:13], 0
	v_mov_b64_e32 v[14:15], 0
	v_mov_b64_e32 v[18:19], 0
	s_mov_b32 s1, exec_lo
	v_cmpx_gt_i32_e64 s33, v42
	s_cbranch_execz .LBB88_82
; %bb.81:
	v_add_nc_u32_e32 v2, s16, v42
	v_add_nc_u32_e32 v42, 0x100, v42
	s_clause 0x4
	global_load_b64 v[12:13], v2, s[10:11] scale_offset
	global_load_b64 v[20:21], v2, s[6:7] scale_offset
	global_load_b64 v[16:17], v2, s[8:9] scale_offset
	global_load_b64 v[14:15], v2, s[12:13] scale_offset
	global_load_b64 v[18:19], v2, s[14:15] scale_offset
.LBB88_82:
	s_wait_xcnt 0x0
	s_or_b32 exec_lo, exec_lo, s1
	v_mov_b64_e32 v[6:7], 0
	v_mov_b64_e32 v[2:3], 0
	;; [unrolled: 1-line block ×4, first 2 shown]
	s_mov_b32 s1, exec_lo
	v_cmpx_gt_i32_e64 s33, v42
	s_cbranch_execz .LBB88_84
; %bb.83:
	v_add_nc_u32_e32 v42, s16, v42
	s_clause 0x4
	global_load_b64 v[2:3], v42, s[10:11] scale_offset
	global_load_b64 v[10:11], v42, s[6:7] scale_offset
	;; [unrolled: 1-line block ×5, first 2 shown]
.LBB88_84:
	s_wait_xcnt 0x0
	s_or_b32 exec_lo, exec_lo, s1
	s_clause 0x1
	s_load_b256 s[8:15], s[18:19], 0x0
	s_load_b64 s[2:3], s[18:19], 0xa0
	s_cmp_lg_u64 s[20:21], 0
	s_get_pc_i64 s[6:7]
	s_add_nc_u64 s[6:7], s[6:7], .str.7@rel64+4
	s_get_pc_i64 s[20:21]
	s_add_nc_u64 s[20:21], s[20:21], .str.8@rel64+4
	s_cselect_b32 s38, -1, 0
	s_cmp_lg_u64 s[6:7], 0
	s_get_pc_i64 s[22:23]
	s_add_nc_u64 s[22:23], s[22:23], .str.9@rel64+4
	s_cselect_b32 s36, -1, 0
	s_cmp_lg_u64 s[20:21], 0
	s_mov_b32 s1, -1
	s_cselect_b32 s35, -1, 0
	s_mov_b32 s44, 0
	s_mov_b32 s42, 0
	;; [unrolled: 1-line block ×5, first 2 shown]
	s_wait_kmcnt 0x0
	s_add_co_i32 s6, s14, -1
	s_delay_alu instid0(SALU_CYCLE_1)
	s_cmp_gt_i32 s6, -1
	s_cselect_b32 s34, -1, 0
	s_cmp_lg_u64 s[22:23], 0
	s_cselect_b32 s15, -1, 0
	s_and_saveexec_b32 s40, s0
	s_cbranch_execnz .LBB88_113
; %bb.85:
	s_or_b32 exec_lo, exec_lo, s40
	s_mov_b32 s40, 0
	s_and_saveexec_b32 s43, s1
	s_cbranch_execnz .LBB88_161
.LBB88_86:
	s_or_b32 exec_lo, exec_lo, s43
	s_and_saveexec_b32 s1, s42
	s_cbranch_execnz .LBB88_210
.LBB88_87:
	s_or_b32 exec_lo, exec_lo, s1
	s_mov_b32 s1, 0
	s_and_saveexec_b32 s7, s44
	s_delay_alu instid0(SALU_CYCLE_1)
	s_xor_b32 s7, exec_lo, s7
	s_cbranch_execz .LBB88_89
; %bb.88:
	s_wait_loadcnt 0x2
	v_cmp_ne_u64_e32 vcc_lo, s[12:13], v[6:7]
	s_xor_b32 s8, s36, -1
	s_and_not1_b32 s9, s41, exec_lo
	s_mov_b32 s1, exec_lo
	s_or_b32 s8, s8, vcc_lo
	s_delay_alu instid0(SALU_CYCLE_1) | instskip(NEXT) | instid1(SALU_CYCLE_1)
	s_and_b32 s8, s8, exec_lo
	s_or_b32 s41, s9, s8
.LBB88_89:
	s_or_b32 exec_lo, exec_lo, s7
	s_and_saveexec_b32 s7, s41
	s_cbranch_execnz .LBB88_213
.LBB88_90:
	s_or_b32 exec_lo, exec_lo, s7
	s_mov_b32 s7, 0
	s_and_saveexec_b32 s8, s1
	s_delay_alu instid0(SALU_CYCLE_1)
	s_xor_b32 s8, exec_lo, s8
	s_cbranch_execnz .LBB88_123
; %bb.91:
	s_or_b32 exec_lo, exec_lo, s8
	s_and_saveexec_b32 s1, s39
	s_cbranch_execnz .LBB88_124
.LBB88_92:
	s_or_b32 exec_lo, exec_lo, s1
	s_and_saveexec_b32 s22, s7
	s_cbranch_execnz .LBB88_125
.LBB88_93:
	s_or_b32 exec_lo, exec_lo, s22
	s_and_saveexec_b32 s1, s37
	s_cbranch_execnz .LBB88_155
.LBB88_94:
	s_or_b32 exec_lo, exec_lo, s1
	s_and_saveexec_b32 s1, s17
	s_cbranch_execnz .LBB88_96
	s_branch .LBB88_97
.LBB88_95:
                                        ; implicit-def: $sgpr0
                                        ; implicit-def: $vgpr1
                                        ; implicit-def: $vgpr0
	s_and_saveexec_b32 s1, s17
.LBB88_96:
	; divergent unreachable
.LBB88_97:
	s_delay_alu instid0(SALU_CYCLE_1) | instskip(SKIP_1) | instid1(SALU_CYCLE_1)
	s_or_b32 exec_lo, exec_lo, s1
	s_and_saveexec_b32 s1, s40
	s_xor_b32 s1, exec_lo, s1
	s_cbranch_execz .LBB88_103
; %bb.98:
	s_and_saveexec_b32 s1, s0
	s_delay_alu instid0(SALU_CYCLE_1)
	s_xor_b32 s0, exec_lo, s1
	s_cbranch_execnz .LBB88_132
; %bb.99:
	s_or_b32 exec_lo, exec_lo, s0
	s_delay_alu instid0(SALU_CYCLE_1)
	s_mov_b32 s0, exec_lo
	v_cmpx_gt_i32_e64 s33, v0
	s_cbranch_execnz .LBB88_133
.LBB88_100:
	s_or_b32 exec_lo, exec_lo, s0
	s_delay_alu instid0(SALU_CYCLE_1)
	s_mov_b32 s0, exec_lo
	v_cmpx_gt_i32_e64 s33, v0
	s_cbranch_execnz .LBB88_134
.LBB88_101:
	s_or_b32 exec_lo, exec_lo, s0
	s_delay_alu instid0(SALU_CYCLE_1)
	s_mov_b32 s0, exec_lo
	v_cmpx_gt_i32_e64 s33, v0
	s_cbranch_execz .LBB88_103
.LBB88_102:
	s_wait_loadcnt 0x4
	v_mov_b64_e32 v[2:3], 0
	v_add_nc_u32_e32 v0, s16, v0
	global_store_b64 v0, v[2:3], s[4:5] scale_offset
.LBB88_103:
	s_endpgm
.LBB88_104:
	s_wait_loadcnt 0x0
	v_sub_nc_u64_e32 v[2:3], v[8:9], v[16:17]
	s_mov_b32 s28, exec_lo
	s_delay_alu instid0(VALU_DEP_1) | instskip(SKIP_3) | instid1(SALU_CYCLE_1)
	v_cmp_gt_i64_e32 vcc_lo, v[38:39], v[2:3]
	v_cmp_lt_i64_e64 s0, s[2:3], v[2:3]
	s_and_not1_b32 s2, s27, exec_lo
	s_or_b32 s0, vcc_lo, s0
	s_and_b32 s0, s0, exec_lo
	s_delay_alu instid0(SALU_CYCLE_1)
	s_or_b32 s27, s2, s0
	s_or_b32 exec_lo, exec_lo, s29
	s_and_saveexec_b32 s0, s27
	s_cbranch_execz .LBB88_70
.LBB88_105:
	s_or_b32 s17, s17, exec_lo
	s_and_not1_b32 s28, s28, exec_lo
	s_trap 2
	s_or_b32 exec_lo, exec_lo, s0
	s_mov_b32 s0, 0
	s_and_saveexec_b32 s37, s28
	s_cbranch_execz .LBB88_71
.LBB88_106:
	v_mov_b64_e32 v[2:3], 0
	s_and_saveexec_b32 s38, s1
	s_cbranch_execz .LBB88_135
; %bb.107:
	s_wait_loadcnt 0x0
	v_mul_u64_e32 v[6:7], v[24:25], v[34:35]
	s_ashr_i32 s27, s26, 31
	v_mov_b64_e32 v[2:3], 0
	s_lshl_b64 s[0:1], s[26:27], 3
	v_mov_b32_e32 v4, 0
	s_add_nc_u64 s[0:1], s[18:19], s[0:1]
	s_mov_b64 s[2:3], 0xffffffff
	s_add_nc_u64 s[26:27], s[0:1], 32
	s_mov_b32 s1, 0
	s_branch .LBB88_109
.LBB88_108:                             ;   in Loop: Header=BB88_109 Depth=1
	s_or_b32 exec_lo, exec_lo, s0
	s_delay_alu instid0(VALU_DEP_1)
	v_mul_u64_e32 v[12:13], s[28:29], v[10:11]
	s_load_b64 s[28:29], s[26:27], 0x40
	s_add_co_i32 s41, s41, -1
	s_wait_xcnt 0x0
	s_add_nc_u64 s[26:27], s[26:27], -8
	s_cmp_lg_u32 s41, 0
	s_delay_alu instid0(VALU_DEP_1) | instskip(SKIP_1) | instid1(VALU_DEP_1)
	v_sub_nc_u64_e32 v[6:7], v[6:7], v[12:13]
	s_wait_kmcnt 0x0
	v_mad_nc_u64_u32 v[2:3], v6, s28, v[2:3]
	s_delay_alu instid0(VALU_DEP_1) | instskip(NEXT) | instid1(VALU_DEP_1)
	v_mad_u32 v3, v7, s28, v3
	v_mad_u32 v3, v6, s29, v3
	v_mov_b64_e32 v[6:7], v[10:11]
	s_cbranch_scc0 .LBB88_135
.LBB88_109:                             ; =>This Inner Loop Header: Depth=1
	s_load_b64 s[28:29], s[26:27], 0x0
                                        ; implicit-def: $vgpr10_vgpr11
	s_mov_b32 s0, exec_lo
	s_wait_kmcnt 0x0
	s_delay_alu instid0(VALU_DEP_1) | instskip(NEXT) | instid1(VALU_DEP_1)
	v_or_b32_e32 v5, s29, v7
	v_cmpx_ne_u64_e32 0, v[4:5]
	s_xor_b32 s39, exec_lo, s0
	s_cbranch_execz .LBB88_111
; %bb.110:                              ;   in Loop: Header=BB88_109 Depth=1
	s_ashr_i32 s30, s29, 31
	v_dual_mov_b32 v15, v4 :: v_dual_ashrrev_i32 v10, 31, v7
	s_mov_b32 s31, s30
	v_mov_b32_e32 v25, v4
	s_add_nc_u64 s[34:35], s[28:29], s[30:31]
	s_delay_alu instid0(VALU_DEP_2) | instskip(SKIP_1) | instid1(SALU_CYCLE_1)
	v_mov_b32_e32 v11, v10
	s_xor_b64 s[34:35], s[34:35], s[30:31]
	s_cvt_f32_u32 s0, s34
	s_cvt_f32_u32 s31, s35
	s_sub_nc_u64 s[46:47], 0, s[34:35]
	v_add_nc_u64_e32 v[12:13], v[6:7], v[10:11]
	v_mov_b32_e32 v21, v4
	s_fmamk_f32 s0, s31, 0x4f800000, s0
	s_delay_alu instid0(SALU_CYCLE_3) | instskip(NEXT) | instid1(VALU_DEP_2)
	v_s_rcp_f32 s0, s0
	v_xor_b32_e32 v14, v12, v10
	s_delay_alu instid0(VALU_DEP_3) | instskip(SKIP_1) | instid1(TRANS32_DEP_1)
	v_xor_b32_e32 v20, v13, v10
	v_xor_b32_e32 v10, s30, v10
	s_mul_f32 s0, s0, 0x5f7ffffc
	s_delay_alu instid0(SALU_CYCLE_3) | instskip(NEXT) | instid1(SALU_CYCLE_3)
	s_mul_f32 s31, s0, 0x2f800000
	s_trunc_f32 s31, s31
	s_delay_alu instid0(SALU_CYCLE_3) | instskip(SKIP_1) | instid1(SALU_CYCLE_2)
	s_fmamk_f32 s0, s31, 0xcf800000, s0
	s_cvt_u32_f32 s45, s31
	s_cvt_u32_f32 s44, s0
	s_delay_alu instid0(SALU_CYCLE_3) | instskip(NEXT) | instid1(SALU_CYCLE_1)
	s_mul_u64 s[48:49], s[46:47], s[44:45]
	s_mul_hi_u32 s51, s44, s49
	s_mul_i32 s50, s44, s49
	s_mul_hi_u32 s0, s44, s48
	s_mul_i32 s43, s45, s48
	s_add_nc_u64 s[50:51], s[0:1], s[50:51]
	s_mul_hi_u32 s31, s45, s48
	s_mul_hi_u32 s52, s45, s49
	s_add_co_u32 s0, s50, s43
	s_add_co_ci_u32 s0, s51, s31
	s_mul_i32 s48, s45, s49
	s_add_co_ci_u32 s49, s52, 0
	s_delay_alu instid0(SALU_CYCLE_1) | instskip(NEXT) | instid1(SALU_CYCLE_1)
	s_add_nc_u64 s[48:49], s[0:1], s[48:49]
	s_add_co_u32 s44, s44, s48
	s_cselect_b32 s0, -1, 0
	s_delay_alu instid0(SALU_CYCLE_1) | instskip(SKIP_1) | instid1(SALU_CYCLE_1)
	s_cmp_lg_u32 s0, 0
	s_add_co_ci_u32 s45, s45, s49
	s_mul_u64 s[46:47], s[46:47], s[44:45]
	s_delay_alu instid0(SALU_CYCLE_1)
	s_mul_hi_u32 s49, s44, s47
	s_mul_i32 s48, s44, s47
	s_mul_hi_u32 s0, s44, s46
	s_mul_i32 s43, s45, s46
	s_add_nc_u64 s[48:49], s[0:1], s[48:49]
	s_mul_hi_u32 s31, s45, s46
	s_mul_hi_u32 s50, s45, s47
	s_add_co_u32 s0, s48, s43
	s_add_co_ci_u32 s0, s49, s31
	s_mul_i32 s46, s45, s47
	s_add_co_ci_u32 s47, s50, 0
	s_delay_alu instid0(SALU_CYCLE_1) | instskip(NEXT) | instid1(SALU_CYCLE_1)
	s_add_nc_u64 s[46:47], s[0:1], s[46:47]
	s_add_co_u32 s44, s44, s46
	s_cselect_b32 s0, -1, 0
	v_mul_hi_u32 v24, v14, s44
	s_cmp_lg_u32 s0, 0
	s_add_co_ci_u32 s0, s45, s47
	s_and_b64 s[46:47], s[44:45], s[2:3]
	v_mul_u64_e32 v[18:19], s[0:1], v[14:15]
	v_mul_u64_e32 v[12:13], s[46:47], v[20:21]
	;; [unrolled: 1-line block ×3, first 2 shown]
	s_delay_alu instid0(VALU_DEP_3) | instskip(NEXT) | instid1(VALU_DEP_1)
	v_add_nc_u64_e32 v[18:19], v[24:25], v[18:19]
	v_add_co_u32 v5, vcc_lo, v18, v12
	s_delay_alu instid0(VALU_DEP_2) | instskip(NEXT) | instid1(VALU_DEP_4)
	v_add_co_ci_u32_e32 v24, vcc_lo, v19, v13, vcc_lo
	v_add_co_ci_u32_e32 v23, vcc_lo, 0, v23, vcc_lo
	s_delay_alu instid0(VALU_DEP_1) | instskip(NEXT) | instid1(VALU_DEP_1)
	v_add_nc_u64_e32 v[12:13], v[24:25], v[22:23]
	v_mul_u64_e32 v[18:19], s[34:35], v[12:13]
	s_delay_alu instid0(VALU_DEP_1) | instskip(NEXT) | instid1(VALU_DEP_2)
	v_sub_nc_u32_e32 v5, v20, v19
	v_sub_co_u32 v11, vcc_lo, v14, v18
	s_delay_alu instid0(VALU_DEP_1) | instskip(NEXT) | instid1(VALU_DEP_3)
	v_sub_co_ci_u32_e64 v20, null, v20, v19, vcc_lo
	v_subrev_co_ci_u32_e64 v5, null, s35, v5, vcc_lo
	s_delay_alu instid0(VALU_DEP_3) | instskip(SKIP_1) | instid1(VALU_DEP_3)
	v_sub_co_u32 v14, s0, v11, s34
	v_add_nc_u64_e32 v[18:19], 1, v[12:13]
	v_subrev_co_ci_u32_e64 v5, null, 0, v5, s0
	s_delay_alu instid0(VALU_DEP_3) | instskip(SKIP_1) | instid1(VALU_DEP_3)
	v_cmp_le_u32_e32 vcc_lo, s34, v14
	v_cndmask_b32_e64 v14, 0, -1, vcc_lo
	v_cmp_le_u32_e32 vcc_lo, s35, v5
	v_cndmask_b32_e64 v15, 0, -1, vcc_lo
	;; [unrolled: 2-line block ×4, first 2 shown]
	v_cmp_eq_u32_e32 vcc_lo, s35, v5
	v_cndmask_b32_e32 v5, v15, v14, vcc_lo
	v_cmp_eq_u32_e32 vcc_lo, s35, v20
	v_add_nc_u64_e32 v[14:15], 2, v[12:13]
	v_cndmask_b32_e32 v11, v21, v11, vcc_lo
	s_delay_alu instid0(VALU_DEP_4) | instskip(NEXT) | instid1(VALU_DEP_2)
	v_cmp_ne_u32_e32 vcc_lo, 0, v5
	v_cmp_ne_u32_e64 s0, 0, v11
	s_delay_alu instid0(VALU_DEP_4) | instskip(NEXT) | instid1(VALU_DEP_1)
	v_dual_cndmask_b32 v5, v19, v15, vcc_lo :: v_dual_cndmask_b32 v11, v18, v14, vcc_lo
	v_dual_cndmask_b32 v12, v12, v11, s0 :: v_dual_mov_b32 v11, v10
	s_delay_alu instid0(VALU_DEP_1) | instskip(NEXT) | instid1(VALU_DEP_1)
	v_dual_cndmask_b32 v5, v13, v5, s0 :: v_dual_bitop2_b32 v12, v12, v10 bitop3:0x14
	v_xor_b32_e32 v13, v5, v10
	s_delay_alu instid0(VALU_DEP_1)
	v_sub_nc_u64_e32 v[10:11], v[12:13], v[10:11]
.LBB88_111:                             ;   in Loop: Header=BB88_109 Depth=1
	s_and_not1_saveexec_b32 s0, s39
	s_cbranch_execz .LBB88_108
; %bb.112:                              ;   in Loop: Header=BB88_109 Depth=1
	v_cvt_f32_u32_e32 v5, s28
	s_sub_co_i32 s30, 0, s28
	s_delay_alu instid0(VALU_DEP_1) | instskip(SKIP_1) | instid1(TRANS32_DEP_1)
	v_rcp_iflag_f32_e32 v5, v5
	v_nop
	v_mul_f32_e32 v5, 0x4f7ffffe, v5
	s_delay_alu instid0(VALU_DEP_1) | instskip(NEXT) | instid1(VALU_DEP_1)
	v_cvt_u32_f32_e32 v5, v5
	v_mul_lo_u32 v10, s30, v5
	s_delay_alu instid0(VALU_DEP_1) | instskip(NEXT) | instid1(VALU_DEP_1)
	v_mul_hi_u32 v10, v5, v10
	v_add_nc_u32_e32 v5, v5, v10
	s_delay_alu instid0(VALU_DEP_1) | instskip(NEXT) | instid1(VALU_DEP_1)
	v_mul_hi_u32 v5, v6, v5
	v_mul_lo_u32 v10, v5, s28
	s_delay_alu instid0(VALU_DEP_1) | instskip(NEXT) | instid1(VALU_DEP_1)
	v_dual_add_nc_u32 v11, 1, v5 :: v_dual_sub_nc_u32 v10, v6, v10
	v_subrev_nc_u32_e32 v12, s28, v10
	v_cmp_le_u32_e32 vcc_lo, s28, v10
	s_delay_alu instid0(VALU_DEP_2) | instskip(NEXT) | instid1(VALU_DEP_1)
	v_dual_cndmask_b32 v10, v10, v12 :: v_dual_cndmask_b32 v5, v5, v11
	v_cmp_le_u32_e32 vcc_lo, s28, v10
	s_delay_alu instid0(VALU_DEP_2) | instskip(NEXT) | instid1(VALU_DEP_1)
	v_add_nc_u32_e32 v11, 1, v5
	v_dual_cndmask_b32 v10, v5, v11 :: v_dual_mov_b32 v11, v4
	s_branch .LBB88_108
.LBB88_113:
	s_wait_loadcnt 0x3
	v_cmp_eq_u64_e32 vcc_lo, s[8:9], v[36:37]
	s_mov_b32 s7, -1
	s_mov_b32 s1, 0
	s_mov_b32 s20, 0
	s_mov_b32 s21, 0
	s_mov_b32 s22, 0
	s_and_b32 s23, s38, vcc_lo
	s_delay_alu instid0(SALU_CYCLE_1)
	s_and_saveexec_b32 s37, s23
	s_cbranch_execz .LBB88_160
; %bb.114:
	s_wait_loadcnt 0x2
	v_cmp_eq_u64_e32 vcc_lo, s[12:13], v[38:39]
	s_and_b32 s22, s36, vcc_lo
	s_delay_alu instid0(SALU_CYCLE_1)
	s_and_saveexec_b32 s39, s22
	s_cbranch_execz .LBB88_159
; %bb.115:
	s_wait_loadcnt 0x1
	v_sub_nc_u64_e32 v[42:43], v[34:35], v[32:33]
	s_delay_alu instid0(VALU_DEP_1)
	v_cmp_le_i64_e32 vcc_lo, v[36:37], v[42:43]
	v_cmp_ge_i64_e64 s1, s[10:11], v[42:43]
	s_and_b32 s20, vcc_lo, s1
	s_mov_b32 s1, 0
	s_and_b32 s21, s35, s20
	s_mov_b32 s20, 0
	s_and_saveexec_b32 s41, s21
	s_cbranch_execz .LBB88_158
; %bb.116:
	v_cmp_lt_i64_e32 vcc_lo, 0, v[38:39]
	v_mov_b64_e32 v[36:37], 0
	s_and_b32 s1, vcc_lo, s34
	s_delay_alu instid0(SALU_CYCLE_1)
	s_and_saveexec_b32 s42, s1
	s_cbranch_execz .LBB88_145
; %bb.117:
	s_wait_loadcnt 0x0
	v_mul_u64_e32 v[40:41], v[40:41], v[38:39]
	s_ashr_i32 s7, s6, 31
	v_mov_b64_e32 v[36:37], 0
	s_lshl_b64 s[22:23], s[6:7], 3
	v_mov_b32_e32 v38, 0
	s_add_nc_u64 s[22:23], s[18:19], s[22:23]
	s_mov_b64 s[20:21], 0xffffffff
	s_add_nc_u64 s[22:23], s[22:23], 32
	s_mov_b32 s25, 0
	s_mov_b32 s7, s14
	s_branch .LBB88_119
.LBB88_118:                             ;   in Loop: Header=BB88_119 Depth=1
	s_or_b32 exec_lo, exec_lo, s1
	s_delay_alu instid0(VALU_DEP_1)
	v_mul_u64_e32 v[44:45], s[26:27], v[42:43]
	s_load_b64 s[26:27], s[22:23], 0x40
	s_add_co_i32 s7, s7, -1
	s_wait_xcnt 0x0
	s_add_nc_u64 s[22:23], s[22:23], -8
	s_cmp_eq_u32 s7, 0
	s_delay_alu instid0(VALU_DEP_1) | instskip(SKIP_1) | instid1(VALU_DEP_1)
	v_sub_nc_u64_e32 v[40:41], v[40:41], v[44:45]
	s_wait_kmcnt 0x0
	v_mad_nc_u64_u32 v[36:37], v40, s26, v[36:37]
	s_delay_alu instid0(VALU_DEP_1) | instskip(NEXT) | instid1(VALU_DEP_1)
	v_mad_u32 v37, v41, s26, v37
	v_mad_u32 v37, v40, s27, v37
	v_mov_b64_e32 v[40:41], v[42:43]
	s_cbranch_scc1 .LBB88_145
.LBB88_119:                             ; =>This Inner Loop Header: Depth=1
	s_load_b64 s[26:27], s[22:23], 0x0
                                        ; implicit-def: $vgpr42_vgpr43
	s_mov_b32 s1, exec_lo
	s_wait_kmcnt 0x0
	s_delay_alu instid0(VALU_DEP_1) | instskip(NEXT) | instid1(VALU_DEP_1)
	v_or_b32_e32 v39, s27, v41
	v_cmpx_ne_u64_e32 0, v[38:39]
	s_xor_b32 s43, exec_lo, s1
	s_cbranch_execz .LBB88_121
; %bb.120:                              ;   in Loop: Header=BB88_119 Depth=1
	s_ashr_i32 s28, s27, 31
	v_dual_mov_b32 v47, v38 :: v_dual_ashrrev_i32 v42, 31, v41
	s_mov_b32 s29, s28
	v_mov_b32_e32 v55, v38
	s_add_nc_u64 s[30:31], s[26:27], s[28:29]
	s_delay_alu instid0(VALU_DEP_2) | instskip(SKIP_1) | instid1(SALU_CYCLE_1)
	v_mov_b32_e32 v43, v42
	s_xor_b64 s[30:31], s[30:31], s[28:29]
	s_cvt_f32_u32 s1, s30
	s_cvt_f32_u32 s24, s31
	s_sub_nc_u64 s[48:49], 0, s[30:31]
	v_add_nc_u64_e32 v[44:45], v[40:41], v[42:43]
	v_mov_b32_e32 v51, v38
	s_fmamk_f32 s1, s24, 0x4f800000, s1
	s_delay_alu instid0(SALU_CYCLE_3) | instskip(NEXT) | instid1(VALU_DEP_2)
	v_s_rcp_f32 s1, s1
	v_xor_b32_e32 v46, v44, v42
	s_delay_alu instid0(VALU_DEP_3) | instskip(NEXT) | instid1(TRANS32_DEP_1)
	v_xor_b32_e32 v50, v45, v42
	s_mul_f32 s1, s1, 0x5f7ffffc
	s_delay_alu instid0(SALU_CYCLE_3) | instskip(NEXT) | instid1(SALU_CYCLE_3)
	s_mul_f32 s24, s1, 0x2f800000
	s_trunc_f32 s24, s24
	s_delay_alu instid0(SALU_CYCLE_3) | instskip(SKIP_1) | instid1(SALU_CYCLE_2)
	s_fmamk_f32 s1, s24, 0xcf800000, s1
	s_cvt_u32_f32 s47, s24
	s_cvt_u32_f32 s46, s1
	s_delay_alu instid0(SALU_CYCLE_3) | instskip(NEXT) | instid1(SALU_CYCLE_1)
	s_mul_u64 s[50:51], s[48:49], s[46:47]
	s_mul_hi_u32 s53, s46, s51
	s_mul_i32 s52, s46, s51
	s_mul_hi_u32 s24, s46, s50
	s_mul_i32 s29, s47, s50
	s_add_nc_u64 s[52:53], s[24:25], s[52:53]
	s_mul_hi_u32 s1, s47, s50
	s_mul_hi_u32 s45, s47, s51
	s_add_co_u32 s24, s52, s29
	s_add_co_ci_u32 s24, s53, s1
	s_mul_i32 s50, s47, s51
	s_add_co_ci_u32 s51, s45, 0
	s_delay_alu instid0(SALU_CYCLE_1) | instskip(NEXT) | instid1(SALU_CYCLE_1)
	s_add_nc_u64 s[50:51], s[24:25], s[50:51]
	s_add_co_u32 s46, s46, s50
	s_cselect_b32 s1, -1, 0
	s_delay_alu instid0(SALU_CYCLE_1) | instskip(SKIP_1) | instid1(SALU_CYCLE_1)
	s_cmp_lg_u32 s1, 0
	s_add_co_ci_u32 s47, s47, s51
	s_mul_u64 s[48:49], s[48:49], s[46:47]
	s_delay_alu instid0(SALU_CYCLE_1)
	s_mul_hi_u32 s51, s46, s49
	s_mul_i32 s50, s46, s49
	s_mul_hi_u32 s24, s46, s48
	s_mul_i32 s29, s47, s48
	s_add_nc_u64 s[50:51], s[24:25], s[50:51]
	s_mul_hi_u32 s1, s47, s48
	s_mul_hi_u32 s45, s47, s49
	s_add_co_u32 s24, s50, s29
	s_add_co_ci_u32 s24, s51, s1
	s_mul_i32 s48, s47, s49
	s_add_co_ci_u32 s49, s45, 0
	s_delay_alu instid0(SALU_CYCLE_1) | instskip(NEXT) | instid1(SALU_CYCLE_1)
	s_add_nc_u64 s[48:49], s[24:25], s[48:49]
	s_add_co_u32 s46, s46, s48
	s_cselect_b32 s1, -1, 0
	v_mul_hi_u32 v54, v46, s46
	s_cmp_lg_u32 s1, 0
	s_add_co_ci_u32 s24, s47, s49
	s_and_b64 s[48:49], s[46:47], s[20:21]
	v_mul_u64_e32 v[48:49], s[24:25], v[46:47]
	v_mul_u64_e32 v[44:45], s[48:49], v[50:51]
	v_mul_u64_e32 v[52:53], s[24:25], v[50:51]
	s_delay_alu instid0(VALU_DEP_3) | instskip(NEXT) | instid1(VALU_DEP_1)
	v_add_nc_u64_e32 v[48:49], v[54:55], v[48:49]
	v_add_co_u32 v39, vcc_lo, v48, v44
	s_delay_alu instid0(VALU_DEP_2) | instskip(NEXT) | instid1(VALU_DEP_4)
	v_add_co_ci_u32_e32 v54, vcc_lo, v49, v45, vcc_lo
	v_add_co_ci_u32_e32 v53, vcc_lo, 0, v53, vcc_lo
	s_delay_alu instid0(VALU_DEP_1) | instskip(NEXT) | instid1(VALU_DEP_1)
	v_add_nc_u64_e32 v[44:45], v[54:55], v[52:53]
	v_mul_u64_e32 v[48:49], s[30:31], v[44:45]
	s_delay_alu instid0(VALU_DEP_1) | instskip(NEXT) | instid1(VALU_DEP_2)
	v_sub_nc_u32_e32 v39, v50, v49
	v_sub_co_u32 v43, vcc_lo, v46, v48
	s_delay_alu instid0(VALU_DEP_1) | instskip(NEXT) | instid1(VALU_DEP_3)
	v_sub_co_ci_u32_e64 v50, null, v50, v49, vcc_lo
	v_subrev_co_ci_u32_e64 v39, null, s31, v39, vcc_lo
	s_delay_alu instid0(VALU_DEP_3) | instskip(SKIP_1) | instid1(VALU_DEP_3)
	v_sub_co_u32 v46, s1, v43, s30
	v_add_nc_u64_e32 v[48:49], 1, v[44:45]
	v_subrev_co_ci_u32_e64 v39, null, 0, v39, s1
	s_delay_alu instid0(VALU_DEP_3) | instskip(SKIP_1) | instid1(VALU_DEP_3)
	v_cmp_le_u32_e32 vcc_lo, s30, v46
	v_cndmask_b32_e64 v46, 0, -1, vcc_lo
	v_cmp_le_u32_e32 vcc_lo, s31, v39
	v_cndmask_b32_e64 v47, 0, -1, vcc_lo
	v_cmp_le_u32_e32 vcc_lo, s30, v43
	v_cndmask_b32_e64 v43, 0, -1, vcc_lo
	v_cmp_le_u32_e32 vcc_lo, s31, v50
	v_cndmask_b32_e64 v51, 0, -1, vcc_lo
	v_cmp_eq_u32_e32 vcc_lo, s31, v39
	v_cndmask_b32_e32 v39, v47, v46, vcc_lo
	v_cmp_eq_u32_e32 vcc_lo, s31, v50
	v_add_nc_u64_e32 v[46:47], 2, v[44:45]
	v_cndmask_b32_e32 v43, v51, v43, vcc_lo
	s_delay_alu instid0(VALU_DEP_4) | instskip(NEXT) | instid1(VALU_DEP_2)
	v_cmp_ne_u32_e32 vcc_lo, 0, v39
	v_cmp_ne_u32_e64 s1, 0, v43
	s_delay_alu instid0(VALU_DEP_4) | instskip(NEXT) | instid1(VALU_DEP_1)
	v_dual_cndmask_b32 v39, v49, v47, vcc_lo :: v_dual_cndmask_b32 v43, v48, v46, vcc_lo
	v_dual_cndmask_b32 v39, v45, v39, s1 :: v_dual_bitop2_b32 v42, s28, v42 bitop3:0x14
	s_delay_alu instid0(VALU_DEP_1) | instskip(NEXT) | instid1(VALU_DEP_2)
	v_dual_cndmask_b32 v44, v44, v43, s1 :: v_dual_mov_b32 v43, v42
	v_xor_b32_e32 v45, v39, v42
	s_delay_alu instid0(VALU_DEP_2) | instskip(NEXT) | instid1(VALU_DEP_1)
	v_xor_b32_e32 v44, v44, v42
	v_sub_nc_u64_e32 v[42:43], v[44:45], v[42:43]
.LBB88_121:                             ;   in Loop: Header=BB88_119 Depth=1
	s_and_not1_saveexec_b32 s1, s43
	s_cbranch_execz .LBB88_118
; %bb.122:                              ;   in Loop: Header=BB88_119 Depth=1
	v_cvt_f32_u32_e32 v39, s26
	s_sub_co_i32 s24, 0, s26
	s_delay_alu instid0(VALU_DEP_1) | instskip(SKIP_1) | instid1(TRANS32_DEP_1)
	v_rcp_iflag_f32_e32 v39, v39
	v_nop
	v_mul_f32_e32 v39, 0x4f7ffffe, v39
	s_delay_alu instid0(VALU_DEP_1) | instskip(NEXT) | instid1(VALU_DEP_1)
	v_cvt_u32_f32_e32 v39, v39
	v_mul_lo_u32 v42, s24, v39
	s_delay_alu instid0(VALU_DEP_1) | instskip(NEXT) | instid1(VALU_DEP_1)
	v_mul_hi_u32 v42, v39, v42
	v_add_nc_u32_e32 v39, v39, v42
	s_delay_alu instid0(VALU_DEP_1) | instskip(NEXT) | instid1(VALU_DEP_1)
	v_mul_hi_u32 v39, v40, v39
	v_mul_lo_u32 v42, v39, s26
	s_delay_alu instid0(VALU_DEP_1) | instskip(NEXT) | instid1(VALU_DEP_1)
	v_dual_add_nc_u32 v43, 1, v39 :: v_dual_sub_nc_u32 v42, v40, v42
	v_subrev_nc_u32_e32 v44, s26, v42
	v_cmp_le_u32_e32 vcc_lo, s26, v42
	s_delay_alu instid0(VALU_DEP_2) | instskip(NEXT) | instid1(VALU_DEP_1)
	v_dual_cndmask_b32 v42, v42, v44 :: v_dual_cndmask_b32 v39, v39, v43
	v_cmp_le_u32_e32 vcc_lo, s26, v42
	s_delay_alu instid0(VALU_DEP_2) | instskip(NEXT) | instid1(VALU_DEP_1)
	v_add_nc_u32_e32 v43, 1, v39
	v_dual_cndmask_b32 v42, v39, v43 :: v_dual_mov_b32 v43, v38
	s_branch .LBB88_118
.LBB88_123:
	s_wait_loadcnt 0x1
	v_sub_nc_u64_e32 v[12:13], v[4:5], v[2:3]
	s_and_not1_b32 s9, s39, exec_lo
	s_mov_b32 s7, exec_lo
	s_delay_alu instid0(VALU_DEP_1) | instskip(SKIP_2) | instid1(SALU_CYCLE_1)
	v_cmp_le_i64_e32 vcc_lo, v[10:11], v[12:13]
	v_cmp_ge_i64_e64 s1, s[10:11], v[12:13]
	s_and_b32 s1, vcc_lo, s1
	s_and_b32 s1, s35, s1
	s_delay_alu instid0(SALU_CYCLE_1) | instskip(NEXT) | instid1(SALU_CYCLE_1)
	s_xor_b32 s1, s1, -1
	s_and_b32 s1, s1, exec_lo
	s_delay_alu instid0(SALU_CYCLE_1)
	s_or_b32 s39, s9, s1
	s_or_b32 exec_lo, exec_lo, s8
	s_and_saveexec_b32 s1, s39
	s_cbranch_execz .LBB88_92
.LBB88_124:
	s_or_b32 s17, s17, exec_lo
	s_and_not1_b32 s7, s7, exec_lo
	s_trap 2
	s_or_b32 exec_lo, exec_lo, s1
	s_and_saveexec_b32 s22, s7
	s_cbranch_execz .LBB88_93
.LBB88_125:
	s_wait_loadcnt 0x2
	v_cmp_lt_i64_e32 vcc_lo, 0, v[6:7]
	v_mov_b64_e32 v[10:11], 0
	s_and_b32 s1, vcc_lo, s34
	s_delay_alu instid0(SALU_CYCLE_1)
	s_and_saveexec_b32 s23, s1
	s_cbranch_execz .LBB88_140
; %bb.126:
	s_wait_loadcnt 0x0
	v_mul_u64_e32 v[8:9], v[8:9], v[6:7]
	s_ashr_i32 s7, s6, 31
	v_mov_b64_e32 v[10:11], 0
	s_lshl_b64 s[8:9], s[6:7], 3
	v_mov_b32_e32 v6, 0
	s_add_nc_u64 s[8:9], s[18:19], s[8:9]
	s_mov_b64 s[6:7], 0xffffffff
	s_add_nc_u64 s[8:9], s[8:9], 32
	s_mov_b32 s11, 0
	s_branch .LBB88_128
.LBB88_127:                             ;   in Loop: Header=BB88_128 Depth=1
	s_or_b32 exec_lo, exec_lo, s1
	s_delay_alu instid0(VALU_DEP_1)
	v_mul_u64_e32 v[14:15], s[12:13], v[12:13]
	s_load_b64 s[12:13], s[8:9], 0x40
	s_add_co_i32 s14, s14, -1
	s_wait_xcnt 0x0
	s_add_nc_u64 s[8:9], s[8:9], -8
	s_cmp_lg_u32 s14, 0
	s_delay_alu instid0(VALU_DEP_1) | instskip(SKIP_1) | instid1(VALU_DEP_1)
	v_sub_nc_u64_e32 v[8:9], v[8:9], v[14:15]
	s_wait_kmcnt 0x0
	v_mad_nc_u64_u32 v[10:11], v8, s12, v[10:11]
	s_delay_alu instid0(VALU_DEP_1) | instskip(NEXT) | instid1(VALU_DEP_1)
	v_mad_u32 v7, v9, s12, v11
	v_mad_u32 v11, v8, s13, v7
	v_mov_b64_e32 v[8:9], v[12:13]
	s_cbranch_scc0 .LBB88_140
.LBB88_128:                             ; =>This Inner Loop Header: Depth=1
	s_load_b64 s[12:13], s[8:9], 0x0
                                        ; implicit-def: $vgpr12_vgpr13
	s_mov_b32 s1, exec_lo
	s_wait_kmcnt 0x0
	s_delay_alu instid0(VALU_DEP_1) | instskip(NEXT) | instid1(VALU_DEP_1)
	v_or_b32_e32 v7, s13, v9
	v_cmpx_ne_u64_e32 0, v[6:7]
	s_xor_b32 s24, exec_lo, s1
	s_cbranch_execz .LBB88_130
; %bb.129:                              ;   in Loop: Header=BB88_128 Depth=1
	s_ashr_i32 s18, s13, 31
	v_dual_mov_b32 v17, v6 :: v_dual_ashrrev_i32 v12, 31, v9
	s_mov_b32 s19, s18
	s_delay_alu instid0(SALU_CYCLE_1) | instskip(NEXT) | instid1(VALU_DEP_1)
	s_add_nc_u64 s[20:21], s[12:13], s[18:19]
	v_mov_b32_e32 v13, v12
	s_xor_b64 s[20:21], s[20:21], s[18:19]
	s_delay_alu instid0(SALU_CYCLE_1)
	s_cvt_f32_u32 s1, s20
	s_cvt_f32_u32 s10, s21
	s_sub_nc_u64 s[28:29], 0, s[20:21]
	v_add_nc_u64_e32 v[14:15], v[8:9], v[12:13]
	v_mov_b32_e32 v21, v6
	s_fmamk_f32 s1, s10, 0x4f800000, s1
	s_delay_alu instid0(SALU_CYCLE_3) | instskip(NEXT) | instid1(VALU_DEP_2)
	v_s_rcp_f32 s1, s1
	v_xor_b32_e32 v16, v14, v12
	s_delay_alu instid0(VALU_DEP_3) | instskip(SKIP_1) | instid1(TRANS32_DEP_1)
	v_dual_mov_b32 v25, v6 :: v_dual_bitop2_b32 v20, v15, v12 bitop3:0x14
	v_xor_b32_e32 v12, s18, v12
	s_mul_f32 s1, s1, 0x5f7ffffc
	s_delay_alu instid0(SALU_CYCLE_3) | instskip(NEXT) | instid1(SALU_CYCLE_3)
	s_mul_f32 s10, s1, 0x2f800000
	s_trunc_f32 s10, s10
	s_delay_alu instid0(SALU_CYCLE_3) | instskip(SKIP_1) | instid1(SALU_CYCLE_2)
	s_fmamk_f32 s1, s10, 0xcf800000, s1
	s_cvt_u32_f32 s27, s10
	s_cvt_u32_f32 s26, s1
	s_delay_alu instid0(SALU_CYCLE_3) | instskip(NEXT) | instid1(SALU_CYCLE_1)
	s_mul_u64 s[30:31], s[28:29], s[26:27]
	s_mul_hi_u32 s35, s26, s31
	s_mul_i32 s34, s26, s31
	s_mul_hi_u32 s10, s26, s30
	s_mul_i32 s19, s27, s30
	s_add_nc_u64 s[34:35], s[10:11], s[34:35]
	s_mul_hi_u32 s1, s27, s30
	s_mul_hi_u32 s25, s27, s31
	s_add_co_u32 s10, s34, s19
	s_add_co_ci_u32 s10, s35, s1
	s_mul_i32 s30, s27, s31
	s_add_co_ci_u32 s31, s25, 0
	s_delay_alu instid0(SALU_CYCLE_1) | instskip(NEXT) | instid1(SALU_CYCLE_1)
	s_add_nc_u64 s[30:31], s[10:11], s[30:31]
	s_add_co_u32 s26, s26, s30
	s_cselect_b32 s1, -1, 0
	s_delay_alu instid0(SALU_CYCLE_1) | instskip(SKIP_1) | instid1(SALU_CYCLE_1)
	s_cmp_lg_u32 s1, 0
	s_add_co_ci_u32 s27, s27, s31
	s_mul_u64 s[28:29], s[28:29], s[26:27]
	s_delay_alu instid0(SALU_CYCLE_1)
	s_mul_hi_u32 s31, s26, s29
	s_mul_i32 s30, s26, s29
	s_mul_hi_u32 s10, s26, s28
	s_mul_i32 s19, s27, s28
	s_add_nc_u64 s[30:31], s[10:11], s[30:31]
	s_mul_hi_u32 s1, s27, s28
	s_mul_hi_u32 s25, s27, s29
	s_add_co_u32 s10, s30, s19
	s_add_co_ci_u32 s10, s31, s1
	s_mul_i32 s28, s27, s29
	s_add_co_ci_u32 s29, s25, 0
	s_delay_alu instid0(SALU_CYCLE_1) | instskip(NEXT) | instid1(SALU_CYCLE_1)
	s_add_nc_u64 s[28:29], s[10:11], s[28:29]
	s_add_co_u32 s26, s26, s28
	s_cselect_b32 s1, -1, 0
	v_mul_hi_u32 v24, v16, s26
	s_cmp_lg_u32 s1, 0
	s_add_co_ci_u32 s10, s27, s29
	s_and_b64 s[28:29], s[26:27], s[6:7]
	v_mul_u64_e32 v[18:19], s[10:11], v[16:17]
	v_mul_u64_e32 v[14:15], s[28:29], v[20:21]
	;; [unrolled: 1-line block ×3, first 2 shown]
	s_delay_alu instid0(VALU_DEP_3) | instskip(NEXT) | instid1(VALU_DEP_1)
	v_add_nc_u64_e32 v[18:19], v[24:25], v[18:19]
	v_add_co_u32 v7, vcc_lo, v18, v14
	s_delay_alu instid0(VALU_DEP_2) | instskip(NEXT) | instid1(VALU_DEP_4)
	v_add_co_ci_u32_e32 v24, vcc_lo, v19, v15, vcc_lo
	v_add_co_ci_u32_e32 v23, vcc_lo, 0, v23, vcc_lo
	s_delay_alu instid0(VALU_DEP_1) | instskip(NEXT) | instid1(VALU_DEP_1)
	v_add_nc_u64_e32 v[14:15], v[24:25], v[22:23]
	v_mul_u64_e32 v[18:19], s[20:21], v[14:15]
	s_delay_alu instid0(VALU_DEP_1) | instskip(NEXT) | instid1(VALU_DEP_2)
	v_sub_nc_u32_e32 v7, v20, v19
	v_sub_co_u32 v13, vcc_lo, v16, v18
	s_delay_alu instid0(VALU_DEP_1) | instskip(NEXT) | instid1(VALU_DEP_3)
	v_sub_co_ci_u32_e64 v20, null, v20, v19, vcc_lo
	v_subrev_co_ci_u32_e64 v7, null, s21, v7, vcc_lo
	s_delay_alu instid0(VALU_DEP_3) | instskip(SKIP_1) | instid1(VALU_DEP_3)
	v_sub_co_u32 v16, s1, v13, s20
	v_add_nc_u64_e32 v[18:19], 1, v[14:15]
	v_subrev_co_ci_u32_e64 v7, null, 0, v7, s1
	s_delay_alu instid0(VALU_DEP_3) | instskip(SKIP_1) | instid1(VALU_DEP_3)
	v_cmp_le_u32_e32 vcc_lo, s20, v16
	v_cndmask_b32_e64 v16, 0, -1, vcc_lo
	v_cmp_le_u32_e32 vcc_lo, s21, v7
	v_cndmask_b32_e64 v17, 0, -1, vcc_lo
	;; [unrolled: 2-line block ×4, first 2 shown]
	v_cmp_eq_u32_e32 vcc_lo, s21, v7
	v_cndmask_b32_e32 v7, v17, v16, vcc_lo
	v_cmp_eq_u32_e32 vcc_lo, s21, v20
	v_add_nc_u64_e32 v[16:17], 2, v[14:15]
	v_cndmask_b32_e32 v13, v21, v13, vcc_lo
	s_delay_alu instid0(VALU_DEP_4) | instskip(NEXT) | instid1(VALU_DEP_2)
	v_cmp_ne_u32_e32 vcc_lo, 0, v7
	v_cmp_ne_u32_e64 s1, 0, v13
	s_delay_alu instid0(VALU_DEP_4) | instskip(NEXT) | instid1(VALU_DEP_1)
	v_dual_cndmask_b32 v7, v19, v17, vcc_lo :: v_dual_cndmask_b32 v13, v18, v16, vcc_lo
	v_dual_cndmask_b32 v14, v14, v13, s1 :: v_dual_mov_b32 v13, v12
	s_delay_alu instid0(VALU_DEP_1) | instskip(NEXT) | instid1(VALU_DEP_1)
	v_dual_cndmask_b32 v7, v15, v7, s1 :: v_dual_bitop2_b32 v14, v14, v12 bitop3:0x14
	v_xor_b32_e32 v15, v7, v12
	s_delay_alu instid0(VALU_DEP_1)
	v_sub_nc_u64_e32 v[12:13], v[14:15], v[12:13]
.LBB88_130:                             ;   in Loop: Header=BB88_128 Depth=1
	s_and_not1_saveexec_b32 s1, s24
	s_cbranch_execz .LBB88_127
; %bb.131:                              ;   in Loop: Header=BB88_128 Depth=1
	v_cvt_f32_u32_e32 v7, s12
	s_sub_co_i32 s10, 0, s12
	s_delay_alu instid0(VALU_DEP_1) | instskip(SKIP_1) | instid1(TRANS32_DEP_1)
	v_rcp_iflag_f32_e32 v7, v7
	v_nop
	v_mul_f32_e32 v7, 0x4f7ffffe, v7
	s_delay_alu instid0(VALU_DEP_1) | instskip(NEXT) | instid1(VALU_DEP_1)
	v_cvt_u32_f32_e32 v7, v7
	v_mul_lo_u32 v12, s10, v7
	s_delay_alu instid0(VALU_DEP_1) | instskip(NEXT) | instid1(VALU_DEP_1)
	v_mul_hi_u32 v12, v7, v12
	v_add_nc_u32_e32 v7, v7, v12
	s_delay_alu instid0(VALU_DEP_1) | instskip(NEXT) | instid1(VALU_DEP_1)
	v_mul_hi_u32 v7, v8, v7
	v_mul_lo_u32 v12, v7, s12
	s_delay_alu instid0(VALU_DEP_1) | instskip(NEXT) | instid1(VALU_DEP_1)
	v_dual_add_nc_u32 v13, 1, v7 :: v_dual_sub_nc_u32 v12, v8, v12
	v_subrev_nc_u32_e32 v14, s12, v12
	v_cmp_le_u32_e32 vcc_lo, s12, v12
	s_delay_alu instid0(VALU_DEP_2) | instskip(NEXT) | instid1(VALU_DEP_1)
	v_dual_cndmask_b32 v12, v12, v14 :: v_dual_cndmask_b32 v7, v7, v13
	v_cmp_le_u32_e32 vcc_lo, s12, v12
	s_delay_alu instid0(VALU_DEP_2) | instskip(NEXT) | instid1(VALU_DEP_1)
	v_add_nc_u32_e32 v13, 1, v7
	v_dual_cndmask_b32 v12, v7, v13 :: v_dual_mov_b32 v13, v6
	s_branch .LBB88_127
.LBB88_132:
	s_wait_loadcnt 0x4
	v_mov_b64_e32 v[2:3], 0
	s_wait_loadcnt 0x1
	v_dual_mov_b32 v0, v1 :: v_dual_bitop2_b32 v4, s16, v0 bitop3:0x54
	global_store_b64 v4, v[2:3], s[4:5] scale_offset
	s_wait_xcnt 0x0
	s_or_b32 exec_lo, exec_lo, s0
	s_delay_alu instid0(SALU_CYCLE_1)
	s_mov_b32 s0, exec_lo
	v_cmpx_gt_i32_e64 s33, v0
	s_cbranch_execz .LBB88_100
.LBB88_133:
	s_wait_loadcnt 0x4
	v_mov_b64_e32 v[2:3], 0
	v_add_nc_u32_e32 v1, s16, v0
	v_add_nc_u32_e32 v0, 0x100, v0
	global_store_b64 v1, v[2:3], s[4:5] scale_offset
	s_wait_xcnt 0x0
	s_or_b32 exec_lo, exec_lo, s0
	s_delay_alu instid0(SALU_CYCLE_1)
	s_mov_b32 s0, exec_lo
	v_cmpx_gt_i32_e64 s33, v0
	s_cbranch_execz .LBB88_101
.LBB88_134:
	s_wait_loadcnt 0x4
	v_mov_b64_e32 v[2:3], 0
	v_add_nc_u32_e32 v1, s16, v0
	v_add_nc_u32_e32 v0, 0x100, v0
	global_store_b64 v1, v[2:3], s[4:5] scale_offset
	s_wait_xcnt 0x0
	s_or_b32 exec_lo, exec_lo, s0
	s_delay_alu instid0(SALU_CYCLE_1)
	s_mov_b32 s0, exec_lo
	v_cmpx_gt_i32_e64 s33, v0
	s_cbranch_execnz .LBB88_102
	s_branch .LBB88_103
.LBB88_135:
	s_or_b32 exec_lo, exec_lo, s38
	s_mov_b32 s1, s36
	s_mov_b32 s0, exec_lo
	s_wait_loadcnt 0x0
	v_cmpx_gt_i64_e64 v[8:9], v[16:17]
	s_cbranch_execz .LBB88_151
; %bb.136:
	s_delay_alu instid0(VALU_DEP_2) | instskip(SKIP_2) | instid1(VALU_DEP_1)
	v_lshlrev_b64_e32 v[2:3], 3, v[2:3]
	s_mov_b32 s1, 0
	s_xor_b32 s3, s42, -1
                                        ; implicit-def: $sgpr2
	v_lshl_add_u64 v[4:5], v[16:17], 3, v[2:3]
	v_add_nc_u64_e32 v[6:7], s[24:25], v[2:3]
	s_delay_alu instid0(VALU_DEP_2) | instskip(NEXT) | instid1(VALU_DEP_1)
	v_add_nc_u64_e32 v[4:5], s[24:25], v[4:5]
                                        ; implicit-def: $sgpr25
                                        ; implicit-def: $sgpr24
	v_add_nc_u64_e32 v[2:3], 8, v[4:5]
	s_delay_alu instid0(VALU_DEP_3)
	v_lshl_add_u64 v[4:5], v[8:9], 3, v[6:7]
	s_branch .LBB88_138
.LBB88_137:                             ;   in Loop: Header=BB88_138 Depth=1
	s_or_b32 exec_lo, exec_lo, s26
	s_xor_b32 s26, s24, -1
	s_and_b32 s27, exec_lo, s25
	s_delay_alu instid0(SALU_CYCLE_1) | instskip(SKIP_2) | instid1(SALU_CYCLE_1)
	s_or_b32 s1, s27, s1
	s_and_not1_b32 s2, s2, exec_lo
	s_and_b32 s26, s26, exec_lo
	s_or_b32 s2, s2, s26
	s_and_not1_b32 exec_lo, exec_lo, s1
	s_cbranch_execz .LBB88_150
.LBB88_138:                             ; =>This Inner Loop Header: Depth=1
	s_or_b32 s24, s24, exec_lo
	s_or_b32 s25, s25, exec_lo
	s_mov_b32 s26, exec_lo
	s_delay_alu instid0(VALU_DEP_2)
	v_cmpx_lt_u64_e64 v[2:3], v[4:5]
	s_cbranch_execz .LBB88_137
; %bb.139:                              ;   in Loop: Header=BB88_138 Depth=1
	global_load_b128 v[6:9], v[2:3], off offset:-8
	s_wait_xcnt 0x0
	v_add_nc_u64_e32 v[2:3], 8, v[2:3]
	s_and_not1_b32 s25, s25, exec_lo
	s_and_not1_b32 s24, s24, exec_lo
	s_wait_loadcnt 0x0
	v_cmp_ge_i64_e32 vcc_lo, v[6:7], v[8:9]
	s_or_b32 s27, s3, vcc_lo
	s_delay_alu instid0(SALU_CYCLE_1) | instskip(NEXT) | instid1(SALU_CYCLE_1)
	s_and_b32 s27, s27, exec_lo
	s_or_b32 s25, s25, s27
	s_branch .LBB88_137
.LBB88_140:
	s_or_b32 exec_lo, exec_lo, s23
	s_mov_b32 s6, s37
	s_mov_b32 s1, exec_lo
	s_wait_loadcnt 0x1
	v_cmpx_gt_i64_e64 v[4:5], v[2:3]
	s_cbranch_execz .LBB88_154
; %bb.141:
	s_delay_alu instid0(VALU_DEP_2) | instskip(SKIP_1) | instid1(VALU_DEP_1)
	v_lshlrev_b64_e32 v[6:7], 3, v[10:11]
	s_xor_b32 s6, s15, -1
                                        ; implicit-def: $sgpr8
                                        ; implicit-def: $sgpr7
	v_lshl_add_u64 v[2:3], v[2:3], 3, v[6:7]
	v_add_nc_u64_e32 v[6:7], s[2:3], v[6:7]
	s_delay_alu instid0(VALU_DEP_2) | instskip(SKIP_1) | instid1(VALU_DEP_2)
	v_add_nc_u64_e32 v[2:3], s[2:3], v[2:3]
	s_mov_b32 s2, 0
                                        ; implicit-def: $sgpr3
	v_lshl_add_u64 v[4:5], v[4:5], 3, v[6:7]
	s_delay_alu instid0(VALU_DEP_2)
	v_add_nc_u64_e32 v[2:3], 8, v[2:3]
	s_branch .LBB88_143
.LBB88_142:                             ;   in Loop: Header=BB88_143 Depth=1
	s_or_b32 exec_lo, exec_lo, s9
	s_xor_b32 s9, s7, -1
	s_and_b32 s10, exec_lo, s8
	s_delay_alu instid0(SALU_CYCLE_1) | instskip(SKIP_2) | instid1(SALU_CYCLE_1)
	s_or_b32 s2, s10, s2
	s_and_not1_b32 s3, s3, exec_lo
	s_and_b32 s9, s9, exec_lo
	s_or_b32 s3, s3, s9
	s_and_not1_b32 exec_lo, exec_lo, s2
	s_cbranch_execz .LBB88_153
.LBB88_143:                             ; =>This Inner Loop Header: Depth=1
	s_or_b32 s7, s7, exec_lo
	s_or_b32 s8, s8, exec_lo
	s_mov_b32 s9, exec_lo
	s_delay_alu instid0(VALU_DEP_1)
	v_cmpx_lt_u64_e64 v[2:3], v[4:5]
	s_cbranch_execz .LBB88_142
; %bb.144:                              ;   in Loop: Header=BB88_143 Depth=1
	s_wait_loadcnt 0x0
	global_load_b128 v[6:9], v[2:3], off offset:-8
	s_wait_xcnt 0x0
	v_add_nc_u64_e32 v[2:3], 8, v[2:3]
	s_and_not1_b32 s8, s8, exec_lo
	s_and_not1_b32 s7, s7, exec_lo
	s_wait_loadcnt 0x0
	v_cmp_ge_i64_e32 vcc_lo, v[6:7], v[8:9]
	s_or_b32 s10, s6, vcc_lo
	s_delay_alu instid0(SALU_CYCLE_1) | instskip(NEXT) | instid1(SALU_CYCLE_1)
	s_and_b32 s10, s10, exec_lo
	s_or_b32 s8, s8, s10
	s_branch .LBB88_142
.LBB88_145:
	s_or_b32 exec_lo, exec_lo, s42
	s_mov_b32 s21, -1
	s_mov_b32 s7, 0
	s_mov_b32 s1, exec_lo
	v_cmpx_gt_i64_e64 v[34:35], v[32:33]
	s_cbranch_execz .LBB88_157
; %bb.146:
	s_delay_alu instid0(VALU_DEP_2) | instskip(SKIP_1) | instid1(VALU_DEP_1)
	v_lshlrev_b64_e32 v[36:37], 3, v[36:37]
	s_xor_b32 s21, s15, -1
                                        ; implicit-def: $sgpr20
                                        ; implicit-def: $sgpr23
                                        ; implicit-def: $sgpr22
	v_lshl_add_u64 v[32:33], v[32:33], 3, v[36:37]
	v_add_nc_u64_e32 v[36:37], s[2:3], v[36:37]
	s_delay_alu instid0(VALU_DEP_2) | instskip(NEXT) | instid1(VALU_DEP_2)
	v_add_nc_u64_e32 v[32:33], s[2:3], v[32:33]
	v_lshl_add_u64 v[34:35], v[34:35], 3, v[36:37]
	s_delay_alu instid0(VALU_DEP_2)
	v_add_nc_u64_e32 v[32:33], 8, v[32:33]
	s_branch .LBB88_148
.LBB88_147:                             ;   in Loop: Header=BB88_148 Depth=1
	s_or_b32 exec_lo, exec_lo, s24
	s_delay_alu instid0(SALU_CYCLE_1) | instskip(NEXT) | instid1(SALU_CYCLE_1)
	s_and_b32 s24, exec_lo, s23
	s_or_b32 s7, s24, s7
	s_and_not1_b32 s20, s20, exec_lo
	s_and_b32 s24, s22, exec_lo
	s_delay_alu instid0(SALU_CYCLE_1)
	s_or_b32 s20, s20, s24
	s_and_not1_b32 exec_lo, exec_lo, s7
	s_cbranch_execz .LBB88_156
.LBB88_148:                             ; =>This Inner Loop Header: Depth=1
	s_or_b32 s22, s22, exec_lo
	s_or_b32 s23, s23, exec_lo
	s_mov_b32 s24, exec_lo
	s_delay_alu instid0(VALU_DEP_1)
	v_cmpx_lt_u64_e64 v[32:33], v[34:35]
	s_cbranch_execz .LBB88_147
; %bb.149:                              ;   in Loop: Header=BB88_148 Depth=1
	global_load_b128 v[36:39], v[32:33], off offset:-8
	s_wait_xcnt 0x0
	v_add_nc_u64_e32 v[32:33], 8, v[32:33]
	s_and_not1_b32 s23, s23, exec_lo
	s_and_not1_b32 s22, s22, exec_lo
	s_wait_loadcnt 0x0
	v_cmp_ge_i64_e32 vcc_lo, v[36:37], v[38:39]
	s_or_b32 s25, s21, vcc_lo
	s_delay_alu instid0(SALU_CYCLE_1) | instskip(NEXT) | instid1(SALU_CYCLE_1)
	s_and_b32 s25, s25, exec_lo
	s_or_b32 s23, s23, s25
	s_branch .LBB88_147
.LBB88_150:
	s_or_b32 exec_lo, exec_lo, s1
	s_delay_alu instid0(SALU_CYCLE_1) | instskip(SKIP_1) | instid1(SALU_CYCLE_1)
	s_and_not1_b32 s1, s36, exec_lo
	s_and_b32 s2, s2, exec_lo
	s_or_b32 s1, s1, s2
.LBB88_151:
	s_or_b32 exec_lo, exec_lo, s0
	s_delay_alu instid0(SALU_CYCLE_1)
	s_and_not1_b32 s2, s36, exec_lo
	s_and_b32 s1, s1, exec_lo
	s_mov_b32 s0, exec_lo
	s_or_b32 s36, s2, s1
	s_or_b32 exec_lo, exec_lo, s37
	s_and_saveexec_b32 s1, s36
	s_cbranch_execz .LBB88_72
.LBB88_152:
	s_or_b32 s17, s17, exec_lo
	s_and_not1_b32 s0, s0, exec_lo
	s_trap 2
	s_or_b32 exec_lo, exec_lo, s1
	s_and_saveexec_b32 s1, s0
	s_delay_alu instid0(SALU_CYCLE_1)
	s_xor_b32 s0, exec_lo, s1
	s_cbranch_execnz .LBB88_73
	s_branch .LBB88_74
.LBB88_153:
	s_or_b32 exec_lo, exec_lo, s2
	s_delay_alu instid0(SALU_CYCLE_1) | instskip(SKIP_1) | instid1(SALU_CYCLE_1)
	s_and_not1_b32 s2, s37, exec_lo
	s_and_b32 s3, s3, exec_lo
	s_or_b32 s6, s2, s3
.LBB88_154:
	s_or_b32 exec_lo, exec_lo, s1
	s_delay_alu instid0(SALU_CYCLE_1)
	s_and_not1_b32 s1, s37, exec_lo
	s_and_b32 s2, s6, exec_lo
	s_or_b32 s40, s40, exec_lo
	s_or_b32 s37, s1, s2
	s_or_b32 exec_lo, exec_lo, s22
	s_and_saveexec_b32 s1, s37
	s_cbranch_execz .LBB88_94
.LBB88_155:
	s_and_not1_b32 s40, s40, exec_lo
	s_or_b32 s17, s17, exec_lo
	s_trap 2
	s_or_b32 exec_lo, exec_lo, s1
	s_and_saveexec_b32 s1, s17
	s_cbranch_execnz .LBB88_96
	s_branch .LBB88_97
.LBB88_156:
	s_or_b32 exec_lo, exec_lo, s7
	s_delay_alu instid0(SALU_CYCLE_1)
	s_mov_b32 s7, exec_lo
	s_or_not1_b32 s21, s20, exec_lo
.LBB88_157:
	s_or_b32 exec_lo, exec_lo, s1
	s_delay_alu instid0(SALU_CYCLE_1)
	s_and_b32 s20, s7, exec_lo
	s_xor_b32 s7, exec_lo, -1
	s_and_b32 s1, s21, exec_lo
.LBB88_158:
	s_or_b32 exec_lo, exec_lo, s41
	s_delay_alu instid0(SALU_CYCLE_1)
	s_and_b32 s21, s20, exec_lo
	s_and_b32 s20, s7, exec_lo
	s_xor_b32 s7, exec_lo, -1
	s_and_b32 s1, s1, exec_lo
.LBB88_159:
	s_or_b32 exec_lo, exec_lo, s39
	s_delay_alu instid0(SALU_CYCLE_1)
	s_and_b32 s22, s21, exec_lo
	s_and_b32 s21, s20, exec_lo
	;; [unrolled: 1-line block ×3, first 2 shown]
	s_xor_b32 s7, exec_lo, -1
	s_and_b32 s1, s1, exec_lo
.LBB88_160:
	s_or_b32 exec_lo, exec_lo, s37
	s_delay_alu instid0(SALU_CYCLE_1)
	s_and_b32 s37, s22, exec_lo
	s_and_b32 s39, s21, exec_lo
	;; [unrolled: 1-line block ×4, first 2 shown]
	s_or_not1_b32 s1, s1, exec_lo
	s_or_b32 exec_lo, exec_lo, s40
	s_mov_b32 s40, 0
	s_and_saveexec_b32 s43, s1
	s_cbranch_execz .LBB88_86
.LBB88_161:
	s_mov_b32 s1, -1
	s_mov_b32 s48, 0
	s_mov_b32 s44, s42
	;; [unrolled: 1-line block ×4, first 2 shown]
	s_mov_b32 s47, exec_lo
	v_cmpx_gt_i32_e64 s33, v1
	s_cbranch_execz .LBB88_182
; %bb.162:
	s_wait_loadcnt 0x3
	v_cmp_eq_u64_e32 vcc_lo, s[8:9], v[26:27]
	s_mov_b32 s7, -1
	s_mov_b32 s1, 0
	s_mov_b32 s21, s41
	;; [unrolled: 1-line block ×4, first 2 shown]
	s_and_b32 s23, s38, vcc_lo
	s_delay_alu instid0(SALU_CYCLE_1)
	s_and_saveexec_b32 s40, s23
	s_cbranch_execz .LBB88_181
; %bb.163:
	s_wait_loadcnt 0x2
	v_cmp_eq_u64_e32 vcc_lo, s[12:13], v[28:29]
	s_mov_b32 s21, s39
	s_and_b32 s22, s36, vcc_lo
	s_delay_alu instid0(SALU_CYCLE_1)
	s_and_saveexec_b32 s44, s22
	s_cbranch_execz .LBB88_180
; %bb.164:
	s_wait_loadcnt 0x1
	v_sub_nc_u64_e32 v[32:33], v[24:25], v[22:23]
	s_delay_alu instid0(VALU_DEP_1)
	v_cmp_le_i64_e32 vcc_lo, v[26:27], v[32:33]
	v_cmp_ge_i64_e64 s1, s[10:11], v[32:33]
	s_and_b32 s20, vcc_lo, s1
	s_mov_b32 s1, 0
	s_and_b32 s21, s35, s20
	s_mov_b32 s20, 0
	s_and_saveexec_b32 s45, s21
	s_cbranch_execz .LBB88_179
; %bb.165:
	v_cmp_lt_i64_e32 vcc_lo, 0, v[28:29]
	v_mov_b64_e32 v[26:27], 0
	s_and_b32 s1, vcc_lo, s34
	s_delay_alu instid0(SALU_CYCLE_1)
	s_and_saveexec_b32 s46, s1
	s_cbranch_execz .LBB88_172
; %bb.166:
	s_wait_loadcnt 0x0
	v_mul_u64_e32 v[30:31], v[30:31], v[28:29]
	s_ashr_i32 s7, s6, 31
	v_mov_b64_e32 v[26:27], 0
	s_lshl_b64 s[22:23], s[6:7], 3
	v_mov_b32_e32 v28, 0
	s_add_nc_u64 s[22:23], s[18:19], s[22:23]
	s_mov_b64 s[20:21], 0xffffffff
	s_add_nc_u64 s[22:23], s[22:23], 32
	s_mov_b32 s25, 0
	s_mov_b32 s7, s14
	s_branch .LBB88_168
.LBB88_167:                             ;   in Loop: Header=BB88_168 Depth=1
	s_or_b32 exec_lo, exec_lo, s1
	s_delay_alu instid0(VALU_DEP_1)
	v_mul_u64_e32 v[34:35], s[26:27], v[32:33]
	s_load_b64 s[26:27], s[22:23], 0x40
	s_add_co_i32 s7, s7, -1
	s_wait_xcnt 0x0
	s_add_nc_u64 s[22:23], s[22:23], -8
	s_cmp_lg_u32 s7, 0
	s_delay_alu instid0(VALU_DEP_1) | instskip(SKIP_1) | instid1(VALU_DEP_1)
	v_sub_nc_u64_e32 v[30:31], v[30:31], v[34:35]
	s_wait_kmcnt 0x0
	v_mad_nc_u64_u32 v[26:27], v30, s26, v[26:27]
	s_delay_alu instid0(VALU_DEP_1) | instskip(NEXT) | instid1(VALU_DEP_1)
	v_mad_u32 v27, v31, s26, v27
	v_mad_u32 v27, v30, s27, v27
	v_mov_b64_e32 v[30:31], v[32:33]
	s_cbranch_scc0 .LBB88_172
.LBB88_168:                             ; =>This Inner Loop Header: Depth=1
	s_load_b64 s[26:27], s[22:23], 0x0
                                        ; implicit-def: $vgpr32_vgpr33
	s_mov_b32 s1, exec_lo
	s_wait_kmcnt 0x0
	s_delay_alu instid0(VALU_DEP_1) | instskip(NEXT) | instid1(VALU_DEP_1)
	v_or_b32_e32 v29, s27, v31
	v_cmpx_ne_u64_e32 0, v[28:29]
	s_xor_b32 s49, exec_lo, s1
	s_cbranch_execz .LBB88_170
; %bb.169:                              ;   in Loop: Header=BB88_168 Depth=1
	s_ashr_i32 s28, s27, 31
	v_dual_mov_b32 v37, v28 :: v_dual_ashrrev_i32 v32, 31, v31
	s_mov_b32 s29, s28
	v_mov_b32_e32 v45, v28
	s_add_nc_u64 s[30:31], s[26:27], s[28:29]
	s_delay_alu instid0(VALU_DEP_2) | instskip(SKIP_1) | instid1(SALU_CYCLE_1)
	v_mov_b32_e32 v33, v32
	s_xor_b64 s[30:31], s[30:31], s[28:29]
	s_cvt_f32_u32 s1, s30
	s_cvt_f32_u32 s24, s31
	s_sub_nc_u64 s[52:53], 0, s[30:31]
	v_add_nc_u64_e32 v[34:35], v[30:31], v[32:33]
	v_mov_b32_e32 v41, v28
	s_fmamk_f32 s1, s24, 0x4f800000, s1
	s_delay_alu instid0(SALU_CYCLE_3) | instskip(NEXT) | instid1(VALU_DEP_2)
	v_s_rcp_f32 s1, s1
	v_xor_b32_e32 v36, v34, v32
	s_delay_alu instid0(VALU_DEP_3) | instskip(NEXT) | instid1(TRANS32_DEP_1)
	v_xor_b32_e32 v40, v35, v32
	s_mul_f32 s1, s1, 0x5f7ffffc
	s_delay_alu instid0(SALU_CYCLE_3) | instskip(NEXT) | instid1(SALU_CYCLE_3)
	s_mul_f32 s24, s1, 0x2f800000
	s_trunc_f32 s24, s24
	s_delay_alu instid0(SALU_CYCLE_3) | instskip(SKIP_1) | instid1(SALU_CYCLE_2)
	s_fmamk_f32 s1, s24, 0xcf800000, s1
	s_cvt_u32_f32 s51, s24
	s_cvt_u32_f32 s50, s1
	s_delay_alu instid0(SALU_CYCLE_3) | instskip(NEXT) | instid1(SALU_CYCLE_1)
	s_mul_u64 s[54:55], s[52:53], s[50:51]
	s_mul_hi_u32 s57, s50, s55
	s_mul_i32 s56, s50, s55
	s_mul_hi_u32 s24, s50, s54
	s_mul_i32 s29, s51, s54
	s_add_nc_u64 s[56:57], s[24:25], s[56:57]
	s_mul_hi_u32 s1, s51, s54
	s_mul_hi_u32 s58, s51, s55
	s_add_co_u32 s24, s56, s29
	s_add_co_ci_u32 s24, s57, s1
	s_mul_i32 s54, s51, s55
	s_add_co_ci_u32 s55, s58, 0
	s_delay_alu instid0(SALU_CYCLE_1) | instskip(NEXT) | instid1(SALU_CYCLE_1)
	s_add_nc_u64 s[54:55], s[24:25], s[54:55]
	s_add_co_u32 s50, s50, s54
	s_cselect_b32 s1, -1, 0
	s_delay_alu instid0(SALU_CYCLE_1) | instskip(SKIP_1) | instid1(SALU_CYCLE_1)
	s_cmp_lg_u32 s1, 0
	s_add_co_ci_u32 s51, s51, s55
	s_mul_u64 s[52:53], s[52:53], s[50:51]
	s_delay_alu instid0(SALU_CYCLE_1)
	s_mul_hi_u32 s55, s50, s53
	s_mul_i32 s54, s50, s53
	s_mul_hi_u32 s24, s50, s52
	s_mul_i32 s29, s51, s52
	s_add_nc_u64 s[54:55], s[24:25], s[54:55]
	s_mul_hi_u32 s1, s51, s52
	s_mul_hi_u32 s56, s51, s53
	s_add_co_u32 s24, s54, s29
	s_add_co_ci_u32 s24, s55, s1
	s_mul_i32 s52, s51, s53
	s_add_co_ci_u32 s53, s56, 0
	s_delay_alu instid0(SALU_CYCLE_1) | instskip(NEXT) | instid1(SALU_CYCLE_1)
	s_add_nc_u64 s[52:53], s[24:25], s[52:53]
	s_add_co_u32 s50, s50, s52
	s_cselect_b32 s1, -1, 0
	v_mul_hi_u32 v44, v36, s50
	s_cmp_lg_u32 s1, 0
	s_add_co_ci_u32 s24, s51, s53
	s_and_b64 s[52:53], s[50:51], s[20:21]
	v_mul_u64_e32 v[38:39], s[24:25], v[36:37]
	v_mul_u64_e32 v[34:35], s[52:53], v[40:41]
	;; [unrolled: 1-line block ×3, first 2 shown]
	s_delay_alu instid0(VALU_DEP_3) | instskip(NEXT) | instid1(VALU_DEP_1)
	v_add_nc_u64_e32 v[38:39], v[44:45], v[38:39]
	v_add_co_u32 v29, vcc_lo, v38, v34
	s_delay_alu instid0(VALU_DEP_2) | instskip(NEXT) | instid1(VALU_DEP_4)
	v_add_co_ci_u32_e32 v44, vcc_lo, v39, v35, vcc_lo
	v_add_co_ci_u32_e32 v43, vcc_lo, 0, v43, vcc_lo
	s_delay_alu instid0(VALU_DEP_1) | instskip(NEXT) | instid1(VALU_DEP_1)
	v_add_nc_u64_e32 v[34:35], v[44:45], v[42:43]
	v_mul_u64_e32 v[38:39], s[30:31], v[34:35]
	s_delay_alu instid0(VALU_DEP_1) | instskip(NEXT) | instid1(VALU_DEP_2)
	v_sub_nc_u32_e32 v29, v40, v39
	v_sub_co_u32 v33, vcc_lo, v36, v38
	s_delay_alu instid0(VALU_DEP_1) | instskip(NEXT) | instid1(VALU_DEP_3)
	v_sub_co_ci_u32_e64 v40, null, v40, v39, vcc_lo
	v_subrev_co_ci_u32_e64 v29, null, s31, v29, vcc_lo
	s_delay_alu instid0(VALU_DEP_3) | instskip(SKIP_1) | instid1(VALU_DEP_3)
	v_sub_co_u32 v36, s1, v33, s30
	v_add_nc_u64_e32 v[38:39], 1, v[34:35]
	v_subrev_co_ci_u32_e64 v29, null, 0, v29, s1
	s_delay_alu instid0(VALU_DEP_3) | instskip(SKIP_1) | instid1(VALU_DEP_3)
	v_cmp_le_u32_e32 vcc_lo, s30, v36
	v_cndmask_b32_e64 v36, 0, -1, vcc_lo
	v_cmp_le_u32_e32 vcc_lo, s31, v29
	v_cndmask_b32_e64 v37, 0, -1, vcc_lo
	;; [unrolled: 2-line block ×4, first 2 shown]
	v_cmp_eq_u32_e32 vcc_lo, s31, v29
	v_cndmask_b32_e32 v29, v37, v36, vcc_lo
	v_cmp_eq_u32_e32 vcc_lo, s31, v40
	v_add_nc_u64_e32 v[36:37], 2, v[34:35]
	v_cndmask_b32_e32 v33, v41, v33, vcc_lo
	s_delay_alu instid0(VALU_DEP_4) | instskip(NEXT) | instid1(VALU_DEP_2)
	v_cmp_ne_u32_e32 vcc_lo, 0, v29
	v_cmp_ne_u32_e64 s1, 0, v33
	s_delay_alu instid0(VALU_DEP_4) | instskip(NEXT) | instid1(VALU_DEP_1)
	v_dual_cndmask_b32 v29, v39, v37, vcc_lo :: v_dual_cndmask_b32 v33, v38, v36, vcc_lo
	v_dual_cndmask_b32 v29, v35, v29, s1 :: v_dual_bitop2_b32 v32, s28, v32 bitop3:0x14
	s_delay_alu instid0(VALU_DEP_1) | instskip(NEXT) | instid1(VALU_DEP_2)
	v_dual_cndmask_b32 v34, v34, v33, s1 :: v_dual_mov_b32 v33, v32
	v_xor_b32_e32 v35, v29, v32
	s_delay_alu instid0(VALU_DEP_2) | instskip(NEXT) | instid1(VALU_DEP_1)
	v_xor_b32_e32 v34, v34, v32
	v_sub_nc_u64_e32 v[32:33], v[34:35], v[32:33]
.LBB88_170:                             ;   in Loop: Header=BB88_168 Depth=1
	s_and_not1_saveexec_b32 s1, s49
	s_cbranch_execz .LBB88_167
; %bb.171:                              ;   in Loop: Header=BB88_168 Depth=1
	v_cvt_f32_u32_e32 v29, s26
	s_sub_co_i32 s24, 0, s26
	s_delay_alu instid0(VALU_DEP_1) | instskip(SKIP_1) | instid1(TRANS32_DEP_1)
	v_rcp_iflag_f32_e32 v29, v29
	v_nop
	v_mul_f32_e32 v29, 0x4f7ffffe, v29
	s_delay_alu instid0(VALU_DEP_1) | instskip(NEXT) | instid1(VALU_DEP_1)
	v_cvt_u32_f32_e32 v29, v29
	v_mul_lo_u32 v32, s24, v29
	s_delay_alu instid0(VALU_DEP_1) | instskip(NEXT) | instid1(VALU_DEP_1)
	v_mul_hi_u32 v32, v29, v32
	v_add_nc_u32_e32 v29, v29, v32
	s_delay_alu instid0(VALU_DEP_1) | instskip(NEXT) | instid1(VALU_DEP_1)
	v_mul_hi_u32 v29, v30, v29
	v_mul_lo_u32 v32, v29, s26
	s_delay_alu instid0(VALU_DEP_1) | instskip(NEXT) | instid1(VALU_DEP_1)
	v_dual_add_nc_u32 v33, 1, v29 :: v_dual_sub_nc_u32 v32, v30, v32
	v_subrev_nc_u32_e32 v34, s26, v32
	v_cmp_le_u32_e32 vcc_lo, s26, v32
	s_delay_alu instid0(VALU_DEP_2) | instskip(NEXT) | instid1(VALU_DEP_1)
	v_dual_cndmask_b32 v32, v32, v34 :: v_dual_cndmask_b32 v29, v29, v33
	v_cmp_le_u32_e32 vcc_lo, s26, v32
	s_delay_alu instid0(VALU_DEP_2) | instskip(NEXT) | instid1(VALU_DEP_1)
	v_add_nc_u32_e32 v33, 1, v29
	v_dual_cndmask_b32 v32, v29, v33 :: v_dual_mov_b32 v33, v28
	s_branch .LBB88_167
.LBB88_172:
	s_or_b32 exec_lo, exec_lo, s46
	s_mov_b32 s21, -1
	s_mov_b32 s7, 0
	s_mov_b32 s1, exec_lo
	v_cmpx_gt_i64_e64 v[24:25], v[22:23]
	s_cbranch_execz .LBB88_178
; %bb.173:
	s_delay_alu instid0(VALU_DEP_2) | instskip(SKIP_1) | instid1(VALU_DEP_1)
	v_lshlrev_b64_e32 v[26:27], 3, v[26:27]
	s_xor_b32 s21, s15, -1
                                        ; implicit-def: $sgpr20
                                        ; implicit-def: $sgpr23
                                        ; implicit-def: $sgpr22
	v_lshl_add_u64 v[22:23], v[22:23], 3, v[26:27]
	v_add_nc_u64_e32 v[26:27], s[2:3], v[26:27]
	s_delay_alu instid0(VALU_DEP_2) | instskip(NEXT) | instid1(VALU_DEP_2)
	v_add_nc_u64_e32 v[22:23], s[2:3], v[22:23]
	v_lshl_add_u64 v[24:25], v[24:25], 3, v[26:27]
	s_delay_alu instid0(VALU_DEP_2)
	v_add_nc_u64_e32 v[22:23], 8, v[22:23]
	s_branch .LBB88_175
.LBB88_174:                             ;   in Loop: Header=BB88_175 Depth=1
	s_or_b32 exec_lo, exec_lo, s24
	s_delay_alu instid0(SALU_CYCLE_1) | instskip(NEXT) | instid1(SALU_CYCLE_1)
	s_and_b32 s24, exec_lo, s23
	s_or_b32 s7, s24, s7
	s_and_not1_b32 s20, s20, exec_lo
	s_and_b32 s24, s22, exec_lo
	s_delay_alu instid0(SALU_CYCLE_1)
	s_or_b32 s20, s20, s24
	s_and_not1_b32 exec_lo, exec_lo, s7
	s_cbranch_execz .LBB88_177
.LBB88_175:                             ; =>This Inner Loop Header: Depth=1
	s_or_b32 s22, s22, exec_lo
	s_or_b32 s23, s23, exec_lo
	s_mov_b32 s24, exec_lo
	s_delay_alu instid0(VALU_DEP_1)
	v_cmpx_lt_u64_e64 v[22:23], v[24:25]
	s_cbranch_execz .LBB88_174
; %bb.176:                              ;   in Loop: Header=BB88_175 Depth=1
	global_load_b128 v[26:29], v[22:23], off offset:-8
	s_wait_xcnt 0x0
	v_add_nc_u64_e32 v[22:23], 8, v[22:23]
	s_and_not1_b32 s23, s23, exec_lo
	s_and_not1_b32 s22, s22, exec_lo
	s_wait_loadcnt 0x0
	v_cmp_ge_i64_e32 vcc_lo, v[26:27], v[28:29]
	s_or_b32 s25, s21, vcc_lo
	s_delay_alu instid0(SALU_CYCLE_1) | instskip(NEXT) | instid1(SALU_CYCLE_1)
	s_and_b32 s25, s25, exec_lo
	s_or_b32 s23, s23, s25
	s_branch .LBB88_174
.LBB88_177:
	s_or_b32 exec_lo, exec_lo, s7
	s_delay_alu instid0(SALU_CYCLE_1)
	s_mov_b32 s7, exec_lo
	s_or_not1_b32 s21, s20, exec_lo
.LBB88_178:
	s_or_b32 exec_lo, exec_lo, s1
	s_delay_alu instid0(SALU_CYCLE_1)
	s_and_b32 s20, s7, exec_lo
	s_xor_b32 s7, exec_lo, -1
	s_and_b32 s1, s21, exec_lo
.LBB88_179:
	s_or_b32 exec_lo, exec_lo, s45
	s_delay_alu instid0(SALU_CYCLE_1)
	s_and_not1_b32 s21, s39, exec_lo
	s_and_b32 s7, s7, exec_lo
	s_and_b32 s20, s20, exec_lo
	s_or_b32 s21, s21, s7
	s_xor_b32 s7, exec_lo, -1
	s_and_b32 s1, s1, exec_lo
.LBB88_180:
	s_or_b32 exec_lo, exec_lo, s44
	s_delay_alu instid0(SALU_CYCLE_1)
	s_and_not1_b32 s22, s39, exec_lo
	s_and_b32 s21, s21, exec_lo
	s_and_not1_b32 s23, s41, exec_lo
	s_and_b32 s7, s7, exec_lo
	s_and_b32 s20, s20, exec_lo
	s_or_b32 s22, s22, s21
	s_or_b32 s21, s23, s7
	s_xor_b32 s7, exec_lo, -1
	s_and_b32 s1, s1, exec_lo
.LBB88_181:
	s_or_b32 exec_lo, exec_lo, s40
	s_delay_alu instid0(SALU_CYCLE_1)
	s_and_not1_b32 s23, s39, exec_lo
	s_and_b32 s22, s22, exec_lo
	s_and_b32 s40, s20, exec_lo
	s_or_b32 s45, s23, s22
	s_and_not1_b32 s20, s41, exec_lo
	s_and_b32 s21, s21, exec_lo
	s_and_not1_b32 s22, s42, exec_lo
	s_and_b32 s7, s7, exec_lo
	s_or_b32 s46, s20, s21
	s_or_b32 s44, s22, s7
	s_or_not1_b32 s1, s1, exec_lo
.LBB88_182:
	s_or_b32 exec_lo, exec_lo, s47
	s_mov_b32 s21, 0
	s_and_saveexec_b32 s47, s1
	s_cbranch_execz .LBB88_209
; %bb.183:
	s_wait_loadcnt 0x4
	v_or_b32_e32 v22, 0x200, v0
	s_mov_b32 s23, -1
	s_mov_b32 s48, 0
	s_mov_b32 s1, s44
	;; [unrolled: 1-line block ×4, first 2 shown]
	s_mov_b32 s49, exec_lo
	v_cmpx_gt_i32_e64 s33, v22
	s_cbranch_execz .LBB88_204
; %bb.184:
	s_wait_loadcnt 0x3
	v_cmp_eq_u64_e32 vcc_lo, s[8:9], v[20:21]
	s_mov_b32 s1, -1
	s_mov_b32 s22, 0
	s_mov_b32 s23, s46
	;; [unrolled: 1-line block ×4, first 2 shown]
	s_and_b32 s20, s38, vcc_lo
	s_delay_alu instid0(SALU_CYCLE_1)
	s_and_saveexec_b32 s50, s20
	s_cbranch_execz .LBB88_203
; %bb.185:
	s_wait_loadcnt 0x2
	v_cmp_eq_u64_e32 vcc_lo, s[12:13], v[16:17]
	s_mov_b32 s20, 0
	s_mov_b32 s21, s45
	s_and_b32 s7, s36, vcc_lo
	s_delay_alu instid0(SALU_CYCLE_1)
	s_and_saveexec_b32 s51, s7
	s_cbranch_execz .LBB88_202
; %bb.186:
	s_wait_loadcnt 0x1
	v_sub_nc_u64_e32 v[22:23], v[14:15], v[12:13]
	s_mov_b32 s20, -1
	s_mov_b32 s7, 0
	s_delay_alu instid0(VALU_DEP_1) | instskip(SKIP_2) | instid1(SALU_CYCLE_1)
	v_cmp_le_i64_e32 vcc_lo, v[20:21], v[22:23]
	v_cmp_ge_i64_e64 s1, s[10:11], v[22:23]
	s_and_b32 s1, vcc_lo, s1
	s_and_b32 s21, s35, s1
	s_mov_b32 s1, 0
	s_and_saveexec_b32 s52, s21
	s_cbranch_execz .LBB88_201
; %bb.187:
	v_cmp_lt_i64_e32 vcc_lo, 0, v[16:17]
	v_mov_b64_e32 v[20:21], 0
	s_and_b32 s1, vcc_lo, s34
	s_delay_alu instid0(SALU_CYCLE_1)
	s_and_saveexec_b32 s53, s1
	s_cbranch_execz .LBB88_194
; %bb.188:
	s_wait_loadcnt 0x0
	v_mul_u64_e32 v[18:19], v[18:19], v[16:17]
	s_ashr_i32 s7, s6, 31
	v_mov_b64_e32 v[20:21], 0
	s_lshl_b64 s[22:23], s[6:7], 3
	v_mov_b32_e32 v16, 0
	s_add_nc_u64 s[22:23], s[18:19], s[22:23]
	s_mov_b64 s[20:21], 0xffffffff
	s_add_nc_u64 s[22:23], s[22:23], 32
	s_mov_b32 s25, 0
	s_mov_b32 s7, s14
	s_branch .LBB88_190
.LBB88_189:                             ;   in Loop: Header=BB88_190 Depth=1
	s_or_b32 exec_lo, exec_lo, s1
	s_delay_alu instid0(VALU_DEP_1)
	v_mul_u64_e32 v[24:25], s[26:27], v[22:23]
	s_load_b64 s[26:27], s[22:23], 0x40
	s_add_co_i32 s7, s7, -1
	s_wait_xcnt 0x0
	s_add_nc_u64 s[22:23], s[22:23], -8
	s_cmp_lg_u32 s7, 0
	s_delay_alu instid0(VALU_DEP_1) | instskip(SKIP_1) | instid1(VALU_DEP_1)
	v_sub_nc_u64_e32 v[18:19], v[18:19], v[24:25]
	s_wait_kmcnt 0x0
	v_mad_nc_u64_u32 v[20:21], v18, s26, v[20:21]
	s_delay_alu instid0(VALU_DEP_1) | instskip(NEXT) | instid1(VALU_DEP_1)
	v_mad_u32 v17, v19, s26, v21
	v_mad_u32 v21, v18, s27, v17
	v_mov_b64_e32 v[18:19], v[22:23]
	s_cbranch_scc0 .LBB88_194
.LBB88_190:                             ; =>This Inner Loop Header: Depth=1
	s_load_b64 s[26:27], s[22:23], 0x0
                                        ; implicit-def: $vgpr22_vgpr23
	s_mov_b32 s1, exec_lo
	s_wait_kmcnt 0x0
	s_delay_alu instid0(VALU_DEP_1) | instskip(NEXT) | instid1(VALU_DEP_1)
	v_or_b32_e32 v17, s27, v19
	v_cmpx_ne_u64_e32 0, v[16:17]
	s_xor_b32 s54, exec_lo, s1
	s_cbranch_execz .LBB88_192
; %bb.191:                              ;   in Loop: Header=BB88_190 Depth=1
	s_ashr_i32 s28, s27, 31
	v_dual_mov_b32 v27, v16 :: v_dual_ashrrev_i32 v22, 31, v19
	s_mov_b32 s29, s28
	s_delay_alu instid0(SALU_CYCLE_1) | instskip(NEXT) | instid1(VALU_DEP_1)
	s_add_nc_u64 s[30:31], s[26:27], s[28:29]
	v_mov_b32_e32 v23, v22
	s_xor_b64 s[30:31], s[30:31], s[28:29]
	s_delay_alu instid0(SALU_CYCLE_1)
	s_cvt_f32_u32 s1, s30
	s_cvt_f32_u32 s24, s31
	s_sub_nc_u64 s[58:59], 0, s[30:31]
	v_add_nc_u64_e32 v[24:25], v[18:19], v[22:23]
	v_mov_b32_e32 v31, v16
	s_fmamk_f32 s1, s24, 0x4f800000, s1
	s_delay_alu instid0(SALU_CYCLE_3) | instskip(NEXT) | instid1(VALU_DEP_2)
	v_s_rcp_f32 s1, s1
	v_xor_b32_e32 v26, v24, v22
	s_delay_alu instid0(VALU_DEP_3) | instskip(SKIP_1) | instid1(TRANS32_DEP_1)
	v_dual_mov_b32 v35, v16 :: v_dual_bitop2_b32 v30, v25, v22 bitop3:0x14
	v_xor_b32_e32 v22, s28, v22
	s_mul_f32 s1, s1, 0x5f7ffffc
	s_delay_alu instid0(SALU_CYCLE_3) | instskip(NEXT) | instid1(SALU_CYCLE_3)
	s_mul_f32 s24, s1, 0x2f800000
	s_trunc_f32 s24, s24
	s_delay_alu instid0(SALU_CYCLE_3) | instskip(SKIP_1) | instid1(SALU_CYCLE_2)
	s_fmamk_f32 s1, s24, 0xcf800000, s1
	s_cvt_u32_f32 s57, s24
	s_cvt_u32_f32 s56, s1
	s_delay_alu instid0(SALU_CYCLE_3) | instskip(NEXT) | instid1(SALU_CYCLE_1)
	s_mul_u64 s[60:61], s[58:59], s[56:57]
	s_mul_hi_u32 s63, s56, s61
	s_mul_i32 s62, s56, s61
	s_mul_hi_u32 s24, s56, s60
	s_mul_i32 s29, s57, s60
	s_add_nc_u64 s[62:63], s[24:25], s[62:63]
	s_mul_hi_u32 s1, s57, s60
	s_mul_hi_u32 s55, s57, s61
	s_add_co_u32 s24, s62, s29
	s_add_co_ci_u32 s24, s63, s1
	s_mul_i32 s60, s57, s61
	s_add_co_ci_u32 s61, s55, 0
	s_delay_alu instid0(SALU_CYCLE_1) | instskip(NEXT) | instid1(SALU_CYCLE_1)
	s_add_nc_u64 s[60:61], s[24:25], s[60:61]
	s_add_co_u32 s56, s56, s60
	s_cselect_b32 s1, -1, 0
	s_delay_alu instid0(SALU_CYCLE_1) | instskip(SKIP_1) | instid1(SALU_CYCLE_1)
	s_cmp_lg_u32 s1, 0
	s_add_co_ci_u32 s57, s57, s61
	s_mul_u64 s[58:59], s[58:59], s[56:57]
	s_delay_alu instid0(SALU_CYCLE_1)
	s_mul_hi_u32 s61, s56, s59
	s_mul_i32 s60, s56, s59
	s_mul_hi_u32 s24, s56, s58
	s_mul_i32 s29, s57, s58
	s_add_nc_u64 s[60:61], s[24:25], s[60:61]
	s_mul_hi_u32 s1, s57, s58
	s_mul_hi_u32 s55, s57, s59
	s_add_co_u32 s24, s60, s29
	s_add_co_ci_u32 s24, s61, s1
	s_mul_i32 s58, s57, s59
	s_add_co_ci_u32 s59, s55, 0
	s_delay_alu instid0(SALU_CYCLE_1) | instskip(NEXT) | instid1(SALU_CYCLE_1)
	s_add_nc_u64 s[58:59], s[24:25], s[58:59]
	s_add_co_u32 s56, s56, s58
	s_cselect_b32 s1, -1, 0
	v_mul_hi_u32 v34, v26, s56
	s_cmp_lg_u32 s1, 0
	s_add_co_ci_u32 s24, s57, s59
	s_and_b64 s[58:59], s[56:57], s[20:21]
	v_mul_u64_e32 v[28:29], s[24:25], v[26:27]
	v_mul_u64_e32 v[24:25], s[58:59], v[30:31]
	;; [unrolled: 1-line block ×3, first 2 shown]
	s_delay_alu instid0(VALU_DEP_3) | instskip(NEXT) | instid1(VALU_DEP_1)
	v_add_nc_u64_e32 v[28:29], v[34:35], v[28:29]
	v_add_co_u32 v17, vcc_lo, v28, v24
	s_delay_alu instid0(VALU_DEP_2) | instskip(NEXT) | instid1(VALU_DEP_4)
	v_add_co_ci_u32_e32 v34, vcc_lo, v29, v25, vcc_lo
	v_add_co_ci_u32_e32 v33, vcc_lo, 0, v33, vcc_lo
	s_delay_alu instid0(VALU_DEP_1) | instskip(NEXT) | instid1(VALU_DEP_1)
	v_add_nc_u64_e32 v[24:25], v[34:35], v[32:33]
	v_mul_u64_e32 v[28:29], s[30:31], v[24:25]
	s_delay_alu instid0(VALU_DEP_1) | instskip(NEXT) | instid1(VALU_DEP_2)
	v_sub_nc_u32_e32 v17, v30, v29
	v_sub_co_u32 v23, vcc_lo, v26, v28
	s_delay_alu instid0(VALU_DEP_1) | instskip(NEXT) | instid1(VALU_DEP_3)
	v_sub_co_ci_u32_e64 v30, null, v30, v29, vcc_lo
	v_subrev_co_ci_u32_e64 v17, null, s31, v17, vcc_lo
	s_delay_alu instid0(VALU_DEP_3) | instskip(SKIP_1) | instid1(VALU_DEP_3)
	v_sub_co_u32 v26, s1, v23, s30
	v_add_nc_u64_e32 v[28:29], 1, v[24:25]
	v_subrev_co_ci_u32_e64 v17, null, 0, v17, s1
	s_delay_alu instid0(VALU_DEP_3) | instskip(SKIP_1) | instid1(VALU_DEP_3)
	v_cmp_le_u32_e32 vcc_lo, s30, v26
	v_cndmask_b32_e64 v26, 0, -1, vcc_lo
	v_cmp_le_u32_e32 vcc_lo, s31, v17
	v_cndmask_b32_e64 v27, 0, -1, vcc_lo
	;; [unrolled: 2-line block ×4, first 2 shown]
	v_cmp_eq_u32_e32 vcc_lo, s31, v17
	v_cndmask_b32_e32 v17, v27, v26, vcc_lo
	v_cmp_eq_u32_e32 vcc_lo, s31, v30
	v_add_nc_u64_e32 v[26:27], 2, v[24:25]
	v_cndmask_b32_e32 v23, v31, v23, vcc_lo
	s_delay_alu instid0(VALU_DEP_4) | instskip(NEXT) | instid1(VALU_DEP_2)
	v_cmp_ne_u32_e32 vcc_lo, 0, v17
	v_cmp_ne_u32_e64 s1, 0, v23
	s_delay_alu instid0(VALU_DEP_4) | instskip(NEXT) | instid1(VALU_DEP_1)
	v_dual_cndmask_b32 v17, v29, v27, vcc_lo :: v_dual_cndmask_b32 v23, v28, v26, vcc_lo
	v_dual_cndmask_b32 v24, v24, v23, s1 :: v_dual_mov_b32 v23, v22
	s_delay_alu instid0(VALU_DEP_1) | instskip(NEXT) | instid1(VALU_DEP_1)
	v_dual_cndmask_b32 v17, v25, v17, s1 :: v_dual_bitop2_b32 v24, v24, v22 bitop3:0x14
	v_xor_b32_e32 v25, v17, v22
	s_delay_alu instid0(VALU_DEP_1)
	v_sub_nc_u64_e32 v[22:23], v[24:25], v[22:23]
.LBB88_192:                             ;   in Loop: Header=BB88_190 Depth=1
	s_and_not1_saveexec_b32 s1, s54
	s_cbranch_execz .LBB88_189
; %bb.193:                              ;   in Loop: Header=BB88_190 Depth=1
	v_cvt_f32_u32_e32 v17, s26
	s_sub_co_i32 s24, 0, s26
	s_delay_alu instid0(VALU_DEP_1) | instskip(SKIP_1) | instid1(TRANS32_DEP_1)
	v_rcp_iflag_f32_e32 v17, v17
	v_nop
	v_mul_f32_e32 v17, 0x4f7ffffe, v17
	s_delay_alu instid0(VALU_DEP_1) | instskip(NEXT) | instid1(VALU_DEP_1)
	v_cvt_u32_f32_e32 v17, v17
	v_mul_lo_u32 v22, s24, v17
	s_delay_alu instid0(VALU_DEP_1) | instskip(NEXT) | instid1(VALU_DEP_1)
	v_mul_hi_u32 v22, v17, v22
	v_add_nc_u32_e32 v17, v17, v22
	s_delay_alu instid0(VALU_DEP_1) | instskip(NEXT) | instid1(VALU_DEP_1)
	v_mul_hi_u32 v17, v18, v17
	v_mul_lo_u32 v22, v17, s26
	s_delay_alu instid0(VALU_DEP_1) | instskip(NEXT) | instid1(VALU_DEP_1)
	v_dual_add_nc_u32 v23, 1, v17 :: v_dual_sub_nc_u32 v22, v18, v22
	v_subrev_nc_u32_e32 v24, s26, v22
	v_cmp_le_u32_e32 vcc_lo, s26, v22
	s_delay_alu instid0(VALU_DEP_2) | instskip(NEXT) | instid1(VALU_DEP_1)
	v_dual_cndmask_b32 v22, v22, v24 :: v_dual_cndmask_b32 v17, v17, v23
	v_cmp_le_u32_e32 vcc_lo, s26, v22
	s_delay_alu instid0(VALU_DEP_2) | instskip(NEXT) | instid1(VALU_DEP_1)
	v_add_nc_u32_e32 v23, 1, v17
	v_dual_cndmask_b32 v22, v17, v23 :: v_dual_mov_b32 v23, v16
	s_branch .LBB88_189
.LBB88_194:
	s_or_b32 exec_lo, exec_lo, s53
	s_mov_b32 s7, -1
	s_mov_b32 s21, 0
	s_mov_b32 s1, exec_lo
	v_cmpx_gt_i64_e64 v[14:15], v[12:13]
	s_cbranch_execz .LBB88_200
; %bb.195:
	s_delay_alu instid0(VALU_DEP_2) | instskip(SKIP_2) | instid1(VALU_DEP_1)
	v_lshlrev_b64_e32 v[16:17], 3, v[20:21]
	s_mov_b32 s7, 0
	s_xor_b32 s21, s15, -1
                                        ; implicit-def: $sgpr20
                                        ; implicit-def: $sgpr23
                                        ; implicit-def: $sgpr22
	v_lshl_add_u64 v[12:13], v[12:13], 3, v[16:17]
	v_add_nc_u64_e32 v[16:17], s[2:3], v[16:17]
	s_delay_alu instid0(VALU_DEP_2) | instskip(NEXT) | instid1(VALU_DEP_2)
	v_add_nc_u64_e32 v[12:13], s[2:3], v[12:13]
	v_lshl_add_u64 v[14:15], v[14:15], 3, v[16:17]
	s_delay_alu instid0(VALU_DEP_2)
	v_add_nc_u64_e32 v[12:13], 8, v[12:13]
	s_branch .LBB88_197
.LBB88_196:                             ;   in Loop: Header=BB88_197 Depth=1
	s_or_b32 exec_lo, exec_lo, s24
	s_delay_alu instid0(SALU_CYCLE_1) | instskip(NEXT) | instid1(SALU_CYCLE_1)
	s_and_b32 s24, exec_lo, s23
	s_or_b32 s7, s24, s7
	s_and_not1_b32 s20, s20, exec_lo
	s_and_b32 s24, s22, exec_lo
	s_delay_alu instid0(SALU_CYCLE_1)
	s_or_b32 s20, s20, s24
	s_and_not1_b32 exec_lo, exec_lo, s7
	s_cbranch_execz .LBB88_199
.LBB88_197:                             ; =>This Inner Loop Header: Depth=1
	s_or_b32 s22, s22, exec_lo
	s_or_b32 s23, s23, exec_lo
	s_mov_b32 s24, exec_lo
	s_delay_alu instid0(VALU_DEP_1)
	v_cmpx_lt_u64_e64 v[12:13], v[14:15]
	s_cbranch_execz .LBB88_196
; %bb.198:                              ;   in Loop: Header=BB88_197 Depth=1
	s_wait_loadcnt 0x0
	global_load_b128 v[16:19], v[12:13], off offset:-8
	s_wait_xcnt 0x0
	v_add_nc_u64_e32 v[12:13], 8, v[12:13]
	s_and_not1_b32 s23, s23, exec_lo
	s_and_not1_b32 s22, s22, exec_lo
	s_wait_loadcnt 0x0
	v_cmp_ge_i64_e32 vcc_lo, v[16:17], v[18:19]
	s_or_b32 s25, s21, vcc_lo
	s_delay_alu instid0(SALU_CYCLE_1) | instskip(NEXT) | instid1(SALU_CYCLE_1)
	s_and_b32 s25, s25, exec_lo
	s_or_b32 s23, s23, s25
	s_branch .LBB88_196
.LBB88_199:
	s_or_b32 exec_lo, exec_lo, s7
	s_delay_alu instid0(SALU_CYCLE_1)
	s_mov_b32 s21, exec_lo
	s_or_not1_b32 s7, s20, exec_lo
.LBB88_200:
	s_or_b32 exec_lo, exec_lo, s1
	s_delay_alu instid0(SALU_CYCLE_1)
	s_and_b32 s1, s21, exec_lo
	s_xor_b32 s20, exec_lo, -1
	s_and_b32 s7, s7, exec_lo
.LBB88_201:
	s_or_b32 exec_lo, exec_lo, s52
	s_delay_alu instid0(SALU_CYCLE_1)
	s_and_not1_b32 s21, s45, exec_lo
	s_and_b32 s20, s20, exec_lo
	s_and_b32 s22, s1, exec_lo
	s_or_b32 s21, s21, s20
	s_xor_b32 s1, exec_lo, -1
	s_and_b32 s20, s7, exec_lo
.LBB88_202:
	s_or_b32 exec_lo, exec_lo, s51
	s_delay_alu instid0(SALU_CYCLE_1)
	s_and_b32 s7, s22, exec_lo
	s_and_not1_b32 s22, s45, exec_lo
	s_and_b32 s21, s21, exec_lo
	s_and_not1_b32 s23, s46, exec_lo
	s_and_b32 s1, s1, exec_lo
	s_or_b32 s21, s22, s21
	s_or_b32 s23, s23, s1
	s_xor_b32 s1, exec_lo, -1
	s_and_b32 s22, s20, exec_lo
.LBB88_203:
	s_or_b32 exec_lo, exec_lo, s50
	s_delay_alu instid0(SALU_CYCLE_1)
	s_and_not1_b32 s20, s45, exec_lo
	s_and_b32 s24, s21, exec_lo
	s_and_b32 s21, s7, exec_lo
	s_or_b32 s7, s20, s24
	s_and_not1_b32 s20, s46, exec_lo
	s_and_b32 s23, s23, exec_lo
	s_and_not1_b32 s24, s44, exec_lo
	s_and_b32 s1, s1, exec_lo
	s_or_b32 s20, s20, s23
	s_or_b32 s1, s24, s1
	s_or_not1_b32 s23, s22, exec_lo
.LBB88_204:
	s_or_b32 exec_lo, exec_lo, s49
	s_mov_b32 s24, 0
	s_and_saveexec_b32 s22, s23
	s_cbranch_execz .LBB88_208
; %bb.205:
	v_or_b32_e32 v12, 0x300, v0
	s_mov_b32 s23, 0
	s_mov_b32 s24, -1
	s_mov_b32 s25, s1
	s_mov_b32 s26, exec_lo
	v_cmpx_gt_i32_e64 s33, v12
	s_xor_b32 s26, exec_lo, s26
	s_cbranch_execz .LBB88_207
; %bb.206:
	s_wait_loadcnt 0x3
	v_cmp_ne_u64_e32 vcc_lo, s[8:9], v[10:11]
	s_xor_b32 s8, s38, -1
	s_and_not1_b32 s9, s1, exec_lo
	s_mov_b32 s23, exec_lo
	s_xor_b32 s24, exec_lo, -1
	s_or_b32 s8, s8, vcc_lo
	s_delay_alu instid0(SALU_CYCLE_1) | instskip(NEXT) | instid1(SALU_CYCLE_1)
	s_and_b32 s8, s8, exec_lo
	s_or_b32 s25, s9, s8
.LBB88_207:
	s_or_b32 exec_lo, exec_lo, s26
	s_delay_alu instid0(SALU_CYCLE_1)
	s_and_not1_b32 s1, s1, exec_lo
	s_and_b32 s8, s25, exec_lo
	s_and_b32 s24, s24, exec_lo
	s_and_not1_b32 s21, s21, exec_lo
	s_and_b32 s48, s23, exec_lo
	s_or_b32 s1, s1, s8
.LBB88_208:
	s_or_b32 exec_lo, exec_lo, s22
	s_delay_alu instid0(SALU_CYCLE_1)
	s_and_not1_b32 s8, s40, exec_lo
	s_and_b32 s9, s21, exec_lo
	s_and_b32 s7, s7, exec_lo
	s_or_b32 s40, s8, s9
	s_and_not1_b32 s8, s45, exec_lo
	s_and_not1_b32 s9, s46, exec_lo
	s_and_b32 s20, s20, exec_lo
	s_or_b32 s45, s8, s7
	s_and_not1_b32 s7, s44, exec_lo
	s_and_b32 s1, s1, exec_lo
	s_and_b32 s21, s24, exec_lo
	s_or_b32 s46, s9, s20
	s_and_b32 s48, s48, exec_lo
	s_or_b32 s44, s7, s1
.LBB88_209:
	s_or_b32 exec_lo, exec_lo, s47
	s_delay_alu instid0(SALU_CYCLE_1)
	s_and_not1_b32 s1, s37, exec_lo
	s_and_b32 s7, s40, exec_lo
	s_and_not1_b32 s8, s41, exec_lo
	s_or_b32 s37, s1, s7
	s_and_not1_b32 s1, s39, exec_lo
	s_and_b32 s7, s45, exec_lo
	s_and_b32 s9, s46, exec_lo
	s_or_b32 s39, s1, s7
	s_and_not1_b32 s1, s42, exec_lo
	s_and_b32 s7, s44, exec_lo
	s_and_b32 s40, s21, exec_lo
	s_or_b32 s41, s8, s9
	s_and_b32 s44, s48, exec_lo
	s_or_b32 s42, s1, s7
	s_or_b32 exec_lo, exec_lo, s43
	s_and_saveexec_b32 s1, s42
	s_cbranch_execz .LBB88_87
.LBB88_210:
	s_or_b32 s17, s17, exec_lo
	s_and_not1_b32 s44, s44, exec_lo
	s_trap 2
	s_branch .LBB88_87
.LBB88_211:
	s_mov_b32 s17, exec_lo
	s_and_not1_b32 s28, s28, exec_lo
	s_trap 2
	s_branch .LBB88_65
.LBB88_212:
	s_or_b32 s17, s17, exec_lo
	s_and_not1_b32 s29, s29, exec_lo
	s_trap 2
	s_branch .LBB88_68
.LBB88_213:
	s_or_b32 s17, s17, exec_lo
	s_and_not1_b32 s1, s1, exec_lo
	s_trap 2
	s_branch .LBB88_90
	.section	.rodata,"a",@progbits
	.p2align	6, 0x0
	.amdhsa_kernel _ZN2at6native29vectorized_elementwise_kernelILi16EZZZNS0_12_GLOBAL__N_142_validate_compressed_sparse_indices_kernelILNS2_8CDimNameE1ENS2_18CUDAKernelLauncherENS2_14EmptyVecKernelENS2_8DummyVecELm8EEEvRKNS_6TensorESA_lllENKUlvE1_clEvENKUlvE0_clEvEUllllllE_St5arrayIPcLm6EEEEviT0_T1_
		.amdhsa_group_segment_fixed_size 0
		.amdhsa_private_segment_fixed_size 0
		.amdhsa_kernarg_size 224
		.amdhsa_user_sgpr_count 2
		.amdhsa_user_sgpr_dispatch_ptr 0
		.amdhsa_user_sgpr_queue_ptr 0
		.amdhsa_user_sgpr_kernarg_segment_ptr 1
		.amdhsa_user_sgpr_dispatch_id 0
		.amdhsa_user_sgpr_kernarg_preload_length 0
		.amdhsa_user_sgpr_kernarg_preload_offset 0
		.amdhsa_user_sgpr_private_segment_size 0
		.amdhsa_wavefront_size32 1
		.amdhsa_uses_dynamic_stack 0
		.amdhsa_enable_private_segment 0
		.amdhsa_system_sgpr_workgroup_id_x 1
		.amdhsa_system_sgpr_workgroup_id_y 0
		.amdhsa_system_sgpr_workgroup_id_z 0
		.amdhsa_system_sgpr_workgroup_info 0
		.amdhsa_system_vgpr_workitem_id 0
		.amdhsa_next_free_vgpr 60
		.amdhsa_next_free_sgpr 69
		.amdhsa_named_barrier_count 0
		.amdhsa_reserve_vcc 1
		.amdhsa_float_round_mode_32 0
		.amdhsa_float_round_mode_16_64 0
		.amdhsa_float_denorm_mode_32 3
		.amdhsa_float_denorm_mode_16_64 3
		.amdhsa_fp16_overflow 0
		.amdhsa_memory_ordered 1
		.amdhsa_forward_progress 1
		.amdhsa_inst_pref_size 103
		.amdhsa_round_robin_scheduling 0
		.amdhsa_exception_fp_ieee_invalid_op 0
		.amdhsa_exception_fp_denorm_src 0
		.amdhsa_exception_fp_ieee_div_zero 0
		.amdhsa_exception_fp_ieee_overflow 0
		.amdhsa_exception_fp_ieee_underflow 0
		.amdhsa_exception_fp_ieee_inexact 0
		.amdhsa_exception_int_div_zero 0
	.end_amdhsa_kernel
	.section	.text._ZN2at6native29vectorized_elementwise_kernelILi16EZZZNS0_12_GLOBAL__N_142_validate_compressed_sparse_indices_kernelILNS2_8CDimNameE1ENS2_18CUDAKernelLauncherENS2_14EmptyVecKernelENS2_8DummyVecELm8EEEvRKNS_6TensorESA_lllENKUlvE1_clEvENKUlvE0_clEvEUllllllE_St5arrayIPcLm6EEEEviT0_T1_,"axG",@progbits,_ZN2at6native29vectorized_elementwise_kernelILi16EZZZNS0_12_GLOBAL__N_142_validate_compressed_sparse_indices_kernelILNS2_8CDimNameE1ENS2_18CUDAKernelLauncherENS2_14EmptyVecKernelENS2_8DummyVecELm8EEEvRKNS_6TensorESA_lllENKUlvE1_clEvENKUlvE0_clEvEUllllllE_St5arrayIPcLm6EEEEviT0_T1_,comdat
.Lfunc_end88:
	.size	_ZN2at6native29vectorized_elementwise_kernelILi16EZZZNS0_12_GLOBAL__N_142_validate_compressed_sparse_indices_kernelILNS2_8CDimNameE1ENS2_18CUDAKernelLauncherENS2_14EmptyVecKernelENS2_8DummyVecELm8EEEvRKNS_6TensorESA_lllENKUlvE1_clEvENKUlvE0_clEvEUllllllE_St5arrayIPcLm6EEEEviT0_T1_, .Lfunc_end88-_ZN2at6native29vectorized_elementwise_kernelILi16EZZZNS0_12_GLOBAL__N_142_validate_compressed_sparse_indices_kernelILNS2_8CDimNameE1ENS2_18CUDAKernelLauncherENS2_14EmptyVecKernelENS2_8DummyVecELm8EEEvRKNS_6TensorESA_lllENKUlvE1_clEvENKUlvE0_clEvEUllllllE_St5arrayIPcLm6EEEEviT0_T1_
                                        ; -- End function
	.set _ZN2at6native29vectorized_elementwise_kernelILi16EZZZNS0_12_GLOBAL__N_142_validate_compressed_sparse_indices_kernelILNS2_8CDimNameE1ENS2_18CUDAKernelLauncherENS2_14EmptyVecKernelENS2_8DummyVecELm8EEEvRKNS_6TensorESA_lllENKUlvE1_clEvENKUlvE0_clEvEUllllllE_St5arrayIPcLm6EEEEviT0_T1_.num_vgpr, 60
	.set _ZN2at6native29vectorized_elementwise_kernelILi16EZZZNS0_12_GLOBAL__N_142_validate_compressed_sparse_indices_kernelILNS2_8CDimNameE1ENS2_18CUDAKernelLauncherENS2_14EmptyVecKernelENS2_8DummyVecELm8EEEvRKNS_6TensorESA_lllENKUlvE1_clEvENKUlvE0_clEvEUllllllE_St5arrayIPcLm6EEEEviT0_T1_.num_agpr, 0
	.set _ZN2at6native29vectorized_elementwise_kernelILi16EZZZNS0_12_GLOBAL__N_142_validate_compressed_sparse_indices_kernelILNS2_8CDimNameE1ENS2_18CUDAKernelLauncherENS2_14EmptyVecKernelENS2_8DummyVecELm8EEEvRKNS_6TensorESA_lllENKUlvE1_clEvENKUlvE0_clEvEUllllllE_St5arrayIPcLm6EEEEviT0_T1_.numbered_sgpr, 69
	.set _ZN2at6native29vectorized_elementwise_kernelILi16EZZZNS0_12_GLOBAL__N_142_validate_compressed_sparse_indices_kernelILNS2_8CDimNameE1ENS2_18CUDAKernelLauncherENS2_14EmptyVecKernelENS2_8DummyVecELm8EEEvRKNS_6TensorESA_lllENKUlvE1_clEvENKUlvE0_clEvEUllllllE_St5arrayIPcLm6EEEEviT0_T1_.num_named_barrier, 0
	.set _ZN2at6native29vectorized_elementwise_kernelILi16EZZZNS0_12_GLOBAL__N_142_validate_compressed_sparse_indices_kernelILNS2_8CDimNameE1ENS2_18CUDAKernelLauncherENS2_14EmptyVecKernelENS2_8DummyVecELm8EEEvRKNS_6TensorESA_lllENKUlvE1_clEvENKUlvE0_clEvEUllllllE_St5arrayIPcLm6EEEEviT0_T1_.private_seg_size, 0
	.set _ZN2at6native29vectorized_elementwise_kernelILi16EZZZNS0_12_GLOBAL__N_142_validate_compressed_sparse_indices_kernelILNS2_8CDimNameE1ENS2_18CUDAKernelLauncherENS2_14EmptyVecKernelENS2_8DummyVecELm8EEEvRKNS_6TensorESA_lllENKUlvE1_clEvENKUlvE0_clEvEUllllllE_St5arrayIPcLm6EEEEviT0_T1_.uses_vcc, 1
	.set _ZN2at6native29vectorized_elementwise_kernelILi16EZZZNS0_12_GLOBAL__N_142_validate_compressed_sparse_indices_kernelILNS2_8CDimNameE1ENS2_18CUDAKernelLauncherENS2_14EmptyVecKernelENS2_8DummyVecELm8EEEvRKNS_6TensorESA_lllENKUlvE1_clEvENKUlvE0_clEvEUllllllE_St5arrayIPcLm6EEEEviT0_T1_.uses_flat_scratch, 0
	.set _ZN2at6native29vectorized_elementwise_kernelILi16EZZZNS0_12_GLOBAL__N_142_validate_compressed_sparse_indices_kernelILNS2_8CDimNameE1ENS2_18CUDAKernelLauncherENS2_14EmptyVecKernelENS2_8DummyVecELm8EEEvRKNS_6TensorESA_lllENKUlvE1_clEvENKUlvE0_clEvEUllllllE_St5arrayIPcLm6EEEEviT0_T1_.has_dyn_sized_stack, 0
	.set _ZN2at6native29vectorized_elementwise_kernelILi16EZZZNS0_12_GLOBAL__N_142_validate_compressed_sparse_indices_kernelILNS2_8CDimNameE1ENS2_18CUDAKernelLauncherENS2_14EmptyVecKernelENS2_8DummyVecELm8EEEvRKNS_6TensorESA_lllENKUlvE1_clEvENKUlvE0_clEvEUllllllE_St5arrayIPcLm6EEEEviT0_T1_.has_recursion, 0
	.set _ZN2at6native29vectorized_elementwise_kernelILi16EZZZNS0_12_GLOBAL__N_142_validate_compressed_sparse_indices_kernelILNS2_8CDimNameE1ENS2_18CUDAKernelLauncherENS2_14EmptyVecKernelENS2_8DummyVecELm8EEEvRKNS_6TensorESA_lllENKUlvE1_clEvENKUlvE0_clEvEUllllllE_St5arrayIPcLm6EEEEviT0_T1_.has_indirect_call, 0
	.section	.AMDGPU.csdata,"",@progbits
; Kernel info:
; codeLenInByte = 13140
; TotalNumSgprs: 71
; NumVgprs: 60
; ScratchSize: 0
; MemoryBound: 1
; FloatMode: 240
; IeeeMode: 1
; LDSByteSize: 0 bytes/workgroup (compile time only)
; SGPRBlocks: 0
; VGPRBlocks: 3
; NumSGPRsForWavesPerEU: 71
; NumVGPRsForWavesPerEU: 60
; NamedBarCnt: 0
; Occupancy: 16
; WaveLimiterHint : 1
; COMPUTE_PGM_RSRC2:SCRATCH_EN: 0
; COMPUTE_PGM_RSRC2:USER_SGPR: 2
; COMPUTE_PGM_RSRC2:TRAP_HANDLER: 0
; COMPUTE_PGM_RSRC2:TGID_X_EN: 1
; COMPUTE_PGM_RSRC2:TGID_Y_EN: 0
; COMPUTE_PGM_RSRC2:TGID_Z_EN: 0
; COMPUTE_PGM_RSRC2:TIDIG_COMP_CNT: 0
	.section	.text._ZN2at6native29vectorized_elementwise_kernelILi8EZZZNS0_12_GLOBAL__N_142_validate_compressed_sparse_indices_kernelILNS2_8CDimNameE1ENS2_18CUDAKernelLauncherENS2_14EmptyVecKernelENS2_8DummyVecELm8EEEvRKNS_6TensorESA_lllENKUlvE1_clEvENKUlvE0_clEvEUllllllE_St5arrayIPcLm6EEEEviT0_T1_,"axG",@progbits,_ZN2at6native29vectorized_elementwise_kernelILi8EZZZNS0_12_GLOBAL__N_142_validate_compressed_sparse_indices_kernelILNS2_8CDimNameE1ENS2_18CUDAKernelLauncherENS2_14EmptyVecKernelENS2_8DummyVecELm8EEEvRKNS_6TensorESA_lllENKUlvE1_clEvENKUlvE0_clEvEUllllllE_St5arrayIPcLm6EEEEviT0_T1_,comdat
	.globl	_ZN2at6native29vectorized_elementwise_kernelILi8EZZZNS0_12_GLOBAL__N_142_validate_compressed_sparse_indices_kernelILNS2_8CDimNameE1ENS2_18CUDAKernelLauncherENS2_14EmptyVecKernelENS2_8DummyVecELm8EEEvRKNS_6TensorESA_lllENKUlvE1_clEvENKUlvE0_clEvEUllllllE_St5arrayIPcLm6EEEEviT0_T1_ ; -- Begin function _ZN2at6native29vectorized_elementwise_kernelILi8EZZZNS0_12_GLOBAL__N_142_validate_compressed_sparse_indices_kernelILNS2_8CDimNameE1ENS2_18CUDAKernelLauncherENS2_14EmptyVecKernelENS2_8DummyVecELm8EEEvRKNS_6TensorESA_lllENKUlvE1_clEvENKUlvE0_clEvEUllllllE_St5arrayIPcLm6EEEEviT0_T1_
	.p2align	8
	.type	_ZN2at6native29vectorized_elementwise_kernelILi8EZZZNS0_12_GLOBAL__N_142_validate_compressed_sparse_indices_kernelILNS2_8CDimNameE1ENS2_18CUDAKernelLauncherENS2_14EmptyVecKernelENS2_8DummyVecELm8EEEvRKNS_6TensorESA_lllENKUlvE1_clEvENKUlvE0_clEvEUllllllE_St5arrayIPcLm6EEEEviT0_T1_,@function
_ZN2at6native29vectorized_elementwise_kernelILi8EZZZNS0_12_GLOBAL__N_142_validate_compressed_sparse_indices_kernelILNS2_8CDimNameE1ENS2_18CUDAKernelLauncherENS2_14EmptyVecKernelENS2_8DummyVecELm8EEEvRKNS_6TensorESA_lllENKUlvE1_clEvENKUlvE0_clEvEUllllllE_St5arrayIPcLm6EEEEviT0_T1_: ; @_ZN2at6native29vectorized_elementwise_kernelILi8EZZZNS0_12_GLOBAL__N_142_validate_compressed_sparse_indices_kernelILNS2_8CDimNameE1ENS2_18CUDAKernelLauncherENS2_14EmptyVecKernelENS2_8DummyVecELm8EEEvRKNS_6TensorESA_lllENKUlvE1_clEvENKUlvE0_clEvEUllllllE_St5arrayIPcLm6EEEEviT0_T1_
; %bb.0:
	s_clause 0x2
	s_load_b32 s2, s[0:1], 0x0
	s_load_b128 s[12:15], s[0:1], 0xd0
	s_load_b256 s[4:11], s[0:1], 0xb0
	s_bfe_u32 s3, ttmp6, 0x4000c
	s_and_b32 s16, ttmp6, 15
	s_add_co_i32 s3, s3, 1
	s_getreg_b32 s17, hwreg(HW_REG_IB_STS2, 6, 4)
	s_mul_i32 s3, ttmp9, s3
	s_or_b64 s[18:19], s[0:1], 8
	s_add_co_i32 s16, s16, s3
	s_cmp_eq_u32 s17, 0
	s_mov_b32 s40, 0
	s_wait_xcnt 0x0
	s_cselect_b32 s0, ttmp9, s16
	s_mov_b32 s17, 0
	s_lshl_b32 s16, s0, 10
	s_mov_b32 s0, -1
	s_get_pc_i64 s[20:21]
	s_add_nc_u64 s[20:21], s[20:21], .str.6@rel64+4
	s_wait_kmcnt 0x0
	s_sub_co_i32 s33, s2, s16
	s_delay_alu instid0(SALU_CYCLE_1)
	s_cmp_gt_i32 s33, 0x3ff
	s_cbranch_scc0 .LBB89_75
; %bb.1:
	s_ashr_i32 s17, s16, 31
	v_lshlrev_b32_e32 v1, 5, v0
	s_lshl_b64 s[22:23], s[16:17], 3
	s_cmp_lg_u64 s[20:21], 0
	s_add_nc_u64 s[0:1], s[6:7], s[22:23]
	s_mov_b32 s29, -1
	s_clause 0x1
	global_load_b128 v[38:41], v1, s[0:1]
	global_load_b128 v[42:45], v1, s[0:1] offset:16
	s_wait_xcnt 0x0
	s_load_b128 s[0:3], s[18:19], 0x0
	s_mov_b32 s17, 0
	s_mov_b32 s28, 0
	;; [unrolled: 1-line block ×4, first 2 shown]
                                        ; implicit-def: $sgpr42
                                        ; implicit-def: $sgpr26
                                        ; implicit-def: $sgpr41
                                        ; implicit-def: $sgpr24_sgpr25
                                        ; implicit-def: $vgpr18_vgpr19_vgpr20_vgpr21_vgpr22_vgpr23_vgpr24_vgpr25
                                        ; implicit-def: $vgpr2_vgpr3_vgpr4_vgpr5_vgpr6_vgpr7_vgpr8_vgpr9
                                        ; implicit-def: $vgpr10_vgpr11_vgpr12_vgpr13_vgpr14_vgpr15_vgpr16_vgpr17
                                        ; implicit-def: $vgpr34_vgpr35
                                        ; implicit-def: $vgpr26_vgpr27_vgpr28_vgpr29_vgpr30_vgpr31_vgpr32_vgpr33
	s_wait_loadcnt 0x1
	s_wait_kmcnt 0x0
	v_cmp_eq_u64_e32 vcc_lo, s[0:1], v[38:39]
	s_cselect_b32 s1, -1, 0
	s_mov_b32 s0, 0
	s_and_b32 s30, s1, vcc_lo
                                        ; implicit-def: $sgpr1
	s_delay_alu instid0(SALU_CYCLE_1)
	s_and_saveexec_b32 s43, s30
	s_cbranch_execz .LBB89_64
; %bb.2:
	s_add_nc_u64 s[0:1], s[8:9], s[22:23]
	s_get_pc_i64 s[24:25]
	s_add_nc_u64 s[24:25], s[24:25], .str.7@rel64+4
	s_clause 0x1
	global_load_b128 v[34:37], v1, s[0:1]
	global_load_b128 v[30:33], v1, s[0:1] offset:16
	s_wait_xcnt 0x0
	s_load_b64 s[0:1], s[18:19], 0x10
	s_cmp_lg_u64 s[24:25], 0
	s_mov_b32 s29, 0
	s_mov_b32 s30, 0
                                        ; implicit-def: $sgpr31
                                        ; implicit-def: $sgpr42
                                        ; implicit-def: $sgpr26
                                        ; implicit-def: $sgpr41
                                        ; implicit-def: $sgpr24_sgpr25
                                        ; implicit-def: $vgpr18_vgpr19_vgpr20_vgpr21_vgpr22_vgpr23_vgpr24_vgpr25
                                        ; implicit-def: $vgpr2_vgpr3_vgpr4_vgpr5_vgpr6_vgpr7_vgpr8_vgpr9
                                        ; implicit-def: $vgpr10_vgpr11_vgpr12_vgpr13_vgpr14_vgpr15_vgpr16_vgpr17
	s_wait_loadcnt 0x1
	s_wait_kmcnt 0x0
	v_cmp_eq_u64_e32 vcc_lo, s[0:1], v[34:35]
	s_cselect_b32 s1, -1, 0
	s_mov_b32 s0, -1
	s_and_b32 s1, s1, vcc_lo
	s_delay_alu instid0(SALU_CYCLE_1)
	s_and_saveexec_b32 s44, s1
	s_cbranch_execz .LBB89_63
; %bb.3:
	s_add_nc_u64 s[0:1], s[12:13], s[22:23]
	s_add_nc_u64 s[24:25], s[10:11], s[22:23]
	s_clause 0x3
	global_load_b128 v[2:5], v1, s[0:1]
	global_load_b128 v[10:13], v1, s[24:25]
	global_load_b128 v[14:17], v1, s[24:25] offset:16
	global_load_b128 v[6:9], v1, s[0:1] offset:16
	s_wait_xcnt 0x1
	s_get_pc_i64 s[24:25]
	s_add_nc_u64 s[24:25], s[24:25], .str.8@rel64+4
	s_wait_xcnt 0x0
	s_mov_b32 s1, -1
	s_cmp_lg_u64 s[24:25], 0
	s_mov_b32 s34, 0
	s_cselect_b32 s24, -1, 0
                                        ; implicit-def: $sgpr30
                                        ; implicit-def: $sgpr42
                                        ; implicit-def: $sgpr26
                                        ; implicit-def: $sgpr41
	s_wait_loadcnt 0x2
	v_sub_nc_u64_e32 v[18:19], v[2:3], v[10:11]
	s_delay_alu instid0(VALU_DEP_1) | instskip(SKIP_2) | instid1(SALU_CYCLE_1)
	v_cmp_le_i64_e32 vcc_lo, v[38:39], v[18:19]
	v_cmp_ge_i64_e64 s0, s[2:3], v[18:19]
                                        ; implicit-def: $vgpr18_vgpr19_vgpr20_vgpr21_vgpr22_vgpr23_vgpr24_vgpr25
	s_and_b32 s0, vcc_lo, s0
	s_and_b32 s0, s24, s0
                                        ; implicit-def: $sgpr24_sgpr25
	s_delay_alu instid0(SALU_CYCLE_1)
	s_and_saveexec_b32 s45, s0
	s_cbranch_execz .LBB89_62
; %bb.4:
	s_add_nc_u64 s[0:1], s[14:15], s[22:23]
	v_cmp_lt_i64_e32 vcc_lo, 0, v[34:35]
	s_clause 0x1
	global_load_b128 v[22:25], v1, s[0:1] offset:16
	global_load_b128 v[18:21], v1, s[0:1]
	s_clause 0x1
	s_load_b32 s41, s[18:19], 0x18
	s_load_b64 s[24:25], s[18:19], 0xa0
	v_mov_b64_e32 v[26:27], 0
	s_wait_kmcnt 0x0
	s_add_co_i32 s26, s41, -1
	s_delay_alu instid0(SALU_CYCLE_1) | instskip(SKIP_1) | instid1(SALU_CYCLE_1)
	s_cmp_gt_i32 s26, -1
	s_cselect_b32 s0, -1, 0
	s_and_b32 s46, vcc_lo, s0
	s_delay_alu instid0(SALU_CYCLE_1)
	s_and_saveexec_b32 s42, s46
	s_cbranch_execz .LBB89_11
; %bb.5:
	s_wait_loadcnt 0x0
	v_mul_u64_e32 v[28:29], v[18:19], v[34:35]
	s_ashr_i32 s27, s26, 31
	v_mov_b64_e32 v[26:27], 0
	s_lshl_b64 s[0:1], s[26:27], 3
	v_mov_b32_e32 v18, 0
	s_add_nc_u64 s[0:1], s[18:19], s[0:1]
	s_mov_b64 s[28:29], 0xffffffff
	s_add_nc_u64 s[30:31], s[0:1], 32
	s_mov_b32 s1, 0
	s_mov_b32 s27, s41
	s_branch .LBB89_7
.LBB89_6:                               ;   in Loop: Header=BB89_7 Depth=1
	s_or_b32 exec_lo, exec_lo, s0
	s_delay_alu instid0(VALU_DEP_1)
	v_mul_u64_e32 v[48:49], s[34:35], v[46:47]
	s_load_b64 s[34:35], s[30:31], 0x40
	s_add_co_i32 s27, s27, -1
	s_wait_xcnt 0x0
	s_add_nc_u64 s[30:31], s[30:31], -8
	s_cmp_eq_u32 s27, 0
	s_delay_alu instid0(VALU_DEP_1) | instskip(SKIP_1) | instid1(VALU_DEP_1)
	v_sub_nc_u64_e32 v[28:29], v[28:29], v[48:49]
	s_wait_kmcnt 0x0
	v_mad_nc_u64_u32 v[26:27], v28, s34, v[26:27]
	s_delay_alu instid0(VALU_DEP_1) | instskip(NEXT) | instid1(VALU_DEP_1)
	v_mad_u32 v19, v29, s34, v27
	v_mad_u32 v27, v28, s35, v19
	v_mov_b64_e32 v[28:29], v[46:47]
	s_cbranch_scc1 .LBB89_11
.LBB89_7:                               ; =>This Inner Loop Header: Depth=1
	s_load_b64 s[34:35], s[30:31], 0x0
                                        ; implicit-def: $vgpr46_vgpr47
	s_mov_b32 s0, exec_lo
	s_wait_kmcnt 0x0
	s_delay_alu instid0(VALU_DEP_1) | instskip(NEXT) | instid1(VALU_DEP_1)
	v_or_b32_e32 v19, s35, v29
	v_cmpx_ne_u64_e32 0, v[18:19]
	s_xor_b32 s47, exec_lo, s0
	s_cbranch_execz .LBB89_9
; %bb.8:                                ;   in Loop: Header=BB89_7 Depth=1
	s_ashr_i32 s36, s35, 31
	v_dual_mov_b32 v51, v18 :: v_dual_ashrrev_i32 v46, 31, v29
	s_mov_b32 s37, s36
	v_mov_b32_e32 v59, v18
	s_add_nc_u64 s[38:39], s[34:35], s[36:37]
	s_delay_alu instid0(VALU_DEP_2) | instskip(SKIP_1) | instid1(SALU_CYCLE_1)
	v_mov_b32_e32 v47, v46
	s_xor_b64 s[38:39], s[38:39], s[36:37]
	s_cvt_f32_u32 s0, s38
	s_cvt_f32_u32 s37, s39
	s_sub_nc_u64 s[50:51], 0, s[38:39]
	v_add_nc_u64_e32 v[48:49], v[28:29], v[46:47]
	v_mov_b32_e32 v55, v18
	s_fmamk_f32 s0, s37, 0x4f800000, s0
	s_delay_alu instid0(SALU_CYCLE_3) | instskip(NEXT) | instid1(VALU_DEP_2)
	v_s_rcp_f32 s0, s0
	v_xor_b32_e32 v50, v48, v46
	s_delay_alu instid0(VALU_DEP_3) | instskip(NEXT) | instid1(TRANS32_DEP_1)
	v_xor_b32_e32 v54, v49, v46
	s_mul_f32 s0, s0, 0x5f7ffffc
	s_delay_alu instid0(SALU_CYCLE_3) | instskip(NEXT) | instid1(SALU_CYCLE_3)
	s_mul_f32 s37, s0, 0x2f800000
	s_trunc_f32 s37, s37
	s_delay_alu instid0(SALU_CYCLE_3) | instskip(SKIP_1) | instid1(SALU_CYCLE_2)
	s_fmamk_f32 s0, s37, 0xcf800000, s0
	s_cvt_u32_f32 s49, s37
	s_cvt_u32_f32 s48, s0
	s_delay_alu instid0(SALU_CYCLE_3) | instskip(NEXT) | instid1(SALU_CYCLE_1)
	s_mul_u64 s[52:53], s[50:51], s[48:49]
	s_mul_hi_u32 s55, s48, s53
	s_mul_i32 s54, s48, s53
	s_mul_hi_u32 s0, s48, s52
	s_mul_i32 s56, s49, s52
	s_add_nc_u64 s[54:55], s[0:1], s[54:55]
	s_mul_hi_u32 s37, s49, s52
	s_mul_hi_u32 s57, s49, s53
	s_add_co_u32 s0, s54, s56
	s_add_co_ci_u32 s0, s55, s37
	s_mul_i32 s52, s49, s53
	s_add_co_ci_u32 s53, s57, 0
	s_delay_alu instid0(SALU_CYCLE_1) | instskip(NEXT) | instid1(SALU_CYCLE_1)
	s_add_nc_u64 s[52:53], s[0:1], s[52:53]
	s_add_co_u32 s48, s48, s52
	s_cselect_b32 s0, -1, 0
	s_delay_alu instid0(SALU_CYCLE_1) | instskip(SKIP_1) | instid1(SALU_CYCLE_1)
	s_cmp_lg_u32 s0, 0
	s_add_co_ci_u32 s49, s49, s53
	s_mul_u64 s[50:51], s[50:51], s[48:49]
	s_delay_alu instid0(SALU_CYCLE_1)
	s_mul_hi_u32 s53, s48, s51
	s_mul_i32 s52, s48, s51
	s_mul_hi_u32 s0, s48, s50
	s_mul_i32 s54, s49, s50
	s_add_nc_u64 s[52:53], s[0:1], s[52:53]
	s_mul_hi_u32 s37, s49, s50
	s_mul_hi_u32 s55, s49, s51
	s_add_co_u32 s0, s52, s54
	s_add_co_ci_u32 s0, s53, s37
	s_mul_i32 s50, s49, s51
	s_add_co_ci_u32 s51, s55, 0
	s_delay_alu instid0(SALU_CYCLE_1) | instskip(NEXT) | instid1(SALU_CYCLE_1)
	s_add_nc_u64 s[50:51], s[0:1], s[50:51]
	s_add_co_u32 s48, s48, s50
	s_cselect_b32 s0, -1, 0
	v_mul_hi_u32 v58, v50, s48
	s_cmp_lg_u32 s0, 0
	s_add_co_ci_u32 s0, s49, s51
	s_and_b64 s[50:51], s[48:49], s[28:29]
	v_mul_u64_e32 v[52:53], s[0:1], v[50:51]
	v_mul_u64_e32 v[48:49], s[50:51], v[54:55]
	;; [unrolled: 1-line block ×3, first 2 shown]
	s_delay_alu instid0(VALU_DEP_3) | instskip(NEXT) | instid1(VALU_DEP_1)
	v_add_nc_u64_e32 v[52:53], v[58:59], v[52:53]
	v_add_co_u32 v19, vcc_lo, v52, v48
	s_delay_alu instid0(VALU_DEP_2) | instskip(NEXT) | instid1(VALU_DEP_4)
	v_add_co_ci_u32_e32 v58, vcc_lo, v53, v49, vcc_lo
	v_add_co_ci_u32_e32 v57, vcc_lo, 0, v57, vcc_lo
	s_delay_alu instid0(VALU_DEP_1) | instskip(NEXT) | instid1(VALU_DEP_1)
	v_add_nc_u64_e32 v[48:49], v[58:59], v[56:57]
	v_mul_u64_e32 v[52:53], s[38:39], v[48:49]
	s_delay_alu instid0(VALU_DEP_1) | instskip(NEXT) | instid1(VALU_DEP_2)
	v_sub_nc_u32_e32 v19, v54, v53
	v_sub_co_u32 v47, vcc_lo, v50, v52
	s_delay_alu instid0(VALU_DEP_1) | instskip(NEXT) | instid1(VALU_DEP_3)
	v_sub_co_ci_u32_e64 v54, null, v54, v53, vcc_lo
	v_subrev_co_ci_u32_e64 v19, null, s39, v19, vcc_lo
	s_delay_alu instid0(VALU_DEP_3) | instskip(SKIP_1) | instid1(VALU_DEP_3)
	v_sub_co_u32 v50, s0, v47, s38
	v_add_nc_u64_e32 v[52:53], 1, v[48:49]
	v_subrev_co_ci_u32_e64 v19, null, 0, v19, s0
	s_delay_alu instid0(VALU_DEP_3) | instskip(SKIP_1) | instid1(VALU_DEP_3)
	v_cmp_le_u32_e32 vcc_lo, s38, v50
	v_cndmask_b32_e64 v50, 0, -1, vcc_lo
	v_cmp_le_u32_e32 vcc_lo, s39, v19
	v_cndmask_b32_e64 v51, 0, -1, vcc_lo
	;; [unrolled: 2-line block ×4, first 2 shown]
	v_cmp_eq_u32_e32 vcc_lo, s39, v19
	v_cndmask_b32_e32 v19, v51, v50, vcc_lo
	v_cmp_eq_u32_e32 vcc_lo, s39, v54
	v_add_nc_u64_e32 v[50:51], 2, v[48:49]
	v_cndmask_b32_e32 v47, v55, v47, vcc_lo
	s_delay_alu instid0(VALU_DEP_4) | instskip(NEXT) | instid1(VALU_DEP_2)
	v_cmp_ne_u32_e32 vcc_lo, 0, v19
	v_cmp_ne_u32_e64 s0, 0, v47
	s_delay_alu instid0(VALU_DEP_4) | instskip(NEXT) | instid1(VALU_DEP_1)
	v_dual_cndmask_b32 v19, v53, v51, vcc_lo :: v_dual_cndmask_b32 v47, v52, v50, vcc_lo
	v_dual_cndmask_b32 v19, v49, v19, s0 :: v_dual_bitop2_b32 v46, s36, v46 bitop3:0x14
	s_delay_alu instid0(VALU_DEP_1) | instskip(NEXT) | instid1(VALU_DEP_2)
	v_dual_cndmask_b32 v48, v48, v47, s0 :: v_dual_mov_b32 v47, v46
	v_xor_b32_e32 v49, v19, v46
	s_delay_alu instid0(VALU_DEP_2) | instskip(NEXT) | instid1(VALU_DEP_1)
	v_xor_b32_e32 v48, v48, v46
	v_sub_nc_u64_e32 v[46:47], v[48:49], v[46:47]
.LBB89_9:                               ;   in Loop: Header=BB89_7 Depth=1
	s_and_not1_saveexec_b32 s0, s47
	s_cbranch_execz .LBB89_6
; %bb.10:                               ;   in Loop: Header=BB89_7 Depth=1
	v_cvt_f32_u32_e32 v19, s34
	s_sub_co_i32 s36, 0, s34
	s_delay_alu instid0(VALU_DEP_1) | instskip(SKIP_1) | instid1(TRANS32_DEP_1)
	v_rcp_iflag_f32_e32 v19, v19
	v_nop
	v_mul_f32_e32 v19, 0x4f7ffffe, v19
	s_delay_alu instid0(VALU_DEP_1) | instskip(NEXT) | instid1(VALU_DEP_1)
	v_cvt_u32_f32_e32 v19, v19
	v_mul_lo_u32 v46, s36, v19
	s_delay_alu instid0(VALU_DEP_1) | instskip(NEXT) | instid1(VALU_DEP_1)
	v_mul_hi_u32 v46, v19, v46
	v_add_nc_u32_e32 v19, v19, v46
	s_delay_alu instid0(VALU_DEP_1) | instskip(NEXT) | instid1(VALU_DEP_1)
	v_mul_hi_u32 v19, v28, v19
	v_mul_lo_u32 v46, v19, s34
	s_delay_alu instid0(VALU_DEP_1) | instskip(NEXT) | instid1(VALU_DEP_1)
	v_dual_add_nc_u32 v47, 1, v19 :: v_dual_sub_nc_u32 v46, v28, v46
	v_subrev_nc_u32_e32 v48, s34, v46
	v_cmp_le_u32_e32 vcc_lo, s34, v46
	s_delay_alu instid0(VALU_DEP_2) | instskip(NEXT) | instid1(VALU_DEP_1)
	v_dual_cndmask_b32 v46, v46, v48 :: v_dual_cndmask_b32 v19, v19, v47
	v_cmp_le_u32_e32 vcc_lo, s34, v46
	s_delay_alu instid0(VALU_DEP_2) | instskip(NEXT) | instid1(VALU_DEP_1)
	v_add_nc_u32_e32 v47, 1, v19
	v_dual_cndmask_b32 v46, v19, v47 :: v_dual_mov_b32 v47, v18
	s_branch .LBB89_6
.LBB89_11:
	s_or_b32 exec_lo, exec_lo, s42
	s_get_pc_i64 s[0:1]
	s_add_nc_u64 s[0:1], s[0:1], .str.9@rel64+4
	s_mov_b32 s27, -1
	s_cmp_lg_u64 s[0:1], 0
	s_mov_b32 s0, 0
	s_cselect_b32 s42, -1, 0
	s_mov_b32 s47, 0
	s_mov_b32 s1, exec_lo
	v_cmpx_gt_i64_e64 v[2:3], v[10:11]
	s_cbranch_execz .LBB89_17
; %bb.12:
	s_wait_loadcnt 0x0
	v_lshlrev_b64_e32 v[18:19], 3, v[26:27]
	s_mov_b32 s27, 0
	s_xor_b32 s29, s42, -1
                                        ; implicit-def: $sgpr28
                                        ; implicit-def: $sgpr31
                                        ; implicit-def: $sgpr30
	s_delay_alu instid0(VALU_DEP_1) | instskip(SKIP_1) | instid1(VALU_DEP_2)
	v_lshl_add_u64 v[10:11], v[10:11], 3, v[18:19]
	v_add_nc_u64_e32 v[18:19], s[24:25], v[18:19]
	v_add_nc_u64_e32 v[10:11], s[24:25], v[10:11]
	s_delay_alu instid0(VALU_DEP_2) | instskip(NEXT) | instid1(VALU_DEP_2)
	v_lshl_add_u64 v[2:3], v[2:3], 3, v[18:19]
	v_add_nc_u64_e32 v[10:11], 8, v[10:11]
	s_branch .LBB89_14
.LBB89_13:                              ;   in Loop: Header=BB89_14 Depth=1
	s_or_b32 exec_lo, exec_lo, s34
	s_delay_alu instid0(SALU_CYCLE_1) | instskip(NEXT) | instid1(SALU_CYCLE_1)
	s_and_b32 s34, exec_lo, s31
	s_or_b32 s27, s34, s27
	s_and_not1_b32 s28, s28, exec_lo
	s_and_b32 s34, s30, exec_lo
	s_delay_alu instid0(SALU_CYCLE_1)
	s_or_b32 s28, s28, s34
	s_and_not1_b32 exec_lo, exec_lo, s27
	s_cbranch_execz .LBB89_16
.LBB89_14:                              ; =>This Inner Loop Header: Depth=1
	s_or_b32 s30, s30, exec_lo
	s_or_b32 s31, s31, exec_lo
	s_mov_b32 s34, exec_lo
	s_delay_alu instid0(VALU_DEP_1)
	v_cmpx_lt_u64_e64 v[10:11], v[2:3]
	s_cbranch_execz .LBB89_13
; %bb.15:                               ;   in Loop: Header=BB89_14 Depth=1
	global_load_b128 v[26:29], v[10:11], off offset:-8
	s_wait_xcnt 0x0
	v_add_nc_u64_e32 v[10:11], 8, v[10:11]
	s_and_not1_b32 s31, s31, exec_lo
	s_and_not1_b32 s30, s30, exec_lo
	s_wait_loadcnt 0x0
	v_cmp_ge_i64_e32 vcc_lo, v[26:27], v[28:29]
	s_or_b32 s35, s29, vcc_lo
	s_delay_alu instid0(SALU_CYCLE_1) | instskip(NEXT) | instid1(SALU_CYCLE_1)
	s_and_b32 s35, s35, exec_lo
	s_or_b32 s31, s31, s35
	s_branch .LBB89_13
.LBB89_16:
	s_or_b32 exec_lo, exec_lo, s27
	s_delay_alu instid0(SALU_CYCLE_1)
	s_mov_b32 s47, exec_lo
	s_or_not1_b32 s27, s28, exec_lo
.LBB89_17:
	s_or_b32 exec_lo, exec_lo, s1
	s_mov_b32 s28, 0
	s_mov_b32 s29, 0
	;; [unrolled: 1-line block ×3, first 2 shown]
	s_and_saveexec_b32 s48, s27
	s_cbranch_execz .LBB89_61
; %bb.18:
	s_mov_b32 s0, -1
	s_mov_b32 s1, 0
	s_mov_b32 s27, 0
	;; [unrolled: 1-line block ×3, first 2 shown]
	s_mov_b32 s49, exec_lo
	v_cmpx_eq_u64_e64 v[40:41], v[38:39]
	s_cbranch_execz .LBB89_60
; %bb.19:
	s_mov_b32 s1, -1
	s_mov_b32 s0, 0
	s_mov_b32 s50, exec_lo
	v_cmpx_eq_u64_e64 v[36:37], v[34:35]
	s_cbranch_execz .LBB89_59
; %bb.20:
	v_sub_nc_u64_e32 v[2:3], v[4:5], v[12:13]
	s_delay_alu instid0(VALU_DEP_1) | instskip(SKIP_2) | instid1(SALU_CYCLE_1)
	v_cmp_le_i64_e32 vcc_lo, v[38:39], v[2:3]
	v_cmp_ge_i64_e64 s0, s[2:3], v[2:3]
	s_and_b32 s0, vcc_lo, s0
	s_and_saveexec_b32 s51, s0
	s_cbranch_execz .LBB89_58
; %bb.21:
	v_mov_b64_e32 v[2:3], 0
	s_and_saveexec_b32 s52, s46
	s_cbranch_execz .LBB89_28
; %bb.22:
	s_wait_loadcnt 0x0
	v_mul_u64_e32 v[18:19], v[20:21], v[34:35]
	s_ashr_i32 s27, s26, 31
	v_mov_b64_e32 v[2:3], 0
	s_lshl_b64 s[0:1], s[26:27], 3
	v_mov_b32_e32 v10, 0
	s_add_nc_u64 s[0:1], s[18:19], s[0:1]
	s_mov_b64 s[28:29], 0xffffffff
	s_add_nc_u64 s[30:31], s[0:1], 32
	s_mov_b32 s1, 0
	s_mov_b32 s27, s41
	s_branch .LBB89_24
.LBB89_23:                              ;   in Loop: Header=BB89_24 Depth=1
	s_or_b32 exec_lo, exec_lo, s0
	s_delay_alu instid0(VALU_DEP_1)
	v_mul_u64_e32 v[26:27], s[34:35], v[20:21]
	s_load_b64 s[34:35], s[30:31], 0x40
	s_add_co_i32 s27, s27, -1
	s_wait_xcnt 0x0
	s_add_nc_u64 s[30:31], s[30:31], -8
	s_cmp_lg_u32 s27, 0
	s_delay_alu instid0(VALU_DEP_1) | instskip(SKIP_1) | instid1(VALU_DEP_1)
	v_sub_nc_u64_e32 v[18:19], v[18:19], v[26:27]
	s_wait_kmcnt 0x0
	v_mad_nc_u64_u32 v[2:3], v18, s34, v[2:3]
	s_delay_alu instid0(VALU_DEP_1) | instskip(NEXT) | instid1(VALU_DEP_1)
	v_mad_u32 v3, v19, s34, v3
	v_mad_u32 v3, v18, s35, v3
	v_mov_b64_e32 v[18:19], v[20:21]
	s_cbranch_scc0 .LBB89_28
.LBB89_24:                              ; =>This Inner Loop Header: Depth=1
	s_load_b64 s[34:35], s[30:31], 0x0
                                        ; implicit-def: $vgpr20_vgpr21
	s_mov_b32 s0, exec_lo
	s_wait_kmcnt 0x0
	s_delay_alu instid0(VALU_DEP_1) | instskip(NEXT) | instid1(VALU_DEP_1)
	v_or_b32_e32 v11, s35, v19
	v_cmpx_ne_u64_e32 0, v[10:11]
	s_xor_b32 s53, exec_lo, s0
	s_cbranch_execz .LBB89_26
; %bb.25:                               ;   in Loop: Header=BB89_24 Depth=1
	s_ashr_i32 s36, s35, 31
	v_dual_mov_b32 v29, v10 :: v_dual_ashrrev_i32 v20, 31, v19
	s_mov_b32 s37, s36
	s_delay_alu instid0(SALU_CYCLE_1) | instskip(NEXT) | instid1(VALU_DEP_1)
	s_add_nc_u64 s[38:39], s[34:35], s[36:37]
	v_mov_b32_e32 v21, v20
	s_xor_b64 s[38:39], s[38:39], s[36:37]
	s_delay_alu instid0(SALU_CYCLE_1)
	s_cvt_f32_u32 s0, s38
	s_cvt_f32_u32 s37, s39
	s_sub_nc_u64 s[56:57], 0, s[38:39]
	v_add_nc_u64_e32 v[26:27], v[18:19], v[20:21]
	v_mov_b32_e32 v41, v10
	s_fmamk_f32 s0, s37, 0x4f800000, s0
	s_delay_alu instid0(SALU_CYCLE_3) | instskip(NEXT) | instid1(VALU_DEP_2)
	v_s_rcp_f32 s0, s0
	v_xor_b32_e32 v28, v26, v20
	s_delay_alu instid0(VALU_DEP_3) | instskip(SKIP_1) | instid1(TRANS32_DEP_1)
	v_dual_mov_b32 v49, v10 :: v_dual_bitop2_b32 v40, v27, v20 bitop3:0x14
	v_xor_b32_e32 v20, s36, v20
	s_mul_f32 s0, s0, 0x5f7ffffc
	s_delay_alu instid0(SALU_CYCLE_3) | instskip(NEXT) | instid1(SALU_CYCLE_3)
	s_mul_f32 s37, s0, 0x2f800000
	s_trunc_f32 s37, s37
	s_delay_alu instid0(SALU_CYCLE_3) | instskip(SKIP_1) | instid1(SALU_CYCLE_2)
	s_fmamk_f32 s0, s37, 0xcf800000, s0
	s_cvt_u32_f32 s55, s37
	s_cvt_u32_f32 s54, s0
	s_delay_alu instid0(SALU_CYCLE_3) | instskip(NEXT) | instid1(SALU_CYCLE_1)
	s_mul_u64 s[58:59], s[56:57], s[54:55]
	s_mul_hi_u32 s61, s54, s59
	s_mul_i32 s60, s54, s59
	s_mul_hi_u32 s0, s54, s58
	s_mul_i32 s62, s55, s58
	s_add_nc_u64 s[60:61], s[0:1], s[60:61]
	s_mul_hi_u32 s37, s55, s58
	s_mul_hi_u32 s63, s55, s59
	s_add_co_u32 s0, s60, s62
	s_add_co_ci_u32 s0, s61, s37
	s_mul_i32 s58, s55, s59
	s_add_co_ci_u32 s59, s63, 0
	s_delay_alu instid0(SALU_CYCLE_1) | instskip(NEXT) | instid1(SALU_CYCLE_1)
	s_add_nc_u64 s[58:59], s[0:1], s[58:59]
	s_add_co_u32 s54, s54, s58
	s_cselect_b32 s0, -1, 0
	s_delay_alu instid0(SALU_CYCLE_1) | instskip(SKIP_1) | instid1(SALU_CYCLE_1)
	s_cmp_lg_u32 s0, 0
	s_add_co_ci_u32 s55, s55, s59
	s_mul_u64 s[56:57], s[56:57], s[54:55]
	s_delay_alu instid0(SALU_CYCLE_1)
	s_mul_hi_u32 s59, s54, s57
	s_mul_i32 s58, s54, s57
	s_mul_hi_u32 s0, s54, s56
	s_mul_i32 s60, s55, s56
	s_add_nc_u64 s[58:59], s[0:1], s[58:59]
	s_mul_hi_u32 s37, s55, s56
	s_mul_hi_u32 s61, s55, s57
	s_add_co_u32 s0, s58, s60
	s_add_co_ci_u32 s0, s59, s37
	s_mul_i32 s56, s55, s57
	s_add_co_ci_u32 s57, s61, 0
	s_delay_alu instid0(SALU_CYCLE_1) | instskip(NEXT) | instid1(SALU_CYCLE_1)
	s_add_nc_u64 s[56:57], s[0:1], s[56:57]
	s_add_co_u32 s54, s54, s56
	s_cselect_b32 s0, -1, 0
	v_mul_hi_u32 v48, v28, s54
	s_cmp_lg_u32 s0, 0
	s_add_co_ci_u32 s0, s55, s57
	s_and_b64 s[56:57], s[54:55], s[28:29]
	v_mul_u64_e32 v[36:37], s[0:1], v[28:29]
	v_mul_u64_e32 v[26:27], s[56:57], v[40:41]
	;; [unrolled: 1-line block ×3, first 2 shown]
	s_delay_alu instid0(VALU_DEP_3) | instskip(NEXT) | instid1(VALU_DEP_1)
	v_add_nc_u64_e32 v[36:37], v[48:49], v[36:37]
	v_add_co_u32 v11, vcc_lo, v36, v26
	s_delay_alu instid0(VALU_DEP_2) | instskip(NEXT) | instid1(VALU_DEP_4)
	v_add_co_ci_u32_e32 v48, vcc_lo, v37, v27, vcc_lo
	v_add_co_ci_u32_e32 v47, vcc_lo, 0, v47, vcc_lo
	s_delay_alu instid0(VALU_DEP_1) | instskip(NEXT) | instid1(VALU_DEP_1)
	v_add_nc_u64_e32 v[26:27], v[48:49], v[46:47]
	v_mul_u64_e32 v[36:37], s[38:39], v[26:27]
	s_delay_alu instid0(VALU_DEP_1) | instskip(NEXT) | instid1(VALU_DEP_2)
	v_sub_nc_u32_e32 v11, v40, v37
	v_sub_co_u32 v21, vcc_lo, v28, v36
	s_delay_alu instid0(VALU_DEP_1) | instskip(NEXT) | instid1(VALU_DEP_3)
	v_sub_co_ci_u32_e64 v40, null, v40, v37, vcc_lo
	v_subrev_co_ci_u32_e64 v11, null, s39, v11, vcc_lo
	s_delay_alu instid0(VALU_DEP_3) | instskip(SKIP_1) | instid1(VALU_DEP_3)
	v_sub_co_u32 v28, s0, v21, s38
	v_add_nc_u64_e32 v[36:37], 1, v[26:27]
	v_subrev_co_ci_u32_e64 v11, null, 0, v11, s0
	s_delay_alu instid0(VALU_DEP_3) | instskip(SKIP_1) | instid1(VALU_DEP_3)
	v_cmp_le_u32_e32 vcc_lo, s38, v28
	v_cndmask_b32_e64 v28, 0, -1, vcc_lo
	v_cmp_le_u32_e32 vcc_lo, s39, v11
	v_cndmask_b32_e64 v29, 0, -1, vcc_lo
	;; [unrolled: 2-line block ×4, first 2 shown]
	v_cmp_eq_u32_e32 vcc_lo, s39, v11
	v_cndmask_b32_e32 v11, v29, v28, vcc_lo
	v_cmp_eq_u32_e32 vcc_lo, s39, v40
	v_add_nc_u64_e32 v[28:29], 2, v[26:27]
	v_cndmask_b32_e32 v21, v41, v21, vcc_lo
	s_delay_alu instid0(VALU_DEP_4) | instskip(NEXT) | instid1(VALU_DEP_2)
	v_cmp_ne_u32_e32 vcc_lo, 0, v11
	v_cmp_ne_u32_e64 s0, 0, v21
	s_delay_alu instid0(VALU_DEP_4) | instskip(NEXT) | instid1(VALU_DEP_1)
	v_dual_cndmask_b32 v11, v37, v29, vcc_lo :: v_dual_cndmask_b32 v21, v36, v28, vcc_lo
	v_dual_cndmask_b32 v26, v26, v21, s0 :: v_dual_mov_b32 v21, v20
	s_delay_alu instid0(VALU_DEP_1) | instskip(NEXT) | instid1(VALU_DEP_1)
	v_dual_cndmask_b32 v11, v27, v11, s0 :: v_dual_bitop2_b32 v26, v26, v20 bitop3:0x14
	v_xor_b32_e32 v27, v11, v20
	s_delay_alu instid0(VALU_DEP_1)
	v_sub_nc_u64_e32 v[20:21], v[26:27], v[20:21]
.LBB89_26:                              ;   in Loop: Header=BB89_24 Depth=1
	s_and_not1_saveexec_b32 s0, s53
	s_cbranch_execz .LBB89_23
; %bb.27:                               ;   in Loop: Header=BB89_24 Depth=1
	v_cvt_f32_u32_e32 v11, s34
	s_sub_co_i32 s36, 0, s34
	s_delay_alu instid0(VALU_DEP_1) | instskip(SKIP_1) | instid1(TRANS32_DEP_1)
	v_rcp_iflag_f32_e32 v11, v11
	v_nop
	v_mul_f32_e32 v11, 0x4f7ffffe, v11
	s_delay_alu instid0(VALU_DEP_1) | instskip(NEXT) | instid1(VALU_DEP_1)
	v_cvt_u32_f32_e32 v11, v11
	v_mul_lo_u32 v20, s36, v11
	s_delay_alu instid0(VALU_DEP_1) | instskip(NEXT) | instid1(VALU_DEP_1)
	v_mul_hi_u32 v20, v11, v20
	v_add_nc_u32_e32 v11, v11, v20
	s_delay_alu instid0(VALU_DEP_1) | instskip(NEXT) | instid1(VALU_DEP_1)
	v_mul_hi_u32 v11, v18, v11
	v_mul_lo_u32 v20, v11, s34
	s_delay_alu instid0(VALU_DEP_1) | instskip(NEXT) | instid1(VALU_DEP_1)
	v_dual_add_nc_u32 v21, 1, v11 :: v_dual_sub_nc_u32 v20, v18, v20
	v_subrev_nc_u32_e32 v26, s34, v20
	v_cmp_le_u32_e32 vcc_lo, s34, v20
	s_delay_alu instid0(VALU_DEP_2) | instskip(NEXT) | instid1(VALU_DEP_1)
	v_dual_cndmask_b32 v20, v20, v26 :: v_dual_cndmask_b32 v11, v11, v21
	v_cmp_le_u32_e32 vcc_lo, s34, v20
	s_delay_alu instid0(VALU_DEP_2) | instskip(NEXT) | instid1(VALU_DEP_1)
	v_add_nc_u32_e32 v21, 1, v11
	v_dual_cndmask_b32 v20, v11, v21 :: v_dual_mov_b32 v21, v10
	s_branch .LBB89_23
.LBB89_28:
	s_or_b32 exec_lo, exec_lo, s52
	s_mov_b32 s30, -1
	s_mov_b32 s0, 0
	s_mov_b32 s52, 0
	s_mov_b32 s1, exec_lo
	v_cmpx_gt_i64_e64 v[4:5], v[12:13]
	s_cbranch_execz .LBB89_34
; %bb.29:
	s_delay_alu instid0(VALU_DEP_2) | instskip(SKIP_2) | instid1(VALU_DEP_1)
	v_lshlrev_b64_e32 v[2:3], 3, v[2:3]
	s_mov_b32 s27, 0
	s_xor_b32 s29, s42, -1
                                        ; implicit-def: $sgpr28
                                        ; implicit-def: $sgpr31
                                        ; implicit-def: $sgpr30
	v_lshl_add_u64 v[10:11], v[12:13], 3, v[2:3]
	v_add_nc_u64_e32 v[12:13], s[24:25], v[2:3]
	s_delay_alu instid0(VALU_DEP_2) | instskip(NEXT) | instid1(VALU_DEP_2)
	v_add_nc_u64_e32 v[10:11], s[24:25], v[10:11]
	v_lshl_add_u64 v[4:5], v[4:5], 3, v[12:13]
	s_delay_alu instid0(VALU_DEP_2)
	v_add_nc_u64_e32 v[2:3], 8, v[10:11]
	s_branch .LBB89_31
.LBB89_30:                              ;   in Loop: Header=BB89_31 Depth=1
	s_or_b32 exec_lo, exec_lo, s34
	s_delay_alu instid0(SALU_CYCLE_1) | instskip(NEXT) | instid1(SALU_CYCLE_1)
	s_and_b32 s34, exec_lo, s31
	s_or_b32 s27, s34, s27
	s_and_not1_b32 s28, s28, exec_lo
	s_and_b32 s34, s30, exec_lo
	s_delay_alu instid0(SALU_CYCLE_1)
	s_or_b32 s28, s28, s34
	s_and_not1_b32 exec_lo, exec_lo, s27
	s_cbranch_execz .LBB89_33
.LBB89_31:                              ; =>This Inner Loop Header: Depth=1
	s_or_b32 s30, s30, exec_lo
	s_or_b32 s31, s31, exec_lo
	s_mov_b32 s34, exec_lo
	s_delay_alu instid0(VALU_DEP_1)
	v_cmpx_lt_u64_e64 v[2:3], v[4:5]
	s_cbranch_execz .LBB89_30
; %bb.32:                               ;   in Loop: Header=BB89_31 Depth=1
	global_load_b128 v[10:13], v[2:3], off offset:-8
	s_and_not1_b32 s31, s31, exec_lo
	s_wait_xcnt 0x0
	v_add_nc_u64_e32 v[2:3], 8, v[2:3]
	s_and_not1_b32 s30, s30, exec_lo
	s_wait_loadcnt 0x0
	v_cmp_ge_i64_e32 vcc_lo, v[10:11], v[12:13]
	s_or_b32 s35, s29, vcc_lo
	s_delay_alu instid0(SALU_CYCLE_1) | instskip(NEXT) | instid1(SALU_CYCLE_1)
	s_and_b32 s35, s35, exec_lo
	s_or_b32 s31, s31, s35
	s_branch .LBB89_30
.LBB89_33:
	s_or_b32 exec_lo, exec_lo, s27
	s_delay_alu instid0(SALU_CYCLE_1)
	s_mov_b32 s52, exec_lo
	s_or_not1_b32 s30, s28, exec_lo
.LBB89_34:
	s_or_b32 exec_lo, exec_lo, s1
	s_mov_b32 s27, 0
	s_mov_b32 s28, 0
	;; [unrolled: 1-line block ×3, first 2 shown]
	s_and_saveexec_b32 s53, s30
	s_cbranch_execz .LBB89_57
; %bb.35:
	s_mov_b32 s0, -1
	s_mov_b32 s1, 0
	s_mov_b32 s30, 0
	s_mov_b32 s54, exec_lo
	v_cmpx_eq_u64_e64 v[42:43], v[38:39]
	s_cbranch_execz .LBB89_56
; %bb.36:
	s_mov_b32 s1, -1
	s_mov_b32 s0, 0
	s_mov_b32 s55, exec_lo
	v_cmpx_eq_u64_e64 v[30:31], v[34:35]
	s_cbranch_execz .LBB89_55
; %bb.37:
	s_wait_loadcnt 0x2
	v_sub_nc_u64_e32 v[2:3], v[6:7], v[14:15]
	s_delay_alu instid0(VALU_DEP_1) | instskip(SKIP_2) | instid1(SALU_CYCLE_1)
	v_cmp_le_i64_e32 vcc_lo, v[38:39], v[2:3]
	v_cmp_ge_i64_e64 s0, s[2:3], v[2:3]
	s_and_b32 s0, vcc_lo, s0
	s_and_saveexec_b32 s56, s0
	s_cbranch_execz .LBB89_54
; %bb.38:
	v_mov_b64_e32 v[2:3], 0
	s_and_saveexec_b32 s57, s46
	s_cbranch_execz .LBB89_45
; %bb.39:
	s_wait_loadcnt 0x1
	v_mul_u64_e32 v[10:11], v[22:23], v[34:35]
	s_ashr_i32 s27, s26, 31
	v_mov_b64_e32 v[2:3], 0
	s_lshl_b64 s[0:1], s[26:27], 3
	v_mov_b32_e32 v4, 0
	s_add_nc_u64 s[0:1], s[18:19], s[0:1]
	s_mov_b64 s[28:29], 0xffffffff
	s_add_nc_u64 s[30:31], s[0:1], 32
	s_mov_b32 s1, 0
	s_mov_b32 s27, s41
	s_branch .LBB89_41
.LBB89_40:                              ;   in Loop: Header=BB89_41 Depth=1
	s_or_b32 exec_lo, exec_lo, s0
	s_wait_loadcnt 0x0
	s_delay_alu instid0(VALU_DEP_1)
	v_mul_u64_e32 v[18:19], s[34:35], v[12:13]
	s_load_b64 s[34:35], s[30:31], 0x40
	s_add_co_i32 s27, s27, -1
	s_wait_xcnt 0x0
	s_add_nc_u64 s[30:31], s[30:31], -8
	s_cmp_lg_u32 s27, 0
	s_delay_alu instid0(VALU_DEP_1) | instskip(SKIP_1) | instid1(VALU_DEP_1)
	v_sub_nc_u64_e32 v[10:11], v[10:11], v[18:19]
	s_wait_kmcnt 0x0
	v_mad_nc_u64_u32 v[2:3], v10, s34, v[2:3]
	s_delay_alu instid0(VALU_DEP_1) | instskip(NEXT) | instid1(VALU_DEP_1)
	v_mad_u32 v3, v11, s34, v3
	v_mad_u32 v3, v10, s35, v3
	v_mov_b64_e32 v[10:11], v[12:13]
	s_cbranch_scc0 .LBB89_45
.LBB89_41:                              ; =>This Inner Loop Header: Depth=1
	s_load_b64 s[34:35], s[30:31], 0x0
                                        ; implicit-def: $vgpr12_vgpr13
	s_mov_b32 s0, exec_lo
	s_wait_kmcnt 0x0
	s_delay_alu instid0(VALU_DEP_1) | instskip(NEXT) | instid1(VALU_DEP_1)
	v_or_b32_e32 v5, s35, v11
	v_cmpx_ne_u64_e32 0, v[4:5]
	s_xor_b32 s58, exec_lo, s0
	s_cbranch_execz .LBB89_43
; %bb.42:                               ;   in Loop: Header=BB89_41 Depth=1
	s_ashr_i32 s36, s35, 31
	s_wait_loadcnt 0x0
	v_dual_mov_b32 v21, v4 :: v_dual_ashrrev_i32 v12, 31, v11
	s_mov_b32 s37, s36
	s_delay_alu instid0(SALU_CYCLE_1) | instskip(NEXT) | instid1(VALU_DEP_1)
	s_add_nc_u64 s[38:39], s[34:35], s[36:37]
	v_mov_b32_e32 v13, v12
	s_xor_b64 s[38:39], s[38:39], s[36:37]
	s_delay_alu instid0(SALU_CYCLE_1)
	s_cvt_f32_u32 s0, s38
	s_cvt_f32_u32 s37, s39
	s_sub_nc_u64 s[62:63], 0, s[38:39]
	v_add_nc_u64_e32 v[18:19], v[10:11], v[12:13]
	v_mov_b32_e32 v27, v4
	s_fmamk_f32 s0, s37, 0x4f800000, s0
	s_delay_alu instid0(SALU_CYCLE_3) | instskip(NEXT) | instid1(VALU_DEP_2)
	v_s_rcp_f32 s0, s0
	v_xor_b32_e32 v20, v18, v12
	s_delay_alu instid0(VALU_DEP_3) | instskip(NEXT) | instid1(TRANS32_DEP_1)
	v_dual_mov_b32 v31, v4 :: v_dual_bitop2_b32 v26, v19, v12 bitop3:0x14
	s_mul_f32 s0, s0, 0x5f7ffffc
	s_delay_alu instid0(SALU_CYCLE_3) | instskip(NEXT) | instid1(SALU_CYCLE_3)
	s_mul_f32 s37, s0, 0x2f800000
	s_trunc_f32 s37, s37
	s_delay_alu instid0(SALU_CYCLE_3) | instskip(SKIP_1) | instid1(SALU_CYCLE_2)
	s_fmamk_f32 s0, s37, 0xcf800000, s0
	s_cvt_u32_f32 s61, s37
	s_cvt_u32_f32 s60, s0
	s_delay_alu instid0(SALU_CYCLE_3) | instskip(NEXT) | instid1(SALU_CYCLE_1)
	s_mul_u64 s[64:65], s[62:63], s[60:61]
	s_mul_hi_u32 s67, s60, s65
	s_mul_i32 s66, s60, s65
	s_mul_hi_u32 s0, s60, s64
	s_mul_i32 s59, s61, s64
	s_add_nc_u64 s[66:67], s[0:1], s[66:67]
	s_mul_hi_u32 s37, s61, s64
	s_mul_hi_u32 s68, s61, s65
	s_add_co_u32 s0, s66, s59
	s_add_co_ci_u32 s0, s67, s37
	s_mul_i32 s64, s61, s65
	s_add_co_ci_u32 s65, s68, 0
	s_delay_alu instid0(SALU_CYCLE_1) | instskip(NEXT) | instid1(SALU_CYCLE_1)
	s_add_nc_u64 s[64:65], s[0:1], s[64:65]
	s_add_co_u32 s60, s60, s64
	s_cselect_b32 s0, -1, 0
	s_delay_alu instid0(SALU_CYCLE_1) | instskip(SKIP_1) | instid1(SALU_CYCLE_1)
	s_cmp_lg_u32 s0, 0
	s_add_co_ci_u32 s61, s61, s65
	s_mul_u64 s[62:63], s[62:63], s[60:61]
	s_delay_alu instid0(SALU_CYCLE_1)
	s_mul_hi_u32 s65, s60, s63
	s_mul_i32 s64, s60, s63
	s_mul_hi_u32 s0, s60, s62
	s_mul_i32 s59, s61, s62
	s_add_nc_u64 s[64:65], s[0:1], s[64:65]
	s_mul_hi_u32 s37, s61, s62
	s_mul_hi_u32 s66, s61, s63
	s_add_co_u32 s0, s64, s59
	s_add_co_ci_u32 s0, s65, s37
	s_mul_i32 s62, s61, s63
	s_add_co_ci_u32 s63, s66, 0
	s_delay_alu instid0(SALU_CYCLE_1) | instskip(NEXT) | instid1(SALU_CYCLE_1)
	s_add_nc_u64 s[62:63], s[0:1], s[62:63]
	s_add_co_u32 s60, s60, s62
	s_cselect_b32 s0, -1, 0
	v_mul_hi_u32 v30, v20, s60
	s_cmp_lg_u32 s0, 0
	s_add_co_ci_u32 s0, s61, s63
	s_and_b64 s[62:63], s[60:61], s[28:29]
	v_mul_u64_e32 v[22:23], s[0:1], v[20:21]
	v_mul_u64_e32 v[18:19], s[62:63], v[26:27]
	;; [unrolled: 1-line block ×3, first 2 shown]
	s_delay_alu instid0(VALU_DEP_3) | instskip(NEXT) | instid1(VALU_DEP_1)
	v_add_nc_u64_e32 v[22:23], v[30:31], v[22:23]
	v_add_co_u32 v5, vcc_lo, v22, v18
	s_delay_alu instid0(VALU_DEP_2) | instskip(NEXT) | instid1(VALU_DEP_4)
	v_add_co_ci_u32_e32 v30, vcc_lo, v23, v19, vcc_lo
	v_add_co_ci_u32_e32 v29, vcc_lo, 0, v29, vcc_lo
	s_delay_alu instid0(VALU_DEP_1) | instskip(NEXT) | instid1(VALU_DEP_1)
	v_add_nc_u64_e32 v[18:19], v[30:31], v[28:29]
	v_mul_u64_e32 v[22:23], s[38:39], v[18:19]
	s_delay_alu instid0(VALU_DEP_1) | instskip(NEXT) | instid1(VALU_DEP_2)
	v_sub_nc_u32_e32 v5, v26, v23
	v_sub_co_u32 v13, vcc_lo, v20, v22
	s_delay_alu instid0(VALU_DEP_1) | instskip(NEXT) | instid1(VALU_DEP_3)
	v_sub_co_ci_u32_e64 v26, null, v26, v23, vcc_lo
	v_subrev_co_ci_u32_e64 v5, null, s39, v5, vcc_lo
	s_delay_alu instid0(VALU_DEP_3) | instskip(SKIP_1) | instid1(VALU_DEP_3)
	v_sub_co_u32 v20, s0, v13, s38
	v_add_nc_u64_e32 v[22:23], 1, v[18:19]
	v_subrev_co_ci_u32_e64 v5, null, 0, v5, s0
	s_delay_alu instid0(VALU_DEP_3) | instskip(SKIP_1) | instid1(VALU_DEP_3)
	v_cmp_le_u32_e32 vcc_lo, s38, v20
	v_cndmask_b32_e64 v20, 0, -1, vcc_lo
	v_cmp_le_u32_e32 vcc_lo, s39, v5
	v_cndmask_b32_e64 v21, 0, -1, vcc_lo
	;; [unrolled: 2-line block ×4, first 2 shown]
	v_cmp_eq_u32_e32 vcc_lo, s39, v5
	v_cndmask_b32_e32 v5, v21, v20, vcc_lo
	v_cmp_eq_u32_e32 vcc_lo, s39, v26
	v_add_nc_u64_e32 v[20:21], 2, v[18:19]
	v_cndmask_b32_e32 v13, v27, v13, vcc_lo
	s_delay_alu instid0(VALU_DEP_4) | instskip(NEXT) | instid1(VALU_DEP_2)
	v_cmp_ne_u32_e32 vcc_lo, 0, v5
	v_cmp_ne_u32_e64 s0, 0, v13
	s_delay_alu instid0(VALU_DEP_4) | instskip(NEXT) | instid1(VALU_DEP_1)
	v_dual_cndmask_b32 v5, v23, v21, vcc_lo :: v_dual_cndmask_b32 v13, v22, v20, vcc_lo
	v_dual_cndmask_b32 v5, v19, v5, s0 :: v_dual_bitop2_b32 v12, s36, v12 bitop3:0x14
	s_delay_alu instid0(VALU_DEP_1) | instskip(NEXT) | instid1(VALU_DEP_2)
	v_dual_cndmask_b32 v18, v18, v13, s0 :: v_dual_mov_b32 v13, v12
	v_xor_b32_e32 v19, v5, v12
	s_delay_alu instid0(VALU_DEP_2) | instskip(NEXT) | instid1(VALU_DEP_1)
	v_xor_b32_e32 v18, v18, v12
	v_sub_nc_u64_e32 v[12:13], v[18:19], v[12:13]
.LBB89_43:                              ;   in Loop: Header=BB89_41 Depth=1
	s_and_not1_saveexec_b32 s0, s58
	s_cbranch_execz .LBB89_40
; %bb.44:                               ;   in Loop: Header=BB89_41 Depth=1
	v_cvt_f32_u32_e32 v5, s34
	s_sub_co_i32 s36, 0, s34
	s_delay_alu instid0(VALU_DEP_1) | instskip(SKIP_1) | instid1(TRANS32_DEP_1)
	v_rcp_iflag_f32_e32 v5, v5
	v_nop
	v_mul_f32_e32 v5, 0x4f7ffffe, v5
	s_delay_alu instid0(VALU_DEP_1) | instskip(NEXT) | instid1(VALU_DEP_1)
	v_cvt_u32_f32_e32 v5, v5
	v_mul_lo_u32 v12, s36, v5
	s_delay_alu instid0(VALU_DEP_1) | instskip(NEXT) | instid1(VALU_DEP_1)
	v_mul_hi_u32 v12, v5, v12
	v_add_nc_u32_e32 v5, v5, v12
	s_delay_alu instid0(VALU_DEP_1) | instskip(NEXT) | instid1(VALU_DEP_1)
	v_mul_hi_u32 v5, v10, v5
	v_mul_lo_u32 v12, v5, s34
	s_delay_alu instid0(VALU_DEP_1) | instskip(SKIP_1) | instid1(VALU_DEP_1)
	v_dual_add_nc_u32 v13, 1, v5 :: v_dual_sub_nc_u32 v12, v10, v12
	s_wait_loadcnt 0x0
	v_subrev_nc_u32_e32 v18, s34, v12
	v_cmp_le_u32_e32 vcc_lo, s34, v12
	s_delay_alu instid0(VALU_DEP_2) | instskip(NEXT) | instid1(VALU_DEP_1)
	v_dual_cndmask_b32 v12, v12, v18 :: v_dual_cndmask_b32 v5, v5, v13
	v_cmp_le_u32_e32 vcc_lo, s34, v12
	s_delay_alu instid0(VALU_DEP_2) | instskip(NEXT) | instid1(VALU_DEP_1)
	v_add_nc_u32_e32 v13, 1, v5
	v_dual_cndmask_b32 v12, v5, v13 :: v_dual_mov_b32 v13, v4
	s_branch .LBB89_40
.LBB89_45:
	s_or_b32 exec_lo, exec_lo, s57
	s_mov_b32 s29, -1
	s_mov_b32 s0, 0
	s_mov_b32 s27, 0
	s_mov_b32 s1, exec_lo
	v_cmpx_gt_i64_e64 v[6:7], v[14:15]
	s_cbranch_execz .LBB89_51
; %bb.46:
	s_delay_alu instid0(VALU_DEP_2) | instskip(SKIP_1) | instid1(VALU_DEP_1)
	v_lshlrev_b64_e32 v[2:3], 3, v[2:3]
	s_xor_b32 s29, s42, -1
                                        ; implicit-def: $sgpr28
                                        ; implicit-def: $sgpr31
                                        ; implicit-def: $sgpr30
	v_lshl_add_u64 v[4:5], v[14:15], 3, v[2:3]
	v_add_nc_u64_e32 v[10:11], s[24:25], v[2:3]
	s_delay_alu instid0(VALU_DEP_2) | instskip(NEXT) | instid1(VALU_DEP_1)
	v_add_nc_u64_e32 v[4:5], s[24:25], v[4:5]
	v_add_nc_u64_e32 v[2:3], 8, v[4:5]
	s_delay_alu instid0(VALU_DEP_3)
	v_lshl_add_u64 v[4:5], v[6:7], 3, v[10:11]
	s_branch .LBB89_48
.LBB89_47:                              ;   in Loop: Header=BB89_48 Depth=1
	s_or_b32 exec_lo, exec_lo, s34
	s_delay_alu instid0(SALU_CYCLE_1) | instskip(NEXT) | instid1(SALU_CYCLE_1)
	s_and_b32 s34, exec_lo, s31
	s_or_b32 s27, s34, s27
	s_and_not1_b32 s28, s28, exec_lo
	s_and_b32 s34, s30, exec_lo
	s_delay_alu instid0(SALU_CYCLE_1)
	s_or_b32 s28, s28, s34
	s_and_not1_b32 exec_lo, exec_lo, s27
	s_cbranch_execz .LBB89_50
.LBB89_48:                              ; =>This Inner Loop Header: Depth=1
	s_or_b32 s30, s30, exec_lo
	s_or_b32 s31, s31, exec_lo
	s_mov_b32 s34, exec_lo
	s_delay_alu instid0(VALU_DEP_2)
	v_cmpx_lt_u64_e64 v[2:3], v[4:5]
	s_cbranch_execz .LBB89_47
; %bb.49:                               ;   in Loop: Header=BB89_48 Depth=1
	global_load_b128 v[10:13], v[2:3], off offset:-8
	s_and_not1_b32 s31, s31, exec_lo
	s_wait_xcnt 0x0
	v_add_nc_u64_e32 v[2:3], 8, v[2:3]
	s_and_not1_b32 s30, s30, exec_lo
	s_wait_loadcnt 0x0
	v_cmp_ge_i64_e32 vcc_lo, v[10:11], v[12:13]
	s_or_b32 s35, s29, vcc_lo
	s_delay_alu instid0(SALU_CYCLE_1) | instskip(NEXT) | instid1(SALU_CYCLE_1)
	s_and_b32 s35, s35, exec_lo
	s_or_b32 s31, s31, s35
	s_branch .LBB89_47
.LBB89_50:
	s_or_b32 exec_lo, exec_lo, s27
	s_delay_alu instid0(SALU_CYCLE_1)
	s_mov_b32 s27, exec_lo
	s_or_not1_b32 s29, s28, exec_lo
.LBB89_51:
	s_or_b32 exec_lo, exec_lo, s1
	s_mov_b32 s28, 0
	s_and_saveexec_b32 s1, s29
	s_delay_alu instid0(SALU_CYCLE_1)
	s_xor_b32 s1, exec_lo, s1
; %bb.52:
	v_cmp_ne_u64_e32 vcc_lo, v[44:45], v[38:39]
	s_mov_b32 s28, exec_lo
	s_and_not1_b32 s27, s27, exec_lo
	s_and_b32 s0, vcc_lo, exec_lo
; %bb.53:
	s_or_b32 exec_lo, exec_lo, s1
	s_delay_alu instid0(SALU_CYCLE_1)
	s_and_b32 s29, s27, exec_lo
	s_xor_b32 s1, exec_lo, -1
	s_and_b32 s27, s28, exec_lo
	s_and_b32 s28, s0, exec_lo
.LBB89_54:
	s_or_b32 exec_lo, exec_lo, s56
	s_delay_alu instid0(SALU_CYCLE_1)
	s_and_b32 s30, s29, exec_lo
	s_and_b32 s29, s1, exec_lo
	s_xor_b32 s1, exec_lo, -1
	s_and_b32 s27, s27, exec_lo
	s_and_b32 s0, s28, exec_lo
.LBB89_55:
	s_or_b32 exec_lo, exec_lo, s55
	s_delay_alu instid0(SALU_CYCLE_1)
	s_and_b32 s30, s30, exec_lo
	s_and_b32 s29, s29, exec_lo
	;; [unrolled: 1-line block ×4, first 2 shown]
	s_or_not1_b32 s0, s0, exec_lo
.LBB89_56:
	s_or_b32 exec_lo, exec_lo, s54
	s_delay_alu instid0(SALU_CYCLE_1)
	s_and_not1_b32 s27, s52, exec_lo
	s_and_b32 s30, s30, exec_lo
	s_and_b32 s29, s29, exec_lo
	s_or_b32 s52, s27, s30
	s_and_b32 s28, s28, exec_lo
	s_and_b32 s27, s1, exec_lo
	s_and_b32 s0, s0, exec_lo
.LBB89_57:
	s_or_b32 exec_lo, exec_lo, s53
	s_delay_alu instid0(SALU_CYCLE_1)
	s_and_b32 s30, s52, exec_lo
	s_or_not1_b32 s1, s29, exec_lo
	s_and_b32 s29, s28, exec_lo
	s_and_b32 s28, s27, exec_lo
	s_and_b32 s27, s0, exec_lo
.LBB89_58:
	s_or_b32 exec_lo, exec_lo, s51
	s_delay_alu instid0(SALU_CYCLE_1)
	s_and_b32 s30, s30, exec_lo
	s_and_b32 s31, s1, exec_lo
	s_or_not1_b32 s1, s29, exec_lo
	s_and_b32 s28, s28, exec_lo
	s_and_b32 s0, s27, exec_lo
.LBB89_59:
	s_or_b32 exec_lo, exec_lo, s50
	s_delay_alu instid0(SALU_CYCLE_1)
	s_and_b32 s30, s30, exec_lo
	s_and_b32 s29, s31, exec_lo
	s_and_b32 s27, s1, exec_lo
	s_and_b32 s1, s28, exec_lo
	s_or_not1_b32 s0, s0, exec_lo
.LBB89_60:
	s_or_b32 exec_lo, exec_lo, s49
	s_delay_alu instid0(SALU_CYCLE_1)
	s_and_not1_b32 s28, s47, exec_lo
	s_and_b32 s30, s30, exec_lo
	s_and_b32 s31, s29, exec_lo
	s_or_b32 s47, s28, s30
	s_and_b32 s29, s27, exec_lo
	s_and_b32 s28, s1, exec_lo
	;; [unrolled: 1-line block ×3, first 2 shown]
.LBB89_61:
	s_or_b32 exec_lo, exec_lo, s48
	s_delay_alu instid0(SALU_CYCLE_1)
	s_and_b32 s30, s46, exec_lo
	s_and_b32 s27, s47, exec_lo
	s_or_not1_b32 s1, s31, exec_lo
	s_and_b32 s34, s29, exec_lo
	s_and_b32 s28, s28, exec_lo
	;; [unrolled: 1-line block ×3, first 2 shown]
.LBB89_62:
	s_or_b32 exec_lo, exec_lo, s45
	s_delay_alu instid0(SALU_CYCLE_1)
	s_and_b32 s31, s30, exec_lo
	s_and_b32 s30, s27, exec_lo
	;; [unrolled: 1-line block ×3, first 2 shown]
	s_or_not1_b32 s0, s34, exec_lo
	s_and_b32 s28, s28, exec_lo
	s_and_b32 s29, s29, exec_lo
.LBB89_63:
	s_or_b32 exec_lo, exec_lo, s44
	s_delay_alu instid0(SALU_CYCLE_1)
	s_and_b32 s1, s31, exec_lo
	s_and_b32 s36, s30, exec_lo
	;; [unrolled: 1-line block ×5, first 2 shown]
	s_or_not1_b32 s29, s29, exec_lo
.LBB89_64:
	s_or_b32 exec_lo, exec_lo, s43
	s_and_saveexec_b32 s30, s29
	s_cbranch_execnz .LBB89_211
.LBB89_65:
	s_or_b32 exec_lo, exec_lo, s30
	s_mov_b32 s29, 0
	s_and_saveexec_b32 s30, s28
	s_delay_alu instid0(SALU_CYCLE_1)
	s_xor_b32 s28, exec_lo, s30
	s_cbranch_execz .LBB89_67
; %bb.66:
	s_wait_loadcnt 0x0
	v_cmp_ne_u64_e32 vcc_lo, v[32:33], v[34:35]
	s_and_not1_b32 s0, s0, exec_lo
	s_mov_b32 s29, exec_lo
	s_and_b32 s30, vcc_lo, exec_lo
	s_delay_alu instid0(SALU_CYCLE_1)
	s_or_b32 s0, s0, s30
.LBB89_67:
	s_or_b32 exec_lo, exec_lo, s28
	s_and_saveexec_b32 s28, s0
	s_cbranch_execnz .LBB89_212
.LBB89_68:
	s_or_b32 exec_lo, exec_lo, s28
	s_mov_b32 s28, 0
	s_and_saveexec_b32 s0, s29
	s_delay_alu instid0(SALU_CYCLE_1)
	s_xor_b32 s29, exec_lo, s0
	s_cbranch_execnz .LBB89_104
; %bb.69:
	s_or_b32 exec_lo, exec_lo, s29
	s_and_saveexec_b32 s0, s27
	s_cbranch_execnz .LBB89_105
.LBB89_70:
	s_or_b32 exec_lo, exec_lo, s0
	s_mov_b32 s0, 0
	s_and_saveexec_b32 s37, s28
	s_cbranch_execnz .LBB89_106
.LBB89_71:
	s_or_b32 exec_lo, exec_lo, s37
	s_and_saveexec_b32 s1, s36
	s_cbranch_execnz .LBB89_152
.LBB89_72:
	s_or_b32 exec_lo, exec_lo, s1
	s_and_saveexec_b32 s1, s0
	s_delay_alu instid0(SALU_CYCLE_1)
	s_xor_b32 s0, exec_lo, s1
	s_cbranch_execz .LBB89_74
.LBB89_73:
	s_mov_b32 s24, 0
	s_add_nc_u64 s[2:3], s[4:5], s[22:23]
	s_mov_b32 s25, s24
	s_mov_b32 s26, s24
	;; [unrolled: 1-line block ×3, first 2 shown]
	v_mov_b64_e32 v[2:3], s[24:25]
	v_mov_b64_e32 v[4:5], s[26:27]
	s_clause 0x1
	global_store_b128 v1, v[2:5], s[2:3]
	global_store_b128 v1, v[2:5], s[2:3] offset:16
.LBB89_74:
	s_wait_xcnt 0x0
	s_or_b32 exec_lo, exec_lo, s0
	s_mov_b32 s0, 0
.LBB89_75:
	s_delay_alu instid0(SALU_CYCLE_1)
	s_and_b32 vcc_lo, exec_lo, s0
	s_cbranch_vccz .LBB89_95
; %bb.76:
	v_mov_b64_e32 v[26:27], 0
	v_mov_b64_e32 v[36:37], 0
	v_mov_b64_e32 v[38:39], 0
	s_wait_loadcnt 0x0
	v_mov_b64_e32 v[32:33], 0
	v_mov_b64_e32 v[34:35], 0
	;; [unrolled: 1-line block ×3, first 2 shown]
	v_cmp_gt_i32_e64 s0, s33, v0
	v_or_b32_e32 v1, 0x100, v0
	v_mov_b32_e32 v42, v0
	s_and_saveexec_b32 s1, s0
	s_cbranch_execz .LBB89_78
; %bb.77:
	v_or_b32_e32 v2, s16, v0
	v_or_b32_e32 v42, 0x100, v0
	s_clause 0x4
	global_load_b64 v[32:33], v2, s[10:11] scale_offset
	global_load_b64 v[36:37], v2, s[6:7] scale_offset
	;; [unrolled: 1-line block ×5, first 2 shown]
.LBB89_78:
	s_wait_xcnt 0x0
	s_or_b32 exec_lo, exec_lo, s1
	v_mov_b64_e32 v[28:29], 0
	v_mov_b64_e32 v[22:23], 0
	;; [unrolled: 1-line block ×4, first 2 shown]
	s_mov_b32 s1, exec_lo
	v_cmpx_gt_i32_e64 s33, v42
	s_cbranch_execz .LBB89_80
; %bb.79:
	v_add_nc_u32_e32 v2, s16, v42
	v_add_nc_u32_e32 v42, 0x100, v42
	s_clause 0x4
	global_load_b64 v[22:23], v2, s[10:11] scale_offset
	global_load_b64 v[26:27], v2, s[6:7] scale_offset
	;; [unrolled: 1-line block ×5, first 2 shown]
.LBB89_80:
	s_wait_xcnt 0x0
	s_or_b32 exec_lo, exec_lo, s1
	v_mov_b64_e32 v[10:11], 0
	v_mov_b64_e32 v[20:21], 0
	;; [unrolled: 1-line block ×6, first 2 shown]
	s_mov_b32 s1, exec_lo
	v_cmpx_gt_i32_e64 s33, v42
	s_cbranch_execz .LBB89_82
; %bb.81:
	v_add_nc_u32_e32 v2, s16, v42
	v_add_nc_u32_e32 v42, 0x100, v42
	s_clause 0x4
	global_load_b64 v[12:13], v2, s[10:11] scale_offset
	global_load_b64 v[20:21], v2, s[6:7] scale_offset
	;; [unrolled: 1-line block ×5, first 2 shown]
.LBB89_82:
	s_wait_xcnt 0x0
	s_or_b32 exec_lo, exec_lo, s1
	v_mov_b64_e32 v[6:7], 0
	v_mov_b64_e32 v[2:3], 0
	;; [unrolled: 1-line block ×4, first 2 shown]
	s_mov_b32 s1, exec_lo
	v_cmpx_gt_i32_e64 s33, v42
	s_cbranch_execz .LBB89_84
; %bb.83:
	v_add_nc_u32_e32 v42, s16, v42
	s_clause 0x4
	global_load_b64 v[2:3], v42, s[10:11] scale_offset
	global_load_b64 v[10:11], v42, s[6:7] scale_offset
	;; [unrolled: 1-line block ×5, first 2 shown]
.LBB89_84:
	s_wait_xcnt 0x0
	s_or_b32 exec_lo, exec_lo, s1
	s_clause 0x1
	s_load_b256 s[8:15], s[18:19], 0x0
	s_load_b64 s[2:3], s[18:19], 0xa0
	s_cmp_lg_u64 s[20:21], 0
	s_get_pc_i64 s[6:7]
	s_add_nc_u64 s[6:7], s[6:7], .str.7@rel64+4
	s_get_pc_i64 s[20:21]
	s_add_nc_u64 s[20:21], s[20:21], .str.8@rel64+4
	s_cselect_b32 s38, -1, 0
	s_cmp_lg_u64 s[6:7], 0
	s_get_pc_i64 s[22:23]
	s_add_nc_u64 s[22:23], s[22:23], .str.9@rel64+4
	s_cselect_b32 s36, -1, 0
	s_cmp_lg_u64 s[20:21], 0
	s_mov_b32 s1, -1
	s_cselect_b32 s35, -1, 0
	s_mov_b32 s44, 0
	s_mov_b32 s42, 0
	;; [unrolled: 1-line block ×5, first 2 shown]
	s_wait_kmcnt 0x0
	s_add_co_i32 s6, s14, -1
	s_delay_alu instid0(SALU_CYCLE_1)
	s_cmp_gt_i32 s6, -1
	s_cselect_b32 s34, -1, 0
	s_cmp_lg_u64 s[22:23], 0
	s_cselect_b32 s15, -1, 0
	s_and_saveexec_b32 s40, s0
	s_cbranch_execnz .LBB89_113
; %bb.85:
	s_or_b32 exec_lo, exec_lo, s40
	s_mov_b32 s40, 0
	s_and_saveexec_b32 s43, s1
	s_cbranch_execnz .LBB89_161
.LBB89_86:
	s_or_b32 exec_lo, exec_lo, s43
	s_and_saveexec_b32 s1, s42
	s_cbranch_execnz .LBB89_210
.LBB89_87:
	s_or_b32 exec_lo, exec_lo, s1
	s_mov_b32 s1, 0
	s_and_saveexec_b32 s7, s44
	s_delay_alu instid0(SALU_CYCLE_1)
	s_xor_b32 s7, exec_lo, s7
	s_cbranch_execz .LBB89_89
; %bb.88:
	s_wait_loadcnt 0x2
	v_cmp_ne_u64_e32 vcc_lo, s[12:13], v[6:7]
	s_xor_b32 s8, s36, -1
	s_and_not1_b32 s9, s41, exec_lo
	s_mov_b32 s1, exec_lo
	s_or_b32 s8, s8, vcc_lo
	s_delay_alu instid0(SALU_CYCLE_1) | instskip(NEXT) | instid1(SALU_CYCLE_1)
	s_and_b32 s8, s8, exec_lo
	s_or_b32 s41, s9, s8
.LBB89_89:
	s_or_b32 exec_lo, exec_lo, s7
	s_and_saveexec_b32 s7, s41
	s_cbranch_execnz .LBB89_213
.LBB89_90:
	s_or_b32 exec_lo, exec_lo, s7
	s_mov_b32 s7, 0
	s_and_saveexec_b32 s8, s1
	s_delay_alu instid0(SALU_CYCLE_1)
	s_xor_b32 s8, exec_lo, s8
	s_cbranch_execnz .LBB89_123
; %bb.91:
	s_or_b32 exec_lo, exec_lo, s8
	s_and_saveexec_b32 s1, s39
	s_cbranch_execnz .LBB89_124
.LBB89_92:
	s_or_b32 exec_lo, exec_lo, s1
	s_and_saveexec_b32 s22, s7
	s_cbranch_execnz .LBB89_125
.LBB89_93:
	s_or_b32 exec_lo, exec_lo, s22
	s_and_saveexec_b32 s1, s37
	s_cbranch_execnz .LBB89_155
.LBB89_94:
	s_or_b32 exec_lo, exec_lo, s1
	s_and_saveexec_b32 s1, s17
	s_cbranch_execnz .LBB89_96
	s_branch .LBB89_97
.LBB89_95:
                                        ; implicit-def: $sgpr0
                                        ; implicit-def: $vgpr1
                                        ; implicit-def: $vgpr0
	s_and_saveexec_b32 s1, s17
.LBB89_96:
	; divergent unreachable
.LBB89_97:
	s_delay_alu instid0(SALU_CYCLE_1) | instskip(SKIP_1) | instid1(SALU_CYCLE_1)
	s_or_b32 exec_lo, exec_lo, s1
	s_and_saveexec_b32 s1, s40
	s_xor_b32 s1, exec_lo, s1
	s_cbranch_execz .LBB89_103
; %bb.98:
	s_and_saveexec_b32 s1, s0
	s_delay_alu instid0(SALU_CYCLE_1)
	s_xor_b32 s0, exec_lo, s1
	s_cbranch_execnz .LBB89_132
; %bb.99:
	s_or_b32 exec_lo, exec_lo, s0
	s_delay_alu instid0(SALU_CYCLE_1)
	s_mov_b32 s0, exec_lo
	v_cmpx_gt_i32_e64 s33, v0
	s_cbranch_execnz .LBB89_133
.LBB89_100:
	s_or_b32 exec_lo, exec_lo, s0
	s_delay_alu instid0(SALU_CYCLE_1)
	s_mov_b32 s0, exec_lo
	v_cmpx_gt_i32_e64 s33, v0
	s_cbranch_execnz .LBB89_134
.LBB89_101:
	s_or_b32 exec_lo, exec_lo, s0
	s_delay_alu instid0(SALU_CYCLE_1)
	s_mov_b32 s0, exec_lo
	v_cmpx_gt_i32_e64 s33, v0
	s_cbranch_execz .LBB89_103
.LBB89_102:
	s_wait_loadcnt 0x4
	v_mov_b64_e32 v[2:3], 0
	v_add_nc_u32_e32 v0, s16, v0
	global_store_b64 v0, v[2:3], s[4:5] scale_offset
.LBB89_103:
	s_endpgm
.LBB89_104:
	s_wait_loadcnt 0x0
	v_sub_nc_u64_e32 v[2:3], v[8:9], v[16:17]
	s_mov_b32 s28, exec_lo
	s_delay_alu instid0(VALU_DEP_1) | instskip(SKIP_3) | instid1(SALU_CYCLE_1)
	v_cmp_gt_i64_e32 vcc_lo, v[38:39], v[2:3]
	v_cmp_lt_i64_e64 s0, s[2:3], v[2:3]
	s_and_not1_b32 s2, s27, exec_lo
	s_or_b32 s0, vcc_lo, s0
	s_and_b32 s0, s0, exec_lo
	s_delay_alu instid0(SALU_CYCLE_1)
	s_or_b32 s27, s2, s0
	s_or_b32 exec_lo, exec_lo, s29
	s_and_saveexec_b32 s0, s27
	s_cbranch_execz .LBB89_70
.LBB89_105:
	s_or_b32 s17, s17, exec_lo
	s_and_not1_b32 s28, s28, exec_lo
	s_trap 2
	s_or_b32 exec_lo, exec_lo, s0
	s_mov_b32 s0, 0
	s_and_saveexec_b32 s37, s28
	s_cbranch_execz .LBB89_71
.LBB89_106:
	v_mov_b64_e32 v[2:3], 0
	s_and_saveexec_b32 s38, s1
	s_cbranch_execz .LBB89_135
; %bb.107:
	s_wait_loadcnt 0x0
	v_mul_u64_e32 v[6:7], v[24:25], v[34:35]
	s_ashr_i32 s27, s26, 31
	v_mov_b64_e32 v[2:3], 0
	s_lshl_b64 s[0:1], s[26:27], 3
	v_mov_b32_e32 v4, 0
	s_add_nc_u64 s[0:1], s[18:19], s[0:1]
	s_mov_b64 s[2:3], 0xffffffff
	s_add_nc_u64 s[26:27], s[0:1], 32
	s_mov_b32 s1, 0
	s_branch .LBB89_109
.LBB89_108:                             ;   in Loop: Header=BB89_109 Depth=1
	s_or_b32 exec_lo, exec_lo, s0
	s_delay_alu instid0(VALU_DEP_1)
	v_mul_u64_e32 v[12:13], s[28:29], v[10:11]
	s_load_b64 s[28:29], s[26:27], 0x40
	s_add_co_i32 s41, s41, -1
	s_wait_xcnt 0x0
	s_add_nc_u64 s[26:27], s[26:27], -8
	s_cmp_lg_u32 s41, 0
	s_delay_alu instid0(VALU_DEP_1) | instskip(SKIP_1) | instid1(VALU_DEP_1)
	v_sub_nc_u64_e32 v[6:7], v[6:7], v[12:13]
	s_wait_kmcnt 0x0
	v_mad_nc_u64_u32 v[2:3], v6, s28, v[2:3]
	s_delay_alu instid0(VALU_DEP_1) | instskip(NEXT) | instid1(VALU_DEP_1)
	v_mad_u32 v3, v7, s28, v3
	v_mad_u32 v3, v6, s29, v3
	v_mov_b64_e32 v[6:7], v[10:11]
	s_cbranch_scc0 .LBB89_135
.LBB89_109:                             ; =>This Inner Loop Header: Depth=1
	s_load_b64 s[28:29], s[26:27], 0x0
                                        ; implicit-def: $vgpr10_vgpr11
	s_mov_b32 s0, exec_lo
	s_wait_kmcnt 0x0
	s_delay_alu instid0(VALU_DEP_1) | instskip(NEXT) | instid1(VALU_DEP_1)
	v_or_b32_e32 v5, s29, v7
	v_cmpx_ne_u64_e32 0, v[4:5]
	s_xor_b32 s39, exec_lo, s0
	s_cbranch_execz .LBB89_111
; %bb.110:                              ;   in Loop: Header=BB89_109 Depth=1
	s_ashr_i32 s30, s29, 31
	v_dual_mov_b32 v15, v4 :: v_dual_ashrrev_i32 v10, 31, v7
	s_mov_b32 s31, s30
	v_mov_b32_e32 v25, v4
	s_add_nc_u64 s[34:35], s[28:29], s[30:31]
	s_delay_alu instid0(VALU_DEP_2) | instskip(SKIP_1) | instid1(SALU_CYCLE_1)
	v_mov_b32_e32 v11, v10
	s_xor_b64 s[34:35], s[34:35], s[30:31]
	s_cvt_f32_u32 s0, s34
	s_cvt_f32_u32 s31, s35
	s_sub_nc_u64 s[46:47], 0, s[34:35]
	v_add_nc_u64_e32 v[12:13], v[6:7], v[10:11]
	v_mov_b32_e32 v21, v4
	s_fmamk_f32 s0, s31, 0x4f800000, s0
	s_delay_alu instid0(SALU_CYCLE_3) | instskip(NEXT) | instid1(VALU_DEP_2)
	v_s_rcp_f32 s0, s0
	v_xor_b32_e32 v14, v12, v10
	s_delay_alu instid0(VALU_DEP_3) | instskip(SKIP_1) | instid1(TRANS32_DEP_1)
	v_xor_b32_e32 v20, v13, v10
	v_xor_b32_e32 v10, s30, v10
	s_mul_f32 s0, s0, 0x5f7ffffc
	s_delay_alu instid0(SALU_CYCLE_3) | instskip(NEXT) | instid1(SALU_CYCLE_3)
	s_mul_f32 s31, s0, 0x2f800000
	s_trunc_f32 s31, s31
	s_delay_alu instid0(SALU_CYCLE_3) | instskip(SKIP_1) | instid1(SALU_CYCLE_2)
	s_fmamk_f32 s0, s31, 0xcf800000, s0
	s_cvt_u32_f32 s45, s31
	s_cvt_u32_f32 s44, s0
	s_delay_alu instid0(SALU_CYCLE_3) | instskip(NEXT) | instid1(SALU_CYCLE_1)
	s_mul_u64 s[48:49], s[46:47], s[44:45]
	s_mul_hi_u32 s51, s44, s49
	s_mul_i32 s50, s44, s49
	s_mul_hi_u32 s0, s44, s48
	s_mul_i32 s43, s45, s48
	s_add_nc_u64 s[50:51], s[0:1], s[50:51]
	s_mul_hi_u32 s31, s45, s48
	s_mul_hi_u32 s52, s45, s49
	s_add_co_u32 s0, s50, s43
	s_add_co_ci_u32 s0, s51, s31
	s_mul_i32 s48, s45, s49
	s_add_co_ci_u32 s49, s52, 0
	s_delay_alu instid0(SALU_CYCLE_1) | instskip(NEXT) | instid1(SALU_CYCLE_1)
	s_add_nc_u64 s[48:49], s[0:1], s[48:49]
	s_add_co_u32 s44, s44, s48
	s_cselect_b32 s0, -1, 0
	s_delay_alu instid0(SALU_CYCLE_1) | instskip(SKIP_1) | instid1(SALU_CYCLE_1)
	s_cmp_lg_u32 s0, 0
	s_add_co_ci_u32 s45, s45, s49
	s_mul_u64 s[46:47], s[46:47], s[44:45]
	s_delay_alu instid0(SALU_CYCLE_1)
	s_mul_hi_u32 s49, s44, s47
	s_mul_i32 s48, s44, s47
	s_mul_hi_u32 s0, s44, s46
	s_mul_i32 s43, s45, s46
	s_add_nc_u64 s[48:49], s[0:1], s[48:49]
	s_mul_hi_u32 s31, s45, s46
	s_mul_hi_u32 s50, s45, s47
	s_add_co_u32 s0, s48, s43
	s_add_co_ci_u32 s0, s49, s31
	s_mul_i32 s46, s45, s47
	s_add_co_ci_u32 s47, s50, 0
	s_delay_alu instid0(SALU_CYCLE_1) | instskip(NEXT) | instid1(SALU_CYCLE_1)
	s_add_nc_u64 s[46:47], s[0:1], s[46:47]
	s_add_co_u32 s44, s44, s46
	s_cselect_b32 s0, -1, 0
	v_mul_hi_u32 v24, v14, s44
	s_cmp_lg_u32 s0, 0
	s_add_co_ci_u32 s0, s45, s47
	s_and_b64 s[46:47], s[44:45], s[2:3]
	v_mul_u64_e32 v[18:19], s[0:1], v[14:15]
	v_mul_u64_e32 v[12:13], s[46:47], v[20:21]
	;; [unrolled: 1-line block ×3, first 2 shown]
	s_delay_alu instid0(VALU_DEP_3) | instskip(NEXT) | instid1(VALU_DEP_1)
	v_add_nc_u64_e32 v[18:19], v[24:25], v[18:19]
	v_add_co_u32 v5, vcc_lo, v18, v12
	s_delay_alu instid0(VALU_DEP_2) | instskip(NEXT) | instid1(VALU_DEP_4)
	v_add_co_ci_u32_e32 v24, vcc_lo, v19, v13, vcc_lo
	v_add_co_ci_u32_e32 v23, vcc_lo, 0, v23, vcc_lo
	s_delay_alu instid0(VALU_DEP_1) | instskip(NEXT) | instid1(VALU_DEP_1)
	v_add_nc_u64_e32 v[12:13], v[24:25], v[22:23]
	v_mul_u64_e32 v[18:19], s[34:35], v[12:13]
	s_delay_alu instid0(VALU_DEP_1) | instskip(NEXT) | instid1(VALU_DEP_2)
	v_sub_nc_u32_e32 v5, v20, v19
	v_sub_co_u32 v11, vcc_lo, v14, v18
	s_delay_alu instid0(VALU_DEP_1) | instskip(NEXT) | instid1(VALU_DEP_3)
	v_sub_co_ci_u32_e64 v20, null, v20, v19, vcc_lo
	v_subrev_co_ci_u32_e64 v5, null, s35, v5, vcc_lo
	s_delay_alu instid0(VALU_DEP_3) | instskip(SKIP_1) | instid1(VALU_DEP_3)
	v_sub_co_u32 v14, s0, v11, s34
	v_add_nc_u64_e32 v[18:19], 1, v[12:13]
	v_subrev_co_ci_u32_e64 v5, null, 0, v5, s0
	s_delay_alu instid0(VALU_DEP_3) | instskip(SKIP_1) | instid1(VALU_DEP_3)
	v_cmp_le_u32_e32 vcc_lo, s34, v14
	v_cndmask_b32_e64 v14, 0, -1, vcc_lo
	v_cmp_le_u32_e32 vcc_lo, s35, v5
	v_cndmask_b32_e64 v15, 0, -1, vcc_lo
	;; [unrolled: 2-line block ×4, first 2 shown]
	v_cmp_eq_u32_e32 vcc_lo, s35, v5
	v_cndmask_b32_e32 v5, v15, v14, vcc_lo
	v_cmp_eq_u32_e32 vcc_lo, s35, v20
	v_add_nc_u64_e32 v[14:15], 2, v[12:13]
	v_cndmask_b32_e32 v11, v21, v11, vcc_lo
	s_delay_alu instid0(VALU_DEP_4) | instskip(NEXT) | instid1(VALU_DEP_2)
	v_cmp_ne_u32_e32 vcc_lo, 0, v5
	v_cmp_ne_u32_e64 s0, 0, v11
	s_delay_alu instid0(VALU_DEP_4) | instskip(NEXT) | instid1(VALU_DEP_1)
	v_dual_cndmask_b32 v5, v19, v15, vcc_lo :: v_dual_cndmask_b32 v11, v18, v14, vcc_lo
	v_dual_cndmask_b32 v12, v12, v11, s0 :: v_dual_mov_b32 v11, v10
	s_delay_alu instid0(VALU_DEP_1) | instskip(NEXT) | instid1(VALU_DEP_1)
	v_dual_cndmask_b32 v5, v13, v5, s0 :: v_dual_bitop2_b32 v12, v12, v10 bitop3:0x14
	v_xor_b32_e32 v13, v5, v10
	s_delay_alu instid0(VALU_DEP_1)
	v_sub_nc_u64_e32 v[10:11], v[12:13], v[10:11]
.LBB89_111:                             ;   in Loop: Header=BB89_109 Depth=1
	s_and_not1_saveexec_b32 s0, s39
	s_cbranch_execz .LBB89_108
; %bb.112:                              ;   in Loop: Header=BB89_109 Depth=1
	v_cvt_f32_u32_e32 v5, s28
	s_sub_co_i32 s30, 0, s28
	s_delay_alu instid0(VALU_DEP_1) | instskip(SKIP_1) | instid1(TRANS32_DEP_1)
	v_rcp_iflag_f32_e32 v5, v5
	v_nop
	v_mul_f32_e32 v5, 0x4f7ffffe, v5
	s_delay_alu instid0(VALU_DEP_1) | instskip(NEXT) | instid1(VALU_DEP_1)
	v_cvt_u32_f32_e32 v5, v5
	v_mul_lo_u32 v10, s30, v5
	s_delay_alu instid0(VALU_DEP_1) | instskip(NEXT) | instid1(VALU_DEP_1)
	v_mul_hi_u32 v10, v5, v10
	v_add_nc_u32_e32 v5, v5, v10
	s_delay_alu instid0(VALU_DEP_1) | instskip(NEXT) | instid1(VALU_DEP_1)
	v_mul_hi_u32 v5, v6, v5
	v_mul_lo_u32 v10, v5, s28
	s_delay_alu instid0(VALU_DEP_1) | instskip(NEXT) | instid1(VALU_DEP_1)
	v_dual_add_nc_u32 v11, 1, v5 :: v_dual_sub_nc_u32 v10, v6, v10
	v_subrev_nc_u32_e32 v12, s28, v10
	v_cmp_le_u32_e32 vcc_lo, s28, v10
	s_delay_alu instid0(VALU_DEP_2) | instskip(NEXT) | instid1(VALU_DEP_1)
	v_dual_cndmask_b32 v10, v10, v12 :: v_dual_cndmask_b32 v5, v5, v11
	v_cmp_le_u32_e32 vcc_lo, s28, v10
	s_delay_alu instid0(VALU_DEP_2) | instskip(NEXT) | instid1(VALU_DEP_1)
	v_add_nc_u32_e32 v11, 1, v5
	v_dual_cndmask_b32 v10, v5, v11 :: v_dual_mov_b32 v11, v4
	s_branch .LBB89_108
.LBB89_113:
	s_wait_loadcnt 0x3
	v_cmp_eq_u64_e32 vcc_lo, s[8:9], v[36:37]
	s_mov_b32 s7, -1
	s_mov_b32 s1, 0
	s_mov_b32 s20, 0
	;; [unrolled: 1-line block ×4, first 2 shown]
	s_and_b32 s23, s38, vcc_lo
	s_delay_alu instid0(SALU_CYCLE_1)
	s_and_saveexec_b32 s37, s23
	s_cbranch_execz .LBB89_160
; %bb.114:
	s_wait_loadcnt 0x2
	v_cmp_eq_u64_e32 vcc_lo, s[12:13], v[38:39]
	s_and_b32 s22, s36, vcc_lo
	s_delay_alu instid0(SALU_CYCLE_1)
	s_and_saveexec_b32 s39, s22
	s_cbranch_execz .LBB89_159
; %bb.115:
	s_wait_loadcnt 0x1
	v_sub_nc_u64_e32 v[42:43], v[34:35], v[32:33]
	s_delay_alu instid0(VALU_DEP_1)
	v_cmp_le_i64_e32 vcc_lo, v[36:37], v[42:43]
	v_cmp_ge_i64_e64 s1, s[10:11], v[42:43]
	s_and_b32 s20, vcc_lo, s1
	s_mov_b32 s1, 0
	s_and_b32 s21, s35, s20
	s_mov_b32 s20, 0
	s_and_saveexec_b32 s41, s21
	s_cbranch_execz .LBB89_158
; %bb.116:
	v_cmp_lt_i64_e32 vcc_lo, 0, v[38:39]
	v_mov_b64_e32 v[36:37], 0
	s_and_b32 s1, vcc_lo, s34
	s_delay_alu instid0(SALU_CYCLE_1)
	s_and_saveexec_b32 s42, s1
	s_cbranch_execz .LBB89_145
; %bb.117:
	s_wait_loadcnt 0x0
	v_mul_u64_e32 v[40:41], v[40:41], v[38:39]
	s_ashr_i32 s7, s6, 31
	v_mov_b64_e32 v[36:37], 0
	s_lshl_b64 s[22:23], s[6:7], 3
	v_mov_b32_e32 v38, 0
	s_add_nc_u64 s[22:23], s[18:19], s[22:23]
	s_mov_b64 s[20:21], 0xffffffff
	s_add_nc_u64 s[22:23], s[22:23], 32
	s_mov_b32 s25, 0
	s_mov_b32 s7, s14
	s_branch .LBB89_119
.LBB89_118:                             ;   in Loop: Header=BB89_119 Depth=1
	s_or_b32 exec_lo, exec_lo, s1
	s_delay_alu instid0(VALU_DEP_1)
	v_mul_u64_e32 v[44:45], s[26:27], v[42:43]
	s_load_b64 s[26:27], s[22:23], 0x40
	s_add_co_i32 s7, s7, -1
	s_wait_xcnt 0x0
	s_add_nc_u64 s[22:23], s[22:23], -8
	s_cmp_eq_u32 s7, 0
	s_delay_alu instid0(VALU_DEP_1) | instskip(SKIP_1) | instid1(VALU_DEP_1)
	v_sub_nc_u64_e32 v[40:41], v[40:41], v[44:45]
	s_wait_kmcnt 0x0
	v_mad_nc_u64_u32 v[36:37], v40, s26, v[36:37]
	s_delay_alu instid0(VALU_DEP_1) | instskip(NEXT) | instid1(VALU_DEP_1)
	v_mad_u32 v37, v41, s26, v37
	v_mad_u32 v37, v40, s27, v37
	v_mov_b64_e32 v[40:41], v[42:43]
	s_cbranch_scc1 .LBB89_145
.LBB89_119:                             ; =>This Inner Loop Header: Depth=1
	s_load_b64 s[26:27], s[22:23], 0x0
                                        ; implicit-def: $vgpr42_vgpr43
	s_mov_b32 s1, exec_lo
	s_wait_kmcnt 0x0
	s_delay_alu instid0(VALU_DEP_1) | instskip(NEXT) | instid1(VALU_DEP_1)
	v_or_b32_e32 v39, s27, v41
	v_cmpx_ne_u64_e32 0, v[38:39]
	s_xor_b32 s43, exec_lo, s1
	s_cbranch_execz .LBB89_121
; %bb.120:                              ;   in Loop: Header=BB89_119 Depth=1
	s_ashr_i32 s28, s27, 31
	v_dual_mov_b32 v47, v38 :: v_dual_ashrrev_i32 v42, 31, v41
	s_mov_b32 s29, s28
	v_mov_b32_e32 v55, v38
	s_add_nc_u64 s[30:31], s[26:27], s[28:29]
	s_delay_alu instid0(VALU_DEP_2) | instskip(SKIP_1) | instid1(SALU_CYCLE_1)
	v_mov_b32_e32 v43, v42
	s_xor_b64 s[30:31], s[30:31], s[28:29]
	s_cvt_f32_u32 s1, s30
	s_cvt_f32_u32 s24, s31
	s_sub_nc_u64 s[48:49], 0, s[30:31]
	v_add_nc_u64_e32 v[44:45], v[40:41], v[42:43]
	v_mov_b32_e32 v51, v38
	s_fmamk_f32 s1, s24, 0x4f800000, s1
	s_delay_alu instid0(SALU_CYCLE_3) | instskip(NEXT) | instid1(VALU_DEP_2)
	v_s_rcp_f32 s1, s1
	v_xor_b32_e32 v46, v44, v42
	s_delay_alu instid0(VALU_DEP_3) | instskip(NEXT) | instid1(TRANS32_DEP_1)
	v_xor_b32_e32 v50, v45, v42
	s_mul_f32 s1, s1, 0x5f7ffffc
	s_delay_alu instid0(SALU_CYCLE_3) | instskip(NEXT) | instid1(SALU_CYCLE_3)
	s_mul_f32 s24, s1, 0x2f800000
	s_trunc_f32 s24, s24
	s_delay_alu instid0(SALU_CYCLE_3) | instskip(SKIP_1) | instid1(SALU_CYCLE_2)
	s_fmamk_f32 s1, s24, 0xcf800000, s1
	s_cvt_u32_f32 s47, s24
	s_cvt_u32_f32 s46, s1
	s_delay_alu instid0(SALU_CYCLE_3) | instskip(NEXT) | instid1(SALU_CYCLE_1)
	s_mul_u64 s[50:51], s[48:49], s[46:47]
	s_mul_hi_u32 s53, s46, s51
	s_mul_i32 s52, s46, s51
	s_mul_hi_u32 s24, s46, s50
	s_mul_i32 s29, s47, s50
	s_add_nc_u64 s[52:53], s[24:25], s[52:53]
	s_mul_hi_u32 s1, s47, s50
	s_mul_hi_u32 s45, s47, s51
	s_add_co_u32 s24, s52, s29
	s_add_co_ci_u32 s24, s53, s1
	s_mul_i32 s50, s47, s51
	s_add_co_ci_u32 s51, s45, 0
	s_delay_alu instid0(SALU_CYCLE_1) | instskip(NEXT) | instid1(SALU_CYCLE_1)
	s_add_nc_u64 s[50:51], s[24:25], s[50:51]
	s_add_co_u32 s46, s46, s50
	s_cselect_b32 s1, -1, 0
	s_delay_alu instid0(SALU_CYCLE_1) | instskip(SKIP_1) | instid1(SALU_CYCLE_1)
	s_cmp_lg_u32 s1, 0
	s_add_co_ci_u32 s47, s47, s51
	s_mul_u64 s[48:49], s[48:49], s[46:47]
	s_delay_alu instid0(SALU_CYCLE_1)
	s_mul_hi_u32 s51, s46, s49
	s_mul_i32 s50, s46, s49
	s_mul_hi_u32 s24, s46, s48
	s_mul_i32 s29, s47, s48
	s_add_nc_u64 s[50:51], s[24:25], s[50:51]
	s_mul_hi_u32 s1, s47, s48
	s_mul_hi_u32 s45, s47, s49
	s_add_co_u32 s24, s50, s29
	s_add_co_ci_u32 s24, s51, s1
	s_mul_i32 s48, s47, s49
	s_add_co_ci_u32 s49, s45, 0
	s_delay_alu instid0(SALU_CYCLE_1) | instskip(NEXT) | instid1(SALU_CYCLE_1)
	s_add_nc_u64 s[48:49], s[24:25], s[48:49]
	s_add_co_u32 s46, s46, s48
	s_cselect_b32 s1, -1, 0
	v_mul_hi_u32 v54, v46, s46
	s_cmp_lg_u32 s1, 0
	s_add_co_ci_u32 s24, s47, s49
	s_and_b64 s[48:49], s[46:47], s[20:21]
	v_mul_u64_e32 v[48:49], s[24:25], v[46:47]
	v_mul_u64_e32 v[44:45], s[48:49], v[50:51]
	;; [unrolled: 1-line block ×3, first 2 shown]
	s_delay_alu instid0(VALU_DEP_3) | instskip(NEXT) | instid1(VALU_DEP_1)
	v_add_nc_u64_e32 v[48:49], v[54:55], v[48:49]
	v_add_co_u32 v39, vcc_lo, v48, v44
	s_delay_alu instid0(VALU_DEP_2) | instskip(NEXT) | instid1(VALU_DEP_4)
	v_add_co_ci_u32_e32 v54, vcc_lo, v49, v45, vcc_lo
	v_add_co_ci_u32_e32 v53, vcc_lo, 0, v53, vcc_lo
	s_delay_alu instid0(VALU_DEP_1) | instskip(NEXT) | instid1(VALU_DEP_1)
	v_add_nc_u64_e32 v[44:45], v[54:55], v[52:53]
	v_mul_u64_e32 v[48:49], s[30:31], v[44:45]
	s_delay_alu instid0(VALU_DEP_1) | instskip(NEXT) | instid1(VALU_DEP_2)
	v_sub_nc_u32_e32 v39, v50, v49
	v_sub_co_u32 v43, vcc_lo, v46, v48
	s_delay_alu instid0(VALU_DEP_1) | instskip(NEXT) | instid1(VALU_DEP_3)
	v_sub_co_ci_u32_e64 v50, null, v50, v49, vcc_lo
	v_subrev_co_ci_u32_e64 v39, null, s31, v39, vcc_lo
	s_delay_alu instid0(VALU_DEP_3) | instskip(SKIP_1) | instid1(VALU_DEP_3)
	v_sub_co_u32 v46, s1, v43, s30
	v_add_nc_u64_e32 v[48:49], 1, v[44:45]
	v_subrev_co_ci_u32_e64 v39, null, 0, v39, s1
	s_delay_alu instid0(VALU_DEP_3) | instskip(SKIP_1) | instid1(VALU_DEP_3)
	v_cmp_le_u32_e32 vcc_lo, s30, v46
	v_cndmask_b32_e64 v46, 0, -1, vcc_lo
	v_cmp_le_u32_e32 vcc_lo, s31, v39
	v_cndmask_b32_e64 v47, 0, -1, vcc_lo
	;; [unrolled: 2-line block ×4, first 2 shown]
	v_cmp_eq_u32_e32 vcc_lo, s31, v39
	v_cndmask_b32_e32 v39, v47, v46, vcc_lo
	v_cmp_eq_u32_e32 vcc_lo, s31, v50
	v_add_nc_u64_e32 v[46:47], 2, v[44:45]
	v_cndmask_b32_e32 v43, v51, v43, vcc_lo
	s_delay_alu instid0(VALU_DEP_4) | instskip(NEXT) | instid1(VALU_DEP_2)
	v_cmp_ne_u32_e32 vcc_lo, 0, v39
	v_cmp_ne_u32_e64 s1, 0, v43
	s_delay_alu instid0(VALU_DEP_4) | instskip(NEXT) | instid1(VALU_DEP_1)
	v_dual_cndmask_b32 v39, v49, v47, vcc_lo :: v_dual_cndmask_b32 v43, v48, v46, vcc_lo
	v_dual_cndmask_b32 v39, v45, v39, s1 :: v_dual_bitop2_b32 v42, s28, v42 bitop3:0x14
	s_delay_alu instid0(VALU_DEP_1) | instskip(NEXT) | instid1(VALU_DEP_2)
	v_dual_cndmask_b32 v44, v44, v43, s1 :: v_dual_mov_b32 v43, v42
	v_xor_b32_e32 v45, v39, v42
	s_delay_alu instid0(VALU_DEP_2) | instskip(NEXT) | instid1(VALU_DEP_1)
	v_xor_b32_e32 v44, v44, v42
	v_sub_nc_u64_e32 v[42:43], v[44:45], v[42:43]
.LBB89_121:                             ;   in Loop: Header=BB89_119 Depth=1
	s_and_not1_saveexec_b32 s1, s43
	s_cbranch_execz .LBB89_118
; %bb.122:                              ;   in Loop: Header=BB89_119 Depth=1
	v_cvt_f32_u32_e32 v39, s26
	s_sub_co_i32 s24, 0, s26
	s_delay_alu instid0(VALU_DEP_1) | instskip(SKIP_1) | instid1(TRANS32_DEP_1)
	v_rcp_iflag_f32_e32 v39, v39
	v_nop
	v_mul_f32_e32 v39, 0x4f7ffffe, v39
	s_delay_alu instid0(VALU_DEP_1) | instskip(NEXT) | instid1(VALU_DEP_1)
	v_cvt_u32_f32_e32 v39, v39
	v_mul_lo_u32 v42, s24, v39
	s_delay_alu instid0(VALU_DEP_1) | instskip(NEXT) | instid1(VALU_DEP_1)
	v_mul_hi_u32 v42, v39, v42
	v_add_nc_u32_e32 v39, v39, v42
	s_delay_alu instid0(VALU_DEP_1) | instskip(NEXT) | instid1(VALU_DEP_1)
	v_mul_hi_u32 v39, v40, v39
	v_mul_lo_u32 v42, v39, s26
	s_delay_alu instid0(VALU_DEP_1) | instskip(NEXT) | instid1(VALU_DEP_1)
	v_dual_add_nc_u32 v43, 1, v39 :: v_dual_sub_nc_u32 v42, v40, v42
	v_subrev_nc_u32_e32 v44, s26, v42
	v_cmp_le_u32_e32 vcc_lo, s26, v42
	s_delay_alu instid0(VALU_DEP_2) | instskip(NEXT) | instid1(VALU_DEP_1)
	v_dual_cndmask_b32 v42, v42, v44 :: v_dual_cndmask_b32 v39, v39, v43
	v_cmp_le_u32_e32 vcc_lo, s26, v42
	s_delay_alu instid0(VALU_DEP_2) | instskip(NEXT) | instid1(VALU_DEP_1)
	v_add_nc_u32_e32 v43, 1, v39
	v_dual_cndmask_b32 v42, v39, v43 :: v_dual_mov_b32 v43, v38
	s_branch .LBB89_118
.LBB89_123:
	s_wait_loadcnt 0x1
	v_sub_nc_u64_e32 v[12:13], v[4:5], v[2:3]
	s_and_not1_b32 s9, s39, exec_lo
	s_mov_b32 s7, exec_lo
	s_delay_alu instid0(VALU_DEP_1) | instskip(SKIP_2) | instid1(SALU_CYCLE_1)
	v_cmp_le_i64_e32 vcc_lo, v[10:11], v[12:13]
	v_cmp_ge_i64_e64 s1, s[10:11], v[12:13]
	s_and_b32 s1, vcc_lo, s1
	s_and_b32 s1, s35, s1
	s_delay_alu instid0(SALU_CYCLE_1) | instskip(NEXT) | instid1(SALU_CYCLE_1)
	s_xor_b32 s1, s1, -1
	s_and_b32 s1, s1, exec_lo
	s_delay_alu instid0(SALU_CYCLE_1)
	s_or_b32 s39, s9, s1
	s_or_b32 exec_lo, exec_lo, s8
	s_and_saveexec_b32 s1, s39
	s_cbranch_execz .LBB89_92
.LBB89_124:
	s_or_b32 s17, s17, exec_lo
	s_and_not1_b32 s7, s7, exec_lo
	s_trap 2
	s_or_b32 exec_lo, exec_lo, s1
	s_and_saveexec_b32 s22, s7
	s_cbranch_execz .LBB89_93
.LBB89_125:
	s_wait_loadcnt 0x2
	v_cmp_lt_i64_e32 vcc_lo, 0, v[6:7]
	v_mov_b64_e32 v[10:11], 0
	s_and_b32 s1, vcc_lo, s34
	s_delay_alu instid0(SALU_CYCLE_1)
	s_and_saveexec_b32 s23, s1
	s_cbranch_execz .LBB89_140
; %bb.126:
	s_wait_loadcnt 0x0
	v_mul_u64_e32 v[8:9], v[8:9], v[6:7]
	s_ashr_i32 s7, s6, 31
	v_mov_b64_e32 v[10:11], 0
	s_lshl_b64 s[8:9], s[6:7], 3
	v_mov_b32_e32 v6, 0
	s_add_nc_u64 s[8:9], s[18:19], s[8:9]
	s_mov_b64 s[6:7], 0xffffffff
	s_add_nc_u64 s[8:9], s[8:9], 32
	s_mov_b32 s11, 0
	s_branch .LBB89_128
.LBB89_127:                             ;   in Loop: Header=BB89_128 Depth=1
	s_or_b32 exec_lo, exec_lo, s1
	s_delay_alu instid0(VALU_DEP_1)
	v_mul_u64_e32 v[14:15], s[12:13], v[12:13]
	s_load_b64 s[12:13], s[8:9], 0x40
	s_add_co_i32 s14, s14, -1
	s_wait_xcnt 0x0
	s_add_nc_u64 s[8:9], s[8:9], -8
	s_cmp_lg_u32 s14, 0
	s_delay_alu instid0(VALU_DEP_1) | instskip(SKIP_1) | instid1(VALU_DEP_1)
	v_sub_nc_u64_e32 v[8:9], v[8:9], v[14:15]
	s_wait_kmcnt 0x0
	v_mad_nc_u64_u32 v[10:11], v8, s12, v[10:11]
	s_delay_alu instid0(VALU_DEP_1) | instskip(NEXT) | instid1(VALU_DEP_1)
	v_mad_u32 v7, v9, s12, v11
	v_mad_u32 v11, v8, s13, v7
	v_mov_b64_e32 v[8:9], v[12:13]
	s_cbranch_scc0 .LBB89_140
.LBB89_128:                             ; =>This Inner Loop Header: Depth=1
	s_load_b64 s[12:13], s[8:9], 0x0
                                        ; implicit-def: $vgpr12_vgpr13
	s_mov_b32 s1, exec_lo
	s_wait_kmcnt 0x0
	s_delay_alu instid0(VALU_DEP_1) | instskip(NEXT) | instid1(VALU_DEP_1)
	v_or_b32_e32 v7, s13, v9
	v_cmpx_ne_u64_e32 0, v[6:7]
	s_xor_b32 s24, exec_lo, s1
	s_cbranch_execz .LBB89_130
; %bb.129:                              ;   in Loop: Header=BB89_128 Depth=1
	s_ashr_i32 s18, s13, 31
	v_dual_mov_b32 v17, v6 :: v_dual_ashrrev_i32 v12, 31, v9
	s_mov_b32 s19, s18
	s_delay_alu instid0(SALU_CYCLE_1) | instskip(NEXT) | instid1(VALU_DEP_1)
	s_add_nc_u64 s[20:21], s[12:13], s[18:19]
	v_mov_b32_e32 v13, v12
	s_xor_b64 s[20:21], s[20:21], s[18:19]
	s_delay_alu instid0(SALU_CYCLE_1)
	s_cvt_f32_u32 s1, s20
	s_cvt_f32_u32 s10, s21
	s_sub_nc_u64 s[28:29], 0, s[20:21]
	v_add_nc_u64_e32 v[14:15], v[8:9], v[12:13]
	v_mov_b32_e32 v21, v6
	s_fmamk_f32 s1, s10, 0x4f800000, s1
	s_delay_alu instid0(SALU_CYCLE_3) | instskip(NEXT) | instid1(VALU_DEP_2)
	v_s_rcp_f32 s1, s1
	v_xor_b32_e32 v16, v14, v12
	s_delay_alu instid0(VALU_DEP_3) | instskip(SKIP_1) | instid1(TRANS32_DEP_1)
	v_dual_mov_b32 v25, v6 :: v_dual_bitop2_b32 v20, v15, v12 bitop3:0x14
	v_xor_b32_e32 v12, s18, v12
	s_mul_f32 s1, s1, 0x5f7ffffc
	s_delay_alu instid0(SALU_CYCLE_3) | instskip(NEXT) | instid1(SALU_CYCLE_3)
	s_mul_f32 s10, s1, 0x2f800000
	s_trunc_f32 s10, s10
	s_delay_alu instid0(SALU_CYCLE_3) | instskip(SKIP_1) | instid1(SALU_CYCLE_2)
	s_fmamk_f32 s1, s10, 0xcf800000, s1
	s_cvt_u32_f32 s27, s10
	s_cvt_u32_f32 s26, s1
	s_delay_alu instid0(SALU_CYCLE_3) | instskip(NEXT) | instid1(SALU_CYCLE_1)
	s_mul_u64 s[30:31], s[28:29], s[26:27]
	s_mul_hi_u32 s35, s26, s31
	s_mul_i32 s34, s26, s31
	s_mul_hi_u32 s10, s26, s30
	s_mul_i32 s19, s27, s30
	s_add_nc_u64 s[34:35], s[10:11], s[34:35]
	s_mul_hi_u32 s1, s27, s30
	s_mul_hi_u32 s25, s27, s31
	s_add_co_u32 s10, s34, s19
	s_add_co_ci_u32 s10, s35, s1
	s_mul_i32 s30, s27, s31
	s_add_co_ci_u32 s31, s25, 0
	s_delay_alu instid0(SALU_CYCLE_1) | instskip(NEXT) | instid1(SALU_CYCLE_1)
	s_add_nc_u64 s[30:31], s[10:11], s[30:31]
	s_add_co_u32 s26, s26, s30
	s_cselect_b32 s1, -1, 0
	s_delay_alu instid0(SALU_CYCLE_1) | instskip(SKIP_1) | instid1(SALU_CYCLE_1)
	s_cmp_lg_u32 s1, 0
	s_add_co_ci_u32 s27, s27, s31
	s_mul_u64 s[28:29], s[28:29], s[26:27]
	s_delay_alu instid0(SALU_CYCLE_1)
	s_mul_hi_u32 s31, s26, s29
	s_mul_i32 s30, s26, s29
	s_mul_hi_u32 s10, s26, s28
	s_mul_i32 s19, s27, s28
	s_add_nc_u64 s[30:31], s[10:11], s[30:31]
	s_mul_hi_u32 s1, s27, s28
	s_mul_hi_u32 s25, s27, s29
	s_add_co_u32 s10, s30, s19
	s_add_co_ci_u32 s10, s31, s1
	s_mul_i32 s28, s27, s29
	s_add_co_ci_u32 s29, s25, 0
	s_delay_alu instid0(SALU_CYCLE_1) | instskip(NEXT) | instid1(SALU_CYCLE_1)
	s_add_nc_u64 s[28:29], s[10:11], s[28:29]
	s_add_co_u32 s26, s26, s28
	s_cselect_b32 s1, -1, 0
	v_mul_hi_u32 v24, v16, s26
	s_cmp_lg_u32 s1, 0
	s_add_co_ci_u32 s10, s27, s29
	s_and_b64 s[28:29], s[26:27], s[6:7]
	v_mul_u64_e32 v[18:19], s[10:11], v[16:17]
	v_mul_u64_e32 v[14:15], s[28:29], v[20:21]
	;; [unrolled: 1-line block ×3, first 2 shown]
	s_delay_alu instid0(VALU_DEP_3) | instskip(NEXT) | instid1(VALU_DEP_1)
	v_add_nc_u64_e32 v[18:19], v[24:25], v[18:19]
	v_add_co_u32 v7, vcc_lo, v18, v14
	s_delay_alu instid0(VALU_DEP_2) | instskip(NEXT) | instid1(VALU_DEP_4)
	v_add_co_ci_u32_e32 v24, vcc_lo, v19, v15, vcc_lo
	v_add_co_ci_u32_e32 v23, vcc_lo, 0, v23, vcc_lo
	s_delay_alu instid0(VALU_DEP_1) | instskip(NEXT) | instid1(VALU_DEP_1)
	v_add_nc_u64_e32 v[14:15], v[24:25], v[22:23]
	v_mul_u64_e32 v[18:19], s[20:21], v[14:15]
	s_delay_alu instid0(VALU_DEP_1) | instskip(NEXT) | instid1(VALU_DEP_2)
	v_sub_nc_u32_e32 v7, v20, v19
	v_sub_co_u32 v13, vcc_lo, v16, v18
	s_delay_alu instid0(VALU_DEP_1) | instskip(NEXT) | instid1(VALU_DEP_3)
	v_sub_co_ci_u32_e64 v20, null, v20, v19, vcc_lo
	v_subrev_co_ci_u32_e64 v7, null, s21, v7, vcc_lo
	s_delay_alu instid0(VALU_DEP_3) | instskip(SKIP_1) | instid1(VALU_DEP_3)
	v_sub_co_u32 v16, s1, v13, s20
	v_add_nc_u64_e32 v[18:19], 1, v[14:15]
	v_subrev_co_ci_u32_e64 v7, null, 0, v7, s1
	s_delay_alu instid0(VALU_DEP_3) | instskip(SKIP_1) | instid1(VALU_DEP_3)
	v_cmp_le_u32_e32 vcc_lo, s20, v16
	v_cndmask_b32_e64 v16, 0, -1, vcc_lo
	v_cmp_le_u32_e32 vcc_lo, s21, v7
	v_cndmask_b32_e64 v17, 0, -1, vcc_lo
	;; [unrolled: 2-line block ×4, first 2 shown]
	v_cmp_eq_u32_e32 vcc_lo, s21, v7
	v_cndmask_b32_e32 v7, v17, v16, vcc_lo
	v_cmp_eq_u32_e32 vcc_lo, s21, v20
	v_add_nc_u64_e32 v[16:17], 2, v[14:15]
	v_cndmask_b32_e32 v13, v21, v13, vcc_lo
	s_delay_alu instid0(VALU_DEP_4) | instskip(NEXT) | instid1(VALU_DEP_2)
	v_cmp_ne_u32_e32 vcc_lo, 0, v7
	v_cmp_ne_u32_e64 s1, 0, v13
	s_delay_alu instid0(VALU_DEP_4) | instskip(NEXT) | instid1(VALU_DEP_1)
	v_dual_cndmask_b32 v7, v19, v17, vcc_lo :: v_dual_cndmask_b32 v13, v18, v16, vcc_lo
	v_dual_cndmask_b32 v14, v14, v13, s1 :: v_dual_mov_b32 v13, v12
	s_delay_alu instid0(VALU_DEP_1) | instskip(NEXT) | instid1(VALU_DEP_1)
	v_dual_cndmask_b32 v7, v15, v7, s1 :: v_dual_bitop2_b32 v14, v14, v12 bitop3:0x14
	v_xor_b32_e32 v15, v7, v12
	s_delay_alu instid0(VALU_DEP_1)
	v_sub_nc_u64_e32 v[12:13], v[14:15], v[12:13]
.LBB89_130:                             ;   in Loop: Header=BB89_128 Depth=1
	s_and_not1_saveexec_b32 s1, s24
	s_cbranch_execz .LBB89_127
; %bb.131:                              ;   in Loop: Header=BB89_128 Depth=1
	v_cvt_f32_u32_e32 v7, s12
	s_sub_co_i32 s10, 0, s12
	s_delay_alu instid0(VALU_DEP_1) | instskip(SKIP_1) | instid1(TRANS32_DEP_1)
	v_rcp_iflag_f32_e32 v7, v7
	v_nop
	v_mul_f32_e32 v7, 0x4f7ffffe, v7
	s_delay_alu instid0(VALU_DEP_1) | instskip(NEXT) | instid1(VALU_DEP_1)
	v_cvt_u32_f32_e32 v7, v7
	v_mul_lo_u32 v12, s10, v7
	s_delay_alu instid0(VALU_DEP_1) | instskip(NEXT) | instid1(VALU_DEP_1)
	v_mul_hi_u32 v12, v7, v12
	v_add_nc_u32_e32 v7, v7, v12
	s_delay_alu instid0(VALU_DEP_1) | instskip(NEXT) | instid1(VALU_DEP_1)
	v_mul_hi_u32 v7, v8, v7
	v_mul_lo_u32 v12, v7, s12
	s_delay_alu instid0(VALU_DEP_1) | instskip(NEXT) | instid1(VALU_DEP_1)
	v_dual_add_nc_u32 v13, 1, v7 :: v_dual_sub_nc_u32 v12, v8, v12
	v_subrev_nc_u32_e32 v14, s12, v12
	v_cmp_le_u32_e32 vcc_lo, s12, v12
	s_delay_alu instid0(VALU_DEP_2) | instskip(NEXT) | instid1(VALU_DEP_1)
	v_dual_cndmask_b32 v12, v12, v14 :: v_dual_cndmask_b32 v7, v7, v13
	v_cmp_le_u32_e32 vcc_lo, s12, v12
	s_delay_alu instid0(VALU_DEP_2) | instskip(NEXT) | instid1(VALU_DEP_1)
	v_add_nc_u32_e32 v13, 1, v7
	v_dual_cndmask_b32 v12, v7, v13 :: v_dual_mov_b32 v13, v6
	s_branch .LBB89_127
.LBB89_132:
	s_wait_loadcnt 0x4
	v_mov_b64_e32 v[2:3], 0
	s_wait_loadcnt 0x1
	v_dual_mov_b32 v0, v1 :: v_dual_bitop2_b32 v4, s16, v0 bitop3:0x54
	global_store_b64 v4, v[2:3], s[4:5] scale_offset
	s_wait_xcnt 0x0
	s_or_b32 exec_lo, exec_lo, s0
	s_delay_alu instid0(SALU_CYCLE_1)
	s_mov_b32 s0, exec_lo
	v_cmpx_gt_i32_e64 s33, v0
	s_cbranch_execz .LBB89_100
.LBB89_133:
	s_wait_loadcnt 0x4
	v_mov_b64_e32 v[2:3], 0
	v_add_nc_u32_e32 v1, s16, v0
	v_add_nc_u32_e32 v0, 0x100, v0
	global_store_b64 v1, v[2:3], s[4:5] scale_offset
	s_wait_xcnt 0x0
	s_or_b32 exec_lo, exec_lo, s0
	s_delay_alu instid0(SALU_CYCLE_1)
	s_mov_b32 s0, exec_lo
	v_cmpx_gt_i32_e64 s33, v0
	s_cbranch_execz .LBB89_101
.LBB89_134:
	s_wait_loadcnt 0x4
	v_mov_b64_e32 v[2:3], 0
	v_add_nc_u32_e32 v1, s16, v0
	v_add_nc_u32_e32 v0, 0x100, v0
	global_store_b64 v1, v[2:3], s[4:5] scale_offset
	s_wait_xcnt 0x0
	s_or_b32 exec_lo, exec_lo, s0
	s_delay_alu instid0(SALU_CYCLE_1)
	s_mov_b32 s0, exec_lo
	v_cmpx_gt_i32_e64 s33, v0
	s_cbranch_execnz .LBB89_102
	s_branch .LBB89_103
.LBB89_135:
	s_or_b32 exec_lo, exec_lo, s38
	s_mov_b32 s1, s36
	s_mov_b32 s0, exec_lo
	s_wait_loadcnt 0x0
	v_cmpx_gt_i64_e64 v[8:9], v[16:17]
	s_cbranch_execz .LBB89_151
; %bb.136:
	s_delay_alu instid0(VALU_DEP_2) | instskip(SKIP_2) | instid1(VALU_DEP_1)
	v_lshlrev_b64_e32 v[2:3], 3, v[2:3]
	s_mov_b32 s1, 0
	s_xor_b32 s3, s42, -1
                                        ; implicit-def: $sgpr2
	v_lshl_add_u64 v[4:5], v[16:17], 3, v[2:3]
	v_add_nc_u64_e32 v[6:7], s[24:25], v[2:3]
	s_delay_alu instid0(VALU_DEP_2) | instskip(NEXT) | instid1(VALU_DEP_1)
	v_add_nc_u64_e32 v[4:5], s[24:25], v[4:5]
                                        ; implicit-def: $sgpr25
                                        ; implicit-def: $sgpr24
	v_add_nc_u64_e32 v[2:3], 8, v[4:5]
	s_delay_alu instid0(VALU_DEP_3)
	v_lshl_add_u64 v[4:5], v[8:9], 3, v[6:7]
	s_branch .LBB89_138
.LBB89_137:                             ;   in Loop: Header=BB89_138 Depth=1
	s_or_b32 exec_lo, exec_lo, s26
	s_xor_b32 s26, s24, -1
	s_and_b32 s27, exec_lo, s25
	s_delay_alu instid0(SALU_CYCLE_1) | instskip(SKIP_2) | instid1(SALU_CYCLE_1)
	s_or_b32 s1, s27, s1
	s_and_not1_b32 s2, s2, exec_lo
	s_and_b32 s26, s26, exec_lo
	s_or_b32 s2, s2, s26
	s_and_not1_b32 exec_lo, exec_lo, s1
	s_cbranch_execz .LBB89_150
.LBB89_138:                             ; =>This Inner Loop Header: Depth=1
	s_or_b32 s24, s24, exec_lo
	s_or_b32 s25, s25, exec_lo
	s_mov_b32 s26, exec_lo
	s_delay_alu instid0(VALU_DEP_2)
	v_cmpx_lt_u64_e64 v[2:3], v[4:5]
	s_cbranch_execz .LBB89_137
; %bb.139:                              ;   in Loop: Header=BB89_138 Depth=1
	global_load_b128 v[6:9], v[2:3], off offset:-8
	s_wait_xcnt 0x0
	v_add_nc_u64_e32 v[2:3], 8, v[2:3]
	s_and_not1_b32 s25, s25, exec_lo
	s_and_not1_b32 s24, s24, exec_lo
	s_wait_loadcnt 0x0
	v_cmp_ge_i64_e32 vcc_lo, v[6:7], v[8:9]
	s_or_b32 s27, s3, vcc_lo
	s_delay_alu instid0(SALU_CYCLE_1) | instskip(NEXT) | instid1(SALU_CYCLE_1)
	s_and_b32 s27, s27, exec_lo
	s_or_b32 s25, s25, s27
	s_branch .LBB89_137
.LBB89_140:
	s_or_b32 exec_lo, exec_lo, s23
	s_mov_b32 s6, s37
	s_mov_b32 s1, exec_lo
	s_wait_loadcnt 0x1
	v_cmpx_gt_i64_e64 v[4:5], v[2:3]
	s_cbranch_execz .LBB89_154
; %bb.141:
	s_delay_alu instid0(VALU_DEP_2) | instskip(SKIP_1) | instid1(VALU_DEP_1)
	v_lshlrev_b64_e32 v[6:7], 3, v[10:11]
	s_xor_b32 s6, s15, -1
                                        ; implicit-def: $sgpr8
                                        ; implicit-def: $sgpr7
	v_lshl_add_u64 v[2:3], v[2:3], 3, v[6:7]
	v_add_nc_u64_e32 v[6:7], s[2:3], v[6:7]
	s_delay_alu instid0(VALU_DEP_2) | instskip(SKIP_1) | instid1(VALU_DEP_2)
	v_add_nc_u64_e32 v[2:3], s[2:3], v[2:3]
	s_mov_b32 s2, 0
                                        ; implicit-def: $sgpr3
	v_lshl_add_u64 v[4:5], v[4:5], 3, v[6:7]
	s_delay_alu instid0(VALU_DEP_2)
	v_add_nc_u64_e32 v[2:3], 8, v[2:3]
	s_branch .LBB89_143
.LBB89_142:                             ;   in Loop: Header=BB89_143 Depth=1
	s_or_b32 exec_lo, exec_lo, s9
	s_xor_b32 s9, s7, -1
	s_and_b32 s10, exec_lo, s8
	s_delay_alu instid0(SALU_CYCLE_1) | instskip(SKIP_2) | instid1(SALU_CYCLE_1)
	s_or_b32 s2, s10, s2
	s_and_not1_b32 s3, s3, exec_lo
	s_and_b32 s9, s9, exec_lo
	s_or_b32 s3, s3, s9
	s_and_not1_b32 exec_lo, exec_lo, s2
	s_cbranch_execz .LBB89_153
.LBB89_143:                             ; =>This Inner Loop Header: Depth=1
	s_or_b32 s7, s7, exec_lo
	s_or_b32 s8, s8, exec_lo
	s_mov_b32 s9, exec_lo
	s_delay_alu instid0(VALU_DEP_1)
	v_cmpx_lt_u64_e64 v[2:3], v[4:5]
	s_cbranch_execz .LBB89_142
; %bb.144:                              ;   in Loop: Header=BB89_143 Depth=1
	s_wait_loadcnt 0x0
	global_load_b128 v[6:9], v[2:3], off offset:-8
	s_wait_xcnt 0x0
	v_add_nc_u64_e32 v[2:3], 8, v[2:3]
	s_and_not1_b32 s8, s8, exec_lo
	s_and_not1_b32 s7, s7, exec_lo
	s_wait_loadcnt 0x0
	v_cmp_ge_i64_e32 vcc_lo, v[6:7], v[8:9]
	s_or_b32 s10, s6, vcc_lo
	s_delay_alu instid0(SALU_CYCLE_1) | instskip(NEXT) | instid1(SALU_CYCLE_1)
	s_and_b32 s10, s10, exec_lo
	s_or_b32 s8, s8, s10
	s_branch .LBB89_142
.LBB89_145:
	s_or_b32 exec_lo, exec_lo, s42
	s_mov_b32 s21, -1
	s_mov_b32 s7, 0
	s_mov_b32 s1, exec_lo
	v_cmpx_gt_i64_e64 v[34:35], v[32:33]
	s_cbranch_execz .LBB89_157
; %bb.146:
	s_delay_alu instid0(VALU_DEP_2) | instskip(SKIP_1) | instid1(VALU_DEP_1)
	v_lshlrev_b64_e32 v[36:37], 3, v[36:37]
	s_xor_b32 s21, s15, -1
                                        ; implicit-def: $sgpr20
                                        ; implicit-def: $sgpr23
                                        ; implicit-def: $sgpr22
	v_lshl_add_u64 v[32:33], v[32:33], 3, v[36:37]
	v_add_nc_u64_e32 v[36:37], s[2:3], v[36:37]
	s_delay_alu instid0(VALU_DEP_2) | instskip(NEXT) | instid1(VALU_DEP_2)
	v_add_nc_u64_e32 v[32:33], s[2:3], v[32:33]
	v_lshl_add_u64 v[34:35], v[34:35], 3, v[36:37]
	s_delay_alu instid0(VALU_DEP_2)
	v_add_nc_u64_e32 v[32:33], 8, v[32:33]
	s_branch .LBB89_148
.LBB89_147:                             ;   in Loop: Header=BB89_148 Depth=1
	s_or_b32 exec_lo, exec_lo, s24
	s_delay_alu instid0(SALU_CYCLE_1) | instskip(NEXT) | instid1(SALU_CYCLE_1)
	s_and_b32 s24, exec_lo, s23
	s_or_b32 s7, s24, s7
	s_and_not1_b32 s20, s20, exec_lo
	s_and_b32 s24, s22, exec_lo
	s_delay_alu instid0(SALU_CYCLE_1)
	s_or_b32 s20, s20, s24
	s_and_not1_b32 exec_lo, exec_lo, s7
	s_cbranch_execz .LBB89_156
.LBB89_148:                             ; =>This Inner Loop Header: Depth=1
	s_or_b32 s22, s22, exec_lo
	s_or_b32 s23, s23, exec_lo
	s_mov_b32 s24, exec_lo
	s_delay_alu instid0(VALU_DEP_1)
	v_cmpx_lt_u64_e64 v[32:33], v[34:35]
	s_cbranch_execz .LBB89_147
; %bb.149:                              ;   in Loop: Header=BB89_148 Depth=1
	global_load_b128 v[36:39], v[32:33], off offset:-8
	s_wait_xcnt 0x0
	v_add_nc_u64_e32 v[32:33], 8, v[32:33]
	s_and_not1_b32 s23, s23, exec_lo
	s_and_not1_b32 s22, s22, exec_lo
	s_wait_loadcnt 0x0
	v_cmp_ge_i64_e32 vcc_lo, v[36:37], v[38:39]
	s_or_b32 s25, s21, vcc_lo
	s_delay_alu instid0(SALU_CYCLE_1) | instskip(NEXT) | instid1(SALU_CYCLE_1)
	s_and_b32 s25, s25, exec_lo
	s_or_b32 s23, s23, s25
	s_branch .LBB89_147
.LBB89_150:
	s_or_b32 exec_lo, exec_lo, s1
	s_delay_alu instid0(SALU_CYCLE_1) | instskip(SKIP_1) | instid1(SALU_CYCLE_1)
	s_and_not1_b32 s1, s36, exec_lo
	s_and_b32 s2, s2, exec_lo
	s_or_b32 s1, s1, s2
.LBB89_151:
	s_or_b32 exec_lo, exec_lo, s0
	s_delay_alu instid0(SALU_CYCLE_1)
	s_and_not1_b32 s2, s36, exec_lo
	s_and_b32 s1, s1, exec_lo
	s_mov_b32 s0, exec_lo
	s_or_b32 s36, s2, s1
	s_or_b32 exec_lo, exec_lo, s37
	s_and_saveexec_b32 s1, s36
	s_cbranch_execz .LBB89_72
.LBB89_152:
	s_or_b32 s17, s17, exec_lo
	s_and_not1_b32 s0, s0, exec_lo
	s_trap 2
	s_or_b32 exec_lo, exec_lo, s1
	s_and_saveexec_b32 s1, s0
	s_delay_alu instid0(SALU_CYCLE_1)
	s_xor_b32 s0, exec_lo, s1
	s_cbranch_execnz .LBB89_73
	s_branch .LBB89_74
.LBB89_153:
	s_or_b32 exec_lo, exec_lo, s2
	s_delay_alu instid0(SALU_CYCLE_1) | instskip(SKIP_1) | instid1(SALU_CYCLE_1)
	s_and_not1_b32 s2, s37, exec_lo
	s_and_b32 s3, s3, exec_lo
	s_or_b32 s6, s2, s3
.LBB89_154:
	s_or_b32 exec_lo, exec_lo, s1
	s_delay_alu instid0(SALU_CYCLE_1)
	s_and_not1_b32 s1, s37, exec_lo
	s_and_b32 s2, s6, exec_lo
	s_or_b32 s40, s40, exec_lo
	s_or_b32 s37, s1, s2
	s_or_b32 exec_lo, exec_lo, s22
	s_and_saveexec_b32 s1, s37
	s_cbranch_execz .LBB89_94
.LBB89_155:
	s_and_not1_b32 s40, s40, exec_lo
	s_or_b32 s17, s17, exec_lo
	s_trap 2
	s_or_b32 exec_lo, exec_lo, s1
	s_and_saveexec_b32 s1, s17
	s_cbranch_execnz .LBB89_96
	s_branch .LBB89_97
.LBB89_156:
	s_or_b32 exec_lo, exec_lo, s7
	s_delay_alu instid0(SALU_CYCLE_1)
	s_mov_b32 s7, exec_lo
	s_or_not1_b32 s21, s20, exec_lo
.LBB89_157:
	s_or_b32 exec_lo, exec_lo, s1
	s_delay_alu instid0(SALU_CYCLE_1)
	s_and_b32 s20, s7, exec_lo
	s_xor_b32 s7, exec_lo, -1
	s_and_b32 s1, s21, exec_lo
.LBB89_158:
	s_or_b32 exec_lo, exec_lo, s41
	s_delay_alu instid0(SALU_CYCLE_1)
	s_and_b32 s21, s20, exec_lo
	s_and_b32 s20, s7, exec_lo
	s_xor_b32 s7, exec_lo, -1
	s_and_b32 s1, s1, exec_lo
.LBB89_159:
	s_or_b32 exec_lo, exec_lo, s39
	s_delay_alu instid0(SALU_CYCLE_1)
	s_and_b32 s22, s21, exec_lo
	s_and_b32 s21, s20, exec_lo
	;; [unrolled: 1-line block ×3, first 2 shown]
	s_xor_b32 s7, exec_lo, -1
	s_and_b32 s1, s1, exec_lo
.LBB89_160:
	s_or_b32 exec_lo, exec_lo, s37
	s_delay_alu instid0(SALU_CYCLE_1)
	s_and_b32 s37, s22, exec_lo
	s_and_b32 s39, s21, exec_lo
	s_and_b32 s41, s20, exec_lo
	s_and_b32 s42, s7, exec_lo
	s_or_not1_b32 s1, s1, exec_lo
	s_or_b32 exec_lo, exec_lo, s40
	s_mov_b32 s40, 0
	s_and_saveexec_b32 s43, s1
	s_cbranch_execz .LBB89_86
.LBB89_161:
	s_mov_b32 s1, -1
	s_mov_b32 s48, 0
	s_mov_b32 s44, s42
	s_mov_b32 s46, s41
	s_mov_b32 s45, s39
	s_mov_b32 s47, exec_lo
	v_cmpx_gt_i32_e64 s33, v1
	s_cbranch_execz .LBB89_182
; %bb.162:
	s_wait_loadcnt 0x3
	v_cmp_eq_u64_e32 vcc_lo, s[8:9], v[26:27]
	s_mov_b32 s7, -1
	s_mov_b32 s1, 0
	s_mov_b32 s21, s41
	;; [unrolled: 1-line block ×4, first 2 shown]
	s_and_b32 s23, s38, vcc_lo
	s_delay_alu instid0(SALU_CYCLE_1)
	s_and_saveexec_b32 s40, s23
	s_cbranch_execz .LBB89_181
; %bb.163:
	s_wait_loadcnt 0x2
	v_cmp_eq_u64_e32 vcc_lo, s[12:13], v[28:29]
	s_mov_b32 s21, s39
	s_and_b32 s22, s36, vcc_lo
	s_delay_alu instid0(SALU_CYCLE_1)
	s_and_saveexec_b32 s44, s22
	s_cbranch_execz .LBB89_180
; %bb.164:
	s_wait_loadcnt 0x1
	v_sub_nc_u64_e32 v[32:33], v[24:25], v[22:23]
	s_delay_alu instid0(VALU_DEP_1)
	v_cmp_le_i64_e32 vcc_lo, v[26:27], v[32:33]
	v_cmp_ge_i64_e64 s1, s[10:11], v[32:33]
	s_and_b32 s20, vcc_lo, s1
	s_mov_b32 s1, 0
	s_and_b32 s21, s35, s20
	s_mov_b32 s20, 0
	s_and_saveexec_b32 s45, s21
	s_cbranch_execz .LBB89_179
; %bb.165:
	v_cmp_lt_i64_e32 vcc_lo, 0, v[28:29]
	v_mov_b64_e32 v[26:27], 0
	s_and_b32 s1, vcc_lo, s34
	s_delay_alu instid0(SALU_CYCLE_1)
	s_and_saveexec_b32 s46, s1
	s_cbranch_execz .LBB89_172
; %bb.166:
	s_wait_loadcnt 0x0
	v_mul_u64_e32 v[30:31], v[30:31], v[28:29]
	s_ashr_i32 s7, s6, 31
	v_mov_b64_e32 v[26:27], 0
	s_lshl_b64 s[22:23], s[6:7], 3
	v_mov_b32_e32 v28, 0
	s_add_nc_u64 s[22:23], s[18:19], s[22:23]
	s_mov_b64 s[20:21], 0xffffffff
	s_add_nc_u64 s[22:23], s[22:23], 32
	s_mov_b32 s25, 0
	s_mov_b32 s7, s14
	s_branch .LBB89_168
.LBB89_167:                             ;   in Loop: Header=BB89_168 Depth=1
	s_or_b32 exec_lo, exec_lo, s1
	s_delay_alu instid0(VALU_DEP_1)
	v_mul_u64_e32 v[34:35], s[26:27], v[32:33]
	s_load_b64 s[26:27], s[22:23], 0x40
	s_add_co_i32 s7, s7, -1
	s_wait_xcnt 0x0
	s_add_nc_u64 s[22:23], s[22:23], -8
	s_cmp_lg_u32 s7, 0
	s_delay_alu instid0(VALU_DEP_1) | instskip(SKIP_1) | instid1(VALU_DEP_1)
	v_sub_nc_u64_e32 v[30:31], v[30:31], v[34:35]
	s_wait_kmcnt 0x0
	v_mad_nc_u64_u32 v[26:27], v30, s26, v[26:27]
	s_delay_alu instid0(VALU_DEP_1) | instskip(NEXT) | instid1(VALU_DEP_1)
	v_mad_u32 v27, v31, s26, v27
	v_mad_u32 v27, v30, s27, v27
	v_mov_b64_e32 v[30:31], v[32:33]
	s_cbranch_scc0 .LBB89_172
.LBB89_168:                             ; =>This Inner Loop Header: Depth=1
	s_load_b64 s[26:27], s[22:23], 0x0
                                        ; implicit-def: $vgpr32_vgpr33
	s_mov_b32 s1, exec_lo
	s_wait_kmcnt 0x0
	s_delay_alu instid0(VALU_DEP_1) | instskip(NEXT) | instid1(VALU_DEP_1)
	v_or_b32_e32 v29, s27, v31
	v_cmpx_ne_u64_e32 0, v[28:29]
	s_xor_b32 s49, exec_lo, s1
	s_cbranch_execz .LBB89_170
; %bb.169:                              ;   in Loop: Header=BB89_168 Depth=1
	s_ashr_i32 s28, s27, 31
	v_dual_mov_b32 v37, v28 :: v_dual_ashrrev_i32 v32, 31, v31
	s_mov_b32 s29, s28
	v_mov_b32_e32 v45, v28
	s_add_nc_u64 s[30:31], s[26:27], s[28:29]
	s_delay_alu instid0(VALU_DEP_2) | instskip(SKIP_1) | instid1(SALU_CYCLE_1)
	v_mov_b32_e32 v33, v32
	s_xor_b64 s[30:31], s[30:31], s[28:29]
	s_cvt_f32_u32 s1, s30
	s_cvt_f32_u32 s24, s31
	s_sub_nc_u64 s[52:53], 0, s[30:31]
	v_add_nc_u64_e32 v[34:35], v[30:31], v[32:33]
	v_mov_b32_e32 v41, v28
	s_fmamk_f32 s1, s24, 0x4f800000, s1
	s_delay_alu instid0(SALU_CYCLE_3) | instskip(NEXT) | instid1(VALU_DEP_2)
	v_s_rcp_f32 s1, s1
	v_xor_b32_e32 v36, v34, v32
	s_delay_alu instid0(VALU_DEP_3) | instskip(NEXT) | instid1(TRANS32_DEP_1)
	v_xor_b32_e32 v40, v35, v32
	s_mul_f32 s1, s1, 0x5f7ffffc
	s_delay_alu instid0(SALU_CYCLE_3) | instskip(NEXT) | instid1(SALU_CYCLE_3)
	s_mul_f32 s24, s1, 0x2f800000
	s_trunc_f32 s24, s24
	s_delay_alu instid0(SALU_CYCLE_3) | instskip(SKIP_1) | instid1(SALU_CYCLE_2)
	s_fmamk_f32 s1, s24, 0xcf800000, s1
	s_cvt_u32_f32 s51, s24
	s_cvt_u32_f32 s50, s1
	s_delay_alu instid0(SALU_CYCLE_3) | instskip(NEXT) | instid1(SALU_CYCLE_1)
	s_mul_u64 s[54:55], s[52:53], s[50:51]
	s_mul_hi_u32 s57, s50, s55
	s_mul_i32 s56, s50, s55
	s_mul_hi_u32 s24, s50, s54
	s_mul_i32 s29, s51, s54
	s_add_nc_u64 s[56:57], s[24:25], s[56:57]
	s_mul_hi_u32 s1, s51, s54
	s_mul_hi_u32 s58, s51, s55
	s_add_co_u32 s24, s56, s29
	s_add_co_ci_u32 s24, s57, s1
	s_mul_i32 s54, s51, s55
	s_add_co_ci_u32 s55, s58, 0
	s_delay_alu instid0(SALU_CYCLE_1) | instskip(NEXT) | instid1(SALU_CYCLE_1)
	s_add_nc_u64 s[54:55], s[24:25], s[54:55]
	s_add_co_u32 s50, s50, s54
	s_cselect_b32 s1, -1, 0
	s_delay_alu instid0(SALU_CYCLE_1) | instskip(SKIP_1) | instid1(SALU_CYCLE_1)
	s_cmp_lg_u32 s1, 0
	s_add_co_ci_u32 s51, s51, s55
	s_mul_u64 s[52:53], s[52:53], s[50:51]
	s_delay_alu instid0(SALU_CYCLE_1)
	s_mul_hi_u32 s55, s50, s53
	s_mul_i32 s54, s50, s53
	s_mul_hi_u32 s24, s50, s52
	s_mul_i32 s29, s51, s52
	s_add_nc_u64 s[54:55], s[24:25], s[54:55]
	s_mul_hi_u32 s1, s51, s52
	s_mul_hi_u32 s56, s51, s53
	s_add_co_u32 s24, s54, s29
	s_add_co_ci_u32 s24, s55, s1
	s_mul_i32 s52, s51, s53
	s_add_co_ci_u32 s53, s56, 0
	s_delay_alu instid0(SALU_CYCLE_1) | instskip(NEXT) | instid1(SALU_CYCLE_1)
	s_add_nc_u64 s[52:53], s[24:25], s[52:53]
	s_add_co_u32 s50, s50, s52
	s_cselect_b32 s1, -1, 0
	v_mul_hi_u32 v44, v36, s50
	s_cmp_lg_u32 s1, 0
	s_add_co_ci_u32 s24, s51, s53
	s_and_b64 s[52:53], s[50:51], s[20:21]
	v_mul_u64_e32 v[38:39], s[24:25], v[36:37]
	v_mul_u64_e32 v[34:35], s[52:53], v[40:41]
	;; [unrolled: 1-line block ×3, first 2 shown]
	s_delay_alu instid0(VALU_DEP_3) | instskip(NEXT) | instid1(VALU_DEP_1)
	v_add_nc_u64_e32 v[38:39], v[44:45], v[38:39]
	v_add_co_u32 v29, vcc_lo, v38, v34
	s_delay_alu instid0(VALU_DEP_2) | instskip(NEXT) | instid1(VALU_DEP_4)
	v_add_co_ci_u32_e32 v44, vcc_lo, v39, v35, vcc_lo
	v_add_co_ci_u32_e32 v43, vcc_lo, 0, v43, vcc_lo
	s_delay_alu instid0(VALU_DEP_1) | instskip(NEXT) | instid1(VALU_DEP_1)
	v_add_nc_u64_e32 v[34:35], v[44:45], v[42:43]
	v_mul_u64_e32 v[38:39], s[30:31], v[34:35]
	s_delay_alu instid0(VALU_DEP_1) | instskip(NEXT) | instid1(VALU_DEP_2)
	v_sub_nc_u32_e32 v29, v40, v39
	v_sub_co_u32 v33, vcc_lo, v36, v38
	s_delay_alu instid0(VALU_DEP_1) | instskip(NEXT) | instid1(VALU_DEP_3)
	v_sub_co_ci_u32_e64 v40, null, v40, v39, vcc_lo
	v_subrev_co_ci_u32_e64 v29, null, s31, v29, vcc_lo
	s_delay_alu instid0(VALU_DEP_3) | instskip(SKIP_1) | instid1(VALU_DEP_3)
	v_sub_co_u32 v36, s1, v33, s30
	v_add_nc_u64_e32 v[38:39], 1, v[34:35]
	v_subrev_co_ci_u32_e64 v29, null, 0, v29, s1
	s_delay_alu instid0(VALU_DEP_3) | instskip(SKIP_1) | instid1(VALU_DEP_3)
	v_cmp_le_u32_e32 vcc_lo, s30, v36
	v_cndmask_b32_e64 v36, 0, -1, vcc_lo
	v_cmp_le_u32_e32 vcc_lo, s31, v29
	v_cndmask_b32_e64 v37, 0, -1, vcc_lo
	;; [unrolled: 2-line block ×4, first 2 shown]
	v_cmp_eq_u32_e32 vcc_lo, s31, v29
	v_cndmask_b32_e32 v29, v37, v36, vcc_lo
	v_cmp_eq_u32_e32 vcc_lo, s31, v40
	v_add_nc_u64_e32 v[36:37], 2, v[34:35]
	v_cndmask_b32_e32 v33, v41, v33, vcc_lo
	s_delay_alu instid0(VALU_DEP_4) | instskip(NEXT) | instid1(VALU_DEP_2)
	v_cmp_ne_u32_e32 vcc_lo, 0, v29
	v_cmp_ne_u32_e64 s1, 0, v33
	s_delay_alu instid0(VALU_DEP_4) | instskip(NEXT) | instid1(VALU_DEP_1)
	v_dual_cndmask_b32 v29, v39, v37, vcc_lo :: v_dual_cndmask_b32 v33, v38, v36, vcc_lo
	v_dual_cndmask_b32 v29, v35, v29, s1 :: v_dual_bitop2_b32 v32, s28, v32 bitop3:0x14
	s_delay_alu instid0(VALU_DEP_1) | instskip(NEXT) | instid1(VALU_DEP_2)
	v_dual_cndmask_b32 v34, v34, v33, s1 :: v_dual_mov_b32 v33, v32
	v_xor_b32_e32 v35, v29, v32
	s_delay_alu instid0(VALU_DEP_2) | instskip(NEXT) | instid1(VALU_DEP_1)
	v_xor_b32_e32 v34, v34, v32
	v_sub_nc_u64_e32 v[32:33], v[34:35], v[32:33]
.LBB89_170:                             ;   in Loop: Header=BB89_168 Depth=1
	s_and_not1_saveexec_b32 s1, s49
	s_cbranch_execz .LBB89_167
; %bb.171:                              ;   in Loop: Header=BB89_168 Depth=1
	v_cvt_f32_u32_e32 v29, s26
	s_sub_co_i32 s24, 0, s26
	s_delay_alu instid0(VALU_DEP_1) | instskip(SKIP_1) | instid1(TRANS32_DEP_1)
	v_rcp_iflag_f32_e32 v29, v29
	v_nop
	v_mul_f32_e32 v29, 0x4f7ffffe, v29
	s_delay_alu instid0(VALU_DEP_1) | instskip(NEXT) | instid1(VALU_DEP_1)
	v_cvt_u32_f32_e32 v29, v29
	v_mul_lo_u32 v32, s24, v29
	s_delay_alu instid0(VALU_DEP_1) | instskip(NEXT) | instid1(VALU_DEP_1)
	v_mul_hi_u32 v32, v29, v32
	v_add_nc_u32_e32 v29, v29, v32
	s_delay_alu instid0(VALU_DEP_1) | instskip(NEXT) | instid1(VALU_DEP_1)
	v_mul_hi_u32 v29, v30, v29
	v_mul_lo_u32 v32, v29, s26
	s_delay_alu instid0(VALU_DEP_1) | instskip(NEXT) | instid1(VALU_DEP_1)
	v_dual_add_nc_u32 v33, 1, v29 :: v_dual_sub_nc_u32 v32, v30, v32
	v_subrev_nc_u32_e32 v34, s26, v32
	v_cmp_le_u32_e32 vcc_lo, s26, v32
	s_delay_alu instid0(VALU_DEP_2) | instskip(NEXT) | instid1(VALU_DEP_1)
	v_dual_cndmask_b32 v32, v32, v34 :: v_dual_cndmask_b32 v29, v29, v33
	v_cmp_le_u32_e32 vcc_lo, s26, v32
	s_delay_alu instid0(VALU_DEP_2) | instskip(NEXT) | instid1(VALU_DEP_1)
	v_add_nc_u32_e32 v33, 1, v29
	v_dual_cndmask_b32 v32, v29, v33 :: v_dual_mov_b32 v33, v28
	s_branch .LBB89_167
.LBB89_172:
	s_or_b32 exec_lo, exec_lo, s46
	s_mov_b32 s21, -1
	s_mov_b32 s7, 0
	s_mov_b32 s1, exec_lo
	v_cmpx_gt_i64_e64 v[24:25], v[22:23]
	s_cbranch_execz .LBB89_178
; %bb.173:
	s_delay_alu instid0(VALU_DEP_2) | instskip(SKIP_1) | instid1(VALU_DEP_1)
	v_lshlrev_b64_e32 v[26:27], 3, v[26:27]
	s_xor_b32 s21, s15, -1
                                        ; implicit-def: $sgpr20
                                        ; implicit-def: $sgpr23
                                        ; implicit-def: $sgpr22
	v_lshl_add_u64 v[22:23], v[22:23], 3, v[26:27]
	v_add_nc_u64_e32 v[26:27], s[2:3], v[26:27]
	s_delay_alu instid0(VALU_DEP_2) | instskip(NEXT) | instid1(VALU_DEP_2)
	v_add_nc_u64_e32 v[22:23], s[2:3], v[22:23]
	v_lshl_add_u64 v[24:25], v[24:25], 3, v[26:27]
	s_delay_alu instid0(VALU_DEP_2)
	v_add_nc_u64_e32 v[22:23], 8, v[22:23]
	s_branch .LBB89_175
.LBB89_174:                             ;   in Loop: Header=BB89_175 Depth=1
	s_or_b32 exec_lo, exec_lo, s24
	s_delay_alu instid0(SALU_CYCLE_1) | instskip(NEXT) | instid1(SALU_CYCLE_1)
	s_and_b32 s24, exec_lo, s23
	s_or_b32 s7, s24, s7
	s_and_not1_b32 s20, s20, exec_lo
	s_and_b32 s24, s22, exec_lo
	s_delay_alu instid0(SALU_CYCLE_1)
	s_or_b32 s20, s20, s24
	s_and_not1_b32 exec_lo, exec_lo, s7
	s_cbranch_execz .LBB89_177
.LBB89_175:                             ; =>This Inner Loop Header: Depth=1
	s_or_b32 s22, s22, exec_lo
	s_or_b32 s23, s23, exec_lo
	s_mov_b32 s24, exec_lo
	s_delay_alu instid0(VALU_DEP_1)
	v_cmpx_lt_u64_e64 v[22:23], v[24:25]
	s_cbranch_execz .LBB89_174
; %bb.176:                              ;   in Loop: Header=BB89_175 Depth=1
	global_load_b128 v[26:29], v[22:23], off offset:-8
	s_wait_xcnt 0x0
	v_add_nc_u64_e32 v[22:23], 8, v[22:23]
	s_and_not1_b32 s23, s23, exec_lo
	s_and_not1_b32 s22, s22, exec_lo
	s_wait_loadcnt 0x0
	v_cmp_ge_i64_e32 vcc_lo, v[26:27], v[28:29]
	s_or_b32 s25, s21, vcc_lo
	s_delay_alu instid0(SALU_CYCLE_1) | instskip(NEXT) | instid1(SALU_CYCLE_1)
	s_and_b32 s25, s25, exec_lo
	s_or_b32 s23, s23, s25
	s_branch .LBB89_174
.LBB89_177:
	s_or_b32 exec_lo, exec_lo, s7
	s_delay_alu instid0(SALU_CYCLE_1)
	s_mov_b32 s7, exec_lo
	s_or_not1_b32 s21, s20, exec_lo
.LBB89_178:
	s_or_b32 exec_lo, exec_lo, s1
	s_delay_alu instid0(SALU_CYCLE_1)
	s_and_b32 s20, s7, exec_lo
	s_xor_b32 s7, exec_lo, -1
	s_and_b32 s1, s21, exec_lo
.LBB89_179:
	s_or_b32 exec_lo, exec_lo, s45
	s_delay_alu instid0(SALU_CYCLE_1)
	s_and_not1_b32 s21, s39, exec_lo
	s_and_b32 s7, s7, exec_lo
	s_and_b32 s20, s20, exec_lo
	s_or_b32 s21, s21, s7
	s_xor_b32 s7, exec_lo, -1
	s_and_b32 s1, s1, exec_lo
.LBB89_180:
	s_or_b32 exec_lo, exec_lo, s44
	s_delay_alu instid0(SALU_CYCLE_1)
	s_and_not1_b32 s22, s39, exec_lo
	s_and_b32 s21, s21, exec_lo
	s_and_not1_b32 s23, s41, exec_lo
	s_and_b32 s7, s7, exec_lo
	s_and_b32 s20, s20, exec_lo
	s_or_b32 s22, s22, s21
	s_or_b32 s21, s23, s7
	s_xor_b32 s7, exec_lo, -1
	s_and_b32 s1, s1, exec_lo
.LBB89_181:
	s_or_b32 exec_lo, exec_lo, s40
	s_delay_alu instid0(SALU_CYCLE_1)
	s_and_not1_b32 s23, s39, exec_lo
	s_and_b32 s22, s22, exec_lo
	s_and_b32 s40, s20, exec_lo
	s_or_b32 s45, s23, s22
	s_and_not1_b32 s20, s41, exec_lo
	s_and_b32 s21, s21, exec_lo
	s_and_not1_b32 s22, s42, exec_lo
	s_and_b32 s7, s7, exec_lo
	s_or_b32 s46, s20, s21
	s_or_b32 s44, s22, s7
	s_or_not1_b32 s1, s1, exec_lo
.LBB89_182:
	s_or_b32 exec_lo, exec_lo, s47
	s_mov_b32 s21, 0
	s_and_saveexec_b32 s47, s1
	s_cbranch_execz .LBB89_209
; %bb.183:
	s_wait_loadcnt 0x4
	v_or_b32_e32 v22, 0x200, v0
	s_mov_b32 s23, -1
	s_mov_b32 s48, 0
	s_mov_b32 s1, s44
	;; [unrolled: 1-line block ×4, first 2 shown]
	s_mov_b32 s49, exec_lo
	v_cmpx_gt_i32_e64 s33, v22
	s_cbranch_execz .LBB89_204
; %bb.184:
	s_wait_loadcnt 0x3
	v_cmp_eq_u64_e32 vcc_lo, s[8:9], v[20:21]
	s_mov_b32 s1, -1
	s_mov_b32 s22, 0
	s_mov_b32 s23, s46
	;; [unrolled: 1-line block ×4, first 2 shown]
	s_and_b32 s20, s38, vcc_lo
	s_delay_alu instid0(SALU_CYCLE_1)
	s_and_saveexec_b32 s50, s20
	s_cbranch_execz .LBB89_203
; %bb.185:
	s_wait_loadcnt 0x2
	v_cmp_eq_u64_e32 vcc_lo, s[12:13], v[16:17]
	s_mov_b32 s20, 0
	s_mov_b32 s21, s45
	s_and_b32 s7, s36, vcc_lo
	s_delay_alu instid0(SALU_CYCLE_1)
	s_and_saveexec_b32 s51, s7
	s_cbranch_execz .LBB89_202
; %bb.186:
	s_wait_loadcnt 0x1
	v_sub_nc_u64_e32 v[22:23], v[14:15], v[12:13]
	s_mov_b32 s20, -1
	s_mov_b32 s7, 0
	s_delay_alu instid0(VALU_DEP_1) | instskip(SKIP_2) | instid1(SALU_CYCLE_1)
	v_cmp_le_i64_e32 vcc_lo, v[20:21], v[22:23]
	v_cmp_ge_i64_e64 s1, s[10:11], v[22:23]
	s_and_b32 s1, vcc_lo, s1
	s_and_b32 s21, s35, s1
	s_mov_b32 s1, 0
	s_and_saveexec_b32 s52, s21
	s_cbranch_execz .LBB89_201
; %bb.187:
	v_cmp_lt_i64_e32 vcc_lo, 0, v[16:17]
	v_mov_b64_e32 v[20:21], 0
	s_and_b32 s1, vcc_lo, s34
	s_delay_alu instid0(SALU_CYCLE_1)
	s_and_saveexec_b32 s53, s1
	s_cbranch_execz .LBB89_194
; %bb.188:
	s_wait_loadcnt 0x0
	v_mul_u64_e32 v[18:19], v[18:19], v[16:17]
	s_ashr_i32 s7, s6, 31
	v_mov_b64_e32 v[20:21], 0
	s_lshl_b64 s[22:23], s[6:7], 3
	v_mov_b32_e32 v16, 0
	s_add_nc_u64 s[22:23], s[18:19], s[22:23]
	s_mov_b64 s[20:21], 0xffffffff
	s_add_nc_u64 s[22:23], s[22:23], 32
	s_mov_b32 s25, 0
	s_mov_b32 s7, s14
	s_branch .LBB89_190
.LBB89_189:                             ;   in Loop: Header=BB89_190 Depth=1
	s_or_b32 exec_lo, exec_lo, s1
	s_delay_alu instid0(VALU_DEP_1)
	v_mul_u64_e32 v[24:25], s[26:27], v[22:23]
	s_load_b64 s[26:27], s[22:23], 0x40
	s_add_co_i32 s7, s7, -1
	s_wait_xcnt 0x0
	s_add_nc_u64 s[22:23], s[22:23], -8
	s_cmp_lg_u32 s7, 0
	s_delay_alu instid0(VALU_DEP_1) | instskip(SKIP_1) | instid1(VALU_DEP_1)
	v_sub_nc_u64_e32 v[18:19], v[18:19], v[24:25]
	s_wait_kmcnt 0x0
	v_mad_nc_u64_u32 v[20:21], v18, s26, v[20:21]
	s_delay_alu instid0(VALU_DEP_1) | instskip(NEXT) | instid1(VALU_DEP_1)
	v_mad_u32 v17, v19, s26, v21
	v_mad_u32 v21, v18, s27, v17
	v_mov_b64_e32 v[18:19], v[22:23]
	s_cbranch_scc0 .LBB89_194
.LBB89_190:                             ; =>This Inner Loop Header: Depth=1
	s_load_b64 s[26:27], s[22:23], 0x0
                                        ; implicit-def: $vgpr22_vgpr23
	s_mov_b32 s1, exec_lo
	s_wait_kmcnt 0x0
	s_delay_alu instid0(VALU_DEP_1) | instskip(NEXT) | instid1(VALU_DEP_1)
	v_or_b32_e32 v17, s27, v19
	v_cmpx_ne_u64_e32 0, v[16:17]
	s_xor_b32 s54, exec_lo, s1
	s_cbranch_execz .LBB89_192
; %bb.191:                              ;   in Loop: Header=BB89_190 Depth=1
	s_ashr_i32 s28, s27, 31
	v_dual_mov_b32 v27, v16 :: v_dual_ashrrev_i32 v22, 31, v19
	s_mov_b32 s29, s28
	s_delay_alu instid0(SALU_CYCLE_1) | instskip(NEXT) | instid1(VALU_DEP_1)
	s_add_nc_u64 s[30:31], s[26:27], s[28:29]
	v_mov_b32_e32 v23, v22
	s_xor_b64 s[30:31], s[30:31], s[28:29]
	s_delay_alu instid0(SALU_CYCLE_1)
	s_cvt_f32_u32 s1, s30
	s_cvt_f32_u32 s24, s31
	s_sub_nc_u64 s[58:59], 0, s[30:31]
	v_add_nc_u64_e32 v[24:25], v[18:19], v[22:23]
	v_mov_b32_e32 v31, v16
	s_fmamk_f32 s1, s24, 0x4f800000, s1
	s_delay_alu instid0(SALU_CYCLE_3) | instskip(NEXT) | instid1(VALU_DEP_2)
	v_s_rcp_f32 s1, s1
	v_xor_b32_e32 v26, v24, v22
	s_delay_alu instid0(VALU_DEP_3) | instskip(SKIP_1) | instid1(TRANS32_DEP_1)
	v_dual_mov_b32 v35, v16 :: v_dual_bitop2_b32 v30, v25, v22 bitop3:0x14
	v_xor_b32_e32 v22, s28, v22
	s_mul_f32 s1, s1, 0x5f7ffffc
	s_delay_alu instid0(SALU_CYCLE_3) | instskip(NEXT) | instid1(SALU_CYCLE_3)
	s_mul_f32 s24, s1, 0x2f800000
	s_trunc_f32 s24, s24
	s_delay_alu instid0(SALU_CYCLE_3) | instskip(SKIP_1) | instid1(SALU_CYCLE_2)
	s_fmamk_f32 s1, s24, 0xcf800000, s1
	s_cvt_u32_f32 s57, s24
	s_cvt_u32_f32 s56, s1
	s_delay_alu instid0(SALU_CYCLE_3) | instskip(NEXT) | instid1(SALU_CYCLE_1)
	s_mul_u64 s[60:61], s[58:59], s[56:57]
	s_mul_hi_u32 s63, s56, s61
	s_mul_i32 s62, s56, s61
	s_mul_hi_u32 s24, s56, s60
	s_mul_i32 s29, s57, s60
	s_add_nc_u64 s[62:63], s[24:25], s[62:63]
	s_mul_hi_u32 s1, s57, s60
	s_mul_hi_u32 s55, s57, s61
	s_add_co_u32 s24, s62, s29
	s_add_co_ci_u32 s24, s63, s1
	s_mul_i32 s60, s57, s61
	s_add_co_ci_u32 s61, s55, 0
	s_delay_alu instid0(SALU_CYCLE_1) | instskip(NEXT) | instid1(SALU_CYCLE_1)
	s_add_nc_u64 s[60:61], s[24:25], s[60:61]
	s_add_co_u32 s56, s56, s60
	s_cselect_b32 s1, -1, 0
	s_delay_alu instid0(SALU_CYCLE_1) | instskip(SKIP_1) | instid1(SALU_CYCLE_1)
	s_cmp_lg_u32 s1, 0
	s_add_co_ci_u32 s57, s57, s61
	s_mul_u64 s[58:59], s[58:59], s[56:57]
	s_delay_alu instid0(SALU_CYCLE_1)
	s_mul_hi_u32 s61, s56, s59
	s_mul_i32 s60, s56, s59
	s_mul_hi_u32 s24, s56, s58
	s_mul_i32 s29, s57, s58
	s_add_nc_u64 s[60:61], s[24:25], s[60:61]
	s_mul_hi_u32 s1, s57, s58
	s_mul_hi_u32 s55, s57, s59
	s_add_co_u32 s24, s60, s29
	s_add_co_ci_u32 s24, s61, s1
	s_mul_i32 s58, s57, s59
	s_add_co_ci_u32 s59, s55, 0
	s_delay_alu instid0(SALU_CYCLE_1) | instskip(NEXT) | instid1(SALU_CYCLE_1)
	s_add_nc_u64 s[58:59], s[24:25], s[58:59]
	s_add_co_u32 s56, s56, s58
	s_cselect_b32 s1, -1, 0
	v_mul_hi_u32 v34, v26, s56
	s_cmp_lg_u32 s1, 0
	s_add_co_ci_u32 s24, s57, s59
	s_and_b64 s[58:59], s[56:57], s[20:21]
	v_mul_u64_e32 v[28:29], s[24:25], v[26:27]
	v_mul_u64_e32 v[24:25], s[58:59], v[30:31]
	;; [unrolled: 1-line block ×3, first 2 shown]
	s_delay_alu instid0(VALU_DEP_3) | instskip(NEXT) | instid1(VALU_DEP_1)
	v_add_nc_u64_e32 v[28:29], v[34:35], v[28:29]
	v_add_co_u32 v17, vcc_lo, v28, v24
	s_delay_alu instid0(VALU_DEP_2) | instskip(NEXT) | instid1(VALU_DEP_4)
	v_add_co_ci_u32_e32 v34, vcc_lo, v29, v25, vcc_lo
	v_add_co_ci_u32_e32 v33, vcc_lo, 0, v33, vcc_lo
	s_delay_alu instid0(VALU_DEP_1) | instskip(NEXT) | instid1(VALU_DEP_1)
	v_add_nc_u64_e32 v[24:25], v[34:35], v[32:33]
	v_mul_u64_e32 v[28:29], s[30:31], v[24:25]
	s_delay_alu instid0(VALU_DEP_1) | instskip(NEXT) | instid1(VALU_DEP_2)
	v_sub_nc_u32_e32 v17, v30, v29
	v_sub_co_u32 v23, vcc_lo, v26, v28
	s_delay_alu instid0(VALU_DEP_1) | instskip(NEXT) | instid1(VALU_DEP_3)
	v_sub_co_ci_u32_e64 v30, null, v30, v29, vcc_lo
	v_subrev_co_ci_u32_e64 v17, null, s31, v17, vcc_lo
	s_delay_alu instid0(VALU_DEP_3) | instskip(SKIP_1) | instid1(VALU_DEP_3)
	v_sub_co_u32 v26, s1, v23, s30
	v_add_nc_u64_e32 v[28:29], 1, v[24:25]
	v_subrev_co_ci_u32_e64 v17, null, 0, v17, s1
	s_delay_alu instid0(VALU_DEP_3) | instskip(SKIP_1) | instid1(VALU_DEP_3)
	v_cmp_le_u32_e32 vcc_lo, s30, v26
	v_cndmask_b32_e64 v26, 0, -1, vcc_lo
	v_cmp_le_u32_e32 vcc_lo, s31, v17
	v_cndmask_b32_e64 v27, 0, -1, vcc_lo
	;; [unrolled: 2-line block ×4, first 2 shown]
	v_cmp_eq_u32_e32 vcc_lo, s31, v17
	v_cndmask_b32_e32 v17, v27, v26, vcc_lo
	v_cmp_eq_u32_e32 vcc_lo, s31, v30
	v_add_nc_u64_e32 v[26:27], 2, v[24:25]
	v_cndmask_b32_e32 v23, v31, v23, vcc_lo
	s_delay_alu instid0(VALU_DEP_4) | instskip(NEXT) | instid1(VALU_DEP_2)
	v_cmp_ne_u32_e32 vcc_lo, 0, v17
	v_cmp_ne_u32_e64 s1, 0, v23
	s_delay_alu instid0(VALU_DEP_4) | instskip(NEXT) | instid1(VALU_DEP_1)
	v_dual_cndmask_b32 v17, v29, v27, vcc_lo :: v_dual_cndmask_b32 v23, v28, v26, vcc_lo
	v_dual_cndmask_b32 v24, v24, v23, s1 :: v_dual_mov_b32 v23, v22
	s_delay_alu instid0(VALU_DEP_1) | instskip(NEXT) | instid1(VALU_DEP_1)
	v_dual_cndmask_b32 v17, v25, v17, s1 :: v_dual_bitop2_b32 v24, v24, v22 bitop3:0x14
	v_xor_b32_e32 v25, v17, v22
	s_delay_alu instid0(VALU_DEP_1)
	v_sub_nc_u64_e32 v[22:23], v[24:25], v[22:23]
.LBB89_192:                             ;   in Loop: Header=BB89_190 Depth=1
	s_and_not1_saveexec_b32 s1, s54
	s_cbranch_execz .LBB89_189
; %bb.193:                              ;   in Loop: Header=BB89_190 Depth=1
	v_cvt_f32_u32_e32 v17, s26
	s_sub_co_i32 s24, 0, s26
	s_delay_alu instid0(VALU_DEP_1) | instskip(SKIP_1) | instid1(TRANS32_DEP_1)
	v_rcp_iflag_f32_e32 v17, v17
	v_nop
	v_mul_f32_e32 v17, 0x4f7ffffe, v17
	s_delay_alu instid0(VALU_DEP_1) | instskip(NEXT) | instid1(VALU_DEP_1)
	v_cvt_u32_f32_e32 v17, v17
	v_mul_lo_u32 v22, s24, v17
	s_delay_alu instid0(VALU_DEP_1) | instskip(NEXT) | instid1(VALU_DEP_1)
	v_mul_hi_u32 v22, v17, v22
	v_add_nc_u32_e32 v17, v17, v22
	s_delay_alu instid0(VALU_DEP_1) | instskip(NEXT) | instid1(VALU_DEP_1)
	v_mul_hi_u32 v17, v18, v17
	v_mul_lo_u32 v22, v17, s26
	s_delay_alu instid0(VALU_DEP_1) | instskip(NEXT) | instid1(VALU_DEP_1)
	v_dual_add_nc_u32 v23, 1, v17 :: v_dual_sub_nc_u32 v22, v18, v22
	v_subrev_nc_u32_e32 v24, s26, v22
	v_cmp_le_u32_e32 vcc_lo, s26, v22
	s_delay_alu instid0(VALU_DEP_2) | instskip(NEXT) | instid1(VALU_DEP_1)
	v_dual_cndmask_b32 v22, v22, v24 :: v_dual_cndmask_b32 v17, v17, v23
	v_cmp_le_u32_e32 vcc_lo, s26, v22
	s_delay_alu instid0(VALU_DEP_2) | instskip(NEXT) | instid1(VALU_DEP_1)
	v_add_nc_u32_e32 v23, 1, v17
	v_dual_cndmask_b32 v22, v17, v23 :: v_dual_mov_b32 v23, v16
	s_branch .LBB89_189
.LBB89_194:
	s_or_b32 exec_lo, exec_lo, s53
	s_mov_b32 s7, -1
	s_mov_b32 s21, 0
	s_mov_b32 s1, exec_lo
	v_cmpx_gt_i64_e64 v[14:15], v[12:13]
	s_cbranch_execz .LBB89_200
; %bb.195:
	s_delay_alu instid0(VALU_DEP_2) | instskip(SKIP_2) | instid1(VALU_DEP_1)
	v_lshlrev_b64_e32 v[16:17], 3, v[20:21]
	s_mov_b32 s7, 0
	s_xor_b32 s21, s15, -1
                                        ; implicit-def: $sgpr20
                                        ; implicit-def: $sgpr23
                                        ; implicit-def: $sgpr22
	v_lshl_add_u64 v[12:13], v[12:13], 3, v[16:17]
	v_add_nc_u64_e32 v[16:17], s[2:3], v[16:17]
	s_delay_alu instid0(VALU_DEP_2) | instskip(NEXT) | instid1(VALU_DEP_2)
	v_add_nc_u64_e32 v[12:13], s[2:3], v[12:13]
	v_lshl_add_u64 v[14:15], v[14:15], 3, v[16:17]
	s_delay_alu instid0(VALU_DEP_2)
	v_add_nc_u64_e32 v[12:13], 8, v[12:13]
	s_branch .LBB89_197
.LBB89_196:                             ;   in Loop: Header=BB89_197 Depth=1
	s_or_b32 exec_lo, exec_lo, s24
	s_delay_alu instid0(SALU_CYCLE_1) | instskip(NEXT) | instid1(SALU_CYCLE_1)
	s_and_b32 s24, exec_lo, s23
	s_or_b32 s7, s24, s7
	s_and_not1_b32 s20, s20, exec_lo
	s_and_b32 s24, s22, exec_lo
	s_delay_alu instid0(SALU_CYCLE_1)
	s_or_b32 s20, s20, s24
	s_and_not1_b32 exec_lo, exec_lo, s7
	s_cbranch_execz .LBB89_199
.LBB89_197:                             ; =>This Inner Loop Header: Depth=1
	s_or_b32 s22, s22, exec_lo
	s_or_b32 s23, s23, exec_lo
	s_mov_b32 s24, exec_lo
	s_delay_alu instid0(VALU_DEP_1)
	v_cmpx_lt_u64_e64 v[12:13], v[14:15]
	s_cbranch_execz .LBB89_196
; %bb.198:                              ;   in Loop: Header=BB89_197 Depth=1
	s_wait_loadcnt 0x0
	global_load_b128 v[16:19], v[12:13], off offset:-8
	s_wait_xcnt 0x0
	v_add_nc_u64_e32 v[12:13], 8, v[12:13]
	s_and_not1_b32 s23, s23, exec_lo
	s_and_not1_b32 s22, s22, exec_lo
	s_wait_loadcnt 0x0
	v_cmp_ge_i64_e32 vcc_lo, v[16:17], v[18:19]
	s_or_b32 s25, s21, vcc_lo
	s_delay_alu instid0(SALU_CYCLE_1) | instskip(NEXT) | instid1(SALU_CYCLE_1)
	s_and_b32 s25, s25, exec_lo
	s_or_b32 s23, s23, s25
	s_branch .LBB89_196
.LBB89_199:
	s_or_b32 exec_lo, exec_lo, s7
	s_delay_alu instid0(SALU_CYCLE_1)
	s_mov_b32 s21, exec_lo
	s_or_not1_b32 s7, s20, exec_lo
.LBB89_200:
	s_or_b32 exec_lo, exec_lo, s1
	s_delay_alu instid0(SALU_CYCLE_1)
	s_and_b32 s1, s21, exec_lo
	s_xor_b32 s20, exec_lo, -1
	s_and_b32 s7, s7, exec_lo
.LBB89_201:
	s_or_b32 exec_lo, exec_lo, s52
	s_delay_alu instid0(SALU_CYCLE_1)
	s_and_not1_b32 s21, s45, exec_lo
	s_and_b32 s20, s20, exec_lo
	s_and_b32 s22, s1, exec_lo
	s_or_b32 s21, s21, s20
	s_xor_b32 s1, exec_lo, -1
	s_and_b32 s20, s7, exec_lo
.LBB89_202:
	s_or_b32 exec_lo, exec_lo, s51
	s_delay_alu instid0(SALU_CYCLE_1)
	s_and_b32 s7, s22, exec_lo
	s_and_not1_b32 s22, s45, exec_lo
	s_and_b32 s21, s21, exec_lo
	s_and_not1_b32 s23, s46, exec_lo
	s_and_b32 s1, s1, exec_lo
	s_or_b32 s21, s22, s21
	s_or_b32 s23, s23, s1
	s_xor_b32 s1, exec_lo, -1
	s_and_b32 s22, s20, exec_lo
.LBB89_203:
	s_or_b32 exec_lo, exec_lo, s50
	s_delay_alu instid0(SALU_CYCLE_1)
	s_and_not1_b32 s20, s45, exec_lo
	s_and_b32 s24, s21, exec_lo
	s_and_b32 s21, s7, exec_lo
	s_or_b32 s7, s20, s24
	s_and_not1_b32 s20, s46, exec_lo
	s_and_b32 s23, s23, exec_lo
	s_and_not1_b32 s24, s44, exec_lo
	s_and_b32 s1, s1, exec_lo
	s_or_b32 s20, s20, s23
	s_or_b32 s1, s24, s1
	s_or_not1_b32 s23, s22, exec_lo
.LBB89_204:
	s_or_b32 exec_lo, exec_lo, s49
	s_mov_b32 s24, 0
	s_and_saveexec_b32 s22, s23
	s_cbranch_execz .LBB89_208
; %bb.205:
	v_or_b32_e32 v12, 0x300, v0
	s_mov_b32 s23, 0
	s_mov_b32 s24, -1
	s_mov_b32 s25, s1
	s_mov_b32 s26, exec_lo
	v_cmpx_gt_i32_e64 s33, v12
	s_xor_b32 s26, exec_lo, s26
	s_cbranch_execz .LBB89_207
; %bb.206:
	s_wait_loadcnt 0x3
	v_cmp_ne_u64_e32 vcc_lo, s[8:9], v[10:11]
	s_xor_b32 s8, s38, -1
	s_and_not1_b32 s9, s1, exec_lo
	s_mov_b32 s23, exec_lo
	s_xor_b32 s24, exec_lo, -1
	s_or_b32 s8, s8, vcc_lo
	s_delay_alu instid0(SALU_CYCLE_1) | instskip(NEXT) | instid1(SALU_CYCLE_1)
	s_and_b32 s8, s8, exec_lo
	s_or_b32 s25, s9, s8
.LBB89_207:
	s_or_b32 exec_lo, exec_lo, s26
	s_delay_alu instid0(SALU_CYCLE_1)
	s_and_not1_b32 s1, s1, exec_lo
	s_and_b32 s8, s25, exec_lo
	s_and_b32 s24, s24, exec_lo
	s_and_not1_b32 s21, s21, exec_lo
	s_and_b32 s48, s23, exec_lo
	s_or_b32 s1, s1, s8
.LBB89_208:
	s_or_b32 exec_lo, exec_lo, s22
	s_delay_alu instid0(SALU_CYCLE_1)
	s_and_not1_b32 s8, s40, exec_lo
	s_and_b32 s9, s21, exec_lo
	s_and_b32 s7, s7, exec_lo
	s_or_b32 s40, s8, s9
	s_and_not1_b32 s8, s45, exec_lo
	s_and_not1_b32 s9, s46, exec_lo
	s_and_b32 s20, s20, exec_lo
	s_or_b32 s45, s8, s7
	s_and_not1_b32 s7, s44, exec_lo
	s_and_b32 s1, s1, exec_lo
	s_and_b32 s21, s24, exec_lo
	s_or_b32 s46, s9, s20
	s_and_b32 s48, s48, exec_lo
	s_or_b32 s44, s7, s1
.LBB89_209:
	s_or_b32 exec_lo, exec_lo, s47
	s_delay_alu instid0(SALU_CYCLE_1)
	s_and_not1_b32 s1, s37, exec_lo
	s_and_b32 s7, s40, exec_lo
	s_and_not1_b32 s8, s41, exec_lo
	s_or_b32 s37, s1, s7
	s_and_not1_b32 s1, s39, exec_lo
	s_and_b32 s7, s45, exec_lo
	s_and_b32 s9, s46, exec_lo
	s_or_b32 s39, s1, s7
	s_and_not1_b32 s1, s42, exec_lo
	s_and_b32 s7, s44, exec_lo
	s_and_b32 s40, s21, exec_lo
	s_or_b32 s41, s8, s9
	s_and_b32 s44, s48, exec_lo
	s_or_b32 s42, s1, s7
	s_or_b32 exec_lo, exec_lo, s43
	s_and_saveexec_b32 s1, s42
	s_cbranch_execz .LBB89_87
.LBB89_210:
	s_or_b32 s17, s17, exec_lo
	s_and_not1_b32 s44, s44, exec_lo
	s_trap 2
	s_branch .LBB89_87
.LBB89_211:
	s_mov_b32 s17, exec_lo
	s_and_not1_b32 s28, s28, exec_lo
	s_trap 2
	s_branch .LBB89_65
.LBB89_212:
	s_or_b32 s17, s17, exec_lo
	s_and_not1_b32 s29, s29, exec_lo
	s_trap 2
	s_branch .LBB89_68
.LBB89_213:
	s_or_b32 s17, s17, exec_lo
	s_and_not1_b32 s1, s1, exec_lo
	s_trap 2
	s_branch .LBB89_90
	.section	.rodata,"a",@progbits
	.p2align	6, 0x0
	.amdhsa_kernel _ZN2at6native29vectorized_elementwise_kernelILi8EZZZNS0_12_GLOBAL__N_142_validate_compressed_sparse_indices_kernelILNS2_8CDimNameE1ENS2_18CUDAKernelLauncherENS2_14EmptyVecKernelENS2_8DummyVecELm8EEEvRKNS_6TensorESA_lllENKUlvE1_clEvENKUlvE0_clEvEUllllllE_St5arrayIPcLm6EEEEviT0_T1_
		.amdhsa_group_segment_fixed_size 0
		.amdhsa_private_segment_fixed_size 0
		.amdhsa_kernarg_size 224
		.amdhsa_user_sgpr_count 2
		.amdhsa_user_sgpr_dispatch_ptr 0
		.amdhsa_user_sgpr_queue_ptr 0
		.amdhsa_user_sgpr_kernarg_segment_ptr 1
		.amdhsa_user_sgpr_dispatch_id 0
		.amdhsa_user_sgpr_kernarg_preload_length 0
		.amdhsa_user_sgpr_kernarg_preload_offset 0
		.amdhsa_user_sgpr_private_segment_size 0
		.amdhsa_wavefront_size32 1
		.amdhsa_uses_dynamic_stack 0
		.amdhsa_enable_private_segment 0
		.amdhsa_system_sgpr_workgroup_id_x 1
		.amdhsa_system_sgpr_workgroup_id_y 0
		.amdhsa_system_sgpr_workgroup_id_z 0
		.amdhsa_system_sgpr_workgroup_info 0
		.amdhsa_system_vgpr_workitem_id 0
		.amdhsa_next_free_vgpr 60
		.amdhsa_next_free_sgpr 69
		.amdhsa_named_barrier_count 0
		.amdhsa_reserve_vcc 1
		.amdhsa_float_round_mode_32 0
		.amdhsa_float_round_mode_16_64 0
		.amdhsa_float_denorm_mode_32 3
		.amdhsa_float_denorm_mode_16_64 3
		.amdhsa_fp16_overflow 0
		.amdhsa_memory_ordered 1
		.amdhsa_forward_progress 1
		.amdhsa_inst_pref_size 103
		.amdhsa_round_robin_scheduling 0
		.amdhsa_exception_fp_ieee_invalid_op 0
		.amdhsa_exception_fp_denorm_src 0
		.amdhsa_exception_fp_ieee_div_zero 0
		.amdhsa_exception_fp_ieee_overflow 0
		.amdhsa_exception_fp_ieee_underflow 0
		.amdhsa_exception_fp_ieee_inexact 0
		.amdhsa_exception_int_div_zero 0
	.end_amdhsa_kernel
	.section	.text._ZN2at6native29vectorized_elementwise_kernelILi8EZZZNS0_12_GLOBAL__N_142_validate_compressed_sparse_indices_kernelILNS2_8CDimNameE1ENS2_18CUDAKernelLauncherENS2_14EmptyVecKernelENS2_8DummyVecELm8EEEvRKNS_6TensorESA_lllENKUlvE1_clEvENKUlvE0_clEvEUllllllE_St5arrayIPcLm6EEEEviT0_T1_,"axG",@progbits,_ZN2at6native29vectorized_elementwise_kernelILi8EZZZNS0_12_GLOBAL__N_142_validate_compressed_sparse_indices_kernelILNS2_8CDimNameE1ENS2_18CUDAKernelLauncherENS2_14EmptyVecKernelENS2_8DummyVecELm8EEEvRKNS_6TensorESA_lllENKUlvE1_clEvENKUlvE0_clEvEUllllllE_St5arrayIPcLm6EEEEviT0_T1_,comdat
.Lfunc_end89:
	.size	_ZN2at6native29vectorized_elementwise_kernelILi8EZZZNS0_12_GLOBAL__N_142_validate_compressed_sparse_indices_kernelILNS2_8CDimNameE1ENS2_18CUDAKernelLauncherENS2_14EmptyVecKernelENS2_8DummyVecELm8EEEvRKNS_6TensorESA_lllENKUlvE1_clEvENKUlvE0_clEvEUllllllE_St5arrayIPcLm6EEEEviT0_T1_, .Lfunc_end89-_ZN2at6native29vectorized_elementwise_kernelILi8EZZZNS0_12_GLOBAL__N_142_validate_compressed_sparse_indices_kernelILNS2_8CDimNameE1ENS2_18CUDAKernelLauncherENS2_14EmptyVecKernelENS2_8DummyVecELm8EEEvRKNS_6TensorESA_lllENKUlvE1_clEvENKUlvE0_clEvEUllllllE_St5arrayIPcLm6EEEEviT0_T1_
                                        ; -- End function
	.set _ZN2at6native29vectorized_elementwise_kernelILi8EZZZNS0_12_GLOBAL__N_142_validate_compressed_sparse_indices_kernelILNS2_8CDimNameE1ENS2_18CUDAKernelLauncherENS2_14EmptyVecKernelENS2_8DummyVecELm8EEEvRKNS_6TensorESA_lllENKUlvE1_clEvENKUlvE0_clEvEUllllllE_St5arrayIPcLm6EEEEviT0_T1_.num_vgpr, 60
	.set _ZN2at6native29vectorized_elementwise_kernelILi8EZZZNS0_12_GLOBAL__N_142_validate_compressed_sparse_indices_kernelILNS2_8CDimNameE1ENS2_18CUDAKernelLauncherENS2_14EmptyVecKernelENS2_8DummyVecELm8EEEvRKNS_6TensorESA_lllENKUlvE1_clEvENKUlvE0_clEvEUllllllE_St5arrayIPcLm6EEEEviT0_T1_.num_agpr, 0
	.set _ZN2at6native29vectorized_elementwise_kernelILi8EZZZNS0_12_GLOBAL__N_142_validate_compressed_sparse_indices_kernelILNS2_8CDimNameE1ENS2_18CUDAKernelLauncherENS2_14EmptyVecKernelENS2_8DummyVecELm8EEEvRKNS_6TensorESA_lllENKUlvE1_clEvENKUlvE0_clEvEUllllllE_St5arrayIPcLm6EEEEviT0_T1_.numbered_sgpr, 69
	.set _ZN2at6native29vectorized_elementwise_kernelILi8EZZZNS0_12_GLOBAL__N_142_validate_compressed_sparse_indices_kernelILNS2_8CDimNameE1ENS2_18CUDAKernelLauncherENS2_14EmptyVecKernelENS2_8DummyVecELm8EEEvRKNS_6TensorESA_lllENKUlvE1_clEvENKUlvE0_clEvEUllllllE_St5arrayIPcLm6EEEEviT0_T1_.num_named_barrier, 0
	.set _ZN2at6native29vectorized_elementwise_kernelILi8EZZZNS0_12_GLOBAL__N_142_validate_compressed_sparse_indices_kernelILNS2_8CDimNameE1ENS2_18CUDAKernelLauncherENS2_14EmptyVecKernelENS2_8DummyVecELm8EEEvRKNS_6TensorESA_lllENKUlvE1_clEvENKUlvE0_clEvEUllllllE_St5arrayIPcLm6EEEEviT0_T1_.private_seg_size, 0
	.set _ZN2at6native29vectorized_elementwise_kernelILi8EZZZNS0_12_GLOBAL__N_142_validate_compressed_sparse_indices_kernelILNS2_8CDimNameE1ENS2_18CUDAKernelLauncherENS2_14EmptyVecKernelENS2_8DummyVecELm8EEEvRKNS_6TensorESA_lllENKUlvE1_clEvENKUlvE0_clEvEUllllllE_St5arrayIPcLm6EEEEviT0_T1_.uses_vcc, 1
	.set _ZN2at6native29vectorized_elementwise_kernelILi8EZZZNS0_12_GLOBAL__N_142_validate_compressed_sparse_indices_kernelILNS2_8CDimNameE1ENS2_18CUDAKernelLauncherENS2_14EmptyVecKernelENS2_8DummyVecELm8EEEvRKNS_6TensorESA_lllENKUlvE1_clEvENKUlvE0_clEvEUllllllE_St5arrayIPcLm6EEEEviT0_T1_.uses_flat_scratch, 0
	.set _ZN2at6native29vectorized_elementwise_kernelILi8EZZZNS0_12_GLOBAL__N_142_validate_compressed_sparse_indices_kernelILNS2_8CDimNameE1ENS2_18CUDAKernelLauncherENS2_14EmptyVecKernelENS2_8DummyVecELm8EEEvRKNS_6TensorESA_lllENKUlvE1_clEvENKUlvE0_clEvEUllllllE_St5arrayIPcLm6EEEEviT0_T1_.has_dyn_sized_stack, 0
	.set _ZN2at6native29vectorized_elementwise_kernelILi8EZZZNS0_12_GLOBAL__N_142_validate_compressed_sparse_indices_kernelILNS2_8CDimNameE1ENS2_18CUDAKernelLauncherENS2_14EmptyVecKernelENS2_8DummyVecELm8EEEvRKNS_6TensorESA_lllENKUlvE1_clEvENKUlvE0_clEvEUllllllE_St5arrayIPcLm6EEEEviT0_T1_.has_recursion, 0
	.set _ZN2at6native29vectorized_elementwise_kernelILi8EZZZNS0_12_GLOBAL__N_142_validate_compressed_sparse_indices_kernelILNS2_8CDimNameE1ENS2_18CUDAKernelLauncherENS2_14EmptyVecKernelENS2_8DummyVecELm8EEEvRKNS_6TensorESA_lllENKUlvE1_clEvENKUlvE0_clEvEUllllllE_St5arrayIPcLm6EEEEviT0_T1_.has_indirect_call, 0
	.section	.AMDGPU.csdata,"",@progbits
; Kernel info:
; codeLenInByte = 13140
; TotalNumSgprs: 71
; NumVgprs: 60
; ScratchSize: 0
; MemoryBound: 1
; FloatMode: 240
; IeeeMode: 1
; LDSByteSize: 0 bytes/workgroup (compile time only)
; SGPRBlocks: 0
; VGPRBlocks: 3
; NumSGPRsForWavesPerEU: 71
; NumVGPRsForWavesPerEU: 60
; NamedBarCnt: 0
; Occupancy: 16
; WaveLimiterHint : 1
; COMPUTE_PGM_RSRC2:SCRATCH_EN: 0
; COMPUTE_PGM_RSRC2:USER_SGPR: 2
; COMPUTE_PGM_RSRC2:TRAP_HANDLER: 0
; COMPUTE_PGM_RSRC2:TGID_X_EN: 1
; COMPUTE_PGM_RSRC2:TGID_Y_EN: 0
; COMPUTE_PGM_RSRC2:TGID_Z_EN: 0
; COMPUTE_PGM_RSRC2:TIDIG_COMP_CNT: 0
	.section	.text._ZN2at6native29vectorized_elementwise_kernelILi4EZZZNS0_12_GLOBAL__N_142_validate_compressed_sparse_indices_kernelILNS2_8CDimNameE1ENS2_18CUDAKernelLauncherENS2_14EmptyVecKernelENS2_8DummyVecELm8EEEvRKNS_6TensorESA_lllENKUlvE1_clEvENKUlvE0_clEvEUllllllE_St5arrayIPcLm6EEEEviT0_T1_,"axG",@progbits,_ZN2at6native29vectorized_elementwise_kernelILi4EZZZNS0_12_GLOBAL__N_142_validate_compressed_sparse_indices_kernelILNS2_8CDimNameE1ENS2_18CUDAKernelLauncherENS2_14EmptyVecKernelENS2_8DummyVecELm8EEEvRKNS_6TensorESA_lllENKUlvE1_clEvENKUlvE0_clEvEUllllllE_St5arrayIPcLm6EEEEviT0_T1_,comdat
	.globl	_ZN2at6native29vectorized_elementwise_kernelILi4EZZZNS0_12_GLOBAL__N_142_validate_compressed_sparse_indices_kernelILNS2_8CDimNameE1ENS2_18CUDAKernelLauncherENS2_14EmptyVecKernelENS2_8DummyVecELm8EEEvRKNS_6TensorESA_lllENKUlvE1_clEvENKUlvE0_clEvEUllllllE_St5arrayIPcLm6EEEEviT0_T1_ ; -- Begin function _ZN2at6native29vectorized_elementwise_kernelILi4EZZZNS0_12_GLOBAL__N_142_validate_compressed_sparse_indices_kernelILNS2_8CDimNameE1ENS2_18CUDAKernelLauncherENS2_14EmptyVecKernelENS2_8DummyVecELm8EEEvRKNS_6TensorESA_lllENKUlvE1_clEvENKUlvE0_clEvEUllllllE_St5arrayIPcLm6EEEEviT0_T1_
	.p2align	8
	.type	_ZN2at6native29vectorized_elementwise_kernelILi4EZZZNS0_12_GLOBAL__N_142_validate_compressed_sparse_indices_kernelILNS2_8CDimNameE1ENS2_18CUDAKernelLauncherENS2_14EmptyVecKernelENS2_8DummyVecELm8EEEvRKNS_6TensorESA_lllENKUlvE1_clEvENKUlvE0_clEvEUllllllE_St5arrayIPcLm6EEEEviT0_T1_,@function
_ZN2at6native29vectorized_elementwise_kernelILi4EZZZNS0_12_GLOBAL__N_142_validate_compressed_sparse_indices_kernelILNS2_8CDimNameE1ENS2_18CUDAKernelLauncherENS2_14EmptyVecKernelENS2_8DummyVecELm8EEEvRKNS_6TensorESA_lllENKUlvE1_clEvENKUlvE0_clEvEUllllllE_St5arrayIPcLm6EEEEviT0_T1_: ; @_ZN2at6native29vectorized_elementwise_kernelILi4EZZZNS0_12_GLOBAL__N_142_validate_compressed_sparse_indices_kernelILNS2_8CDimNameE1ENS2_18CUDAKernelLauncherENS2_14EmptyVecKernelENS2_8DummyVecELm8EEEvRKNS_6TensorESA_lllENKUlvE1_clEvENKUlvE0_clEvEUllllllE_St5arrayIPcLm6EEEEviT0_T1_
; %bb.0:
	s_clause 0x2
	s_load_b32 s2, s[0:1], 0x0
	s_load_b128 s[12:15], s[0:1], 0xd0
	s_load_b256 s[4:11], s[0:1], 0xb0
	s_bfe_u32 s3, ttmp6, 0x4000c
	s_and_b32 s16, ttmp6, 15
	s_add_co_i32 s3, s3, 1
	s_getreg_b32 s17, hwreg(HW_REG_IB_STS2, 6, 4)
	s_mul_i32 s3, ttmp9, s3
	s_or_b64 s[18:19], s[0:1], 8
	s_add_co_i32 s16, s16, s3
	s_cmp_eq_u32 s17, 0
	s_mov_b32 s40, 0
	s_wait_xcnt 0x0
	s_cselect_b32 s0, ttmp9, s16
	s_mov_b32 s17, 0
	s_lshl_b32 s16, s0, 10
	s_mov_b32 s0, -1
	s_get_pc_i64 s[20:21]
	s_add_nc_u64 s[20:21], s[20:21], .str.6@rel64+4
	s_wait_kmcnt 0x0
	s_sub_co_i32 s33, s2, s16
	s_delay_alu instid0(SALU_CYCLE_1)
	s_cmp_gt_i32 s33, 0x3ff
	s_cbranch_scc0 .LBB90_75
; %bb.1:
	s_ashr_i32 s17, s16, 31
	v_lshlrev_b32_e32 v1, 5, v0
	s_lshl_b64 s[22:23], s[16:17], 3
	s_cmp_lg_u64 s[20:21], 0
	s_add_nc_u64 s[0:1], s[6:7], s[22:23]
	s_mov_b32 s29, -1
	s_clause 0x1
	global_load_b128 v[38:41], v1, s[0:1]
	global_load_b128 v[42:45], v1, s[0:1] offset:16
	s_wait_xcnt 0x0
	s_load_b128 s[0:3], s[18:19], 0x0
	s_mov_b32 s17, 0
	s_mov_b32 s28, 0
	;; [unrolled: 1-line block ×4, first 2 shown]
                                        ; implicit-def: $sgpr42
                                        ; implicit-def: $sgpr26
                                        ; implicit-def: $sgpr41
                                        ; implicit-def: $sgpr24_sgpr25
                                        ; implicit-def: $vgpr18_vgpr19_vgpr20_vgpr21_vgpr22_vgpr23_vgpr24_vgpr25
                                        ; implicit-def: $vgpr2_vgpr3_vgpr4_vgpr5_vgpr6_vgpr7_vgpr8_vgpr9
                                        ; implicit-def: $vgpr10_vgpr11_vgpr12_vgpr13_vgpr14_vgpr15_vgpr16_vgpr17
                                        ; implicit-def: $vgpr34_vgpr35
                                        ; implicit-def: $vgpr26_vgpr27_vgpr28_vgpr29_vgpr30_vgpr31_vgpr32_vgpr33
	s_wait_loadcnt 0x1
	s_wait_kmcnt 0x0
	v_cmp_eq_u64_e32 vcc_lo, s[0:1], v[38:39]
	s_cselect_b32 s1, -1, 0
	s_mov_b32 s0, 0
	s_and_b32 s30, s1, vcc_lo
                                        ; implicit-def: $sgpr1
	s_delay_alu instid0(SALU_CYCLE_1)
	s_and_saveexec_b32 s43, s30
	s_cbranch_execz .LBB90_64
; %bb.2:
	s_add_nc_u64 s[0:1], s[8:9], s[22:23]
	s_get_pc_i64 s[24:25]
	s_add_nc_u64 s[24:25], s[24:25], .str.7@rel64+4
	s_clause 0x1
	global_load_b128 v[34:37], v1, s[0:1]
	global_load_b128 v[30:33], v1, s[0:1] offset:16
	s_wait_xcnt 0x0
	s_load_b64 s[0:1], s[18:19], 0x10
	s_cmp_lg_u64 s[24:25], 0
	s_mov_b32 s29, 0
	s_mov_b32 s30, 0
                                        ; implicit-def: $sgpr31
                                        ; implicit-def: $sgpr42
                                        ; implicit-def: $sgpr26
                                        ; implicit-def: $sgpr41
                                        ; implicit-def: $sgpr24_sgpr25
                                        ; implicit-def: $vgpr18_vgpr19_vgpr20_vgpr21_vgpr22_vgpr23_vgpr24_vgpr25
                                        ; implicit-def: $vgpr2_vgpr3_vgpr4_vgpr5_vgpr6_vgpr7_vgpr8_vgpr9
                                        ; implicit-def: $vgpr10_vgpr11_vgpr12_vgpr13_vgpr14_vgpr15_vgpr16_vgpr17
	s_wait_loadcnt 0x1
	s_wait_kmcnt 0x0
	v_cmp_eq_u64_e32 vcc_lo, s[0:1], v[34:35]
	s_cselect_b32 s1, -1, 0
	s_mov_b32 s0, -1
	s_and_b32 s1, s1, vcc_lo
	s_delay_alu instid0(SALU_CYCLE_1)
	s_and_saveexec_b32 s44, s1
	s_cbranch_execz .LBB90_63
; %bb.3:
	s_add_nc_u64 s[0:1], s[12:13], s[22:23]
	s_add_nc_u64 s[24:25], s[10:11], s[22:23]
	s_clause 0x3
	global_load_b128 v[2:5], v1, s[0:1]
	global_load_b128 v[10:13], v1, s[24:25]
	global_load_b128 v[14:17], v1, s[24:25] offset:16
	global_load_b128 v[6:9], v1, s[0:1] offset:16
	s_wait_xcnt 0x1
	s_get_pc_i64 s[24:25]
	s_add_nc_u64 s[24:25], s[24:25], .str.8@rel64+4
	s_wait_xcnt 0x0
	s_mov_b32 s1, -1
	s_cmp_lg_u64 s[24:25], 0
	s_mov_b32 s34, 0
	s_cselect_b32 s24, -1, 0
                                        ; implicit-def: $sgpr30
                                        ; implicit-def: $sgpr42
                                        ; implicit-def: $sgpr26
                                        ; implicit-def: $sgpr41
	s_wait_loadcnt 0x2
	v_sub_nc_u64_e32 v[18:19], v[2:3], v[10:11]
	s_delay_alu instid0(VALU_DEP_1) | instskip(SKIP_2) | instid1(SALU_CYCLE_1)
	v_cmp_le_i64_e32 vcc_lo, v[38:39], v[18:19]
	v_cmp_ge_i64_e64 s0, s[2:3], v[18:19]
                                        ; implicit-def: $vgpr18_vgpr19_vgpr20_vgpr21_vgpr22_vgpr23_vgpr24_vgpr25
	s_and_b32 s0, vcc_lo, s0
	s_and_b32 s0, s24, s0
                                        ; implicit-def: $sgpr24_sgpr25
	s_delay_alu instid0(SALU_CYCLE_1)
	s_and_saveexec_b32 s45, s0
	s_cbranch_execz .LBB90_62
; %bb.4:
	s_add_nc_u64 s[0:1], s[14:15], s[22:23]
	v_cmp_lt_i64_e32 vcc_lo, 0, v[34:35]
	s_clause 0x1
	global_load_b128 v[22:25], v1, s[0:1] offset:16
	global_load_b128 v[18:21], v1, s[0:1]
	s_clause 0x1
	s_load_b32 s41, s[18:19], 0x18
	s_load_b64 s[24:25], s[18:19], 0xa0
	v_mov_b64_e32 v[26:27], 0
	s_wait_kmcnt 0x0
	s_add_co_i32 s26, s41, -1
	s_delay_alu instid0(SALU_CYCLE_1) | instskip(SKIP_1) | instid1(SALU_CYCLE_1)
	s_cmp_gt_i32 s26, -1
	s_cselect_b32 s0, -1, 0
	s_and_b32 s46, vcc_lo, s0
	s_delay_alu instid0(SALU_CYCLE_1)
	s_and_saveexec_b32 s42, s46
	s_cbranch_execz .LBB90_11
; %bb.5:
	s_wait_loadcnt 0x0
	v_mul_u64_e32 v[28:29], v[18:19], v[34:35]
	s_ashr_i32 s27, s26, 31
	v_mov_b64_e32 v[26:27], 0
	s_lshl_b64 s[0:1], s[26:27], 3
	v_mov_b32_e32 v18, 0
	s_add_nc_u64 s[0:1], s[18:19], s[0:1]
	s_mov_b64 s[28:29], 0xffffffff
	s_add_nc_u64 s[30:31], s[0:1], 32
	s_mov_b32 s1, 0
	s_mov_b32 s27, s41
	s_branch .LBB90_7
.LBB90_6:                               ;   in Loop: Header=BB90_7 Depth=1
	s_or_b32 exec_lo, exec_lo, s0
	s_delay_alu instid0(VALU_DEP_1)
	v_mul_u64_e32 v[48:49], s[34:35], v[46:47]
	s_load_b64 s[34:35], s[30:31], 0x40
	s_add_co_i32 s27, s27, -1
	s_wait_xcnt 0x0
	s_add_nc_u64 s[30:31], s[30:31], -8
	s_cmp_eq_u32 s27, 0
	s_delay_alu instid0(VALU_DEP_1) | instskip(SKIP_1) | instid1(VALU_DEP_1)
	v_sub_nc_u64_e32 v[28:29], v[28:29], v[48:49]
	s_wait_kmcnt 0x0
	v_mad_nc_u64_u32 v[26:27], v28, s34, v[26:27]
	s_delay_alu instid0(VALU_DEP_1) | instskip(NEXT) | instid1(VALU_DEP_1)
	v_mad_u32 v19, v29, s34, v27
	v_mad_u32 v27, v28, s35, v19
	v_mov_b64_e32 v[28:29], v[46:47]
	s_cbranch_scc1 .LBB90_11
.LBB90_7:                               ; =>This Inner Loop Header: Depth=1
	s_load_b64 s[34:35], s[30:31], 0x0
                                        ; implicit-def: $vgpr46_vgpr47
	s_mov_b32 s0, exec_lo
	s_wait_kmcnt 0x0
	s_delay_alu instid0(VALU_DEP_1) | instskip(NEXT) | instid1(VALU_DEP_1)
	v_or_b32_e32 v19, s35, v29
	v_cmpx_ne_u64_e32 0, v[18:19]
	s_xor_b32 s47, exec_lo, s0
	s_cbranch_execz .LBB90_9
; %bb.8:                                ;   in Loop: Header=BB90_7 Depth=1
	s_ashr_i32 s36, s35, 31
	v_dual_mov_b32 v51, v18 :: v_dual_ashrrev_i32 v46, 31, v29
	s_mov_b32 s37, s36
	v_mov_b32_e32 v59, v18
	s_add_nc_u64 s[38:39], s[34:35], s[36:37]
	s_delay_alu instid0(VALU_DEP_2) | instskip(SKIP_1) | instid1(SALU_CYCLE_1)
	v_mov_b32_e32 v47, v46
	s_xor_b64 s[38:39], s[38:39], s[36:37]
	s_cvt_f32_u32 s0, s38
	s_cvt_f32_u32 s37, s39
	s_sub_nc_u64 s[50:51], 0, s[38:39]
	v_add_nc_u64_e32 v[48:49], v[28:29], v[46:47]
	v_mov_b32_e32 v55, v18
	s_fmamk_f32 s0, s37, 0x4f800000, s0
	s_delay_alu instid0(SALU_CYCLE_3) | instskip(NEXT) | instid1(VALU_DEP_2)
	v_s_rcp_f32 s0, s0
	v_xor_b32_e32 v50, v48, v46
	s_delay_alu instid0(VALU_DEP_3) | instskip(NEXT) | instid1(TRANS32_DEP_1)
	v_xor_b32_e32 v54, v49, v46
	s_mul_f32 s0, s0, 0x5f7ffffc
	s_delay_alu instid0(SALU_CYCLE_3) | instskip(NEXT) | instid1(SALU_CYCLE_3)
	s_mul_f32 s37, s0, 0x2f800000
	s_trunc_f32 s37, s37
	s_delay_alu instid0(SALU_CYCLE_3) | instskip(SKIP_1) | instid1(SALU_CYCLE_2)
	s_fmamk_f32 s0, s37, 0xcf800000, s0
	s_cvt_u32_f32 s49, s37
	s_cvt_u32_f32 s48, s0
	s_delay_alu instid0(SALU_CYCLE_3) | instskip(NEXT) | instid1(SALU_CYCLE_1)
	s_mul_u64 s[52:53], s[50:51], s[48:49]
	s_mul_hi_u32 s55, s48, s53
	s_mul_i32 s54, s48, s53
	s_mul_hi_u32 s0, s48, s52
	s_mul_i32 s56, s49, s52
	s_add_nc_u64 s[54:55], s[0:1], s[54:55]
	s_mul_hi_u32 s37, s49, s52
	s_mul_hi_u32 s57, s49, s53
	s_add_co_u32 s0, s54, s56
	s_add_co_ci_u32 s0, s55, s37
	s_mul_i32 s52, s49, s53
	s_add_co_ci_u32 s53, s57, 0
	s_delay_alu instid0(SALU_CYCLE_1) | instskip(NEXT) | instid1(SALU_CYCLE_1)
	s_add_nc_u64 s[52:53], s[0:1], s[52:53]
	s_add_co_u32 s48, s48, s52
	s_cselect_b32 s0, -1, 0
	s_delay_alu instid0(SALU_CYCLE_1) | instskip(SKIP_1) | instid1(SALU_CYCLE_1)
	s_cmp_lg_u32 s0, 0
	s_add_co_ci_u32 s49, s49, s53
	s_mul_u64 s[50:51], s[50:51], s[48:49]
	s_delay_alu instid0(SALU_CYCLE_1)
	s_mul_hi_u32 s53, s48, s51
	s_mul_i32 s52, s48, s51
	s_mul_hi_u32 s0, s48, s50
	s_mul_i32 s54, s49, s50
	s_add_nc_u64 s[52:53], s[0:1], s[52:53]
	s_mul_hi_u32 s37, s49, s50
	s_mul_hi_u32 s55, s49, s51
	s_add_co_u32 s0, s52, s54
	s_add_co_ci_u32 s0, s53, s37
	s_mul_i32 s50, s49, s51
	s_add_co_ci_u32 s51, s55, 0
	s_delay_alu instid0(SALU_CYCLE_1) | instskip(NEXT) | instid1(SALU_CYCLE_1)
	s_add_nc_u64 s[50:51], s[0:1], s[50:51]
	s_add_co_u32 s48, s48, s50
	s_cselect_b32 s0, -1, 0
	v_mul_hi_u32 v58, v50, s48
	s_cmp_lg_u32 s0, 0
	s_add_co_ci_u32 s0, s49, s51
	s_and_b64 s[50:51], s[48:49], s[28:29]
	v_mul_u64_e32 v[52:53], s[0:1], v[50:51]
	v_mul_u64_e32 v[48:49], s[50:51], v[54:55]
	v_mul_u64_e32 v[56:57], s[0:1], v[54:55]
	s_delay_alu instid0(VALU_DEP_3) | instskip(NEXT) | instid1(VALU_DEP_1)
	v_add_nc_u64_e32 v[52:53], v[58:59], v[52:53]
	v_add_co_u32 v19, vcc_lo, v52, v48
	s_delay_alu instid0(VALU_DEP_2) | instskip(NEXT) | instid1(VALU_DEP_4)
	v_add_co_ci_u32_e32 v58, vcc_lo, v53, v49, vcc_lo
	v_add_co_ci_u32_e32 v57, vcc_lo, 0, v57, vcc_lo
	s_delay_alu instid0(VALU_DEP_1) | instskip(NEXT) | instid1(VALU_DEP_1)
	v_add_nc_u64_e32 v[48:49], v[58:59], v[56:57]
	v_mul_u64_e32 v[52:53], s[38:39], v[48:49]
	s_delay_alu instid0(VALU_DEP_1) | instskip(NEXT) | instid1(VALU_DEP_2)
	v_sub_nc_u32_e32 v19, v54, v53
	v_sub_co_u32 v47, vcc_lo, v50, v52
	s_delay_alu instid0(VALU_DEP_1) | instskip(NEXT) | instid1(VALU_DEP_3)
	v_sub_co_ci_u32_e64 v54, null, v54, v53, vcc_lo
	v_subrev_co_ci_u32_e64 v19, null, s39, v19, vcc_lo
	s_delay_alu instid0(VALU_DEP_3) | instskip(SKIP_1) | instid1(VALU_DEP_3)
	v_sub_co_u32 v50, s0, v47, s38
	v_add_nc_u64_e32 v[52:53], 1, v[48:49]
	v_subrev_co_ci_u32_e64 v19, null, 0, v19, s0
	s_delay_alu instid0(VALU_DEP_3) | instskip(SKIP_1) | instid1(VALU_DEP_3)
	v_cmp_le_u32_e32 vcc_lo, s38, v50
	v_cndmask_b32_e64 v50, 0, -1, vcc_lo
	v_cmp_le_u32_e32 vcc_lo, s39, v19
	v_cndmask_b32_e64 v51, 0, -1, vcc_lo
	;; [unrolled: 2-line block ×4, first 2 shown]
	v_cmp_eq_u32_e32 vcc_lo, s39, v19
	v_cndmask_b32_e32 v19, v51, v50, vcc_lo
	v_cmp_eq_u32_e32 vcc_lo, s39, v54
	v_add_nc_u64_e32 v[50:51], 2, v[48:49]
	v_cndmask_b32_e32 v47, v55, v47, vcc_lo
	s_delay_alu instid0(VALU_DEP_4) | instskip(NEXT) | instid1(VALU_DEP_2)
	v_cmp_ne_u32_e32 vcc_lo, 0, v19
	v_cmp_ne_u32_e64 s0, 0, v47
	s_delay_alu instid0(VALU_DEP_4) | instskip(NEXT) | instid1(VALU_DEP_1)
	v_dual_cndmask_b32 v19, v53, v51, vcc_lo :: v_dual_cndmask_b32 v47, v52, v50, vcc_lo
	v_dual_cndmask_b32 v19, v49, v19, s0 :: v_dual_bitop2_b32 v46, s36, v46 bitop3:0x14
	s_delay_alu instid0(VALU_DEP_1) | instskip(NEXT) | instid1(VALU_DEP_2)
	v_dual_cndmask_b32 v48, v48, v47, s0 :: v_dual_mov_b32 v47, v46
	v_xor_b32_e32 v49, v19, v46
	s_delay_alu instid0(VALU_DEP_2) | instskip(NEXT) | instid1(VALU_DEP_1)
	v_xor_b32_e32 v48, v48, v46
	v_sub_nc_u64_e32 v[46:47], v[48:49], v[46:47]
.LBB90_9:                               ;   in Loop: Header=BB90_7 Depth=1
	s_and_not1_saveexec_b32 s0, s47
	s_cbranch_execz .LBB90_6
; %bb.10:                               ;   in Loop: Header=BB90_7 Depth=1
	v_cvt_f32_u32_e32 v19, s34
	s_sub_co_i32 s36, 0, s34
	s_delay_alu instid0(VALU_DEP_1) | instskip(SKIP_1) | instid1(TRANS32_DEP_1)
	v_rcp_iflag_f32_e32 v19, v19
	v_nop
	v_mul_f32_e32 v19, 0x4f7ffffe, v19
	s_delay_alu instid0(VALU_DEP_1) | instskip(NEXT) | instid1(VALU_DEP_1)
	v_cvt_u32_f32_e32 v19, v19
	v_mul_lo_u32 v46, s36, v19
	s_delay_alu instid0(VALU_DEP_1) | instskip(NEXT) | instid1(VALU_DEP_1)
	v_mul_hi_u32 v46, v19, v46
	v_add_nc_u32_e32 v19, v19, v46
	s_delay_alu instid0(VALU_DEP_1) | instskip(NEXT) | instid1(VALU_DEP_1)
	v_mul_hi_u32 v19, v28, v19
	v_mul_lo_u32 v46, v19, s34
	s_delay_alu instid0(VALU_DEP_1) | instskip(NEXT) | instid1(VALU_DEP_1)
	v_dual_add_nc_u32 v47, 1, v19 :: v_dual_sub_nc_u32 v46, v28, v46
	v_subrev_nc_u32_e32 v48, s34, v46
	v_cmp_le_u32_e32 vcc_lo, s34, v46
	s_delay_alu instid0(VALU_DEP_2) | instskip(NEXT) | instid1(VALU_DEP_1)
	v_dual_cndmask_b32 v46, v46, v48 :: v_dual_cndmask_b32 v19, v19, v47
	v_cmp_le_u32_e32 vcc_lo, s34, v46
	s_delay_alu instid0(VALU_DEP_2) | instskip(NEXT) | instid1(VALU_DEP_1)
	v_add_nc_u32_e32 v47, 1, v19
	v_dual_cndmask_b32 v46, v19, v47 :: v_dual_mov_b32 v47, v18
	s_branch .LBB90_6
.LBB90_11:
	s_or_b32 exec_lo, exec_lo, s42
	s_get_pc_i64 s[0:1]
	s_add_nc_u64 s[0:1], s[0:1], .str.9@rel64+4
	s_mov_b32 s27, -1
	s_cmp_lg_u64 s[0:1], 0
	s_mov_b32 s0, 0
	s_cselect_b32 s42, -1, 0
	s_mov_b32 s47, 0
	s_mov_b32 s1, exec_lo
	v_cmpx_gt_i64_e64 v[2:3], v[10:11]
	s_cbranch_execz .LBB90_17
; %bb.12:
	s_wait_loadcnt 0x0
	v_lshlrev_b64_e32 v[18:19], 3, v[26:27]
	s_mov_b32 s27, 0
	s_xor_b32 s29, s42, -1
                                        ; implicit-def: $sgpr28
                                        ; implicit-def: $sgpr31
                                        ; implicit-def: $sgpr30
	s_delay_alu instid0(VALU_DEP_1) | instskip(SKIP_1) | instid1(VALU_DEP_2)
	v_lshl_add_u64 v[10:11], v[10:11], 3, v[18:19]
	v_add_nc_u64_e32 v[18:19], s[24:25], v[18:19]
	v_add_nc_u64_e32 v[10:11], s[24:25], v[10:11]
	s_delay_alu instid0(VALU_DEP_2) | instskip(NEXT) | instid1(VALU_DEP_2)
	v_lshl_add_u64 v[2:3], v[2:3], 3, v[18:19]
	v_add_nc_u64_e32 v[10:11], 8, v[10:11]
	s_branch .LBB90_14
.LBB90_13:                              ;   in Loop: Header=BB90_14 Depth=1
	s_or_b32 exec_lo, exec_lo, s34
	s_delay_alu instid0(SALU_CYCLE_1) | instskip(NEXT) | instid1(SALU_CYCLE_1)
	s_and_b32 s34, exec_lo, s31
	s_or_b32 s27, s34, s27
	s_and_not1_b32 s28, s28, exec_lo
	s_and_b32 s34, s30, exec_lo
	s_delay_alu instid0(SALU_CYCLE_1)
	s_or_b32 s28, s28, s34
	s_and_not1_b32 exec_lo, exec_lo, s27
	s_cbranch_execz .LBB90_16
.LBB90_14:                              ; =>This Inner Loop Header: Depth=1
	s_or_b32 s30, s30, exec_lo
	s_or_b32 s31, s31, exec_lo
	s_mov_b32 s34, exec_lo
	s_delay_alu instid0(VALU_DEP_1)
	v_cmpx_lt_u64_e64 v[10:11], v[2:3]
	s_cbranch_execz .LBB90_13
; %bb.15:                               ;   in Loop: Header=BB90_14 Depth=1
	global_load_b128 v[26:29], v[10:11], off offset:-8
	s_wait_xcnt 0x0
	v_add_nc_u64_e32 v[10:11], 8, v[10:11]
	s_and_not1_b32 s31, s31, exec_lo
	s_and_not1_b32 s30, s30, exec_lo
	s_wait_loadcnt 0x0
	v_cmp_ge_i64_e32 vcc_lo, v[26:27], v[28:29]
	s_or_b32 s35, s29, vcc_lo
	s_delay_alu instid0(SALU_CYCLE_1) | instskip(NEXT) | instid1(SALU_CYCLE_1)
	s_and_b32 s35, s35, exec_lo
	s_or_b32 s31, s31, s35
	s_branch .LBB90_13
.LBB90_16:
	s_or_b32 exec_lo, exec_lo, s27
	s_delay_alu instid0(SALU_CYCLE_1)
	s_mov_b32 s47, exec_lo
	s_or_not1_b32 s27, s28, exec_lo
.LBB90_17:
	s_or_b32 exec_lo, exec_lo, s1
	s_mov_b32 s28, 0
	s_mov_b32 s29, 0
	;; [unrolled: 1-line block ×3, first 2 shown]
	s_and_saveexec_b32 s48, s27
	s_cbranch_execz .LBB90_61
; %bb.18:
	s_mov_b32 s0, -1
	s_mov_b32 s1, 0
	s_mov_b32 s27, 0
	;; [unrolled: 1-line block ×3, first 2 shown]
	s_mov_b32 s49, exec_lo
	v_cmpx_eq_u64_e64 v[40:41], v[38:39]
	s_cbranch_execz .LBB90_60
; %bb.19:
	s_mov_b32 s1, -1
	s_mov_b32 s0, 0
	s_mov_b32 s50, exec_lo
	v_cmpx_eq_u64_e64 v[36:37], v[34:35]
	s_cbranch_execz .LBB90_59
; %bb.20:
	v_sub_nc_u64_e32 v[2:3], v[4:5], v[12:13]
	s_delay_alu instid0(VALU_DEP_1) | instskip(SKIP_2) | instid1(SALU_CYCLE_1)
	v_cmp_le_i64_e32 vcc_lo, v[38:39], v[2:3]
	v_cmp_ge_i64_e64 s0, s[2:3], v[2:3]
	s_and_b32 s0, vcc_lo, s0
	s_and_saveexec_b32 s51, s0
	s_cbranch_execz .LBB90_58
; %bb.21:
	v_mov_b64_e32 v[2:3], 0
	s_and_saveexec_b32 s52, s46
	s_cbranch_execz .LBB90_28
; %bb.22:
	s_wait_loadcnt 0x0
	v_mul_u64_e32 v[18:19], v[20:21], v[34:35]
	s_ashr_i32 s27, s26, 31
	v_mov_b64_e32 v[2:3], 0
	s_lshl_b64 s[0:1], s[26:27], 3
	v_mov_b32_e32 v10, 0
	s_add_nc_u64 s[0:1], s[18:19], s[0:1]
	s_mov_b64 s[28:29], 0xffffffff
	s_add_nc_u64 s[30:31], s[0:1], 32
	s_mov_b32 s1, 0
	s_mov_b32 s27, s41
	s_branch .LBB90_24
.LBB90_23:                              ;   in Loop: Header=BB90_24 Depth=1
	s_or_b32 exec_lo, exec_lo, s0
	s_delay_alu instid0(VALU_DEP_1)
	v_mul_u64_e32 v[26:27], s[34:35], v[20:21]
	s_load_b64 s[34:35], s[30:31], 0x40
	s_add_co_i32 s27, s27, -1
	s_wait_xcnt 0x0
	s_add_nc_u64 s[30:31], s[30:31], -8
	s_cmp_lg_u32 s27, 0
	s_delay_alu instid0(VALU_DEP_1) | instskip(SKIP_1) | instid1(VALU_DEP_1)
	v_sub_nc_u64_e32 v[18:19], v[18:19], v[26:27]
	s_wait_kmcnt 0x0
	v_mad_nc_u64_u32 v[2:3], v18, s34, v[2:3]
	s_delay_alu instid0(VALU_DEP_1) | instskip(NEXT) | instid1(VALU_DEP_1)
	v_mad_u32 v3, v19, s34, v3
	v_mad_u32 v3, v18, s35, v3
	v_mov_b64_e32 v[18:19], v[20:21]
	s_cbranch_scc0 .LBB90_28
.LBB90_24:                              ; =>This Inner Loop Header: Depth=1
	s_load_b64 s[34:35], s[30:31], 0x0
                                        ; implicit-def: $vgpr20_vgpr21
	s_mov_b32 s0, exec_lo
	s_wait_kmcnt 0x0
	s_delay_alu instid0(VALU_DEP_1) | instskip(NEXT) | instid1(VALU_DEP_1)
	v_or_b32_e32 v11, s35, v19
	v_cmpx_ne_u64_e32 0, v[10:11]
	s_xor_b32 s53, exec_lo, s0
	s_cbranch_execz .LBB90_26
; %bb.25:                               ;   in Loop: Header=BB90_24 Depth=1
	s_ashr_i32 s36, s35, 31
	v_dual_mov_b32 v29, v10 :: v_dual_ashrrev_i32 v20, 31, v19
	s_mov_b32 s37, s36
	s_delay_alu instid0(SALU_CYCLE_1) | instskip(NEXT) | instid1(VALU_DEP_1)
	s_add_nc_u64 s[38:39], s[34:35], s[36:37]
	v_mov_b32_e32 v21, v20
	s_xor_b64 s[38:39], s[38:39], s[36:37]
	s_delay_alu instid0(SALU_CYCLE_1)
	s_cvt_f32_u32 s0, s38
	s_cvt_f32_u32 s37, s39
	s_sub_nc_u64 s[56:57], 0, s[38:39]
	v_add_nc_u64_e32 v[26:27], v[18:19], v[20:21]
	v_mov_b32_e32 v41, v10
	s_fmamk_f32 s0, s37, 0x4f800000, s0
	s_delay_alu instid0(SALU_CYCLE_3) | instskip(NEXT) | instid1(VALU_DEP_2)
	v_s_rcp_f32 s0, s0
	v_xor_b32_e32 v28, v26, v20
	s_delay_alu instid0(VALU_DEP_3) | instskip(SKIP_1) | instid1(TRANS32_DEP_1)
	v_dual_mov_b32 v49, v10 :: v_dual_bitop2_b32 v40, v27, v20 bitop3:0x14
	v_xor_b32_e32 v20, s36, v20
	s_mul_f32 s0, s0, 0x5f7ffffc
	s_delay_alu instid0(SALU_CYCLE_3) | instskip(NEXT) | instid1(SALU_CYCLE_3)
	s_mul_f32 s37, s0, 0x2f800000
	s_trunc_f32 s37, s37
	s_delay_alu instid0(SALU_CYCLE_3) | instskip(SKIP_1) | instid1(SALU_CYCLE_2)
	s_fmamk_f32 s0, s37, 0xcf800000, s0
	s_cvt_u32_f32 s55, s37
	s_cvt_u32_f32 s54, s0
	s_delay_alu instid0(SALU_CYCLE_3) | instskip(NEXT) | instid1(SALU_CYCLE_1)
	s_mul_u64 s[58:59], s[56:57], s[54:55]
	s_mul_hi_u32 s61, s54, s59
	s_mul_i32 s60, s54, s59
	s_mul_hi_u32 s0, s54, s58
	s_mul_i32 s62, s55, s58
	s_add_nc_u64 s[60:61], s[0:1], s[60:61]
	s_mul_hi_u32 s37, s55, s58
	s_mul_hi_u32 s63, s55, s59
	s_add_co_u32 s0, s60, s62
	s_add_co_ci_u32 s0, s61, s37
	s_mul_i32 s58, s55, s59
	s_add_co_ci_u32 s59, s63, 0
	s_delay_alu instid0(SALU_CYCLE_1) | instskip(NEXT) | instid1(SALU_CYCLE_1)
	s_add_nc_u64 s[58:59], s[0:1], s[58:59]
	s_add_co_u32 s54, s54, s58
	s_cselect_b32 s0, -1, 0
	s_delay_alu instid0(SALU_CYCLE_1) | instskip(SKIP_1) | instid1(SALU_CYCLE_1)
	s_cmp_lg_u32 s0, 0
	s_add_co_ci_u32 s55, s55, s59
	s_mul_u64 s[56:57], s[56:57], s[54:55]
	s_delay_alu instid0(SALU_CYCLE_1)
	s_mul_hi_u32 s59, s54, s57
	s_mul_i32 s58, s54, s57
	s_mul_hi_u32 s0, s54, s56
	s_mul_i32 s60, s55, s56
	s_add_nc_u64 s[58:59], s[0:1], s[58:59]
	s_mul_hi_u32 s37, s55, s56
	s_mul_hi_u32 s61, s55, s57
	s_add_co_u32 s0, s58, s60
	s_add_co_ci_u32 s0, s59, s37
	s_mul_i32 s56, s55, s57
	s_add_co_ci_u32 s57, s61, 0
	s_delay_alu instid0(SALU_CYCLE_1) | instskip(NEXT) | instid1(SALU_CYCLE_1)
	s_add_nc_u64 s[56:57], s[0:1], s[56:57]
	s_add_co_u32 s54, s54, s56
	s_cselect_b32 s0, -1, 0
	v_mul_hi_u32 v48, v28, s54
	s_cmp_lg_u32 s0, 0
	s_add_co_ci_u32 s0, s55, s57
	s_and_b64 s[56:57], s[54:55], s[28:29]
	v_mul_u64_e32 v[36:37], s[0:1], v[28:29]
	v_mul_u64_e32 v[26:27], s[56:57], v[40:41]
	;; [unrolled: 1-line block ×3, first 2 shown]
	s_delay_alu instid0(VALU_DEP_3) | instskip(NEXT) | instid1(VALU_DEP_1)
	v_add_nc_u64_e32 v[36:37], v[48:49], v[36:37]
	v_add_co_u32 v11, vcc_lo, v36, v26
	s_delay_alu instid0(VALU_DEP_2) | instskip(NEXT) | instid1(VALU_DEP_4)
	v_add_co_ci_u32_e32 v48, vcc_lo, v37, v27, vcc_lo
	v_add_co_ci_u32_e32 v47, vcc_lo, 0, v47, vcc_lo
	s_delay_alu instid0(VALU_DEP_1) | instskip(NEXT) | instid1(VALU_DEP_1)
	v_add_nc_u64_e32 v[26:27], v[48:49], v[46:47]
	v_mul_u64_e32 v[36:37], s[38:39], v[26:27]
	s_delay_alu instid0(VALU_DEP_1) | instskip(NEXT) | instid1(VALU_DEP_2)
	v_sub_nc_u32_e32 v11, v40, v37
	v_sub_co_u32 v21, vcc_lo, v28, v36
	s_delay_alu instid0(VALU_DEP_1) | instskip(NEXT) | instid1(VALU_DEP_3)
	v_sub_co_ci_u32_e64 v40, null, v40, v37, vcc_lo
	v_subrev_co_ci_u32_e64 v11, null, s39, v11, vcc_lo
	s_delay_alu instid0(VALU_DEP_3) | instskip(SKIP_1) | instid1(VALU_DEP_3)
	v_sub_co_u32 v28, s0, v21, s38
	v_add_nc_u64_e32 v[36:37], 1, v[26:27]
	v_subrev_co_ci_u32_e64 v11, null, 0, v11, s0
	s_delay_alu instid0(VALU_DEP_3) | instskip(SKIP_1) | instid1(VALU_DEP_3)
	v_cmp_le_u32_e32 vcc_lo, s38, v28
	v_cndmask_b32_e64 v28, 0, -1, vcc_lo
	v_cmp_le_u32_e32 vcc_lo, s39, v11
	v_cndmask_b32_e64 v29, 0, -1, vcc_lo
	;; [unrolled: 2-line block ×4, first 2 shown]
	v_cmp_eq_u32_e32 vcc_lo, s39, v11
	v_cndmask_b32_e32 v11, v29, v28, vcc_lo
	v_cmp_eq_u32_e32 vcc_lo, s39, v40
	v_add_nc_u64_e32 v[28:29], 2, v[26:27]
	v_cndmask_b32_e32 v21, v41, v21, vcc_lo
	s_delay_alu instid0(VALU_DEP_4) | instskip(NEXT) | instid1(VALU_DEP_2)
	v_cmp_ne_u32_e32 vcc_lo, 0, v11
	v_cmp_ne_u32_e64 s0, 0, v21
	s_delay_alu instid0(VALU_DEP_4) | instskip(NEXT) | instid1(VALU_DEP_1)
	v_dual_cndmask_b32 v11, v37, v29, vcc_lo :: v_dual_cndmask_b32 v21, v36, v28, vcc_lo
	v_dual_cndmask_b32 v26, v26, v21, s0 :: v_dual_mov_b32 v21, v20
	s_delay_alu instid0(VALU_DEP_1) | instskip(NEXT) | instid1(VALU_DEP_1)
	v_dual_cndmask_b32 v11, v27, v11, s0 :: v_dual_bitop2_b32 v26, v26, v20 bitop3:0x14
	v_xor_b32_e32 v27, v11, v20
	s_delay_alu instid0(VALU_DEP_1)
	v_sub_nc_u64_e32 v[20:21], v[26:27], v[20:21]
.LBB90_26:                              ;   in Loop: Header=BB90_24 Depth=1
	s_and_not1_saveexec_b32 s0, s53
	s_cbranch_execz .LBB90_23
; %bb.27:                               ;   in Loop: Header=BB90_24 Depth=1
	v_cvt_f32_u32_e32 v11, s34
	s_sub_co_i32 s36, 0, s34
	s_delay_alu instid0(VALU_DEP_1) | instskip(SKIP_1) | instid1(TRANS32_DEP_1)
	v_rcp_iflag_f32_e32 v11, v11
	v_nop
	v_mul_f32_e32 v11, 0x4f7ffffe, v11
	s_delay_alu instid0(VALU_DEP_1) | instskip(NEXT) | instid1(VALU_DEP_1)
	v_cvt_u32_f32_e32 v11, v11
	v_mul_lo_u32 v20, s36, v11
	s_delay_alu instid0(VALU_DEP_1) | instskip(NEXT) | instid1(VALU_DEP_1)
	v_mul_hi_u32 v20, v11, v20
	v_add_nc_u32_e32 v11, v11, v20
	s_delay_alu instid0(VALU_DEP_1) | instskip(NEXT) | instid1(VALU_DEP_1)
	v_mul_hi_u32 v11, v18, v11
	v_mul_lo_u32 v20, v11, s34
	s_delay_alu instid0(VALU_DEP_1) | instskip(NEXT) | instid1(VALU_DEP_1)
	v_dual_add_nc_u32 v21, 1, v11 :: v_dual_sub_nc_u32 v20, v18, v20
	v_subrev_nc_u32_e32 v26, s34, v20
	v_cmp_le_u32_e32 vcc_lo, s34, v20
	s_delay_alu instid0(VALU_DEP_2) | instskip(NEXT) | instid1(VALU_DEP_1)
	v_dual_cndmask_b32 v20, v20, v26 :: v_dual_cndmask_b32 v11, v11, v21
	v_cmp_le_u32_e32 vcc_lo, s34, v20
	s_delay_alu instid0(VALU_DEP_2) | instskip(NEXT) | instid1(VALU_DEP_1)
	v_add_nc_u32_e32 v21, 1, v11
	v_dual_cndmask_b32 v20, v11, v21 :: v_dual_mov_b32 v21, v10
	s_branch .LBB90_23
.LBB90_28:
	s_or_b32 exec_lo, exec_lo, s52
	s_mov_b32 s30, -1
	s_mov_b32 s0, 0
	s_mov_b32 s52, 0
	s_mov_b32 s1, exec_lo
	v_cmpx_gt_i64_e64 v[4:5], v[12:13]
	s_cbranch_execz .LBB90_34
; %bb.29:
	s_delay_alu instid0(VALU_DEP_2) | instskip(SKIP_2) | instid1(VALU_DEP_1)
	v_lshlrev_b64_e32 v[2:3], 3, v[2:3]
	s_mov_b32 s27, 0
	s_xor_b32 s29, s42, -1
                                        ; implicit-def: $sgpr28
                                        ; implicit-def: $sgpr31
                                        ; implicit-def: $sgpr30
	v_lshl_add_u64 v[10:11], v[12:13], 3, v[2:3]
	v_add_nc_u64_e32 v[12:13], s[24:25], v[2:3]
	s_delay_alu instid0(VALU_DEP_2) | instskip(NEXT) | instid1(VALU_DEP_2)
	v_add_nc_u64_e32 v[10:11], s[24:25], v[10:11]
	v_lshl_add_u64 v[4:5], v[4:5], 3, v[12:13]
	s_delay_alu instid0(VALU_DEP_2)
	v_add_nc_u64_e32 v[2:3], 8, v[10:11]
	s_branch .LBB90_31
.LBB90_30:                              ;   in Loop: Header=BB90_31 Depth=1
	s_or_b32 exec_lo, exec_lo, s34
	s_delay_alu instid0(SALU_CYCLE_1) | instskip(NEXT) | instid1(SALU_CYCLE_1)
	s_and_b32 s34, exec_lo, s31
	s_or_b32 s27, s34, s27
	s_and_not1_b32 s28, s28, exec_lo
	s_and_b32 s34, s30, exec_lo
	s_delay_alu instid0(SALU_CYCLE_1)
	s_or_b32 s28, s28, s34
	s_and_not1_b32 exec_lo, exec_lo, s27
	s_cbranch_execz .LBB90_33
.LBB90_31:                              ; =>This Inner Loop Header: Depth=1
	s_or_b32 s30, s30, exec_lo
	s_or_b32 s31, s31, exec_lo
	s_mov_b32 s34, exec_lo
	s_delay_alu instid0(VALU_DEP_1)
	v_cmpx_lt_u64_e64 v[2:3], v[4:5]
	s_cbranch_execz .LBB90_30
; %bb.32:                               ;   in Loop: Header=BB90_31 Depth=1
	global_load_b128 v[10:13], v[2:3], off offset:-8
	s_and_not1_b32 s31, s31, exec_lo
	s_wait_xcnt 0x0
	v_add_nc_u64_e32 v[2:3], 8, v[2:3]
	s_and_not1_b32 s30, s30, exec_lo
	s_wait_loadcnt 0x0
	v_cmp_ge_i64_e32 vcc_lo, v[10:11], v[12:13]
	s_or_b32 s35, s29, vcc_lo
	s_delay_alu instid0(SALU_CYCLE_1) | instskip(NEXT) | instid1(SALU_CYCLE_1)
	s_and_b32 s35, s35, exec_lo
	s_or_b32 s31, s31, s35
	s_branch .LBB90_30
.LBB90_33:
	s_or_b32 exec_lo, exec_lo, s27
	s_delay_alu instid0(SALU_CYCLE_1)
	s_mov_b32 s52, exec_lo
	s_or_not1_b32 s30, s28, exec_lo
.LBB90_34:
	s_or_b32 exec_lo, exec_lo, s1
	s_mov_b32 s27, 0
	s_mov_b32 s28, 0
	;; [unrolled: 1-line block ×3, first 2 shown]
	s_and_saveexec_b32 s53, s30
	s_cbranch_execz .LBB90_57
; %bb.35:
	s_mov_b32 s0, -1
	s_mov_b32 s1, 0
	s_mov_b32 s30, 0
	s_mov_b32 s54, exec_lo
	v_cmpx_eq_u64_e64 v[42:43], v[38:39]
	s_cbranch_execz .LBB90_56
; %bb.36:
	s_mov_b32 s1, -1
	s_mov_b32 s0, 0
	s_mov_b32 s55, exec_lo
	v_cmpx_eq_u64_e64 v[30:31], v[34:35]
	s_cbranch_execz .LBB90_55
; %bb.37:
	s_wait_loadcnt 0x2
	v_sub_nc_u64_e32 v[2:3], v[6:7], v[14:15]
	s_delay_alu instid0(VALU_DEP_1) | instskip(SKIP_2) | instid1(SALU_CYCLE_1)
	v_cmp_le_i64_e32 vcc_lo, v[38:39], v[2:3]
	v_cmp_ge_i64_e64 s0, s[2:3], v[2:3]
	s_and_b32 s0, vcc_lo, s0
	s_and_saveexec_b32 s56, s0
	s_cbranch_execz .LBB90_54
; %bb.38:
	v_mov_b64_e32 v[2:3], 0
	s_and_saveexec_b32 s57, s46
	s_cbranch_execz .LBB90_45
; %bb.39:
	s_wait_loadcnt 0x1
	v_mul_u64_e32 v[10:11], v[22:23], v[34:35]
	s_ashr_i32 s27, s26, 31
	v_mov_b64_e32 v[2:3], 0
	s_lshl_b64 s[0:1], s[26:27], 3
	v_mov_b32_e32 v4, 0
	s_add_nc_u64 s[0:1], s[18:19], s[0:1]
	s_mov_b64 s[28:29], 0xffffffff
	s_add_nc_u64 s[30:31], s[0:1], 32
	s_mov_b32 s1, 0
	s_mov_b32 s27, s41
	s_branch .LBB90_41
.LBB90_40:                              ;   in Loop: Header=BB90_41 Depth=1
	s_or_b32 exec_lo, exec_lo, s0
	s_wait_loadcnt 0x0
	s_delay_alu instid0(VALU_DEP_1)
	v_mul_u64_e32 v[18:19], s[34:35], v[12:13]
	s_load_b64 s[34:35], s[30:31], 0x40
	s_add_co_i32 s27, s27, -1
	s_wait_xcnt 0x0
	s_add_nc_u64 s[30:31], s[30:31], -8
	s_cmp_lg_u32 s27, 0
	s_delay_alu instid0(VALU_DEP_1) | instskip(SKIP_1) | instid1(VALU_DEP_1)
	v_sub_nc_u64_e32 v[10:11], v[10:11], v[18:19]
	s_wait_kmcnt 0x0
	v_mad_nc_u64_u32 v[2:3], v10, s34, v[2:3]
	s_delay_alu instid0(VALU_DEP_1) | instskip(NEXT) | instid1(VALU_DEP_1)
	v_mad_u32 v3, v11, s34, v3
	v_mad_u32 v3, v10, s35, v3
	v_mov_b64_e32 v[10:11], v[12:13]
	s_cbranch_scc0 .LBB90_45
.LBB90_41:                              ; =>This Inner Loop Header: Depth=1
	s_load_b64 s[34:35], s[30:31], 0x0
                                        ; implicit-def: $vgpr12_vgpr13
	s_mov_b32 s0, exec_lo
	s_wait_kmcnt 0x0
	s_delay_alu instid0(VALU_DEP_1) | instskip(NEXT) | instid1(VALU_DEP_1)
	v_or_b32_e32 v5, s35, v11
	v_cmpx_ne_u64_e32 0, v[4:5]
	s_xor_b32 s58, exec_lo, s0
	s_cbranch_execz .LBB90_43
; %bb.42:                               ;   in Loop: Header=BB90_41 Depth=1
	s_ashr_i32 s36, s35, 31
	s_wait_loadcnt 0x0
	v_dual_mov_b32 v21, v4 :: v_dual_ashrrev_i32 v12, 31, v11
	s_mov_b32 s37, s36
	s_delay_alu instid0(SALU_CYCLE_1) | instskip(NEXT) | instid1(VALU_DEP_1)
	s_add_nc_u64 s[38:39], s[34:35], s[36:37]
	v_mov_b32_e32 v13, v12
	s_xor_b64 s[38:39], s[38:39], s[36:37]
	s_delay_alu instid0(SALU_CYCLE_1)
	s_cvt_f32_u32 s0, s38
	s_cvt_f32_u32 s37, s39
	s_sub_nc_u64 s[62:63], 0, s[38:39]
	v_add_nc_u64_e32 v[18:19], v[10:11], v[12:13]
	v_mov_b32_e32 v27, v4
	s_fmamk_f32 s0, s37, 0x4f800000, s0
	s_delay_alu instid0(SALU_CYCLE_3) | instskip(NEXT) | instid1(VALU_DEP_2)
	v_s_rcp_f32 s0, s0
	v_xor_b32_e32 v20, v18, v12
	s_delay_alu instid0(VALU_DEP_3) | instskip(NEXT) | instid1(TRANS32_DEP_1)
	v_dual_mov_b32 v31, v4 :: v_dual_bitop2_b32 v26, v19, v12 bitop3:0x14
	s_mul_f32 s0, s0, 0x5f7ffffc
	s_delay_alu instid0(SALU_CYCLE_3) | instskip(NEXT) | instid1(SALU_CYCLE_3)
	s_mul_f32 s37, s0, 0x2f800000
	s_trunc_f32 s37, s37
	s_delay_alu instid0(SALU_CYCLE_3) | instskip(SKIP_1) | instid1(SALU_CYCLE_2)
	s_fmamk_f32 s0, s37, 0xcf800000, s0
	s_cvt_u32_f32 s61, s37
	s_cvt_u32_f32 s60, s0
	s_delay_alu instid0(SALU_CYCLE_3) | instskip(NEXT) | instid1(SALU_CYCLE_1)
	s_mul_u64 s[64:65], s[62:63], s[60:61]
	s_mul_hi_u32 s67, s60, s65
	s_mul_i32 s66, s60, s65
	s_mul_hi_u32 s0, s60, s64
	s_mul_i32 s59, s61, s64
	s_add_nc_u64 s[66:67], s[0:1], s[66:67]
	s_mul_hi_u32 s37, s61, s64
	s_mul_hi_u32 s68, s61, s65
	s_add_co_u32 s0, s66, s59
	s_add_co_ci_u32 s0, s67, s37
	s_mul_i32 s64, s61, s65
	s_add_co_ci_u32 s65, s68, 0
	s_delay_alu instid0(SALU_CYCLE_1) | instskip(NEXT) | instid1(SALU_CYCLE_1)
	s_add_nc_u64 s[64:65], s[0:1], s[64:65]
	s_add_co_u32 s60, s60, s64
	s_cselect_b32 s0, -1, 0
	s_delay_alu instid0(SALU_CYCLE_1) | instskip(SKIP_1) | instid1(SALU_CYCLE_1)
	s_cmp_lg_u32 s0, 0
	s_add_co_ci_u32 s61, s61, s65
	s_mul_u64 s[62:63], s[62:63], s[60:61]
	s_delay_alu instid0(SALU_CYCLE_1)
	s_mul_hi_u32 s65, s60, s63
	s_mul_i32 s64, s60, s63
	s_mul_hi_u32 s0, s60, s62
	s_mul_i32 s59, s61, s62
	s_add_nc_u64 s[64:65], s[0:1], s[64:65]
	s_mul_hi_u32 s37, s61, s62
	s_mul_hi_u32 s66, s61, s63
	s_add_co_u32 s0, s64, s59
	s_add_co_ci_u32 s0, s65, s37
	s_mul_i32 s62, s61, s63
	s_add_co_ci_u32 s63, s66, 0
	s_delay_alu instid0(SALU_CYCLE_1) | instskip(NEXT) | instid1(SALU_CYCLE_1)
	s_add_nc_u64 s[62:63], s[0:1], s[62:63]
	s_add_co_u32 s60, s60, s62
	s_cselect_b32 s0, -1, 0
	v_mul_hi_u32 v30, v20, s60
	s_cmp_lg_u32 s0, 0
	s_add_co_ci_u32 s0, s61, s63
	s_and_b64 s[62:63], s[60:61], s[28:29]
	v_mul_u64_e32 v[22:23], s[0:1], v[20:21]
	v_mul_u64_e32 v[18:19], s[62:63], v[26:27]
	;; [unrolled: 1-line block ×3, first 2 shown]
	s_delay_alu instid0(VALU_DEP_3) | instskip(NEXT) | instid1(VALU_DEP_1)
	v_add_nc_u64_e32 v[22:23], v[30:31], v[22:23]
	v_add_co_u32 v5, vcc_lo, v22, v18
	s_delay_alu instid0(VALU_DEP_2) | instskip(NEXT) | instid1(VALU_DEP_4)
	v_add_co_ci_u32_e32 v30, vcc_lo, v23, v19, vcc_lo
	v_add_co_ci_u32_e32 v29, vcc_lo, 0, v29, vcc_lo
	s_delay_alu instid0(VALU_DEP_1) | instskip(NEXT) | instid1(VALU_DEP_1)
	v_add_nc_u64_e32 v[18:19], v[30:31], v[28:29]
	v_mul_u64_e32 v[22:23], s[38:39], v[18:19]
	s_delay_alu instid0(VALU_DEP_1) | instskip(NEXT) | instid1(VALU_DEP_2)
	v_sub_nc_u32_e32 v5, v26, v23
	v_sub_co_u32 v13, vcc_lo, v20, v22
	s_delay_alu instid0(VALU_DEP_1) | instskip(NEXT) | instid1(VALU_DEP_3)
	v_sub_co_ci_u32_e64 v26, null, v26, v23, vcc_lo
	v_subrev_co_ci_u32_e64 v5, null, s39, v5, vcc_lo
	s_delay_alu instid0(VALU_DEP_3) | instskip(SKIP_1) | instid1(VALU_DEP_3)
	v_sub_co_u32 v20, s0, v13, s38
	v_add_nc_u64_e32 v[22:23], 1, v[18:19]
	v_subrev_co_ci_u32_e64 v5, null, 0, v5, s0
	s_delay_alu instid0(VALU_DEP_3) | instskip(SKIP_1) | instid1(VALU_DEP_3)
	v_cmp_le_u32_e32 vcc_lo, s38, v20
	v_cndmask_b32_e64 v20, 0, -1, vcc_lo
	v_cmp_le_u32_e32 vcc_lo, s39, v5
	v_cndmask_b32_e64 v21, 0, -1, vcc_lo
	;; [unrolled: 2-line block ×4, first 2 shown]
	v_cmp_eq_u32_e32 vcc_lo, s39, v5
	v_cndmask_b32_e32 v5, v21, v20, vcc_lo
	v_cmp_eq_u32_e32 vcc_lo, s39, v26
	v_add_nc_u64_e32 v[20:21], 2, v[18:19]
	v_cndmask_b32_e32 v13, v27, v13, vcc_lo
	s_delay_alu instid0(VALU_DEP_4) | instskip(NEXT) | instid1(VALU_DEP_2)
	v_cmp_ne_u32_e32 vcc_lo, 0, v5
	v_cmp_ne_u32_e64 s0, 0, v13
	s_delay_alu instid0(VALU_DEP_4) | instskip(NEXT) | instid1(VALU_DEP_1)
	v_dual_cndmask_b32 v5, v23, v21, vcc_lo :: v_dual_cndmask_b32 v13, v22, v20, vcc_lo
	v_dual_cndmask_b32 v5, v19, v5, s0 :: v_dual_bitop2_b32 v12, s36, v12 bitop3:0x14
	s_delay_alu instid0(VALU_DEP_1) | instskip(NEXT) | instid1(VALU_DEP_2)
	v_dual_cndmask_b32 v18, v18, v13, s0 :: v_dual_mov_b32 v13, v12
	v_xor_b32_e32 v19, v5, v12
	s_delay_alu instid0(VALU_DEP_2) | instskip(NEXT) | instid1(VALU_DEP_1)
	v_xor_b32_e32 v18, v18, v12
	v_sub_nc_u64_e32 v[12:13], v[18:19], v[12:13]
.LBB90_43:                              ;   in Loop: Header=BB90_41 Depth=1
	s_and_not1_saveexec_b32 s0, s58
	s_cbranch_execz .LBB90_40
; %bb.44:                               ;   in Loop: Header=BB90_41 Depth=1
	v_cvt_f32_u32_e32 v5, s34
	s_sub_co_i32 s36, 0, s34
	s_delay_alu instid0(VALU_DEP_1) | instskip(SKIP_1) | instid1(TRANS32_DEP_1)
	v_rcp_iflag_f32_e32 v5, v5
	v_nop
	v_mul_f32_e32 v5, 0x4f7ffffe, v5
	s_delay_alu instid0(VALU_DEP_1) | instskip(NEXT) | instid1(VALU_DEP_1)
	v_cvt_u32_f32_e32 v5, v5
	v_mul_lo_u32 v12, s36, v5
	s_delay_alu instid0(VALU_DEP_1) | instskip(NEXT) | instid1(VALU_DEP_1)
	v_mul_hi_u32 v12, v5, v12
	v_add_nc_u32_e32 v5, v5, v12
	s_delay_alu instid0(VALU_DEP_1) | instskip(NEXT) | instid1(VALU_DEP_1)
	v_mul_hi_u32 v5, v10, v5
	v_mul_lo_u32 v12, v5, s34
	s_delay_alu instid0(VALU_DEP_1) | instskip(SKIP_1) | instid1(VALU_DEP_1)
	v_dual_add_nc_u32 v13, 1, v5 :: v_dual_sub_nc_u32 v12, v10, v12
	s_wait_loadcnt 0x0
	v_subrev_nc_u32_e32 v18, s34, v12
	v_cmp_le_u32_e32 vcc_lo, s34, v12
	s_delay_alu instid0(VALU_DEP_2) | instskip(NEXT) | instid1(VALU_DEP_1)
	v_dual_cndmask_b32 v12, v12, v18 :: v_dual_cndmask_b32 v5, v5, v13
	v_cmp_le_u32_e32 vcc_lo, s34, v12
	s_delay_alu instid0(VALU_DEP_2) | instskip(NEXT) | instid1(VALU_DEP_1)
	v_add_nc_u32_e32 v13, 1, v5
	v_dual_cndmask_b32 v12, v5, v13 :: v_dual_mov_b32 v13, v4
	s_branch .LBB90_40
.LBB90_45:
	s_or_b32 exec_lo, exec_lo, s57
	s_mov_b32 s29, -1
	s_mov_b32 s0, 0
	s_mov_b32 s27, 0
	s_mov_b32 s1, exec_lo
	v_cmpx_gt_i64_e64 v[6:7], v[14:15]
	s_cbranch_execz .LBB90_51
; %bb.46:
	s_delay_alu instid0(VALU_DEP_2) | instskip(SKIP_1) | instid1(VALU_DEP_1)
	v_lshlrev_b64_e32 v[2:3], 3, v[2:3]
	s_xor_b32 s29, s42, -1
                                        ; implicit-def: $sgpr28
                                        ; implicit-def: $sgpr31
                                        ; implicit-def: $sgpr30
	v_lshl_add_u64 v[4:5], v[14:15], 3, v[2:3]
	v_add_nc_u64_e32 v[10:11], s[24:25], v[2:3]
	s_delay_alu instid0(VALU_DEP_2) | instskip(NEXT) | instid1(VALU_DEP_1)
	v_add_nc_u64_e32 v[4:5], s[24:25], v[4:5]
	v_add_nc_u64_e32 v[2:3], 8, v[4:5]
	s_delay_alu instid0(VALU_DEP_3)
	v_lshl_add_u64 v[4:5], v[6:7], 3, v[10:11]
	s_branch .LBB90_48
.LBB90_47:                              ;   in Loop: Header=BB90_48 Depth=1
	s_or_b32 exec_lo, exec_lo, s34
	s_delay_alu instid0(SALU_CYCLE_1) | instskip(NEXT) | instid1(SALU_CYCLE_1)
	s_and_b32 s34, exec_lo, s31
	s_or_b32 s27, s34, s27
	s_and_not1_b32 s28, s28, exec_lo
	s_and_b32 s34, s30, exec_lo
	s_delay_alu instid0(SALU_CYCLE_1)
	s_or_b32 s28, s28, s34
	s_and_not1_b32 exec_lo, exec_lo, s27
	s_cbranch_execz .LBB90_50
.LBB90_48:                              ; =>This Inner Loop Header: Depth=1
	s_or_b32 s30, s30, exec_lo
	s_or_b32 s31, s31, exec_lo
	s_mov_b32 s34, exec_lo
	s_delay_alu instid0(VALU_DEP_2)
	v_cmpx_lt_u64_e64 v[2:3], v[4:5]
	s_cbranch_execz .LBB90_47
; %bb.49:                               ;   in Loop: Header=BB90_48 Depth=1
	global_load_b128 v[10:13], v[2:3], off offset:-8
	s_and_not1_b32 s31, s31, exec_lo
	s_wait_xcnt 0x0
	v_add_nc_u64_e32 v[2:3], 8, v[2:3]
	s_and_not1_b32 s30, s30, exec_lo
	s_wait_loadcnt 0x0
	v_cmp_ge_i64_e32 vcc_lo, v[10:11], v[12:13]
	s_or_b32 s35, s29, vcc_lo
	s_delay_alu instid0(SALU_CYCLE_1) | instskip(NEXT) | instid1(SALU_CYCLE_1)
	s_and_b32 s35, s35, exec_lo
	s_or_b32 s31, s31, s35
	s_branch .LBB90_47
.LBB90_50:
	s_or_b32 exec_lo, exec_lo, s27
	s_delay_alu instid0(SALU_CYCLE_1)
	s_mov_b32 s27, exec_lo
	s_or_not1_b32 s29, s28, exec_lo
.LBB90_51:
	s_or_b32 exec_lo, exec_lo, s1
	s_mov_b32 s28, 0
	s_and_saveexec_b32 s1, s29
	s_delay_alu instid0(SALU_CYCLE_1)
	s_xor_b32 s1, exec_lo, s1
; %bb.52:
	v_cmp_ne_u64_e32 vcc_lo, v[44:45], v[38:39]
	s_mov_b32 s28, exec_lo
	s_and_not1_b32 s27, s27, exec_lo
	s_and_b32 s0, vcc_lo, exec_lo
; %bb.53:
	s_or_b32 exec_lo, exec_lo, s1
	s_delay_alu instid0(SALU_CYCLE_1)
	s_and_b32 s29, s27, exec_lo
	s_xor_b32 s1, exec_lo, -1
	s_and_b32 s27, s28, exec_lo
	s_and_b32 s28, s0, exec_lo
.LBB90_54:
	s_or_b32 exec_lo, exec_lo, s56
	s_delay_alu instid0(SALU_CYCLE_1)
	s_and_b32 s30, s29, exec_lo
	s_and_b32 s29, s1, exec_lo
	s_xor_b32 s1, exec_lo, -1
	s_and_b32 s27, s27, exec_lo
	s_and_b32 s0, s28, exec_lo
.LBB90_55:
	s_or_b32 exec_lo, exec_lo, s55
	s_delay_alu instid0(SALU_CYCLE_1)
	s_and_b32 s30, s30, exec_lo
	s_and_b32 s29, s29, exec_lo
	;; [unrolled: 1-line block ×4, first 2 shown]
	s_or_not1_b32 s0, s0, exec_lo
.LBB90_56:
	s_or_b32 exec_lo, exec_lo, s54
	s_delay_alu instid0(SALU_CYCLE_1)
	s_and_not1_b32 s27, s52, exec_lo
	s_and_b32 s30, s30, exec_lo
	s_and_b32 s29, s29, exec_lo
	s_or_b32 s52, s27, s30
	s_and_b32 s28, s28, exec_lo
	s_and_b32 s27, s1, exec_lo
	;; [unrolled: 1-line block ×3, first 2 shown]
.LBB90_57:
	s_or_b32 exec_lo, exec_lo, s53
	s_delay_alu instid0(SALU_CYCLE_1)
	s_and_b32 s30, s52, exec_lo
	s_or_not1_b32 s1, s29, exec_lo
	s_and_b32 s29, s28, exec_lo
	s_and_b32 s28, s27, exec_lo
	s_and_b32 s27, s0, exec_lo
.LBB90_58:
	s_or_b32 exec_lo, exec_lo, s51
	s_delay_alu instid0(SALU_CYCLE_1)
	s_and_b32 s30, s30, exec_lo
	s_and_b32 s31, s1, exec_lo
	s_or_not1_b32 s1, s29, exec_lo
	s_and_b32 s28, s28, exec_lo
	s_and_b32 s0, s27, exec_lo
.LBB90_59:
	s_or_b32 exec_lo, exec_lo, s50
	s_delay_alu instid0(SALU_CYCLE_1)
	s_and_b32 s30, s30, exec_lo
	s_and_b32 s29, s31, exec_lo
	;; [unrolled: 1-line block ×4, first 2 shown]
	s_or_not1_b32 s0, s0, exec_lo
.LBB90_60:
	s_or_b32 exec_lo, exec_lo, s49
	s_delay_alu instid0(SALU_CYCLE_1)
	s_and_not1_b32 s28, s47, exec_lo
	s_and_b32 s30, s30, exec_lo
	s_and_b32 s31, s29, exec_lo
	s_or_b32 s47, s28, s30
	s_and_b32 s29, s27, exec_lo
	s_and_b32 s28, s1, exec_lo
	;; [unrolled: 1-line block ×3, first 2 shown]
.LBB90_61:
	s_or_b32 exec_lo, exec_lo, s48
	s_delay_alu instid0(SALU_CYCLE_1)
	s_and_b32 s30, s46, exec_lo
	s_and_b32 s27, s47, exec_lo
	s_or_not1_b32 s1, s31, exec_lo
	s_and_b32 s34, s29, exec_lo
	s_and_b32 s28, s28, exec_lo
	s_and_b32 s29, s0, exec_lo
.LBB90_62:
	s_or_b32 exec_lo, exec_lo, s45
	s_delay_alu instid0(SALU_CYCLE_1)
	s_and_b32 s31, s30, exec_lo
	s_and_b32 s30, s27, exec_lo
	;; [unrolled: 1-line block ×3, first 2 shown]
	s_or_not1_b32 s0, s34, exec_lo
	s_and_b32 s28, s28, exec_lo
	s_and_b32 s29, s29, exec_lo
.LBB90_63:
	s_or_b32 exec_lo, exec_lo, s44
	s_delay_alu instid0(SALU_CYCLE_1)
	s_and_b32 s1, s31, exec_lo
	s_and_b32 s36, s30, exec_lo
	;; [unrolled: 1-line block ×5, first 2 shown]
	s_or_not1_b32 s29, s29, exec_lo
.LBB90_64:
	s_or_b32 exec_lo, exec_lo, s43
	s_and_saveexec_b32 s30, s29
	s_cbranch_execnz .LBB90_211
.LBB90_65:
	s_or_b32 exec_lo, exec_lo, s30
	s_mov_b32 s29, 0
	s_and_saveexec_b32 s30, s28
	s_delay_alu instid0(SALU_CYCLE_1)
	s_xor_b32 s28, exec_lo, s30
	s_cbranch_execz .LBB90_67
; %bb.66:
	s_wait_loadcnt 0x0
	v_cmp_ne_u64_e32 vcc_lo, v[32:33], v[34:35]
	s_and_not1_b32 s0, s0, exec_lo
	s_mov_b32 s29, exec_lo
	s_and_b32 s30, vcc_lo, exec_lo
	s_delay_alu instid0(SALU_CYCLE_1)
	s_or_b32 s0, s0, s30
.LBB90_67:
	s_or_b32 exec_lo, exec_lo, s28
	s_and_saveexec_b32 s28, s0
	s_cbranch_execnz .LBB90_212
.LBB90_68:
	s_or_b32 exec_lo, exec_lo, s28
	s_mov_b32 s28, 0
	s_and_saveexec_b32 s0, s29
	s_delay_alu instid0(SALU_CYCLE_1)
	s_xor_b32 s29, exec_lo, s0
	s_cbranch_execnz .LBB90_104
; %bb.69:
	s_or_b32 exec_lo, exec_lo, s29
	s_and_saveexec_b32 s0, s27
	s_cbranch_execnz .LBB90_105
.LBB90_70:
	s_or_b32 exec_lo, exec_lo, s0
	s_mov_b32 s0, 0
	s_and_saveexec_b32 s37, s28
	s_cbranch_execnz .LBB90_106
.LBB90_71:
	s_or_b32 exec_lo, exec_lo, s37
	s_and_saveexec_b32 s1, s36
	s_cbranch_execnz .LBB90_152
.LBB90_72:
	s_or_b32 exec_lo, exec_lo, s1
	s_and_saveexec_b32 s1, s0
	s_delay_alu instid0(SALU_CYCLE_1)
	s_xor_b32 s0, exec_lo, s1
	s_cbranch_execz .LBB90_74
.LBB90_73:
	s_mov_b32 s24, 0
	s_add_nc_u64 s[2:3], s[4:5], s[22:23]
	s_mov_b32 s25, s24
	s_mov_b32 s26, s24
	;; [unrolled: 1-line block ×3, first 2 shown]
	v_mov_b64_e32 v[2:3], s[24:25]
	v_mov_b64_e32 v[4:5], s[26:27]
	s_clause 0x1
	global_store_b128 v1, v[2:5], s[2:3]
	global_store_b128 v1, v[2:5], s[2:3] offset:16
.LBB90_74:
	s_wait_xcnt 0x0
	s_or_b32 exec_lo, exec_lo, s0
	s_mov_b32 s0, 0
.LBB90_75:
	s_delay_alu instid0(SALU_CYCLE_1)
	s_and_b32 vcc_lo, exec_lo, s0
	s_cbranch_vccz .LBB90_95
; %bb.76:
	v_mov_b64_e32 v[26:27], 0
	v_mov_b64_e32 v[36:37], 0
	;; [unrolled: 1-line block ×3, first 2 shown]
	s_wait_loadcnt 0x0
	v_mov_b64_e32 v[32:33], 0
	v_mov_b64_e32 v[34:35], 0
	;; [unrolled: 1-line block ×3, first 2 shown]
	v_cmp_gt_i32_e64 s0, s33, v0
	v_or_b32_e32 v1, 0x100, v0
	v_mov_b32_e32 v42, v0
	s_and_saveexec_b32 s1, s0
	s_cbranch_execz .LBB90_78
; %bb.77:
	v_or_b32_e32 v2, s16, v0
	v_or_b32_e32 v42, 0x100, v0
	s_clause 0x4
	global_load_b64 v[32:33], v2, s[10:11] scale_offset
	global_load_b64 v[36:37], v2, s[6:7] scale_offset
	;; [unrolled: 1-line block ×5, first 2 shown]
.LBB90_78:
	s_wait_xcnt 0x0
	s_or_b32 exec_lo, exec_lo, s1
	v_mov_b64_e32 v[28:29], 0
	v_mov_b64_e32 v[22:23], 0
	;; [unrolled: 1-line block ×4, first 2 shown]
	s_mov_b32 s1, exec_lo
	v_cmpx_gt_i32_e64 s33, v42
	s_cbranch_execz .LBB90_80
; %bb.79:
	v_add_nc_u32_e32 v2, s16, v42
	v_add_nc_u32_e32 v42, 0x100, v42
	s_clause 0x4
	global_load_b64 v[22:23], v2, s[10:11] scale_offset
	global_load_b64 v[26:27], v2, s[6:7] scale_offset
	;; [unrolled: 1-line block ×5, first 2 shown]
.LBB90_80:
	s_wait_xcnt 0x0
	s_or_b32 exec_lo, exec_lo, s1
	v_mov_b64_e32 v[10:11], 0
	v_mov_b64_e32 v[20:21], 0
	;; [unrolled: 1-line block ×6, first 2 shown]
	s_mov_b32 s1, exec_lo
	v_cmpx_gt_i32_e64 s33, v42
	s_cbranch_execz .LBB90_82
; %bb.81:
	v_add_nc_u32_e32 v2, s16, v42
	v_add_nc_u32_e32 v42, 0x100, v42
	s_clause 0x4
	global_load_b64 v[12:13], v2, s[10:11] scale_offset
	global_load_b64 v[20:21], v2, s[6:7] scale_offset
	;; [unrolled: 1-line block ×5, first 2 shown]
.LBB90_82:
	s_wait_xcnt 0x0
	s_or_b32 exec_lo, exec_lo, s1
	v_mov_b64_e32 v[6:7], 0
	v_mov_b64_e32 v[2:3], 0
	;; [unrolled: 1-line block ×4, first 2 shown]
	s_mov_b32 s1, exec_lo
	v_cmpx_gt_i32_e64 s33, v42
	s_cbranch_execz .LBB90_84
; %bb.83:
	v_add_nc_u32_e32 v42, s16, v42
	s_clause 0x4
	global_load_b64 v[2:3], v42, s[10:11] scale_offset
	global_load_b64 v[10:11], v42, s[6:7] scale_offset
	;; [unrolled: 1-line block ×5, first 2 shown]
.LBB90_84:
	s_wait_xcnt 0x0
	s_or_b32 exec_lo, exec_lo, s1
	s_clause 0x1
	s_load_b256 s[8:15], s[18:19], 0x0
	s_load_b64 s[2:3], s[18:19], 0xa0
	s_cmp_lg_u64 s[20:21], 0
	s_get_pc_i64 s[6:7]
	s_add_nc_u64 s[6:7], s[6:7], .str.7@rel64+4
	s_get_pc_i64 s[20:21]
	s_add_nc_u64 s[20:21], s[20:21], .str.8@rel64+4
	s_cselect_b32 s38, -1, 0
	s_cmp_lg_u64 s[6:7], 0
	s_get_pc_i64 s[22:23]
	s_add_nc_u64 s[22:23], s[22:23], .str.9@rel64+4
	s_cselect_b32 s36, -1, 0
	s_cmp_lg_u64 s[20:21], 0
	s_mov_b32 s1, -1
	s_cselect_b32 s35, -1, 0
	s_mov_b32 s44, 0
	s_mov_b32 s42, 0
	s_mov_b32 s41, 0
	s_mov_b32 s39, 0
	s_mov_b32 s37, 0
	s_wait_kmcnt 0x0
	s_add_co_i32 s6, s14, -1
	s_delay_alu instid0(SALU_CYCLE_1)
	s_cmp_gt_i32 s6, -1
	s_cselect_b32 s34, -1, 0
	s_cmp_lg_u64 s[22:23], 0
	s_cselect_b32 s15, -1, 0
	s_and_saveexec_b32 s40, s0
	s_cbranch_execnz .LBB90_113
; %bb.85:
	s_or_b32 exec_lo, exec_lo, s40
	s_mov_b32 s40, 0
	s_and_saveexec_b32 s43, s1
	s_cbranch_execnz .LBB90_161
.LBB90_86:
	s_or_b32 exec_lo, exec_lo, s43
	s_and_saveexec_b32 s1, s42
	s_cbranch_execnz .LBB90_210
.LBB90_87:
	s_or_b32 exec_lo, exec_lo, s1
	s_mov_b32 s1, 0
	s_and_saveexec_b32 s7, s44
	s_delay_alu instid0(SALU_CYCLE_1)
	s_xor_b32 s7, exec_lo, s7
	s_cbranch_execz .LBB90_89
; %bb.88:
	s_wait_loadcnt 0x2
	v_cmp_ne_u64_e32 vcc_lo, s[12:13], v[6:7]
	s_xor_b32 s8, s36, -1
	s_and_not1_b32 s9, s41, exec_lo
	s_mov_b32 s1, exec_lo
	s_or_b32 s8, s8, vcc_lo
	s_delay_alu instid0(SALU_CYCLE_1) | instskip(NEXT) | instid1(SALU_CYCLE_1)
	s_and_b32 s8, s8, exec_lo
	s_or_b32 s41, s9, s8
.LBB90_89:
	s_or_b32 exec_lo, exec_lo, s7
	s_and_saveexec_b32 s7, s41
	s_cbranch_execnz .LBB90_213
.LBB90_90:
	s_or_b32 exec_lo, exec_lo, s7
	s_mov_b32 s7, 0
	s_and_saveexec_b32 s8, s1
	s_delay_alu instid0(SALU_CYCLE_1)
	s_xor_b32 s8, exec_lo, s8
	s_cbranch_execnz .LBB90_123
; %bb.91:
	s_or_b32 exec_lo, exec_lo, s8
	s_and_saveexec_b32 s1, s39
	s_cbranch_execnz .LBB90_124
.LBB90_92:
	s_or_b32 exec_lo, exec_lo, s1
	s_and_saveexec_b32 s22, s7
	s_cbranch_execnz .LBB90_125
.LBB90_93:
	s_or_b32 exec_lo, exec_lo, s22
	s_and_saveexec_b32 s1, s37
	s_cbranch_execnz .LBB90_155
.LBB90_94:
	s_or_b32 exec_lo, exec_lo, s1
	s_and_saveexec_b32 s1, s17
	s_cbranch_execnz .LBB90_96
	s_branch .LBB90_97
.LBB90_95:
                                        ; implicit-def: $sgpr0
                                        ; implicit-def: $vgpr1
                                        ; implicit-def: $vgpr0
	s_and_saveexec_b32 s1, s17
.LBB90_96:
	; divergent unreachable
.LBB90_97:
	s_delay_alu instid0(SALU_CYCLE_1) | instskip(SKIP_1) | instid1(SALU_CYCLE_1)
	s_or_b32 exec_lo, exec_lo, s1
	s_and_saveexec_b32 s1, s40
	s_xor_b32 s1, exec_lo, s1
	s_cbranch_execz .LBB90_103
; %bb.98:
	s_and_saveexec_b32 s1, s0
	s_delay_alu instid0(SALU_CYCLE_1)
	s_xor_b32 s0, exec_lo, s1
	s_cbranch_execnz .LBB90_132
; %bb.99:
	s_or_b32 exec_lo, exec_lo, s0
	s_delay_alu instid0(SALU_CYCLE_1)
	s_mov_b32 s0, exec_lo
	v_cmpx_gt_i32_e64 s33, v0
	s_cbranch_execnz .LBB90_133
.LBB90_100:
	s_or_b32 exec_lo, exec_lo, s0
	s_delay_alu instid0(SALU_CYCLE_1)
	s_mov_b32 s0, exec_lo
	v_cmpx_gt_i32_e64 s33, v0
	s_cbranch_execnz .LBB90_134
.LBB90_101:
	s_or_b32 exec_lo, exec_lo, s0
	s_delay_alu instid0(SALU_CYCLE_1)
	s_mov_b32 s0, exec_lo
	v_cmpx_gt_i32_e64 s33, v0
	s_cbranch_execz .LBB90_103
.LBB90_102:
	s_wait_loadcnt 0x4
	v_mov_b64_e32 v[2:3], 0
	v_add_nc_u32_e32 v0, s16, v0
	global_store_b64 v0, v[2:3], s[4:5] scale_offset
.LBB90_103:
	s_endpgm
.LBB90_104:
	s_wait_loadcnt 0x0
	v_sub_nc_u64_e32 v[2:3], v[8:9], v[16:17]
	s_mov_b32 s28, exec_lo
	s_delay_alu instid0(VALU_DEP_1) | instskip(SKIP_3) | instid1(SALU_CYCLE_1)
	v_cmp_gt_i64_e32 vcc_lo, v[38:39], v[2:3]
	v_cmp_lt_i64_e64 s0, s[2:3], v[2:3]
	s_and_not1_b32 s2, s27, exec_lo
	s_or_b32 s0, vcc_lo, s0
	s_and_b32 s0, s0, exec_lo
	s_delay_alu instid0(SALU_CYCLE_1)
	s_or_b32 s27, s2, s0
	s_or_b32 exec_lo, exec_lo, s29
	s_and_saveexec_b32 s0, s27
	s_cbranch_execz .LBB90_70
.LBB90_105:
	s_or_b32 s17, s17, exec_lo
	s_and_not1_b32 s28, s28, exec_lo
	s_trap 2
	s_or_b32 exec_lo, exec_lo, s0
	s_mov_b32 s0, 0
	s_and_saveexec_b32 s37, s28
	s_cbranch_execz .LBB90_71
.LBB90_106:
	v_mov_b64_e32 v[2:3], 0
	s_and_saveexec_b32 s38, s1
	s_cbranch_execz .LBB90_135
; %bb.107:
	s_wait_loadcnt 0x0
	v_mul_u64_e32 v[6:7], v[24:25], v[34:35]
	s_ashr_i32 s27, s26, 31
	v_mov_b64_e32 v[2:3], 0
	s_lshl_b64 s[0:1], s[26:27], 3
	v_mov_b32_e32 v4, 0
	s_add_nc_u64 s[0:1], s[18:19], s[0:1]
	s_mov_b64 s[2:3], 0xffffffff
	s_add_nc_u64 s[26:27], s[0:1], 32
	s_mov_b32 s1, 0
	s_branch .LBB90_109
.LBB90_108:                             ;   in Loop: Header=BB90_109 Depth=1
	s_or_b32 exec_lo, exec_lo, s0
	s_delay_alu instid0(VALU_DEP_1)
	v_mul_u64_e32 v[12:13], s[28:29], v[10:11]
	s_load_b64 s[28:29], s[26:27], 0x40
	s_add_co_i32 s41, s41, -1
	s_wait_xcnt 0x0
	s_add_nc_u64 s[26:27], s[26:27], -8
	s_cmp_lg_u32 s41, 0
	s_delay_alu instid0(VALU_DEP_1) | instskip(SKIP_1) | instid1(VALU_DEP_1)
	v_sub_nc_u64_e32 v[6:7], v[6:7], v[12:13]
	s_wait_kmcnt 0x0
	v_mad_nc_u64_u32 v[2:3], v6, s28, v[2:3]
	s_delay_alu instid0(VALU_DEP_1) | instskip(NEXT) | instid1(VALU_DEP_1)
	v_mad_u32 v3, v7, s28, v3
	v_mad_u32 v3, v6, s29, v3
	v_mov_b64_e32 v[6:7], v[10:11]
	s_cbranch_scc0 .LBB90_135
.LBB90_109:                             ; =>This Inner Loop Header: Depth=1
	s_load_b64 s[28:29], s[26:27], 0x0
                                        ; implicit-def: $vgpr10_vgpr11
	s_mov_b32 s0, exec_lo
	s_wait_kmcnt 0x0
	s_delay_alu instid0(VALU_DEP_1) | instskip(NEXT) | instid1(VALU_DEP_1)
	v_or_b32_e32 v5, s29, v7
	v_cmpx_ne_u64_e32 0, v[4:5]
	s_xor_b32 s39, exec_lo, s0
	s_cbranch_execz .LBB90_111
; %bb.110:                              ;   in Loop: Header=BB90_109 Depth=1
	s_ashr_i32 s30, s29, 31
	v_dual_mov_b32 v15, v4 :: v_dual_ashrrev_i32 v10, 31, v7
	s_mov_b32 s31, s30
	v_mov_b32_e32 v25, v4
	s_add_nc_u64 s[34:35], s[28:29], s[30:31]
	s_delay_alu instid0(VALU_DEP_2) | instskip(SKIP_1) | instid1(SALU_CYCLE_1)
	v_mov_b32_e32 v11, v10
	s_xor_b64 s[34:35], s[34:35], s[30:31]
	s_cvt_f32_u32 s0, s34
	s_cvt_f32_u32 s31, s35
	s_sub_nc_u64 s[46:47], 0, s[34:35]
	v_add_nc_u64_e32 v[12:13], v[6:7], v[10:11]
	v_mov_b32_e32 v21, v4
	s_fmamk_f32 s0, s31, 0x4f800000, s0
	s_delay_alu instid0(SALU_CYCLE_3) | instskip(NEXT) | instid1(VALU_DEP_2)
	v_s_rcp_f32 s0, s0
	v_xor_b32_e32 v14, v12, v10
	s_delay_alu instid0(VALU_DEP_3) | instskip(SKIP_1) | instid1(TRANS32_DEP_1)
	v_xor_b32_e32 v20, v13, v10
	v_xor_b32_e32 v10, s30, v10
	s_mul_f32 s0, s0, 0x5f7ffffc
	s_delay_alu instid0(SALU_CYCLE_3) | instskip(NEXT) | instid1(SALU_CYCLE_3)
	s_mul_f32 s31, s0, 0x2f800000
	s_trunc_f32 s31, s31
	s_delay_alu instid0(SALU_CYCLE_3) | instskip(SKIP_1) | instid1(SALU_CYCLE_2)
	s_fmamk_f32 s0, s31, 0xcf800000, s0
	s_cvt_u32_f32 s45, s31
	s_cvt_u32_f32 s44, s0
	s_delay_alu instid0(SALU_CYCLE_3) | instskip(NEXT) | instid1(SALU_CYCLE_1)
	s_mul_u64 s[48:49], s[46:47], s[44:45]
	s_mul_hi_u32 s51, s44, s49
	s_mul_i32 s50, s44, s49
	s_mul_hi_u32 s0, s44, s48
	s_mul_i32 s43, s45, s48
	s_add_nc_u64 s[50:51], s[0:1], s[50:51]
	s_mul_hi_u32 s31, s45, s48
	s_mul_hi_u32 s52, s45, s49
	s_add_co_u32 s0, s50, s43
	s_add_co_ci_u32 s0, s51, s31
	s_mul_i32 s48, s45, s49
	s_add_co_ci_u32 s49, s52, 0
	s_delay_alu instid0(SALU_CYCLE_1) | instskip(NEXT) | instid1(SALU_CYCLE_1)
	s_add_nc_u64 s[48:49], s[0:1], s[48:49]
	s_add_co_u32 s44, s44, s48
	s_cselect_b32 s0, -1, 0
	s_delay_alu instid0(SALU_CYCLE_1) | instskip(SKIP_1) | instid1(SALU_CYCLE_1)
	s_cmp_lg_u32 s0, 0
	s_add_co_ci_u32 s45, s45, s49
	s_mul_u64 s[46:47], s[46:47], s[44:45]
	s_delay_alu instid0(SALU_CYCLE_1)
	s_mul_hi_u32 s49, s44, s47
	s_mul_i32 s48, s44, s47
	s_mul_hi_u32 s0, s44, s46
	s_mul_i32 s43, s45, s46
	s_add_nc_u64 s[48:49], s[0:1], s[48:49]
	s_mul_hi_u32 s31, s45, s46
	s_mul_hi_u32 s50, s45, s47
	s_add_co_u32 s0, s48, s43
	s_add_co_ci_u32 s0, s49, s31
	s_mul_i32 s46, s45, s47
	s_add_co_ci_u32 s47, s50, 0
	s_delay_alu instid0(SALU_CYCLE_1) | instskip(NEXT) | instid1(SALU_CYCLE_1)
	s_add_nc_u64 s[46:47], s[0:1], s[46:47]
	s_add_co_u32 s44, s44, s46
	s_cselect_b32 s0, -1, 0
	v_mul_hi_u32 v24, v14, s44
	s_cmp_lg_u32 s0, 0
	s_add_co_ci_u32 s0, s45, s47
	s_and_b64 s[46:47], s[44:45], s[2:3]
	v_mul_u64_e32 v[18:19], s[0:1], v[14:15]
	v_mul_u64_e32 v[12:13], s[46:47], v[20:21]
	;; [unrolled: 1-line block ×3, first 2 shown]
	s_delay_alu instid0(VALU_DEP_3) | instskip(NEXT) | instid1(VALU_DEP_1)
	v_add_nc_u64_e32 v[18:19], v[24:25], v[18:19]
	v_add_co_u32 v5, vcc_lo, v18, v12
	s_delay_alu instid0(VALU_DEP_2) | instskip(NEXT) | instid1(VALU_DEP_4)
	v_add_co_ci_u32_e32 v24, vcc_lo, v19, v13, vcc_lo
	v_add_co_ci_u32_e32 v23, vcc_lo, 0, v23, vcc_lo
	s_delay_alu instid0(VALU_DEP_1) | instskip(NEXT) | instid1(VALU_DEP_1)
	v_add_nc_u64_e32 v[12:13], v[24:25], v[22:23]
	v_mul_u64_e32 v[18:19], s[34:35], v[12:13]
	s_delay_alu instid0(VALU_DEP_1) | instskip(NEXT) | instid1(VALU_DEP_2)
	v_sub_nc_u32_e32 v5, v20, v19
	v_sub_co_u32 v11, vcc_lo, v14, v18
	s_delay_alu instid0(VALU_DEP_1) | instskip(NEXT) | instid1(VALU_DEP_3)
	v_sub_co_ci_u32_e64 v20, null, v20, v19, vcc_lo
	v_subrev_co_ci_u32_e64 v5, null, s35, v5, vcc_lo
	s_delay_alu instid0(VALU_DEP_3) | instskip(SKIP_1) | instid1(VALU_DEP_3)
	v_sub_co_u32 v14, s0, v11, s34
	v_add_nc_u64_e32 v[18:19], 1, v[12:13]
	v_subrev_co_ci_u32_e64 v5, null, 0, v5, s0
	s_delay_alu instid0(VALU_DEP_3) | instskip(SKIP_1) | instid1(VALU_DEP_3)
	v_cmp_le_u32_e32 vcc_lo, s34, v14
	v_cndmask_b32_e64 v14, 0, -1, vcc_lo
	v_cmp_le_u32_e32 vcc_lo, s35, v5
	v_cndmask_b32_e64 v15, 0, -1, vcc_lo
	;; [unrolled: 2-line block ×4, first 2 shown]
	v_cmp_eq_u32_e32 vcc_lo, s35, v5
	v_cndmask_b32_e32 v5, v15, v14, vcc_lo
	v_cmp_eq_u32_e32 vcc_lo, s35, v20
	v_add_nc_u64_e32 v[14:15], 2, v[12:13]
	v_cndmask_b32_e32 v11, v21, v11, vcc_lo
	s_delay_alu instid0(VALU_DEP_4) | instskip(NEXT) | instid1(VALU_DEP_2)
	v_cmp_ne_u32_e32 vcc_lo, 0, v5
	v_cmp_ne_u32_e64 s0, 0, v11
	s_delay_alu instid0(VALU_DEP_4) | instskip(NEXT) | instid1(VALU_DEP_1)
	v_dual_cndmask_b32 v5, v19, v15, vcc_lo :: v_dual_cndmask_b32 v11, v18, v14, vcc_lo
	v_dual_cndmask_b32 v12, v12, v11, s0 :: v_dual_mov_b32 v11, v10
	s_delay_alu instid0(VALU_DEP_1) | instskip(NEXT) | instid1(VALU_DEP_1)
	v_dual_cndmask_b32 v5, v13, v5, s0 :: v_dual_bitop2_b32 v12, v12, v10 bitop3:0x14
	v_xor_b32_e32 v13, v5, v10
	s_delay_alu instid0(VALU_DEP_1)
	v_sub_nc_u64_e32 v[10:11], v[12:13], v[10:11]
.LBB90_111:                             ;   in Loop: Header=BB90_109 Depth=1
	s_and_not1_saveexec_b32 s0, s39
	s_cbranch_execz .LBB90_108
; %bb.112:                              ;   in Loop: Header=BB90_109 Depth=1
	v_cvt_f32_u32_e32 v5, s28
	s_sub_co_i32 s30, 0, s28
	s_delay_alu instid0(VALU_DEP_1) | instskip(SKIP_1) | instid1(TRANS32_DEP_1)
	v_rcp_iflag_f32_e32 v5, v5
	v_nop
	v_mul_f32_e32 v5, 0x4f7ffffe, v5
	s_delay_alu instid0(VALU_DEP_1) | instskip(NEXT) | instid1(VALU_DEP_1)
	v_cvt_u32_f32_e32 v5, v5
	v_mul_lo_u32 v10, s30, v5
	s_delay_alu instid0(VALU_DEP_1) | instskip(NEXT) | instid1(VALU_DEP_1)
	v_mul_hi_u32 v10, v5, v10
	v_add_nc_u32_e32 v5, v5, v10
	s_delay_alu instid0(VALU_DEP_1) | instskip(NEXT) | instid1(VALU_DEP_1)
	v_mul_hi_u32 v5, v6, v5
	v_mul_lo_u32 v10, v5, s28
	s_delay_alu instid0(VALU_DEP_1) | instskip(NEXT) | instid1(VALU_DEP_1)
	v_dual_add_nc_u32 v11, 1, v5 :: v_dual_sub_nc_u32 v10, v6, v10
	v_subrev_nc_u32_e32 v12, s28, v10
	v_cmp_le_u32_e32 vcc_lo, s28, v10
	s_delay_alu instid0(VALU_DEP_2) | instskip(NEXT) | instid1(VALU_DEP_1)
	v_dual_cndmask_b32 v10, v10, v12 :: v_dual_cndmask_b32 v5, v5, v11
	v_cmp_le_u32_e32 vcc_lo, s28, v10
	s_delay_alu instid0(VALU_DEP_2) | instskip(NEXT) | instid1(VALU_DEP_1)
	v_add_nc_u32_e32 v11, 1, v5
	v_dual_cndmask_b32 v10, v5, v11 :: v_dual_mov_b32 v11, v4
	s_branch .LBB90_108
.LBB90_113:
	s_wait_loadcnt 0x3
	v_cmp_eq_u64_e32 vcc_lo, s[8:9], v[36:37]
	s_mov_b32 s7, -1
	s_mov_b32 s1, 0
	s_mov_b32 s20, 0
	;; [unrolled: 1-line block ×4, first 2 shown]
	s_and_b32 s23, s38, vcc_lo
	s_delay_alu instid0(SALU_CYCLE_1)
	s_and_saveexec_b32 s37, s23
	s_cbranch_execz .LBB90_160
; %bb.114:
	s_wait_loadcnt 0x2
	v_cmp_eq_u64_e32 vcc_lo, s[12:13], v[38:39]
	s_and_b32 s22, s36, vcc_lo
	s_delay_alu instid0(SALU_CYCLE_1)
	s_and_saveexec_b32 s39, s22
	s_cbranch_execz .LBB90_159
; %bb.115:
	s_wait_loadcnt 0x1
	v_sub_nc_u64_e32 v[42:43], v[34:35], v[32:33]
	s_delay_alu instid0(VALU_DEP_1)
	v_cmp_le_i64_e32 vcc_lo, v[36:37], v[42:43]
	v_cmp_ge_i64_e64 s1, s[10:11], v[42:43]
	s_and_b32 s20, vcc_lo, s1
	s_mov_b32 s1, 0
	s_and_b32 s21, s35, s20
	s_mov_b32 s20, 0
	s_and_saveexec_b32 s41, s21
	s_cbranch_execz .LBB90_158
; %bb.116:
	v_cmp_lt_i64_e32 vcc_lo, 0, v[38:39]
	v_mov_b64_e32 v[36:37], 0
	s_and_b32 s1, vcc_lo, s34
	s_delay_alu instid0(SALU_CYCLE_1)
	s_and_saveexec_b32 s42, s1
	s_cbranch_execz .LBB90_145
; %bb.117:
	s_wait_loadcnt 0x0
	v_mul_u64_e32 v[40:41], v[40:41], v[38:39]
	s_ashr_i32 s7, s6, 31
	v_mov_b64_e32 v[36:37], 0
	s_lshl_b64 s[22:23], s[6:7], 3
	v_mov_b32_e32 v38, 0
	s_add_nc_u64 s[22:23], s[18:19], s[22:23]
	s_mov_b64 s[20:21], 0xffffffff
	s_add_nc_u64 s[22:23], s[22:23], 32
	s_mov_b32 s25, 0
	s_mov_b32 s7, s14
	s_branch .LBB90_119
.LBB90_118:                             ;   in Loop: Header=BB90_119 Depth=1
	s_or_b32 exec_lo, exec_lo, s1
	s_delay_alu instid0(VALU_DEP_1)
	v_mul_u64_e32 v[44:45], s[26:27], v[42:43]
	s_load_b64 s[26:27], s[22:23], 0x40
	s_add_co_i32 s7, s7, -1
	s_wait_xcnt 0x0
	s_add_nc_u64 s[22:23], s[22:23], -8
	s_cmp_eq_u32 s7, 0
	s_delay_alu instid0(VALU_DEP_1) | instskip(SKIP_1) | instid1(VALU_DEP_1)
	v_sub_nc_u64_e32 v[40:41], v[40:41], v[44:45]
	s_wait_kmcnt 0x0
	v_mad_nc_u64_u32 v[36:37], v40, s26, v[36:37]
	s_delay_alu instid0(VALU_DEP_1) | instskip(NEXT) | instid1(VALU_DEP_1)
	v_mad_u32 v37, v41, s26, v37
	v_mad_u32 v37, v40, s27, v37
	v_mov_b64_e32 v[40:41], v[42:43]
	s_cbranch_scc1 .LBB90_145
.LBB90_119:                             ; =>This Inner Loop Header: Depth=1
	s_load_b64 s[26:27], s[22:23], 0x0
                                        ; implicit-def: $vgpr42_vgpr43
	s_mov_b32 s1, exec_lo
	s_wait_kmcnt 0x0
	s_delay_alu instid0(VALU_DEP_1) | instskip(NEXT) | instid1(VALU_DEP_1)
	v_or_b32_e32 v39, s27, v41
	v_cmpx_ne_u64_e32 0, v[38:39]
	s_xor_b32 s43, exec_lo, s1
	s_cbranch_execz .LBB90_121
; %bb.120:                              ;   in Loop: Header=BB90_119 Depth=1
	s_ashr_i32 s28, s27, 31
	v_dual_mov_b32 v47, v38 :: v_dual_ashrrev_i32 v42, 31, v41
	s_mov_b32 s29, s28
	v_mov_b32_e32 v55, v38
	s_add_nc_u64 s[30:31], s[26:27], s[28:29]
	s_delay_alu instid0(VALU_DEP_2) | instskip(SKIP_1) | instid1(SALU_CYCLE_1)
	v_mov_b32_e32 v43, v42
	s_xor_b64 s[30:31], s[30:31], s[28:29]
	s_cvt_f32_u32 s1, s30
	s_cvt_f32_u32 s24, s31
	s_sub_nc_u64 s[48:49], 0, s[30:31]
	v_add_nc_u64_e32 v[44:45], v[40:41], v[42:43]
	v_mov_b32_e32 v51, v38
	s_fmamk_f32 s1, s24, 0x4f800000, s1
	s_delay_alu instid0(SALU_CYCLE_3) | instskip(NEXT) | instid1(VALU_DEP_2)
	v_s_rcp_f32 s1, s1
	v_xor_b32_e32 v46, v44, v42
	s_delay_alu instid0(VALU_DEP_3) | instskip(NEXT) | instid1(TRANS32_DEP_1)
	v_xor_b32_e32 v50, v45, v42
	s_mul_f32 s1, s1, 0x5f7ffffc
	s_delay_alu instid0(SALU_CYCLE_3) | instskip(NEXT) | instid1(SALU_CYCLE_3)
	s_mul_f32 s24, s1, 0x2f800000
	s_trunc_f32 s24, s24
	s_delay_alu instid0(SALU_CYCLE_3) | instskip(SKIP_1) | instid1(SALU_CYCLE_2)
	s_fmamk_f32 s1, s24, 0xcf800000, s1
	s_cvt_u32_f32 s47, s24
	s_cvt_u32_f32 s46, s1
	s_delay_alu instid0(SALU_CYCLE_3) | instskip(NEXT) | instid1(SALU_CYCLE_1)
	s_mul_u64 s[50:51], s[48:49], s[46:47]
	s_mul_hi_u32 s53, s46, s51
	s_mul_i32 s52, s46, s51
	s_mul_hi_u32 s24, s46, s50
	s_mul_i32 s29, s47, s50
	s_add_nc_u64 s[52:53], s[24:25], s[52:53]
	s_mul_hi_u32 s1, s47, s50
	s_mul_hi_u32 s45, s47, s51
	s_add_co_u32 s24, s52, s29
	s_add_co_ci_u32 s24, s53, s1
	s_mul_i32 s50, s47, s51
	s_add_co_ci_u32 s51, s45, 0
	s_delay_alu instid0(SALU_CYCLE_1) | instskip(NEXT) | instid1(SALU_CYCLE_1)
	s_add_nc_u64 s[50:51], s[24:25], s[50:51]
	s_add_co_u32 s46, s46, s50
	s_cselect_b32 s1, -1, 0
	s_delay_alu instid0(SALU_CYCLE_1) | instskip(SKIP_1) | instid1(SALU_CYCLE_1)
	s_cmp_lg_u32 s1, 0
	s_add_co_ci_u32 s47, s47, s51
	s_mul_u64 s[48:49], s[48:49], s[46:47]
	s_delay_alu instid0(SALU_CYCLE_1)
	s_mul_hi_u32 s51, s46, s49
	s_mul_i32 s50, s46, s49
	s_mul_hi_u32 s24, s46, s48
	s_mul_i32 s29, s47, s48
	s_add_nc_u64 s[50:51], s[24:25], s[50:51]
	s_mul_hi_u32 s1, s47, s48
	s_mul_hi_u32 s45, s47, s49
	s_add_co_u32 s24, s50, s29
	s_add_co_ci_u32 s24, s51, s1
	s_mul_i32 s48, s47, s49
	s_add_co_ci_u32 s49, s45, 0
	s_delay_alu instid0(SALU_CYCLE_1) | instskip(NEXT) | instid1(SALU_CYCLE_1)
	s_add_nc_u64 s[48:49], s[24:25], s[48:49]
	s_add_co_u32 s46, s46, s48
	s_cselect_b32 s1, -1, 0
	v_mul_hi_u32 v54, v46, s46
	s_cmp_lg_u32 s1, 0
	s_add_co_ci_u32 s24, s47, s49
	s_and_b64 s[48:49], s[46:47], s[20:21]
	v_mul_u64_e32 v[48:49], s[24:25], v[46:47]
	v_mul_u64_e32 v[44:45], s[48:49], v[50:51]
	;; [unrolled: 1-line block ×3, first 2 shown]
	s_delay_alu instid0(VALU_DEP_3) | instskip(NEXT) | instid1(VALU_DEP_1)
	v_add_nc_u64_e32 v[48:49], v[54:55], v[48:49]
	v_add_co_u32 v39, vcc_lo, v48, v44
	s_delay_alu instid0(VALU_DEP_2) | instskip(NEXT) | instid1(VALU_DEP_4)
	v_add_co_ci_u32_e32 v54, vcc_lo, v49, v45, vcc_lo
	v_add_co_ci_u32_e32 v53, vcc_lo, 0, v53, vcc_lo
	s_delay_alu instid0(VALU_DEP_1) | instskip(NEXT) | instid1(VALU_DEP_1)
	v_add_nc_u64_e32 v[44:45], v[54:55], v[52:53]
	v_mul_u64_e32 v[48:49], s[30:31], v[44:45]
	s_delay_alu instid0(VALU_DEP_1) | instskip(NEXT) | instid1(VALU_DEP_2)
	v_sub_nc_u32_e32 v39, v50, v49
	v_sub_co_u32 v43, vcc_lo, v46, v48
	s_delay_alu instid0(VALU_DEP_1) | instskip(NEXT) | instid1(VALU_DEP_3)
	v_sub_co_ci_u32_e64 v50, null, v50, v49, vcc_lo
	v_subrev_co_ci_u32_e64 v39, null, s31, v39, vcc_lo
	s_delay_alu instid0(VALU_DEP_3) | instskip(SKIP_1) | instid1(VALU_DEP_3)
	v_sub_co_u32 v46, s1, v43, s30
	v_add_nc_u64_e32 v[48:49], 1, v[44:45]
	v_subrev_co_ci_u32_e64 v39, null, 0, v39, s1
	s_delay_alu instid0(VALU_DEP_3) | instskip(SKIP_1) | instid1(VALU_DEP_3)
	v_cmp_le_u32_e32 vcc_lo, s30, v46
	v_cndmask_b32_e64 v46, 0, -1, vcc_lo
	v_cmp_le_u32_e32 vcc_lo, s31, v39
	v_cndmask_b32_e64 v47, 0, -1, vcc_lo
	;; [unrolled: 2-line block ×4, first 2 shown]
	v_cmp_eq_u32_e32 vcc_lo, s31, v39
	v_cndmask_b32_e32 v39, v47, v46, vcc_lo
	v_cmp_eq_u32_e32 vcc_lo, s31, v50
	v_add_nc_u64_e32 v[46:47], 2, v[44:45]
	v_cndmask_b32_e32 v43, v51, v43, vcc_lo
	s_delay_alu instid0(VALU_DEP_4) | instskip(NEXT) | instid1(VALU_DEP_2)
	v_cmp_ne_u32_e32 vcc_lo, 0, v39
	v_cmp_ne_u32_e64 s1, 0, v43
	s_delay_alu instid0(VALU_DEP_4) | instskip(NEXT) | instid1(VALU_DEP_1)
	v_dual_cndmask_b32 v39, v49, v47, vcc_lo :: v_dual_cndmask_b32 v43, v48, v46, vcc_lo
	v_dual_cndmask_b32 v39, v45, v39, s1 :: v_dual_bitop2_b32 v42, s28, v42 bitop3:0x14
	s_delay_alu instid0(VALU_DEP_1) | instskip(NEXT) | instid1(VALU_DEP_2)
	v_dual_cndmask_b32 v44, v44, v43, s1 :: v_dual_mov_b32 v43, v42
	v_xor_b32_e32 v45, v39, v42
	s_delay_alu instid0(VALU_DEP_2) | instskip(NEXT) | instid1(VALU_DEP_1)
	v_xor_b32_e32 v44, v44, v42
	v_sub_nc_u64_e32 v[42:43], v[44:45], v[42:43]
.LBB90_121:                             ;   in Loop: Header=BB90_119 Depth=1
	s_and_not1_saveexec_b32 s1, s43
	s_cbranch_execz .LBB90_118
; %bb.122:                              ;   in Loop: Header=BB90_119 Depth=1
	v_cvt_f32_u32_e32 v39, s26
	s_sub_co_i32 s24, 0, s26
	s_delay_alu instid0(VALU_DEP_1) | instskip(SKIP_1) | instid1(TRANS32_DEP_1)
	v_rcp_iflag_f32_e32 v39, v39
	v_nop
	v_mul_f32_e32 v39, 0x4f7ffffe, v39
	s_delay_alu instid0(VALU_DEP_1) | instskip(NEXT) | instid1(VALU_DEP_1)
	v_cvt_u32_f32_e32 v39, v39
	v_mul_lo_u32 v42, s24, v39
	s_delay_alu instid0(VALU_DEP_1) | instskip(NEXT) | instid1(VALU_DEP_1)
	v_mul_hi_u32 v42, v39, v42
	v_add_nc_u32_e32 v39, v39, v42
	s_delay_alu instid0(VALU_DEP_1) | instskip(NEXT) | instid1(VALU_DEP_1)
	v_mul_hi_u32 v39, v40, v39
	v_mul_lo_u32 v42, v39, s26
	s_delay_alu instid0(VALU_DEP_1) | instskip(NEXT) | instid1(VALU_DEP_1)
	v_dual_add_nc_u32 v43, 1, v39 :: v_dual_sub_nc_u32 v42, v40, v42
	v_subrev_nc_u32_e32 v44, s26, v42
	v_cmp_le_u32_e32 vcc_lo, s26, v42
	s_delay_alu instid0(VALU_DEP_2) | instskip(NEXT) | instid1(VALU_DEP_1)
	v_dual_cndmask_b32 v42, v42, v44 :: v_dual_cndmask_b32 v39, v39, v43
	v_cmp_le_u32_e32 vcc_lo, s26, v42
	s_delay_alu instid0(VALU_DEP_2) | instskip(NEXT) | instid1(VALU_DEP_1)
	v_add_nc_u32_e32 v43, 1, v39
	v_dual_cndmask_b32 v42, v39, v43 :: v_dual_mov_b32 v43, v38
	s_branch .LBB90_118
.LBB90_123:
	s_wait_loadcnt 0x1
	v_sub_nc_u64_e32 v[12:13], v[4:5], v[2:3]
	s_and_not1_b32 s9, s39, exec_lo
	s_mov_b32 s7, exec_lo
	s_delay_alu instid0(VALU_DEP_1) | instskip(SKIP_2) | instid1(SALU_CYCLE_1)
	v_cmp_le_i64_e32 vcc_lo, v[10:11], v[12:13]
	v_cmp_ge_i64_e64 s1, s[10:11], v[12:13]
	s_and_b32 s1, vcc_lo, s1
	s_and_b32 s1, s35, s1
	s_delay_alu instid0(SALU_CYCLE_1) | instskip(NEXT) | instid1(SALU_CYCLE_1)
	s_xor_b32 s1, s1, -1
	s_and_b32 s1, s1, exec_lo
	s_delay_alu instid0(SALU_CYCLE_1)
	s_or_b32 s39, s9, s1
	s_or_b32 exec_lo, exec_lo, s8
	s_and_saveexec_b32 s1, s39
	s_cbranch_execz .LBB90_92
.LBB90_124:
	s_or_b32 s17, s17, exec_lo
	s_and_not1_b32 s7, s7, exec_lo
	s_trap 2
	s_or_b32 exec_lo, exec_lo, s1
	s_and_saveexec_b32 s22, s7
	s_cbranch_execz .LBB90_93
.LBB90_125:
	s_wait_loadcnt 0x2
	v_cmp_lt_i64_e32 vcc_lo, 0, v[6:7]
	v_mov_b64_e32 v[10:11], 0
	s_and_b32 s1, vcc_lo, s34
	s_delay_alu instid0(SALU_CYCLE_1)
	s_and_saveexec_b32 s23, s1
	s_cbranch_execz .LBB90_140
; %bb.126:
	s_wait_loadcnt 0x0
	v_mul_u64_e32 v[8:9], v[8:9], v[6:7]
	s_ashr_i32 s7, s6, 31
	v_mov_b64_e32 v[10:11], 0
	s_lshl_b64 s[8:9], s[6:7], 3
	v_mov_b32_e32 v6, 0
	s_add_nc_u64 s[8:9], s[18:19], s[8:9]
	s_mov_b64 s[6:7], 0xffffffff
	s_add_nc_u64 s[8:9], s[8:9], 32
	s_mov_b32 s11, 0
	s_branch .LBB90_128
.LBB90_127:                             ;   in Loop: Header=BB90_128 Depth=1
	s_or_b32 exec_lo, exec_lo, s1
	s_delay_alu instid0(VALU_DEP_1)
	v_mul_u64_e32 v[14:15], s[12:13], v[12:13]
	s_load_b64 s[12:13], s[8:9], 0x40
	s_add_co_i32 s14, s14, -1
	s_wait_xcnt 0x0
	s_add_nc_u64 s[8:9], s[8:9], -8
	s_cmp_lg_u32 s14, 0
	s_delay_alu instid0(VALU_DEP_1) | instskip(SKIP_1) | instid1(VALU_DEP_1)
	v_sub_nc_u64_e32 v[8:9], v[8:9], v[14:15]
	s_wait_kmcnt 0x0
	v_mad_nc_u64_u32 v[10:11], v8, s12, v[10:11]
	s_delay_alu instid0(VALU_DEP_1) | instskip(NEXT) | instid1(VALU_DEP_1)
	v_mad_u32 v7, v9, s12, v11
	v_mad_u32 v11, v8, s13, v7
	v_mov_b64_e32 v[8:9], v[12:13]
	s_cbranch_scc0 .LBB90_140
.LBB90_128:                             ; =>This Inner Loop Header: Depth=1
	s_load_b64 s[12:13], s[8:9], 0x0
                                        ; implicit-def: $vgpr12_vgpr13
	s_mov_b32 s1, exec_lo
	s_wait_kmcnt 0x0
	s_delay_alu instid0(VALU_DEP_1) | instskip(NEXT) | instid1(VALU_DEP_1)
	v_or_b32_e32 v7, s13, v9
	v_cmpx_ne_u64_e32 0, v[6:7]
	s_xor_b32 s24, exec_lo, s1
	s_cbranch_execz .LBB90_130
; %bb.129:                              ;   in Loop: Header=BB90_128 Depth=1
	s_ashr_i32 s18, s13, 31
	v_dual_mov_b32 v17, v6 :: v_dual_ashrrev_i32 v12, 31, v9
	s_mov_b32 s19, s18
	s_delay_alu instid0(SALU_CYCLE_1) | instskip(NEXT) | instid1(VALU_DEP_1)
	s_add_nc_u64 s[20:21], s[12:13], s[18:19]
	v_mov_b32_e32 v13, v12
	s_xor_b64 s[20:21], s[20:21], s[18:19]
	s_delay_alu instid0(SALU_CYCLE_1)
	s_cvt_f32_u32 s1, s20
	s_cvt_f32_u32 s10, s21
	s_sub_nc_u64 s[28:29], 0, s[20:21]
	v_add_nc_u64_e32 v[14:15], v[8:9], v[12:13]
	v_mov_b32_e32 v21, v6
	s_fmamk_f32 s1, s10, 0x4f800000, s1
	s_delay_alu instid0(SALU_CYCLE_3) | instskip(NEXT) | instid1(VALU_DEP_2)
	v_s_rcp_f32 s1, s1
	v_xor_b32_e32 v16, v14, v12
	s_delay_alu instid0(VALU_DEP_3) | instskip(SKIP_1) | instid1(TRANS32_DEP_1)
	v_dual_mov_b32 v25, v6 :: v_dual_bitop2_b32 v20, v15, v12 bitop3:0x14
	v_xor_b32_e32 v12, s18, v12
	s_mul_f32 s1, s1, 0x5f7ffffc
	s_delay_alu instid0(SALU_CYCLE_3) | instskip(NEXT) | instid1(SALU_CYCLE_3)
	s_mul_f32 s10, s1, 0x2f800000
	s_trunc_f32 s10, s10
	s_delay_alu instid0(SALU_CYCLE_3) | instskip(SKIP_1) | instid1(SALU_CYCLE_2)
	s_fmamk_f32 s1, s10, 0xcf800000, s1
	s_cvt_u32_f32 s27, s10
	s_cvt_u32_f32 s26, s1
	s_delay_alu instid0(SALU_CYCLE_3) | instskip(NEXT) | instid1(SALU_CYCLE_1)
	s_mul_u64 s[30:31], s[28:29], s[26:27]
	s_mul_hi_u32 s35, s26, s31
	s_mul_i32 s34, s26, s31
	s_mul_hi_u32 s10, s26, s30
	s_mul_i32 s19, s27, s30
	s_add_nc_u64 s[34:35], s[10:11], s[34:35]
	s_mul_hi_u32 s1, s27, s30
	s_mul_hi_u32 s25, s27, s31
	s_add_co_u32 s10, s34, s19
	s_add_co_ci_u32 s10, s35, s1
	s_mul_i32 s30, s27, s31
	s_add_co_ci_u32 s31, s25, 0
	s_delay_alu instid0(SALU_CYCLE_1) | instskip(NEXT) | instid1(SALU_CYCLE_1)
	s_add_nc_u64 s[30:31], s[10:11], s[30:31]
	s_add_co_u32 s26, s26, s30
	s_cselect_b32 s1, -1, 0
	s_delay_alu instid0(SALU_CYCLE_1) | instskip(SKIP_1) | instid1(SALU_CYCLE_1)
	s_cmp_lg_u32 s1, 0
	s_add_co_ci_u32 s27, s27, s31
	s_mul_u64 s[28:29], s[28:29], s[26:27]
	s_delay_alu instid0(SALU_CYCLE_1)
	s_mul_hi_u32 s31, s26, s29
	s_mul_i32 s30, s26, s29
	s_mul_hi_u32 s10, s26, s28
	s_mul_i32 s19, s27, s28
	s_add_nc_u64 s[30:31], s[10:11], s[30:31]
	s_mul_hi_u32 s1, s27, s28
	s_mul_hi_u32 s25, s27, s29
	s_add_co_u32 s10, s30, s19
	s_add_co_ci_u32 s10, s31, s1
	s_mul_i32 s28, s27, s29
	s_add_co_ci_u32 s29, s25, 0
	s_delay_alu instid0(SALU_CYCLE_1) | instskip(NEXT) | instid1(SALU_CYCLE_1)
	s_add_nc_u64 s[28:29], s[10:11], s[28:29]
	s_add_co_u32 s26, s26, s28
	s_cselect_b32 s1, -1, 0
	v_mul_hi_u32 v24, v16, s26
	s_cmp_lg_u32 s1, 0
	s_add_co_ci_u32 s10, s27, s29
	s_and_b64 s[28:29], s[26:27], s[6:7]
	v_mul_u64_e32 v[18:19], s[10:11], v[16:17]
	v_mul_u64_e32 v[14:15], s[28:29], v[20:21]
	;; [unrolled: 1-line block ×3, first 2 shown]
	s_delay_alu instid0(VALU_DEP_3) | instskip(NEXT) | instid1(VALU_DEP_1)
	v_add_nc_u64_e32 v[18:19], v[24:25], v[18:19]
	v_add_co_u32 v7, vcc_lo, v18, v14
	s_delay_alu instid0(VALU_DEP_2) | instskip(NEXT) | instid1(VALU_DEP_4)
	v_add_co_ci_u32_e32 v24, vcc_lo, v19, v15, vcc_lo
	v_add_co_ci_u32_e32 v23, vcc_lo, 0, v23, vcc_lo
	s_delay_alu instid0(VALU_DEP_1) | instskip(NEXT) | instid1(VALU_DEP_1)
	v_add_nc_u64_e32 v[14:15], v[24:25], v[22:23]
	v_mul_u64_e32 v[18:19], s[20:21], v[14:15]
	s_delay_alu instid0(VALU_DEP_1) | instskip(NEXT) | instid1(VALU_DEP_2)
	v_sub_nc_u32_e32 v7, v20, v19
	v_sub_co_u32 v13, vcc_lo, v16, v18
	s_delay_alu instid0(VALU_DEP_1) | instskip(NEXT) | instid1(VALU_DEP_3)
	v_sub_co_ci_u32_e64 v20, null, v20, v19, vcc_lo
	v_subrev_co_ci_u32_e64 v7, null, s21, v7, vcc_lo
	s_delay_alu instid0(VALU_DEP_3) | instskip(SKIP_1) | instid1(VALU_DEP_3)
	v_sub_co_u32 v16, s1, v13, s20
	v_add_nc_u64_e32 v[18:19], 1, v[14:15]
	v_subrev_co_ci_u32_e64 v7, null, 0, v7, s1
	s_delay_alu instid0(VALU_DEP_3) | instskip(SKIP_1) | instid1(VALU_DEP_3)
	v_cmp_le_u32_e32 vcc_lo, s20, v16
	v_cndmask_b32_e64 v16, 0, -1, vcc_lo
	v_cmp_le_u32_e32 vcc_lo, s21, v7
	v_cndmask_b32_e64 v17, 0, -1, vcc_lo
	v_cmp_le_u32_e32 vcc_lo, s20, v13
	v_cndmask_b32_e64 v13, 0, -1, vcc_lo
	v_cmp_le_u32_e32 vcc_lo, s21, v20
	v_cndmask_b32_e64 v21, 0, -1, vcc_lo
	v_cmp_eq_u32_e32 vcc_lo, s21, v7
	v_cndmask_b32_e32 v7, v17, v16, vcc_lo
	v_cmp_eq_u32_e32 vcc_lo, s21, v20
	v_add_nc_u64_e32 v[16:17], 2, v[14:15]
	v_cndmask_b32_e32 v13, v21, v13, vcc_lo
	s_delay_alu instid0(VALU_DEP_4) | instskip(NEXT) | instid1(VALU_DEP_2)
	v_cmp_ne_u32_e32 vcc_lo, 0, v7
	v_cmp_ne_u32_e64 s1, 0, v13
	s_delay_alu instid0(VALU_DEP_4) | instskip(NEXT) | instid1(VALU_DEP_1)
	v_dual_cndmask_b32 v7, v19, v17, vcc_lo :: v_dual_cndmask_b32 v13, v18, v16, vcc_lo
	v_dual_cndmask_b32 v14, v14, v13, s1 :: v_dual_mov_b32 v13, v12
	s_delay_alu instid0(VALU_DEP_1) | instskip(NEXT) | instid1(VALU_DEP_1)
	v_dual_cndmask_b32 v7, v15, v7, s1 :: v_dual_bitop2_b32 v14, v14, v12 bitop3:0x14
	v_xor_b32_e32 v15, v7, v12
	s_delay_alu instid0(VALU_DEP_1)
	v_sub_nc_u64_e32 v[12:13], v[14:15], v[12:13]
.LBB90_130:                             ;   in Loop: Header=BB90_128 Depth=1
	s_and_not1_saveexec_b32 s1, s24
	s_cbranch_execz .LBB90_127
; %bb.131:                              ;   in Loop: Header=BB90_128 Depth=1
	v_cvt_f32_u32_e32 v7, s12
	s_sub_co_i32 s10, 0, s12
	s_delay_alu instid0(VALU_DEP_1) | instskip(SKIP_1) | instid1(TRANS32_DEP_1)
	v_rcp_iflag_f32_e32 v7, v7
	v_nop
	v_mul_f32_e32 v7, 0x4f7ffffe, v7
	s_delay_alu instid0(VALU_DEP_1) | instskip(NEXT) | instid1(VALU_DEP_1)
	v_cvt_u32_f32_e32 v7, v7
	v_mul_lo_u32 v12, s10, v7
	s_delay_alu instid0(VALU_DEP_1) | instskip(NEXT) | instid1(VALU_DEP_1)
	v_mul_hi_u32 v12, v7, v12
	v_add_nc_u32_e32 v7, v7, v12
	s_delay_alu instid0(VALU_DEP_1) | instskip(NEXT) | instid1(VALU_DEP_1)
	v_mul_hi_u32 v7, v8, v7
	v_mul_lo_u32 v12, v7, s12
	s_delay_alu instid0(VALU_DEP_1) | instskip(NEXT) | instid1(VALU_DEP_1)
	v_dual_add_nc_u32 v13, 1, v7 :: v_dual_sub_nc_u32 v12, v8, v12
	v_subrev_nc_u32_e32 v14, s12, v12
	v_cmp_le_u32_e32 vcc_lo, s12, v12
	s_delay_alu instid0(VALU_DEP_2) | instskip(NEXT) | instid1(VALU_DEP_1)
	v_dual_cndmask_b32 v12, v12, v14 :: v_dual_cndmask_b32 v7, v7, v13
	v_cmp_le_u32_e32 vcc_lo, s12, v12
	s_delay_alu instid0(VALU_DEP_2) | instskip(NEXT) | instid1(VALU_DEP_1)
	v_add_nc_u32_e32 v13, 1, v7
	v_dual_cndmask_b32 v12, v7, v13 :: v_dual_mov_b32 v13, v6
	s_branch .LBB90_127
.LBB90_132:
	s_wait_loadcnt 0x4
	v_mov_b64_e32 v[2:3], 0
	s_wait_loadcnt 0x1
	v_dual_mov_b32 v0, v1 :: v_dual_bitop2_b32 v4, s16, v0 bitop3:0x54
	global_store_b64 v4, v[2:3], s[4:5] scale_offset
	s_wait_xcnt 0x0
	s_or_b32 exec_lo, exec_lo, s0
	s_delay_alu instid0(SALU_CYCLE_1)
	s_mov_b32 s0, exec_lo
	v_cmpx_gt_i32_e64 s33, v0
	s_cbranch_execz .LBB90_100
.LBB90_133:
	s_wait_loadcnt 0x4
	v_mov_b64_e32 v[2:3], 0
	v_add_nc_u32_e32 v1, s16, v0
	v_add_nc_u32_e32 v0, 0x100, v0
	global_store_b64 v1, v[2:3], s[4:5] scale_offset
	s_wait_xcnt 0x0
	s_or_b32 exec_lo, exec_lo, s0
	s_delay_alu instid0(SALU_CYCLE_1)
	s_mov_b32 s0, exec_lo
	v_cmpx_gt_i32_e64 s33, v0
	s_cbranch_execz .LBB90_101
.LBB90_134:
	s_wait_loadcnt 0x4
	v_mov_b64_e32 v[2:3], 0
	v_add_nc_u32_e32 v1, s16, v0
	v_add_nc_u32_e32 v0, 0x100, v0
	global_store_b64 v1, v[2:3], s[4:5] scale_offset
	s_wait_xcnt 0x0
	s_or_b32 exec_lo, exec_lo, s0
	s_delay_alu instid0(SALU_CYCLE_1)
	s_mov_b32 s0, exec_lo
	v_cmpx_gt_i32_e64 s33, v0
	s_cbranch_execnz .LBB90_102
	s_branch .LBB90_103
.LBB90_135:
	s_or_b32 exec_lo, exec_lo, s38
	s_mov_b32 s1, s36
	s_mov_b32 s0, exec_lo
	s_wait_loadcnt 0x0
	v_cmpx_gt_i64_e64 v[8:9], v[16:17]
	s_cbranch_execz .LBB90_151
; %bb.136:
	s_delay_alu instid0(VALU_DEP_2) | instskip(SKIP_2) | instid1(VALU_DEP_1)
	v_lshlrev_b64_e32 v[2:3], 3, v[2:3]
	s_mov_b32 s1, 0
	s_xor_b32 s3, s42, -1
                                        ; implicit-def: $sgpr2
	v_lshl_add_u64 v[4:5], v[16:17], 3, v[2:3]
	v_add_nc_u64_e32 v[6:7], s[24:25], v[2:3]
	s_delay_alu instid0(VALU_DEP_2) | instskip(NEXT) | instid1(VALU_DEP_1)
	v_add_nc_u64_e32 v[4:5], s[24:25], v[4:5]
                                        ; implicit-def: $sgpr25
                                        ; implicit-def: $sgpr24
	v_add_nc_u64_e32 v[2:3], 8, v[4:5]
	s_delay_alu instid0(VALU_DEP_3)
	v_lshl_add_u64 v[4:5], v[8:9], 3, v[6:7]
	s_branch .LBB90_138
.LBB90_137:                             ;   in Loop: Header=BB90_138 Depth=1
	s_or_b32 exec_lo, exec_lo, s26
	s_xor_b32 s26, s24, -1
	s_and_b32 s27, exec_lo, s25
	s_delay_alu instid0(SALU_CYCLE_1) | instskip(SKIP_2) | instid1(SALU_CYCLE_1)
	s_or_b32 s1, s27, s1
	s_and_not1_b32 s2, s2, exec_lo
	s_and_b32 s26, s26, exec_lo
	s_or_b32 s2, s2, s26
	s_and_not1_b32 exec_lo, exec_lo, s1
	s_cbranch_execz .LBB90_150
.LBB90_138:                             ; =>This Inner Loop Header: Depth=1
	s_or_b32 s24, s24, exec_lo
	s_or_b32 s25, s25, exec_lo
	s_mov_b32 s26, exec_lo
	s_delay_alu instid0(VALU_DEP_2)
	v_cmpx_lt_u64_e64 v[2:3], v[4:5]
	s_cbranch_execz .LBB90_137
; %bb.139:                              ;   in Loop: Header=BB90_138 Depth=1
	global_load_b128 v[6:9], v[2:3], off offset:-8
	s_wait_xcnt 0x0
	v_add_nc_u64_e32 v[2:3], 8, v[2:3]
	s_and_not1_b32 s25, s25, exec_lo
	s_and_not1_b32 s24, s24, exec_lo
	s_wait_loadcnt 0x0
	v_cmp_ge_i64_e32 vcc_lo, v[6:7], v[8:9]
	s_or_b32 s27, s3, vcc_lo
	s_delay_alu instid0(SALU_CYCLE_1) | instskip(NEXT) | instid1(SALU_CYCLE_1)
	s_and_b32 s27, s27, exec_lo
	s_or_b32 s25, s25, s27
	s_branch .LBB90_137
.LBB90_140:
	s_or_b32 exec_lo, exec_lo, s23
	s_mov_b32 s6, s37
	s_mov_b32 s1, exec_lo
	s_wait_loadcnt 0x1
	v_cmpx_gt_i64_e64 v[4:5], v[2:3]
	s_cbranch_execz .LBB90_154
; %bb.141:
	s_delay_alu instid0(VALU_DEP_2) | instskip(SKIP_1) | instid1(VALU_DEP_1)
	v_lshlrev_b64_e32 v[6:7], 3, v[10:11]
	s_xor_b32 s6, s15, -1
                                        ; implicit-def: $sgpr8
                                        ; implicit-def: $sgpr7
	v_lshl_add_u64 v[2:3], v[2:3], 3, v[6:7]
	v_add_nc_u64_e32 v[6:7], s[2:3], v[6:7]
	s_delay_alu instid0(VALU_DEP_2) | instskip(SKIP_1) | instid1(VALU_DEP_2)
	v_add_nc_u64_e32 v[2:3], s[2:3], v[2:3]
	s_mov_b32 s2, 0
                                        ; implicit-def: $sgpr3
	v_lshl_add_u64 v[4:5], v[4:5], 3, v[6:7]
	s_delay_alu instid0(VALU_DEP_2)
	v_add_nc_u64_e32 v[2:3], 8, v[2:3]
	s_branch .LBB90_143
.LBB90_142:                             ;   in Loop: Header=BB90_143 Depth=1
	s_or_b32 exec_lo, exec_lo, s9
	s_xor_b32 s9, s7, -1
	s_and_b32 s10, exec_lo, s8
	s_delay_alu instid0(SALU_CYCLE_1) | instskip(SKIP_2) | instid1(SALU_CYCLE_1)
	s_or_b32 s2, s10, s2
	s_and_not1_b32 s3, s3, exec_lo
	s_and_b32 s9, s9, exec_lo
	s_or_b32 s3, s3, s9
	s_and_not1_b32 exec_lo, exec_lo, s2
	s_cbranch_execz .LBB90_153
.LBB90_143:                             ; =>This Inner Loop Header: Depth=1
	s_or_b32 s7, s7, exec_lo
	s_or_b32 s8, s8, exec_lo
	s_mov_b32 s9, exec_lo
	s_delay_alu instid0(VALU_DEP_1)
	v_cmpx_lt_u64_e64 v[2:3], v[4:5]
	s_cbranch_execz .LBB90_142
; %bb.144:                              ;   in Loop: Header=BB90_143 Depth=1
	s_wait_loadcnt 0x0
	global_load_b128 v[6:9], v[2:3], off offset:-8
	s_wait_xcnt 0x0
	v_add_nc_u64_e32 v[2:3], 8, v[2:3]
	s_and_not1_b32 s8, s8, exec_lo
	s_and_not1_b32 s7, s7, exec_lo
	s_wait_loadcnt 0x0
	v_cmp_ge_i64_e32 vcc_lo, v[6:7], v[8:9]
	s_or_b32 s10, s6, vcc_lo
	s_delay_alu instid0(SALU_CYCLE_1) | instskip(NEXT) | instid1(SALU_CYCLE_1)
	s_and_b32 s10, s10, exec_lo
	s_or_b32 s8, s8, s10
	s_branch .LBB90_142
.LBB90_145:
	s_or_b32 exec_lo, exec_lo, s42
	s_mov_b32 s21, -1
	s_mov_b32 s7, 0
	s_mov_b32 s1, exec_lo
	v_cmpx_gt_i64_e64 v[34:35], v[32:33]
	s_cbranch_execz .LBB90_157
; %bb.146:
	s_delay_alu instid0(VALU_DEP_2) | instskip(SKIP_1) | instid1(VALU_DEP_1)
	v_lshlrev_b64_e32 v[36:37], 3, v[36:37]
	s_xor_b32 s21, s15, -1
                                        ; implicit-def: $sgpr20
                                        ; implicit-def: $sgpr23
                                        ; implicit-def: $sgpr22
	v_lshl_add_u64 v[32:33], v[32:33], 3, v[36:37]
	v_add_nc_u64_e32 v[36:37], s[2:3], v[36:37]
	s_delay_alu instid0(VALU_DEP_2) | instskip(NEXT) | instid1(VALU_DEP_2)
	v_add_nc_u64_e32 v[32:33], s[2:3], v[32:33]
	v_lshl_add_u64 v[34:35], v[34:35], 3, v[36:37]
	s_delay_alu instid0(VALU_DEP_2)
	v_add_nc_u64_e32 v[32:33], 8, v[32:33]
	s_branch .LBB90_148
.LBB90_147:                             ;   in Loop: Header=BB90_148 Depth=1
	s_or_b32 exec_lo, exec_lo, s24
	s_delay_alu instid0(SALU_CYCLE_1) | instskip(NEXT) | instid1(SALU_CYCLE_1)
	s_and_b32 s24, exec_lo, s23
	s_or_b32 s7, s24, s7
	s_and_not1_b32 s20, s20, exec_lo
	s_and_b32 s24, s22, exec_lo
	s_delay_alu instid0(SALU_CYCLE_1)
	s_or_b32 s20, s20, s24
	s_and_not1_b32 exec_lo, exec_lo, s7
	s_cbranch_execz .LBB90_156
.LBB90_148:                             ; =>This Inner Loop Header: Depth=1
	s_or_b32 s22, s22, exec_lo
	s_or_b32 s23, s23, exec_lo
	s_mov_b32 s24, exec_lo
	s_delay_alu instid0(VALU_DEP_1)
	v_cmpx_lt_u64_e64 v[32:33], v[34:35]
	s_cbranch_execz .LBB90_147
; %bb.149:                              ;   in Loop: Header=BB90_148 Depth=1
	global_load_b128 v[36:39], v[32:33], off offset:-8
	s_wait_xcnt 0x0
	v_add_nc_u64_e32 v[32:33], 8, v[32:33]
	s_and_not1_b32 s23, s23, exec_lo
	s_and_not1_b32 s22, s22, exec_lo
	s_wait_loadcnt 0x0
	v_cmp_ge_i64_e32 vcc_lo, v[36:37], v[38:39]
	s_or_b32 s25, s21, vcc_lo
	s_delay_alu instid0(SALU_CYCLE_1) | instskip(NEXT) | instid1(SALU_CYCLE_1)
	s_and_b32 s25, s25, exec_lo
	s_or_b32 s23, s23, s25
	s_branch .LBB90_147
.LBB90_150:
	s_or_b32 exec_lo, exec_lo, s1
	s_delay_alu instid0(SALU_CYCLE_1) | instskip(SKIP_1) | instid1(SALU_CYCLE_1)
	s_and_not1_b32 s1, s36, exec_lo
	s_and_b32 s2, s2, exec_lo
	s_or_b32 s1, s1, s2
.LBB90_151:
	s_or_b32 exec_lo, exec_lo, s0
	s_delay_alu instid0(SALU_CYCLE_1)
	s_and_not1_b32 s2, s36, exec_lo
	s_and_b32 s1, s1, exec_lo
	s_mov_b32 s0, exec_lo
	s_or_b32 s36, s2, s1
	s_or_b32 exec_lo, exec_lo, s37
	s_and_saveexec_b32 s1, s36
	s_cbranch_execz .LBB90_72
.LBB90_152:
	s_or_b32 s17, s17, exec_lo
	s_and_not1_b32 s0, s0, exec_lo
	s_trap 2
	s_or_b32 exec_lo, exec_lo, s1
	s_and_saveexec_b32 s1, s0
	s_delay_alu instid0(SALU_CYCLE_1)
	s_xor_b32 s0, exec_lo, s1
	s_cbranch_execnz .LBB90_73
	s_branch .LBB90_74
.LBB90_153:
	s_or_b32 exec_lo, exec_lo, s2
	s_delay_alu instid0(SALU_CYCLE_1) | instskip(SKIP_1) | instid1(SALU_CYCLE_1)
	s_and_not1_b32 s2, s37, exec_lo
	s_and_b32 s3, s3, exec_lo
	s_or_b32 s6, s2, s3
.LBB90_154:
	s_or_b32 exec_lo, exec_lo, s1
	s_delay_alu instid0(SALU_CYCLE_1)
	s_and_not1_b32 s1, s37, exec_lo
	s_and_b32 s2, s6, exec_lo
	s_or_b32 s40, s40, exec_lo
	s_or_b32 s37, s1, s2
	s_or_b32 exec_lo, exec_lo, s22
	s_and_saveexec_b32 s1, s37
	s_cbranch_execz .LBB90_94
.LBB90_155:
	s_and_not1_b32 s40, s40, exec_lo
	s_or_b32 s17, s17, exec_lo
	s_trap 2
	s_or_b32 exec_lo, exec_lo, s1
	s_and_saveexec_b32 s1, s17
	s_cbranch_execnz .LBB90_96
	s_branch .LBB90_97
.LBB90_156:
	s_or_b32 exec_lo, exec_lo, s7
	s_delay_alu instid0(SALU_CYCLE_1)
	s_mov_b32 s7, exec_lo
	s_or_not1_b32 s21, s20, exec_lo
.LBB90_157:
	s_or_b32 exec_lo, exec_lo, s1
	s_delay_alu instid0(SALU_CYCLE_1)
	s_and_b32 s20, s7, exec_lo
	s_xor_b32 s7, exec_lo, -1
	s_and_b32 s1, s21, exec_lo
.LBB90_158:
	s_or_b32 exec_lo, exec_lo, s41
	s_delay_alu instid0(SALU_CYCLE_1)
	s_and_b32 s21, s20, exec_lo
	s_and_b32 s20, s7, exec_lo
	s_xor_b32 s7, exec_lo, -1
	s_and_b32 s1, s1, exec_lo
.LBB90_159:
	s_or_b32 exec_lo, exec_lo, s39
	s_delay_alu instid0(SALU_CYCLE_1)
	s_and_b32 s22, s21, exec_lo
	s_and_b32 s21, s20, exec_lo
	;; [unrolled: 1-line block ×3, first 2 shown]
	s_xor_b32 s7, exec_lo, -1
	s_and_b32 s1, s1, exec_lo
.LBB90_160:
	s_or_b32 exec_lo, exec_lo, s37
	s_delay_alu instid0(SALU_CYCLE_1)
	s_and_b32 s37, s22, exec_lo
	s_and_b32 s39, s21, exec_lo
	;; [unrolled: 1-line block ×4, first 2 shown]
	s_or_not1_b32 s1, s1, exec_lo
	s_or_b32 exec_lo, exec_lo, s40
	s_mov_b32 s40, 0
	s_and_saveexec_b32 s43, s1
	s_cbranch_execz .LBB90_86
.LBB90_161:
	s_mov_b32 s1, -1
	s_mov_b32 s48, 0
	s_mov_b32 s44, s42
	s_mov_b32 s46, s41
	s_mov_b32 s45, s39
	s_mov_b32 s47, exec_lo
	v_cmpx_gt_i32_e64 s33, v1
	s_cbranch_execz .LBB90_182
; %bb.162:
	s_wait_loadcnt 0x3
	v_cmp_eq_u64_e32 vcc_lo, s[8:9], v[26:27]
	s_mov_b32 s7, -1
	s_mov_b32 s1, 0
	s_mov_b32 s21, s41
	;; [unrolled: 1-line block ×4, first 2 shown]
	s_and_b32 s23, s38, vcc_lo
	s_delay_alu instid0(SALU_CYCLE_1)
	s_and_saveexec_b32 s40, s23
	s_cbranch_execz .LBB90_181
; %bb.163:
	s_wait_loadcnt 0x2
	v_cmp_eq_u64_e32 vcc_lo, s[12:13], v[28:29]
	s_mov_b32 s21, s39
	s_and_b32 s22, s36, vcc_lo
	s_delay_alu instid0(SALU_CYCLE_1)
	s_and_saveexec_b32 s44, s22
	s_cbranch_execz .LBB90_180
; %bb.164:
	s_wait_loadcnt 0x1
	v_sub_nc_u64_e32 v[32:33], v[24:25], v[22:23]
	s_delay_alu instid0(VALU_DEP_1)
	v_cmp_le_i64_e32 vcc_lo, v[26:27], v[32:33]
	v_cmp_ge_i64_e64 s1, s[10:11], v[32:33]
	s_and_b32 s20, vcc_lo, s1
	s_mov_b32 s1, 0
	s_and_b32 s21, s35, s20
	s_mov_b32 s20, 0
	s_and_saveexec_b32 s45, s21
	s_cbranch_execz .LBB90_179
; %bb.165:
	v_cmp_lt_i64_e32 vcc_lo, 0, v[28:29]
	v_mov_b64_e32 v[26:27], 0
	s_and_b32 s1, vcc_lo, s34
	s_delay_alu instid0(SALU_CYCLE_1)
	s_and_saveexec_b32 s46, s1
	s_cbranch_execz .LBB90_172
; %bb.166:
	s_wait_loadcnt 0x0
	v_mul_u64_e32 v[30:31], v[30:31], v[28:29]
	s_ashr_i32 s7, s6, 31
	v_mov_b64_e32 v[26:27], 0
	s_lshl_b64 s[22:23], s[6:7], 3
	v_mov_b32_e32 v28, 0
	s_add_nc_u64 s[22:23], s[18:19], s[22:23]
	s_mov_b64 s[20:21], 0xffffffff
	s_add_nc_u64 s[22:23], s[22:23], 32
	s_mov_b32 s25, 0
	s_mov_b32 s7, s14
	s_branch .LBB90_168
.LBB90_167:                             ;   in Loop: Header=BB90_168 Depth=1
	s_or_b32 exec_lo, exec_lo, s1
	s_delay_alu instid0(VALU_DEP_1)
	v_mul_u64_e32 v[34:35], s[26:27], v[32:33]
	s_load_b64 s[26:27], s[22:23], 0x40
	s_add_co_i32 s7, s7, -1
	s_wait_xcnt 0x0
	s_add_nc_u64 s[22:23], s[22:23], -8
	s_cmp_lg_u32 s7, 0
	s_delay_alu instid0(VALU_DEP_1) | instskip(SKIP_1) | instid1(VALU_DEP_1)
	v_sub_nc_u64_e32 v[30:31], v[30:31], v[34:35]
	s_wait_kmcnt 0x0
	v_mad_nc_u64_u32 v[26:27], v30, s26, v[26:27]
	s_delay_alu instid0(VALU_DEP_1) | instskip(NEXT) | instid1(VALU_DEP_1)
	v_mad_u32 v27, v31, s26, v27
	v_mad_u32 v27, v30, s27, v27
	v_mov_b64_e32 v[30:31], v[32:33]
	s_cbranch_scc0 .LBB90_172
.LBB90_168:                             ; =>This Inner Loop Header: Depth=1
	s_load_b64 s[26:27], s[22:23], 0x0
                                        ; implicit-def: $vgpr32_vgpr33
	s_mov_b32 s1, exec_lo
	s_wait_kmcnt 0x0
	s_delay_alu instid0(VALU_DEP_1) | instskip(NEXT) | instid1(VALU_DEP_1)
	v_or_b32_e32 v29, s27, v31
	v_cmpx_ne_u64_e32 0, v[28:29]
	s_xor_b32 s49, exec_lo, s1
	s_cbranch_execz .LBB90_170
; %bb.169:                              ;   in Loop: Header=BB90_168 Depth=1
	s_ashr_i32 s28, s27, 31
	v_dual_mov_b32 v37, v28 :: v_dual_ashrrev_i32 v32, 31, v31
	s_mov_b32 s29, s28
	v_mov_b32_e32 v45, v28
	s_add_nc_u64 s[30:31], s[26:27], s[28:29]
	s_delay_alu instid0(VALU_DEP_2) | instskip(SKIP_1) | instid1(SALU_CYCLE_1)
	v_mov_b32_e32 v33, v32
	s_xor_b64 s[30:31], s[30:31], s[28:29]
	s_cvt_f32_u32 s1, s30
	s_cvt_f32_u32 s24, s31
	s_sub_nc_u64 s[52:53], 0, s[30:31]
	v_add_nc_u64_e32 v[34:35], v[30:31], v[32:33]
	v_mov_b32_e32 v41, v28
	s_fmamk_f32 s1, s24, 0x4f800000, s1
	s_delay_alu instid0(SALU_CYCLE_3) | instskip(NEXT) | instid1(VALU_DEP_2)
	v_s_rcp_f32 s1, s1
	v_xor_b32_e32 v36, v34, v32
	s_delay_alu instid0(VALU_DEP_3) | instskip(NEXT) | instid1(TRANS32_DEP_1)
	v_xor_b32_e32 v40, v35, v32
	s_mul_f32 s1, s1, 0x5f7ffffc
	s_delay_alu instid0(SALU_CYCLE_3) | instskip(NEXT) | instid1(SALU_CYCLE_3)
	s_mul_f32 s24, s1, 0x2f800000
	s_trunc_f32 s24, s24
	s_delay_alu instid0(SALU_CYCLE_3) | instskip(SKIP_1) | instid1(SALU_CYCLE_2)
	s_fmamk_f32 s1, s24, 0xcf800000, s1
	s_cvt_u32_f32 s51, s24
	s_cvt_u32_f32 s50, s1
	s_delay_alu instid0(SALU_CYCLE_3) | instskip(NEXT) | instid1(SALU_CYCLE_1)
	s_mul_u64 s[54:55], s[52:53], s[50:51]
	s_mul_hi_u32 s57, s50, s55
	s_mul_i32 s56, s50, s55
	s_mul_hi_u32 s24, s50, s54
	s_mul_i32 s29, s51, s54
	s_add_nc_u64 s[56:57], s[24:25], s[56:57]
	s_mul_hi_u32 s1, s51, s54
	s_mul_hi_u32 s58, s51, s55
	s_add_co_u32 s24, s56, s29
	s_add_co_ci_u32 s24, s57, s1
	s_mul_i32 s54, s51, s55
	s_add_co_ci_u32 s55, s58, 0
	s_delay_alu instid0(SALU_CYCLE_1) | instskip(NEXT) | instid1(SALU_CYCLE_1)
	s_add_nc_u64 s[54:55], s[24:25], s[54:55]
	s_add_co_u32 s50, s50, s54
	s_cselect_b32 s1, -1, 0
	s_delay_alu instid0(SALU_CYCLE_1) | instskip(SKIP_1) | instid1(SALU_CYCLE_1)
	s_cmp_lg_u32 s1, 0
	s_add_co_ci_u32 s51, s51, s55
	s_mul_u64 s[52:53], s[52:53], s[50:51]
	s_delay_alu instid0(SALU_CYCLE_1)
	s_mul_hi_u32 s55, s50, s53
	s_mul_i32 s54, s50, s53
	s_mul_hi_u32 s24, s50, s52
	s_mul_i32 s29, s51, s52
	s_add_nc_u64 s[54:55], s[24:25], s[54:55]
	s_mul_hi_u32 s1, s51, s52
	s_mul_hi_u32 s56, s51, s53
	s_add_co_u32 s24, s54, s29
	s_add_co_ci_u32 s24, s55, s1
	s_mul_i32 s52, s51, s53
	s_add_co_ci_u32 s53, s56, 0
	s_delay_alu instid0(SALU_CYCLE_1) | instskip(NEXT) | instid1(SALU_CYCLE_1)
	s_add_nc_u64 s[52:53], s[24:25], s[52:53]
	s_add_co_u32 s50, s50, s52
	s_cselect_b32 s1, -1, 0
	v_mul_hi_u32 v44, v36, s50
	s_cmp_lg_u32 s1, 0
	s_add_co_ci_u32 s24, s51, s53
	s_and_b64 s[52:53], s[50:51], s[20:21]
	v_mul_u64_e32 v[38:39], s[24:25], v[36:37]
	v_mul_u64_e32 v[34:35], s[52:53], v[40:41]
	v_mul_u64_e32 v[42:43], s[24:25], v[40:41]
	s_delay_alu instid0(VALU_DEP_3) | instskip(NEXT) | instid1(VALU_DEP_1)
	v_add_nc_u64_e32 v[38:39], v[44:45], v[38:39]
	v_add_co_u32 v29, vcc_lo, v38, v34
	s_delay_alu instid0(VALU_DEP_2) | instskip(NEXT) | instid1(VALU_DEP_4)
	v_add_co_ci_u32_e32 v44, vcc_lo, v39, v35, vcc_lo
	v_add_co_ci_u32_e32 v43, vcc_lo, 0, v43, vcc_lo
	s_delay_alu instid0(VALU_DEP_1) | instskip(NEXT) | instid1(VALU_DEP_1)
	v_add_nc_u64_e32 v[34:35], v[44:45], v[42:43]
	v_mul_u64_e32 v[38:39], s[30:31], v[34:35]
	s_delay_alu instid0(VALU_DEP_1) | instskip(NEXT) | instid1(VALU_DEP_2)
	v_sub_nc_u32_e32 v29, v40, v39
	v_sub_co_u32 v33, vcc_lo, v36, v38
	s_delay_alu instid0(VALU_DEP_1) | instskip(NEXT) | instid1(VALU_DEP_3)
	v_sub_co_ci_u32_e64 v40, null, v40, v39, vcc_lo
	v_subrev_co_ci_u32_e64 v29, null, s31, v29, vcc_lo
	s_delay_alu instid0(VALU_DEP_3) | instskip(SKIP_1) | instid1(VALU_DEP_3)
	v_sub_co_u32 v36, s1, v33, s30
	v_add_nc_u64_e32 v[38:39], 1, v[34:35]
	v_subrev_co_ci_u32_e64 v29, null, 0, v29, s1
	s_delay_alu instid0(VALU_DEP_3) | instskip(SKIP_1) | instid1(VALU_DEP_3)
	v_cmp_le_u32_e32 vcc_lo, s30, v36
	v_cndmask_b32_e64 v36, 0, -1, vcc_lo
	v_cmp_le_u32_e32 vcc_lo, s31, v29
	v_cndmask_b32_e64 v37, 0, -1, vcc_lo
	;; [unrolled: 2-line block ×4, first 2 shown]
	v_cmp_eq_u32_e32 vcc_lo, s31, v29
	v_cndmask_b32_e32 v29, v37, v36, vcc_lo
	v_cmp_eq_u32_e32 vcc_lo, s31, v40
	v_add_nc_u64_e32 v[36:37], 2, v[34:35]
	v_cndmask_b32_e32 v33, v41, v33, vcc_lo
	s_delay_alu instid0(VALU_DEP_4) | instskip(NEXT) | instid1(VALU_DEP_2)
	v_cmp_ne_u32_e32 vcc_lo, 0, v29
	v_cmp_ne_u32_e64 s1, 0, v33
	s_delay_alu instid0(VALU_DEP_4) | instskip(NEXT) | instid1(VALU_DEP_1)
	v_dual_cndmask_b32 v29, v39, v37, vcc_lo :: v_dual_cndmask_b32 v33, v38, v36, vcc_lo
	v_dual_cndmask_b32 v29, v35, v29, s1 :: v_dual_bitop2_b32 v32, s28, v32 bitop3:0x14
	s_delay_alu instid0(VALU_DEP_1) | instskip(NEXT) | instid1(VALU_DEP_2)
	v_dual_cndmask_b32 v34, v34, v33, s1 :: v_dual_mov_b32 v33, v32
	v_xor_b32_e32 v35, v29, v32
	s_delay_alu instid0(VALU_DEP_2) | instskip(NEXT) | instid1(VALU_DEP_1)
	v_xor_b32_e32 v34, v34, v32
	v_sub_nc_u64_e32 v[32:33], v[34:35], v[32:33]
.LBB90_170:                             ;   in Loop: Header=BB90_168 Depth=1
	s_and_not1_saveexec_b32 s1, s49
	s_cbranch_execz .LBB90_167
; %bb.171:                              ;   in Loop: Header=BB90_168 Depth=1
	v_cvt_f32_u32_e32 v29, s26
	s_sub_co_i32 s24, 0, s26
	s_delay_alu instid0(VALU_DEP_1) | instskip(SKIP_1) | instid1(TRANS32_DEP_1)
	v_rcp_iflag_f32_e32 v29, v29
	v_nop
	v_mul_f32_e32 v29, 0x4f7ffffe, v29
	s_delay_alu instid0(VALU_DEP_1) | instskip(NEXT) | instid1(VALU_DEP_1)
	v_cvt_u32_f32_e32 v29, v29
	v_mul_lo_u32 v32, s24, v29
	s_delay_alu instid0(VALU_DEP_1) | instskip(NEXT) | instid1(VALU_DEP_1)
	v_mul_hi_u32 v32, v29, v32
	v_add_nc_u32_e32 v29, v29, v32
	s_delay_alu instid0(VALU_DEP_1) | instskip(NEXT) | instid1(VALU_DEP_1)
	v_mul_hi_u32 v29, v30, v29
	v_mul_lo_u32 v32, v29, s26
	s_delay_alu instid0(VALU_DEP_1) | instskip(NEXT) | instid1(VALU_DEP_1)
	v_dual_add_nc_u32 v33, 1, v29 :: v_dual_sub_nc_u32 v32, v30, v32
	v_subrev_nc_u32_e32 v34, s26, v32
	v_cmp_le_u32_e32 vcc_lo, s26, v32
	s_delay_alu instid0(VALU_DEP_2) | instskip(NEXT) | instid1(VALU_DEP_1)
	v_dual_cndmask_b32 v32, v32, v34 :: v_dual_cndmask_b32 v29, v29, v33
	v_cmp_le_u32_e32 vcc_lo, s26, v32
	s_delay_alu instid0(VALU_DEP_2) | instskip(NEXT) | instid1(VALU_DEP_1)
	v_add_nc_u32_e32 v33, 1, v29
	v_dual_cndmask_b32 v32, v29, v33 :: v_dual_mov_b32 v33, v28
	s_branch .LBB90_167
.LBB90_172:
	s_or_b32 exec_lo, exec_lo, s46
	s_mov_b32 s21, -1
	s_mov_b32 s7, 0
	s_mov_b32 s1, exec_lo
	v_cmpx_gt_i64_e64 v[24:25], v[22:23]
	s_cbranch_execz .LBB90_178
; %bb.173:
	s_delay_alu instid0(VALU_DEP_2) | instskip(SKIP_1) | instid1(VALU_DEP_1)
	v_lshlrev_b64_e32 v[26:27], 3, v[26:27]
	s_xor_b32 s21, s15, -1
                                        ; implicit-def: $sgpr20
                                        ; implicit-def: $sgpr23
                                        ; implicit-def: $sgpr22
	v_lshl_add_u64 v[22:23], v[22:23], 3, v[26:27]
	v_add_nc_u64_e32 v[26:27], s[2:3], v[26:27]
	s_delay_alu instid0(VALU_DEP_2) | instskip(NEXT) | instid1(VALU_DEP_2)
	v_add_nc_u64_e32 v[22:23], s[2:3], v[22:23]
	v_lshl_add_u64 v[24:25], v[24:25], 3, v[26:27]
	s_delay_alu instid0(VALU_DEP_2)
	v_add_nc_u64_e32 v[22:23], 8, v[22:23]
	s_branch .LBB90_175
.LBB90_174:                             ;   in Loop: Header=BB90_175 Depth=1
	s_or_b32 exec_lo, exec_lo, s24
	s_delay_alu instid0(SALU_CYCLE_1) | instskip(NEXT) | instid1(SALU_CYCLE_1)
	s_and_b32 s24, exec_lo, s23
	s_or_b32 s7, s24, s7
	s_and_not1_b32 s20, s20, exec_lo
	s_and_b32 s24, s22, exec_lo
	s_delay_alu instid0(SALU_CYCLE_1)
	s_or_b32 s20, s20, s24
	s_and_not1_b32 exec_lo, exec_lo, s7
	s_cbranch_execz .LBB90_177
.LBB90_175:                             ; =>This Inner Loop Header: Depth=1
	s_or_b32 s22, s22, exec_lo
	s_or_b32 s23, s23, exec_lo
	s_mov_b32 s24, exec_lo
	s_delay_alu instid0(VALU_DEP_1)
	v_cmpx_lt_u64_e64 v[22:23], v[24:25]
	s_cbranch_execz .LBB90_174
; %bb.176:                              ;   in Loop: Header=BB90_175 Depth=1
	global_load_b128 v[26:29], v[22:23], off offset:-8
	s_wait_xcnt 0x0
	v_add_nc_u64_e32 v[22:23], 8, v[22:23]
	s_and_not1_b32 s23, s23, exec_lo
	s_and_not1_b32 s22, s22, exec_lo
	s_wait_loadcnt 0x0
	v_cmp_ge_i64_e32 vcc_lo, v[26:27], v[28:29]
	s_or_b32 s25, s21, vcc_lo
	s_delay_alu instid0(SALU_CYCLE_1) | instskip(NEXT) | instid1(SALU_CYCLE_1)
	s_and_b32 s25, s25, exec_lo
	s_or_b32 s23, s23, s25
	s_branch .LBB90_174
.LBB90_177:
	s_or_b32 exec_lo, exec_lo, s7
	s_delay_alu instid0(SALU_CYCLE_1)
	s_mov_b32 s7, exec_lo
	s_or_not1_b32 s21, s20, exec_lo
.LBB90_178:
	s_or_b32 exec_lo, exec_lo, s1
	s_delay_alu instid0(SALU_CYCLE_1)
	s_and_b32 s20, s7, exec_lo
	s_xor_b32 s7, exec_lo, -1
	s_and_b32 s1, s21, exec_lo
.LBB90_179:
	s_or_b32 exec_lo, exec_lo, s45
	s_delay_alu instid0(SALU_CYCLE_1)
	s_and_not1_b32 s21, s39, exec_lo
	s_and_b32 s7, s7, exec_lo
	s_and_b32 s20, s20, exec_lo
	s_or_b32 s21, s21, s7
	s_xor_b32 s7, exec_lo, -1
	s_and_b32 s1, s1, exec_lo
.LBB90_180:
	s_or_b32 exec_lo, exec_lo, s44
	s_delay_alu instid0(SALU_CYCLE_1)
	s_and_not1_b32 s22, s39, exec_lo
	s_and_b32 s21, s21, exec_lo
	s_and_not1_b32 s23, s41, exec_lo
	s_and_b32 s7, s7, exec_lo
	s_and_b32 s20, s20, exec_lo
	s_or_b32 s22, s22, s21
	s_or_b32 s21, s23, s7
	s_xor_b32 s7, exec_lo, -1
	s_and_b32 s1, s1, exec_lo
.LBB90_181:
	s_or_b32 exec_lo, exec_lo, s40
	s_delay_alu instid0(SALU_CYCLE_1)
	s_and_not1_b32 s23, s39, exec_lo
	s_and_b32 s22, s22, exec_lo
	s_and_b32 s40, s20, exec_lo
	s_or_b32 s45, s23, s22
	s_and_not1_b32 s20, s41, exec_lo
	s_and_b32 s21, s21, exec_lo
	s_and_not1_b32 s22, s42, exec_lo
	s_and_b32 s7, s7, exec_lo
	s_or_b32 s46, s20, s21
	s_or_b32 s44, s22, s7
	s_or_not1_b32 s1, s1, exec_lo
.LBB90_182:
	s_or_b32 exec_lo, exec_lo, s47
	s_mov_b32 s21, 0
	s_and_saveexec_b32 s47, s1
	s_cbranch_execz .LBB90_209
; %bb.183:
	s_wait_loadcnt 0x4
	v_or_b32_e32 v22, 0x200, v0
	s_mov_b32 s23, -1
	s_mov_b32 s48, 0
	s_mov_b32 s1, s44
	s_mov_b32 s20, s46
	s_mov_b32 s7, s45
	s_mov_b32 s49, exec_lo
	v_cmpx_gt_i32_e64 s33, v22
	s_cbranch_execz .LBB90_204
; %bb.184:
	s_wait_loadcnt 0x3
	v_cmp_eq_u64_e32 vcc_lo, s[8:9], v[20:21]
	s_mov_b32 s1, -1
	s_mov_b32 s22, 0
	s_mov_b32 s23, s46
	;; [unrolled: 1-line block ×4, first 2 shown]
	s_and_b32 s20, s38, vcc_lo
	s_delay_alu instid0(SALU_CYCLE_1)
	s_and_saveexec_b32 s50, s20
	s_cbranch_execz .LBB90_203
; %bb.185:
	s_wait_loadcnt 0x2
	v_cmp_eq_u64_e32 vcc_lo, s[12:13], v[16:17]
	s_mov_b32 s20, 0
	s_mov_b32 s21, s45
	s_and_b32 s7, s36, vcc_lo
	s_delay_alu instid0(SALU_CYCLE_1)
	s_and_saveexec_b32 s51, s7
	s_cbranch_execz .LBB90_202
; %bb.186:
	s_wait_loadcnt 0x1
	v_sub_nc_u64_e32 v[22:23], v[14:15], v[12:13]
	s_mov_b32 s20, -1
	s_mov_b32 s7, 0
	s_delay_alu instid0(VALU_DEP_1) | instskip(SKIP_2) | instid1(SALU_CYCLE_1)
	v_cmp_le_i64_e32 vcc_lo, v[20:21], v[22:23]
	v_cmp_ge_i64_e64 s1, s[10:11], v[22:23]
	s_and_b32 s1, vcc_lo, s1
	s_and_b32 s21, s35, s1
	s_mov_b32 s1, 0
	s_and_saveexec_b32 s52, s21
	s_cbranch_execz .LBB90_201
; %bb.187:
	v_cmp_lt_i64_e32 vcc_lo, 0, v[16:17]
	v_mov_b64_e32 v[20:21], 0
	s_and_b32 s1, vcc_lo, s34
	s_delay_alu instid0(SALU_CYCLE_1)
	s_and_saveexec_b32 s53, s1
	s_cbranch_execz .LBB90_194
; %bb.188:
	s_wait_loadcnt 0x0
	v_mul_u64_e32 v[18:19], v[18:19], v[16:17]
	s_ashr_i32 s7, s6, 31
	v_mov_b64_e32 v[20:21], 0
	s_lshl_b64 s[22:23], s[6:7], 3
	v_mov_b32_e32 v16, 0
	s_add_nc_u64 s[22:23], s[18:19], s[22:23]
	s_mov_b64 s[20:21], 0xffffffff
	s_add_nc_u64 s[22:23], s[22:23], 32
	s_mov_b32 s25, 0
	s_mov_b32 s7, s14
	s_branch .LBB90_190
.LBB90_189:                             ;   in Loop: Header=BB90_190 Depth=1
	s_or_b32 exec_lo, exec_lo, s1
	s_delay_alu instid0(VALU_DEP_1)
	v_mul_u64_e32 v[24:25], s[26:27], v[22:23]
	s_load_b64 s[26:27], s[22:23], 0x40
	s_add_co_i32 s7, s7, -1
	s_wait_xcnt 0x0
	s_add_nc_u64 s[22:23], s[22:23], -8
	s_cmp_lg_u32 s7, 0
	s_delay_alu instid0(VALU_DEP_1) | instskip(SKIP_1) | instid1(VALU_DEP_1)
	v_sub_nc_u64_e32 v[18:19], v[18:19], v[24:25]
	s_wait_kmcnt 0x0
	v_mad_nc_u64_u32 v[20:21], v18, s26, v[20:21]
	s_delay_alu instid0(VALU_DEP_1) | instskip(NEXT) | instid1(VALU_DEP_1)
	v_mad_u32 v17, v19, s26, v21
	v_mad_u32 v21, v18, s27, v17
	v_mov_b64_e32 v[18:19], v[22:23]
	s_cbranch_scc0 .LBB90_194
.LBB90_190:                             ; =>This Inner Loop Header: Depth=1
	s_load_b64 s[26:27], s[22:23], 0x0
                                        ; implicit-def: $vgpr22_vgpr23
	s_mov_b32 s1, exec_lo
	s_wait_kmcnt 0x0
	s_delay_alu instid0(VALU_DEP_1) | instskip(NEXT) | instid1(VALU_DEP_1)
	v_or_b32_e32 v17, s27, v19
	v_cmpx_ne_u64_e32 0, v[16:17]
	s_xor_b32 s54, exec_lo, s1
	s_cbranch_execz .LBB90_192
; %bb.191:                              ;   in Loop: Header=BB90_190 Depth=1
	s_ashr_i32 s28, s27, 31
	v_dual_mov_b32 v27, v16 :: v_dual_ashrrev_i32 v22, 31, v19
	s_mov_b32 s29, s28
	s_delay_alu instid0(SALU_CYCLE_1) | instskip(NEXT) | instid1(VALU_DEP_1)
	s_add_nc_u64 s[30:31], s[26:27], s[28:29]
	v_mov_b32_e32 v23, v22
	s_xor_b64 s[30:31], s[30:31], s[28:29]
	s_delay_alu instid0(SALU_CYCLE_1)
	s_cvt_f32_u32 s1, s30
	s_cvt_f32_u32 s24, s31
	s_sub_nc_u64 s[58:59], 0, s[30:31]
	v_add_nc_u64_e32 v[24:25], v[18:19], v[22:23]
	v_mov_b32_e32 v31, v16
	s_fmamk_f32 s1, s24, 0x4f800000, s1
	s_delay_alu instid0(SALU_CYCLE_3) | instskip(NEXT) | instid1(VALU_DEP_2)
	v_s_rcp_f32 s1, s1
	v_xor_b32_e32 v26, v24, v22
	s_delay_alu instid0(VALU_DEP_3) | instskip(SKIP_1) | instid1(TRANS32_DEP_1)
	v_dual_mov_b32 v35, v16 :: v_dual_bitop2_b32 v30, v25, v22 bitop3:0x14
	v_xor_b32_e32 v22, s28, v22
	s_mul_f32 s1, s1, 0x5f7ffffc
	s_delay_alu instid0(SALU_CYCLE_3) | instskip(NEXT) | instid1(SALU_CYCLE_3)
	s_mul_f32 s24, s1, 0x2f800000
	s_trunc_f32 s24, s24
	s_delay_alu instid0(SALU_CYCLE_3) | instskip(SKIP_1) | instid1(SALU_CYCLE_2)
	s_fmamk_f32 s1, s24, 0xcf800000, s1
	s_cvt_u32_f32 s57, s24
	s_cvt_u32_f32 s56, s1
	s_delay_alu instid0(SALU_CYCLE_3) | instskip(NEXT) | instid1(SALU_CYCLE_1)
	s_mul_u64 s[60:61], s[58:59], s[56:57]
	s_mul_hi_u32 s63, s56, s61
	s_mul_i32 s62, s56, s61
	s_mul_hi_u32 s24, s56, s60
	s_mul_i32 s29, s57, s60
	s_add_nc_u64 s[62:63], s[24:25], s[62:63]
	s_mul_hi_u32 s1, s57, s60
	s_mul_hi_u32 s55, s57, s61
	s_add_co_u32 s24, s62, s29
	s_add_co_ci_u32 s24, s63, s1
	s_mul_i32 s60, s57, s61
	s_add_co_ci_u32 s61, s55, 0
	s_delay_alu instid0(SALU_CYCLE_1) | instskip(NEXT) | instid1(SALU_CYCLE_1)
	s_add_nc_u64 s[60:61], s[24:25], s[60:61]
	s_add_co_u32 s56, s56, s60
	s_cselect_b32 s1, -1, 0
	s_delay_alu instid0(SALU_CYCLE_1) | instskip(SKIP_1) | instid1(SALU_CYCLE_1)
	s_cmp_lg_u32 s1, 0
	s_add_co_ci_u32 s57, s57, s61
	s_mul_u64 s[58:59], s[58:59], s[56:57]
	s_delay_alu instid0(SALU_CYCLE_1)
	s_mul_hi_u32 s61, s56, s59
	s_mul_i32 s60, s56, s59
	s_mul_hi_u32 s24, s56, s58
	s_mul_i32 s29, s57, s58
	s_add_nc_u64 s[60:61], s[24:25], s[60:61]
	s_mul_hi_u32 s1, s57, s58
	s_mul_hi_u32 s55, s57, s59
	s_add_co_u32 s24, s60, s29
	s_add_co_ci_u32 s24, s61, s1
	s_mul_i32 s58, s57, s59
	s_add_co_ci_u32 s59, s55, 0
	s_delay_alu instid0(SALU_CYCLE_1) | instskip(NEXT) | instid1(SALU_CYCLE_1)
	s_add_nc_u64 s[58:59], s[24:25], s[58:59]
	s_add_co_u32 s56, s56, s58
	s_cselect_b32 s1, -1, 0
	v_mul_hi_u32 v34, v26, s56
	s_cmp_lg_u32 s1, 0
	s_add_co_ci_u32 s24, s57, s59
	s_and_b64 s[58:59], s[56:57], s[20:21]
	v_mul_u64_e32 v[28:29], s[24:25], v[26:27]
	v_mul_u64_e32 v[24:25], s[58:59], v[30:31]
	;; [unrolled: 1-line block ×3, first 2 shown]
	s_delay_alu instid0(VALU_DEP_3) | instskip(NEXT) | instid1(VALU_DEP_1)
	v_add_nc_u64_e32 v[28:29], v[34:35], v[28:29]
	v_add_co_u32 v17, vcc_lo, v28, v24
	s_delay_alu instid0(VALU_DEP_2) | instskip(NEXT) | instid1(VALU_DEP_4)
	v_add_co_ci_u32_e32 v34, vcc_lo, v29, v25, vcc_lo
	v_add_co_ci_u32_e32 v33, vcc_lo, 0, v33, vcc_lo
	s_delay_alu instid0(VALU_DEP_1) | instskip(NEXT) | instid1(VALU_DEP_1)
	v_add_nc_u64_e32 v[24:25], v[34:35], v[32:33]
	v_mul_u64_e32 v[28:29], s[30:31], v[24:25]
	s_delay_alu instid0(VALU_DEP_1) | instskip(NEXT) | instid1(VALU_DEP_2)
	v_sub_nc_u32_e32 v17, v30, v29
	v_sub_co_u32 v23, vcc_lo, v26, v28
	s_delay_alu instid0(VALU_DEP_1) | instskip(NEXT) | instid1(VALU_DEP_3)
	v_sub_co_ci_u32_e64 v30, null, v30, v29, vcc_lo
	v_subrev_co_ci_u32_e64 v17, null, s31, v17, vcc_lo
	s_delay_alu instid0(VALU_DEP_3) | instskip(SKIP_1) | instid1(VALU_DEP_3)
	v_sub_co_u32 v26, s1, v23, s30
	v_add_nc_u64_e32 v[28:29], 1, v[24:25]
	v_subrev_co_ci_u32_e64 v17, null, 0, v17, s1
	s_delay_alu instid0(VALU_DEP_3) | instskip(SKIP_1) | instid1(VALU_DEP_3)
	v_cmp_le_u32_e32 vcc_lo, s30, v26
	v_cndmask_b32_e64 v26, 0, -1, vcc_lo
	v_cmp_le_u32_e32 vcc_lo, s31, v17
	v_cndmask_b32_e64 v27, 0, -1, vcc_lo
	;; [unrolled: 2-line block ×4, first 2 shown]
	v_cmp_eq_u32_e32 vcc_lo, s31, v17
	v_cndmask_b32_e32 v17, v27, v26, vcc_lo
	v_cmp_eq_u32_e32 vcc_lo, s31, v30
	v_add_nc_u64_e32 v[26:27], 2, v[24:25]
	v_cndmask_b32_e32 v23, v31, v23, vcc_lo
	s_delay_alu instid0(VALU_DEP_4) | instskip(NEXT) | instid1(VALU_DEP_2)
	v_cmp_ne_u32_e32 vcc_lo, 0, v17
	v_cmp_ne_u32_e64 s1, 0, v23
	s_delay_alu instid0(VALU_DEP_4) | instskip(NEXT) | instid1(VALU_DEP_1)
	v_dual_cndmask_b32 v17, v29, v27, vcc_lo :: v_dual_cndmask_b32 v23, v28, v26, vcc_lo
	v_dual_cndmask_b32 v24, v24, v23, s1 :: v_dual_mov_b32 v23, v22
	s_delay_alu instid0(VALU_DEP_1) | instskip(NEXT) | instid1(VALU_DEP_1)
	v_dual_cndmask_b32 v17, v25, v17, s1 :: v_dual_bitop2_b32 v24, v24, v22 bitop3:0x14
	v_xor_b32_e32 v25, v17, v22
	s_delay_alu instid0(VALU_DEP_1)
	v_sub_nc_u64_e32 v[22:23], v[24:25], v[22:23]
.LBB90_192:                             ;   in Loop: Header=BB90_190 Depth=1
	s_and_not1_saveexec_b32 s1, s54
	s_cbranch_execz .LBB90_189
; %bb.193:                              ;   in Loop: Header=BB90_190 Depth=1
	v_cvt_f32_u32_e32 v17, s26
	s_sub_co_i32 s24, 0, s26
	s_delay_alu instid0(VALU_DEP_1) | instskip(SKIP_1) | instid1(TRANS32_DEP_1)
	v_rcp_iflag_f32_e32 v17, v17
	v_nop
	v_mul_f32_e32 v17, 0x4f7ffffe, v17
	s_delay_alu instid0(VALU_DEP_1) | instskip(NEXT) | instid1(VALU_DEP_1)
	v_cvt_u32_f32_e32 v17, v17
	v_mul_lo_u32 v22, s24, v17
	s_delay_alu instid0(VALU_DEP_1) | instskip(NEXT) | instid1(VALU_DEP_1)
	v_mul_hi_u32 v22, v17, v22
	v_add_nc_u32_e32 v17, v17, v22
	s_delay_alu instid0(VALU_DEP_1) | instskip(NEXT) | instid1(VALU_DEP_1)
	v_mul_hi_u32 v17, v18, v17
	v_mul_lo_u32 v22, v17, s26
	s_delay_alu instid0(VALU_DEP_1) | instskip(NEXT) | instid1(VALU_DEP_1)
	v_dual_add_nc_u32 v23, 1, v17 :: v_dual_sub_nc_u32 v22, v18, v22
	v_subrev_nc_u32_e32 v24, s26, v22
	v_cmp_le_u32_e32 vcc_lo, s26, v22
	s_delay_alu instid0(VALU_DEP_2) | instskip(NEXT) | instid1(VALU_DEP_1)
	v_dual_cndmask_b32 v22, v22, v24 :: v_dual_cndmask_b32 v17, v17, v23
	v_cmp_le_u32_e32 vcc_lo, s26, v22
	s_delay_alu instid0(VALU_DEP_2) | instskip(NEXT) | instid1(VALU_DEP_1)
	v_add_nc_u32_e32 v23, 1, v17
	v_dual_cndmask_b32 v22, v17, v23 :: v_dual_mov_b32 v23, v16
	s_branch .LBB90_189
.LBB90_194:
	s_or_b32 exec_lo, exec_lo, s53
	s_mov_b32 s7, -1
	s_mov_b32 s21, 0
	s_mov_b32 s1, exec_lo
	v_cmpx_gt_i64_e64 v[14:15], v[12:13]
	s_cbranch_execz .LBB90_200
; %bb.195:
	s_delay_alu instid0(VALU_DEP_2) | instskip(SKIP_2) | instid1(VALU_DEP_1)
	v_lshlrev_b64_e32 v[16:17], 3, v[20:21]
	s_mov_b32 s7, 0
	s_xor_b32 s21, s15, -1
                                        ; implicit-def: $sgpr20
                                        ; implicit-def: $sgpr23
                                        ; implicit-def: $sgpr22
	v_lshl_add_u64 v[12:13], v[12:13], 3, v[16:17]
	v_add_nc_u64_e32 v[16:17], s[2:3], v[16:17]
	s_delay_alu instid0(VALU_DEP_2) | instskip(NEXT) | instid1(VALU_DEP_2)
	v_add_nc_u64_e32 v[12:13], s[2:3], v[12:13]
	v_lshl_add_u64 v[14:15], v[14:15], 3, v[16:17]
	s_delay_alu instid0(VALU_DEP_2)
	v_add_nc_u64_e32 v[12:13], 8, v[12:13]
	s_branch .LBB90_197
.LBB90_196:                             ;   in Loop: Header=BB90_197 Depth=1
	s_or_b32 exec_lo, exec_lo, s24
	s_delay_alu instid0(SALU_CYCLE_1) | instskip(NEXT) | instid1(SALU_CYCLE_1)
	s_and_b32 s24, exec_lo, s23
	s_or_b32 s7, s24, s7
	s_and_not1_b32 s20, s20, exec_lo
	s_and_b32 s24, s22, exec_lo
	s_delay_alu instid0(SALU_CYCLE_1)
	s_or_b32 s20, s20, s24
	s_and_not1_b32 exec_lo, exec_lo, s7
	s_cbranch_execz .LBB90_199
.LBB90_197:                             ; =>This Inner Loop Header: Depth=1
	s_or_b32 s22, s22, exec_lo
	s_or_b32 s23, s23, exec_lo
	s_mov_b32 s24, exec_lo
	s_delay_alu instid0(VALU_DEP_1)
	v_cmpx_lt_u64_e64 v[12:13], v[14:15]
	s_cbranch_execz .LBB90_196
; %bb.198:                              ;   in Loop: Header=BB90_197 Depth=1
	s_wait_loadcnt 0x0
	global_load_b128 v[16:19], v[12:13], off offset:-8
	s_wait_xcnt 0x0
	v_add_nc_u64_e32 v[12:13], 8, v[12:13]
	s_and_not1_b32 s23, s23, exec_lo
	s_and_not1_b32 s22, s22, exec_lo
	s_wait_loadcnt 0x0
	v_cmp_ge_i64_e32 vcc_lo, v[16:17], v[18:19]
	s_or_b32 s25, s21, vcc_lo
	s_delay_alu instid0(SALU_CYCLE_1) | instskip(NEXT) | instid1(SALU_CYCLE_1)
	s_and_b32 s25, s25, exec_lo
	s_or_b32 s23, s23, s25
	s_branch .LBB90_196
.LBB90_199:
	s_or_b32 exec_lo, exec_lo, s7
	s_delay_alu instid0(SALU_CYCLE_1)
	s_mov_b32 s21, exec_lo
	s_or_not1_b32 s7, s20, exec_lo
.LBB90_200:
	s_or_b32 exec_lo, exec_lo, s1
	s_delay_alu instid0(SALU_CYCLE_1)
	s_and_b32 s1, s21, exec_lo
	s_xor_b32 s20, exec_lo, -1
	s_and_b32 s7, s7, exec_lo
.LBB90_201:
	s_or_b32 exec_lo, exec_lo, s52
	s_delay_alu instid0(SALU_CYCLE_1)
	s_and_not1_b32 s21, s45, exec_lo
	s_and_b32 s20, s20, exec_lo
	s_and_b32 s22, s1, exec_lo
	s_or_b32 s21, s21, s20
	s_xor_b32 s1, exec_lo, -1
	s_and_b32 s20, s7, exec_lo
.LBB90_202:
	s_or_b32 exec_lo, exec_lo, s51
	s_delay_alu instid0(SALU_CYCLE_1)
	s_and_b32 s7, s22, exec_lo
	s_and_not1_b32 s22, s45, exec_lo
	s_and_b32 s21, s21, exec_lo
	s_and_not1_b32 s23, s46, exec_lo
	s_and_b32 s1, s1, exec_lo
	s_or_b32 s21, s22, s21
	s_or_b32 s23, s23, s1
	s_xor_b32 s1, exec_lo, -1
	s_and_b32 s22, s20, exec_lo
.LBB90_203:
	s_or_b32 exec_lo, exec_lo, s50
	s_delay_alu instid0(SALU_CYCLE_1)
	s_and_not1_b32 s20, s45, exec_lo
	s_and_b32 s24, s21, exec_lo
	s_and_b32 s21, s7, exec_lo
	s_or_b32 s7, s20, s24
	s_and_not1_b32 s20, s46, exec_lo
	s_and_b32 s23, s23, exec_lo
	s_and_not1_b32 s24, s44, exec_lo
	s_and_b32 s1, s1, exec_lo
	s_or_b32 s20, s20, s23
	s_or_b32 s1, s24, s1
	s_or_not1_b32 s23, s22, exec_lo
.LBB90_204:
	s_or_b32 exec_lo, exec_lo, s49
	s_mov_b32 s24, 0
	s_and_saveexec_b32 s22, s23
	s_cbranch_execz .LBB90_208
; %bb.205:
	v_or_b32_e32 v12, 0x300, v0
	s_mov_b32 s23, 0
	s_mov_b32 s24, -1
	s_mov_b32 s25, s1
	s_mov_b32 s26, exec_lo
	v_cmpx_gt_i32_e64 s33, v12
	s_xor_b32 s26, exec_lo, s26
	s_cbranch_execz .LBB90_207
; %bb.206:
	s_wait_loadcnt 0x3
	v_cmp_ne_u64_e32 vcc_lo, s[8:9], v[10:11]
	s_xor_b32 s8, s38, -1
	s_and_not1_b32 s9, s1, exec_lo
	s_mov_b32 s23, exec_lo
	s_xor_b32 s24, exec_lo, -1
	s_or_b32 s8, s8, vcc_lo
	s_delay_alu instid0(SALU_CYCLE_1) | instskip(NEXT) | instid1(SALU_CYCLE_1)
	s_and_b32 s8, s8, exec_lo
	s_or_b32 s25, s9, s8
.LBB90_207:
	s_or_b32 exec_lo, exec_lo, s26
	s_delay_alu instid0(SALU_CYCLE_1)
	s_and_not1_b32 s1, s1, exec_lo
	s_and_b32 s8, s25, exec_lo
	s_and_b32 s24, s24, exec_lo
	s_and_not1_b32 s21, s21, exec_lo
	s_and_b32 s48, s23, exec_lo
	s_or_b32 s1, s1, s8
.LBB90_208:
	s_or_b32 exec_lo, exec_lo, s22
	s_delay_alu instid0(SALU_CYCLE_1)
	s_and_not1_b32 s8, s40, exec_lo
	s_and_b32 s9, s21, exec_lo
	s_and_b32 s7, s7, exec_lo
	s_or_b32 s40, s8, s9
	s_and_not1_b32 s8, s45, exec_lo
	s_and_not1_b32 s9, s46, exec_lo
	s_and_b32 s20, s20, exec_lo
	s_or_b32 s45, s8, s7
	s_and_not1_b32 s7, s44, exec_lo
	s_and_b32 s1, s1, exec_lo
	s_and_b32 s21, s24, exec_lo
	s_or_b32 s46, s9, s20
	s_and_b32 s48, s48, exec_lo
	s_or_b32 s44, s7, s1
.LBB90_209:
	s_or_b32 exec_lo, exec_lo, s47
	s_delay_alu instid0(SALU_CYCLE_1)
	s_and_not1_b32 s1, s37, exec_lo
	s_and_b32 s7, s40, exec_lo
	s_and_not1_b32 s8, s41, exec_lo
	s_or_b32 s37, s1, s7
	s_and_not1_b32 s1, s39, exec_lo
	s_and_b32 s7, s45, exec_lo
	s_and_b32 s9, s46, exec_lo
	s_or_b32 s39, s1, s7
	s_and_not1_b32 s1, s42, exec_lo
	s_and_b32 s7, s44, exec_lo
	s_and_b32 s40, s21, exec_lo
	s_or_b32 s41, s8, s9
	s_and_b32 s44, s48, exec_lo
	s_or_b32 s42, s1, s7
	s_or_b32 exec_lo, exec_lo, s43
	s_and_saveexec_b32 s1, s42
	s_cbranch_execz .LBB90_87
.LBB90_210:
	s_or_b32 s17, s17, exec_lo
	s_and_not1_b32 s44, s44, exec_lo
	s_trap 2
	s_branch .LBB90_87
.LBB90_211:
	s_mov_b32 s17, exec_lo
	s_and_not1_b32 s28, s28, exec_lo
	s_trap 2
	s_branch .LBB90_65
.LBB90_212:
	s_or_b32 s17, s17, exec_lo
	s_and_not1_b32 s29, s29, exec_lo
	s_trap 2
	s_branch .LBB90_68
.LBB90_213:
	s_or_b32 s17, s17, exec_lo
	s_and_not1_b32 s1, s1, exec_lo
	s_trap 2
	s_branch .LBB90_90
	.section	.rodata,"a",@progbits
	.p2align	6, 0x0
	.amdhsa_kernel _ZN2at6native29vectorized_elementwise_kernelILi4EZZZNS0_12_GLOBAL__N_142_validate_compressed_sparse_indices_kernelILNS2_8CDimNameE1ENS2_18CUDAKernelLauncherENS2_14EmptyVecKernelENS2_8DummyVecELm8EEEvRKNS_6TensorESA_lllENKUlvE1_clEvENKUlvE0_clEvEUllllllE_St5arrayIPcLm6EEEEviT0_T1_
		.amdhsa_group_segment_fixed_size 0
		.amdhsa_private_segment_fixed_size 0
		.amdhsa_kernarg_size 224
		.amdhsa_user_sgpr_count 2
		.amdhsa_user_sgpr_dispatch_ptr 0
		.amdhsa_user_sgpr_queue_ptr 0
		.amdhsa_user_sgpr_kernarg_segment_ptr 1
		.amdhsa_user_sgpr_dispatch_id 0
		.amdhsa_user_sgpr_kernarg_preload_length 0
		.amdhsa_user_sgpr_kernarg_preload_offset 0
		.amdhsa_user_sgpr_private_segment_size 0
		.amdhsa_wavefront_size32 1
		.amdhsa_uses_dynamic_stack 0
		.amdhsa_enable_private_segment 0
		.amdhsa_system_sgpr_workgroup_id_x 1
		.amdhsa_system_sgpr_workgroup_id_y 0
		.amdhsa_system_sgpr_workgroup_id_z 0
		.amdhsa_system_sgpr_workgroup_info 0
		.amdhsa_system_vgpr_workitem_id 0
		.amdhsa_next_free_vgpr 60
		.amdhsa_next_free_sgpr 69
		.amdhsa_named_barrier_count 0
		.amdhsa_reserve_vcc 1
		.amdhsa_float_round_mode_32 0
		.amdhsa_float_round_mode_16_64 0
		.amdhsa_float_denorm_mode_32 3
		.amdhsa_float_denorm_mode_16_64 3
		.amdhsa_fp16_overflow 0
		.amdhsa_memory_ordered 1
		.amdhsa_forward_progress 1
		.amdhsa_inst_pref_size 103
		.amdhsa_round_robin_scheduling 0
		.amdhsa_exception_fp_ieee_invalid_op 0
		.amdhsa_exception_fp_denorm_src 0
		.amdhsa_exception_fp_ieee_div_zero 0
		.amdhsa_exception_fp_ieee_overflow 0
		.amdhsa_exception_fp_ieee_underflow 0
		.amdhsa_exception_fp_ieee_inexact 0
		.amdhsa_exception_int_div_zero 0
	.end_amdhsa_kernel
	.section	.text._ZN2at6native29vectorized_elementwise_kernelILi4EZZZNS0_12_GLOBAL__N_142_validate_compressed_sparse_indices_kernelILNS2_8CDimNameE1ENS2_18CUDAKernelLauncherENS2_14EmptyVecKernelENS2_8DummyVecELm8EEEvRKNS_6TensorESA_lllENKUlvE1_clEvENKUlvE0_clEvEUllllllE_St5arrayIPcLm6EEEEviT0_T1_,"axG",@progbits,_ZN2at6native29vectorized_elementwise_kernelILi4EZZZNS0_12_GLOBAL__N_142_validate_compressed_sparse_indices_kernelILNS2_8CDimNameE1ENS2_18CUDAKernelLauncherENS2_14EmptyVecKernelENS2_8DummyVecELm8EEEvRKNS_6TensorESA_lllENKUlvE1_clEvENKUlvE0_clEvEUllllllE_St5arrayIPcLm6EEEEviT0_T1_,comdat
.Lfunc_end90:
	.size	_ZN2at6native29vectorized_elementwise_kernelILi4EZZZNS0_12_GLOBAL__N_142_validate_compressed_sparse_indices_kernelILNS2_8CDimNameE1ENS2_18CUDAKernelLauncherENS2_14EmptyVecKernelENS2_8DummyVecELm8EEEvRKNS_6TensorESA_lllENKUlvE1_clEvENKUlvE0_clEvEUllllllE_St5arrayIPcLm6EEEEviT0_T1_, .Lfunc_end90-_ZN2at6native29vectorized_elementwise_kernelILi4EZZZNS0_12_GLOBAL__N_142_validate_compressed_sparse_indices_kernelILNS2_8CDimNameE1ENS2_18CUDAKernelLauncherENS2_14EmptyVecKernelENS2_8DummyVecELm8EEEvRKNS_6TensorESA_lllENKUlvE1_clEvENKUlvE0_clEvEUllllllE_St5arrayIPcLm6EEEEviT0_T1_
                                        ; -- End function
	.set _ZN2at6native29vectorized_elementwise_kernelILi4EZZZNS0_12_GLOBAL__N_142_validate_compressed_sparse_indices_kernelILNS2_8CDimNameE1ENS2_18CUDAKernelLauncherENS2_14EmptyVecKernelENS2_8DummyVecELm8EEEvRKNS_6TensorESA_lllENKUlvE1_clEvENKUlvE0_clEvEUllllllE_St5arrayIPcLm6EEEEviT0_T1_.num_vgpr, 60
	.set _ZN2at6native29vectorized_elementwise_kernelILi4EZZZNS0_12_GLOBAL__N_142_validate_compressed_sparse_indices_kernelILNS2_8CDimNameE1ENS2_18CUDAKernelLauncherENS2_14EmptyVecKernelENS2_8DummyVecELm8EEEvRKNS_6TensorESA_lllENKUlvE1_clEvENKUlvE0_clEvEUllllllE_St5arrayIPcLm6EEEEviT0_T1_.num_agpr, 0
	.set _ZN2at6native29vectorized_elementwise_kernelILi4EZZZNS0_12_GLOBAL__N_142_validate_compressed_sparse_indices_kernelILNS2_8CDimNameE1ENS2_18CUDAKernelLauncherENS2_14EmptyVecKernelENS2_8DummyVecELm8EEEvRKNS_6TensorESA_lllENKUlvE1_clEvENKUlvE0_clEvEUllllllE_St5arrayIPcLm6EEEEviT0_T1_.numbered_sgpr, 69
	.set _ZN2at6native29vectorized_elementwise_kernelILi4EZZZNS0_12_GLOBAL__N_142_validate_compressed_sparse_indices_kernelILNS2_8CDimNameE1ENS2_18CUDAKernelLauncherENS2_14EmptyVecKernelENS2_8DummyVecELm8EEEvRKNS_6TensorESA_lllENKUlvE1_clEvENKUlvE0_clEvEUllllllE_St5arrayIPcLm6EEEEviT0_T1_.num_named_barrier, 0
	.set _ZN2at6native29vectorized_elementwise_kernelILi4EZZZNS0_12_GLOBAL__N_142_validate_compressed_sparse_indices_kernelILNS2_8CDimNameE1ENS2_18CUDAKernelLauncherENS2_14EmptyVecKernelENS2_8DummyVecELm8EEEvRKNS_6TensorESA_lllENKUlvE1_clEvENKUlvE0_clEvEUllllllE_St5arrayIPcLm6EEEEviT0_T1_.private_seg_size, 0
	.set _ZN2at6native29vectorized_elementwise_kernelILi4EZZZNS0_12_GLOBAL__N_142_validate_compressed_sparse_indices_kernelILNS2_8CDimNameE1ENS2_18CUDAKernelLauncherENS2_14EmptyVecKernelENS2_8DummyVecELm8EEEvRKNS_6TensorESA_lllENKUlvE1_clEvENKUlvE0_clEvEUllllllE_St5arrayIPcLm6EEEEviT0_T1_.uses_vcc, 1
	.set _ZN2at6native29vectorized_elementwise_kernelILi4EZZZNS0_12_GLOBAL__N_142_validate_compressed_sparse_indices_kernelILNS2_8CDimNameE1ENS2_18CUDAKernelLauncherENS2_14EmptyVecKernelENS2_8DummyVecELm8EEEvRKNS_6TensorESA_lllENKUlvE1_clEvENKUlvE0_clEvEUllllllE_St5arrayIPcLm6EEEEviT0_T1_.uses_flat_scratch, 0
	.set _ZN2at6native29vectorized_elementwise_kernelILi4EZZZNS0_12_GLOBAL__N_142_validate_compressed_sparse_indices_kernelILNS2_8CDimNameE1ENS2_18CUDAKernelLauncherENS2_14EmptyVecKernelENS2_8DummyVecELm8EEEvRKNS_6TensorESA_lllENKUlvE1_clEvENKUlvE0_clEvEUllllllE_St5arrayIPcLm6EEEEviT0_T1_.has_dyn_sized_stack, 0
	.set _ZN2at6native29vectorized_elementwise_kernelILi4EZZZNS0_12_GLOBAL__N_142_validate_compressed_sparse_indices_kernelILNS2_8CDimNameE1ENS2_18CUDAKernelLauncherENS2_14EmptyVecKernelENS2_8DummyVecELm8EEEvRKNS_6TensorESA_lllENKUlvE1_clEvENKUlvE0_clEvEUllllllE_St5arrayIPcLm6EEEEviT0_T1_.has_recursion, 0
	.set _ZN2at6native29vectorized_elementwise_kernelILi4EZZZNS0_12_GLOBAL__N_142_validate_compressed_sparse_indices_kernelILNS2_8CDimNameE1ENS2_18CUDAKernelLauncherENS2_14EmptyVecKernelENS2_8DummyVecELm8EEEvRKNS_6TensorESA_lllENKUlvE1_clEvENKUlvE0_clEvEUllllllE_St5arrayIPcLm6EEEEviT0_T1_.has_indirect_call, 0
	.section	.AMDGPU.csdata,"",@progbits
; Kernel info:
; codeLenInByte = 13140
; TotalNumSgprs: 71
; NumVgprs: 60
; ScratchSize: 0
; MemoryBound: 1
; FloatMode: 240
; IeeeMode: 1
; LDSByteSize: 0 bytes/workgroup (compile time only)
; SGPRBlocks: 0
; VGPRBlocks: 3
; NumSGPRsForWavesPerEU: 71
; NumVGPRsForWavesPerEU: 60
; NamedBarCnt: 0
; Occupancy: 16
; WaveLimiterHint : 1
; COMPUTE_PGM_RSRC2:SCRATCH_EN: 0
; COMPUTE_PGM_RSRC2:USER_SGPR: 2
; COMPUTE_PGM_RSRC2:TRAP_HANDLER: 0
; COMPUTE_PGM_RSRC2:TGID_X_EN: 1
; COMPUTE_PGM_RSRC2:TGID_Y_EN: 0
; COMPUTE_PGM_RSRC2:TGID_Z_EN: 0
; COMPUTE_PGM_RSRC2:TIDIG_COMP_CNT: 0
	.section	.text._ZN2at6native29vectorized_elementwise_kernelILi2EZZZNS0_12_GLOBAL__N_142_validate_compressed_sparse_indices_kernelILNS2_8CDimNameE1ENS2_18CUDAKernelLauncherENS2_14EmptyVecKernelENS2_8DummyVecELm8EEEvRKNS_6TensorESA_lllENKUlvE1_clEvENKUlvE0_clEvEUllllllE_St5arrayIPcLm6EEEEviT0_T1_,"axG",@progbits,_ZN2at6native29vectorized_elementwise_kernelILi2EZZZNS0_12_GLOBAL__N_142_validate_compressed_sparse_indices_kernelILNS2_8CDimNameE1ENS2_18CUDAKernelLauncherENS2_14EmptyVecKernelENS2_8DummyVecELm8EEEvRKNS_6TensorESA_lllENKUlvE1_clEvENKUlvE0_clEvEUllllllE_St5arrayIPcLm6EEEEviT0_T1_,comdat
	.globl	_ZN2at6native29vectorized_elementwise_kernelILi2EZZZNS0_12_GLOBAL__N_142_validate_compressed_sparse_indices_kernelILNS2_8CDimNameE1ENS2_18CUDAKernelLauncherENS2_14EmptyVecKernelENS2_8DummyVecELm8EEEvRKNS_6TensorESA_lllENKUlvE1_clEvENKUlvE0_clEvEUllllllE_St5arrayIPcLm6EEEEviT0_T1_ ; -- Begin function _ZN2at6native29vectorized_elementwise_kernelILi2EZZZNS0_12_GLOBAL__N_142_validate_compressed_sparse_indices_kernelILNS2_8CDimNameE1ENS2_18CUDAKernelLauncherENS2_14EmptyVecKernelENS2_8DummyVecELm8EEEvRKNS_6TensorESA_lllENKUlvE1_clEvENKUlvE0_clEvEUllllllE_St5arrayIPcLm6EEEEviT0_T1_
	.p2align	8
	.type	_ZN2at6native29vectorized_elementwise_kernelILi2EZZZNS0_12_GLOBAL__N_142_validate_compressed_sparse_indices_kernelILNS2_8CDimNameE1ENS2_18CUDAKernelLauncherENS2_14EmptyVecKernelENS2_8DummyVecELm8EEEvRKNS_6TensorESA_lllENKUlvE1_clEvENKUlvE0_clEvEUllllllE_St5arrayIPcLm6EEEEviT0_T1_,@function
_ZN2at6native29vectorized_elementwise_kernelILi2EZZZNS0_12_GLOBAL__N_142_validate_compressed_sparse_indices_kernelILNS2_8CDimNameE1ENS2_18CUDAKernelLauncherENS2_14EmptyVecKernelENS2_8DummyVecELm8EEEvRKNS_6TensorESA_lllENKUlvE1_clEvENKUlvE0_clEvEUllllllE_St5arrayIPcLm6EEEEviT0_T1_: ; @_ZN2at6native29vectorized_elementwise_kernelILi2EZZZNS0_12_GLOBAL__N_142_validate_compressed_sparse_indices_kernelILNS2_8CDimNameE1ENS2_18CUDAKernelLauncherENS2_14EmptyVecKernelENS2_8DummyVecELm8EEEvRKNS_6TensorESA_lllENKUlvE1_clEvENKUlvE0_clEvEUllllllE_St5arrayIPcLm6EEEEviT0_T1_
; %bb.0:
	s_clause 0x2
	s_load_b32 s2, s[0:1], 0x0
	s_load_b128 s[12:15], s[0:1], 0xd0
	s_load_b256 s[4:11], s[0:1], 0xb0
	s_bfe_u32 s3, ttmp6, 0x4000c
	s_and_b32 s16, ttmp6, 15
	s_add_co_i32 s3, s3, 1
	s_getreg_b32 s17, hwreg(HW_REG_IB_STS2, 6, 4)
	s_mul_i32 s3, ttmp9, s3
	s_or_b64 s[18:19], s[0:1], 8
	s_add_co_i32 s16, s16, s3
	s_cmp_eq_u32 s17, 0
	s_mov_b32 s40, 0
	s_wait_xcnt 0x0
	s_cselect_b32 s0, ttmp9, s16
	s_mov_b32 s17, 0
	s_lshl_b32 s16, s0, 10
	s_mov_b32 s0, -1
	s_get_pc_i64 s[20:21]
	s_add_nc_u64 s[20:21], s[20:21], .str.6@rel64+4
	s_wait_kmcnt 0x0
	s_sub_co_i32 s33, s2, s16
	s_delay_alu instid0(SALU_CYCLE_1)
	s_cmp_gt_i32 s33, 0x3ff
	s_cbranch_scc0 .LBB91_75
; %bb.1:
	s_ashr_i32 s17, s16, 31
	s_load_b128 s[0:3], s[18:19], 0x0
	s_lshl_b64 s[22:23], s[16:17], 3
	s_cmp_lg_u64 s[20:21], 0
	s_add_nc_u64 s[28:29], s[6:7], s[22:23]
	v_mov_b32_e32 v27, 0
	global_load_b128 v[14:17], v0, s[28:29] scale_offset
	s_mov_b32 s31, -1
	s_mov_b32 s17, 0
	s_mov_b32 s30, 0
	;; [unrolled: 1-line block ×4, first 2 shown]
                                        ; implicit-def: $sgpr42
                                        ; implicit-def: $sgpr26
                                        ; implicit-def: $sgpr41
                                        ; implicit-def: $sgpr24_sgpr25
                                        ; implicit-def: $vgpr18_vgpr19_vgpr20_vgpr21
                                        ; implicit-def: $vgpr2_vgpr3_vgpr4_vgpr5
                                        ; implicit-def: $vgpr6_vgpr7_vgpr8_vgpr9
                                        ; implicit-def: $vgpr22_vgpr23_vgpr24_vgpr25
                                        ; implicit-def: $vgpr10_vgpr11
	s_wait_loadcnt 0x0
	s_wait_kmcnt 0x0
	v_cmp_eq_u64_e32 vcc_lo, s[0:1], v[14:15]
	s_cselect_b32 s1, -1, 0
	s_mov_b32 s0, 0
	s_and_b32 s34, s1, vcc_lo
                                        ; implicit-def: $sgpr1
	s_delay_alu instid0(SALU_CYCLE_1)
	s_and_saveexec_b32 s43, s34
	s_cbranch_execz .LBB91_64
; %bb.2:
	s_add_nc_u64 s[30:31], s[8:9], s[22:23]
	s_load_b64 s[0:1], s[18:19], 0x10
	global_load_b128 v[10:13], v0, s[30:31] scale_offset
	s_get_pc_i64 s[24:25]
	s_add_nc_u64 s[24:25], s[24:25], .str.7@rel64+4
	s_mov_b32 s34, 0
	s_cmp_lg_u64 s[24:25], 0
	s_mov_b32 s35, 0
	s_mov_b32 s37, 0
                                        ; implicit-def: $sgpr45
                                        ; implicit-def: $sgpr42
                                        ; implicit-def: $sgpr26
                                        ; implicit-def: $sgpr41
                                        ; implicit-def: $sgpr24_sgpr25
                                        ; implicit-def: $vgpr18_vgpr19_vgpr20_vgpr21
                                        ; implicit-def: $vgpr2_vgpr3_vgpr4_vgpr5
                                        ; implicit-def: $vgpr6_vgpr7_vgpr8_vgpr9
                                        ; implicit-def: $vgpr22_vgpr23_vgpr24_vgpr25
	s_wait_loadcnt 0x0
	s_wait_kmcnt 0x0
	v_cmp_eq_u64_e32 vcc_lo, s[0:1], v[10:11]
	s_cselect_b32 s1, -1, 0
	s_mov_b32 s0, -1
	s_and_b32 s1, s1, vcc_lo
	s_delay_alu instid0(SALU_CYCLE_1)
	s_and_saveexec_b32 s44, s1
	s_cbranch_execz .LBB91_63
; %bb.3:
	s_add_nc_u64 s[34:35], s[10:11], s[22:23]
	s_add_nc_u64 s[36:37], s[12:13], s[22:23]
	s_clause 0x1
	global_load_b128 v[34:37], v0, s[34:35] scale_offset
	global_load_b128 v[30:33], v0, s[36:37] scale_offset
	s_get_pc_i64 s[24:25]
	s_add_nc_u64 s[24:25], s[24:25], .str.8@rel64+4
	s_mov_b32 s1, -1
	s_cmp_lg_u64 s[24:25], 0
	s_mov_b32 s38, 0
	s_cselect_b32 s24, -1, 0
	s_mov_b32 s39, 0
	s_mov_b32 s46, 0
                                        ; implicit-def: $sgpr48
                                        ; implicit-def: $sgpr42
                                        ; implicit-def: $sgpr26
                                        ; implicit-def: $sgpr41
                                        ; implicit-def: $vgpr18_vgpr19_vgpr20_vgpr21
                                        ; implicit-def: $vgpr6_vgpr7_vgpr8_vgpr9
                                        ; implicit-def: $vgpr22_vgpr23_vgpr24_vgpr25
	s_wait_loadcnt 0x0
	v_sub_nc_u64_e32 v[2:3], v[30:31], v[34:35]
	s_delay_alu instid0(VALU_DEP_1) | instskip(SKIP_2) | instid1(SALU_CYCLE_1)
	v_cmp_le_i64_e32 vcc_lo, v[14:15], v[2:3]
	v_cmp_ge_i64_e64 s0, s[2:3], v[2:3]
                                        ; implicit-def: $vgpr2_vgpr3_vgpr4_vgpr5
	s_and_b32 s0, vcc_lo, s0
	s_and_b32 s0, s24, s0
                                        ; implicit-def: $sgpr24_sgpr25
	s_delay_alu instid0(SALU_CYCLE_1)
	s_and_saveexec_b32 s45, s0
	s_cbranch_execz .LBB91_62
; %bb.4:
	v_dual_lshlrev_b32 v26, 4, v0 :: v_dual_mov_b32 v42, 0
	s_add_nc_u64 s[0:1], s[14:15], s[22:23]
	v_cmp_lt_i64_e32 vcc_lo, 0, v[10:11]
	s_delay_alu instid0(VALU_DEP_2) | instskip(SKIP_2) | instid1(VALU_DEP_1)
	v_add_nc_u64_e32 v[44:45], s[28:29], v[26:27]
	v_add_nc_u64_e32 v[46:47], s[30:31], v[26:27]
	v_mov_b32_e32 v27, v42
	v_add_nc_u64_e32 v[48:49], s[34:35], v[26:27]
	v_add_nc_u64_e32 v[50:51], s[36:37], v[26:27]
	global_load_b128 v[26:29], v[44:45], off offset:4096
	global_load_b128 v[22:25], v[46:47], off offset:4096
	;; [unrolled: 1-line block ×4, first 2 shown]
	s_clause 0x1
	global_load_b128 v[38:41], v0, s[0:1] scale_offset
	global_load_b128 v[18:21], v0, s[0:1] offset:4096 scale_offset
	s_clause 0x1
	s_load_b32 s41, s[18:19], 0x18
	s_load_b64 s[24:25], s[18:19], 0xa0
	v_mov_b64_e32 v[44:45], 0
	s_wait_kmcnt 0x0
	s_add_co_i32 s26, s41, -1
	s_delay_alu instid0(SALU_CYCLE_1) | instskip(SKIP_1) | instid1(SALU_CYCLE_1)
	s_cmp_gt_i32 s26, -1
	s_cselect_b32 s0, -1, 0
	s_and_b32 s46, vcc_lo, s0
	s_delay_alu instid0(SALU_CYCLE_1)
	s_and_saveexec_b32 s42, s46
	s_cbranch_execz .LBB91_11
; %bb.5:
	s_wait_loadcnt 0x1
	v_mul_u64_e32 v[38:39], v[38:39], v[10:11]
	s_ashr_i32 s27, s26, 31
	v_mov_b64_e32 v[44:45], 0
	s_lshl_b64 s[0:1], s[26:27], 3
	s_mov_b64 s[28:29], 0xffffffff
	s_add_nc_u64 s[0:1], s[18:19], s[0:1]
	s_mov_b32 s27, s41
	s_add_nc_u64 s[30:31], s[0:1], 32
	s_mov_b32 s1, 0
	s_branch .LBB91_7
.LBB91_6:                               ;   in Loop: Header=BB91_7 Depth=1
	s_or_b32 exec_lo, exec_lo, s0
	s_delay_alu instid0(VALU_DEP_1)
	v_mul_u64_e32 v[48:49], s[34:35], v[46:47]
	s_load_b64 s[34:35], s[30:31], 0x40
	s_add_co_i32 s27, s27, -1
	s_wait_xcnt 0x0
	s_add_nc_u64 s[30:31], s[30:31], -8
	s_cmp_eq_u32 s27, 0
	s_delay_alu instid0(VALU_DEP_1) | instskip(SKIP_1) | instid1(VALU_DEP_1)
	v_sub_nc_u64_e32 v[38:39], v[38:39], v[48:49]
	s_wait_kmcnt 0x0
	v_mad_nc_u64_u32 v[44:45], v38, s34, v[44:45]
	s_delay_alu instid0(VALU_DEP_1) | instskip(NEXT) | instid1(VALU_DEP_1)
	v_mad_u32 v1, v39, s34, v45
	v_mad_u32 v45, v38, s35, v1
	v_mov_b64_e32 v[38:39], v[46:47]
	s_cbranch_scc1 .LBB91_11
.LBB91_7:                               ; =>This Inner Loop Header: Depth=1
	s_load_b64 s[34:35], s[30:31], 0x0
                                        ; implicit-def: $vgpr46_vgpr47
	s_mov_b32 s0, exec_lo
	s_wait_kmcnt 0x0
	s_delay_alu instid0(VALU_DEP_1) | instskip(NEXT) | instid1(VALU_DEP_1)
	v_or_b32_e32 v43, s35, v39
	v_cmpx_ne_u64_e32 0, v[42:43]
	s_xor_b32 s47, exec_lo, s0
	s_cbranch_execz .LBB91_9
; %bb.8:                                ;   in Loop: Header=BB91_7 Depth=1
	s_ashr_i32 s36, s35, 31
	v_dual_mov_b32 v51, v42 :: v_dual_ashrrev_i32 v46, 31, v39
	s_mov_b32 s37, s36
	v_mov_b32_e32 v59, v42
	s_add_nc_u64 s[38:39], s[34:35], s[36:37]
	s_delay_alu instid0(VALU_DEP_2) | instskip(SKIP_1) | instid1(SALU_CYCLE_1)
	v_mov_b32_e32 v47, v46
	s_xor_b64 s[38:39], s[38:39], s[36:37]
	s_cvt_f32_u32 s0, s38
	s_cvt_f32_u32 s37, s39
	s_sub_nc_u64 s[50:51], 0, s[38:39]
	v_add_nc_u64_e32 v[48:49], v[38:39], v[46:47]
	v_mov_b32_e32 v55, v42
	s_fmamk_f32 s0, s37, 0x4f800000, s0
	s_delay_alu instid0(SALU_CYCLE_3) | instskip(NEXT) | instid1(VALU_DEP_2)
	v_s_rcp_f32 s0, s0
	v_xor_b32_e32 v50, v48, v46
	s_delay_alu instid0(VALU_DEP_3) | instskip(SKIP_1) | instid1(TRANS32_DEP_1)
	v_xor_b32_e32 v54, v49, v46
	v_xor_b32_e32 v46, s36, v46
	s_mul_f32 s0, s0, 0x5f7ffffc
	s_delay_alu instid0(SALU_CYCLE_3) | instskip(NEXT) | instid1(SALU_CYCLE_3)
	s_mul_f32 s37, s0, 0x2f800000
	s_trunc_f32 s37, s37
	s_delay_alu instid0(SALU_CYCLE_3) | instskip(SKIP_1) | instid1(SALU_CYCLE_2)
	s_fmamk_f32 s0, s37, 0xcf800000, s0
	s_cvt_u32_f32 s49, s37
	s_cvt_u32_f32 s48, s0
	s_delay_alu instid0(SALU_CYCLE_3) | instskip(NEXT) | instid1(SALU_CYCLE_1)
	s_mul_u64 s[52:53], s[50:51], s[48:49]
	s_mul_hi_u32 s55, s48, s53
	s_mul_i32 s54, s48, s53
	s_mul_hi_u32 s0, s48, s52
	s_mul_i32 s56, s49, s52
	s_add_nc_u64 s[54:55], s[0:1], s[54:55]
	s_mul_hi_u32 s37, s49, s52
	s_mul_hi_u32 s57, s49, s53
	s_add_co_u32 s0, s54, s56
	s_add_co_ci_u32 s0, s55, s37
	s_mul_i32 s52, s49, s53
	s_add_co_ci_u32 s53, s57, 0
	s_delay_alu instid0(SALU_CYCLE_1) | instskip(NEXT) | instid1(SALU_CYCLE_1)
	s_add_nc_u64 s[52:53], s[0:1], s[52:53]
	s_add_co_u32 s48, s48, s52
	s_cselect_b32 s0, -1, 0
	s_delay_alu instid0(SALU_CYCLE_1) | instskip(SKIP_1) | instid1(SALU_CYCLE_1)
	s_cmp_lg_u32 s0, 0
	s_add_co_ci_u32 s49, s49, s53
	s_mul_u64 s[50:51], s[50:51], s[48:49]
	s_delay_alu instid0(SALU_CYCLE_1)
	s_mul_hi_u32 s53, s48, s51
	s_mul_i32 s52, s48, s51
	s_mul_hi_u32 s0, s48, s50
	s_mul_i32 s54, s49, s50
	s_add_nc_u64 s[52:53], s[0:1], s[52:53]
	s_mul_hi_u32 s37, s49, s50
	s_mul_hi_u32 s55, s49, s51
	s_add_co_u32 s0, s52, s54
	s_add_co_ci_u32 s0, s53, s37
	s_mul_i32 s50, s49, s51
	s_add_co_ci_u32 s51, s55, 0
	s_delay_alu instid0(SALU_CYCLE_1) | instskip(NEXT) | instid1(SALU_CYCLE_1)
	s_add_nc_u64 s[50:51], s[0:1], s[50:51]
	s_add_co_u32 s48, s48, s50
	s_cselect_b32 s0, -1, 0
	v_mul_hi_u32 v58, v50, s48
	s_cmp_lg_u32 s0, 0
	s_add_co_ci_u32 s0, s49, s51
	s_and_b64 s[50:51], s[48:49], s[28:29]
	v_mul_u64_e32 v[52:53], s[0:1], v[50:51]
	v_mul_u64_e32 v[48:49], s[50:51], v[54:55]
	;; [unrolled: 1-line block ×3, first 2 shown]
	s_delay_alu instid0(VALU_DEP_3) | instskip(NEXT) | instid1(VALU_DEP_1)
	v_add_nc_u64_e32 v[52:53], v[58:59], v[52:53]
	v_add_co_u32 v1, vcc_lo, v52, v48
	s_delay_alu instid0(VALU_DEP_2) | instskip(NEXT) | instid1(VALU_DEP_4)
	v_add_co_ci_u32_e32 v58, vcc_lo, v53, v49, vcc_lo
	v_add_co_ci_u32_e32 v57, vcc_lo, 0, v57, vcc_lo
	s_delay_alu instid0(VALU_DEP_1) | instskip(NEXT) | instid1(VALU_DEP_1)
	v_add_nc_u64_e32 v[48:49], v[58:59], v[56:57]
	v_mul_u64_e32 v[52:53], s[38:39], v[48:49]
	s_delay_alu instid0(VALU_DEP_1) | instskip(NEXT) | instid1(VALU_DEP_2)
	v_sub_nc_u32_e32 v1, v54, v53
	v_sub_co_u32 v43, vcc_lo, v50, v52
	s_delay_alu instid0(VALU_DEP_1) | instskip(NEXT) | instid1(VALU_DEP_3)
	v_sub_co_ci_u32_e64 v54, null, v54, v53, vcc_lo
	v_subrev_co_ci_u32_e64 v1, null, s39, v1, vcc_lo
	s_delay_alu instid0(VALU_DEP_3) | instskip(SKIP_1) | instid1(VALU_DEP_3)
	v_sub_co_u32 v47, s0, v43, s38
	v_add_nc_u64_e32 v[52:53], 1, v[48:49]
	v_subrev_co_ci_u32_e64 v1, null, 0, v1, s0
	s_delay_alu instid0(VALU_DEP_3) | instskip(SKIP_1) | instid1(VALU_DEP_3)
	v_cmp_le_u32_e32 vcc_lo, s38, v47
	v_cndmask_b32_e64 v47, 0, -1, vcc_lo
	v_cmp_le_u32_e32 vcc_lo, s39, v1
	v_cndmask_b32_e64 v50, 0, -1, vcc_lo
	;; [unrolled: 2-line block ×4, first 2 shown]
	v_cmp_eq_u32_e32 vcc_lo, s39, v1
	v_cndmask_b32_e32 v1, v50, v47, vcc_lo
	v_cmp_eq_u32_e32 vcc_lo, s39, v54
	v_add_nc_u64_e32 v[50:51], 2, v[48:49]
	v_dual_mov_b32 v47, v46 :: v_dual_cndmask_b32 v43, v55, v43, vcc_lo
	s_delay_alu instid0(VALU_DEP_4) | instskip(NEXT) | instid1(VALU_DEP_2)
	v_cmp_ne_u32_e32 vcc_lo, 0, v1
	v_cmp_ne_u32_e64 s0, 0, v43
	s_delay_alu instid0(VALU_DEP_4) | instskip(NEXT) | instid1(VALU_DEP_1)
	v_dual_cndmask_b32 v1, v53, v51, vcc_lo :: v_dual_cndmask_b32 v43, v52, v50, vcc_lo
	v_dual_cndmask_b32 v1, v49, v1, s0 :: v_dual_cndmask_b32 v43, v48, v43, s0
	s_delay_alu instid0(VALU_DEP_1) | instskip(NEXT) | instid1(VALU_DEP_2)
	v_xor_b32_e32 v49, v1, v46
	v_xor_b32_e32 v48, v43, v46
	s_delay_alu instid0(VALU_DEP_1)
	v_sub_nc_u64_e32 v[46:47], v[48:49], v[46:47]
.LBB91_9:                               ;   in Loop: Header=BB91_7 Depth=1
	s_and_not1_saveexec_b32 s0, s47
	s_cbranch_execz .LBB91_6
; %bb.10:                               ;   in Loop: Header=BB91_7 Depth=1
	v_cvt_f32_u32_e32 v1, s34
	s_sub_co_i32 s36, 0, s34
	s_delay_alu instid0(VALU_DEP_1) | instskip(SKIP_1) | instid1(TRANS32_DEP_1)
	v_rcp_iflag_f32_e32 v1, v1
	v_nop
	v_mul_f32_e32 v1, 0x4f7ffffe, v1
	s_delay_alu instid0(VALU_DEP_1) | instskip(NEXT) | instid1(VALU_DEP_1)
	v_cvt_u32_f32_e32 v1, v1
	v_mul_lo_u32 v43, s36, v1
	s_delay_alu instid0(VALU_DEP_1) | instskip(NEXT) | instid1(VALU_DEP_1)
	v_mul_hi_u32 v43, v1, v43
	v_add_nc_u32_e32 v1, v1, v43
	s_delay_alu instid0(VALU_DEP_1) | instskip(NEXT) | instid1(VALU_DEP_1)
	v_mul_hi_u32 v1, v38, v1
	v_mul_lo_u32 v43, v1, s34
	s_delay_alu instid0(VALU_DEP_1) | instskip(NEXT) | instid1(VALU_DEP_1)
	v_sub_nc_u32_e32 v43, v38, v43
	v_subrev_nc_u32_e32 v47, s34, v43
	v_cmp_le_u32_e32 vcc_lo, s34, v43
	s_delay_alu instid0(VALU_DEP_2) | instskip(NEXT) | instid1(VALU_DEP_1)
	v_dual_cndmask_b32 v43, v43, v47 :: v_dual_add_nc_u32 v46, 1, v1
	v_dual_cndmask_b32 v1, v1, v46, vcc_lo :: v_dual_mov_b32 v47, v42
	s_delay_alu instid0(VALU_DEP_2) | instskip(NEXT) | instid1(VALU_DEP_2)
	v_cmp_le_u32_e32 vcc_lo, s34, v43
	v_add_nc_u32_e32 v46, 1, v1
	s_delay_alu instid0(VALU_DEP_1)
	v_cndmask_b32_e32 v46, v1, v46, vcc_lo
	s_branch .LBB91_6
.LBB91_11:
	s_or_b32 exec_lo, exec_lo, s42
	s_get_pc_i64 s[0:1]
	s_add_nc_u64 s[0:1], s[0:1], .str.9@rel64+4
	s_mov_b32 s30, -1
	s_cmp_lg_u64 s[0:1], 0
	s_mov_b32 s0, 0
	s_cselect_b32 s42, -1, 0
	s_mov_b32 s47, 0
	s_mov_b32 s1, exec_lo
	v_cmpx_gt_i64_e64 v[30:31], v[34:35]
	s_cbranch_execz .LBB91_17
; %bb.12:
	s_wait_loadcnt 0x1
	v_lshlrev_b64_e32 v[38:39], 3, v[44:45]
	s_mov_b32 s27, 0
	s_xor_b32 s29, s42, -1
                                        ; implicit-def: $sgpr28
                                        ; implicit-def: $sgpr31
                                        ; implicit-def: $sgpr30
	s_delay_alu instid0(VALU_DEP_1) | instskip(SKIP_1) | instid1(VALU_DEP_2)
	v_lshl_add_u64 v[34:35], v[34:35], 3, v[38:39]
	v_add_nc_u64_e32 v[38:39], s[24:25], v[38:39]
	v_add_nc_u64_e32 v[34:35], s[24:25], v[34:35]
	s_delay_alu instid0(VALU_DEP_2) | instskip(NEXT) | instid1(VALU_DEP_2)
	v_lshl_add_u64 v[30:31], v[30:31], 3, v[38:39]
	v_add_nc_u64_e32 v[34:35], 8, v[34:35]
	s_branch .LBB91_14
.LBB91_13:                              ;   in Loop: Header=BB91_14 Depth=1
	s_or_b32 exec_lo, exec_lo, s34
	s_delay_alu instid0(SALU_CYCLE_1) | instskip(NEXT) | instid1(SALU_CYCLE_1)
	s_and_b32 s34, exec_lo, s31
	s_or_b32 s27, s34, s27
	s_and_not1_b32 s28, s28, exec_lo
	s_and_b32 s34, s30, exec_lo
	s_delay_alu instid0(SALU_CYCLE_1)
	s_or_b32 s28, s28, s34
	s_and_not1_b32 exec_lo, exec_lo, s27
	s_cbranch_execz .LBB91_16
.LBB91_14:                              ; =>This Inner Loop Header: Depth=1
	s_or_b32 s30, s30, exec_lo
	s_or_b32 s31, s31, exec_lo
	s_mov_b32 s34, exec_lo
	s_delay_alu instid0(VALU_DEP_1)
	v_cmpx_lt_u64_e64 v[34:35], v[30:31]
	s_cbranch_execz .LBB91_13
; %bb.15:                               ;   in Loop: Header=BB91_14 Depth=1
	global_load_b128 v[42:45], v[34:35], off offset:-8
	s_wait_xcnt 0x0
	v_add_nc_u64_e32 v[34:35], 8, v[34:35]
	s_and_not1_b32 s31, s31, exec_lo
	s_and_not1_b32 s30, s30, exec_lo
	s_wait_loadcnt 0x0
	v_cmp_ge_i64_e32 vcc_lo, v[42:43], v[44:45]
	s_or_b32 s35, s29, vcc_lo
	s_delay_alu instid0(SALU_CYCLE_1) | instskip(NEXT) | instid1(SALU_CYCLE_1)
	s_and_b32 s35, s35, exec_lo
	s_or_b32 s31, s31, s35
	s_branch .LBB91_13
.LBB91_16:
	s_or_b32 exec_lo, exec_lo, s27
	s_delay_alu instid0(SALU_CYCLE_1)
	s_mov_b32 s47, exec_lo
	s_or_not1_b32 s30, s28, exec_lo
.LBB91_17:
	s_or_b32 exec_lo, exec_lo, s1
	s_mov_b32 s27, 0
	s_mov_b32 s28, 0
	;; [unrolled: 1-line block ×3, first 2 shown]
	s_and_saveexec_b32 s48, s30
	s_cbranch_execz .LBB91_61
; %bb.18:
	s_mov_b32 s0, -1
	s_mov_b32 s1, 0
	s_mov_b32 s30, 0
	s_mov_b32 s49, exec_lo
	v_cmpx_eq_u64_e64 v[16:17], v[14:15]
	s_cbranch_execz .LBB91_60
; %bb.19:
	s_mov_b32 s1, -1
	s_mov_b32 s0, 0
	s_mov_b32 s31, 0
	s_mov_b32 s50, exec_lo
	v_cmpx_eq_u64_e64 v[12:13], v[10:11]
	s_cbranch_execz .LBB91_59
; %bb.20:
	v_sub_nc_u64_e32 v[12:13], v[32:33], v[36:37]
	s_delay_alu instid0(VALU_DEP_1) | instskip(SKIP_2) | instid1(SALU_CYCLE_1)
	v_cmp_le_i64_e32 vcc_lo, v[14:15], v[12:13]
	v_cmp_ge_i64_e64 s0, s[2:3], v[12:13]
	s_and_b32 s0, vcc_lo, s0
	s_and_saveexec_b32 s51, s0
	s_cbranch_execz .LBB91_58
; %bb.21:
	v_mov_b64_e32 v[12:13], 0
	s_and_saveexec_b32 s52, s46
	s_cbranch_execz .LBB91_28
; %bb.22:
	s_wait_loadcnt 0x1
	v_mul_u64_e32 v[30:31], v[40:41], v[10:11]
	s_ashr_i32 s27, s26, 31
	v_mov_b64_e32 v[12:13], 0
	s_lshl_b64 s[0:1], s[26:27], 3
	v_mov_b32_e32 v16, 0
	s_add_nc_u64 s[0:1], s[18:19], s[0:1]
	s_mov_b64 s[28:29], 0xffffffff
	s_add_nc_u64 s[30:31], s[0:1], 32
	s_mov_b32 s1, 0
	s_mov_b32 s27, s41
	s_branch .LBB91_24
.LBB91_23:                              ;   in Loop: Header=BB91_24 Depth=1
	s_or_b32 exec_lo, exec_lo, s0
	s_delay_alu instid0(VALU_DEP_1)
	v_mul_u64_e32 v[38:39], s[34:35], v[34:35]
	s_load_b64 s[34:35], s[30:31], 0x40
	s_add_co_i32 s27, s27, -1
	s_wait_xcnt 0x0
	s_add_nc_u64 s[30:31], s[30:31], -8
	s_cmp_lg_u32 s27, 0
	s_delay_alu instid0(VALU_DEP_1) | instskip(SKIP_1) | instid1(VALU_DEP_1)
	v_sub_nc_u64_e32 v[30:31], v[30:31], v[38:39]
	s_wait_kmcnt 0x0
	v_mad_nc_u64_u32 v[12:13], v30, s34, v[12:13]
	s_delay_alu instid0(VALU_DEP_1) | instskip(NEXT) | instid1(VALU_DEP_1)
	v_mad_u32 v1, v31, s34, v13
	v_mad_u32 v13, v30, s35, v1
	v_mov_b64_e32 v[30:31], v[34:35]
	s_cbranch_scc0 .LBB91_28
.LBB91_24:                              ; =>This Inner Loop Header: Depth=1
	s_load_b64 s[34:35], s[30:31], 0x0
                                        ; implicit-def: $vgpr34_vgpr35
	s_mov_b32 s0, exec_lo
	s_wait_kmcnt 0x0
	s_delay_alu instid0(VALU_DEP_1) | instskip(NEXT) | instid1(VALU_DEP_1)
	v_or_b32_e32 v17, s35, v31
	v_cmpx_ne_u64_e32 0, v[16:17]
	s_xor_b32 s53, exec_lo, s0
	s_cbranch_execz .LBB91_26
; %bb.25:                               ;   in Loop: Header=BB91_24 Depth=1
	s_ashr_i32 s36, s35, 31
	v_dual_mov_b32 v41, v16 :: v_dual_ashrrev_i32 v34, 31, v31
	s_mov_b32 s37, s36
	v_mov_b32_e32 v45, v16
	s_add_nc_u64 s[38:39], s[34:35], s[36:37]
	s_delay_alu instid0(VALU_DEP_2)
	v_mov_b32_e32 v35, v34
	s_xor_b64 s[38:39], s[38:39], s[36:37]
	v_mov_b32_e32 v49, v16
	s_cvt_f32_u32 s0, s38
	s_cvt_f32_u32 s37, s39
	s_sub_nc_u64 s[56:57], 0, s[38:39]
	v_add_nc_u64_e32 v[38:39], v[30:31], v[34:35]
	s_delay_alu instid0(SALU_CYCLE_1) | instskip(NEXT) | instid1(SALU_CYCLE_3)
	s_fmamk_f32 s0, s37, 0x4f800000, s0
	v_s_rcp_f32 s0, s0
	s_delay_alu instid0(VALU_DEP_1) | instskip(NEXT) | instid1(VALU_DEP_2)
	v_xor_b32_e32 v40, v38, v34
	v_xor_b32_e32 v44, v39, v34
	s_delay_alu instid0(TRANS32_DEP_1) | instskip(NEXT) | instid1(SALU_CYCLE_3)
	s_mul_f32 s0, s0, 0x5f7ffffc
	s_mul_f32 s37, s0, 0x2f800000
	s_delay_alu instid0(SALU_CYCLE_3) | instskip(NEXT) | instid1(SALU_CYCLE_3)
	s_trunc_f32 s37, s37
	s_fmamk_f32 s0, s37, 0xcf800000, s0
	s_cvt_u32_f32 s55, s37
	s_delay_alu instid0(SALU_CYCLE_2) | instskip(NEXT) | instid1(SALU_CYCLE_3)
	s_cvt_u32_f32 s54, s0
	s_mul_u64 s[58:59], s[56:57], s[54:55]
	s_delay_alu instid0(SALU_CYCLE_1)
	s_mul_hi_u32 s61, s54, s59
	s_mul_i32 s60, s54, s59
	s_mul_hi_u32 s0, s54, s58
	s_mul_i32 s62, s55, s58
	s_add_nc_u64 s[60:61], s[0:1], s[60:61]
	s_mul_hi_u32 s37, s55, s58
	s_mul_hi_u32 s63, s55, s59
	s_add_co_u32 s0, s60, s62
	s_add_co_ci_u32 s0, s61, s37
	s_mul_i32 s58, s55, s59
	s_add_co_ci_u32 s59, s63, 0
	s_delay_alu instid0(SALU_CYCLE_1) | instskip(NEXT) | instid1(SALU_CYCLE_1)
	s_add_nc_u64 s[58:59], s[0:1], s[58:59]
	s_add_co_u32 s54, s54, s58
	s_cselect_b32 s0, -1, 0
	s_delay_alu instid0(SALU_CYCLE_1) | instskip(SKIP_1) | instid1(SALU_CYCLE_1)
	s_cmp_lg_u32 s0, 0
	s_add_co_ci_u32 s55, s55, s59
	s_mul_u64 s[56:57], s[56:57], s[54:55]
	s_delay_alu instid0(SALU_CYCLE_1)
	s_mul_hi_u32 s59, s54, s57
	s_mul_i32 s58, s54, s57
	s_mul_hi_u32 s0, s54, s56
	s_mul_i32 s60, s55, s56
	s_add_nc_u64 s[58:59], s[0:1], s[58:59]
	s_mul_hi_u32 s37, s55, s56
	s_mul_hi_u32 s61, s55, s57
	s_add_co_u32 s0, s58, s60
	s_add_co_ci_u32 s0, s59, s37
	s_mul_i32 s56, s55, s57
	s_add_co_ci_u32 s57, s61, 0
	s_delay_alu instid0(SALU_CYCLE_1) | instskip(NEXT) | instid1(SALU_CYCLE_1)
	s_add_nc_u64 s[56:57], s[0:1], s[56:57]
	s_add_co_u32 s54, s54, s56
	s_cselect_b32 s0, -1, 0
	v_mul_hi_u32 v48, v40, s54
	s_cmp_lg_u32 s0, 0
	s_add_co_ci_u32 s0, s55, s57
	s_and_b64 s[56:57], s[54:55], s[28:29]
	v_mul_u64_e32 v[42:43], s[0:1], v[40:41]
	v_mul_u64_e32 v[38:39], s[56:57], v[44:45]
	;; [unrolled: 1-line block ×3, first 2 shown]
	s_delay_alu instid0(VALU_DEP_3) | instskip(NEXT) | instid1(VALU_DEP_1)
	v_add_nc_u64_e32 v[42:43], v[48:49], v[42:43]
	v_add_co_u32 v1, vcc_lo, v42, v38
	s_delay_alu instid0(VALU_DEP_2) | instskip(NEXT) | instid1(VALU_DEP_4)
	v_add_co_ci_u32_e32 v48, vcc_lo, v43, v39, vcc_lo
	v_add_co_ci_u32_e32 v47, vcc_lo, 0, v47, vcc_lo
	s_delay_alu instid0(VALU_DEP_1) | instskip(NEXT) | instid1(VALU_DEP_1)
	v_add_nc_u64_e32 v[38:39], v[48:49], v[46:47]
	v_mul_u64_e32 v[42:43], s[38:39], v[38:39]
	s_delay_alu instid0(VALU_DEP_1) | instskip(NEXT) | instid1(VALU_DEP_2)
	v_sub_nc_u32_e32 v1, v44, v43
	v_sub_co_u32 v17, vcc_lo, v40, v42
	s_delay_alu instid0(VALU_DEP_1) | instskip(NEXT) | instid1(VALU_DEP_3)
	v_sub_co_ci_u32_e64 v44, null, v44, v43, vcc_lo
	v_subrev_co_ci_u32_e64 v1, null, s39, v1, vcc_lo
	s_delay_alu instid0(VALU_DEP_3) | instskip(SKIP_1) | instid1(VALU_DEP_3)
	v_sub_co_u32 v35, s0, v17, s38
	v_add_nc_u64_e32 v[42:43], 1, v[38:39]
	v_subrev_co_ci_u32_e64 v1, null, 0, v1, s0
	s_delay_alu instid0(VALU_DEP_3) | instskip(SKIP_1) | instid1(VALU_DEP_3)
	v_cmp_le_u32_e32 vcc_lo, s38, v35
	v_cndmask_b32_e64 v35, 0, -1, vcc_lo
	v_cmp_le_u32_e32 vcc_lo, s39, v1
	v_cndmask_b32_e64 v40, 0, -1, vcc_lo
	;; [unrolled: 2-line block ×4, first 2 shown]
	v_cmp_eq_u32_e32 vcc_lo, s39, v1
	v_cndmask_b32_e32 v1, v40, v35, vcc_lo
	v_cmp_eq_u32_e32 vcc_lo, s39, v44
	v_add_nc_u64_e32 v[40:41], 2, v[38:39]
	v_cndmask_b32_e32 v17, v45, v17, vcc_lo
	s_delay_alu instid0(VALU_DEP_4) | instskip(NEXT) | instid1(VALU_DEP_2)
	v_cmp_ne_u32_e32 vcc_lo, 0, v1
	v_cmp_ne_u32_e64 s0, 0, v17
	s_delay_alu instid0(VALU_DEP_4) | instskip(NEXT) | instid1(VALU_DEP_1)
	v_dual_cndmask_b32 v1, v43, v41, vcc_lo :: v_dual_cndmask_b32 v17, v42, v40, vcc_lo
	v_dual_cndmask_b32 v1, v39, v1, s0 :: v_dual_bitop2_b32 v34, s36, v34 bitop3:0x14
	s_delay_alu instid0(VALU_DEP_1) | instskip(NEXT) | instid1(VALU_DEP_1)
	v_dual_cndmask_b32 v17, v38, v17, s0 :: v_dual_bitop2_b32 v39, v1, v34 bitop3:0x14
	v_dual_mov_b32 v35, v34 :: v_dual_bitop2_b32 v38, v17, v34 bitop3:0x14
	s_delay_alu instid0(VALU_DEP_1)
	v_sub_nc_u64_e32 v[34:35], v[38:39], v[34:35]
.LBB91_26:                              ;   in Loop: Header=BB91_24 Depth=1
	s_and_not1_saveexec_b32 s0, s53
	s_cbranch_execz .LBB91_23
; %bb.27:                               ;   in Loop: Header=BB91_24 Depth=1
	v_cvt_f32_u32_e32 v1, s34
	s_sub_co_i32 s36, 0, s34
	s_delay_alu instid0(VALU_DEP_1) | instskip(SKIP_1) | instid1(TRANS32_DEP_1)
	v_rcp_iflag_f32_e32 v1, v1
	v_nop
	v_mul_f32_e32 v1, 0x4f7ffffe, v1
	s_delay_alu instid0(VALU_DEP_1) | instskip(NEXT) | instid1(VALU_DEP_1)
	v_cvt_u32_f32_e32 v1, v1
	v_mul_lo_u32 v17, s36, v1
	s_delay_alu instid0(VALU_DEP_1) | instskip(NEXT) | instid1(VALU_DEP_1)
	v_mul_hi_u32 v17, v1, v17
	v_add_nc_u32_e32 v1, v1, v17
	s_delay_alu instid0(VALU_DEP_1) | instskip(NEXT) | instid1(VALU_DEP_1)
	v_mul_hi_u32 v1, v30, v1
	v_mul_lo_u32 v17, v1, s34
	s_delay_alu instid0(VALU_DEP_1) | instskip(NEXT) | instid1(VALU_DEP_1)
	v_sub_nc_u32_e32 v17, v30, v17
	v_subrev_nc_u32_e32 v35, s34, v17
	v_cmp_le_u32_e32 vcc_lo, s34, v17
	s_delay_alu instid0(VALU_DEP_2) | instskip(NEXT) | instid1(VALU_DEP_1)
	v_dual_cndmask_b32 v17, v17, v35 :: v_dual_add_nc_u32 v34, 1, v1
	v_dual_cndmask_b32 v1, v1, v34, vcc_lo :: v_dual_mov_b32 v35, v16
	s_delay_alu instid0(VALU_DEP_2) | instskip(NEXT) | instid1(VALU_DEP_2)
	v_cmp_le_u32_e32 vcc_lo, s34, v17
	v_add_nc_u32_e32 v34, 1, v1
	s_delay_alu instid0(VALU_DEP_1)
	v_cndmask_b32_e32 v34, v1, v34, vcc_lo
	s_branch .LBB91_23
.LBB91_28:
	s_or_b32 exec_lo, exec_lo, s52
	s_mov_b32 s30, -1
	s_mov_b32 s0, 0
	s_mov_b32 s52, 0
	s_mov_b32 s1, exec_lo
	v_cmpx_gt_i64_e64 v[32:33], v[36:37]
	s_cbranch_execz .LBB91_34
; %bb.29:
	s_delay_alu instid0(VALU_DEP_2) | instskip(SKIP_2) | instid1(VALU_DEP_1)
	v_lshlrev_b64_e32 v[12:13], 3, v[12:13]
	s_mov_b32 s27, 0
	s_xor_b32 s29, s42, -1
                                        ; implicit-def: $sgpr28
                                        ; implicit-def: $sgpr31
                                        ; implicit-def: $sgpr30
	v_lshl_add_u64 v[16:17], v[36:37], 3, v[12:13]
	v_add_nc_u64_e32 v[30:31], s[24:25], v[12:13]
	s_delay_alu instid0(VALU_DEP_2) | instskip(NEXT) | instid1(VALU_DEP_1)
	v_add_nc_u64_e32 v[16:17], s[24:25], v[16:17]
	v_add_nc_u64_e32 v[12:13], 8, v[16:17]
	s_delay_alu instid0(VALU_DEP_3)
	v_lshl_add_u64 v[16:17], v[32:33], 3, v[30:31]
	s_branch .LBB91_31
.LBB91_30:                              ;   in Loop: Header=BB91_31 Depth=1
	s_or_b32 exec_lo, exec_lo, s34
	s_delay_alu instid0(SALU_CYCLE_1) | instskip(NEXT) | instid1(SALU_CYCLE_1)
	s_and_b32 s34, exec_lo, s31
	s_or_b32 s27, s34, s27
	s_and_not1_b32 s28, s28, exec_lo
	s_and_b32 s34, s30, exec_lo
	s_delay_alu instid0(SALU_CYCLE_1)
	s_or_b32 s28, s28, s34
	s_and_not1_b32 exec_lo, exec_lo, s27
	s_cbranch_execz .LBB91_33
.LBB91_31:                              ; =>This Inner Loop Header: Depth=1
	s_or_b32 s30, s30, exec_lo
	s_or_b32 s31, s31, exec_lo
	s_mov_b32 s34, exec_lo
	s_delay_alu instid0(VALU_DEP_2)
	v_cmpx_lt_u64_e64 v[12:13], v[16:17]
	s_cbranch_execz .LBB91_30
; %bb.32:                               ;   in Loop: Header=BB91_31 Depth=1
	global_load_b128 v[30:33], v[12:13], off offset:-8
	s_and_not1_b32 s31, s31, exec_lo
	s_wait_xcnt 0x0
	v_add_nc_u64_e32 v[12:13], 8, v[12:13]
	s_and_not1_b32 s30, s30, exec_lo
	s_wait_loadcnt 0x0
	v_cmp_ge_i64_e32 vcc_lo, v[30:31], v[32:33]
	s_or_b32 s35, s29, vcc_lo
	s_delay_alu instid0(SALU_CYCLE_1) | instskip(NEXT) | instid1(SALU_CYCLE_1)
	s_and_b32 s35, s35, exec_lo
	s_or_b32 s31, s31, s35
	s_branch .LBB91_30
.LBB91_33:
	s_or_b32 exec_lo, exec_lo, s27
	s_delay_alu instid0(SALU_CYCLE_1)
	s_mov_b32 s52, exec_lo
	s_or_not1_b32 s30, s28, exec_lo
.LBB91_34:
	s_or_b32 exec_lo, exec_lo, s1
	s_mov_b32 s27, 0
	s_mov_b32 s28, 0
	;; [unrolled: 1-line block ×3, first 2 shown]
	s_and_saveexec_b32 s53, s30
	s_cbranch_execz .LBB91_57
; %bb.35:
	s_mov_b32 s0, -1
	s_mov_b32 s1, 0
	s_mov_b32 s30, 0
	s_mov_b32 s54, exec_lo
	s_wait_loadcnt 0x5
	v_cmpx_eq_u64_e64 v[26:27], v[14:15]
	s_cbranch_execz .LBB91_56
; %bb.36:
	s_mov_b32 s1, -1
	s_mov_b32 s0, 0
	s_mov_b32 s55, exec_lo
	s_wait_loadcnt 0x4
	v_cmpx_eq_u64_e64 v[22:23], v[10:11]
	s_cbranch_execz .LBB91_55
; %bb.37:
	s_wait_loadcnt 0x2
	v_sub_nc_u64_e32 v[12:13], v[2:3], v[6:7]
	s_delay_alu instid0(VALU_DEP_1) | instskip(SKIP_2) | instid1(SALU_CYCLE_1)
	v_cmp_le_i64_e32 vcc_lo, v[14:15], v[12:13]
	v_cmp_ge_i64_e64 s0, s[2:3], v[12:13]
	s_and_b32 s0, vcc_lo, s0
	s_and_saveexec_b32 s56, s0
	s_cbranch_execz .LBB91_54
; %bb.38:
	v_mov_b64_e32 v[12:13], 0
	s_and_saveexec_b32 s57, s46
	s_cbranch_execz .LBB91_45
; %bb.39:
	s_wait_loadcnt 0x0
	v_mul_u64_e32 v[18:19], v[18:19], v[10:11]
	s_ashr_i32 s27, s26, 31
	v_mov_b64_e32 v[12:13], 0
	s_lshl_b64 s[0:1], s[26:27], 3
	v_mov_b32_e32 v16, 0
	s_add_nc_u64 s[0:1], s[18:19], s[0:1]
	s_mov_b64 s[28:29], 0xffffffff
	s_add_nc_u64 s[30:31], s[0:1], 32
	s_mov_b32 s1, 0
	s_mov_b32 s27, s41
	s_branch .LBB91_41
.LBB91_40:                              ;   in Loop: Header=BB91_41 Depth=1
	s_or_b32 exec_lo, exec_lo, s0
	s_delay_alu instid0(VALU_DEP_1)
	v_mul_u64_e32 v[26:27], s[34:35], v[22:23]
	s_load_b64 s[34:35], s[30:31], 0x40
	s_add_co_i32 s27, s27, -1
	s_wait_xcnt 0x0
	s_add_nc_u64 s[30:31], s[30:31], -8
	s_cmp_lg_u32 s27, 0
	s_delay_alu instid0(VALU_DEP_1) | instskip(SKIP_1) | instid1(VALU_DEP_1)
	v_sub_nc_u64_e32 v[18:19], v[18:19], v[26:27]
	s_wait_kmcnt 0x0
	v_mad_nc_u64_u32 v[12:13], v18, s34, v[12:13]
	s_delay_alu instid0(VALU_DEP_1) | instskip(NEXT) | instid1(VALU_DEP_1)
	v_mad_u32 v1, v19, s34, v13
	v_mad_u32 v13, v18, s35, v1
	v_mov_b64_e32 v[18:19], v[22:23]
	s_cbranch_scc0 .LBB91_45
.LBB91_41:                              ; =>This Inner Loop Header: Depth=1
	s_load_b64 s[34:35], s[30:31], 0x0
                                        ; implicit-def: $vgpr22_vgpr23
	s_mov_b32 s0, exec_lo
	s_wait_kmcnt 0x0
	s_delay_alu instid0(VALU_DEP_1) | instskip(NEXT) | instid1(VALU_DEP_1)
	v_or_b32_e32 v17, s35, v19
	v_cmpx_ne_u64_e32 0, v[16:17]
	s_xor_b32 s58, exec_lo, s0
	s_cbranch_execz .LBB91_43
; %bb.42:                               ;   in Loop: Header=BB91_41 Depth=1
	s_ashr_i32 s36, s35, 31
	v_dual_mov_b32 v31, v16 :: v_dual_ashrrev_i32 v22, 31, v19
	s_mov_b32 s37, s36
	v_mov_b32_e32 v35, v16
	s_add_nc_u64 s[38:39], s[34:35], s[36:37]
	s_delay_alu instid0(VALU_DEP_2)
	v_mov_b32_e32 v23, v22
	s_xor_b64 s[38:39], s[38:39], s[36:37]
	v_mov_b32_e32 v39, v16
	s_cvt_f32_u32 s0, s38
	s_cvt_f32_u32 s37, s39
	s_sub_nc_u64 s[62:63], 0, s[38:39]
	v_add_nc_u64_e32 v[26:27], v[18:19], v[22:23]
	s_delay_alu instid0(SALU_CYCLE_1) | instskip(NEXT) | instid1(SALU_CYCLE_3)
	s_fmamk_f32 s0, s37, 0x4f800000, s0
	v_s_rcp_f32 s0, s0
	s_delay_alu instid0(VALU_DEP_1) | instskip(NEXT) | instid1(VALU_DEP_2)
	v_xor_b32_e32 v30, v26, v22
	v_xor_b32_e32 v34, v27, v22
	s_delay_alu instid0(TRANS32_DEP_1) | instskip(NEXT) | instid1(SALU_CYCLE_3)
	s_mul_f32 s0, s0, 0x5f7ffffc
	s_mul_f32 s37, s0, 0x2f800000
	s_delay_alu instid0(SALU_CYCLE_3) | instskip(NEXT) | instid1(SALU_CYCLE_3)
	s_trunc_f32 s37, s37
	s_fmamk_f32 s0, s37, 0xcf800000, s0
	s_cvt_u32_f32 s61, s37
	s_delay_alu instid0(SALU_CYCLE_2) | instskip(NEXT) | instid1(SALU_CYCLE_3)
	s_cvt_u32_f32 s60, s0
	s_mul_u64 s[64:65], s[62:63], s[60:61]
	s_delay_alu instid0(SALU_CYCLE_1)
	s_mul_hi_u32 s67, s60, s65
	s_mul_i32 s66, s60, s65
	s_mul_hi_u32 s0, s60, s64
	s_mul_i32 s59, s61, s64
	s_add_nc_u64 s[66:67], s[0:1], s[66:67]
	s_mul_hi_u32 s37, s61, s64
	s_mul_hi_u32 s68, s61, s65
	s_add_co_u32 s0, s66, s59
	s_add_co_ci_u32 s0, s67, s37
	s_mul_i32 s64, s61, s65
	s_add_co_ci_u32 s65, s68, 0
	s_delay_alu instid0(SALU_CYCLE_1) | instskip(NEXT) | instid1(SALU_CYCLE_1)
	s_add_nc_u64 s[64:65], s[0:1], s[64:65]
	s_add_co_u32 s60, s60, s64
	s_cselect_b32 s0, -1, 0
	s_delay_alu instid0(SALU_CYCLE_1) | instskip(SKIP_1) | instid1(SALU_CYCLE_1)
	s_cmp_lg_u32 s0, 0
	s_add_co_ci_u32 s61, s61, s65
	s_mul_u64 s[62:63], s[62:63], s[60:61]
	s_delay_alu instid0(SALU_CYCLE_1)
	s_mul_hi_u32 s65, s60, s63
	s_mul_i32 s64, s60, s63
	s_mul_hi_u32 s0, s60, s62
	s_mul_i32 s59, s61, s62
	s_add_nc_u64 s[64:65], s[0:1], s[64:65]
	s_mul_hi_u32 s37, s61, s62
	s_mul_hi_u32 s66, s61, s63
	s_add_co_u32 s0, s64, s59
	s_add_co_ci_u32 s0, s65, s37
	s_mul_i32 s62, s61, s63
	s_add_co_ci_u32 s63, s66, 0
	s_delay_alu instid0(SALU_CYCLE_1) | instskip(NEXT) | instid1(SALU_CYCLE_1)
	s_add_nc_u64 s[62:63], s[0:1], s[62:63]
	s_add_co_u32 s60, s60, s62
	s_cselect_b32 s0, -1, 0
	v_mul_hi_u32 v38, v30, s60
	s_cmp_lg_u32 s0, 0
	s_add_co_ci_u32 s0, s61, s63
	s_and_b64 s[62:63], s[60:61], s[28:29]
	v_mul_u64_e32 v[32:33], s[0:1], v[30:31]
	v_mul_u64_e32 v[26:27], s[62:63], v[34:35]
	;; [unrolled: 1-line block ×3, first 2 shown]
	s_delay_alu instid0(VALU_DEP_3) | instskip(NEXT) | instid1(VALU_DEP_1)
	v_add_nc_u64_e32 v[32:33], v[38:39], v[32:33]
	v_add_co_u32 v1, vcc_lo, v32, v26
	s_delay_alu instid0(VALU_DEP_2) | instskip(NEXT) | instid1(VALU_DEP_4)
	v_add_co_ci_u32_e32 v38, vcc_lo, v33, v27, vcc_lo
	v_add_co_ci_u32_e32 v37, vcc_lo, 0, v37, vcc_lo
	s_delay_alu instid0(VALU_DEP_1) | instskip(NEXT) | instid1(VALU_DEP_1)
	v_add_nc_u64_e32 v[26:27], v[38:39], v[36:37]
	v_mul_u64_e32 v[32:33], s[38:39], v[26:27]
	s_delay_alu instid0(VALU_DEP_1) | instskip(NEXT) | instid1(VALU_DEP_2)
	v_sub_nc_u32_e32 v1, v34, v33
	v_sub_co_u32 v17, vcc_lo, v30, v32
	s_delay_alu instid0(VALU_DEP_1) | instskip(NEXT) | instid1(VALU_DEP_3)
	v_sub_co_ci_u32_e64 v34, null, v34, v33, vcc_lo
	v_subrev_co_ci_u32_e64 v1, null, s39, v1, vcc_lo
	s_delay_alu instid0(VALU_DEP_3) | instskip(SKIP_1) | instid1(VALU_DEP_3)
	v_sub_co_u32 v23, s0, v17, s38
	v_add_nc_u64_e32 v[32:33], 1, v[26:27]
	v_subrev_co_ci_u32_e64 v1, null, 0, v1, s0
	s_delay_alu instid0(VALU_DEP_3) | instskip(SKIP_1) | instid1(VALU_DEP_3)
	v_cmp_le_u32_e32 vcc_lo, s38, v23
	v_cndmask_b32_e64 v23, 0, -1, vcc_lo
	v_cmp_le_u32_e32 vcc_lo, s39, v1
	v_cndmask_b32_e64 v30, 0, -1, vcc_lo
	v_cmp_le_u32_e32 vcc_lo, s38, v17
	v_cndmask_b32_e64 v17, 0, -1, vcc_lo
	v_cmp_le_u32_e32 vcc_lo, s39, v34
	v_cndmask_b32_e64 v35, 0, -1, vcc_lo
	v_cmp_eq_u32_e32 vcc_lo, s39, v1
	v_cndmask_b32_e32 v1, v30, v23, vcc_lo
	v_cmp_eq_u32_e32 vcc_lo, s39, v34
	v_add_nc_u64_e32 v[30:31], 2, v[26:27]
	v_cndmask_b32_e32 v17, v35, v17, vcc_lo
	s_delay_alu instid0(VALU_DEP_4) | instskip(NEXT) | instid1(VALU_DEP_3)
	v_cmp_ne_u32_e32 vcc_lo, 0, v1
	v_cndmask_b32_e32 v1, v33, v31, vcc_lo
	s_delay_alu instid0(VALU_DEP_3) | instskip(SKIP_1) | instid1(VALU_DEP_2)
	v_cmp_ne_u32_e64 s0, 0, v17
	v_cndmask_b32_e32 v17, v32, v30, vcc_lo
	v_dual_cndmask_b32 v1, v27, v1, s0 :: v_dual_bitop2_b32 v22, s36, v22 bitop3:0x14
	s_delay_alu instid0(VALU_DEP_1) | instskip(NEXT) | instid1(VALU_DEP_1)
	v_dual_cndmask_b32 v17, v26, v17, s0 :: v_dual_bitop2_b32 v27, v1, v22 bitop3:0x14
	v_dual_mov_b32 v23, v22 :: v_dual_bitop2_b32 v26, v17, v22 bitop3:0x14
	s_delay_alu instid0(VALU_DEP_1)
	v_sub_nc_u64_e32 v[22:23], v[26:27], v[22:23]
.LBB91_43:                              ;   in Loop: Header=BB91_41 Depth=1
	s_and_not1_saveexec_b32 s0, s58
	s_cbranch_execz .LBB91_40
; %bb.44:                               ;   in Loop: Header=BB91_41 Depth=1
	v_cvt_f32_u32_e32 v1, s34
	s_sub_co_i32 s36, 0, s34
	s_delay_alu instid0(VALU_DEP_1) | instskip(SKIP_1) | instid1(TRANS32_DEP_1)
	v_rcp_iflag_f32_e32 v1, v1
	v_nop
	v_mul_f32_e32 v1, 0x4f7ffffe, v1
	s_delay_alu instid0(VALU_DEP_1) | instskip(NEXT) | instid1(VALU_DEP_1)
	v_cvt_u32_f32_e32 v1, v1
	v_mul_lo_u32 v17, s36, v1
	s_delay_alu instid0(VALU_DEP_1) | instskip(NEXT) | instid1(VALU_DEP_1)
	v_mul_hi_u32 v17, v1, v17
	v_add_nc_u32_e32 v1, v1, v17
	s_delay_alu instid0(VALU_DEP_1) | instskip(NEXT) | instid1(VALU_DEP_1)
	v_mul_hi_u32 v1, v18, v1
	v_mul_lo_u32 v17, v1, s34
	s_delay_alu instid0(VALU_DEP_1) | instskip(NEXT) | instid1(VALU_DEP_1)
	v_sub_nc_u32_e32 v17, v18, v17
	v_subrev_nc_u32_e32 v23, s34, v17
	v_cmp_le_u32_e32 vcc_lo, s34, v17
	s_delay_alu instid0(VALU_DEP_2) | instskip(NEXT) | instid1(VALU_DEP_1)
	v_dual_cndmask_b32 v17, v17, v23 :: v_dual_add_nc_u32 v22, 1, v1
	v_dual_cndmask_b32 v1, v1, v22, vcc_lo :: v_dual_mov_b32 v23, v16
	s_delay_alu instid0(VALU_DEP_2) | instskip(NEXT) | instid1(VALU_DEP_2)
	v_cmp_le_u32_e32 vcc_lo, s34, v17
	v_add_nc_u32_e32 v22, 1, v1
	s_delay_alu instid0(VALU_DEP_1)
	v_cndmask_b32_e32 v22, v1, v22, vcc_lo
	s_branch .LBB91_40
.LBB91_45:
	s_or_b32 exec_lo, exec_lo, s57
	s_mov_b32 s29, -1
	s_mov_b32 s0, 0
	s_mov_b32 s27, 0
	s_mov_b32 s1, exec_lo
	v_cmpx_gt_i64_e64 v[2:3], v[6:7]
	s_cbranch_execz .LBB91_51
; %bb.46:
	s_delay_alu instid0(VALU_DEP_2) | instskip(SKIP_1) | instid1(VALU_DEP_1)
	v_lshlrev_b64_e32 v[12:13], 3, v[12:13]
	s_xor_b32 s29, s42, -1
                                        ; implicit-def: $sgpr28
                                        ; implicit-def: $sgpr31
                                        ; implicit-def: $sgpr30
	v_lshl_add_u64 v[6:7], v[6:7], 3, v[12:13]
	v_add_nc_u64_e32 v[12:13], s[24:25], v[12:13]
	s_delay_alu instid0(VALU_DEP_2) | instskip(NEXT) | instid1(VALU_DEP_2)
	v_add_nc_u64_e32 v[6:7], s[24:25], v[6:7]
	v_lshl_add_u64 v[2:3], v[2:3], 3, v[12:13]
	s_delay_alu instid0(VALU_DEP_2)
	v_add_nc_u64_e32 v[6:7], 8, v[6:7]
	s_branch .LBB91_48
.LBB91_47:                              ;   in Loop: Header=BB91_48 Depth=1
	s_or_b32 exec_lo, exec_lo, s34
	s_delay_alu instid0(SALU_CYCLE_1) | instskip(NEXT) | instid1(SALU_CYCLE_1)
	s_and_b32 s34, exec_lo, s31
	s_or_b32 s27, s34, s27
	s_and_not1_b32 s28, s28, exec_lo
	s_and_b32 s34, s30, exec_lo
	s_delay_alu instid0(SALU_CYCLE_1)
	s_or_b32 s28, s28, s34
	s_and_not1_b32 exec_lo, exec_lo, s27
	s_cbranch_execz .LBB91_50
.LBB91_48:                              ; =>This Inner Loop Header: Depth=1
	s_or_b32 s30, s30, exec_lo
	s_or_b32 s31, s31, exec_lo
	s_mov_b32 s34, exec_lo
	s_delay_alu instid0(VALU_DEP_1)
	v_cmpx_lt_u64_e64 v[6:7], v[2:3]
	s_cbranch_execz .LBB91_47
; %bb.49:                               ;   in Loop: Header=BB91_48 Depth=1
	s_wait_loadcnt 0x0
	global_load_b128 v[16:19], v[6:7], off offset:-8
	s_and_not1_b32 s31, s31, exec_lo
	s_wait_xcnt 0x0
	v_add_nc_u64_e32 v[6:7], 8, v[6:7]
	s_and_not1_b32 s30, s30, exec_lo
	s_wait_loadcnt 0x0
	v_cmp_ge_i64_e32 vcc_lo, v[16:17], v[18:19]
	s_or_b32 s35, s29, vcc_lo
	s_delay_alu instid0(SALU_CYCLE_1) | instskip(NEXT) | instid1(SALU_CYCLE_1)
	s_and_b32 s35, s35, exec_lo
	s_or_b32 s31, s31, s35
	s_branch .LBB91_47
.LBB91_50:
	s_or_b32 exec_lo, exec_lo, s27
	s_delay_alu instid0(SALU_CYCLE_1)
	s_mov_b32 s27, exec_lo
	s_or_not1_b32 s29, s28, exec_lo
.LBB91_51:
	s_or_b32 exec_lo, exec_lo, s1
	s_mov_b32 s28, 0
	s_and_saveexec_b32 s1, s29
	s_delay_alu instid0(SALU_CYCLE_1)
	s_xor_b32 s1, exec_lo, s1
; %bb.52:
	v_cmp_ne_u64_e32 vcc_lo, v[28:29], v[14:15]
	s_mov_b32 s28, exec_lo
	s_and_not1_b32 s27, s27, exec_lo
	s_and_b32 s0, vcc_lo, exec_lo
; %bb.53:
	s_or_b32 exec_lo, exec_lo, s1
	s_delay_alu instid0(SALU_CYCLE_1)
	s_and_b32 s29, s27, exec_lo
	s_xor_b32 s1, exec_lo, -1
	s_and_b32 s27, s28, exec_lo
	s_and_b32 s28, s0, exec_lo
.LBB91_54:
	s_or_b32 exec_lo, exec_lo, s56
	s_delay_alu instid0(SALU_CYCLE_1)
	s_and_b32 s30, s29, exec_lo
	s_and_b32 s29, s1, exec_lo
	s_xor_b32 s1, exec_lo, -1
	s_and_b32 s27, s27, exec_lo
	s_and_b32 s0, s28, exec_lo
.LBB91_55:
	s_or_b32 exec_lo, exec_lo, s55
	s_delay_alu instid0(SALU_CYCLE_1)
	s_and_b32 s30, s30, exec_lo
	s_and_b32 s29, s29, exec_lo
	;; [unrolled: 1-line block ×4, first 2 shown]
	s_or_not1_b32 s0, s0, exec_lo
.LBB91_56:
	s_or_b32 exec_lo, exec_lo, s54
	s_delay_alu instid0(SALU_CYCLE_1)
	s_and_not1_b32 s27, s52, exec_lo
	s_and_b32 s30, s30, exec_lo
	s_and_b32 s29, s29, exec_lo
	s_or_b32 s52, s27, s30
	s_and_b32 s28, s28, exec_lo
	s_and_b32 s27, s1, exec_lo
	;; [unrolled: 1-line block ×3, first 2 shown]
.LBB91_57:
	s_or_b32 exec_lo, exec_lo, s53
	s_delay_alu instid0(SALU_CYCLE_1)
	s_and_b32 s30, s52, exec_lo
	s_or_not1_b32 s1, s29, exec_lo
	s_and_b32 s29, s28, exec_lo
	s_and_b32 s28, s27, exec_lo
	;; [unrolled: 1-line block ×3, first 2 shown]
.LBB91_58:
	s_or_b32 exec_lo, exec_lo, s51
	s_delay_alu instid0(SALU_CYCLE_1)
	s_and_b32 s30, s30, exec_lo
	s_and_b32 s31, s1, exec_lo
	s_or_not1_b32 s1, s29, exec_lo
	s_and_b32 s28, s28, exec_lo
	s_and_b32 s0, s27, exec_lo
.LBB91_59:
	s_or_b32 exec_lo, exec_lo, s50
	s_delay_alu instid0(SALU_CYCLE_1)
	s_and_b32 s30, s30, exec_lo
	s_and_b32 s29, s31, exec_lo
	;; [unrolled: 1-line block ×4, first 2 shown]
	s_or_not1_b32 s0, s0, exec_lo
.LBB91_60:
	s_or_b32 exec_lo, exec_lo, s49
	s_delay_alu instid0(SALU_CYCLE_1)
	s_and_not1_b32 s28, s47, exec_lo
	s_and_b32 s30, s30, exec_lo
	s_and_b32 s29, s29, exec_lo
	s_or_b32 s47, s28, s30
	s_and_b32 s28, s27, exec_lo
	s_and_b32 s27, s1, exec_lo
	;; [unrolled: 1-line block ×3, first 2 shown]
.LBB91_61:
	s_or_b32 exec_lo, exec_lo, s48
	s_delay_alu instid0(SALU_CYCLE_1)
	s_and_b32 s48, s46, exec_lo
	s_and_b32 s46, s47, exec_lo
	s_or_not1_b32 s1, s29, exec_lo
	s_and_b32 s39, s28, exec_lo
	s_and_b32 s38, s27, exec_lo
	;; [unrolled: 1-line block ×3, first 2 shown]
.LBB91_62:
	s_or_b32 exec_lo, exec_lo, s45
	s_delay_alu instid0(SALU_CYCLE_1)
	s_and_b32 s45, s48, exec_lo
	s_and_b32 s36, s46, exec_lo
	;; [unrolled: 1-line block ×3, first 2 shown]
	s_or_not1_b32 s0, s39, exec_lo
	s_and_b32 s35, s38, exec_lo
	s_and_b32 s34, s27, exec_lo
.LBB91_63:
	s_or_b32 exec_lo, exec_lo, s44
	s_delay_alu instid0(SALU_CYCLE_1)
	s_and_b32 s1, s45, exec_lo
	s_and_b32 s36, s36, exec_lo
	;; [unrolled: 1-line block ×5, first 2 shown]
	s_or_not1_b32 s31, s34, exec_lo
.LBB91_64:
	s_or_b32 exec_lo, exec_lo, s43
	s_and_saveexec_b32 s28, s31
	s_cbranch_execnz .LBB91_211
.LBB91_65:
	s_or_b32 exec_lo, exec_lo, s28
	s_mov_b32 s29, 0
	s_and_saveexec_b32 s28, s30
	s_delay_alu instid0(SALU_CYCLE_1)
	s_xor_b32 s28, exec_lo, s28
	s_cbranch_execz .LBB91_67
; %bb.66:
	s_wait_loadcnt 0x4
	v_cmp_ne_u64_e32 vcc_lo, v[24:25], v[10:11]
	s_and_not1_b32 s0, s0, exec_lo
	s_mov_b32 s29, exec_lo
	s_and_b32 s30, vcc_lo, exec_lo
	s_delay_alu instid0(SALU_CYCLE_1)
	s_or_b32 s0, s0, s30
.LBB91_67:
	s_or_b32 exec_lo, exec_lo, s28
	s_and_saveexec_b32 s28, s0
	s_cbranch_execnz .LBB91_212
.LBB91_68:
	s_or_b32 exec_lo, exec_lo, s28
	s_mov_b32 s28, 0
	s_and_saveexec_b32 s0, s29
	s_delay_alu instid0(SALU_CYCLE_1)
	s_xor_b32 s29, exec_lo, s0
	s_cbranch_execnz .LBB91_104
; %bb.69:
	s_or_b32 exec_lo, exec_lo, s29
	s_and_saveexec_b32 s0, s27
	s_cbranch_execnz .LBB91_105
.LBB91_70:
	s_or_b32 exec_lo, exec_lo, s0
	s_mov_b32 s0, 0
	s_and_saveexec_b32 s37, s28
	s_cbranch_execnz .LBB91_106
.LBB91_71:
	s_or_b32 exec_lo, exec_lo, s37
	s_and_saveexec_b32 s1, s36
	s_cbranch_execnz .LBB91_152
.LBB91_72:
	s_or_b32 exec_lo, exec_lo, s1
	s_and_saveexec_b32 s1, s0
	s_delay_alu instid0(SALU_CYCLE_1)
	s_xor_b32 s0, exec_lo, s1
	s_cbranch_execz .LBB91_74
.LBB91_73:
	s_mov_b32 s24, 0
	s_add_nc_u64 s[2:3], s[4:5], s[22:23]
	s_mov_b32 s25, s24
	s_mov_b32 s26, s24
	;; [unrolled: 1-line block ×3, first 2 shown]
	s_wait_loadcnt 0x2
	v_mov_b64_e32 v[2:3], s[24:25]
	v_mov_b64_e32 v[4:5], s[26:27]
	s_clause 0x1
	global_store_b128 v0, v[2:5], s[2:3] scale_offset
	global_store_b128 v0, v[2:5], s[2:3] offset:4096 scale_offset
.LBB91_74:
	s_wait_xcnt 0x0
	s_or_b32 exec_lo, exec_lo, s0
	s_mov_b32 s0, 0
.LBB91_75:
	s_delay_alu instid0(SALU_CYCLE_1)
	s_and_b32 vcc_lo, exec_lo, s0
	s_cbranch_vccz .LBB91_95
; %bb.76:
	s_wait_loadcnt 0x5
	v_mov_b64_e32 v[26:27], 0
	v_mov_b64_e32 v[36:37], 0
	s_wait_loadcnt 0x1
	v_mov_b64_e32 v[38:39], 0
	v_mov_b64_e32 v[32:33], 0
	;; [unrolled: 1-line block ×4, first 2 shown]
	v_cmp_gt_i32_e64 s0, s33, v0
	v_or_b32_e32 v1, 0x100, v0
	v_mov_b32_e32 v42, v0
	s_and_saveexec_b32 s1, s0
	s_cbranch_execz .LBB91_78
; %bb.77:
	v_or_b32_e32 v2, s16, v0
	v_or_b32_e32 v42, 0x100, v0
	s_clause 0x4
	global_load_b64 v[32:33], v2, s[10:11] scale_offset
	global_load_b64 v[36:37], v2, s[6:7] scale_offset
	;; [unrolled: 1-line block ×5, first 2 shown]
.LBB91_78:
	s_wait_xcnt 0x0
	s_or_b32 exec_lo, exec_lo, s1
	v_mov_b64_e32 v[28:29], 0
	v_mov_b64_e32 v[22:23], 0
	v_mov_b64_e32 v[24:25], 0
	v_mov_b64_e32 v[30:31], 0
	s_mov_b32 s1, exec_lo
	v_cmpx_gt_i32_e64 s33, v42
	s_cbranch_execz .LBB91_80
; %bb.79:
	v_add_nc_u32_e32 v2, s16, v42
	v_add_nc_u32_e32 v42, 0x100, v42
	s_clause 0x4
	global_load_b64 v[22:23], v2, s[10:11] scale_offset
	global_load_b64 v[26:27], v2, s[6:7] scale_offset
	;; [unrolled: 1-line block ×5, first 2 shown]
.LBB91_80:
	s_wait_xcnt 0x0
	s_or_b32 exec_lo, exec_lo, s1
	v_mov_b64_e32 v[10:11], 0
	s_wait_loadcnt 0x0
	v_mov_b64_e32 v[20:21], 0
	v_mov_b64_e32 v[16:17], 0
	;; [unrolled: 1-line block ×5, first 2 shown]
	s_mov_b32 s1, exec_lo
	v_cmpx_gt_i32_e64 s33, v42
	s_cbranch_execz .LBB91_82
; %bb.81:
	v_add_nc_u32_e32 v2, s16, v42
	v_add_nc_u32_e32 v42, 0x100, v42
	s_clause 0x4
	global_load_b64 v[12:13], v2, s[10:11] scale_offset
	global_load_b64 v[20:21], v2, s[6:7] scale_offset
	;; [unrolled: 1-line block ×5, first 2 shown]
.LBB91_82:
	s_wait_xcnt 0x0
	s_or_b32 exec_lo, exec_lo, s1
	v_mov_b64_e32 v[6:7], 0
	v_mov_b64_e32 v[2:3], 0
	;; [unrolled: 1-line block ×4, first 2 shown]
	s_mov_b32 s1, exec_lo
	v_cmpx_gt_i32_e64 s33, v42
	s_cbranch_execz .LBB91_84
; %bb.83:
	v_add_nc_u32_e32 v42, s16, v42
	s_clause 0x4
	global_load_b64 v[2:3], v42, s[10:11] scale_offset
	global_load_b64 v[10:11], v42, s[6:7] scale_offset
	;; [unrolled: 1-line block ×5, first 2 shown]
.LBB91_84:
	s_wait_xcnt 0x0
	s_or_b32 exec_lo, exec_lo, s1
	s_clause 0x1
	s_load_b256 s[8:15], s[18:19], 0x0
	s_load_b64 s[2:3], s[18:19], 0xa0
	s_cmp_lg_u64 s[20:21], 0
	s_get_pc_i64 s[6:7]
	s_add_nc_u64 s[6:7], s[6:7], .str.7@rel64+4
	s_get_pc_i64 s[20:21]
	s_add_nc_u64 s[20:21], s[20:21], .str.8@rel64+4
	s_cselect_b32 s38, -1, 0
	s_cmp_lg_u64 s[6:7], 0
	s_get_pc_i64 s[22:23]
	s_add_nc_u64 s[22:23], s[22:23], .str.9@rel64+4
	s_cselect_b32 s36, -1, 0
	s_cmp_lg_u64 s[20:21], 0
	s_mov_b32 s1, -1
	s_cselect_b32 s35, -1, 0
	s_mov_b32 s44, 0
	s_mov_b32 s42, 0
	;; [unrolled: 1-line block ×5, first 2 shown]
	s_wait_kmcnt 0x0
	s_add_co_i32 s6, s14, -1
	s_delay_alu instid0(SALU_CYCLE_1)
	s_cmp_gt_i32 s6, -1
	s_cselect_b32 s34, -1, 0
	s_cmp_lg_u64 s[22:23], 0
	s_cselect_b32 s15, -1, 0
	s_and_saveexec_b32 s40, s0
	s_cbranch_execnz .LBB91_113
; %bb.85:
	s_or_b32 exec_lo, exec_lo, s40
	s_mov_b32 s40, 0
	s_and_saveexec_b32 s43, s1
	s_cbranch_execnz .LBB91_161
.LBB91_86:
	s_or_b32 exec_lo, exec_lo, s43
	s_and_saveexec_b32 s1, s42
	s_cbranch_execnz .LBB91_210
.LBB91_87:
	s_or_b32 exec_lo, exec_lo, s1
	s_mov_b32 s1, 0
	s_and_saveexec_b32 s7, s44
	s_delay_alu instid0(SALU_CYCLE_1)
	s_xor_b32 s7, exec_lo, s7
	s_cbranch_execz .LBB91_89
; %bb.88:
	s_wait_loadcnt 0x2
	v_cmp_ne_u64_e32 vcc_lo, s[12:13], v[6:7]
	s_xor_b32 s8, s36, -1
	s_and_not1_b32 s9, s41, exec_lo
	s_mov_b32 s1, exec_lo
	s_or_b32 s8, s8, vcc_lo
	s_delay_alu instid0(SALU_CYCLE_1) | instskip(NEXT) | instid1(SALU_CYCLE_1)
	s_and_b32 s8, s8, exec_lo
	s_or_b32 s41, s9, s8
.LBB91_89:
	s_or_b32 exec_lo, exec_lo, s7
	s_and_saveexec_b32 s7, s41
	s_cbranch_execnz .LBB91_213
.LBB91_90:
	s_or_b32 exec_lo, exec_lo, s7
	s_mov_b32 s7, 0
	s_and_saveexec_b32 s8, s1
	s_delay_alu instid0(SALU_CYCLE_1)
	s_xor_b32 s8, exec_lo, s8
	s_cbranch_execnz .LBB91_123
; %bb.91:
	s_or_b32 exec_lo, exec_lo, s8
	s_and_saveexec_b32 s1, s39
	s_cbranch_execnz .LBB91_124
.LBB91_92:
	s_or_b32 exec_lo, exec_lo, s1
	s_and_saveexec_b32 s22, s7
	s_cbranch_execnz .LBB91_125
.LBB91_93:
	s_or_b32 exec_lo, exec_lo, s22
	s_and_saveexec_b32 s1, s37
	s_cbranch_execnz .LBB91_155
.LBB91_94:
	s_or_b32 exec_lo, exec_lo, s1
	s_and_saveexec_b32 s1, s17
	s_cbranch_execnz .LBB91_96
	s_branch .LBB91_97
.LBB91_95:
                                        ; implicit-def: $sgpr0
                                        ; implicit-def: $vgpr1
                                        ; implicit-def: $vgpr0
	s_and_saveexec_b32 s1, s17
.LBB91_96:
	; divergent unreachable
.LBB91_97:
	s_delay_alu instid0(SALU_CYCLE_1) | instskip(SKIP_1) | instid1(SALU_CYCLE_1)
	s_or_b32 exec_lo, exec_lo, s1
	s_and_saveexec_b32 s1, s40
	s_xor_b32 s1, exec_lo, s1
	s_cbranch_execz .LBB91_103
; %bb.98:
	s_and_saveexec_b32 s1, s0
	s_delay_alu instid0(SALU_CYCLE_1)
	s_xor_b32 s0, exec_lo, s1
	s_cbranch_execnz .LBB91_132
; %bb.99:
	s_or_b32 exec_lo, exec_lo, s0
	s_delay_alu instid0(SALU_CYCLE_1)
	s_mov_b32 s0, exec_lo
	v_cmpx_gt_i32_e64 s33, v0
	s_cbranch_execnz .LBB91_133
.LBB91_100:
	s_or_b32 exec_lo, exec_lo, s0
	s_delay_alu instid0(SALU_CYCLE_1)
	s_mov_b32 s0, exec_lo
	v_cmpx_gt_i32_e64 s33, v0
	s_cbranch_execnz .LBB91_134
.LBB91_101:
	s_or_b32 exec_lo, exec_lo, s0
	s_delay_alu instid0(SALU_CYCLE_1)
	s_mov_b32 s0, exec_lo
	v_cmpx_gt_i32_e64 s33, v0
	s_cbranch_execz .LBB91_103
.LBB91_102:
	s_wait_loadcnt 0x2
	v_mov_b64_e32 v[2:3], 0
	v_add_nc_u32_e32 v0, s16, v0
	global_store_b64 v0, v[2:3], s[4:5] scale_offset
.LBB91_103:
	s_endpgm
.LBB91_104:
	s_wait_loadcnt 0x2
	v_sub_nc_u64_e32 v[2:3], v[4:5], v[8:9]
	s_mov_b32 s28, exec_lo
	s_delay_alu instid0(VALU_DEP_1) | instskip(SKIP_3) | instid1(SALU_CYCLE_1)
	v_cmp_gt_i64_e32 vcc_lo, v[14:15], v[2:3]
	v_cmp_lt_i64_e64 s0, s[2:3], v[2:3]
	s_and_not1_b32 s2, s27, exec_lo
	s_or_b32 s0, vcc_lo, s0
	s_and_b32 s0, s0, exec_lo
	s_delay_alu instid0(SALU_CYCLE_1)
	s_or_b32 s27, s2, s0
	s_or_b32 exec_lo, exec_lo, s29
	s_and_saveexec_b32 s0, s27
	s_cbranch_execz .LBB91_70
.LBB91_105:
	s_or_b32 s17, s17, exec_lo
	s_and_not1_b32 s28, s28, exec_lo
	s_trap 2
	s_or_b32 exec_lo, exec_lo, s0
	s_mov_b32 s0, 0
	s_and_saveexec_b32 s37, s28
	s_cbranch_execz .LBB91_71
.LBB91_106:
	s_wait_loadcnt 0x2
	v_mov_b64_e32 v[2:3], 0
	s_and_saveexec_b32 s38, s1
	s_cbranch_execz .LBB91_135
; %bb.107:
	s_wait_loadcnt 0x0
	v_mul_u64_e32 v[10:11], v[20:21], v[10:11]
	s_ashr_i32 s27, s26, 31
	v_mov_b64_e32 v[2:3], 0
	s_lshl_b64 s[0:1], s[26:27], 3
	v_mov_b32_e32 v6, 0
	s_add_nc_u64 s[0:1], s[18:19], s[0:1]
	s_mov_b64 s[2:3], 0xffffffff
	s_add_nc_u64 s[26:27], s[0:1], 32
	s_mov_b32 s1, 0
	s_branch .LBB91_109
.LBB91_108:                             ;   in Loop: Header=BB91_109 Depth=1
	s_or_b32 exec_lo, exec_lo, s0
	s_delay_alu instid0(VALU_DEP_1)
	v_mul_u64_e32 v[14:15], s[28:29], v[12:13]
	s_load_b64 s[28:29], s[26:27], 0x40
	s_add_co_i32 s41, s41, -1
	s_wait_xcnt 0x0
	s_add_nc_u64 s[26:27], s[26:27], -8
	s_cmp_lg_u32 s41, 0
	s_delay_alu instid0(VALU_DEP_1) | instskip(SKIP_1) | instid1(VALU_DEP_1)
	v_sub_nc_u64_e32 v[10:11], v[10:11], v[14:15]
	s_wait_kmcnt 0x0
	v_mad_nc_u64_u32 v[2:3], v10, s28, v[2:3]
	s_delay_alu instid0(VALU_DEP_1) | instskip(NEXT) | instid1(VALU_DEP_1)
	v_mad_u32 v1, v11, s28, v3
	v_mad_u32 v3, v10, s29, v1
	v_mov_b64_e32 v[10:11], v[12:13]
	s_cbranch_scc0 .LBB91_135
.LBB91_109:                             ; =>This Inner Loop Header: Depth=1
	s_load_b64 s[28:29], s[26:27], 0x0
                                        ; implicit-def: $vgpr12_vgpr13
	s_mov_b32 s0, exec_lo
	s_wait_kmcnt 0x0
	s_delay_alu instid0(VALU_DEP_1) | instskip(NEXT) | instid1(VALU_DEP_1)
	v_or_b32_e32 v7, s29, v11
	v_cmpx_ne_u64_e32 0, v[6:7]
	s_xor_b32 s39, exec_lo, s0
	s_cbranch_execz .LBB91_111
; %bb.110:                              ;   in Loop: Header=BB91_109 Depth=1
	s_ashr_i32 s30, s29, 31
	v_dual_mov_b32 v17, v6 :: v_dual_ashrrev_i32 v12, 31, v11
	s_mov_b32 s31, s30
	s_delay_alu instid0(SALU_CYCLE_1) | instskip(NEXT) | instid1(VALU_DEP_1)
	s_add_nc_u64 s[34:35], s[28:29], s[30:31]
	v_mov_b32_e32 v13, v12
	s_xor_b64 s[34:35], s[34:35], s[30:31]
	s_delay_alu instid0(SALU_CYCLE_1)
	s_cvt_f32_u32 s0, s34
	s_cvt_f32_u32 s31, s35
	s_sub_nc_u64 s[46:47], 0, s[34:35]
	v_add_nc_u64_e32 v[14:15], v[10:11], v[12:13]
	v_mov_b32_e32 v21, v6
	s_fmamk_f32 s0, s31, 0x4f800000, s0
	s_delay_alu instid0(SALU_CYCLE_3) | instskip(NEXT) | instid1(VALU_DEP_2)
	v_s_rcp_f32 s0, s0
	v_xor_b32_e32 v16, v14, v12
	s_delay_alu instid0(VALU_DEP_3) | instskip(NEXT) | instid1(TRANS32_DEP_1)
	v_dual_mov_b32 v25, v6 :: v_dual_bitop2_b32 v20, v15, v12 bitop3:0x14
	s_mul_f32 s0, s0, 0x5f7ffffc
	s_delay_alu instid0(SALU_CYCLE_3) | instskip(NEXT) | instid1(SALU_CYCLE_3)
	s_mul_f32 s31, s0, 0x2f800000
	s_trunc_f32 s31, s31
	s_delay_alu instid0(SALU_CYCLE_3) | instskip(SKIP_1) | instid1(SALU_CYCLE_2)
	s_fmamk_f32 s0, s31, 0xcf800000, s0
	s_cvt_u32_f32 s45, s31
	s_cvt_u32_f32 s44, s0
	s_delay_alu instid0(SALU_CYCLE_3) | instskip(NEXT) | instid1(SALU_CYCLE_1)
	s_mul_u64 s[48:49], s[46:47], s[44:45]
	s_mul_hi_u32 s51, s44, s49
	s_mul_i32 s50, s44, s49
	s_mul_hi_u32 s0, s44, s48
	s_mul_i32 s43, s45, s48
	s_add_nc_u64 s[50:51], s[0:1], s[50:51]
	s_mul_hi_u32 s31, s45, s48
	s_mul_hi_u32 s52, s45, s49
	s_add_co_u32 s0, s50, s43
	s_add_co_ci_u32 s0, s51, s31
	s_mul_i32 s48, s45, s49
	s_add_co_ci_u32 s49, s52, 0
	s_delay_alu instid0(SALU_CYCLE_1) | instskip(NEXT) | instid1(SALU_CYCLE_1)
	s_add_nc_u64 s[48:49], s[0:1], s[48:49]
	s_add_co_u32 s44, s44, s48
	s_cselect_b32 s0, -1, 0
	s_delay_alu instid0(SALU_CYCLE_1) | instskip(SKIP_1) | instid1(SALU_CYCLE_1)
	s_cmp_lg_u32 s0, 0
	s_add_co_ci_u32 s45, s45, s49
	s_mul_u64 s[46:47], s[46:47], s[44:45]
	s_delay_alu instid0(SALU_CYCLE_1)
	s_mul_hi_u32 s49, s44, s47
	s_mul_i32 s48, s44, s47
	s_mul_hi_u32 s0, s44, s46
	s_mul_i32 s43, s45, s46
	s_add_nc_u64 s[48:49], s[0:1], s[48:49]
	s_mul_hi_u32 s31, s45, s46
	s_mul_hi_u32 s50, s45, s47
	s_add_co_u32 s0, s48, s43
	s_add_co_ci_u32 s0, s49, s31
	s_mul_i32 s46, s45, s47
	s_add_co_ci_u32 s47, s50, 0
	s_delay_alu instid0(SALU_CYCLE_1) | instskip(NEXT) | instid1(SALU_CYCLE_1)
	s_add_nc_u64 s[46:47], s[0:1], s[46:47]
	s_add_co_u32 s44, s44, s46
	s_cselect_b32 s0, -1, 0
	v_mul_hi_u32 v24, v16, s44
	s_cmp_lg_u32 s0, 0
	s_add_co_ci_u32 s0, s45, s47
	s_and_b64 s[46:47], s[44:45], s[2:3]
	v_mul_u64_e32 v[18:19], s[0:1], v[16:17]
	v_mul_u64_e32 v[14:15], s[46:47], v[20:21]
	;; [unrolled: 1-line block ×3, first 2 shown]
	s_delay_alu instid0(VALU_DEP_3) | instskip(NEXT) | instid1(VALU_DEP_1)
	v_add_nc_u64_e32 v[18:19], v[24:25], v[18:19]
	v_add_co_u32 v1, vcc_lo, v18, v14
	s_delay_alu instid0(VALU_DEP_2) | instskip(NEXT) | instid1(VALU_DEP_4)
	v_add_co_ci_u32_e32 v24, vcc_lo, v19, v15, vcc_lo
	v_add_co_ci_u32_e32 v23, vcc_lo, 0, v23, vcc_lo
	s_delay_alu instid0(VALU_DEP_1) | instskip(NEXT) | instid1(VALU_DEP_1)
	v_add_nc_u64_e32 v[14:15], v[24:25], v[22:23]
	v_mul_u64_e32 v[18:19], s[34:35], v[14:15]
	s_delay_alu instid0(VALU_DEP_1) | instskip(NEXT) | instid1(VALU_DEP_2)
	v_sub_nc_u32_e32 v1, v20, v19
	v_sub_co_u32 v7, vcc_lo, v16, v18
	s_delay_alu instid0(VALU_DEP_1) | instskip(NEXT) | instid1(VALU_DEP_3)
	v_sub_co_ci_u32_e64 v20, null, v20, v19, vcc_lo
	v_subrev_co_ci_u32_e64 v1, null, s35, v1, vcc_lo
	s_delay_alu instid0(VALU_DEP_3) | instskip(SKIP_1) | instid1(VALU_DEP_3)
	v_sub_co_u32 v13, s0, v7, s34
	v_add_nc_u64_e32 v[18:19], 1, v[14:15]
	v_subrev_co_ci_u32_e64 v1, null, 0, v1, s0
	s_delay_alu instid0(VALU_DEP_3) | instskip(SKIP_1) | instid1(VALU_DEP_3)
	v_cmp_le_u32_e32 vcc_lo, s34, v13
	v_cndmask_b32_e64 v13, 0, -1, vcc_lo
	v_cmp_le_u32_e32 vcc_lo, s35, v1
	v_cndmask_b32_e64 v16, 0, -1, vcc_lo
	;; [unrolled: 2-line block ×4, first 2 shown]
	v_cmp_eq_u32_e32 vcc_lo, s35, v1
	v_cndmask_b32_e32 v1, v16, v13, vcc_lo
	v_cmp_eq_u32_e32 vcc_lo, s35, v20
	v_add_nc_u64_e32 v[16:17], 2, v[14:15]
	v_cndmask_b32_e32 v7, v21, v7, vcc_lo
	s_delay_alu instid0(VALU_DEP_4) | instskip(NEXT) | instid1(VALU_DEP_2)
	v_cmp_ne_u32_e32 vcc_lo, 0, v1
	v_cmp_ne_u32_e64 s0, 0, v7
	s_delay_alu instid0(VALU_DEP_4) | instskip(NEXT) | instid1(VALU_DEP_1)
	v_dual_cndmask_b32 v1, v19, v17, vcc_lo :: v_dual_cndmask_b32 v7, v18, v16, vcc_lo
	v_dual_cndmask_b32 v1, v15, v1, s0 :: v_dual_bitop2_b32 v12, s30, v12 bitop3:0x14
	s_delay_alu instid0(VALU_DEP_1) | instskip(NEXT) | instid1(VALU_DEP_2)
	v_dual_cndmask_b32 v7, v14, v7, s0 :: v_dual_mov_b32 v13, v12
	v_xor_b32_e32 v15, v1, v12
	s_delay_alu instid0(VALU_DEP_2) | instskip(NEXT) | instid1(VALU_DEP_1)
	v_xor_b32_e32 v14, v7, v12
	v_sub_nc_u64_e32 v[12:13], v[14:15], v[12:13]
.LBB91_111:                             ;   in Loop: Header=BB91_109 Depth=1
	s_and_not1_saveexec_b32 s0, s39
	s_cbranch_execz .LBB91_108
; %bb.112:                              ;   in Loop: Header=BB91_109 Depth=1
	v_cvt_f32_u32_e32 v1, s28
	s_sub_co_i32 s30, 0, s28
	s_delay_alu instid0(VALU_DEP_1) | instskip(SKIP_1) | instid1(TRANS32_DEP_1)
	v_rcp_iflag_f32_e32 v1, v1
	v_nop
	v_mul_f32_e32 v1, 0x4f7ffffe, v1
	s_delay_alu instid0(VALU_DEP_1) | instskip(NEXT) | instid1(VALU_DEP_1)
	v_cvt_u32_f32_e32 v1, v1
	v_mul_lo_u32 v7, s30, v1
	s_delay_alu instid0(VALU_DEP_1) | instskip(NEXT) | instid1(VALU_DEP_1)
	v_mul_hi_u32 v7, v1, v7
	v_add_nc_u32_e32 v1, v1, v7
	s_delay_alu instid0(VALU_DEP_1) | instskip(NEXT) | instid1(VALU_DEP_1)
	v_mul_hi_u32 v1, v10, v1
	v_mul_lo_u32 v7, v1, s28
	s_delay_alu instid0(VALU_DEP_1) | instskip(NEXT) | instid1(VALU_DEP_1)
	v_dual_add_nc_u32 v12, 1, v1 :: v_dual_sub_nc_u32 v7, v10, v7
	v_subrev_nc_u32_e32 v13, s28, v7
	v_cmp_le_u32_e32 vcc_lo, s28, v7
	s_delay_alu instid0(VALU_DEP_2) | instskip(NEXT) | instid1(VALU_DEP_4)
	v_dual_cndmask_b32 v7, v7, v13, vcc_lo :: v_dual_mov_b32 v13, v6
	v_cndmask_b32_e32 v1, v1, v12, vcc_lo
	s_delay_alu instid0(VALU_DEP_2) | instskip(NEXT) | instid1(VALU_DEP_2)
	v_cmp_le_u32_e32 vcc_lo, s28, v7
	v_add_nc_u32_e32 v12, 1, v1
	s_delay_alu instid0(VALU_DEP_1)
	v_cndmask_b32_e32 v12, v1, v12, vcc_lo
	s_branch .LBB91_108
.LBB91_113:
	v_cmp_eq_u64_e32 vcc_lo, s[8:9], v[36:37]
	s_mov_b32 s7, -1
	s_mov_b32 s1, 0
	s_mov_b32 s20, 0
	;; [unrolled: 1-line block ×4, first 2 shown]
	s_and_b32 s23, s38, vcc_lo
	s_delay_alu instid0(SALU_CYCLE_1)
	s_and_saveexec_b32 s37, s23
	s_cbranch_execz .LBB91_160
; %bb.114:
	v_cmp_eq_u64_e32 vcc_lo, s[12:13], v[38:39]
	s_and_b32 s22, s36, vcc_lo
	s_delay_alu instid0(SALU_CYCLE_1)
	s_and_saveexec_b32 s39, s22
	s_cbranch_execz .LBB91_159
; %bb.115:
	v_sub_nc_u64_e32 v[42:43], v[34:35], v[32:33]
	s_delay_alu instid0(VALU_DEP_1)
	v_cmp_le_i64_e32 vcc_lo, v[36:37], v[42:43]
	v_cmp_ge_i64_e64 s1, s[10:11], v[42:43]
	s_and_b32 s20, vcc_lo, s1
	s_mov_b32 s1, 0
	s_and_b32 s21, s35, s20
	s_mov_b32 s20, 0
	s_and_saveexec_b32 s41, s21
	s_cbranch_execz .LBB91_158
; %bb.116:
	v_cmp_lt_i64_e32 vcc_lo, 0, v[38:39]
	v_mov_b64_e32 v[36:37], 0
	s_and_b32 s1, vcc_lo, s34
	s_delay_alu instid0(SALU_CYCLE_1)
	s_and_saveexec_b32 s42, s1
	s_cbranch_execz .LBB91_145
; %bb.117:
	v_mul_u64_e32 v[40:41], v[40:41], v[38:39]
	s_ashr_i32 s7, s6, 31
	v_mov_b64_e32 v[36:37], 0
	s_lshl_b64 s[22:23], s[6:7], 3
	v_mov_b32_e32 v38, 0
	s_add_nc_u64 s[22:23], s[18:19], s[22:23]
	s_mov_b64 s[20:21], 0xffffffff
	s_add_nc_u64 s[22:23], s[22:23], 32
	s_mov_b32 s25, 0
	s_mov_b32 s7, s14
	s_branch .LBB91_119
.LBB91_118:                             ;   in Loop: Header=BB91_119 Depth=1
	s_or_b32 exec_lo, exec_lo, s1
	s_delay_alu instid0(VALU_DEP_1)
	v_mul_u64_e32 v[44:45], s[26:27], v[42:43]
	s_load_b64 s[26:27], s[22:23], 0x40
	s_add_co_i32 s7, s7, -1
	s_wait_xcnt 0x0
	s_add_nc_u64 s[22:23], s[22:23], -8
	s_cmp_eq_u32 s7, 0
	s_delay_alu instid0(VALU_DEP_1) | instskip(SKIP_1) | instid1(VALU_DEP_1)
	v_sub_nc_u64_e32 v[40:41], v[40:41], v[44:45]
	s_wait_kmcnt 0x0
	v_mad_nc_u64_u32 v[36:37], v40, s26, v[36:37]
	s_delay_alu instid0(VALU_DEP_1) | instskip(NEXT) | instid1(VALU_DEP_1)
	v_mad_u32 v37, v41, s26, v37
	v_mad_u32 v37, v40, s27, v37
	v_mov_b64_e32 v[40:41], v[42:43]
	s_cbranch_scc1 .LBB91_145
.LBB91_119:                             ; =>This Inner Loop Header: Depth=1
	s_load_b64 s[26:27], s[22:23], 0x0
                                        ; implicit-def: $vgpr42_vgpr43
	s_mov_b32 s1, exec_lo
	s_wait_kmcnt 0x0
	s_delay_alu instid0(VALU_DEP_1) | instskip(NEXT) | instid1(VALU_DEP_1)
	v_or_b32_e32 v39, s27, v41
	v_cmpx_ne_u64_e32 0, v[38:39]
	s_xor_b32 s43, exec_lo, s1
	s_cbranch_execz .LBB91_121
; %bb.120:                              ;   in Loop: Header=BB91_119 Depth=1
	s_ashr_i32 s28, s27, 31
	v_dual_mov_b32 v47, v38 :: v_dual_ashrrev_i32 v42, 31, v41
	s_mov_b32 s29, s28
	v_mov_b32_e32 v55, v38
	s_add_nc_u64 s[30:31], s[26:27], s[28:29]
	s_delay_alu instid0(VALU_DEP_2) | instskip(SKIP_1) | instid1(SALU_CYCLE_1)
	v_mov_b32_e32 v43, v42
	s_xor_b64 s[30:31], s[30:31], s[28:29]
	s_cvt_f32_u32 s1, s30
	s_cvt_f32_u32 s24, s31
	s_sub_nc_u64 s[48:49], 0, s[30:31]
	v_add_nc_u64_e32 v[44:45], v[40:41], v[42:43]
	v_mov_b32_e32 v51, v38
	s_fmamk_f32 s1, s24, 0x4f800000, s1
	s_delay_alu instid0(SALU_CYCLE_3) | instskip(NEXT) | instid1(VALU_DEP_2)
	v_s_rcp_f32 s1, s1
	v_xor_b32_e32 v46, v44, v42
	s_delay_alu instid0(VALU_DEP_3) | instskip(NEXT) | instid1(TRANS32_DEP_1)
	v_xor_b32_e32 v50, v45, v42
	s_mul_f32 s1, s1, 0x5f7ffffc
	s_delay_alu instid0(SALU_CYCLE_3) | instskip(NEXT) | instid1(SALU_CYCLE_3)
	s_mul_f32 s24, s1, 0x2f800000
	s_trunc_f32 s24, s24
	s_delay_alu instid0(SALU_CYCLE_3) | instskip(SKIP_1) | instid1(SALU_CYCLE_2)
	s_fmamk_f32 s1, s24, 0xcf800000, s1
	s_cvt_u32_f32 s47, s24
	s_cvt_u32_f32 s46, s1
	s_delay_alu instid0(SALU_CYCLE_3) | instskip(NEXT) | instid1(SALU_CYCLE_1)
	s_mul_u64 s[50:51], s[48:49], s[46:47]
	s_mul_hi_u32 s53, s46, s51
	s_mul_i32 s52, s46, s51
	s_mul_hi_u32 s24, s46, s50
	s_mul_i32 s29, s47, s50
	s_add_nc_u64 s[52:53], s[24:25], s[52:53]
	s_mul_hi_u32 s1, s47, s50
	s_mul_hi_u32 s45, s47, s51
	s_add_co_u32 s24, s52, s29
	s_add_co_ci_u32 s24, s53, s1
	s_mul_i32 s50, s47, s51
	s_add_co_ci_u32 s51, s45, 0
	s_delay_alu instid0(SALU_CYCLE_1) | instskip(NEXT) | instid1(SALU_CYCLE_1)
	s_add_nc_u64 s[50:51], s[24:25], s[50:51]
	s_add_co_u32 s46, s46, s50
	s_cselect_b32 s1, -1, 0
	s_delay_alu instid0(SALU_CYCLE_1) | instskip(SKIP_1) | instid1(SALU_CYCLE_1)
	s_cmp_lg_u32 s1, 0
	s_add_co_ci_u32 s47, s47, s51
	s_mul_u64 s[48:49], s[48:49], s[46:47]
	s_delay_alu instid0(SALU_CYCLE_1)
	s_mul_hi_u32 s51, s46, s49
	s_mul_i32 s50, s46, s49
	s_mul_hi_u32 s24, s46, s48
	s_mul_i32 s29, s47, s48
	s_add_nc_u64 s[50:51], s[24:25], s[50:51]
	s_mul_hi_u32 s1, s47, s48
	s_mul_hi_u32 s45, s47, s49
	s_add_co_u32 s24, s50, s29
	s_add_co_ci_u32 s24, s51, s1
	s_mul_i32 s48, s47, s49
	s_add_co_ci_u32 s49, s45, 0
	s_delay_alu instid0(SALU_CYCLE_1) | instskip(NEXT) | instid1(SALU_CYCLE_1)
	s_add_nc_u64 s[48:49], s[24:25], s[48:49]
	s_add_co_u32 s46, s46, s48
	s_cselect_b32 s1, -1, 0
	v_mul_hi_u32 v54, v46, s46
	s_cmp_lg_u32 s1, 0
	s_add_co_ci_u32 s24, s47, s49
	s_and_b64 s[48:49], s[46:47], s[20:21]
	v_mul_u64_e32 v[48:49], s[24:25], v[46:47]
	v_mul_u64_e32 v[44:45], s[48:49], v[50:51]
	;; [unrolled: 1-line block ×3, first 2 shown]
	s_delay_alu instid0(VALU_DEP_3) | instskip(NEXT) | instid1(VALU_DEP_1)
	v_add_nc_u64_e32 v[48:49], v[54:55], v[48:49]
	v_add_co_u32 v39, vcc_lo, v48, v44
	s_delay_alu instid0(VALU_DEP_2) | instskip(NEXT) | instid1(VALU_DEP_4)
	v_add_co_ci_u32_e32 v54, vcc_lo, v49, v45, vcc_lo
	v_add_co_ci_u32_e32 v53, vcc_lo, 0, v53, vcc_lo
	s_delay_alu instid0(VALU_DEP_1) | instskip(NEXT) | instid1(VALU_DEP_1)
	v_add_nc_u64_e32 v[44:45], v[54:55], v[52:53]
	v_mul_u64_e32 v[48:49], s[30:31], v[44:45]
	s_delay_alu instid0(VALU_DEP_1) | instskip(NEXT) | instid1(VALU_DEP_2)
	v_sub_nc_u32_e32 v39, v50, v49
	v_sub_co_u32 v43, vcc_lo, v46, v48
	s_delay_alu instid0(VALU_DEP_1) | instskip(NEXT) | instid1(VALU_DEP_3)
	v_sub_co_ci_u32_e64 v50, null, v50, v49, vcc_lo
	v_subrev_co_ci_u32_e64 v39, null, s31, v39, vcc_lo
	s_delay_alu instid0(VALU_DEP_3) | instskip(SKIP_1) | instid1(VALU_DEP_3)
	v_sub_co_u32 v46, s1, v43, s30
	v_add_nc_u64_e32 v[48:49], 1, v[44:45]
	v_subrev_co_ci_u32_e64 v39, null, 0, v39, s1
	s_delay_alu instid0(VALU_DEP_3) | instskip(SKIP_1) | instid1(VALU_DEP_3)
	v_cmp_le_u32_e32 vcc_lo, s30, v46
	v_cndmask_b32_e64 v46, 0, -1, vcc_lo
	v_cmp_le_u32_e32 vcc_lo, s31, v39
	v_cndmask_b32_e64 v47, 0, -1, vcc_lo
	v_cmp_le_u32_e32 vcc_lo, s30, v43
	v_cndmask_b32_e64 v43, 0, -1, vcc_lo
	v_cmp_le_u32_e32 vcc_lo, s31, v50
	v_cndmask_b32_e64 v51, 0, -1, vcc_lo
	v_cmp_eq_u32_e32 vcc_lo, s31, v39
	v_cndmask_b32_e32 v39, v47, v46, vcc_lo
	v_cmp_eq_u32_e32 vcc_lo, s31, v50
	v_add_nc_u64_e32 v[46:47], 2, v[44:45]
	v_cndmask_b32_e32 v43, v51, v43, vcc_lo
	s_delay_alu instid0(VALU_DEP_4) | instskip(NEXT) | instid1(VALU_DEP_2)
	v_cmp_ne_u32_e32 vcc_lo, 0, v39
	v_cmp_ne_u32_e64 s1, 0, v43
	s_delay_alu instid0(VALU_DEP_4) | instskip(NEXT) | instid1(VALU_DEP_1)
	v_dual_cndmask_b32 v39, v49, v47, vcc_lo :: v_dual_cndmask_b32 v43, v48, v46, vcc_lo
	v_dual_cndmask_b32 v39, v45, v39, s1 :: v_dual_bitop2_b32 v42, s28, v42 bitop3:0x14
	s_delay_alu instid0(VALU_DEP_1) | instskip(NEXT) | instid1(VALU_DEP_2)
	v_dual_cndmask_b32 v44, v44, v43, s1 :: v_dual_mov_b32 v43, v42
	v_xor_b32_e32 v45, v39, v42
	s_delay_alu instid0(VALU_DEP_2) | instskip(NEXT) | instid1(VALU_DEP_1)
	v_xor_b32_e32 v44, v44, v42
	v_sub_nc_u64_e32 v[42:43], v[44:45], v[42:43]
.LBB91_121:                             ;   in Loop: Header=BB91_119 Depth=1
	s_and_not1_saveexec_b32 s1, s43
	s_cbranch_execz .LBB91_118
; %bb.122:                              ;   in Loop: Header=BB91_119 Depth=1
	v_cvt_f32_u32_e32 v39, s26
	s_sub_co_i32 s24, 0, s26
	s_delay_alu instid0(VALU_DEP_1) | instskip(SKIP_1) | instid1(TRANS32_DEP_1)
	v_rcp_iflag_f32_e32 v39, v39
	v_nop
	v_mul_f32_e32 v39, 0x4f7ffffe, v39
	s_delay_alu instid0(VALU_DEP_1) | instskip(NEXT) | instid1(VALU_DEP_1)
	v_cvt_u32_f32_e32 v39, v39
	v_mul_lo_u32 v42, s24, v39
	s_delay_alu instid0(VALU_DEP_1) | instskip(NEXT) | instid1(VALU_DEP_1)
	v_mul_hi_u32 v42, v39, v42
	v_add_nc_u32_e32 v39, v39, v42
	s_delay_alu instid0(VALU_DEP_1) | instskip(NEXT) | instid1(VALU_DEP_1)
	v_mul_hi_u32 v39, v40, v39
	v_mul_lo_u32 v42, v39, s26
	s_delay_alu instid0(VALU_DEP_1) | instskip(NEXT) | instid1(VALU_DEP_1)
	v_dual_add_nc_u32 v43, 1, v39 :: v_dual_sub_nc_u32 v42, v40, v42
	v_subrev_nc_u32_e32 v44, s26, v42
	v_cmp_le_u32_e32 vcc_lo, s26, v42
	s_delay_alu instid0(VALU_DEP_2) | instskip(NEXT) | instid1(VALU_DEP_1)
	v_dual_cndmask_b32 v42, v42, v44 :: v_dual_cndmask_b32 v39, v39, v43
	v_cmp_le_u32_e32 vcc_lo, s26, v42
	s_delay_alu instid0(VALU_DEP_2) | instskip(NEXT) | instid1(VALU_DEP_1)
	v_add_nc_u32_e32 v43, 1, v39
	v_dual_cndmask_b32 v42, v39, v43 :: v_dual_mov_b32 v43, v38
	s_branch .LBB91_118
.LBB91_123:
	s_wait_loadcnt 0x1
	v_sub_nc_u64_e32 v[12:13], v[4:5], v[2:3]
	s_and_not1_b32 s9, s39, exec_lo
	s_mov_b32 s7, exec_lo
	s_delay_alu instid0(VALU_DEP_1) | instskip(SKIP_2) | instid1(SALU_CYCLE_1)
	v_cmp_le_i64_e32 vcc_lo, v[10:11], v[12:13]
	v_cmp_ge_i64_e64 s1, s[10:11], v[12:13]
	s_and_b32 s1, vcc_lo, s1
	s_and_b32 s1, s35, s1
	s_delay_alu instid0(SALU_CYCLE_1) | instskip(NEXT) | instid1(SALU_CYCLE_1)
	s_xor_b32 s1, s1, -1
	s_and_b32 s1, s1, exec_lo
	s_delay_alu instid0(SALU_CYCLE_1)
	s_or_b32 s39, s9, s1
	s_or_b32 exec_lo, exec_lo, s8
	s_and_saveexec_b32 s1, s39
	s_cbranch_execz .LBB91_92
.LBB91_124:
	s_or_b32 s17, s17, exec_lo
	s_and_not1_b32 s7, s7, exec_lo
	s_trap 2
	s_or_b32 exec_lo, exec_lo, s1
	s_and_saveexec_b32 s22, s7
	s_cbranch_execz .LBB91_93
.LBB91_125:
	s_wait_loadcnt 0x2
	v_cmp_lt_i64_e32 vcc_lo, 0, v[6:7]
	v_mov_b64_e32 v[10:11], 0
	s_and_b32 s1, vcc_lo, s34
	s_delay_alu instid0(SALU_CYCLE_1)
	s_and_saveexec_b32 s23, s1
	s_cbranch_execz .LBB91_140
; %bb.126:
	s_wait_loadcnt 0x0
	v_mul_u64_e32 v[8:9], v[8:9], v[6:7]
	s_ashr_i32 s7, s6, 31
	v_mov_b64_e32 v[10:11], 0
	s_lshl_b64 s[8:9], s[6:7], 3
	v_mov_b32_e32 v6, 0
	s_add_nc_u64 s[8:9], s[18:19], s[8:9]
	s_mov_b64 s[6:7], 0xffffffff
	s_add_nc_u64 s[8:9], s[8:9], 32
	s_mov_b32 s11, 0
	s_branch .LBB91_128
.LBB91_127:                             ;   in Loop: Header=BB91_128 Depth=1
	s_or_b32 exec_lo, exec_lo, s1
	s_delay_alu instid0(VALU_DEP_1)
	v_mul_u64_e32 v[14:15], s[12:13], v[12:13]
	s_load_b64 s[12:13], s[8:9], 0x40
	s_add_co_i32 s14, s14, -1
	s_wait_xcnt 0x0
	s_add_nc_u64 s[8:9], s[8:9], -8
	s_cmp_lg_u32 s14, 0
	s_delay_alu instid0(VALU_DEP_1) | instskip(SKIP_1) | instid1(VALU_DEP_1)
	v_sub_nc_u64_e32 v[8:9], v[8:9], v[14:15]
	s_wait_kmcnt 0x0
	v_mad_nc_u64_u32 v[10:11], v8, s12, v[10:11]
	s_delay_alu instid0(VALU_DEP_1) | instskip(NEXT) | instid1(VALU_DEP_1)
	v_mad_u32 v7, v9, s12, v11
	v_mad_u32 v11, v8, s13, v7
	v_mov_b64_e32 v[8:9], v[12:13]
	s_cbranch_scc0 .LBB91_140
.LBB91_128:                             ; =>This Inner Loop Header: Depth=1
	s_load_b64 s[12:13], s[8:9], 0x0
                                        ; implicit-def: $vgpr12_vgpr13
	s_mov_b32 s1, exec_lo
	s_wait_kmcnt 0x0
	s_delay_alu instid0(VALU_DEP_1) | instskip(NEXT) | instid1(VALU_DEP_1)
	v_or_b32_e32 v7, s13, v9
	v_cmpx_ne_u64_e32 0, v[6:7]
	s_xor_b32 s24, exec_lo, s1
	s_cbranch_execz .LBB91_130
; %bb.129:                              ;   in Loop: Header=BB91_128 Depth=1
	s_ashr_i32 s18, s13, 31
	v_dual_mov_b32 v17, v6 :: v_dual_ashrrev_i32 v12, 31, v9
	s_mov_b32 s19, s18
	s_delay_alu instid0(SALU_CYCLE_1) | instskip(NEXT) | instid1(VALU_DEP_1)
	s_add_nc_u64 s[20:21], s[12:13], s[18:19]
	v_mov_b32_e32 v13, v12
	s_xor_b64 s[20:21], s[20:21], s[18:19]
	s_delay_alu instid0(SALU_CYCLE_1)
	s_cvt_f32_u32 s1, s20
	s_cvt_f32_u32 s10, s21
	s_sub_nc_u64 s[28:29], 0, s[20:21]
	v_add_nc_u64_e32 v[14:15], v[8:9], v[12:13]
	v_mov_b32_e32 v21, v6
	s_fmamk_f32 s1, s10, 0x4f800000, s1
	s_delay_alu instid0(SALU_CYCLE_3) | instskip(NEXT) | instid1(VALU_DEP_2)
	v_s_rcp_f32 s1, s1
	v_xor_b32_e32 v16, v14, v12
	s_delay_alu instid0(VALU_DEP_3) | instskip(SKIP_1) | instid1(TRANS32_DEP_1)
	v_dual_mov_b32 v25, v6 :: v_dual_bitop2_b32 v20, v15, v12 bitop3:0x14
	v_xor_b32_e32 v12, s18, v12
	s_mul_f32 s1, s1, 0x5f7ffffc
	s_delay_alu instid0(SALU_CYCLE_3) | instskip(NEXT) | instid1(SALU_CYCLE_3)
	s_mul_f32 s10, s1, 0x2f800000
	s_trunc_f32 s10, s10
	s_delay_alu instid0(SALU_CYCLE_3) | instskip(SKIP_1) | instid1(SALU_CYCLE_2)
	s_fmamk_f32 s1, s10, 0xcf800000, s1
	s_cvt_u32_f32 s27, s10
	s_cvt_u32_f32 s26, s1
	s_delay_alu instid0(SALU_CYCLE_3) | instskip(NEXT) | instid1(SALU_CYCLE_1)
	s_mul_u64 s[30:31], s[28:29], s[26:27]
	s_mul_hi_u32 s35, s26, s31
	s_mul_i32 s34, s26, s31
	s_mul_hi_u32 s10, s26, s30
	s_mul_i32 s19, s27, s30
	s_add_nc_u64 s[34:35], s[10:11], s[34:35]
	s_mul_hi_u32 s1, s27, s30
	s_mul_hi_u32 s25, s27, s31
	s_add_co_u32 s10, s34, s19
	s_add_co_ci_u32 s10, s35, s1
	s_mul_i32 s30, s27, s31
	s_add_co_ci_u32 s31, s25, 0
	s_delay_alu instid0(SALU_CYCLE_1) | instskip(NEXT) | instid1(SALU_CYCLE_1)
	s_add_nc_u64 s[30:31], s[10:11], s[30:31]
	s_add_co_u32 s26, s26, s30
	s_cselect_b32 s1, -1, 0
	s_delay_alu instid0(SALU_CYCLE_1) | instskip(SKIP_1) | instid1(SALU_CYCLE_1)
	s_cmp_lg_u32 s1, 0
	s_add_co_ci_u32 s27, s27, s31
	s_mul_u64 s[28:29], s[28:29], s[26:27]
	s_delay_alu instid0(SALU_CYCLE_1)
	s_mul_hi_u32 s31, s26, s29
	s_mul_i32 s30, s26, s29
	s_mul_hi_u32 s10, s26, s28
	s_mul_i32 s19, s27, s28
	s_add_nc_u64 s[30:31], s[10:11], s[30:31]
	s_mul_hi_u32 s1, s27, s28
	s_mul_hi_u32 s25, s27, s29
	s_add_co_u32 s10, s30, s19
	s_add_co_ci_u32 s10, s31, s1
	s_mul_i32 s28, s27, s29
	s_add_co_ci_u32 s29, s25, 0
	s_delay_alu instid0(SALU_CYCLE_1) | instskip(NEXT) | instid1(SALU_CYCLE_1)
	s_add_nc_u64 s[28:29], s[10:11], s[28:29]
	s_add_co_u32 s26, s26, s28
	s_cselect_b32 s1, -1, 0
	v_mul_hi_u32 v24, v16, s26
	s_cmp_lg_u32 s1, 0
	s_add_co_ci_u32 s10, s27, s29
	s_and_b64 s[28:29], s[26:27], s[6:7]
	v_mul_u64_e32 v[18:19], s[10:11], v[16:17]
	v_mul_u64_e32 v[14:15], s[28:29], v[20:21]
	;; [unrolled: 1-line block ×3, first 2 shown]
	s_delay_alu instid0(VALU_DEP_3) | instskip(NEXT) | instid1(VALU_DEP_1)
	v_add_nc_u64_e32 v[18:19], v[24:25], v[18:19]
	v_add_co_u32 v7, vcc_lo, v18, v14
	s_delay_alu instid0(VALU_DEP_2) | instskip(NEXT) | instid1(VALU_DEP_4)
	v_add_co_ci_u32_e32 v24, vcc_lo, v19, v15, vcc_lo
	v_add_co_ci_u32_e32 v23, vcc_lo, 0, v23, vcc_lo
	s_delay_alu instid0(VALU_DEP_1) | instskip(NEXT) | instid1(VALU_DEP_1)
	v_add_nc_u64_e32 v[14:15], v[24:25], v[22:23]
	v_mul_u64_e32 v[18:19], s[20:21], v[14:15]
	s_delay_alu instid0(VALU_DEP_1) | instskip(NEXT) | instid1(VALU_DEP_2)
	v_sub_nc_u32_e32 v7, v20, v19
	v_sub_co_u32 v13, vcc_lo, v16, v18
	s_delay_alu instid0(VALU_DEP_1) | instskip(NEXT) | instid1(VALU_DEP_3)
	v_sub_co_ci_u32_e64 v20, null, v20, v19, vcc_lo
	v_subrev_co_ci_u32_e64 v7, null, s21, v7, vcc_lo
	s_delay_alu instid0(VALU_DEP_3) | instskip(SKIP_1) | instid1(VALU_DEP_3)
	v_sub_co_u32 v16, s1, v13, s20
	v_add_nc_u64_e32 v[18:19], 1, v[14:15]
	v_subrev_co_ci_u32_e64 v7, null, 0, v7, s1
	s_delay_alu instid0(VALU_DEP_3) | instskip(SKIP_1) | instid1(VALU_DEP_3)
	v_cmp_le_u32_e32 vcc_lo, s20, v16
	v_cndmask_b32_e64 v16, 0, -1, vcc_lo
	v_cmp_le_u32_e32 vcc_lo, s21, v7
	v_cndmask_b32_e64 v17, 0, -1, vcc_lo
	v_cmp_le_u32_e32 vcc_lo, s20, v13
	v_cndmask_b32_e64 v13, 0, -1, vcc_lo
	v_cmp_le_u32_e32 vcc_lo, s21, v20
	v_cndmask_b32_e64 v21, 0, -1, vcc_lo
	v_cmp_eq_u32_e32 vcc_lo, s21, v7
	v_cndmask_b32_e32 v7, v17, v16, vcc_lo
	v_cmp_eq_u32_e32 vcc_lo, s21, v20
	v_add_nc_u64_e32 v[16:17], 2, v[14:15]
	v_cndmask_b32_e32 v13, v21, v13, vcc_lo
	s_delay_alu instid0(VALU_DEP_4) | instskip(NEXT) | instid1(VALU_DEP_2)
	v_cmp_ne_u32_e32 vcc_lo, 0, v7
	v_cmp_ne_u32_e64 s1, 0, v13
	s_delay_alu instid0(VALU_DEP_4) | instskip(NEXT) | instid1(VALU_DEP_1)
	v_dual_cndmask_b32 v7, v19, v17, vcc_lo :: v_dual_cndmask_b32 v13, v18, v16, vcc_lo
	v_dual_cndmask_b32 v14, v14, v13, s1 :: v_dual_mov_b32 v13, v12
	s_delay_alu instid0(VALU_DEP_1) | instskip(NEXT) | instid1(VALU_DEP_1)
	v_dual_cndmask_b32 v7, v15, v7, s1 :: v_dual_bitop2_b32 v14, v14, v12 bitop3:0x14
	v_xor_b32_e32 v15, v7, v12
	s_delay_alu instid0(VALU_DEP_1)
	v_sub_nc_u64_e32 v[12:13], v[14:15], v[12:13]
.LBB91_130:                             ;   in Loop: Header=BB91_128 Depth=1
	s_and_not1_saveexec_b32 s1, s24
	s_cbranch_execz .LBB91_127
; %bb.131:                              ;   in Loop: Header=BB91_128 Depth=1
	v_cvt_f32_u32_e32 v7, s12
	s_sub_co_i32 s10, 0, s12
	s_delay_alu instid0(VALU_DEP_1) | instskip(SKIP_1) | instid1(TRANS32_DEP_1)
	v_rcp_iflag_f32_e32 v7, v7
	v_nop
	v_mul_f32_e32 v7, 0x4f7ffffe, v7
	s_delay_alu instid0(VALU_DEP_1) | instskip(NEXT) | instid1(VALU_DEP_1)
	v_cvt_u32_f32_e32 v7, v7
	v_mul_lo_u32 v12, s10, v7
	s_delay_alu instid0(VALU_DEP_1) | instskip(NEXT) | instid1(VALU_DEP_1)
	v_mul_hi_u32 v12, v7, v12
	v_add_nc_u32_e32 v7, v7, v12
	s_delay_alu instid0(VALU_DEP_1) | instskip(NEXT) | instid1(VALU_DEP_1)
	v_mul_hi_u32 v7, v8, v7
	v_mul_lo_u32 v12, v7, s12
	s_delay_alu instid0(VALU_DEP_1) | instskip(NEXT) | instid1(VALU_DEP_1)
	v_dual_add_nc_u32 v13, 1, v7 :: v_dual_sub_nc_u32 v12, v8, v12
	v_subrev_nc_u32_e32 v14, s12, v12
	v_cmp_le_u32_e32 vcc_lo, s12, v12
	s_delay_alu instid0(VALU_DEP_2) | instskip(NEXT) | instid1(VALU_DEP_1)
	v_dual_cndmask_b32 v12, v12, v14 :: v_dual_cndmask_b32 v7, v7, v13
	v_cmp_le_u32_e32 vcc_lo, s12, v12
	s_delay_alu instid0(VALU_DEP_2) | instskip(NEXT) | instid1(VALU_DEP_1)
	v_add_nc_u32_e32 v13, 1, v7
	v_dual_cndmask_b32 v12, v7, v13 :: v_dual_mov_b32 v13, v6
	s_branch .LBB91_127
.LBB91_132:
	s_wait_loadcnt 0x2
	v_mov_b64_e32 v[2:3], 0
	s_wait_loadcnt 0x1
	v_dual_mov_b32 v0, v1 :: v_dual_bitop2_b32 v4, s16, v0 bitop3:0x54
	global_store_b64 v4, v[2:3], s[4:5] scale_offset
	s_wait_xcnt 0x0
	s_or_b32 exec_lo, exec_lo, s0
	s_delay_alu instid0(SALU_CYCLE_1)
	s_mov_b32 s0, exec_lo
	v_cmpx_gt_i32_e64 s33, v0
	s_cbranch_execz .LBB91_100
.LBB91_133:
	s_wait_loadcnt 0x2
	v_mov_b64_e32 v[2:3], 0
	v_add_nc_u32_e32 v1, s16, v0
	v_add_nc_u32_e32 v0, 0x100, v0
	global_store_b64 v1, v[2:3], s[4:5] scale_offset
	s_wait_xcnt 0x0
	s_or_b32 exec_lo, exec_lo, s0
	s_delay_alu instid0(SALU_CYCLE_1)
	s_mov_b32 s0, exec_lo
	v_cmpx_gt_i32_e64 s33, v0
	s_cbranch_execz .LBB91_101
.LBB91_134:
	s_wait_loadcnt 0x2
	v_mov_b64_e32 v[2:3], 0
	v_add_nc_u32_e32 v1, s16, v0
	v_add_nc_u32_e32 v0, 0x100, v0
	global_store_b64 v1, v[2:3], s[4:5] scale_offset
	s_wait_xcnt 0x0
	s_or_b32 exec_lo, exec_lo, s0
	s_delay_alu instid0(SALU_CYCLE_1)
	s_mov_b32 s0, exec_lo
	v_cmpx_gt_i32_e64 s33, v0
	s_cbranch_execnz .LBB91_102
	s_branch .LBB91_103
.LBB91_135:
	s_or_b32 exec_lo, exec_lo, s38
	s_mov_b32 s1, s36
	s_mov_b32 s0, exec_lo
	v_cmpx_gt_i64_e64 v[4:5], v[8:9]
	s_cbranch_execz .LBB91_151
; %bb.136:
	s_delay_alu instid0(VALU_DEP_2) | instskip(SKIP_2) | instid1(VALU_DEP_1)
	v_lshlrev_b64_e32 v[2:3], 3, v[2:3]
	s_mov_b32 s1, 0
	s_xor_b32 s3, s42, -1
                                        ; implicit-def: $sgpr2
	v_lshl_add_u64 v[6:7], v[8:9], 3, v[2:3]
	v_add_nc_u64_e32 v[8:9], s[24:25], v[2:3]
	s_delay_alu instid0(VALU_DEP_2) | instskip(NEXT) | instid1(VALU_DEP_2)
	v_add_nc_u64_e32 v[6:7], s[24:25], v[6:7]
                                        ; implicit-def: $sgpr25
                                        ; implicit-def: $sgpr24
	v_lshl_add_u64 v[4:5], v[4:5], 3, v[8:9]
	s_delay_alu instid0(VALU_DEP_2)
	v_add_nc_u64_e32 v[2:3], 8, v[6:7]
	s_branch .LBB91_138
.LBB91_137:                             ;   in Loop: Header=BB91_138 Depth=1
	s_or_b32 exec_lo, exec_lo, s26
	s_xor_b32 s26, s24, -1
	s_and_b32 s27, exec_lo, s25
	s_delay_alu instid0(SALU_CYCLE_1) | instskip(SKIP_2) | instid1(SALU_CYCLE_1)
	s_or_b32 s1, s27, s1
	s_and_not1_b32 s2, s2, exec_lo
	s_and_b32 s26, s26, exec_lo
	s_or_b32 s2, s2, s26
	s_and_not1_b32 exec_lo, exec_lo, s1
	s_cbranch_execz .LBB91_150
.LBB91_138:                             ; =>This Inner Loop Header: Depth=1
	s_or_b32 s24, s24, exec_lo
	s_or_b32 s25, s25, exec_lo
	s_mov_b32 s26, exec_lo
	s_delay_alu instid0(VALU_DEP_1)
	v_cmpx_lt_u64_e64 v[2:3], v[4:5]
	s_cbranch_execz .LBB91_137
; %bb.139:                              ;   in Loop: Header=BB91_138 Depth=1
	global_load_b128 v[6:9], v[2:3], off offset:-8
	s_wait_xcnt 0x0
	v_add_nc_u64_e32 v[2:3], 8, v[2:3]
	s_and_not1_b32 s25, s25, exec_lo
	s_and_not1_b32 s24, s24, exec_lo
	s_wait_loadcnt 0x0
	v_cmp_ge_i64_e32 vcc_lo, v[6:7], v[8:9]
	s_or_b32 s27, s3, vcc_lo
	s_delay_alu instid0(SALU_CYCLE_1) | instskip(NEXT) | instid1(SALU_CYCLE_1)
	s_and_b32 s27, s27, exec_lo
	s_or_b32 s25, s25, s27
	s_branch .LBB91_137
.LBB91_140:
	s_or_b32 exec_lo, exec_lo, s23
	s_mov_b32 s6, s37
	s_mov_b32 s1, exec_lo
	s_wait_loadcnt 0x1
	v_cmpx_gt_i64_e64 v[4:5], v[2:3]
	s_cbranch_execz .LBB91_154
; %bb.141:
	s_delay_alu instid0(VALU_DEP_2) | instskip(SKIP_1) | instid1(VALU_DEP_1)
	v_lshlrev_b64_e32 v[6:7], 3, v[10:11]
	s_xor_b32 s6, s15, -1
                                        ; implicit-def: $sgpr8
                                        ; implicit-def: $sgpr7
	v_lshl_add_u64 v[2:3], v[2:3], 3, v[6:7]
	v_add_nc_u64_e32 v[6:7], s[2:3], v[6:7]
	s_delay_alu instid0(VALU_DEP_2) | instskip(SKIP_1) | instid1(VALU_DEP_2)
	v_add_nc_u64_e32 v[2:3], s[2:3], v[2:3]
	s_mov_b32 s2, 0
                                        ; implicit-def: $sgpr3
	v_lshl_add_u64 v[4:5], v[4:5], 3, v[6:7]
	s_delay_alu instid0(VALU_DEP_2)
	v_add_nc_u64_e32 v[2:3], 8, v[2:3]
	s_branch .LBB91_143
.LBB91_142:                             ;   in Loop: Header=BB91_143 Depth=1
	s_or_b32 exec_lo, exec_lo, s9
	s_xor_b32 s9, s7, -1
	s_and_b32 s10, exec_lo, s8
	s_delay_alu instid0(SALU_CYCLE_1) | instskip(SKIP_2) | instid1(SALU_CYCLE_1)
	s_or_b32 s2, s10, s2
	s_and_not1_b32 s3, s3, exec_lo
	s_and_b32 s9, s9, exec_lo
	s_or_b32 s3, s3, s9
	s_and_not1_b32 exec_lo, exec_lo, s2
	s_cbranch_execz .LBB91_153
.LBB91_143:                             ; =>This Inner Loop Header: Depth=1
	s_or_b32 s7, s7, exec_lo
	s_or_b32 s8, s8, exec_lo
	s_mov_b32 s9, exec_lo
	s_delay_alu instid0(VALU_DEP_1)
	v_cmpx_lt_u64_e64 v[2:3], v[4:5]
	s_cbranch_execz .LBB91_142
; %bb.144:                              ;   in Loop: Header=BB91_143 Depth=1
	s_wait_loadcnt 0x0
	global_load_b128 v[6:9], v[2:3], off offset:-8
	s_wait_xcnt 0x0
	v_add_nc_u64_e32 v[2:3], 8, v[2:3]
	s_and_not1_b32 s8, s8, exec_lo
	s_and_not1_b32 s7, s7, exec_lo
	s_wait_loadcnt 0x0
	v_cmp_ge_i64_e32 vcc_lo, v[6:7], v[8:9]
	s_or_b32 s10, s6, vcc_lo
	s_delay_alu instid0(SALU_CYCLE_1) | instskip(NEXT) | instid1(SALU_CYCLE_1)
	s_and_b32 s10, s10, exec_lo
	s_or_b32 s8, s8, s10
	s_branch .LBB91_142
.LBB91_145:
	s_or_b32 exec_lo, exec_lo, s42
	s_mov_b32 s21, -1
	s_mov_b32 s7, 0
	s_mov_b32 s1, exec_lo
	v_cmpx_gt_i64_e64 v[34:35], v[32:33]
	s_cbranch_execz .LBB91_157
; %bb.146:
	s_delay_alu instid0(VALU_DEP_2) | instskip(SKIP_1) | instid1(VALU_DEP_1)
	v_lshlrev_b64_e32 v[36:37], 3, v[36:37]
	s_xor_b32 s21, s15, -1
                                        ; implicit-def: $sgpr20
                                        ; implicit-def: $sgpr23
                                        ; implicit-def: $sgpr22
	v_lshl_add_u64 v[32:33], v[32:33], 3, v[36:37]
	v_add_nc_u64_e32 v[36:37], s[2:3], v[36:37]
	s_delay_alu instid0(VALU_DEP_2) | instskip(NEXT) | instid1(VALU_DEP_2)
	v_add_nc_u64_e32 v[32:33], s[2:3], v[32:33]
	v_lshl_add_u64 v[34:35], v[34:35], 3, v[36:37]
	s_delay_alu instid0(VALU_DEP_2)
	v_add_nc_u64_e32 v[32:33], 8, v[32:33]
	s_branch .LBB91_148
.LBB91_147:                             ;   in Loop: Header=BB91_148 Depth=1
	s_or_b32 exec_lo, exec_lo, s24
	s_delay_alu instid0(SALU_CYCLE_1) | instskip(NEXT) | instid1(SALU_CYCLE_1)
	s_and_b32 s24, exec_lo, s23
	s_or_b32 s7, s24, s7
	s_and_not1_b32 s20, s20, exec_lo
	s_and_b32 s24, s22, exec_lo
	s_delay_alu instid0(SALU_CYCLE_1)
	s_or_b32 s20, s20, s24
	s_and_not1_b32 exec_lo, exec_lo, s7
	s_cbranch_execz .LBB91_156
.LBB91_148:                             ; =>This Inner Loop Header: Depth=1
	s_or_b32 s22, s22, exec_lo
	s_or_b32 s23, s23, exec_lo
	s_mov_b32 s24, exec_lo
	s_delay_alu instid0(VALU_DEP_1)
	v_cmpx_lt_u64_e64 v[32:33], v[34:35]
	s_cbranch_execz .LBB91_147
; %bb.149:                              ;   in Loop: Header=BB91_148 Depth=1
	global_load_b128 v[36:39], v[32:33], off offset:-8
	s_wait_xcnt 0x0
	v_add_nc_u64_e32 v[32:33], 8, v[32:33]
	s_and_not1_b32 s23, s23, exec_lo
	s_and_not1_b32 s22, s22, exec_lo
	s_wait_loadcnt 0x0
	v_cmp_ge_i64_e32 vcc_lo, v[36:37], v[38:39]
	s_or_b32 s25, s21, vcc_lo
	s_delay_alu instid0(SALU_CYCLE_1) | instskip(NEXT) | instid1(SALU_CYCLE_1)
	s_and_b32 s25, s25, exec_lo
	s_or_b32 s23, s23, s25
	s_branch .LBB91_147
.LBB91_150:
	s_or_b32 exec_lo, exec_lo, s1
	s_delay_alu instid0(SALU_CYCLE_1) | instskip(SKIP_1) | instid1(SALU_CYCLE_1)
	s_and_not1_b32 s1, s36, exec_lo
	s_and_b32 s2, s2, exec_lo
	s_or_b32 s1, s1, s2
.LBB91_151:
	s_or_b32 exec_lo, exec_lo, s0
	s_delay_alu instid0(SALU_CYCLE_1)
	s_and_not1_b32 s2, s36, exec_lo
	s_and_b32 s1, s1, exec_lo
	s_mov_b32 s0, exec_lo
	s_or_b32 s36, s2, s1
	s_or_b32 exec_lo, exec_lo, s37
	s_and_saveexec_b32 s1, s36
	s_cbranch_execz .LBB91_72
.LBB91_152:
	s_or_b32 s17, s17, exec_lo
	s_and_not1_b32 s0, s0, exec_lo
	s_trap 2
	s_or_b32 exec_lo, exec_lo, s1
	s_and_saveexec_b32 s1, s0
	s_delay_alu instid0(SALU_CYCLE_1)
	s_xor_b32 s0, exec_lo, s1
	s_cbranch_execnz .LBB91_73
	s_branch .LBB91_74
.LBB91_153:
	s_or_b32 exec_lo, exec_lo, s2
	s_delay_alu instid0(SALU_CYCLE_1) | instskip(SKIP_1) | instid1(SALU_CYCLE_1)
	s_and_not1_b32 s2, s37, exec_lo
	s_and_b32 s3, s3, exec_lo
	s_or_b32 s6, s2, s3
.LBB91_154:
	s_or_b32 exec_lo, exec_lo, s1
	s_delay_alu instid0(SALU_CYCLE_1)
	s_and_not1_b32 s1, s37, exec_lo
	s_and_b32 s2, s6, exec_lo
	s_or_b32 s40, s40, exec_lo
	s_or_b32 s37, s1, s2
	s_or_b32 exec_lo, exec_lo, s22
	s_and_saveexec_b32 s1, s37
	s_cbranch_execz .LBB91_94
.LBB91_155:
	s_and_not1_b32 s40, s40, exec_lo
	s_or_b32 s17, s17, exec_lo
	s_trap 2
	s_or_b32 exec_lo, exec_lo, s1
	s_and_saveexec_b32 s1, s17
	s_cbranch_execnz .LBB91_96
	s_branch .LBB91_97
.LBB91_156:
	s_or_b32 exec_lo, exec_lo, s7
	s_delay_alu instid0(SALU_CYCLE_1)
	s_mov_b32 s7, exec_lo
	s_or_not1_b32 s21, s20, exec_lo
.LBB91_157:
	s_or_b32 exec_lo, exec_lo, s1
	s_delay_alu instid0(SALU_CYCLE_1)
	s_and_b32 s20, s7, exec_lo
	s_xor_b32 s7, exec_lo, -1
	s_and_b32 s1, s21, exec_lo
.LBB91_158:
	s_or_b32 exec_lo, exec_lo, s41
	s_delay_alu instid0(SALU_CYCLE_1)
	s_and_b32 s21, s20, exec_lo
	s_and_b32 s20, s7, exec_lo
	s_xor_b32 s7, exec_lo, -1
	s_and_b32 s1, s1, exec_lo
.LBB91_159:
	s_or_b32 exec_lo, exec_lo, s39
	s_delay_alu instid0(SALU_CYCLE_1)
	s_and_b32 s22, s21, exec_lo
	s_and_b32 s21, s20, exec_lo
	;; [unrolled: 1-line block ×3, first 2 shown]
	s_xor_b32 s7, exec_lo, -1
	s_and_b32 s1, s1, exec_lo
.LBB91_160:
	s_or_b32 exec_lo, exec_lo, s37
	s_delay_alu instid0(SALU_CYCLE_1)
	s_and_b32 s37, s22, exec_lo
	s_and_b32 s39, s21, exec_lo
	;; [unrolled: 1-line block ×4, first 2 shown]
	s_or_not1_b32 s1, s1, exec_lo
	s_or_b32 exec_lo, exec_lo, s40
	s_mov_b32 s40, 0
	s_and_saveexec_b32 s43, s1
	s_cbranch_execz .LBB91_86
.LBB91_161:
	s_mov_b32 s1, -1
	s_mov_b32 s48, 0
	s_mov_b32 s44, s42
	;; [unrolled: 1-line block ×4, first 2 shown]
	s_mov_b32 s47, exec_lo
	v_cmpx_gt_i32_e64 s33, v1
	s_cbranch_execz .LBB91_182
; %bb.162:
	v_cmp_eq_u64_e32 vcc_lo, s[8:9], v[26:27]
	s_mov_b32 s7, -1
	s_mov_b32 s1, 0
	s_mov_b32 s21, s41
	;; [unrolled: 1-line block ×4, first 2 shown]
	s_and_b32 s23, s38, vcc_lo
	s_delay_alu instid0(SALU_CYCLE_1)
	s_and_saveexec_b32 s40, s23
	s_cbranch_execz .LBB91_181
; %bb.163:
	v_cmp_eq_u64_e32 vcc_lo, s[12:13], v[28:29]
	s_mov_b32 s21, s39
	s_and_b32 s22, s36, vcc_lo
	s_delay_alu instid0(SALU_CYCLE_1)
	s_and_saveexec_b32 s44, s22
	s_cbranch_execz .LBB91_180
; %bb.164:
	v_sub_nc_u64_e32 v[32:33], v[24:25], v[22:23]
	s_delay_alu instid0(VALU_DEP_1)
	v_cmp_le_i64_e32 vcc_lo, v[26:27], v[32:33]
	v_cmp_ge_i64_e64 s1, s[10:11], v[32:33]
	s_and_b32 s20, vcc_lo, s1
	s_mov_b32 s1, 0
	s_and_b32 s21, s35, s20
	s_mov_b32 s20, 0
	s_and_saveexec_b32 s45, s21
	s_cbranch_execz .LBB91_179
; %bb.165:
	v_cmp_lt_i64_e32 vcc_lo, 0, v[28:29]
	v_mov_b64_e32 v[26:27], 0
	s_and_b32 s1, vcc_lo, s34
	s_delay_alu instid0(SALU_CYCLE_1)
	s_and_saveexec_b32 s46, s1
	s_cbranch_execz .LBB91_172
; %bb.166:
	v_mul_u64_e32 v[30:31], v[30:31], v[28:29]
	s_ashr_i32 s7, s6, 31
	v_mov_b64_e32 v[26:27], 0
	s_lshl_b64 s[22:23], s[6:7], 3
	v_mov_b32_e32 v28, 0
	s_add_nc_u64 s[22:23], s[18:19], s[22:23]
	s_mov_b64 s[20:21], 0xffffffff
	s_add_nc_u64 s[22:23], s[22:23], 32
	s_mov_b32 s25, 0
	s_mov_b32 s7, s14
	s_branch .LBB91_168
.LBB91_167:                             ;   in Loop: Header=BB91_168 Depth=1
	s_or_b32 exec_lo, exec_lo, s1
	s_delay_alu instid0(VALU_DEP_1)
	v_mul_u64_e32 v[34:35], s[26:27], v[32:33]
	s_load_b64 s[26:27], s[22:23], 0x40
	s_add_co_i32 s7, s7, -1
	s_wait_xcnt 0x0
	s_add_nc_u64 s[22:23], s[22:23], -8
	s_cmp_lg_u32 s7, 0
	s_delay_alu instid0(VALU_DEP_1) | instskip(SKIP_1) | instid1(VALU_DEP_1)
	v_sub_nc_u64_e32 v[30:31], v[30:31], v[34:35]
	s_wait_kmcnt 0x0
	v_mad_nc_u64_u32 v[26:27], v30, s26, v[26:27]
	s_delay_alu instid0(VALU_DEP_1) | instskip(NEXT) | instid1(VALU_DEP_1)
	v_mad_u32 v27, v31, s26, v27
	v_mad_u32 v27, v30, s27, v27
	v_mov_b64_e32 v[30:31], v[32:33]
	s_cbranch_scc0 .LBB91_172
.LBB91_168:                             ; =>This Inner Loop Header: Depth=1
	s_load_b64 s[26:27], s[22:23], 0x0
                                        ; implicit-def: $vgpr32_vgpr33
	s_mov_b32 s1, exec_lo
	s_wait_kmcnt 0x0
	s_delay_alu instid0(VALU_DEP_1) | instskip(NEXT) | instid1(VALU_DEP_1)
	v_or_b32_e32 v29, s27, v31
	v_cmpx_ne_u64_e32 0, v[28:29]
	s_xor_b32 s49, exec_lo, s1
	s_cbranch_execz .LBB91_170
; %bb.169:                              ;   in Loop: Header=BB91_168 Depth=1
	s_ashr_i32 s28, s27, 31
	v_dual_mov_b32 v37, v28 :: v_dual_ashrrev_i32 v32, 31, v31
	s_mov_b32 s29, s28
	v_mov_b32_e32 v45, v28
	s_add_nc_u64 s[30:31], s[26:27], s[28:29]
	s_delay_alu instid0(VALU_DEP_2) | instskip(SKIP_1) | instid1(SALU_CYCLE_1)
	v_mov_b32_e32 v33, v32
	s_xor_b64 s[30:31], s[30:31], s[28:29]
	s_cvt_f32_u32 s1, s30
	s_cvt_f32_u32 s24, s31
	s_sub_nc_u64 s[52:53], 0, s[30:31]
	v_add_nc_u64_e32 v[34:35], v[30:31], v[32:33]
	v_mov_b32_e32 v41, v28
	s_fmamk_f32 s1, s24, 0x4f800000, s1
	s_delay_alu instid0(SALU_CYCLE_3) | instskip(NEXT) | instid1(VALU_DEP_2)
	v_s_rcp_f32 s1, s1
	v_xor_b32_e32 v36, v34, v32
	s_delay_alu instid0(VALU_DEP_3) | instskip(NEXT) | instid1(TRANS32_DEP_1)
	v_xor_b32_e32 v40, v35, v32
	s_mul_f32 s1, s1, 0x5f7ffffc
	s_delay_alu instid0(SALU_CYCLE_3) | instskip(NEXT) | instid1(SALU_CYCLE_3)
	s_mul_f32 s24, s1, 0x2f800000
	s_trunc_f32 s24, s24
	s_delay_alu instid0(SALU_CYCLE_3) | instskip(SKIP_1) | instid1(SALU_CYCLE_2)
	s_fmamk_f32 s1, s24, 0xcf800000, s1
	s_cvt_u32_f32 s51, s24
	s_cvt_u32_f32 s50, s1
	s_delay_alu instid0(SALU_CYCLE_3) | instskip(NEXT) | instid1(SALU_CYCLE_1)
	s_mul_u64 s[54:55], s[52:53], s[50:51]
	s_mul_hi_u32 s57, s50, s55
	s_mul_i32 s56, s50, s55
	s_mul_hi_u32 s24, s50, s54
	s_mul_i32 s29, s51, s54
	s_add_nc_u64 s[56:57], s[24:25], s[56:57]
	s_mul_hi_u32 s1, s51, s54
	s_mul_hi_u32 s58, s51, s55
	s_add_co_u32 s24, s56, s29
	s_add_co_ci_u32 s24, s57, s1
	s_mul_i32 s54, s51, s55
	s_add_co_ci_u32 s55, s58, 0
	s_delay_alu instid0(SALU_CYCLE_1) | instskip(NEXT) | instid1(SALU_CYCLE_1)
	s_add_nc_u64 s[54:55], s[24:25], s[54:55]
	s_add_co_u32 s50, s50, s54
	s_cselect_b32 s1, -1, 0
	s_delay_alu instid0(SALU_CYCLE_1) | instskip(SKIP_1) | instid1(SALU_CYCLE_1)
	s_cmp_lg_u32 s1, 0
	s_add_co_ci_u32 s51, s51, s55
	s_mul_u64 s[52:53], s[52:53], s[50:51]
	s_delay_alu instid0(SALU_CYCLE_1)
	s_mul_hi_u32 s55, s50, s53
	s_mul_i32 s54, s50, s53
	s_mul_hi_u32 s24, s50, s52
	s_mul_i32 s29, s51, s52
	s_add_nc_u64 s[54:55], s[24:25], s[54:55]
	s_mul_hi_u32 s1, s51, s52
	s_mul_hi_u32 s56, s51, s53
	s_add_co_u32 s24, s54, s29
	s_add_co_ci_u32 s24, s55, s1
	s_mul_i32 s52, s51, s53
	s_add_co_ci_u32 s53, s56, 0
	s_delay_alu instid0(SALU_CYCLE_1) | instskip(NEXT) | instid1(SALU_CYCLE_1)
	s_add_nc_u64 s[52:53], s[24:25], s[52:53]
	s_add_co_u32 s50, s50, s52
	s_cselect_b32 s1, -1, 0
	v_mul_hi_u32 v44, v36, s50
	s_cmp_lg_u32 s1, 0
	s_add_co_ci_u32 s24, s51, s53
	s_and_b64 s[52:53], s[50:51], s[20:21]
	v_mul_u64_e32 v[38:39], s[24:25], v[36:37]
	v_mul_u64_e32 v[34:35], s[52:53], v[40:41]
	;; [unrolled: 1-line block ×3, first 2 shown]
	s_delay_alu instid0(VALU_DEP_3) | instskip(NEXT) | instid1(VALU_DEP_1)
	v_add_nc_u64_e32 v[38:39], v[44:45], v[38:39]
	v_add_co_u32 v29, vcc_lo, v38, v34
	s_delay_alu instid0(VALU_DEP_2) | instskip(NEXT) | instid1(VALU_DEP_4)
	v_add_co_ci_u32_e32 v44, vcc_lo, v39, v35, vcc_lo
	v_add_co_ci_u32_e32 v43, vcc_lo, 0, v43, vcc_lo
	s_delay_alu instid0(VALU_DEP_1) | instskip(NEXT) | instid1(VALU_DEP_1)
	v_add_nc_u64_e32 v[34:35], v[44:45], v[42:43]
	v_mul_u64_e32 v[38:39], s[30:31], v[34:35]
	s_delay_alu instid0(VALU_DEP_1) | instskip(NEXT) | instid1(VALU_DEP_2)
	v_sub_nc_u32_e32 v29, v40, v39
	v_sub_co_u32 v33, vcc_lo, v36, v38
	s_delay_alu instid0(VALU_DEP_1) | instskip(NEXT) | instid1(VALU_DEP_3)
	v_sub_co_ci_u32_e64 v40, null, v40, v39, vcc_lo
	v_subrev_co_ci_u32_e64 v29, null, s31, v29, vcc_lo
	s_delay_alu instid0(VALU_DEP_3) | instskip(SKIP_1) | instid1(VALU_DEP_3)
	v_sub_co_u32 v36, s1, v33, s30
	v_add_nc_u64_e32 v[38:39], 1, v[34:35]
	v_subrev_co_ci_u32_e64 v29, null, 0, v29, s1
	s_delay_alu instid0(VALU_DEP_3) | instskip(SKIP_1) | instid1(VALU_DEP_3)
	v_cmp_le_u32_e32 vcc_lo, s30, v36
	v_cndmask_b32_e64 v36, 0, -1, vcc_lo
	v_cmp_le_u32_e32 vcc_lo, s31, v29
	v_cndmask_b32_e64 v37, 0, -1, vcc_lo
	;; [unrolled: 2-line block ×4, first 2 shown]
	v_cmp_eq_u32_e32 vcc_lo, s31, v29
	v_cndmask_b32_e32 v29, v37, v36, vcc_lo
	v_cmp_eq_u32_e32 vcc_lo, s31, v40
	v_add_nc_u64_e32 v[36:37], 2, v[34:35]
	v_cndmask_b32_e32 v33, v41, v33, vcc_lo
	s_delay_alu instid0(VALU_DEP_4) | instskip(NEXT) | instid1(VALU_DEP_2)
	v_cmp_ne_u32_e32 vcc_lo, 0, v29
	v_cmp_ne_u32_e64 s1, 0, v33
	s_delay_alu instid0(VALU_DEP_4) | instskip(NEXT) | instid1(VALU_DEP_1)
	v_dual_cndmask_b32 v29, v39, v37, vcc_lo :: v_dual_cndmask_b32 v33, v38, v36, vcc_lo
	v_dual_cndmask_b32 v29, v35, v29, s1 :: v_dual_bitop2_b32 v32, s28, v32 bitop3:0x14
	s_delay_alu instid0(VALU_DEP_1) | instskip(NEXT) | instid1(VALU_DEP_2)
	v_dual_cndmask_b32 v34, v34, v33, s1 :: v_dual_mov_b32 v33, v32
	v_xor_b32_e32 v35, v29, v32
	s_delay_alu instid0(VALU_DEP_2) | instskip(NEXT) | instid1(VALU_DEP_1)
	v_xor_b32_e32 v34, v34, v32
	v_sub_nc_u64_e32 v[32:33], v[34:35], v[32:33]
.LBB91_170:                             ;   in Loop: Header=BB91_168 Depth=1
	s_and_not1_saveexec_b32 s1, s49
	s_cbranch_execz .LBB91_167
; %bb.171:                              ;   in Loop: Header=BB91_168 Depth=1
	v_cvt_f32_u32_e32 v29, s26
	s_sub_co_i32 s24, 0, s26
	s_delay_alu instid0(VALU_DEP_1) | instskip(SKIP_1) | instid1(TRANS32_DEP_1)
	v_rcp_iflag_f32_e32 v29, v29
	v_nop
	v_mul_f32_e32 v29, 0x4f7ffffe, v29
	s_delay_alu instid0(VALU_DEP_1) | instskip(NEXT) | instid1(VALU_DEP_1)
	v_cvt_u32_f32_e32 v29, v29
	v_mul_lo_u32 v32, s24, v29
	s_delay_alu instid0(VALU_DEP_1) | instskip(NEXT) | instid1(VALU_DEP_1)
	v_mul_hi_u32 v32, v29, v32
	v_add_nc_u32_e32 v29, v29, v32
	s_delay_alu instid0(VALU_DEP_1) | instskip(NEXT) | instid1(VALU_DEP_1)
	v_mul_hi_u32 v29, v30, v29
	v_mul_lo_u32 v32, v29, s26
	s_delay_alu instid0(VALU_DEP_1) | instskip(NEXT) | instid1(VALU_DEP_1)
	v_dual_add_nc_u32 v33, 1, v29 :: v_dual_sub_nc_u32 v32, v30, v32
	v_subrev_nc_u32_e32 v34, s26, v32
	v_cmp_le_u32_e32 vcc_lo, s26, v32
	s_delay_alu instid0(VALU_DEP_2) | instskip(NEXT) | instid1(VALU_DEP_1)
	v_dual_cndmask_b32 v32, v32, v34 :: v_dual_cndmask_b32 v29, v29, v33
	v_cmp_le_u32_e32 vcc_lo, s26, v32
	s_delay_alu instid0(VALU_DEP_2) | instskip(NEXT) | instid1(VALU_DEP_1)
	v_add_nc_u32_e32 v33, 1, v29
	v_dual_cndmask_b32 v32, v29, v33 :: v_dual_mov_b32 v33, v28
	s_branch .LBB91_167
.LBB91_172:
	s_or_b32 exec_lo, exec_lo, s46
	s_mov_b32 s21, -1
	s_mov_b32 s7, 0
	s_mov_b32 s1, exec_lo
	v_cmpx_gt_i64_e64 v[24:25], v[22:23]
	s_cbranch_execz .LBB91_178
; %bb.173:
	s_delay_alu instid0(VALU_DEP_2) | instskip(SKIP_1) | instid1(VALU_DEP_1)
	v_lshlrev_b64_e32 v[26:27], 3, v[26:27]
	s_xor_b32 s21, s15, -1
                                        ; implicit-def: $sgpr20
                                        ; implicit-def: $sgpr23
                                        ; implicit-def: $sgpr22
	v_lshl_add_u64 v[22:23], v[22:23], 3, v[26:27]
	v_add_nc_u64_e32 v[26:27], s[2:3], v[26:27]
	s_delay_alu instid0(VALU_DEP_2) | instskip(NEXT) | instid1(VALU_DEP_2)
	v_add_nc_u64_e32 v[22:23], s[2:3], v[22:23]
	v_lshl_add_u64 v[24:25], v[24:25], 3, v[26:27]
	s_delay_alu instid0(VALU_DEP_2)
	v_add_nc_u64_e32 v[22:23], 8, v[22:23]
	s_branch .LBB91_175
.LBB91_174:                             ;   in Loop: Header=BB91_175 Depth=1
	s_or_b32 exec_lo, exec_lo, s24
	s_delay_alu instid0(SALU_CYCLE_1) | instskip(NEXT) | instid1(SALU_CYCLE_1)
	s_and_b32 s24, exec_lo, s23
	s_or_b32 s7, s24, s7
	s_and_not1_b32 s20, s20, exec_lo
	s_and_b32 s24, s22, exec_lo
	s_delay_alu instid0(SALU_CYCLE_1)
	s_or_b32 s20, s20, s24
	s_and_not1_b32 exec_lo, exec_lo, s7
	s_cbranch_execz .LBB91_177
.LBB91_175:                             ; =>This Inner Loop Header: Depth=1
	s_or_b32 s22, s22, exec_lo
	s_or_b32 s23, s23, exec_lo
	s_mov_b32 s24, exec_lo
	s_delay_alu instid0(VALU_DEP_1)
	v_cmpx_lt_u64_e64 v[22:23], v[24:25]
	s_cbranch_execz .LBB91_174
; %bb.176:                              ;   in Loop: Header=BB91_175 Depth=1
	global_load_b128 v[26:29], v[22:23], off offset:-8
	s_wait_xcnt 0x0
	v_add_nc_u64_e32 v[22:23], 8, v[22:23]
	s_and_not1_b32 s23, s23, exec_lo
	s_and_not1_b32 s22, s22, exec_lo
	s_wait_loadcnt 0x0
	v_cmp_ge_i64_e32 vcc_lo, v[26:27], v[28:29]
	s_or_b32 s25, s21, vcc_lo
	s_delay_alu instid0(SALU_CYCLE_1) | instskip(NEXT) | instid1(SALU_CYCLE_1)
	s_and_b32 s25, s25, exec_lo
	s_or_b32 s23, s23, s25
	s_branch .LBB91_174
.LBB91_177:
	s_or_b32 exec_lo, exec_lo, s7
	s_delay_alu instid0(SALU_CYCLE_1)
	s_mov_b32 s7, exec_lo
	s_or_not1_b32 s21, s20, exec_lo
.LBB91_178:
	s_or_b32 exec_lo, exec_lo, s1
	s_delay_alu instid0(SALU_CYCLE_1)
	s_and_b32 s20, s7, exec_lo
	s_xor_b32 s7, exec_lo, -1
	s_and_b32 s1, s21, exec_lo
.LBB91_179:
	s_or_b32 exec_lo, exec_lo, s45
	s_delay_alu instid0(SALU_CYCLE_1)
	s_and_not1_b32 s21, s39, exec_lo
	s_and_b32 s7, s7, exec_lo
	s_and_b32 s20, s20, exec_lo
	s_or_b32 s21, s21, s7
	s_xor_b32 s7, exec_lo, -1
	s_and_b32 s1, s1, exec_lo
.LBB91_180:
	s_or_b32 exec_lo, exec_lo, s44
	s_delay_alu instid0(SALU_CYCLE_1)
	s_and_not1_b32 s22, s39, exec_lo
	s_and_b32 s21, s21, exec_lo
	s_and_not1_b32 s23, s41, exec_lo
	s_and_b32 s7, s7, exec_lo
	s_and_b32 s20, s20, exec_lo
	s_or_b32 s22, s22, s21
	s_or_b32 s21, s23, s7
	s_xor_b32 s7, exec_lo, -1
	s_and_b32 s1, s1, exec_lo
.LBB91_181:
	s_or_b32 exec_lo, exec_lo, s40
	s_delay_alu instid0(SALU_CYCLE_1)
	s_and_not1_b32 s23, s39, exec_lo
	s_and_b32 s22, s22, exec_lo
	s_and_b32 s40, s20, exec_lo
	s_or_b32 s45, s23, s22
	s_and_not1_b32 s20, s41, exec_lo
	s_and_b32 s21, s21, exec_lo
	s_and_not1_b32 s22, s42, exec_lo
	s_and_b32 s7, s7, exec_lo
	s_or_b32 s46, s20, s21
	s_or_b32 s44, s22, s7
	s_or_not1_b32 s1, s1, exec_lo
.LBB91_182:
	s_or_b32 exec_lo, exec_lo, s47
	s_mov_b32 s21, 0
	s_and_saveexec_b32 s47, s1
	s_cbranch_execz .LBB91_209
; %bb.183:
	v_or_b32_e32 v22, 0x200, v0
	s_mov_b32 s23, -1
	s_mov_b32 s48, 0
	s_mov_b32 s1, s44
	;; [unrolled: 1-line block ×4, first 2 shown]
	s_mov_b32 s49, exec_lo
	v_cmpx_gt_i32_e64 s33, v22
	s_cbranch_execz .LBB91_204
; %bb.184:
	s_wait_loadcnt 0x3
	v_cmp_eq_u64_e32 vcc_lo, s[8:9], v[20:21]
	s_mov_b32 s1, -1
	s_mov_b32 s22, 0
	s_mov_b32 s23, s46
	;; [unrolled: 1-line block ×4, first 2 shown]
	s_and_b32 s20, s38, vcc_lo
	s_delay_alu instid0(SALU_CYCLE_1)
	s_and_saveexec_b32 s50, s20
	s_cbranch_execz .LBB91_203
; %bb.185:
	s_wait_loadcnt 0x2
	v_cmp_eq_u64_e32 vcc_lo, s[12:13], v[16:17]
	s_mov_b32 s20, 0
	s_mov_b32 s21, s45
	s_and_b32 s7, s36, vcc_lo
	s_delay_alu instid0(SALU_CYCLE_1)
	s_and_saveexec_b32 s51, s7
	s_cbranch_execz .LBB91_202
; %bb.186:
	s_wait_loadcnt 0x1
	v_sub_nc_u64_e32 v[22:23], v[14:15], v[12:13]
	s_mov_b32 s20, -1
	s_mov_b32 s7, 0
	s_delay_alu instid0(VALU_DEP_1) | instskip(SKIP_2) | instid1(SALU_CYCLE_1)
	v_cmp_le_i64_e32 vcc_lo, v[20:21], v[22:23]
	v_cmp_ge_i64_e64 s1, s[10:11], v[22:23]
	s_and_b32 s1, vcc_lo, s1
	s_and_b32 s21, s35, s1
	s_mov_b32 s1, 0
	s_and_saveexec_b32 s52, s21
	s_cbranch_execz .LBB91_201
; %bb.187:
	v_cmp_lt_i64_e32 vcc_lo, 0, v[16:17]
	v_mov_b64_e32 v[20:21], 0
	s_and_b32 s1, vcc_lo, s34
	s_delay_alu instid0(SALU_CYCLE_1)
	s_and_saveexec_b32 s53, s1
	s_cbranch_execz .LBB91_194
; %bb.188:
	s_wait_loadcnt 0x0
	v_mul_u64_e32 v[18:19], v[18:19], v[16:17]
	s_ashr_i32 s7, s6, 31
	v_mov_b64_e32 v[20:21], 0
	s_lshl_b64 s[22:23], s[6:7], 3
	v_mov_b32_e32 v16, 0
	s_add_nc_u64 s[22:23], s[18:19], s[22:23]
	s_mov_b64 s[20:21], 0xffffffff
	s_add_nc_u64 s[22:23], s[22:23], 32
	s_mov_b32 s25, 0
	s_mov_b32 s7, s14
	s_branch .LBB91_190
.LBB91_189:                             ;   in Loop: Header=BB91_190 Depth=1
	s_or_b32 exec_lo, exec_lo, s1
	s_delay_alu instid0(VALU_DEP_1)
	v_mul_u64_e32 v[24:25], s[26:27], v[22:23]
	s_load_b64 s[26:27], s[22:23], 0x40
	s_add_co_i32 s7, s7, -1
	s_wait_xcnt 0x0
	s_add_nc_u64 s[22:23], s[22:23], -8
	s_cmp_lg_u32 s7, 0
	s_delay_alu instid0(VALU_DEP_1) | instskip(SKIP_1) | instid1(VALU_DEP_1)
	v_sub_nc_u64_e32 v[18:19], v[18:19], v[24:25]
	s_wait_kmcnt 0x0
	v_mad_nc_u64_u32 v[20:21], v18, s26, v[20:21]
	s_delay_alu instid0(VALU_DEP_1) | instskip(NEXT) | instid1(VALU_DEP_1)
	v_mad_u32 v17, v19, s26, v21
	v_mad_u32 v21, v18, s27, v17
	v_mov_b64_e32 v[18:19], v[22:23]
	s_cbranch_scc0 .LBB91_194
.LBB91_190:                             ; =>This Inner Loop Header: Depth=1
	s_load_b64 s[26:27], s[22:23], 0x0
                                        ; implicit-def: $vgpr22_vgpr23
	s_mov_b32 s1, exec_lo
	s_wait_kmcnt 0x0
	s_delay_alu instid0(VALU_DEP_1) | instskip(NEXT) | instid1(VALU_DEP_1)
	v_or_b32_e32 v17, s27, v19
	v_cmpx_ne_u64_e32 0, v[16:17]
	s_xor_b32 s54, exec_lo, s1
	s_cbranch_execz .LBB91_192
; %bb.191:                              ;   in Loop: Header=BB91_190 Depth=1
	s_ashr_i32 s28, s27, 31
	v_dual_mov_b32 v27, v16 :: v_dual_ashrrev_i32 v22, 31, v19
	s_mov_b32 s29, s28
	s_delay_alu instid0(SALU_CYCLE_1) | instskip(NEXT) | instid1(VALU_DEP_1)
	s_add_nc_u64 s[30:31], s[26:27], s[28:29]
	v_mov_b32_e32 v23, v22
	s_xor_b64 s[30:31], s[30:31], s[28:29]
	s_delay_alu instid0(SALU_CYCLE_1)
	s_cvt_f32_u32 s1, s30
	s_cvt_f32_u32 s24, s31
	s_sub_nc_u64 s[58:59], 0, s[30:31]
	v_add_nc_u64_e32 v[24:25], v[18:19], v[22:23]
	v_mov_b32_e32 v31, v16
	s_fmamk_f32 s1, s24, 0x4f800000, s1
	s_delay_alu instid0(SALU_CYCLE_3) | instskip(NEXT) | instid1(VALU_DEP_2)
	v_s_rcp_f32 s1, s1
	v_xor_b32_e32 v26, v24, v22
	s_delay_alu instid0(VALU_DEP_3) | instskip(SKIP_1) | instid1(TRANS32_DEP_1)
	v_dual_mov_b32 v35, v16 :: v_dual_bitop2_b32 v30, v25, v22 bitop3:0x14
	v_xor_b32_e32 v22, s28, v22
	s_mul_f32 s1, s1, 0x5f7ffffc
	s_delay_alu instid0(SALU_CYCLE_3) | instskip(NEXT) | instid1(SALU_CYCLE_3)
	s_mul_f32 s24, s1, 0x2f800000
	s_trunc_f32 s24, s24
	s_delay_alu instid0(SALU_CYCLE_3) | instskip(SKIP_1) | instid1(SALU_CYCLE_2)
	s_fmamk_f32 s1, s24, 0xcf800000, s1
	s_cvt_u32_f32 s57, s24
	s_cvt_u32_f32 s56, s1
	s_delay_alu instid0(SALU_CYCLE_3) | instskip(NEXT) | instid1(SALU_CYCLE_1)
	s_mul_u64 s[60:61], s[58:59], s[56:57]
	s_mul_hi_u32 s63, s56, s61
	s_mul_i32 s62, s56, s61
	s_mul_hi_u32 s24, s56, s60
	s_mul_i32 s29, s57, s60
	s_add_nc_u64 s[62:63], s[24:25], s[62:63]
	s_mul_hi_u32 s1, s57, s60
	s_mul_hi_u32 s55, s57, s61
	s_add_co_u32 s24, s62, s29
	s_add_co_ci_u32 s24, s63, s1
	s_mul_i32 s60, s57, s61
	s_add_co_ci_u32 s61, s55, 0
	s_delay_alu instid0(SALU_CYCLE_1) | instskip(NEXT) | instid1(SALU_CYCLE_1)
	s_add_nc_u64 s[60:61], s[24:25], s[60:61]
	s_add_co_u32 s56, s56, s60
	s_cselect_b32 s1, -1, 0
	s_delay_alu instid0(SALU_CYCLE_1) | instskip(SKIP_1) | instid1(SALU_CYCLE_1)
	s_cmp_lg_u32 s1, 0
	s_add_co_ci_u32 s57, s57, s61
	s_mul_u64 s[58:59], s[58:59], s[56:57]
	s_delay_alu instid0(SALU_CYCLE_1)
	s_mul_hi_u32 s61, s56, s59
	s_mul_i32 s60, s56, s59
	s_mul_hi_u32 s24, s56, s58
	s_mul_i32 s29, s57, s58
	s_add_nc_u64 s[60:61], s[24:25], s[60:61]
	s_mul_hi_u32 s1, s57, s58
	s_mul_hi_u32 s55, s57, s59
	s_add_co_u32 s24, s60, s29
	s_add_co_ci_u32 s24, s61, s1
	s_mul_i32 s58, s57, s59
	s_add_co_ci_u32 s59, s55, 0
	s_delay_alu instid0(SALU_CYCLE_1) | instskip(NEXT) | instid1(SALU_CYCLE_1)
	s_add_nc_u64 s[58:59], s[24:25], s[58:59]
	s_add_co_u32 s56, s56, s58
	s_cselect_b32 s1, -1, 0
	v_mul_hi_u32 v34, v26, s56
	s_cmp_lg_u32 s1, 0
	s_add_co_ci_u32 s24, s57, s59
	s_and_b64 s[58:59], s[56:57], s[20:21]
	v_mul_u64_e32 v[28:29], s[24:25], v[26:27]
	v_mul_u64_e32 v[24:25], s[58:59], v[30:31]
	;; [unrolled: 1-line block ×3, first 2 shown]
	s_delay_alu instid0(VALU_DEP_3) | instskip(NEXT) | instid1(VALU_DEP_1)
	v_add_nc_u64_e32 v[28:29], v[34:35], v[28:29]
	v_add_co_u32 v17, vcc_lo, v28, v24
	s_delay_alu instid0(VALU_DEP_2) | instskip(NEXT) | instid1(VALU_DEP_4)
	v_add_co_ci_u32_e32 v34, vcc_lo, v29, v25, vcc_lo
	v_add_co_ci_u32_e32 v33, vcc_lo, 0, v33, vcc_lo
	s_delay_alu instid0(VALU_DEP_1) | instskip(NEXT) | instid1(VALU_DEP_1)
	v_add_nc_u64_e32 v[24:25], v[34:35], v[32:33]
	v_mul_u64_e32 v[28:29], s[30:31], v[24:25]
	s_delay_alu instid0(VALU_DEP_1) | instskip(NEXT) | instid1(VALU_DEP_2)
	v_sub_nc_u32_e32 v17, v30, v29
	v_sub_co_u32 v23, vcc_lo, v26, v28
	s_delay_alu instid0(VALU_DEP_1) | instskip(NEXT) | instid1(VALU_DEP_3)
	v_sub_co_ci_u32_e64 v30, null, v30, v29, vcc_lo
	v_subrev_co_ci_u32_e64 v17, null, s31, v17, vcc_lo
	s_delay_alu instid0(VALU_DEP_3) | instskip(SKIP_1) | instid1(VALU_DEP_3)
	v_sub_co_u32 v26, s1, v23, s30
	v_add_nc_u64_e32 v[28:29], 1, v[24:25]
	v_subrev_co_ci_u32_e64 v17, null, 0, v17, s1
	s_delay_alu instid0(VALU_DEP_3) | instskip(SKIP_1) | instid1(VALU_DEP_3)
	v_cmp_le_u32_e32 vcc_lo, s30, v26
	v_cndmask_b32_e64 v26, 0, -1, vcc_lo
	v_cmp_le_u32_e32 vcc_lo, s31, v17
	v_cndmask_b32_e64 v27, 0, -1, vcc_lo
	;; [unrolled: 2-line block ×4, first 2 shown]
	v_cmp_eq_u32_e32 vcc_lo, s31, v17
	v_cndmask_b32_e32 v17, v27, v26, vcc_lo
	v_cmp_eq_u32_e32 vcc_lo, s31, v30
	v_add_nc_u64_e32 v[26:27], 2, v[24:25]
	v_cndmask_b32_e32 v23, v31, v23, vcc_lo
	s_delay_alu instid0(VALU_DEP_4) | instskip(NEXT) | instid1(VALU_DEP_2)
	v_cmp_ne_u32_e32 vcc_lo, 0, v17
	v_cmp_ne_u32_e64 s1, 0, v23
	s_delay_alu instid0(VALU_DEP_4) | instskip(NEXT) | instid1(VALU_DEP_1)
	v_dual_cndmask_b32 v17, v29, v27, vcc_lo :: v_dual_cndmask_b32 v23, v28, v26, vcc_lo
	v_dual_cndmask_b32 v24, v24, v23, s1 :: v_dual_mov_b32 v23, v22
	s_delay_alu instid0(VALU_DEP_1) | instskip(NEXT) | instid1(VALU_DEP_1)
	v_dual_cndmask_b32 v17, v25, v17, s1 :: v_dual_bitop2_b32 v24, v24, v22 bitop3:0x14
	v_xor_b32_e32 v25, v17, v22
	s_delay_alu instid0(VALU_DEP_1)
	v_sub_nc_u64_e32 v[22:23], v[24:25], v[22:23]
.LBB91_192:                             ;   in Loop: Header=BB91_190 Depth=1
	s_and_not1_saveexec_b32 s1, s54
	s_cbranch_execz .LBB91_189
; %bb.193:                              ;   in Loop: Header=BB91_190 Depth=1
	v_cvt_f32_u32_e32 v17, s26
	s_sub_co_i32 s24, 0, s26
	s_delay_alu instid0(VALU_DEP_1) | instskip(SKIP_1) | instid1(TRANS32_DEP_1)
	v_rcp_iflag_f32_e32 v17, v17
	v_nop
	v_mul_f32_e32 v17, 0x4f7ffffe, v17
	s_delay_alu instid0(VALU_DEP_1) | instskip(NEXT) | instid1(VALU_DEP_1)
	v_cvt_u32_f32_e32 v17, v17
	v_mul_lo_u32 v22, s24, v17
	s_delay_alu instid0(VALU_DEP_1) | instskip(NEXT) | instid1(VALU_DEP_1)
	v_mul_hi_u32 v22, v17, v22
	v_add_nc_u32_e32 v17, v17, v22
	s_delay_alu instid0(VALU_DEP_1) | instskip(NEXT) | instid1(VALU_DEP_1)
	v_mul_hi_u32 v17, v18, v17
	v_mul_lo_u32 v22, v17, s26
	s_delay_alu instid0(VALU_DEP_1) | instskip(NEXT) | instid1(VALU_DEP_1)
	v_dual_add_nc_u32 v23, 1, v17 :: v_dual_sub_nc_u32 v22, v18, v22
	v_subrev_nc_u32_e32 v24, s26, v22
	v_cmp_le_u32_e32 vcc_lo, s26, v22
	s_delay_alu instid0(VALU_DEP_2) | instskip(NEXT) | instid1(VALU_DEP_1)
	v_dual_cndmask_b32 v22, v22, v24 :: v_dual_cndmask_b32 v17, v17, v23
	v_cmp_le_u32_e32 vcc_lo, s26, v22
	s_delay_alu instid0(VALU_DEP_2) | instskip(NEXT) | instid1(VALU_DEP_1)
	v_add_nc_u32_e32 v23, 1, v17
	v_dual_cndmask_b32 v22, v17, v23 :: v_dual_mov_b32 v23, v16
	s_branch .LBB91_189
.LBB91_194:
	s_or_b32 exec_lo, exec_lo, s53
	s_mov_b32 s7, -1
	s_mov_b32 s21, 0
	s_mov_b32 s1, exec_lo
	v_cmpx_gt_i64_e64 v[14:15], v[12:13]
	s_cbranch_execz .LBB91_200
; %bb.195:
	s_delay_alu instid0(VALU_DEP_2) | instskip(SKIP_2) | instid1(VALU_DEP_1)
	v_lshlrev_b64_e32 v[16:17], 3, v[20:21]
	s_mov_b32 s7, 0
	s_xor_b32 s21, s15, -1
                                        ; implicit-def: $sgpr20
                                        ; implicit-def: $sgpr23
                                        ; implicit-def: $sgpr22
	v_lshl_add_u64 v[12:13], v[12:13], 3, v[16:17]
	v_add_nc_u64_e32 v[16:17], s[2:3], v[16:17]
	s_delay_alu instid0(VALU_DEP_2) | instskip(NEXT) | instid1(VALU_DEP_2)
	v_add_nc_u64_e32 v[12:13], s[2:3], v[12:13]
	v_lshl_add_u64 v[14:15], v[14:15], 3, v[16:17]
	s_delay_alu instid0(VALU_DEP_2)
	v_add_nc_u64_e32 v[12:13], 8, v[12:13]
	s_branch .LBB91_197
.LBB91_196:                             ;   in Loop: Header=BB91_197 Depth=1
	s_or_b32 exec_lo, exec_lo, s24
	s_delay_alu instid0(SALU_CYCLE_1) | instskip(NEXT) | instid1(SALU_CYCLE_1)
	s_and_b32 s24, exec_lo, s23
	s_or_b32 s7, s24, s7
	s_and_not1_b32 s20, s20, exec_lo
	s_and_b32 s24, s22, exec_lo
	s_delay_alu instid0(SALU_CYCLE_1)
	s_or_b32 s20, s20, s24
	s_and_not1_b32 exec_lo, exec_lo, s7
	s_cbranch_execz .LBB91_199
.LBB91_197:                             ; =>This Inner Loop Header: Depth=1
	s_or_b32 s22, s22, exec_lo
	s_or_b32 s23, s23, exec_lo
	s_mov_b32 s24, exec_lo
	s_delay_alu instid0(VALU_DEP_1)
	v_cmpx_lt_u64_e64 v[12:13], v[14:15]
	s_cbranch_execz .LBB91_196
; %bb.198:                              ;   in Loop: Header=BB91_197 Depth=1
	s_wait_loadcnt 0x0
	global_load_b128 v[16:19], v[12:13], off offset:-8
	s_wait_xcnt 0x0
	v_add_nc_u64_e32 v[12:13], 8, v[12:13]
	s_and_not1_b32 s23, s23, exec_lo
	s_and_not1_b32 s22, s22, exec_lo
	s_wait_loadcnt 0x0
	v_cmp_ge_i64_e32 vcc_lo, v[16:17], v[18:19]
	s_or_b32 s25, s21, vcc_lo
	s_delay_alu instid0(SALU_CYCLE_1) | instskip(NEXT) | instid1(SALU_CYCLE_1)
	s_and_b32 s25, s25, exec_lo
	s_or_b32 s23, s23, s25
	s_branch .LBB91_196
.LBB91_199:
	s_or_b32 exec_lo, exec_lo, s7
	s_delay_alu instid0(SALU_CYCLE_1)
	s_mov_b32 s21, exec_lo
	s_or_not1_b32 s7, s20, exec_lo
.LBB91_200:
	s_or_b32 exec_lo, exec_lo, s1
	s_delay_alu instid0(SALU_CYCLE_1)
	s_and_b32 s1, s21, exec_lo
	s_xor_b32 s20, exec_lo, -1
	s_and_b32 s7, s7, exec_lo
.LBB91_201:
	s_or_b32 exec_lo, exec_lo, s52
	s_delay_alu instid0(SALU_CYCLE_1)
	s_and_not1_b32 s21, s45, exec_lo
	s_and_b32 s20, s20, exec_lo
	s_and_b32 s22, s1, exec_lo
	s_or_b32 s21, s21, s20
	s_xor_b32 s1, exec_lo, -1
	s_and_b32 s20, s7, exec_lo
.LBB91_202:
	s_or_b32 exec_lo, exec_lo, s51
	s_delay_alu instid0(SALU_CYCLE_1)
	s_and_b32 s7, s22, exec_lo
	s_and_not1_b32 s22, s45, exec_lo
	s_and_b32 s21, s21, exec_lo
	s_and_not1_b32 s23, s46, exec_lo
	s_and_b32 s1, s1, exec_lo
	s_or_b32 s21, s22, s21
	s_or_b32 s23, s23, s1
	s_xor_b32 s1, exec_lo, -1
	s_and_b32 s22, s20, exec_lo
.LBB91_203:
	s_or_b32 exec_lo, exec_lo, s50
	s_delay_alu instid0(SALU_CYCLE_1)
	s_and_not1_b32 s20, s45, exec_lo
	s_and_b32 s24, s21, exec_lo
	s_and_b32 s21, s7, exec_lo
	s_or_b32 s7, s20, s24
	s_and_not1_b32 s20, s46, exec_lo
	s_and_b32 s23, s23, exec_lo
	s_and_not1_b32 s24, s44, exec_lo
	s_and_b32 s1, s1, exec_lo
	s_or_b32 s20, s20, s23
	s_or_b32 s1, s24, s1
	s_or_not1_b32 s23, s22, exec_lo
.LBB91_204:
	s_or_b32 exec_lo, exec_lo, s49
	s_mov_b32 s24, 0
	s_and_saveexec_b32 s22, s23
	s_cbranch_execz .LBB91_208
; %bb.205:
	s_wait_loadcnt 0x4
	v_or_b32_e32 v12, 0x300, v0
	s_mov_b32 s23, 0
	s_mov_b32 s24, -1
	s_mov_b32 s25, s1
	s_mov_b32 s26, exec_lo
	v_cmpx_gt_i32_e64 s33, v12
	s_xor_b32 s26, exec_lo, s26
	s_cbranch_execz .LBB91_207
; %bb.206:
	s_wait_loadcnt 0x3
	v_cmp_ne_u64_e32 vcc_lo, s[8:9], v[10:11]
	s_xor_b32 s8, s38, -1
	s_and_not1_b32 s9, s1, exec_lo
	s_mov_b32 s23, exec_lo
	s_xor_b32 s24, exec_lo, -1
	s_or_b32 s8, s8, vcc_lo
	s_delay_alu instid0(SALU_CYCLE_1) | instskip(NEXT) | instid1(SALU_CYCLE_1)
	s_and_b32 s8, s8, exec_lo
	s_or_b32 s25, s9, s8
.LBB91_207:
	s_or_b32 exec_lo, exec_lo, s26
	s_delay_alu instid0(SALU_CYCLE_1)
	s_and_not1_b32 s1, s1, exec_lo
	s_and_b32 s8, s25, exec_lo
	s_and_b32 s24, s24, exec_lo
	s_and_not1_b32 s21, s21, exec_lo
	s_and_b32 s48, s23, exec_lo
	s_or_b32 s1, s1, s8
.LBB91_208:
	s_or_b32 exec_lo, exec_lo, s22
	s_delay_alu instid0(SALU_CYCLE_1)
	s_and_not1_b32 s8, s40, exec_lo
	s_and_b32 s9, s21, exec_lo
	s_and_b32 s7, s7, exec_lo
	s_or_b32 s40, s8, s9
	s_and_not1_b32 s8, s45, exec_lo
	s_and_not1_b32 s9, s46, exec_lo
	s_and_b32 s20, s20, exec_lo
	s_or_b32 s45, s8, s7
	s_and_not1_b32 s7, s44, exec_lo
	s_and_b32 s1, s1, exec_lo
	s_and_b32 s21, s24, exec_lo
	s_or_b32 s46, s9, s20
	s_and_b32 s48, s48, exec_lo
	s_or_b32 s44, s7, s1
.LBB91_209:
	s_or_b32 exec_lo, exec_lo, s47
	s_delay_alu instid0(SALU_CYCLE_1)
	s_and_not1_b32 s1, s37, exec_lo
	s_and_b32 s7, s40, exec_lo
	s_and_not1_b32 s8, s41, exec_lo
	s_or_b32 s37, s1, s7
	s_and_not1_b32 s1, s39, exec_lo
	s_and_b32 s7, s45, exec_lo
	s_and_b32 s9, s46, exec_lo
	s_or_b32 s39, s1, s7
	s_and_not1_b32 s1, s42, exec_lo
	s_and_b32 s7, s44, exec_lo
	s_and_b32 s40, s21, exec_lo
	s_or_b32 s41, s8, s9
	s_and_b32 s44, s48, exec_lo
	s_or_b32 s42, s1, s7
	s_or_b32 exec_lo, exec_lo, s43
	s_and_saveexec_b32 s1, s42
	s_cbranch_execz .LBB91_87
.LBB91_210:
	s_or_b32 s17, s17, exec_lo
	s_and_not1_b32 s44, s44, exec_lo
	s_trap 2
	s_branch .LBB91_87
.LBB91_211:
	s_mov_b32 s17, exec_lo
	s_and_not1_b32 s30, s30, exec_lo
	s_trap 2
	s_branch .LBB91_65
.LBB91_212:
	s_or_b32 s17, s17, exec_lo
	s_and_not1_b32 s29, s29, exec_lo
	s_trap 2
	s_branch .LBB91_68
.LBB91_213:
	s_or_b32 s17, s17, exec_lo
	s_and_not1_b32 s1, s1, exec_lo
	s_trap 2
	s_branch .LBB91_90
	.section	.rodata,"a",@progbits
	.p2align	6, 0x0
	.amdhsa_kernel _ZN2at6native29vectorized_elementwise_kernelILi2EZZZNS0_12_GLOBAL__N_142_validate_compressed_sparse_indices_kernelILNS2_8CDimNameE1ENS2_18CUDAKernelLauncherENS2_14EmptyVecKernelENS2_8DummyVecELm8EEEvRKNS_6TensorESA_lllENKUlvE1_clEvENKUlvE0_clEvEUllllllE_St5arrayIPcLm6EEEEviT0_T1_
		.amdhsa_group_segment_fixed_size 0
		.amdhsa_private_segment_fixed_size 0
		.amdhsa_kernarg_size 224
		.amdhsa_user_sgpr_count 2
		.amdhsa_user_sgpr_dispatch_ptr 0
		.amdhsa_user_sgpr_queue_ptr 0
		.amdhsa_user_sgpr_kernarg_segment_ptr 1
		.amdhsa_user_sgpr_dispatch_id 0
		.amdhsa_user_sgpr_kernarg_preload_length 0
		.amdhsa_user_sgpr_kernarg_preload_offset 0
		.amdhsa_user_sgpr_private_segment_size 0
		.amdhsa_wavefront_size32 1
		.amdhsa_uses_dynamic_stack 0
		.amdhsa_enable_private_segment 0
		.amdhsa_system_sgpr_workgroup_id_x 1
		.amdhsa_system_sgpr_workgroup_id_y 0
		.amdhsa_system_sgpr_workgroup_id_z 0
		.amdhsa_system_sgpr_workgroup_info 0
		.amdhsa_system_vgpr_workitem_id 0
		.amdhsa_next_free_vgpr 60
		.amdhsa_next_free_sgpr 69
		.amdhsa_named_barrier_count 0
		.amdhsa_reserve_vcc 1
		.amdhsa_float_round_mode_32 0
		.amdhsa_float_round_mode_16_64 0
		.amdhsa_float_denorm_mode_32 3
		.amdhsa_float_denorm_mode_16_64 3
		.amdhsa_fp16_overflow 0
		.amdhsa_memory_ordered 1
		.amdhsa_forward_progress 1
		.amdhsa_inst_pref_size 103
		.amdhsa_round_robin_scheduling 0
		.amdhsa_exception_fp_ieee_invalid_op 0
		.amdhsa_exception_fp_denorm_src 0
		.amdhsa_exception_fp_ieee_div_zero 0
		.amdhsa_exception_fp_ieee_overflow 0
		.amdhsa_exception_fp_ieee_underflow 0
		.amdhsa_exception_fp_ieee_inexact 0
		.amdhsa_exception_int_div_zero 0
	.end_amdhsa_kernel
	.section	.text._ZN2at6native29vectorized_elementwise_kernelILi2EZZZNS0_12_GLOBAL__N_142_validate_compressed_sparse_indices_kernelILNS2_8CDimNameE1ENS2_18CUDAKernelLauncherENS2_14EmptyVecKernelENS2_8DummyVecELm8EEEvRKNS_6TensorESA_lllENKUlvE1_clEvENKUlvE0_clEvEUllllllE_St5arrayIPcLm6EEEEviT0_T1_,"axG",@progbits,_ZN2at6native29vectorized_elementwise_kernelILi2EZZZNS0_12_GLOBAL__N_142_validate_compressed_sparse_indices_kernelILNS2_8CDimNameE1ENS2_18CUDAKernelLauncherENS2_14EmptyVecKernelENS2_8DummyVecELm8EEEvRKNS_6TensorESA_lllENKUlvE1_clEvENKUlvE0_clEvEUllllllE_St5arrayIPcLm6EEEEviT0_T1_,comdat
.Lfunc_end91:
	.size	_ZN2at6native29vectorized_elementwise_kernelILi2EZZZNS0_12_GLOBAL__N_142_validate_compressed_sparse_indices_kernelILNS2_8CDimNameE1ENS2_18CUDAKernelLauncherENS2_14EmptyVecKernelENS2_8DummyVecELm8EEEvRKNS_6TensorESA_lllENKUlvE1_clEvENKUlvE0_clEvEUllllllE_St5arrayIPcLm6EEEEviT0_T1_, .Lfunc_end91-_ZN2at6native29vectorized_elementwise_kernelILi2EZZZNS0_12_GLOBAL__N_142_validate_compressed_sparse_indices_kernelILNS2_8CDimNameE1ENS2_18CUDAKernelLauncherENS2_14EmptyVecKernelENS2_8DummyVecELm8EEEvRKNS_6TensorESA_lllENKUlvE1_clEvENKUlvE0_clEvEUllllllE_St5arrayIPcLm6EEEEviT0_T1_
                                        ; -- End function
	.set _ZN2at6native29vectorized_elementwise_kernelILi2EZZZNS0_12_GLOBAL__N_142_validate_compressed_sparse_indices_kernelILNS2_8CDimNameE1ENS2_18CUDAKernelLauncherENS2_14EmptyVecKernelENS2_8DummyVecELm8EEEvRKNS_6TensorESA_lllENKUlvE1_clEvENKUlvE0_clEvEUllllllE_St5arrayIPcLm6EEEEviT0_T1_.num_vgpr, 60
	.set _ZN2at6native29vectorized_elementwise_kernelILi2EZZZNS0_12_GLOBAL__N_142_validate_compressed_sparse_indices_kernelILNS2_8CDimNameE1ENS2_18CUDAKernelLauncherENS2_14EmptyVecKernelENS2_8DummyVecELm8EEEvRKNS_6TensorESA_lllENKUlvE1_clEvENKUlvE0_clEvEUllllllE_St5arrayIPcLm6EEEEviT0_T1_.num_agpr, 0
	.set _ZN2at6native29vectorized_elementwise_kernelILi2EZZZNS0_12_GLOBAL__N_142_validate_compressed_sparse_indices_kernelILNS2_8CDimNameE1ENS2_18CUDAKernelLauncherENS2_14EmptyVecKernelENS2_8DummyVecELm8EEEvRKNS_6TensorESA_lllENKUlvE1_clEvENKUlvE0_clEvEUllllllE_St5arrayIPcLm6EEEEviT0_T1_.numbered_sgpr, 69
	.set _ZN2at6native29vectorized_elementwise_kernelILi2EZZZNS0_12_GLOBAL__N_142_validate_compressed_sparse_indices_kernelILNS2_8CDimNameE1ENS2_18CUDAKernelLauncherENS2_14EmptyVecKernelENS2_8DummyVecELm8EEEvRKNS_6TensorESA_lllENKUlvE1_clEvENKUlvE0_clEvEUllllllE_St5arrayIPcLm6EEEEviT0_T1_.num_named_barrier, 0
	.set _ZN2at6native29vectorized_elementwise_kernelILi2EZZZNS0_12_GLOBAL__N_142_validate_compressed_sparse_indices_kernelILNS2_8CDimNameE1ENS2_18CUDAKernelLauncherENS2_14EmptyVecKernelENS2_8DummyVecELm8EEEvRKNS_6TensorESA_lllENKUlvE1_clEvENKUlvE0_clEvEUllllllE_St5arrayIPcLm6EEEEviT0_T1_.private_seg_size, 0
	.set _ZN2at6native29vectorized_elementwise_kernelILi2EZZZNS0_12_GLOBAL__N_142_validate_compressed_sparse_indices_kernelILNS2_8CDimNameE1ENS2_18CUDAKernelLauncherENS2_14EmptyVecKernelENS2_8DummyVecELm8EEEvRKNS_6TensorESA_lllENKUlvE1_clEvENKUlvE0_clEvEUllllllE_St5arrayIPcLm6EEEEviT0_T1_.uses_vcc, 1
	.set _ZN2at6native29vectorized_elementwise_kernelILi2EZZZNS0_12_GLOBAL__N_142_validate_compressed_sparse_indices_kernelILNS2_8CDimNameE1ENS2_18CUDAKernelLauncherENS2_14EmptyVecKernelENS2_8DummyVecELm8EEEvRKNS_6TensorESA_lllENKUlvE1_clEvENKUlvE0_clEvEUllllllE_St5arrayIPcLm6EEEEviT0_T1_.uses_flat_scratch, 0
	.set _ZN2at6native29vectorized_elementwise_kernelILi2EZZZNS0_12_GLOBAL__N_142_validate_compressed_sparse_indices_kernelILNS2_8CDimNameE1ENS2_18CUDAKernelLauncherENS2_14EmptyVecKernelENS2_8DummyVecELm8EEEvRKNS_6TensorESA_lllENKUlvE1_clEvENKUlvE0_clEvEUllllllE_St5arrayIPcLm6EEEEviT0_T1_.has_dyn_sized_stack, 0
	.set _ZN2at6native29vectorized_elementwise_kernelILi2EZZZNS0_12_GLOBAL__N_142_validate_compressed_sparse_indices_kernelILNS2_8CDimNameE1ENS2_18CUDAKernelLauncherENS2_14EmptyVecKernelENS2_8DummyVecELm8EEEvRKNS_6TensorESA_lllENKUlvE1_clEvENKUlvE0_clEvEUllllllE_St5arrayIPcLm6EEEEviT0_T1_.has_recursion, 0
	.set _ZN2at6native29vectorized_elementwise_kernelILi2EZZZNS0_12_GLOBAL__N_142_validate_compressed_sparse_indices_kernelILNS2_8CDimNameE1ENS2_18CUDAKernelLauncherENS2_14EmptyVecKernelENS2_8DummyVecELm8EEEvRKNS_6TensorESA_lllENKUlvE1_clEvENKUlvE0_clEvEUllllllE_St5arrayIPcLm6EEEEviT0_T1_.has_indirect_call, 0
	.section	.AMDGPU.csdata,"",@progbits
; Kernel info:
; codeLenInByte = 13164
; TotalNumSgprs: 71
; NumVgprs: 60
; ScratchSize: 0
; MemoryBound: 0
; FloatMode: 240
; IeeeMode: 1
; LDSByteSize: 0 bytes/workgroup (compile time only)
; SGPRBlocks: 0
; VGPRBlocks: 3
; NumSGPRsForWavesPerEU: 71
; NumVGPRsForWavesPerEU: 60
; NamedBarCnt: 0
; Occupancy: 16
; WaveLimiterHint : 1
; COMPUTE_PGM_RSRC2:SCRATCH_EN: 0
; COMPUTE_PGM_RSRC2:USER_SGPR: 2
; COMPUTE_PGM_RSRC2:TRAP_HANDLER: 0
; COMPUTE_PGM_RSRC2:TGID_X_EN: 1
; COMPUTE_PGM_RSRC2:TGID_Y_EN: 0
; COMPUTE_PGM_RSRC2:TGID_Z_EN: 0
; COMPUTE_PGM_RSRC2:TIDIG_COMP_CNT: 0
	.section	.text._ZN2at6native27unrolled_elementwise_kernelIZZZNS0_12_GLOBAL__N_142_validate_compressed_sparse_indices_kernelILNS2_8CDimNameE1ENS2_18CUDAKernelLauncherENS2_14EmptyVecKernelENS2_8DummyVecELm8EEEvRKNS_6TensorESA_lllENKUlvE1_clEvENKUlvE0_clEvEUllllllE_St5arrayIPcLm6EELi4E23TrivialOffsetCalculatorILi5EjESH_ILi1EjENS0_6memory15LoadWithoutCastENSK_16StoreWithoutCastEEEviT_T0_T2_T3_T4_T5_,"axG",@progbits,_ZN2at6native27unrolled_elementwise_kernelIZZZNS0_12_GLOBAL__N_142_validate_compressed_sparse_indices_kernelILNS2_8CDimNameE1ENS2_18CUDAKernelLauncherENS2_14EmptyVecKernelENS2_8DummyVecELm8EEEvRKNS_6TensorESA_lllENKUlvE1_clEvENKUlvE0_clEvEUllllllE_St5arrayIPcLm6EELi4E23TrivialOffsetCalculatorILi5EjESH_ILi1EjENS0_6memory15LoadWithoutCastENSK_16StoreWithoutCastEEEviT_T0_T2_T3_T4_T5_,comdat
	.globl	_ZN2at6native27unrolled_elementwise_kernelIZZZNS0_12_GLOBAL__N_142_validate_compressed_sparse_indices_kernelILNS2_8CDimNameE1ENS2_18CUDAKernelLauncherENS2_14EmptyVecKernelENS2_8DummyVecELm8EEEvRKNS_6TensorESA_lllENKUlvE1_clEvENKUlvE0_clEvEUllllllE_St5arrayIPcLm6EELi4E23TrivialOffsetCalculatorILi5EjESH_ILi1EjENS0_6memory15LoadWithoutCastENSK_16StoreWithoutCastEEEviT_T0_T2_T3_T4_T5_ ; -- Begin function _ZN2at6native27unrolled_elementwise_kernelIZZZNS0_12_GLOBAL__N_142_validate_compressed_sparse_indices_kernelILNS2_8CDimNameE1ENS2_18CUDAKernelLauncherENS2_14EmptyVecKernelENS2_8DummyVecELm8EEEvRKNS_6TensorESA_lllENKUlvE1_clEvENKUlvE0_clEvEUllllllE_St5arrayIPcLm6EELi4E23TrivialOffsetCalculatorILi5EjESH_ILi1EjENS0_6memory15LoadWithoutCastENSK_16StoreWithoutCastEEEviT_T0_T2_T3_T4_T5_
	.p2align	8
	.type	_ZN2at6native27unrolled_elementwise_kernelIZZZNS0_12_GLOBAL__N_142_validate_compressed_sparse_indices_kernelILNS2_8CDimNameE1ENS2_18CUDAKernelLauncherENS2_14EmptyVecKernelENS2_8DummyVecELm8EEEvRKNS_6TensorESA_lllENKUlvE1_clEvENKUlvE0_clEvEUllllllE_St5arrayIPcLm6EELi4E23TrivialOffsetCalculatorILi5EjESH_ILi1EjENS0_6memory15LoadWithoutCastENSK_16StoreWithoutCastEEEviT_T0_T2_T3_T4_T5_,@function
_ZN2at6native27unrolled_elementwise_kernelIZZZNS0_12_GLOBAL__N_142_validate_compressed_sparse_indices_kernelILNS2_8CDimNameE1ENS2_18CUDAKernelLauncherENS2_14EmptyVecKernelENS2_8DummyVecELm8EEEvRKNS_6TensorESA_lllENKUlvE1_clEvENKUlvE0_clEvEUllllllE_St5arrayIPcLm6EELi4E23TrivialOffsetCalculatorILi5EjESH_ILi1EjENS0_6memory15LoadWithoutCastENSK_16StoreWithoutCastEEEviT_T0_T2_T3_T4_T5_: ; @_ZN2at6native27unrolled_elementwise_kernelIZZZNS0_12_GLOBAL__N_142_validate_compressed_sparse_indices_kernelILNS2_8CDimNameE1ENS2_18CUDAKernelLauncherENS2_14EmptyVecKernelENS2_8DummyVecELm8EEEvRKNS_6TensorESA_lllENKUlvE1_clEvENKUlvE0_clEvEUllllllE_St5arrayIPcLm6EELi4E23TrivialOffsetCalculatorILi5EjESH_ILi1EjENS0_6memory15LoadWithoutCastENSK_16StoreWithoutCastEEEviT_T0_T2_T3_T4_T5_
; %bb.0:
	s_load_b32 s2, s[0:1], 0x0
	s_bfe_u32 s16, ttmp6, 0x4000c
	s_clause 0x1
	s_load_b128 s[12:15], s[0:1], 0xd0
	s_load_b256 s[4:11], s[0:1], 0xb0
	s_add_co_i32 s16, s16, 1
	s_and_b32 s3, ttmp6, 15
	s_mul_i32 s16, ttmp9, s16
	s_getreg_b32 s17, hwreg(HW_REG_IB_STS2, 6, 4)
	s_add_co_i32 s3, s3, s16
	s_cmp_eq_u32 s17, 0
	v_mov_b64_e32 v[26:27], 0
	s_cselect_b32 s3, ttmp9, s3
	v_mov_b64_e32 v[36:37], 0
	s_lshl_b32 s3, s3, 10
	v_mov_b64_e32 v[38:39], 0
	v_mov_b64_e32 v[32:33], 0
	;; [unrolled: 1-line block ×4, first 2 shown]
	v_or_b32_e32 v1, 0x100, v0
	v_mov_b32_e32 v42, v0
	s_wait_kmcnt 0x0
	s_sub_co_i32 s30, s2, s3
	s_delay_alu instid0(SALU_CYCLE_1)
	v_cmp_gt_i32_e64 s2, s30, v0
	s_and_saveexec_b32 s16, s2
	s_cbranch_execz .LBB92_2
; %bb.1:
	v_or_b32_e32 v2, s3, v0
	v_or_b32_e32 v42, 0x100, v0
	s_clause 0x4
	global_load_b64 v[32:33], v2, s[10:11] scale_offset
	global_load_b64 v[36:37], v2, s[6:7] scale_offset
	global_load_b64 v[38:39], v2, s[8:9] scale_offset
	global_load_b64 v[34:35], v2, s[12:13] scale_offset
	global_load_b64 v[40:41], v2, s[14:15] scale_offset
.LBB92_2:
	s_wait_xcnt 0x0
	s_or_b32 exec_lo, exec_lo, s16
	v_mov_b64_e32 v[28:29], 0
	v_mov_b64_e32 v[22:23], 0
	;; [unrolled: 1-line block ×4, first 2 shown]
	s_mov_b32 s16, exec_lo
	v_cmpx_gt_i32_e64 s30, v42
	s_cbranch_execz .LBB92_4
; %bb.3:
	v_add_nc_u32_e32 v2, s3, v42
	v_add_nc_u32_e32 v42, 0x100, v42
	s_clause 0x4
	global_load_b64 v[22:23], v2, s[10:11] scale_offset
	global_load_b64 v[26:27], v2, s[6:7] scale_offset
	;; [unrolled: 1-line block ×5, first 2 shown]
.LBB92_4:
	s_wait_xcnt 0x0
	s_or_b32 exec_lo, exec_lo, s16
	v_mov_b64_e32 v[10:11], 0
	v_mov_b64_e32 v[20:21], 0
	;; [unrolled: 1-line block ×6, first 2 shown]
	s_mov_b32 s16, exec_lo
	v_cmpx_gt_i32_e64 s30, v42
	s_cbranch_execz .LBB92_6
; %bb.5:
	v_add_nc_u32_e32 v2, s3, v42
	v_add_nc_u32_e32 v42, 0x100, v42
	s_clause 0x4
	global_load_b64 v[12:13], v2, s[10:11] scale_offset
	global_load_b64 v[20:21], v2, s[6:7] scale_offset
	;; [unrolled: 1-line block ×5, first 2 shown]
.LBB92_6:
	s_wait_xcnt 0x0
	s_or_b32 exec_lo, exec_lo, s16
	v_mov_b64_e32 v[6:7], 0
	v_mov_b64_e32 v[2:3], 0
	;; [unrolled: 1-line block ×4, first 2 shown]
	s_mov_b32 s16, exec_lo
	v_cmpx_gt_i32_e64 s30, v42
	s_cbranch_execz .LBB92_8
; %bb.7:
	v_add_nc_u32_e32 v42, s3, v42
	s_clause 0x4
	global_load_b64 v[2:3], v42, s[10:11] scale_offset
	global_load_b64 v[10:11], v42, s[6:7] scale_offset
	;; [unrolled: 1-line block ×5, first 2 shown]
.LBB92_8:
	s_wait_xcnt 0x0
	s_or_b32 exec_lo, exec_lo, s16
	s_clause 0x1
	s_load_b256 s[8:15], s[0:1], 0x8
	s_load_b64 s[6:7], s[0:1], 0xa8
	s_get_pc_i64 s[18:19]
	s_add_nc_u64 s[18:19], s[18:19], .str.6@rel64+4
	s_get_pc_i64 s[20:21]
	s_add_nc_u64 s[20:21], s[20:21], .str.7@rel64+4
	s_cmp_lg_u64 s[18:19], 0
	s_get_pc_i64 s[22:23]
	s_add_nc_u64 s[22:23], s[22:23], .str.8@rel64+4
	s_cselect_b32 s36, -1, 0
	s_cmp_lg_u64 s[20:21], 0
	s_get_pc_i64 s[20:21]
	s_add_nc_u64 s[20:21], s[20:21], .str.9@rel64+4
	s_cselect_b32 s34, -1, 0
	s_cmp_lg_u64 s[22:23], 0
	s_add_nc_u64 s[16:17], s[0:1], 8
	s_cselect_b32 s33, -1, 0
	s_wait_xcnt 0x0
	s_mov_b32 s0, -1
	s_mov_b32 s41, 0
	s_mov_b32 s39, 0
	;; [unrolled: 1-line block ×5, first 2 shown]
	s_wait_kmcnt 0x0
	s_add_co_i32 s18, s14, -1
	s_delay_alu instid0(SALU_CYCLE_1)
	s_cmp_gt_i32 s18, -1
	s_cselect_b32 s31, -1, 0
	s_cmp_lg_u64 s[20:21], 0
	s_cselect_b32 s15, -1, 0
	s_and_saveexec_b32 s40, s2
	s_cbranch_execz .LBB92_29
; %bb.9:
	s_wait_loadcnt 0x3
	v_cmp_eq_u64_e32 vcc_lo, s[8:9], v[36:37]
	s_mov_b32 s1, -1
	s_mov_b32 s0, 0
	s_mov_b32 s19, 0
	;; [unrolled: 1-line block ×4, first 2 shown]
	s_and_b32 s22, s36, vcc_lo
	s_delay_alu instid0(SALU_CYCLE_1)
	s_and_saveexec_b32 s35, s22
	s_cbranch_execz .LBB92_28
; %bb.10:
	s_wait_loadcnt 0x2
	v_cmp_eq_u64_e32 vcc_lo, s[12:13], v[38:39]
	s_and_b32 s21, s34, vcc_lo
	s_delay_alu instid0(SALU_CYCLE_1)
	s_and_saveexec_b32 s37, s21
	s_cbranch_execz .LBB92_27
; %bb.11:
	s_wait_loadcnt 0x1
	v_sub_nc_u64_e32 v[42:43], v[34:35], v[32:33]
	s_delay_alu instid0(VALU_DEP_1)
	v_cmp_le_i64_e32 vcc_lo, v[36:37], v[42:43]
	v_cmp_ge_i64_e64 s0, s[10:11], v[42:43]
	s_and_b32 s19, vcc_lo, s0
	s_mov_b32 s0, 0
	s_and_b32 s20, s33, s19
	s_mov_b32 s19, 0
	s_and_saveexec_b32 s38, s20
	s_cbranch_execz .LBB92_26
; %bb.12:
	v_cmp_lt_i64_e32 vcc_lo, 0, v[38:39]
	v_mov_b64_e32 v[36:37], 0
	s_and_b32 s0, vcc_lo, s31
	s_delay_alu instid0(SALU_CYCLE_1)
	s_and_saveexec_b32 s39, s0
	s_cbranch_execz .LBB92_19
; %bb.13:
	s_wait_loadcnt 0x0
	v_mul_u64_e32 v[40:41], v[40:41], v[38:39]
	s_ashr_i32 s19, s18, 31
	v_mov_b64_e32 v[36:37], 0
	s_lshl_b64 s[0:1], s[18:19], 3
	v_mov_b32_e32 v38, 0
	s_add_nc_u64 s[0:1], s[16:17], s[0:1]
	s_mov_b64 s[20:21], 0xffffffff
	s_add_nc_u64 s[22:23], s[0:1], 32
	s_mov_b32 s1, 0
	s_mov_b32 s19, s14
	s_branch .LBB92_15
.LBB92_14:                              ;   in Loop: Header=BB92_15 Depth=1
	s_or_b32 exec_lo, exec_lo, s0
	s_delay_alu instid0(VALU_DEP_1)
	v_mul_u64_e32 v[44:45], s[24:25], v[42:43]
	s_load_b64 s[24:25], s[22:23], 0x40
	s_add_co_i32 s19, s19, -1
	s_wait_xcnt 0x0
	s_add_nc_u64 s[22:23], s[22:23], -8
	s_cmp_eq_u32 s19, 0
	s_delay_alu instid0(VALU_DEP_1) | instskip(SKIP_1) | instid1(VALU_DEP_1)
	v_sub_nc_u64_e32 v[40:41], v[40:41], v[44:45]
	s_wait_kmcnt 0x0
	v_mad_nc_u64_u32 v[36:37], v40, s24, v[36:37]
	s_delay_alu instid0(VALU_DEP_1) | instskip(NEXT) | instid1(VALU_DEP_1)
	v_mad_u32 v37, v41, s24, v37
	v_mad_u32 v37, v40, s25, v37
	v_mov_b64_e32 v[40:41], v[42:43]
	s_cbranch_scc1 .LBB92_19
.LBB92_15:                              ; =>This Inner Loop Header: Depth=1
	s_load_b64 s[24:25], s[22:23], 0x0
                                        ; implicit-def: $vgpr42_vgpr43
	s_mov_b32 s0, exec_lo
	s_wait_kmcnt 0x0
	s_delay_alu instid0(VALU_DEP_1) | instskip(NEXT) | instid1(VALU_DEP_1)
	v_or_b32_e32 v39, s25, v41
	v_cmpx_ne_u64_e32 0, v[38:39]
	s_xor_b32 s42, exec_lo, s0
	s_cbranch_execz .LBB92_17
; %bb.16:                               ;   in Loop: Header=BB92_15 Depth=1
	s_ashr_i32 s26, s25, 31
	v_dual_mov_b32 v47, v38 :: v_dual_ashrrev_i32 v42, 31, v41
	s_mov_b32 s27, s26
	v_mov_b32_e32 v55, v38
	s_add_nc_u64 s[28:29], s[24:25], s[26:27]
	s_delay_alu instid0(VALU_DEP_2) | instskip(SKIP_1) | instid1(SALU_CYCLE_1)
	v_mov_b32_e32 v43, v42
	s_xor_b64 s[28:29], s[28:29], s[26:27]
	s_cvt_f32_u32 s0, s28
	s_cvt_f32_u32 s27, s29
	s_sub_nc_u64 s[46:47], 0, s[28:29]
	v_add_nc_u64_e32 v[44:45], v[40:41], v[42:43]
	v_mov_b32_e32 v51, v38
	s_fmamk_f32 s0, s27, 0x4f800000, s0
	s_delay_alu instid0(SALU_CYCLE_3) | instskip(NEXT) | instid1(VALU_DEP_2)
	v_s_rcp_f32 s0, s0
	v_xor_b32_e32 v46, v44, v42
	s_delay_alu instid0(VALU_DEP_3) | instskip(NEXT) | instid1(TRANS32_DEP_1)
	v_xor_b32_e32 v50, v45, v42
	s_mul_f32 s0, s0, 0x5f7ffffc
	s_delay_alu instid0(SALU_CYCLE_3) | instskip(NEXT) | instid1(SALU_CYCLE_3)
	s_mul_f32 s27, s0, 0x2f800000
	s_trunc_f32 s27, s27
	s_delay_alu instid0(SALU_CYCLE_3) | instskip(SKIP_1) | instid1(SALU_CYCLE_2)
	s_fmamk_f32 s0, s27, 0xcf800000, s0
	s_cvt_u32_f32 s45, s27
	s_cvt_u32_f32 s44, s0
	s_delay_alu instid0(SALU_CYCLE_3) | instskip(NEXT) | instid1(SALU_CYCLE_1)
	s_mul_u64 s[48:49], s[46:47], s[44:45]
	s_mul_hi_u32 s51, s44, s49
	s_mul_i32 s50, s44, s49
	s_mul_hi_u32 s0, s44, s48
	s_mul_i32 s43, s45, s48
	s_add_nc_u64 s[50:51], s[0:1], s[50:51]
	s_mul_hi_u32 s27, s45, s48
	s_mul_hi_u32 s52, s45, s49
	s_add_co_u32 s0, s50, s43
	s_add_co_ci_u32 s0, s51, s27
	s_mul_i32 s48, s45, s49
	s_add_co_ci_u32 s49, s52, 0
	s_delay_alu instid0(SALU_CYCLE_1) | instskip(NEXT) | instid1(SALU_CYCLE_1)
	s_add_nc_u64 s[48:49], s[0:1], s[48:49]
	s_add_co_u32 s44, s44, s48
	s_cselect_b32 s0, -1, 0
	s_delay_alu instid0(SALU_CYCLE_1) | instskip(SKIP_1) | instid1(SALU_CYCLE_1)
	s_cmp_lg_u32 s0, 0
	s_add_co_ci_u32 s45, s45, s49
	s_mul_u64 s[46:47], s[46:47], s[44:45]
	s_delay_alu instid0(SALU_CYCLE_1)
	s_mul_hi_u32 s49, s44, s47
	s_mul_i32 s48, s44, s47
	s_mul_hi_u32 s0, s44, s46
	s_mul_i32 s43, s45, s46
	s_add_nc_u64 s[48:49], s[0:1], s[48:49]
	s_mul_hi_u32 s27, s45, s46
	s_mul_hi_u32 s50, s45, s47
	s_add_co_u32 s0, s48, s43
	s_add_co_ci_u32 s0, s49, s27
	s_mul_i32 s46, s45, s47
	s_add_co_ci_u32 s47, s50, 0
	s_delay_alu instid0(SALU_CYCLE_1) | instskip(NEXT) | instid1(SALU_CYCLE_1)
	s_add_nc_u64 s[46:47], s[0:1], s[46:47]
	s_add_co_u32 s44, s44, s46
	s_cselect_b32 s0, -1, 0
	v_mul_hi_u32 v54, v46, s44
	s_cmp_lg_u32 s0, 0
	s_add_co_ci_u32 s0, s45, s47
	s_and_b64 s[46:47], s[44:45], s[20:21]
	v_mul_u64_e32 v[48:49], s[0:1], v[46:47]
	v_mul_u64_e32 v[44:45], s[46:47], v[50:51]
	;; [unrolled: 1-line block ×3, first 2 shown]
	s_delay_alu instid0(VALU_DEP_3) | instskip(NEXT) | instid1(VALU_DEP_1)
	v_add_nc_u64_e32 v[48:49], v[54:55], v[48:49]
	v_add_co_u32 v39, vcc_lo, v48, v44
	s_delay_alu instid0(VALU_DEP_2) | instskip(NEXT) | instid1(VALU_DEP_4)
	v_add_co_ci_u32_e32 v54, vcc_lo, v49, v45, vcc_lo
	v_add_co_ci_u32_e32 v53, vcc_lo, 0, v53, vcc_lo
	s_delay_alu instid0(VALU_DEP_1) | instskip(NEXT) | instid1(VALU_DEP_1)
	v_add_nc_u64_e32 v[44:45], v[54:55], v[52:53]
	v_mul_u64_e32 v[48:49], s[28:29], v[44:45]
	s_delay_alu instid0(VALU_DEP_1) | instskip(NEXT) | instid1(VALU_DEP_2)
	v_sub_nc_u32_e32 v39, v50, v49
	v_sub_co_u32 v43, vcc_lo, v46, v48
	s_delay_alu instid0(VALU_DEP_1) | instskip(NEXT) | instid1(VALU_DEP_3)
	v_sub_co_ci_u32_e64 v50, null, v50, v49, vcc_lo
	v_subrev_co_ci_u32_e64 v39, null, s29, v39, vcc_lo
	s_delay_alu instid0(VALU_DEP_3) | instskip(SKIP_1) | instid1(VALU_DEP_3)
	v_sub_co_u32 v46, s0, v43, s28
	v_add_nc_u64_e32 v[48:49], 1, v[44:45]
	v_subrev_co_ci_u32_e64 v39, null, 0, v39, s0
	s_delay_alu instid0(VALU_DEP_3) | instskip(SKIP_1) | instid1(VALU_DEP_3)
	v_cmp_le_u32_e32 vcc_lo, s28, v46
	v_cndmask_b32_e64 v46, 0, -1, vcc_lo
	v_cmp_le_u32_e32 vcc_lo, s29, v39
	v_cndmask_b32_e64 v47, 0, -1, vcc_lo
	;; [unrolled: 2-line block ×4, first 2 shown]
	v_cmp_eq_u32_e32 vcc_lo, s29, v39
	v_cndmask_b32_e32 v39, v47, v46, vcc_lo
	v_cmp_eq_u32_e32 vcc_lo, s29, v50
	v_add_nc_u64_e32 v[46:47], 2, v[44:45]
	v_cndmask_b32_e32 v43, v51, v43, vcc_lo
	s_delay_alu instid0(VALU_DEP_4) | instskip(NEXT) | instid1(VALU_DEP_2)
	v_cmp_ne_u32_e32 vcc_lo, 0, v39
	v_cmp_ne_u32_e64 s0, 0, v43
	s_delay_alu instid0(VALU_DEP_4) | instskip(NEXT) | instid1(VALU_DEP_1)
	v_dual_cndmask_b32 v39, v49, v47, vcc_lo :: v_dual_cndmask_b32 v43, v48, v46, vcc_lo
	v_dual_cndmask_b32 v39, v45, v39, s0 :: v_dual_bitop2_b32 v42, s26, v42 bitop3:0x14
	s_delay_alu instid0(VALU_DEP_1) | instskip(NEXT) | instid1(VALU_DEP_2)
	v_dual_cndmask_b32 v44, v44, v43, s0 :: v_dual_mov_b32 v43, v42
	v_xor_b32_e32 v45, v39, v42
	s_delay_alu instid0(VALU_DEP_2) | instskip(NEXT) | instid1(VALU_DEP_1)
	v_xor_b32_e32 v44, v44, v42
	v_sub_nc_u64_e32 v[42:43], v[44:45], v[42:43]
.LBB92_17:                              ;   in Loop: Header=BB92_15 Depth=1
	s_and_not1_saveexec_b32 s0, s42
	s_cbranch_execz .LBB92_14
; %bb.18:                               ;   in Loop: Header=BB92_15 Depth=1
	v_cvt_f32_u32_e32 v39, s24
	s_sub_co_i32 s26, 0, s24
	s_delay_alu instid0(VALU_DEP_1) | instskip(SKIP_1) | instid1(TRANS32_DEP_1)
	v_rcp_iflag_f32_e32 v39, v39
	v_nop
	v_mul_f32_e32 v39, 0x4f7ffffe, v39
	s_delay_alu instid0(VALU_DEP_1) | instskip(NEXT) | instid1(VALU_DEP_1)
	v_cvt_u32_f32_e32 v39, v39
	v_mul_lo_u32 v42, s26, v39
	s_delay_alu instid0(VALU_DEP_1) | instskip(NEXT) | instid1(VALU_DEP_1)
	v_mul_hi_u32 v42, v39, v42
	v_add_nc_u32_e32 v39, v39, v42
	s_delay_alu instid0(VALU_DEP_1) | instskip(NEXT) | instid1(VALU_DEP_1)
	v_mul_hi_u32 v39, v40, v39
	v_mul_lo_u32 v42, v39, s24
	s_delay_alu instid0(VALU_DEP_1) | instskip(NEXT) | instid1(VALU_DEP_1)
	v_dual_add_nc_u32 v43, 1, v39 :: v_dual_sub_nc_u32 v42, v40, v42
	v_subrev_nc_u32_e32 v44, s24, v42
	v_cmp_le_u32_e32 vcc_lo, s24, v42
	s_delay_alu instid0(VALU_DEP_2) | instskip(NEXT) | instid1(VALU_DEP_1)
	v_dual_cndmask_b32 v42, v42, v44 :: v_dual_cndmask_b32 v39, v39, v43
	v_cmp_le_u32_e32 vcc_lo, s24, v42
	s_delay_alu instid0(VALU_DEP_2) | instskip(NEXT) | instid1(VALU_DEP_1)
	v_add_nc_u32_e32 v43, 1, v39
	v_dual_cndmask_b32 v42, v39, v43 :: v_dual_mov_b32 v43, v38
	s_branch .LBB92_14
.LBB92_19:
	s_or_b32 exec_lo, exec_lo, s39
	s_mov_b32 s20, -1
	s_mov_b32 s1, 0
	s_mov_b32 s0, exec_lo
	v_cmpx_gt_i64_e64 v[34:35], v[32:33]
	s_cbranch_execz .LBB92_25
; %bb.20:
	s_delay_alu instid0(VALU_DEP_2) | instskip(SKIP_1) | instid1(VALU_DEP_1)
	v_lshlrev_b64_e32 v[36:37], 3, v[36:37]
	s_xor_b32 s20, s15, -1
                                        ; implicit-def: $sgpr19
                                        ; implicit-def: $sgpr22
                                        ; implicit-def: $sgpr21
	v_lshl_add_u64 v[32:33], v[32:33], 3, v[36:37]
	v_add_nc_u64_e32 v[36:37], s[6:7], v[36:37]
	s_delay_alu instid0(VALU_DEP_2) | instskip(NEXT) | instid1(VALU_DEP_2)
	v_add_nc_u64_e32 v[32:33], s[6:7], v[32:33]
	v_lshl_add_u64 v[34:35], v[34:35], 3, v[36:37]
	s_delay_alu instid0(VALU_DEP_2)
	v_add_nc_u64_e32 v[32:33], 8, v[32:33]
	s_branch .LBB92_22
.LBB92_21:                              ;   in Loop: Header=BB92_22 Depth=1
	s_or_b32 exec_lo, exec_lo, s23
	s_delay_alu instid0(SALU_CYCLE_1) | instskip(NEXT) | instid1(SALU_CYCLE_1)
	s_and_b32 s23, exec_lo, s22
	s_or_b32 s1, s23, s1
	s_and_not1_b32 s19, s19, exec_lo
	s_and_b32 s23, s21, exec_lo
	s_delay_alu instid0(SALU_CYCLE_1)
	s_or_b32 s19, s19, s23
	s_and_not1_b32 exec_lo, exec_lo, s1
	s_cbranch_execz .LBB92_24
.LBB92_22:                              ; =>This Inner Loop Header: Depth=1
	s_or_b32 s21, s21, exec_lo
	s_or_b32 s22, s22, exec_lo
	s_mov_b32 s23, exec_lo
	s_delay_alu instid0(VALU_DEP_1)
	v_cmpx_lt_u64_e64 v[32:33], v[34:35]
	s_cbranch_execz .LBB92_21
; %bb.23:                               ;   in Loop: Header=BB92_22 Depth=1
	global_load_b128 v[36:39], v[32:33], off offset:-8
	s_wait_xcnt 0x0
	v_add_nc_u64_e32 v[32:33], 8, v[32:33]
	s_and_not1_b32 s22, s22, exec_lo
	s_and_not1_b32 s21, s21, exec_lo
	s_wait_loadcnt 0x0
	v_cmp_ge_i64_e32 vcc_lo, v[36:37], v[38:39]
	s_or_b32 s24, s20, vcc_lo
	s_delay_alu instid0(SALU_CYCLE_1) | instskip(NEXT) | instid1(SALU_CYCLE_1)
	s_and_b32 s24, s24, exec_lo
	s_or_b32 s22, s22, s24
	s_branch .LBB92_21
.LBB92_24:
	s_or_b32 exec_lo, exec_lo, s1
	s_delay_alu instid0(SALU_CYCLE_1)
	s_mov_b32 s1, exec_lo
	s_or_not1_b32 s20, s19, exec_lo
.LBB92_25:
	s_or_b32 exec_lo, exec_lo, s0
	s_delay_alu instid0(SALU_CYCLE_1)
	s_and_b32 s19, s1, exec_lo
	s_xor_b32 s1, exec_lo, -1
	s_and_b32 s0, s20, exec_lo
.LBB92_26:
	s_or_b32 exec_lo, exec_lo, s38
	s_delay_alu instid0(SALU_CYCLE_1)
	s_and_b32 s20, s19, exec_lo
	s_and_b32 s19, s1, exec_lo
	s_xor_b32 s1, exec_lo, -1
	s_and_b32 s0, s0, exec_lo
.LBB92_27:
	s_or_b32 exec_lo, exec_lo, s37
	s_delay_alu instid0(SALU_CYCLE_1)
	s_and_b32 s21, s20, exec_lo
	s_and_b32 s20, s19, exec_lo
	;; [unrolled: 1-line block ×3, first 2 shown]
	s_xor_b32 s1, exec_lo, -1
	s_and_b32 s0, s0, exec_lo
.LBB92_28:
	s_or_b32 exec_lo, exec_lo, s35
	s_delay_alu instid0(SALU_CYCLE_1)
	s_and_b32 s35, s21, exec_lo
	s_and_b32 s37, s20, exec_lo
	s_and_b32 s38, s19, exec_lo
	s_and_b32 s39, s1, exec_lo
	s_or_not1_b32 s0, s0, exec_lo
.LBB92_29:
	s_or_b32 exec_lo, exec_lo, s40
	s_mov_b32 s20, 0
	s_and_saveexec_b32 s40, s0
	s_cbranch_execz .LBB92_79
; %bb.30:
	s_mov_b32 s0, -1
	s_mov_b32 s46, 0
	s_mov_b32 s41, s39
	;; [unrolled: 1-line block ×5, first 2 shown]
	s_mov_b32 s45, exec_lo
	v_cmpx_gt_i32_e64 s30, v1
	s_cbranch_execz .LBB92_51
; %bb.31:
	s_wait_loadcnt 0x3
	v_cmp_eq_u64_e32 vcc_lo, s[8:9], v[26:27]
	s_mov_b32 s1, -1
	s_mov_b32 s0, 0
	s_mov_b32 s20, s38
	;; [unrolled: 1-line block ×4, first 2 shown]
	s_and_b32 s22, s36, vcc_lo
	s_delay_alu instid0(SALU_CYCLE_1)
	s_and_saveexec_b32 s41, s22
	s_cbranch_execz .LBB92_50
; %bb.32:
	s_wait_loadcnt 0x2
	v_cmp_eq_u64_e32 vcc_lo, s[12:13], v[28:29]
	s_mov_b32 s20, s37
	s_and_b32 s21, s34, vcc_lo
	s_delay_alu instid0(SALU_CYCLE_1)
	s_and_saveexec_b32 s42, s21
	s_cbranch_execz .LBB92_49
; %bb.33:
	s_wait_loadcnt 0x1
	v_sub_nc_u64_e32 v[32:33], v[24:25], v[22:23]
	s_delay_alu instid0(VALU_DEP_1)
	v_cmp_le_i64_e32 vcc_lo, v[26:27], v[32:33]
	v_cmp_ge_i64_e64 s0, s[10:11], v[32:33]
	s_and_b32 s19, vcc_lo, s0
	s_mov_b32 s0, 0
	s_and_b32 s20, s33, s19
	s_mov_b32 s19, 0
	s_and_saveexec_b32 s43, s20
	s_cbranch_execz .LBB92_48
; %bb.34:
	v_cmp_lt_i64_e32 vcc_lo, 0, v[28:29]
	v_mov_b64_e32 v[26:27], 0
	s_and_b32 s0, vcc_lo, s31
	s_delay_alu instid0(SALU_CYCLE_1)
	s_and_saveexec_b32 s44, s0
	s_cbranch_execz .LBB92_41
; %bb.35:
	s_wait_loadcnt 0x0
	v_mul_u64_e32 v[30:31], v[30:31], v[28:29]
	s_ashr_i32 s19, s18, 31
	v_mov_b64_e32 v[26:27], 0
	s_lshl_b64 s[0:1], s[18:19], 3
	v_mov_b32_e32 v28, 0
	s_add_nc_u64 s[0:1], s[16:17], s[0:1]
	s_mov_b64 s[20:21], 0xffffffff
	s_add_nc_u64 s[22:23], s[0:1], 32
	s_mov_b32 s1, 0
	s_mov_b32 s19, s14
	s_branch .LBB92_37
.LBB92_36:                              ;   in Loop: Header=BB92_37 Depth=1
	s_or_b32 exec_lo, exec_lo, s0
	s_delay_alu instid0(VALU_DEP_1)
	v_mul_u64_e32 v[34:35], s[24:25], v[32:33]
	s_load_b64 s[24:25], s[22:23], 0x40
	s_add_co_i32 s19, s19, -1
	s_wait_xcnt 0x0
	s_add_nc_u64 s[22:23], s[22:23], -8
	s_cmp_lg_u32 s19, 0
	s_delay_alu instid0(VALU_DEP_1) | instskip(SKIP_1) | instid1(VALU_DEP_1)
	v_sub_nc_u64_e32 v[30:31], v[30:31], v[34:35]
	s_wait_kmcnt 0x0
	v_mad_nc_u64_u32 v[26:27], v30, s24, v[26:27]
	s_delay_alu instid0(VALU_DEP_1) | instskip(NEXT) | instid1(VALU_DEP_1)
	v_mad_u32 v27, v31, s24, v27
	v_mad_u32 v27, v30, s25, v27
	v_mov_b64_e32 v[30:31], v[32:33]
	s_cbranch_scc0 .LBB92_41
.LBB92_37:                              ; =>This Inner Loop Header: Depth=1
	s_load_b64 s[24:25], s[22:23], 0x0
                                        ; implicit-def: $vgpr32_vgpr33
	s_mov_b32 s0, exec_lo
	s_wait_kmcnt 0x0
	s_delay_alu instid0(VALU_DEP_1) | instskip(NEXT) | instid1(VALU_DEP_1)
	v_or_b32_e32 v29, s25, v31
	v_cmpx_ne_u64_e32 0, v[28:29]
	s_xor_b32 s47, exec_lo, s0
	s_cbranch_execz .LBB92_39
; %bb.38:                               ;   in Loop: Header=BB92_37 Depth=1
	s_ashr_i32 s26, s25, 31
	v_dual_mov_b32 v37, v28 :: v_dual_ashrrev_i32 v32, 31, v31
	s_mov_b32 s27, s26
	v_mov_b32_e32 v45, v28
	s_add_nc_u64 s[28:29], s[24:25], s[26:27]
	s_delay_alu instid0(VALU_DEP_2) | instskip(SKIP_1) | instid1(SALU_CYCLE_1)
	v_mov_b32_e32 v33, v32
	s_xor_b64 s[28:29], s[28:29], s[26:27]
	s_cvt_f32_u32 s0, s28
	s_cvt_f32_u32 s27, s29
	s_sub_nc_u64 s[50:51], 0, s[28:29]
	v_add_nc_u64_e32 v[34:35], v[30:31], v[32:33]
	v_mov_b32_e32 v41, v28
	s_fmamk_f32 s0, s27, 0x4f800000, s0
	s_delay_alu instid0(SALU_CYCLE_3) | instskip(NEXT) | instid1(VALU_DEP_2)
	v_s_rcp_f32 s0, s0
	v_xor_b32_e32 v36, v34, v32
	s_delay_alu instid0(VALU_DEP_3) | instskip(NEXT) | instid1(TRANS32_DEP_1)
	v_xor_b32_e32 v40, v35, v32
	s_mul_f32 s0, s0, 0x5f7ffffc
	s_delay_alu instid0(SALU_CYCLE_3) | instskip(NEXT) | instid1(SALU_CYCLE_3)
	s_mul_f32 s27, s0, 0x2f800000
	s_trunc_f32 s27, s27
	s_delay_alu instid0(SALU_CYCLE_3) | instskip(SKIP_1) | instid1(SALU_CYCLE_2)
	s_fmamk_f32 s0, s27, 0xcf800000, s0
	s_cvt_u32_f32 s49, s27
	s_cvt_u32_f32 s48, s0
	s_delay_alu instid0(SALU_CYCLE_3) | instskip(NEXT) | instid1(SALU_CYCLE_1)
	s_mul_u64 s[52:53], s[50:51], s[48:49]
	s_mul_hi_u32 s55, s48, s53
	s_mul_i32 s54, s48, s53
	s_mul_hi_u32 s0, s48, s52
	s_mul_i32 s56, s49, s52
	s_add_nc_u64 s[54:55], s[0:1], s[54:55]
	s_mul_hi_u32 s27, s49, s52
	s_mul_hi_u32 s57, s49, s53
	s_add_co_u32 s0, s54, s56
	s_add_co_ci_u32 s0, s55, s27
	s_mul_i32 s52, s49, s53
	s_add_co_ci_u32 s53, s57, 0
	s_delay_alu instid0(SALU_CYCLE_1) | instskip(NEXT) | instid1(SALU_CYCLE_1)
	s_add_nc_u64 s[52:53], s[0:1], s[52:53]
	s_add_co_u32 s48, s48, s52
	s_cselect_b32 s0, -1, 0
	s_delay_alu instid0(SALU_CYCLE_1) | instskip(SKIP_1) | instid1(SALU_CYCLE_1)
	s_cmp_lg_u32 s0, 0
	s_add_co_ci_u32 s49, s49, s53
	s_mul_u64 s[50:51], s[50:51], s[48:49]
	s_delay_alu instid0(SALU_CYCLE_1)
	s_mul_hi_u32 s53, s48, s51
	s_mul_i32 s52, s48, s51
	s_mul_hi_u32 s0, s48, s50
	s_mul_i32 s54, s49, s50
	s_add_nc_u64 s[52:53], s[0:1], s[52:53]
	s_mul_hi_u32 s27, s49, s50
	s_mul_hi_u32 s55, s49, s51
	s_add_co_u32 s0, s52, s54
	s_add_co_ci_u32 s0, s53, s27
	s_mul_i32 s50, s49, s51
	s_add_co_ci_u32 s51, s55, 0
	s_delay_alu instid0(SALU_CYCLE_1) | instskip(NEXT) | instid1(SALU_CYCLE_1)
	s_add_nc_u64 s[50:51], s[0:1], s[50:51]
	s_add_co_u32 s48, s48, s50
	s_cselect_b32 s0, -1, 0
	v_mul_hi_u32 v44, v36, s48
	s_cmp_lg_u32 s0, 0
	s_add_co_ci_u32 s0, s49, s51
	s_and_b64 s[50:51], s[48:49], s[20:21]
	v_mul_u64_e32 v[38:39], s[0:1], v[36:37]
	v_mul_u64_e32 v[34:35], s[50:51], v[40:41]
	v_mul_u64_e32 v[42:43], s[0:1], v[40:41]
	s_delay_alu instid0(VALU_DEP_3) | instskip(NEXT) | instid1(VALU_DEP_1)
	v_add_nc_u64_e32 v[38:39], v[44:45], v[38:39]
	v_add_co_u32 v29, vcc_lo, v38, v34
	s_delay_alu instid0(VALU_DEP_2) | instskip(NEXT) | instid1(VALU_DEP_4)
	v_add_co_ci_u32_e32 v44, vcc_lo, v39, v35, vcc_lo
	v_add_co_ci_u32_e32 v43, vcc_lo, 0, v43, vcc_lo
	s_delay_alu instid0(VALU_DEP_1) | instskip(NEXT) | instid1(VALU_DEP_1)
	v_add_nc_u64_e32 v[34:35], v[44:45], v[42:43]
	v_mul_u64_e32 v[38:39], s[28:29], v[34:35]
	s_delay_alu instid0(VALU_DEP_1) | instskip(NEXT) | instid1(VALU_DEP_2)
	v_sub_nc_u32_e32 v29, v40, v39
	v_sub_co_u32 v33, vcc_lo, v36, v38
	s_delay_alu instid0(VALU_DEP_1) | instskip(NEXT) | instid1(VALU_DEP_3)
	v_sub_co_ci_u32_e64 v40, null, v40, v39, vcc_lo
	v_subrev_co_ci_u32_e64 v29, null, s29, v29, vcc_lo
	s_delay_alu instid0(VALU_DEP_3) | instskip(SKIP_1) | instid1(VALU_DEP_3)
	v_sub_co_u32 v36, s0, v33, s28
	v_add_nc_u64_e32 v[38:39], 1, v[34:35]
	v_subrev_co_ci_u32_e64 v29, null, 0, v29, s0
	s_delay_alu instid0(VALU_DEP_3) | instskip(SKIP_1) | instid1(VALU_DEP_3)
	v_cmp_le_u32_e32 vcc_lo, s28, v36
	v_cndmask_b32_e64 v36, 0, -1, vcc_lo
	v_cmp_le_u32_e32 vcc_lo, s29, v29
	v_cndmask_b32_e64 v37, 0, -1, vcc_lo
	;; [unrolled: 2-line block ×4, first 2 shown]
	v_cmp_eq_u32_e32 vcc_lo, s29, v29
	v_cndmask_b32_e32 v29, v37, v36, vcc_lo
	v_cmp_eq_u32_e32 vcc_lo, s29, v40
	v_add_nc_u64_e32 v[36:37], 2, v[34:35]
	v_cndmask_b32_e32 v33, v41, v33, vcc_lo
	s_delay_alu instid0(VALU_DEP_4) | instskip(NEXT) | instid1(VALU_DEP_2)
	v_cmp_ne_u32_e32 vcc_lo, 0, v29
	v_cmp_ne_u32_e64 s0, 0, v33
	s_delay_alu instid0(VALU_DEP_4) | instskip(NEXT) | instid1(VALU_DEP_1)
	v_dual_cndmask_b32 v29, v39, v37, vcc_lo :: v_dual_cndmask_b32 v33, v38, v36, vcc_lo
	v_dual_cndmask_b32 v29, v35, v29, s0 :: v_dual_bitop2_b32 v32, s26, v32 bitop3:0x14
	s_delay_alu instid0(VALU_DEP_1) | instskip(NEXT) | instid1(VALU_DEP_2)
	v_dual_cndmask_b32 v34, v34, v33, s0 :: v_dual_mov_b32 v33, v32
	v_xor_b32_e32 v35, v29, v32
	s_delay_alu instid0(VALU_DEP_2) | instskip(NEXT) | instid1(VALU_DEP_1)
	v_xor_b32_e32 v34, v34, v32
	v_sub_nc_u64_e32 v[32:33], v[34:35], v[32:33]
.LBB92_39:                              ;   in Loop: Header=BB92_37 Depth=1
	s_and_not1_saveexec_b32 s0, s47
	s_cbranch_execz .LBB92_36
; %bb.40:                               ;   in Loop: Header=BB92_37 Depth=1
	v_cvt_f32_u32_e32 v29, s24
	s_sub_co_i32 s26, 0, s24
	s_delay_alu instid0(VALU_DEP_1) | instskip(SKIP_1) | instid1(TRANS32_DEP_1)
	v_rcp_iflag_f32_e32 v29, v29
	v_nop
	v_mul_f32_e32 v29, 0x4f7ffffe, v29
	s_delay_alu instid0(VALU_DEP_1) | instskip(NEXT) | instid1(VALU_DEP_1)
	v_cvt_u32_f32_e32 v29, v29
	v_mul_lo_u32 v32, s26, v29
	s_delay_alu instid0(VALU_DEP_1) | instskip(NEXT) | instid1(VALU_DEP_1)
	v_mul_hi_u32 v32, v29, v32
	v_add_nc_u32_e32 v29, v29, v32
	s_delay_alu instid0(VALU_DEP_1) | instskip(NEXT) | instid1(VALU_DEP_1)
	v_mul_hi_u32 v29, v30, v29
	v_mul_lo_u32 v32, v29, s24
	s_delay_alu instid0(VALU_DEP_1) | instskip(NEXT) | instid1(VALU_DEP_1)
	v_dual_add_nc_u32 v33, 1, v29 :: v_dual_sub_nc_u32 v32, v30, v32
	v_subrev_nc_u32_e32 v34, s24, v32
	v_cmp_le_u32_e32 vcc_lo, s24, v32
	s_delay_alu instid0(VALU_DEP_2) | instskip(NEXT) | instid1(VALU_DEP_1)
	v_dual_cndmask_b32 v32, v32, v34 :: v_dual_cndmask_b32 v29, v29, v33
	v_cmp_le_u32_e32 vcc_lo, s24, v32
	s_delay_alu instid0(VALU_DEP_2) | instskip(NEXT) | instid1(VALU_DEP_1)
	v_add_nc_u32_e32 v33, 1, v29
	v_dual_cndmask_b32 v32, v29, v33 :: v_dual_mov_b32 v33, v28
	s_branch .LBB92_36
.LBB92_41:
	s_or_b32 exec_lo, exec_lo, s44
	s_mov_b32 s20, -1
	s_mov_b32 s1, 0
	s_mov_b32 s0, exec_lo
	v_cmpx_gt_i64_e64 v[24:25], v[22:23]
	s_cbranch_execz .LBB92_47
; %bb.42:
	s_delay_alu instid0(VALU_DEP_2) | instskip(SKIP_1) | instid1(VALU_DEP_1)
	v_lshlrev_b64_e32 v[26:27], 3, v[26:27]
	s_xor_b32 s20, s15, -1
                                        ; implicit-def: $sgpr19
                                        ; implicit-def: $sgpr22
                                        ; implicit-def: $sgpr21
	v_lshl_add_u64 v[22:23], v[22:23], 3, v[26:27]
	v_add_nc_u64_e32 v[26:27], s[6:7], v[26:27]
	s_delay_alu instid0(VALU_DEP_2) | instskip(NEXT) | instid1(VALU_DEP_2)
	v_add_nc_u64_e32 v[22:23], s[6:7], v[22:23]
	v_lshl_add_u64 v[24:25], v[24:25], 3, v[26:27]
	s_delay_alu instid0(VALU_DEP_2)
	v_add_nc_u64_e32 v[22:23], 8, v[22:23]
	s_branch .LBB92_44
.LBB92_43:                              ;   in Loop: Header=BB92_44 Depth=1
	s_or_b32 exec_lo, exec_lo, s23
	s_delay_alu instid0(SALU_CYCLE_1) | instskip(NEXT) | instid1(SALU_CYCLE_1)
	s_and_b32 s23, exec_lo, s22
	s_or_b32 s1, s23, s1
	s_and_not1_b32 s19, s19, exec_lo
	s_and_b32 s23, s21, exec_lo
	s_delay_alu instid0(SALU_CYCLE_1)
	s_or_b32 s19, s19, s23
	s_and_not1_b32 exec_lo, exec_lo, s1
	s_cbranch_execz .LBB92_46
.LBB92_44:                              ; =>This Inner Loop Header: Depth=1
	s_or_b32 s21, s21, exec_lo
	s_or_b32 s22, s22, exec_lo
	s_mov_b32 s23, exec_lo
	s_delay_alu instid0(VALU_DEP_1)
	v_cmpx_lt_u64_e64 v[22:23], v[24:25]
	s_cbranch_execz .LBB92_43
; %bb.45:                               ;   in Loop: Header=BB92_44 Depth=1
	global_load_b128 v[26:29], v[22:23], off offset:-8
	s_wait_xcnt 0x0
	v_add_nc_u64_e32 v[22:23], 8, v[22:23]
	s_and_not1_b32 s22, s22, exec_lo
	s_and_not1_b32 s21, s21, exec_lo
	s_wait_loadcnt 0x0
	v_cmp_ge_i64_e32 vcc_lo, v[26:27], v[28:29]
	s_or_b32 s24, s20, vcc_lo
	s_delay_alu instid0(SALU_CYCLE_1) | instskip(NEXT) | instid1(SALU_CYCLE_1)
	s_and_b32 s24, s24, exec_lo
	s_or_b32 s22, s22, s24
	s_branch .LBB92_43
.LBB92_46:
	s_or_b32 exec_lo, exec_lo, s1
	s_delay_alu instid0(SALU_CYCLE_1)
	s_mov_b32 s1, exec_lo
	s_or_not1_b32 s20, s19, exec_lo
.LBB92_47:
	s_or_b32 exec_lo, exec_lo, s0
	s_delay_alu instid0(SALU_CYCLE_1)
	s_and_b32 s19, s1, exec_lo
	s_xor_b32 s1, exec_lo, -1
	s_and_b32 s0, s20, exec_lo
.LBB92_48:
	s_or_b32 exec_lo, exec_lo, s43
	s_delay_alu instid0(SALU_CYCLE_1)
	s_and_not1_b32 s20, s37, exec_lo
	s_and_b32 s1, s1, exec_lo
	s_and_b32 s19, s19, exec_lo
	s_or_b32 s20, s20, s1
	s_xor_b32 s1, exec_lo, -1
	s_and_b32 s0, s0, exec_lo
.LBB92_49:
	s_or_b32 exec_lo, exec_lo, s42
	s_delay_alu instid0(SALU_CYCLE_1)
	s_and_not1_b32 s21, s37, exec_lo
	s_and_b32 s20, s20, exec_lo
	s_and_not1_b32 s22, s38, exec_lo
	s_and_b32 s1, s1, exec_lo
	s_and_b32 s19, s19, exec_lo
	s_or_b32 s21, s21, s20
	s_or_b32 s20, s22, s1
	s_xor_b32 s1, exec_lo, -1
	s_and_b32 s0, s0, exec_lo
.LBB92_50:
	s_or_b32 exec_lo, exec_lo, s41
	s_delay_alu instid0(SALU_CYCLE_1)
	s_and_not1_b32 s22, s37, exec_lo
	s_and_b32 s21, s21, exec_lo
	s_and_b32 s44, s19, exec_lo
	s_or_b32 s42, s22, s21
	s_and_not1_b32 s19, s38, exec_lo
	s_and_b32 s20, s20, exec_lo
	s_and_not1_b32 s21, s39, exec_lo
	s_and_b32 s1, s1, exec_lo
	s_or_b32 s43, s19, s20
	s_or_b32 s41, s21, s1
	s_or_not1_b32 s0, s0, exec_lo
.LBB92_51:
	s_or_b32 exec_lo, exec_lo, s45
	s_mov_b32 s20, 0
	s_and_saveexec_b32 s45, s0
	s_cbranch_execz .LBB92_78
; %bb.52:
	s_wait_loadcnt 0x4
	v_or_b32_e32 v22, 0x200, v0
	s_mov_b32 s22, -1
	s_mov_b32 s46, 0
	s_mov_b32 s0, s41
	;; [unrolled: 1-line block ×4, first 2 shown]
	s_mov_b32 s47, exec_lo
	v_cmpx_gt_i32_e64 s30, v22
	s_cbranch_execz .LBB92_73
; %bb.53:
	s_wait_loadcnt 0x3
	v_cmp_eq_u64_e32 vcc_lo, s[8:9], v[20:21]
	s_mov_b32 s0, -1
	s_mov_b32 s21, 0
	s_mov_b32 s22, s43
	;; [unrolled: 1-line block ×4, first 2 shown]
	s_and_b32 s19, s36, vcc_lo
	s_delay_alu instid0(SALU_CYCLE_1)
	s_and_saveexec_b32 s48, s19
	s_cbranch_execz .LBB92_72
; %bb.54:
	s_wait_loadcnt 0x2
	v_cmp_eq_u64_e32 vcc_lo, s[12:13], v[16:17]
	s_mov_b32 s19, 0
	s_mov_b32 s20, s42
	s_and_b32 s1, s34, vcc_lo
	s_delay_alu instid0(SALU_CYCLE_1)
	s_and_saveexec_b32 s49, s1
	s_cbranch_execz .LBB92_71
; %bb.55:
	s_wait_loadcnt 0x1
	v_sub_nc_u64_e32 v[22:23], v[14:15], v[12:13]
	s_mov_b32 s19, -1
	s_mov_b32 s1, 0
	s_delay_alu instid0(VALU_DEP_1) | instskip(SKIP_2) | instid1(SALU_CYCLE_1)
	v_cmp_le_i64_e32 vcc_lo, v[20:21], v[22:23]
	v_cmp_ge_i64_e64 s0, s[10:11], v[22:23]
	s_and_b32 s0, vcc_lo, s0
	s_and_b32 s20, s33, s0
	s_mov_b32 s0, 0
	s_and_saveexec_b32 s50, s20
	s_cbranch_execz .LBB92_70
; %bb.56:
	v_cmp_lt_i64_e32 vcc_lo, 0, v[16:17]
	v_mov_b64_e32 v[20:21], 0
	s_and_b32 s0, vcc_lo, s31
	s_delay_alu instid0(SALU_CYCLE_1)
	s_and_saveexec_b32 s51, s0
	s_cbranch_execz .LBB92_63
; %bb.57:
	s_wait_loadcnt 0x0
	v_mul_u64_e32 v[18:19], v[18:19], v[16:17]
	s_ashr_i32 s19, s18, 31
	v_mov_b64_e32 v[20:21], 0
	s_lshl_b64 s[0:1], s[18:19], 3
	v_mov_b32_e32 v16, 0
	s_add_nc_u64 s[0:1], s[16:17], s[0:1]
	s_mov_b64 s[20:21], 0xffffffff
	s_add_nc_u64 s[22:23], s[0:1], 32
	s_mov_b32 s1, 0
	s_mov_b32 s19, s14
	s_branch .LBB92_59
.LBB92_58:                              ;   in Loop: Header=BB92_59 Depth=1
	s_or_b32 exec_lo, exec_lo, s0
	s_delay_alu instid0(VALU_DEP_1)
	v_mul_u64_e32 v[24:25], s[24:25], v[22:23]
	s_load_b64 s[24:25], s[22:23], 0x40
	s_add_co_i32 s19, s19, -1
	s_wait_xcnt 0x0
	s_add_nc_u64 s[22:23], s[22:23], -8
	s_cmp_lg_u32 s19, 0
	s_delay_alu instid0(VALU_DEP_1) | instskip(SKIP_1) | instid1(VALU_DEP_1)
	v_sub_nc_u64_e32 v[18:19], v[18:19], v[24:25]
	s_wait_kmcnt 0x0
	v_mad_nc_u64_u32 v[20:21], v18, s24, v[20:21]
	s_delay_alu instid0(VALU_DEP_1) | instskip(NEXT) | instid1(VALU_DEP_1)
	v_mad_u32 v17, v19, s24, v21
	v_mad_u32 v21, v18, s25, v17
	v_mov_b64_e32 v[18:19], v[22:23]
	s_cbranch_scc0 .LBB92_63
.LBB92_59:                              ; =>This Inner Loop Header: Depth=1
	s_load_b64 s[24:25], s[22:23], 0x0
                                        ; implicit-def: $vgpr22_vgpr23
	s_mov_b32 s0, exec_lo
	s_wait_kmcnt 0x0
	s_delay_alu instid0(VALU_DEP_1) | instskip(NEXT) | instid1(VALU_DEP_1)
	v_or_b32_e32 v17, s25, v19
	v_cmpx_ne_u64_e32 0, v[16:17]
	s_xor_b32 s52, exec_lo, s0
	s_cbranch_execz .LBB92_61
; %bb.60:                               ;   in Loop: Header=BB92_59 Depth=1
	s_ashr_i32 s26, s25, 31
	v_dual_mov_b32 v27, v16 :: v_dual_ashrrev_i32 v22, 31, v19
	s_mov_b32 s27, s26
	s_delay_alu instid0(SALU_CYCLE_1) | instskip(NEXT) | instid1(VALU_DEP_1)
	s_add_nc_u64 s[28:29], s[24:25], s[26:27]
	v_mov_b32_e32 v23, v22
	s_xor_b64 s[28:29], s[28:29], s[26:27]
	s_delay_alu instid0(SALU_CYCLE_1)
	s_cvt_f32_u32 s0, s28
	s_cvt_f32_u32 s27, s29
	s_sub_nc_u64 s[56:57], 0, s[28:29]
	v_add_nc_u64_e32 v[24:25], v[18:19], v[22:23]
	v_mov_b32_e32 v31, v16
	s_fmamk_f32 s0, s27, 0x4f800000, s0
	s_delay_alu instid0(SALU_CYCLE_3) | instskip(NEXT) | instid1(VALU_DEP_2)
	v_s_rcp_f32 s0, s0
	v_xor_b32_e32 v26, v24, v22
	s_delay_alu instid0(VALU_DEP_3) | instskip(SKIP_1) | instid1(TRANS32_DEP_1)
	v_dual_mov_b32 v35, v16 :: v_dual_bitop2_b32 v30, v25, v22 bitop3:0x14
	v_xor_b32_e32 v22, s26, v22
	s_mul_f32 s0, s0, 0x5f7ffffc
	s_delay_alu instid0(SALU_CYCLE_3) | instskip(NEXT) | instid1(SALU_CYCLE_3)
	s_mul_f32 s27, s0, 0x2f800000
	s_trunc_f32 s27, s27
	s_delay_alu instid0(SALU_CYCLE_3) | instskip(SKIP_1) | instid1(SALU_CYCLE_2)
	s_fmamk_f32 s0, s27, 0xcf800000, s0
	s_cvt_u32_f32 s55, s27
	s_cvt_u32_f32 s54, s0
	s_delay_alu instid0(SALU_CYCLE_3) | instskip(NEXT) | instid1(SALU_CYCLE_1)
	s_mul_u64 s[58:59], s[56:57], s[54:55]
	s_mul_hi_u32 s61, s54, s59
	s_mul_i32 s60, s54, s59
	s_mul_hi_u32 s0, s54, s58
	s_mul_i32 s53, s55, s58
	s_add_nc_u64 s[60:61], s[0:1], s[60:61]
	s_mul_hi_u32 s27, s55, s58
	s_mul_hi_u32 s62, s55, s59
	s_add_co_u32 s0, s60, s53
	s_add_co_ci_u32 s0, s61, s27
	s_mul_i32 s58, s55, s59
	s_add_co_ci_u32 s59, s62, 0
	s_delay_alu instid0(SALU_CYCLE_1) | instskip(NEXT) | instid1(SALU_CYCLE_1)
	s_add_nc_u64 s[58:59], s[0:1], s[58:59]
	s_add_co_u32 s54, s54, s58
	s_cselect_b32 s0, -1, 0
	s_delay_alu instid0(SALU_CYCLE_1) | instskip(SKIP_1) | instid1(SALU_CYCLE_1)
	s_cmp_lg_u32 s0, 0
	s_add_co_ci_u32 s55, s55, s59
	s_mul_u64 s[56:57], s[56:57], s[54:55]
	s_delay_alu instid0(SALU_CYCLE_1)
	s_mul_hi_u32 s59, s54, s57
	s_mul_i32 s58, s54, s57
	s_mul_hi_u32 s0, s54, s56
	s_mul_i32 s53, s55, s56
	s_add_nc_u64 s[58:59], s[0:1], s[58:59]
	s_mul_hi_u32 s27, s55, s56
	s_mul_hi_u32 s60, s55, s57
	s_add_co_u32 s0, s58, s53
	s_add_co_ci_u32 s0, s59, s27
	s_mul_i32 s56, s55, s57
	s_add_co_ci_u32 s57, s60, 0
	s_delay_alu instid0(SALU_CYCLE_1) | instskip(NEXT) | instid1(SALU_CYCLE_1)
	s_add_nc_u64 s[56:57], s[0:1], s[56:57]
	s_add_co_u32 s54, s54, s56
	s_cselect_b32 s0, -1, 0
	v_mul_hi_u32 v34, v26, s54
	s_cmp_lg_u32 s0, 0
	s_add_co_ci_u32 s0, s55, s57
	s_and_b64 s[56:57], s[54:55], s[20:21]
	v_mul_u64_e32 v[28:29], s[0:1], v[26:27]
	v_mul_u64_e32 v[24:25], s[56:57], v[30:31]
	;; [unrolled: 1-line block ×3, first 2 shown]
	s_delay_alu instid0(VALU_DEP_3) | instskip(NEXT) | instid1(VALU_DEP_1)
	v_add_nc_u64_e32 v[28:29], v[34:35], v[28:29]
	v_add_co_u32 v17, vcc_lo, v28, v24
	s_delay_alu instid0(VALU_DEP_2) | instskip(NEXT) | instid1(VALU_DEP_4)
	v_add_co_ci_u32_e32 v34, vcc_lo, v29, v25, vcc_lo
	v_add_co_ci_u32_e32 v33, vcc_lo, 0, v33, vcc_lo
	s_delay_alu instid0(VALU_DEP_1) | instskip(NEXT) | instid1(VALU_DEP_1)
	v_add_nc_u64_e32 v[24:25], v[34:35], v[32:33]
	v_mul_u64_e32 v[28:29], s[28:29], v[24:25]
	s_delay_alu instid0(VALU_DEP_1) | instskip(NEXT) | instid1(VALU_DEP_2)
	v_sub_nc_u32_e32 v17, v30, v29
	v_sub_co_u32 v23, vcc_lo, v26, v28
	s_delay_alu instid0(VALU_DEP_1) | instskip(NEXT) | instid1(VALU_DEP_3)
	v_sub_co_ci_u32_e64 v30, null, v30, v29, vcc_lo
	v_subrev_co_ci_u32_e64 v17, null, s29, v17, vcc_lo
	s_delay_alu instid0(VALU_DEP_3) | instskip(SKIP_1) | instid1(VALU_DEP_3)
	v_sub_co_u32 v26, s0, v23, s28
	v_add_nc_u64_e32 v[28:29], 1, v[24:25]
	v_subrev_co_ci_u32_e64 v17, null, 0, v17, s0
	s_delay_alu instid0(VALU_DEP_3) | instskip(SKIP_1) | instid1(VALU_DEP_3)
	v_cmp_le_u32_e32 vcc_lo, s28, v26
	v_cndmask_b32_e64 v26, 0, -1, vcc_lo
	v_cmp_le_u32_e32 vcc_lo, s29, v17
	v_cndmask_b32_e64 v27, 0, -1, vcc_lo
	;; [unrolled: 2-line block ×4, first 2 shown]
	v_cmp_eq_u32_e32 vcc_lo, s29, v17
	v_cndmask_b32_e32 v17, v27, v26, vcc_lo
	v_cmp_eq_u32_e32 vcc_lo, s29, v30
	v_add_nc_u64_e32 v[26:27], 2, v[24:25]
	v_cndmask_b32_e32 v23, v31, v23, vcc_lo
	s_delay_alu instid0(VALU_DEP_4) | instskip(NEXT) | instid1(VALU_DEP_2)
	v_cmp_ne_u32_e32 vcc_lo, 0, v17
	v_cmp_ne_u32_e64 s0, 0, v23
	s_delay_alu instid0(VALU_DEP_4) | instskip(NEXT) | instid1(VALU_DEP_1)
	v_dual_cndmask_b32 v17, v29, v27, vcc_lo :: v_dual_cndmask_b32 v23, v28, v26, vcc_lo
	v_dual_cndmask_b32 v24, v24, v23, s0 :: v_dual_mov_b32 v23, v22
	s_delay_alu instid0(VALU_DEP_1) | instskip(NEXT) | instid1(VALU_DEP_1)
	v_dual_cndmask_b32 v17, v25, v17, s0 :: v_dual_bitop2_b32 v24, v24, v22 bitop3:0x14
	v_xor_b32_e32 v25, v17, v22
	s_delay_alu instid0(VALU_DEP_1)
	v_sub_nc_u64_e32 v[22:23], v[24:25], v[22:23]
.LBB92_61:                              ;   in Loop: Header=BB92_59 Depth=1
	s_and_not1_saveexec_b32 s0, s52
	s_cbranch_execz .LBB92_58
; %bb.62:                               ;   in Loop: Header=BB92_59 Depth=1
	v_cvt_f32_u32_e32 v17, s24
	s_sub_co_i32 s26, 0, s24
	s_delay_alu instid0(VALU_DEP_1) | instskip(SKIP_1) | instid1(TRANS32_DEP_1)
	v_rcp_iflag_f32_e32 v17, v17
	v_nop
	v_mul_f32_e32 v17, 0x4f7ffffe, v17
	s_delay_alu instid0(VALU_DEP_1) | instskip(NEXT) | instid1(VALU_DEP_1)
	v_cvt_u32_f32_e32 v17, v17
	v_mul_lo_u32 v22, s26, v17
	s_delay_alu instid0(VALU_DEP_1) | instskip(NEXT) | instid1(VALU_DEP_1)
	v_mul_hi_u32 v22, v17, v22
	v_add_nc_u32_e32 v17, v17, v22
	s_delay_alu instid0(VALU_DEP_1) | instskip(NEXT) | instid1(VALU_DEP_1)
	v_mul_hi_u32 v17, v18, v17
	v_mul_lo_u32 v22, v17, s24
	s_delay_alu instid0(VALU_DEP_1) | instskip(NEXT) | instid1(VALU_DEP_1)
	v_dual_add_nc_u32 v23, 1, v17 :: v_dual_sub_nc_u32 v22, v18, v22
	v_subrev_nc_u32_e32 v24, s24, v22
	v_cmp_le_u32_e32 vcc_lo, s24, v22
	s_delay_alu instid0(VALU_DEP_2) | instskip(NEXT) | instid1(VALU_DEP_1)
	v_dual_cndmask_b32 v22, v22, v24 :: v_dual_cndmask_b32 v17, v17, v23
	v_cmp_le_u32_e32 vcc_lo, s24, v22
	s_delay_alu instid0(VALU_DEP_2) | instskip(NEXT) | instid1(VALU_DEP_1)
	v_add_nc_u32_e32 v23, 1, v17
	v_dual_cndmask_b32 v22, v17, v23 :: v_dual_mov_b32 v23, v16
	s_branch .LBB92_58
.LBB92_63:
	s_or_b32 exec_lo, exec_lo, s51
	s_mov_b32 s1, -1
	s_mov_b32 s20, 0
	s_mov_b32 s0, exec_lo
	v_cmpx_gt_i64_e64 v[14:15], v[12:13]
	s_cbranch_execz .LBB92_69
; %bb.64:
	s_delay_alu instid0(VALU_DEP_2) | instskip(SKIP_2) | instid1(VALU_DEP_1)
	v_lshlrev_b64_e32 v[16:17], 3, v[20:21]
	s_mov_b32 s1, 0
	s_xor_b32 s20, s15, -1
                                        ; implicit-def: $sgpr19
                                        ; implicit-def: $sgpr22
                                        ; implicit-def: $sgpr21
	v_lshl_add_u64 v[12:13], v[12:13], 3, v[16:17]
	v_add_nc_u64_e32 v[16:17], s[6:7], v[16:17]
	s_delay_alu instid0(VALU_DEP_2) | instskip(NEXT) | instid1(VALU_DEP_2)
	v_add_nc_u64_e32 v[12:13], s[6:7], v[12:13]
	v_lshl_add_u64 v[14:15], v[14:15], 3, v[16:17]
	s_delay_alu instid0(VALU_DEP_2)
	v_add_nc_u64_e32 v[12:13], 8, v[12:13]
	s_branch .LBB92_66
.LBB92_65:                              ;   in Loop: Header=BB92_66 Depth=1
	s_or_b32 exec_lo, exec_lo, s23
	s_delay_alu instid0(SALU_CYCLE_1) | instskip(NEXT) | instid1(SALU_CYCLE_1)
	s_and_b32 s23, exec_lo, s22
	s_or_b32 s1, s23, s1
	s_and_not1_b32 s19, s19, exec_lo
	s_and_b32 s23, s21, exec_lo
	s_delay_alu instid0(SALU_CYCLE_1)
	s_or_b32 s19, s19, s23
	s_and_not1_b32 exec_lo, exec_lo, s1
	s_cbranch_execz .LBB92_68
.LBB92_66:                              ; =>This Inner Loop Header: Depth=1
	s_or_b32 s21, s21, exec_lo
	s_or_b32 s22, s22, exec_lo
	s_mov_b32 s23, exec_lo
	s_delay_alu instid0(VALU_DEP_1)
	v_cmpx_lt_u64_e64 v[12:13], v[14:15]
	s_cbranch_execz .LBB92_65
; %bb.67:                               ;   in Loop: Header=BB92_66 Depth=1
	s_wait_loadcnt 0x0
	global_load_b128 v[16:19], v[12:13], off offset:-8
	s_wait_xcnt 0x0
	v_add_nc_u64_e32 v[12:13], 8, v[12:13]
	s_and_not1_b32 s22, s22, exec_lo
	s_and_not1_b32 s21, s21, exec_lo
	s_wait_loadcnt 0x0
	v_cmp_ge_i64_e32 vcc_lo, v[16:17], v[18:19]
	s_or_b32 s24, s20, vcc_lo
	s_delay_alu instid0(SALU_CYCLE_1) | instskip(NEXT) | instid1(SALU_CYCLE_1)
	s_and_b32 s24, s24, exec_lo
	s_or_b32 s22, s22, s24
	s_branch .LBB92_65
.LBB92_68:
	s_or_b32 exec_lo, exec_lo, s1
	s_delay_alu instid0(SALU_CYCLE_1)
	s_mov_b32 s20, exec_lo
	s_or_not1_b32 s1, s19, exec_lo
.LBB92_69:
	s_or_b32 exec_lo, exec_lo, s0
	s_delay_alu instid0(SALU_CYCLE_1)
	s_and_b32 s0, s20, exec_lo
	s_xor_b32 s19, exec_lo, -1
	s_and_b32 s1, s1, exec_lo
.LBB92_70:
	s_or_b32 exec_lo, exec_lo, s50
	s_delay_alu instid0(SALU_CYCLE_1)
	s_and_not1_b32 s20, s42, exec_lo
	s_and_b32 s19, s19, exec_lo
	s_and_b32 s21, s0, exec_lo
	s_or_b32 s20, s20, s19
	s_xor_b32 s0, exec_lo, -1
	s_and_b32 s19, s1, exec_lo
.LBB92_71:
	s_or_b32 exec_lo, exec_lo, s49
	s_delay_alu instid0(SALU_CYCLE_1)
	s_and_b32 s1, s21, exec_lo
	s_and_not1_b32 s21, s42, exec_lo
	s_and_b32 s20, s20, exec_lo
	s_and_not1_b32 s22, s43, exec_lo
	s_and_b32 s0, s0, exec_lo
	s_or_b32 s20, s21, s20
	s_or_b32 s22, s22, s0
	s_xor_b32 s0, exec_lo, -1
	s_and_b32 s21, s19, exec_lo
.LBB92_72:
	s_or_b32 exec_lo, exec_lo, s48
	s_delay_alu instid0(SALU_CYCLE_1)
	s_and_not1_b32 s19, s42, exec_lo
	s_and_b32 s23, s20, exec_lo
	s_and_b32 s20, s1, exec_lo
	s_or_b32 s1, s19, s23
	s_and_not1_b32 s19, s43, exec_lo
	s_and_b32 s22, s22, exec_lo
	s_and_not1_b32 s23, s41, exec_lo
	s_and_b32 s0, s0, exec_lo
	s_or_b32 s19, s19, s22
	s_or_b32 s0, s23, s0
	s_or_not1_b32 s22, s21, exec_lo
.LBB92_73:
	s_or_b32 exec_lo, exec_lo, s47
	s_mov_b32 s23, 0
	s_and_saveexec_b32 s21, s22
	s_cbranch_execz .LBB92_77
; %bb.74:
	v_or_b32_e32 v12, 0x300, v0
	s_mov_b32 s22, 0
	s_mov_b32 s23, -1
	s_mov_b32 s24, s0
	s_mov_b32 s25, exec_lo
	v_cmpx_gt_i32_e64 s30, v12
	s_xor_b32 s25, exec_lo, s25
	s_cbranch_execz .LBB92_76
; %bb.75:
	s_wait_loadcnt 0x3
	v_cmp_ne_u64_e32 vcc_lo, s[8:9], v[10:11]
	s_xor_b32 s8, s36, -1
	s_and_not1_b32 s9, s0, exec_lo
	s_mov_b32 s22, exec_lo
	s_xor_b32 s23, exec_lo, -1
	s_or_b32 s8, s8, vcc_lo
	s_delay_alu instid0(SALU_CYCLE_1) | instskip(NEXT) | instid1(SALU_CYCLE_1)
	s_and_b32 s8, s8, exec_lo
	s_or_b32 s24, s9, s8
.LBB92_76:
	s_or_b32 exec_lo, exec_lo, s25
	s_delay_alu instid0(SALU_CYCLE_1)
	s_and_not1_b32 s0, s0, exec_lo
	s_and_b32 s8, s24, exec_lo
	s_and_b32 s23, s23, exec_lo
	s_and_not1_b32 s20, s20, exec_lo
	s_and_b32 s46, s22, exec_lo
	s_or_b32 s0, s0, s8
.LBB92_77:
	s_or_b32 exec_lo, exec_lo, s21
	s_delay_alu instid0(SALU_CYCLE_1)
	s_and_not1_b32 s8, s44, exec_lo
	s_and_b32 s9, s20, exec_lo
	s_and_b32 s1, s1, exec_lo
	s_or_b32 s44, s8, s9
	s_and_not1_b32 s8, s42, exec_lo
	s_and_not1_b32 s9, s43, exec_lo
	s_and_b32 s19, s19, exec_lo
	s_or_b32 s42, s8, s1
	s_and_not1_b32 s1, s41, exec_lo
	s_and_b32 s0, s0, exec_lo
	s_and_b32 s20, s23, exec_lo
	s_or_b32 s43, s9, s19
	s_and_b32 s46, s46, exec_lo
	s_or_b32 s41, s1, s0
.LBB92_78:
	s_or_b32 exec_lo, exec_lo, s45
	s_delay_alu instid0(SALU_CYCLE_1)
	s_and_not1_b32 s0, s35, exec_lo
	s_and_b32 s1, s44, exec_lo
	s_and_not1_b32 s8, s38, exec_lo
	s_or_b32 s35, s0, s1
	s_and_not1_b32 s0, s37, exec_lo
	s_and_b32 s1, s42, exec_lo
	s_and_b32 s9, s43, exec_lo
	s_or_b32 s37, s0, s1
	s_and_not1_b32 s0, s39, exec_lo
	s_and_b32 s1, s41, exec_lo
	s_and_b32 s20, s20, exec_lo
	s_or_b32 s38, s8, s9
	s_and_b32 s41, s46, exec_lo
	s_or_b32 s39, s0, s1
.LBB92_79:
	s_or_b32 exec_lo, exec_lo, s40
	s_mov_b32 s0, 0
	s_mov_b32 s21, 0
	s_and_saveexec_b32 s1, s39
	s_cbranch_execnz .LBB92_115
; %bb.80:
	s_or_b32 exec_lo, exec_lo, s1
	s_and_saveexec_b32 s1, s41
	s_delay_alu instid0(SALU_CYCLE_1)
	s_xor_b32 s1, exec_lo, s1
	s_cbranch_execnz .LBB92_116
.LBB92_81:
	s_or_b32 exec_lo, exec_lo, s1
	s_and_saveexec_b32 s1, s38
	s_cbranch_execnz .LBB92_117
.LBB92_82:
	s_or_b32 exec_lo, exec_lo, s1
	s_mov_b32 s1, 0
	s_and_saveexec_b32 s8, s0
	s_delay_alu instid0(SALU_CYCLE_1)
	s_xor_b32 s8, exec_lo, s8
	s_cbranch_execnz .LBB92_89
; %bb.83:
	s_or_b32 exec_lo, exec_lo, s8
	s_and_saveexec_b32 s0, s37
	s_cbranch_execnz .LBB92_90
.LBB92_84:
	s_or_b32 exec_lo, exec_lo, s0
	s_and_saveexec_b32 s22, s1
	s_cbranch_execnz .LBB92_91
.LBB92_85:
	s_or_b32 exec_lo, exec_lo, s22
	s_and_saveexec_b32 s0, s35
	s_cbranch_execnz .LBB92_105
.LBB92_86:
	s_or_b32 exec_lo, exec_lo, s0
	s_and_saveexec_b32 s0, s21
	s_delay_alu instid0(SALU_CYCLE_1)
	s_xor_b32 s0, exec_lo, s0
	s_cbranch_execnz .LBB92_106
.LBB92_87:
	s_or_b32 exec_lo, exec_lo, s0
	s_and_saveexec_b32 s0, s20
	s_delay_alu instid0(SALU_CYCLE_1)
	s_xor_b32 s0, exec_lo, s0
	s_cbranch_execnz .LBB92_107
.LBB92_88:
	s_endpgm
.LBB92_89:
	s_wait_loadcnt 0x1
	v_sub_nc_u64_e32 v[12:13], v[4:5], v[2:3]
	s_and_not1_b32 s9, s37, exec_lo
	s_mov_b32 s1, exec_lo
	s_delay_alu instid0(VALU_DEP_1) | instskip(SKIP_2) | instid1(SALU_CYCLE_1)
	v_cmp_le_i64_e32 vcc_lo, v[10:11], v[12:13]
	v_cmp_ge_i64_e64 s0, s[10:11], v[12:13]
	s_and_b32 s0, vcc_lo, s0
	s_and_b32 s0, s33, s0
	s_delay_alu instid0(SALU_CYCLE_1) | instskip(NEXT) | instid1(SALU_CYCLE_1)
	s_xor_b32 s0, s0, -1
	s_and_b32 s0, s0, exec_lo
	s_delay_alu instid0(SALU_CYCLE_1)
	s_or_b32 s37, s9, s0
	s_or_b32 exec_lo, exec_lo, s8
	s_and_saveexec_b32 s0, s37
	s_cbranch_execz .LBB92_84
.LBB92_90:
	s_or_b32 s21, s21, exec_lo
	s_and_not1_b32 s1, s1, exec_lo
	s_trap 2
	s_or_b32 exec_lo, exec_lo, s0
	s_and_saveexec_b32 s22, s1
	s_cbranch_execz .LBB92_85
.LBB92_91:
	s_wait_loadcnt 0x2
	v_cmp_lt_i64_e32 vcc_lo, 0, v[6:7]
	v_mov_b64_e32 v[10:11], 0
	s_and_b32 s0, vcc_lo, s31
	s_delay_alu instid0(SALU_CYCLE_1)
	s_and_saveexec_b32 s23, s0
	s_cbranch_execz .LBB92_98
; %bb.92:
	s_wait_loadcnt 0x0
	v_mul_u64_e32 v[8:9], v[8:9], v[6:7]
	s_ashr_i32 s19, s18, 31
	v_mov_b64_e32 v[10:11], 0
	s_lshl_b64 s[0:1], s[18:19], 3
	v_mov_b32_e32 v6, 0
	s_add_nc_u64 s[0:1], s[16:17], s[0:1]
	s_mov_b64 s[8:9], 0xffffffff
	s_add_nc_u64 s[10:11], s[0:1], 32
	s_mov_b32 s1, 0
	s_branch .LBB92_94
.LBB92_93:                              ;   in Loop: Header=BB92_94 Depth=1
	s_or_b32 exec_lo, exec_lo, s0
	s_delay_alu instid0(VALU_DEP_1)
	v_mul_u64_e32 v[14:15], s[12:13], v[12:13]
	s_load_b64 s[12:13], s[10:11], 0x40
	s_add_co_i32 s14, s14, -1
	s_wait_xcnt 0x0
	s_add_nc_u64 s[10:11], s[10:11], -8
	s_cmp_lg_u32 s14, 0
	s_delay_alu instid0(VALU_DEP_1) | instskip(SKIP_1) | instid1(VALU_DEP_1)
	v_sub_nc_u64_e32 v[8:9], v[8:9], v[14:15]
	s_wait_kmcnt 0x0
	v_mad_nc_u64_u32 v[10:11], v8, s12, v[10:11]
	s_delay_alu instid0(VALU_DEP_1) | instskip(NEXT) | instid1(VALU_DEP_1)
	v_mad_u32 v7, v9, s12, v11
	v_mad_u32 v11, v8, s13, v7
	v_mov_b64_e32 v[8:9], v[12:13]
	s_cbranch_scc0 .LBB92_98
.LBB92_94:                              ; =>This Inner Loop Header: Depth=1
	s_load_b64 s[12:13], s[10:11], 0x0
                                        ; implicit-def: $vgpr12_vgpr13
	s_mov_b32 s0, exec_lo
	s_wait_kmcnt 0x0
	s_delay_alu instid0(VALU_DEP_1) | instskip(NEXT) | instid1(VALU_DEP_1)
	v_or_b32_e32 v7, s13, v9
	v_cmpx_ne_u64_e32 0, v[6:7]
	s_xor_b32 s24, exec_lo, s0
	s_cbranch_execz .LBB92_96
; %bb.95:                               ;   in Loop: Header=BB92_94 Depth=1
	s_ashr_i32 s16, s13, 31
	v_dual_mov_b32 v17, v6 :: v_dual_ashrrev_i32 v12, 31, v9
	s_mov_b32 s17, s16
	s_delay_alu instid0(SALU_CYCLE_1) | instskip(NEXT) | instid1(VALU_DEP_1)
	s_add_nc_u64 s[18:19], s[12:13], s[16:17]
	v_mov_b32_e32 v13, v12
	s_xor_b64 s[18:19], s[18:19], s[16:17]
	s_delay_alu instid0(SALU_CYCLE_1)
	s_cvt_f32_u32 s0, s18
	s_cvt_f32_u32 s17, s19
	s_sub_nc_u64 s[28:29], 0, s[18:19]
	v_add_nc_u64_e32 v[14:15], v[8:9], v[12:13]
	v_mov_b32_e32 v21, v6
	s_fmamk_f32 s0, s17, 0x4f800000, s0
	s_delay_alu instid0(SALU_CYCLE_3) | instskip(NEXT) | instid1(VALU_DEP_2)
	v_s_rcp_f32 s0, s0
	v_xor_b32_e32 v16, v14, v12
	s_delay_alu instid0(VALU_DEP_3) | instskip(SKIP_1) | instid1(TRANS32_DEP_1)
	v_dual_mov_b32 v25, v6 :: v_dual_bitop2_b32 v20, v15, v12 bitop3:0x14
	v_xor_b32_e32 v12, s16, v12
	s_mul_f32 s0, s0, 0x5f7ffffc
	s_delay_alu instid0(SALU_CYCLE_3) | instskip(NEXT) | instid1(SALU_CYCLE_3)
	s_mul_f32 s17, s0, 0x2f800000
	s_trunc_f32 s17, s17
	s_delay_alu instid0(SALU_CYCLE_3) | instskip(SKIP_1) | instid1(SALU_CYCLE_2)
	s_fmamk_f32 s0, s17, 0xcf800000, s0
	s_cvt_u32_f32 s27, s17
	s_cvt_u32_f32 s26, s0
	s_delay_alu instid0(SALU_CYCLE_3) | instskip(NEXT) | instid1(SALU_CYCLE_1)
	s_mul_u64 s[36:37], s[28:29], s[26:27]
	s_mul_hi_u32 s39, s26, s37
	s_mul_i32 s38, s26, s37
	s_mul_hi_u32 s0, s26, s36
	s_mul_i32 s25, s27, s36
	s_add_nc_u64 s[38:39], s[0:1], s[38:39]
	s_mul_hi_u32 s17, s27, s36
	s_mul_hi_u32 s31, s27, s37
	s_add_co_u32 s0, s38, s25
	s_add_co_ci_u32 s0, s39, s17
	s_mul_i32 s36, s27, s37
	s_add_co_ci_u32 s37, s31, 0
	s_delay_alu instid0(SALU_CYCLE_1) | instskip(NEXT) | instid1(SALU_CYCLE_1)
	s_add_nc_u64 s[36:37], s[0:1], s[36:37]
	s_add_co_u32 s26, s26, s36
	s_cselect_b32 s0, -1, 0
	s_delay_alu instid0(SALU_CYCLE_1) | instskip(SKIP_1) | instid1(SALU_CYCLE_1)
	s_cmp_lg_u32 s0, 0
	s_add_co_ci_u32 s27, s27, s37
	s_mul_u64 s[28:29], s[28:29], s[26:27]
	s_delay_alu instid0(SALU_CYCLE_1)
	s_mul_hi_u32 s37, s26, s29
	s_mul_i32 s36, s26, s29
	s_mul_hi_u32 s0, s26, s28
	s_mul_i32 s25, s27, s28
	s_add_nc_u64 s[36:37], s[0:1], s[36:37]
	s_mul_hi_u32 s17, s27, s28
	s_mul_hi_u32 s31, s27, s29
	s_add_co_u32 s0, s36, s25
	s_add_co_ci_u32 s0, s37, s17
	s_mul_i32 s28, s27, s29
	s_add_co_ci_u32 s29, s31, 0
	s_delay_alu instid0(SALU_CYCLE_1) | instskip(NEXT) | instid1(SALU_CYCLE_1)
	s_add_nc_u64 s[28:29], s[0:1], s[28:29]
	s_add_co_u32 s26, s26, s28
	s_cselect_b32 s0, -1, 0
	v_mul_hi_u32 v24, v16, s26
	s_cmp_lg_u32 s0, 0
	s_add_co_ci_u32 s0, s27, s29
	s_and_b64 s[28:29], s[26:27], s[8:9]
	v_mul_u64_e32 v[18:19], s[0:1], v[16:17]
	v_mul_u64_e32 v[14:15], s[28:29], v[20:21]
	;; [unrolled: 1-line block ×3, first 2 shown]
	s_delay_alu instid0(VALU_DEP_3) | instskip(NEXT) | instid1(VALU_DEP_1)
	v_add_nc_u64_e32 v[18:19], v[24:25], v[18:19]
	v_add_co_u32 v7, vcc_lo, v18, v14
	s_delay_alu instid0(VALU_DEP_2) | instskip(NEXT) | instid1(VALU_DEP_4)
	v_add_co_ci_u32_e32 v24, vcc_lo, v19, v15, vcc_lo
	v_add_co_ci_u32_e32 v23, vcc_lo, 0, v23, vcc_lo
	s_delay_alu instid0(VALU_DEP_1) | instskip(NEXT) | instid1(VALU_DEP_1)
	v_add_nc_u64_e32 v[14:15], v[24:25], v[22:23]
	v_mul_u64_e32 v[18:19], s[18:19], v[14:15]
	s_delay_alu instid0(VALU_DEP_1) | instskip(NEXT) | instid1(VALU_DEP_2)
	v_sub_nc_u32_e32 v7, v20, v19
	v_sub_co_u32 v13, vcc_lo, v16, v18
	s_delay_alu instid0(VALU_DEP_1) | instskip(NEXT) | instid1(VALU_DEP_3)
	v_sub_co_ci_u32_e64 v20, null, v20, v19, vcc_lo
	v_subrev_co_ci_u32_e64 v7, null, s19, v7, vcc_lo
	s_delay_alu instid0(VALU_DEP_3) | instskip(SKIP_1) | instid1(VALU_DEP_3)
	v_sub_co_u32 v16, s0, v13, s18
	v_add_nc_u64_e32 v[18:19], 1, v[14:15]
	v_subrev_co_ci_u32_e64 v7, null, 0, v7, s0
	s_delay_alu instid0(VALU_DEP_3) | instskip(SKIP_1) | instid1(VALU_DEP_3)
	v_cmp_le_u32_e32 vcc_lo, s18, v16
	v_cndmask_b32_e64 v16, 0, -1, vcc_lo
	v_cmp_le_u32_e32 vcc_lo, s19, v7
	v_cndmask_b32_e64 v17, 0, -1, vcc_lo
	;; [unrolled: 2-line block ×4, first 2 shown]
	v_cmp_eq_u32_e32 vcc_lo, s19, v7
	v_cndmask_b32_e32 v7, v17, v16, vcc_lo
	v_cmp_eq_u32_e32 vcc_lo, s19, v20
	v_add_nc_u64_e32 v[16:17], 2, v[14:15]
	v_cndmask_b32_e32 v13, v21, v13, vcc_lo
	s_delay_alu instid0(VALU_DEP_4) | instskip(NEXT) | instid1(VALU_DEP_2)
	v_cmp_ne_u32_e32 vcc_lo, 0, v7
	v_cmp_ne_u32_e64 s0, 0, v13
	s_delay_alu instid0(VALU_DEP_4) | instskip(NEXT) | instid1(VALU_DEP_1)
	v_dual_cndmask_b32 v7, v19, v17, vcc_lo :: v_dual_cndmask_b32 v13, v18, v16, vcc_lo
	v_dual_cndmask_b32 v14, v14, v13, s0 :: v_dual_mov_b32 v13, v12
	s_delay_alu instid0(VALU_DEP_1) | instskip(NEXT) | instid1(VALU_DEP_1)
	v_dual_cndmask_b32 v7, v15, v7, s0 :: v_dual_bitop2_b32 v14, v14, v12 bitop3:0x14
	v_xor_b32_e32 v15, v7, v12
	s_delay_alu instid0(VALU_DEP_1)
	v_sub_nc_u64_e32 v[12:13], v[14:15], v[12:13]
.LBB92_96:                              ;   in Loop: Header=BB92_94 Depth=1
	s_and_not1_saveexec_b32 s0, s24
	s_cbranch_execz .LBB92_93
; %bb.97:                               ;   in Loop: Header=BB92_94 Depth=1
	v_cvt_f32_u32_e32 v7, s12
	s_sub_co_i32 s16, 0, s12
	s_delay_alu instid0(VALU_DEP_1) | instskip(SKIP_1) | instid1(TRANS32_DEP_1)
	v_rcp_iflag_f32_e32 v7, v7
	v_nop
	v_mul_f32_e32 v7, 0x4f7ffffe, v7
	s_delay_alu instid0(VALU_DEP_1) | instskip(NEXT) | instid1(VALU_DEP_1)
	v_cvt_u32_f32_e32 v7, v7
	v_mul_lo_u32 v12, s16, v7
	s_delay_alu instid0(VALU_DEP_1) | instskip(NEXT) | instid1(VALU_DEP_1)
	v_mul_hi_u32 v12, v7, v12
	v_add_nc_u32_e32 v7, v7, v12
	s_delay_alu instid0(VALU_DEP_1) | instskip(NEXT) | instid1(VALU_DEP_1)
	v_mul_hi_u32 v7, v8, v7
	v_mul_lo_u32 v12, v7, s12
	s_delay_alu instid0(VALU_DEP_1) | instskip(NEXT) | instid1(VALU_DEP_1)
	v_dual_add_nc_u32 v13, 1, v7 :: v_dual_sub_nc_u32 v12, v8, v12
	v_subrev_nc_u32_e32 v14, s12, v12
	v_cmp_le_u32_e32 vcc_lo, s12, v12
	s_delay_alu instid0(VALU_DEP_2) | instskip(NEXT) | instid1(VALU_DEP_1)
	v_dual_cndmask_b32 v12, v12, v14 :: v_dual_cndmask_b32 v7, v7, v13
	v_cmp_le_u32_e32 vcc_lo, s12, v12
	s_delay_alu instid0(VALU_DEP_2) | instskip(NEXT) | instid1(VALU_DEP_1)
	v_add_nc_u32_e32 v13, 1, v7
	v_dual_cndmask_b32 v12, v7, v13 :: v_dual_mov_b32 v13, v6
	s_branch .LBB92_93
.LBB92_98:
	s_or_b32 exec_lo, exec_lo, s23
	s_mov_b32 s1, s35
	s_mov_b32 s0, exec_lo
	s_wait_loadcnt 0x1
	v_cmpx_gt_i64_e64 v[4:5], v[2:3]
	s_cbranch_execz .LBB92_104
; %bb.99:
	s_delay_alu instid0(VALU_DEP_2) | instskip(SKIP_1) | instid1(VALU_DEP_1)
	v_lshlrev_b64_e32 v[6:7], 3, v[10:11]
	s_mov_b32 s1, 0
                                        ; implicit-def: $sgpr9
                                        ; implicit-def: $sgpr8
	v_lshl_add_u64 v[2:3], v[2:3], 3, v[6:7]
	v_add_nc_u64_e32 v[6:7], s[6:7], v[6:7]
	s_delay_alu instid0(VALU_DEP_2) | instskip(SKIP_1) | instid1(VALU_DEP_2)
	v_add_nc_u64_e32 v[2:3], s[6:7], v[2:3]
	s_xor_b32 s7, s15, -1
                                        ; implicit-def: $sgpr6
	v_lshl_add_u64 v[4:5], v[4:5], 3, v[6:7]
	s_delay_alu instid0(VALU_DEP_2)
	v_add_nc_u64_e32 v[2:3], 8, v[2:3]
	s_branch .LBB92_101
.LBB92_100:                             ;   in Loop: Header=BB92_101 Depth=1
	s_or_b32 exec_lo, exec_lo, s10
	s_xor_b32 s10, s8, -1
	s_and_b32 s11, exec_lo, s9
	s_delay_alu instid0(SALU_CYCLE_1) | instskip(SKIP_2) | instid1(SALU_CYCLE_1)
	s_or_b32 s1, s11, s1
	s_and_not1_b32 s6, s6, exec_lo
	s_and_b32 s10, s10, exec_lo
	s_or_b32 s6, s6, s10
	s_and_not1_b32 exec_lo, exec_lo, s1
	s_cbranch_execz .LBB92_103
.LBB92_101:                             ; =>This Inner Loop Header: Depth=1
	s_or_b32 s8, s8, exec_lo
	s_or_b32 s9, s9, exec_lo
	s_mov_b32 s10, exec_lo
	s_delay_alu instid0(VALU_DEP_1)
	v_cmpx_lt_u64_e64 v[2:3], v[4:5]
	s_cbranch_execz .LBB92_100
; %bb.102:                              ;   in Loop: Header=BB92_101 Depth=1
	s_wait_loadcnt 0x0
	global_load_b128 v[6:9], v[2:3], off offset:-8
	s_wait_xcnt 0x0
	v_add_nc_u64_e32 v[2:3], 8, v[2:3]
	s_and_not1_b32 s9, s9, exec_lo
	s_and_not1_b32 s8, s8, exec_lo
	s_wait_loadcnt 0x0
	v_cmp_ge_i64_e32 vcc_lo, v[6:7], v[8:9]
	s_or_b32 s11, s7, vcc_lo
	s_delay_alu instid0(SALU_CYCLE_1) | instskip(NEXT) | instid1(SALU_CYCLE_1)
	s_and_b32 s11, s11, exec_lo
	s_or_b32 s9, s9, s11
	s_branch .LBB92_100
.LBB92_103:
	s_or_b32 exec_lo, exec_lo, s1
	s_delay_alu instid0(SALU_CYCLE_1) | instskip(SKIP_1) | instid1(SALU_CYCLE_1)
	s_and_not1_b32 s1, s35, exec_lo
	s_and_b32 s6, s6, exec_lo
	s_or_b32 s1, s1, s6
.LBB92_104:
	s_or_b32 exec_lo, exec_lo, s0
	s_delay_alu instid0(SALU_CYCLE_1)
	s_and_not1_b32 s0, s35, exec_lo
	s_and_b32 s1, s1, exec_lo
	s_or_b32 s20, s20, exec_lo
	s_or_b32 s35, s0, s1
	s_or_b32 exec_lo, exec_lo, s22
	s_and_saveexec_b32 s0, s35
	s_cbranch_execz .LBB92_86
.LBB92_105:
	s_and_not1_b32 s20, s20, exec_lo
	s_or_b32 s21, s21, exec_lo
	s_trap 2
	s_or_b32 exec_lo, exec_lo, s0
	s_and_saveexec_b32 s0, s21
	s_delay_alu instid0(SALU_CYCLE_1)
	s_xor_b32 s0, exec_lo, s0
	s_cbranch_execz .LBB92_87
.LBB92_106:
	; divergent unreachable
	s_or_b32 exec_lo, exec_lo, s0
	s_and_saveexec_b32 s0, s20
	s_delay_alu instid0(SALU_CYCLE_1)
	s_xor_b32 s0, exec_lo, s0
	s_cbranch_execz .LBB92_88
.LBB92_107:
	s_and_saveexec_b32 s0, s2
	s_delay_alu instid0(SALU_CYCLE_1)
	s_xor_b32 s0, exec_lo, s0
	s_cbranch_execnz .LBB92_111
; %bb.108:
	s_or_b32 exec_lo, exec_lo, s0
	s_delay_alu instid0(SALU_CYCLE_1)
	s_mov_b32 s0, exec_lo
	v_cmpx_gt_i32_e64 s30, v0
	s_cbranch_execnz .LBB92_112
.LBB92_109:
	s_or_b32 exec_lo, exec_lo, s0
	s_delay_alu instid0(SALU_CYCLE_1)
	s_mov_b32 s0, exec_lo
	v_cmpx_gt_i32_e64 s30, v0
	s_cbranch_execnz .LBB92_113
.LBB92_110:
	s_or_b32 exec_lo, exec_lo, s0
	s_delay_alu instid0(SALU_CYCLE_1)
	s_mov_b32 s0, exec_lo
	v_cmpx_gt_i32_e64 s30, v0
	s_cbranch_execz .LBB92_88
	s_branch .LBB92_114
.LBB92_111:
	s_wait_loadcnt 0x4
	v_mov_b64_e32 v[2:3], 0
	s_wait_loadcnt 0x1
	v_dual_mov_b32 v0, v1 :: v_dual_bitop2_b32 v4, s3, v0 bitop3:0x54
	global_store_b64 v4, v[2:3], s[4:5] scale_offset
	s_wait_xcnt 0x0
	s_or_b32 exec_lo, exec_lo, s0
	s_delay_alu instid0(SALU_CYCLE_1)
	s_mov_b32 s0, exec_lo
	v_cmpx_gt_i32_e64 s30, v0
	s_cbranch_execz .LBB92_109
.LBB92_112:
	v_add_nc_u32_e32 v1, 0x100, v0
	s_wait_loadcnt 0x4
	v_mov_b64_e32 v[2:3], 0
	s_wait_loadcnt 0x1
	s_delay_alu instid0(VALU_DEP_2) | instskip(SKIP_3) | instid1(SALU_CYCLE_1)
	v_dual_add_nc_u32 v4, s3, v0 :: v_dual_mov_b32 v0, v1
	global_store_b64 v4, v[2:3], s[4:5] scale_offset
	s_wait_xcnt 0x0
	s_or_b32 exec_lo, exec_lo, s0
	s_mov_b32 s0, exec_lo
	v_cmpx_gt_i32_e64 s30, v0
	s_cbranch_execz .LBB92_110
.LBB92_113:
	v_add_nc_u32_e32 v1, 0x100, v0
	s_wait_loadcnt 0x4
	v_mov_b64_e32 v[2:3], 0
	s_wait_loadcnt 0x1
	s_delay_alu instid0(VALU_DEP_2) | instskip(SKIP_3) | instid1(SALU_CYCLE_1)
	v_dual_add_nc_u32 v4, s3, v0 :: v_dual_mov_b32 v0, v1
	global_store_b64 v4, v[2:3], s[4:5] scale_offset
	s_wait_xcnt 0x0
	s_or_b32 exec_lo, exec_lo, s0
	s_mov_b32 s0, exec_lo
	v_cmpx_gt_i32_e64 s30, v0
	s_cbranch_execz .LBB92_88
.LBB92_114:
	s_wait_loadcnt 0x4
	v_mov_b64_e32 v[2:3], 0
	v_add_nc_u32_e32 v0, s3, v0
	global_store_b64 v0, v[2:3], s[4:5] scale_offset
	s_endpgm
.LBB92_115:
	s_mov_b32 s21, exec_lo
	s_and_not1_b32 s41, s41, exec_lo
	s_trap 2
	s_or_b32 exec_lo, exec_lo, s1
	s_and_saveexec_b32 s1, s41
	s_delay_alu instid0(SALU_CYCLE_1)
	s_xor_b32 s1, exec_lo, s1
	s_cbranch_execz .LBB92_81
.LBB92_116:
	s_wait_loadcnt 0x2
	v_cmp_ne_u64_e32 vcc_lo, s[12:13], v[6:7]
	s_xor_b32 s8, s34, -1
	s_and_not1_b32 s9, s38, exec_lo
	s_mov_b32 s0, exec_lo
	s_or_b32 s8, s8, vcc_lo
	s_delay_alu instid0(SALU_CYCLE_1) | instskip(NEXT) | instid1(SALU_CYCLE_1)
	s_and_b32 s8, s8, exec_lo
	s_or_b32 s38, s9, s8
	s_or_b32 exec_lo, exec_lo, s1
	s_and_saveexec_b32 s1, s38
	s_cbranch_execz .LBB92_82
.LBB92_117:
	s_or_b32 s21, s21, exec_lo
	s_and_not1_b32 s0, s0, exec_lo
	s_trap 2
	s_branch .LBB92_82
	.section	.rodata,"a",@progbits
	.p2align	6, 0x0
	.amdhsa_kernel _ZN2at6native27unrolled_elementwise_kernelIZZZNS0_12_GLOBAL__N_142_validate_compressed_sparse_indices_kernelILNS2_8CDimNameE1ENS2_18CUDAKernelLauncherENS2_14EmptyVecKernelENS2_8DummyVecELm8EEEvRKNS_6TensorESA_lllENKUlvE1_clEvENKUlvE0_clEvEUllllllE_St5arrayIPcLm6EELi4E23TrivialOffsetCalculatorILi5EjESH_ILi1EjENS0_6memory15LoadWithoutCastENSK_16StoreWithoutCastEEEviT_T0_T2_T3_T4_T5_
		.amdhsa_group_segment_fixed_size 0
		.amdhsa_private_segment_fixed_size 0
		.amdhsa_kernarg_size 228
		.amdhsa_user_sgpr_count 2
		.amdhsa_user_sgpr_dispatch_ptr 0
		.amdhsa_user_sgpr_queue_ptr 0
		.amdhsa_user_sgpr_kernarg_segment_ptr 1
		.amdhsa_user_sgpr_dispatch_id 0
		.amdhsa_user_sgpr_kernarg_preload_length 0
		.amdhsa_user_sgpr_kernarg_preload_offset 0
		.amdhsa_user_sgpr_private_segment_size 0
		.amdhsa_wavefront_size32 1
		.amdhsa_uses_dynamic_stack 0
		.amdhsa_enable_private_segment 0
		.amdhsa_system_sgpr_workgroup_id_x 1
		.amdhsa_system_sgpr_workgroup_id_y 0
		.amdhsa_system_sgpr_workgroup_id_z 0
		.amdhsa_system_sgpr_workgroup_info 0
		.amdhsa_system_vgpr_workitem_id 0
		.amdhsa_next_free_vgpr 56
		.amdhsa_next_free_sgpr 63
		.amdhsa_named_barrier_count 0
		.amdhsa_reserve_vcc 1
		.amdhsa_float_round_mode_32 0
		.amdhsa_float_round_mode_16_64 0
		.amdhsa_float_denorm_mode_32 3
		.amdhsa_float_denorm_mode_16_64 3
		.amdhsa_fp16_overflow 0
		.amdhsa_memory_ordered 1
		.amdhsa_forward_progress 1
		.amdhsa_inst_pref_size 57
		.amdhsa_round_robin_scheduling 0
		.amdhsa_exception_fp_ieee_invalid_op 0
		.amdhsa_exception_fp_denorm_src 0
		.amdhsa_exception_fp_ieee_div_zero 0
		.amdhsa_exception_fp_ieee_overflow 0
		.amdhsa_exception_fp_ieee_underflow 0
		.amdhsa_exception_fp_ieee_inexact 0
		.amdhsa_exception_int_div_zero 0
	.end_amdhsa_kernel
	.section	.text._ZN2at6native27unrolled_elementwise_kernelIZZZNS0_12_GLOBAL__N_142_validate_compressed_sparse_indices_kernelILNS2_8CDimNameE1ENS2_18CUDAKernelLauncherENS2_14EmptyVecKernelENS2_8DummyVecELm8EEEvRKNS_6TensorESA_lllENKUlvE1_clEvENKUlvE0_clEvEUllllllE_St5arrayIPcLm6EELi4E23TrivialOffsetCalculatorILi5EjESH_ILi1EjENS0_6memory15LoadWithoutCastENSK_16StoreWithoutCastEEEviT_T0_T2_T3_T4_T5_,"axG",@progbits,_ZN2at6native27unrolled_elementwise_kernelIZZZNS0_12_GLOBAL__N_142_validate_compressed_sparse_indices_kernelILNS2_8CDimNameE1ENS2_18CUDAKernelLauncherENS2_14EmptyVecKernelENS2_8DummyVecELm8EEEvRKNS_6TensorESA_lllENKUlvE1_clEvENKUlvE0_clEvEUllllllE_St5arrayIPcLm6EELi4E23TrivialOffsetCalculatorILi5EjESH_ILi1EjENS0_6memory15LoadWithoutCastENSK_16StoreWithoutCastEEEviT_T0_T2_T3_T4_T5_,comdat
.Lfunc_end92:
	.size	_ZN2at6native27unrolled_elementwise_kernelIZZZNS0_12_GLOBAL__N_142_validate_compressed_sparse_indices_kernelILNS2_8CDimNameE1ENS2_18CUDAKernelLauncherENS2_14EmptyVecKernelENS2_8DummyVecELm8EEEvRKNS_6TensorESA_lllENKUlvE1_clEvENKUlvE0_clEvEUllllllE_St5arrayIPcLm6EELi4E23TrivialOffsetCalculatorILi5EjESH_ILi1EjENS0_6memory15LoadWithoutCastENSK_16StoreWithoutCastEEEviT_T0_T2_T3_T4_T5_, .Lfunc_end92-_ZN2at6native27unrolled_elementwise_kernelIZZZNS0_12_GLOBAL__N_142_validate_compressed_sparse_indices_kernelILNS2_8CDimNameE1ENS2_18CUDAKernelLauncherENS2_14EmptyVecKernelENS2_8DummyVecELm8EEEvRKNS_6TensorESA_lllENKUlvE1_clEvENKUlvE0_clEvEUllllllE_St5arrayIPcLm6EELi4E23TrivialOffsetCalculatorILi5EjESH_ILi1EjENS0_6memory15LoadWithoutCastENSK_16StoreWithoutCastEEEviT_T0_T2_T3_T4_T5_
                                        ; -- End function
	.set _ZN2at6native27unrolled_elementwise_kernelIZZZNS0_12_GLOBAL__N_142_validate_compressed_sparse_indices_kernelILNS2_8CDimNameE1ENS2_18CUDAKernelLauncherENS2_14EmptyVecKernelENS2_8DummyVecELm8EEEvRKNS_6TensorESA_lllENKUlvE1_clEvENKUlvE0_clEvEUllllllE_St5arrayIPcLm6EELi4E23TrivialOffsetCalculatorILi5EjESH_ILi1EjENS0_6memory15LoadWithoutCastENSK_16StoreWithoutCastEEEviT_T0_T2_T3_T4_T5_.num_vgpr, 56
	.set _ZN2at6native27unrolled_elementwise_kernelIZZZNS0_12_GLOBAL__N_142_validate_compressed_sparse_indices_kernelILNS2_8CDimNameE1ENS2_18CUDAKernelLauncherENS2_14EmptyVecKernelENS2_8DummyVecELm8EEEvRKNS_6TensorESA_lllENKUlvE1_clEvENKUlvE0_clEvEUllllllE_St5arrayIPcLm6EELi4E23TrivialOffsetCalculatorILi5EjESH_ILi1EjENS0_6memory15LoadWithoutCastENSK_16StoreWithoutCastEEEviT_T0_T2_T3_T4_T5_.num_agpr, 0
	.set _ZN2at6native27unrolled_elementwise_kernelIZZZNS0_12_GLOBAL__N_142_validate_compressed_sparse_indices_kernelILNS2_8CDimNameE1ENS2_18CUDAKernelLauncherENS2_14EmptyVecKernelENS2_8DummyVecELm8EEEvRKNS_6TensorESA_lllENKUlvE1_clEvENKUlvE0_clEvEUllllllE_St5arrayIPcLm6EELi4E23TrivialOffsetCalculatorILi5EjESH_ILi1EjENS0_6memory15LoadWithoutCastENSK_16StoreWithoutCastEEEviT_T0_T2_T3_T4_T5_.numbered_sgpr, 63
	.set _ZN2at6native27unrolled_elementwise_kernelIZZZNS0_12_GLOBAL__N_142_validate_compressed_sparse_indices_kernelILNS2_8CDimNameE1ENS2_18CUDAKernelLauncherENS2_14EmptyVecKernelENS2_8DummyVecELm8EEEvRKNS_6TensorESA_lllENKUlvE1_clEvENKUlvE0_clEvEUllllllE_St5arrayIPcLm6EELi4E23TrivialOffsetCalculatorILi5EjESH_ILi1EjENS0_6memory15LoadWithoutCastENSK_16StoreWithoutCastEEEviT_T0_T2_T3_T4_T5_.num_named_barrier, 0
	.set _ZN2at6native27unrolled_elementwise_kernelIZZZNS0_12_GLOBAL__N_142_validate_compressed_sparse_indices_kernelILNS2_8CDimNameE1ENS2_18CUDAKernelLauncherENS2_14EmptyVecKernelENS2_8DummyVecELm8EEEvRKNS_6TensorESA_lllENKUlvE1_clEvENKUlvE0_clEvEUllllllE_St5arrayIPcLm6EELi4E23TrivialOffsetCalculatorILi5EjESH_ILi1EjENS0_6memory15LoadWithoutCastENSK_16StoreWithoutCastEEEviT_T0_T2_T3_T4_T5_.private_seg_size, 0
	.set _ZN2at6native27unrolled_elementwise_kernelIZZZNS0_12_GLOBAL__N_142_validate_compressed_sparse_indices_kernelILNS2_8CDimNameE1ENS2_18CUDAKernelLauncherENS2_14EmptyVecKernelENS2_8DummyVecELm8EEEvRKNS_6TensorESA_lllENKUlvE1_clEvENKUlvE0_clEvEUllllllE_St5arrayIPcLm6EELi4E23TrivialOffsetCalculatorILi5EjESH_ILi1EjENS0_6memory15LoadWithoutCastENSK_16StoreWithoutCastEEEviT_T0_T2_T3_T4_T5_.uses_vcc, 1
	.set _ZN2at6native27unrolled_elementwise_kernelIZZZNS0_12_GLOBAL__N_142_validate_compressed_sparse_indices_kernelILNS2_8CDimNameE1ENS2_18CUDAKernelLauncherENS2_14EmptyVecKernelENS2_8DummyVecELm8EEEvRKNS_6TensorESA_lllENKUlvE1_clEvENKUlvE0_clEvEUllllllE_St5arrayIPcLm6EELi4E23TrivialOffsetCalculatorILi5EjESH_ILi1EjENS0_6memory15LoadWithoutCastENSK_16StoreWithoutCastEEEviT_T0_T2_T3_T4_T5_.uses_flat_scratch, 0
	.set _ZN2at6native27unrolled_elementwise_kernelIZZZNS0_12_GLOBAL__N_142_validate_compressed_sparse_indices_kernelILNS2_8CDimNameE1ENS2_18CUDAKernelLauncherENS2_14EmptyVecKernelENS2_8DummyVecELm8EEEvRKNS_6TensorESA_lllENKUlvE1_clEvENKUlvE0_clEvEUllllllE_St5arrayIPcLm6EELi4E23TrivialOffsetCalculatorILi5EjESH_ILi1EjENS0_6memory15LoadWithoutCastENSK_16StoreWithoutCastEEEviT_T0_T2_T3_T4_T5_.has_dyn_sized_stack, 0
	.set _ZN2at6native27unrolled_elementwise_kernelIZZZNS0_12_GLOBAL__N_142_validate_compressed_sparse_indices_kernelILNS2_8CDimNameE1ENS2_18CUDAKernelLauncherENS2_14EmptyVecKernelENS2_8DummyVecELm8EEEvRKNS_6TensorESA_lllENKUlvE1_clEvENKUlvE0_clEvEUllllllE_St5arrayIPcLm6EELi4E23TrivialOffsetCalculatorILi5EjESH_ILi1EjENS0_6memory15LoadWithoutCastENSK_16StoreWithoutCastEEEviT_T0_T2_T3_T4_T5_.has_recursion, 0
	.set _ZN2at6native27unrolled_elementwise_kernelIZZZNS0_12_GLOBAL__N_142_validate_compressed_sparse_indices_kernelILNS2_8CDimNameE1ENS2_18CUDAKernelLauncherENS2_14EmptyVecKernelENS2_8DummyVecELm8EEEvRKNS_6TensorESA_lllENKUlvE1_clEvENKUlvE0_clEvEUllllllE_St5arrayIPcLm6EELi4E23TrivialOffsetCalculatorILi5EjESH_ILi1EjENS0_6memory15LoadWithoutCastENSK_16StoreWithoutCastEEEviT_T0_T2_T3_T4_T5_.has_indirect_call, 0
	.section	.AMDGPU.csdata,"",@progbits
; Kernel info:
; codeLenInByte = 7172
; TotalNumSgprs: 65
; NumVgprs: 56
; ScratchSize: 0
; MemoryBound: 0
; FloatMode: 240
; IeeeMode: 1
; LDSByteSize: 0 bytes/workgroup (compile time only)
; SGPRBlocks: 0
; VGPRBlocks: 3
; NumSGPRsForWavesPerEU: 65
; NumVGPRsForWavesPerEU: 56
; NamedBarCnt: 0
; Occupancy: 16
; WaveLimiterHint : 1
; COMPUTE_PGM_RSRC2:SCRATCH_EN: 0
; COMPUTE_PGM_RSRC2:USER_SGPR: 2
; COMPUTE_PGM_RSRC2:TRAP_HANDLER: 0
; COMPUTE_PGM_RSRC2:TGID_X_EN: 1
; COMPUTE_PGM_RSRC2:TGID_Y_EN: 0
; COMPUTE_PGM_RSRC2:TGID_Z_EN: 0
; COMPUTE_PGM_RSRC2:TIDIG_COMP_CNT: 0
	.section	.text._ZN2at6native32elementwise_kernel_manual_unrollILi128ELi4EZNS0_22gpu_kernel_impl_nocastIZZZNS0_12_GLOBAL__N_142_validate_compressed_sparse_indices_kernelILNS3_8CDimNameE1ENS3_18CUDAKernelLauncherENS3_14EmptyVecKernelENS3_8DummyVecELm8EEEvRKNS_6TensorESB_lllENKUlvE1_clEvENKUlvE0_clEvEUllllllE_EEvRNS_18TensorIteratorBaseERKT_EUlibE_EEviT1_,"axG",@progbits,_ZN2at6native32elementwise_kernel_manual_unrollILi128ELi4EZNS0_22gpu_kernel_impl_nocastIZZZNS0_12_GLOBAL__N_142_validate_compressed_sparse_indices_kernelILNS3_8CDimNameE1ENS3_18CUDAKernelLauncherENS3_14EmptyVecKernelENS3_8DummyVecELm8EEEvRKNS_6TensorESB_lllENKUlvE1_clEvENKUlvE0_clEvEUllllllE_EEvRNS_18TensorIteratorBaseERKT_EUlibE_EEviT1_,comdat
	.globl	_ZN2at6native32elementwise_kernel_manual_unrollILi128ELi4EZNS0_22gpu_kernel_impl_nocastIZZZNS0_12_GLOBAL__N_142_validate_compressed_sparse_indices_kernelILNS3_8CDimNameE1ENS3_18CUDAKernelLauncherENS3_14EmptyVecKernelENS3_8DummyVecELm8EEEvRKNS_6TensorESB_lllENKUlvE1_clEvENKUlvE0_clEvEUllllllE_EEvRNS_18TensorIteratorBaseERKT_EUlibE_EEviT1_ ; -- Begin function _ZN2at6native32elementwise_kernel_manual_unrollILi128ELi4EZNS0_22gpu_kernel_impl_nocastIZZZNS0_12_GLOBAL__N_142_validate_compressed_sparse_indices_kernelILNS3_8CDimNameE1ENS3_18CUDAKernelLauncherENS3_14EmptyVecKernelENS3_8DummyVecELm8EEEvRKNS_6TensorESB_lllENKUlvE1_clEvENKUlvE0_clEvEUllllllE_EEvRNS_18TensorIteratorBaseERKT_EUlibE_EEviT1_
	.p2align	8
	.type	_ZN2at6native32elementwise_kernel_manual_unrollILi128ELi4EZNS0_22gpu_kernel_impl_nocastIZZZNS0_12_GLOBAL__N_142_validate_compressed_sparse_indices_kernelILNS3_8CDimNameE1ENS3_18CUDAKernelLauncherENS3_14EmptyVecKernelENS3_8DummyVecELm8EEEvRKNS_6TensorESB_lllENKUlvE1_clEvENKUlvE0_clEvEUllllllE_EEvRNS_18TensorIteratorBaseERKT_EUlibE_EEviT1_,@function
_ZN2at6native32elementwise_kernel_manual_unrollILi128ELi4EZNS0_22gpu_kernel_impl_nocastIZZZNS0_12_GLOBAL__N_142_validate_compressed_sparse_indices_kernelILNS3_8CDimNameE1ENS3_18CUDAKernelLauncherENS3_14EmptyVecKernelENS3_8DummyVecELm8EEEvRKNS_6TensorESB_lllENKUlvE1_clEvENKUlvE0_clEvEUllllllE_EEvRNS_18TensorIteratorBaseERKT_EUlibE_EEviT1_: ; @_ZN2at6native32elementwise_kernel_manual_unrollILi128ELi4EZNS0_22gpu_kernel_impl_nocastIZZZNS0_12_GLOBAL__N_142_validate_compressed_sparse_indices_kernelILNS3_8CDimNameE1ENS3_18CUDAKernelLauncherENS3_14EmptyVecKernelENS3_8DummyVecELm8EEEvRKNS_6TensorESB_lllENKUlvE1_clEvENKUlvE0_clEvEUllllllE_EEvRNS_18TensorIteratorBaseERKT_EUlibE_EEviT1_
; %bb.0:
	s_clause 0x1
	s_load_b32 s33, s[0:1], 0x8
	s_load_b32 s74, s[0:1], 0x0
	s_bfe_u32 s2, ttmp6, 0x4000c
	s_and_b32 s3, ttmp6, 15
	s_add_co_i32 s2, s2, 1
	s_getreg_b32 s4, hwreg(HW_REG_IB_STS2, 6, 4)
	s_mul_i32 s2, ttmp9, s2
	s_mov_b32 s65, 0
	s_add_co_i32 s3, s3, s2
	s_cmp_eq_u32 s4, 0
	s_mov_b32 s47, -1
	s_cselect_b32 s2, ttmp9, s3
	s_mov_b32 s36, 0
	v_lshl_or_b32 v0, s2, 9, v0
	s_add_nc_u64 s[2:3], s[0:1], 8
	s_get_pc_i64 s[34:35]
	s_add_nc_u64 s[34:35], s[34:35], .str.6@rel64+4
	s_wait_xcnt 0x0
	s_mov_b32 s0, exec_lo
	v_or_b32_e32 v2, 0x180, v0
	s_wait_kmcnt 0x0
	s_add_co_i32 s64, s33, -1
	s_delay_alu instid0(SALU_CYCLE_1)
	s_cmp_gt_u32 s64, 1
	s_cselect_b32 s66, -1, 0
	v_cmpx_le_i32_e64 s74, v2
	s_xor_b32 s67, exec_lo, s0
	s_cbranch_execz .LBB93_137
; %bb.1:
	s_load_b128 s[28:31], s[2:3], 0x288
	s_cmp_lg_u32 s33, 0
	s_clause 0x1
	s_load_b128 s[40:43], s[2:3], 0x4
	s_load_b64 s[0:1], s[2:3], 0x14
	s_cselect_b32 s75, -1, 0
	s_min_u32 s72, s64, 15
	s_cmp_gt_u32 s33, 1
	s_get_pc_i64 s[44:45]
	s_add_nc_u64 s[44:45], s[44:45], .str.7@rel64+4
	s_cselect_b32 s71, -1, 0
	s_cmp_lg_u64 s[34:35], 0
	s_clause 0x2
	s_load_b128 s[36:39], s[2:3], 0xe4
	s_load_b256 s[20:27], s[2:3], 0xc4
	s_load_b512 s[4:19], s[2:3], 0x248
	s_cselect_b32 s70, -1, 0
	s_cmp_lg_u64 s[44:45], 0
	s_load_b64 s[44:45], s[2:3], 0x318
	s_get_pc_i64 s[48:49]
	s_add_nc_u64 s[48:49], s[48:49], .str.8@rel64+4
	s_cselect_b32 s69, -1, 0
	s_cmp_lg_u64 s[48:49], 0
	s_get_pc_i64 s[52:53]
	s_add_nc_u64 s[52:53], s[52:53], .str.9@rel64+4
	s_cselect_b32 s68, -1, 0
	s_mov_b32 s49, 0
	s_wait_kmcnt 0x0
	s_add_co_i32 s46, s30, -1
	s_mov_b32 s48, s41
	s_cmp_gt_i32 s46, -1
	s_mov_b32 s50, s0
	s_cselect_b32 s41, -1, 0
	s_cmp_lg_u64 s[52:53], 0
	s_mov_b32 s51, s49
	s_cselect_b32 s31, -1, 0
	s_mov_b32 s78, s49
	s_mov_b32 s77, s49
	;; [unrolled: 1-line block ×4, first 2 shown]
	s_mov_b32 s79, exec_lo
	v_cmpx_gt_i32_e64 s74, v0
	s_cbranch_execz .LBB93_35
; %bb.2:
	s_and_not1_b32 vcc_lo, exec_lo, s66
	s_cbranch_vccnz .LBB93_8
; %bb.3:
	s_and_not1_b32 vcc_lo, exec_lo, s75
	s_cbranch_vccnz .LBB93_9
; %bb.4:
	v_dual_mov_b32 v6, 0 :: v_dual_mov_b32 v1, v0
	v_dual_mov_b32 v8, 0 :: v_dual_mov_b32 v5, 0
	;; [unrolled: 1-line block ×3, first 2 shown]
	v_mov_b32_e32 v7, 0
	s_add_co_i32 s0, s72, 1
	s_mov_b64 s[52:53], 0xffffffffffffffd0
	s_and_b32 s0, s0, 30
	s_add_nc_u64 s[52:53], s[2:3], s[52:53]
	s_mov_b64 s[54:55], s[2:3]
.LBB93_5:                               ; =>This Inner Loop Header: Depth=1
	s_clause 0x1
	s_load_b128 s[80:83], s[54:55], 0x4
	s_load_b64 s[76:77], s[54:55], 0x14
	s_clause 0x1
	s_load_b256 s[56:63], s[52:53], 0xf4
	s_load_b128 s[84:87], s[52:53], 0x114
	s_add_co_i32 s0, s0, -2
	s_wait_xcnt 0x0
	s_add_nc_u64 s[54:55], s[54:55], 24
	s_cmp_lg_u32 s0, 0
	s_add_nc_u64 s[52:53], s[52:53], 48
	s_wait_kmcnt 0x0
	v_mul_hi_u32 v2, s81, v1
	s_delay_alu instid0(VALU_DEP_1) | instskip(NEXT) | instid1(VALU_DEP_1)
	v_add_nc_u32_e32 v2, v1, v2
	v_lshrrev_b32_e32 v2, s82, v2
	s_delay_alu instid0(VALU_DEP_1) | instskip(SKIP_1) | instid1(VALU_DEP_1)
	v_mul_hi_u32 v3, s76, v2
	v_mul_lo_u32 v9, v2, s80
	v_dual_add_nc_u32 v3, v2, v3 :: v_dual_sub_nc_u32 v9, v1, v9
	s_delay_alu instid0(VALU_DEP_1) | instskip(NEXT) | instid1(VALU_DEP_2)
	v_lshrrev_b32_e32 v1, s77, v3
	v_mad_u32 v3, v9, s57, v7
	v_mad_u32 v10, v9, s56, v14
	;; [unrolled: 1-line block ×4, first 2 shown]
	v_mul_lo_u32 v7, v1, s83
	v_mad_u32 v8, s61, v9, v8
	v_mad_u32 v6, s60, v9, v6
	s_delay_alu instid0(VALU_DEP_3) | instskip(NEXT) | instid1(VALU_DEP_1)
	v_sub_nc_u32_e32 v2, v2, v7
	v_mad_u32 v7, v2, s63, v3
	v_mad_u32 v14, v2, s62, v10
	;; [unrolled: 1-line block ×6, first 2 shown]
	s_cbranch_scc1 .LBB93_5
; %bb.6:
	s_bitcmp1_b32 s72, 0
	s_cselect_b32 s0, -1, 0
	s_delay_alu instid0(SALU_CYCLE_1)
	s_and_b32 vcc_lo, exec_lo, s0
	s_cbranch_vccnz .LBB93_10
; %bb.7:
	s_load_b96 s[60:62], s[54:55], 0x4
	s_load_b128 s[56:59], s[52:53], 0xf4
	s_wait_xcnt 0x0
	s_load_b64 s[54:55], s[52:53], 0x104
	s_wait_kmcnt 0x0
	v_mul_hi_u32 v2, s61, v1
	s_delay_alu instid0(VALU_DEP_1) | instskip(NEXT) | instid1(VALU_DEP_1)
	v_add_nc_u32_e32 v2, v1, v2
	v_lshrrev_b32_e32 v2, s62, v2
	s_delay_alu instid0(VALU_DEP_1) | instskip(NEXT) | instid1(VALU_DEP_1)
	v_mul_lo_u32 v2, v2, s60
	v_sub_nc_u32_e32 v1, v1, v2
	s_delay_alu instid0(VALU_DEP_1)
	v_mad_u32 v14, v1, s56, v14
	v_mad_u32 v7, v1, s57, v7
	;; [unrolled: 1-line block ×6, first 2 shown]
	s_cbranch_execz .LBB93_11
	s_branch .LBB93_13
.LBB93_8:
                                        ; implicit-def: $vgpr7
                                        ; implicit-def: $vgpr14
                                        ; implicit-def: $vgpr4
                                        ; implicit-def: $vgpr5
                                        ; implicit-def: $vgpr8
                                        ; implicit-def: $vgpr6
	s_branch .LBB93_11
.LBB93_9:
	v_dual_mov_b32 v7, 0 :: v_dual_mov_b32 v14, 0
	v_dual_mov_b32 v4, 0 :: v_dual_mov_b32 v5, 0
	;; [unrolled: 1-line block ×3, first 2 shown]
.LBB93_10:
	s_cbranch_execnz .LBB93_13
.LBB93_11:
	v_mov_b32_e32 v1, 0
	s_and_not1_b32 vcc_lo, exec_lo, s71
	s_delay_alu instid0(VALU_DEP_1) | instskip(NEXT) | instid1(VALU_DEP_1)
	v_mul_u64_e32 v[2:3], s[48:49], v[0:1]
	v_add_nc_u32_e32 v2, v0, v3
	s_delay_alu instid0(VALU_DEP_1) | instskip(NEXT) | instid1(VALU_DEP_1)
	v_lshrrev_b32_e32 v2, s42, v2
	v_mul_lo_u32 v3, v2, s40
	s_delay_alu instid0(VALU_DEP_1) | instskip(NEXT) | instid1(VALU_DEP_1)
	v_sub_nc_u32_e32 v3, v0, v3
	v_mul_lo_u32 v7, v3, s21
	v_mul_lo_u32 v14, v3, s20
	;; [unrolled: 1-line block ×6, first 2 shown]
	s_cbranch_vccnz .LBB93_13
; %bb.12:
	v_mov_b32_e32 v3, v1
	s_delay_alu instid0(VALU_DEP_1) | instskip(NEXT) | instid1(VALU_DEP_1)
	v_mul_u64_e32 v[10:11], s[50:51], v[2:3]
	v_add_nc_u32_e32 v1, v2, v11
	s_delay_alu instid0(VALU_DEP_1) | instskip(NEXT) | instid1(VALU_DEP_1)
	v_lshrrev_b32_e32 v1, s1, v1
	v_mul_lo_u32 v1, v1, s43
	s_delay_alu instid0(VALU_DEP_1) | instskip(NEXT) | instid1(VALU_DEP_1)
	v_sub_nc_u32_e32 v1, v2, v1
	v_mad_u32 v14, v1, s26, v14
	v_mad_u32 v7, v1, s27, v7
	;; [unrolled: 1-line block ×6, first 2 shown]
.LBB93_13:
	global_load_b64 v[2:3], v7, s[6:7]
	s_mov_b32 s47, -1
	s_mov_b32 s0, 0
	s_mov_b32 s52, 0
	;; [unrolled: 1-line block ×4, first 2 shown]
	s_wait_loadcnt 0x0
	v_cmp_eq_u64_e32 vcc_lo, s[16:17], v[2:3]
	s_and_b32 s55, s70, vcc_lo
	s_delay_alu instid0(SALU_CYCLE_1)
	s_and_saveexec_b32 s73, s55
	s_cbranch_execz .LBB93_34
; %bb.14:
	global_load_b64 v[2:3], v5, s[8:9]
	s_wait_loadcnt 0x0
	v_cmp_eq_u64_e32 vcc_lo, s[28:29], v[2:3]
	s_and_b32 s54, s69, vcc_lo
	s_delay_alu instid0(SALU_CYCLE_1)
	s_and_saveexec_b32 s76, s54
	s_cbranch_execz .LBB93_33
; %bb.15:
	global_load_b64 v[4:5], v4, s[10:11]
	global_load_b64 v[2:3], v6, s[12:13]
	s_wait_loadcnt 0x0
	v_sub_nc_u64_e32 v[6:7], v[2:3], v[4:5]
	s_delay_alu instid0(VALU_DEP_1)
	v_cmp_le_i64_e32 vcc_lo, s[16:17], v[6:7]
	v_cmp_ge_i64_e64 s0, s[18:19], v[6:7]
	s_and_b32 s52, vcc_lo, s0
	s_mov_b32 s0, 0
	s_and_b32 s53, s68, s52
	s_mov_b32 s52, 0
	s_and_saveexec_b32 s77, s53
	s_cbranch_execz .LBB93_32
; %bb.16:
	v_cmp_lt_i64_e64 s0, s[28:29], 1
	v_mov_b64_e32 v[6:7], 0
	s_xor_b32 s47, s41, -1
	s_delay_alu instid0(SALU_CYCLE_1) | instskip(NEXT) | instid1(SALU_CYCLE_1)
	s_or_b32 s0, s0, s47
	s_and_b32 vcc_lo, exec_lo, s0
	s_cbranch_vccnz .LBB93_23
; %bb.17:
	global_load_b64 v[6:7], v8, s[14:15]
	s_mov_b32 s53, 0
	s_wait_xcnt 0x0
	v_mov_b32_e32 v8, 0
	s_mov_b32 s47, s53
	s_mov_b64 s[54:55], 0xffffffff
	s_lshl_b64 s[56:57], s[46:47], 3
	s_mov_b32 s47, s30
	s_add_nc_u64 s[56:57], s[2:3], s[56:57]
	s_delay_alu instid0(SALU_CYCLE_1)
	s_add_nc_u64 s[56:57], s[56:57], 0x298
	s_wait_loadcnt 0x0
	v_mul_u64_e32 v[10:11], s[28:29], v[6:7]
	v_mov_b64_e32 v[6:7], 0
	s_branch .LBB93_19
.LBB93_18:                              ;   in Loop: Header=BB93_19 Depth=1
	s_or_b32 exec_lo, exec_lo, s0
	s_delay_alu instid0(VALU_DEP_1)
	v_mul_u64_e32 v[16:17], s[58:59], v[12:13]
	s_load_b64 s[58:59], s[56:57], 0x40
	s_add_co_i32 s47, s47, -1
	s_wait_xcnt 0x0
	s_add_nc_u64 s[56:57], s[56:57], -8
	s_cmp_eq_u32 s47, 0
	s_delay_alu instid0(VALU_DEP_1) | instskip(SKIP_1) | instid1(VALU_DEP_1)
	v_sub_nc_u64_e32 v[10:11], v[10:11], v[16:17]
	s_wait_kmcnt 0x0
	v_mad_nc_u64_u32 v[6:7], v10, s58, v[6:7]
	s_delay_alu instid0(VALU_DEP_1) | instskip(NEXT) | instid1(VALU_DEP_1)
	v_mad_u32 v1, v11, s58, v7
	v_mad_u32 v7, v10, s59, v1
	v_mov_b64_e32 v[10:11], v[12:13]
	s_cbranch_scc1 .LBB93_23
.LBB93_19:                              ; =>This Inner Loop Header: Depth=1
	s_load_b64 s[58:59], s[56:57], 0x0
                                        ; implicit-def: $vgpr12_vgpr13
	s_mov_b32 s0, exec_lo
	s_wait_kmcnt 0x0
	s_delay_alu instid0(VALU_DEP_1) | instskip(NEXT) | instid1(VALU_DEP_1)
	v_or_b32_e32 v9, s59, v11
	v_cmpx_ne_u64_e32 0, v[8:9]
	s_xor_b32 s78, exec_lo, s0
	s_cbranch_execz .LBB93_21
; %bb.20:                               ;   in Loop: Header=BB93_19 Depth=1
	s_ashr_i32 s60, s59, 31
	v_dual_mov_b32 v19, v8 :: v_dual_ashrrev_i32 v12, 31, v11
	s_mov_b32 s61, s60
	v_mov_b32_e32 v23, v8
	s_add_nc_u64 s[62:63], s[58:59], s[60:61]
	s_delay_alu instid0(VALU_DEP_2)
	v_mov_b32_e32 v13, v12
	s_xor_b64 s[62:63], s[62:63], s[60:61]
	v_mov_b32_e32 v27, v8
	s_cvt_f32_u32 s0, s62
	s_cvt_f32_u32 s52, s63
	s_sub_nc_u64 s[82:83], 0, s[62:63]
	v_add_nc_u64_e32 v[16:17], v[10:11], v[12:13]
	s_delay_alu instid0(SALU_CYCLE_1) | instskip(NEXT) | instid1(SALU_CYCLE_3)
	s_fmamk_f32 s0, s52, 0x4f800000, s0
	v_s_rcp_f32 s0, s0
	s_delay_alu instid0(VALU_DEP_1) | instskip(NEXT) | instid1(VALU_DEP_2)
	v_xor_b32_e32 v22, v17, v12
	v_xor_b32_e32 v18, v16, v12
	s_delay_alu instid0(TRANS32_DEP_1) | instskip(NEXT) | instid1(SALU_CYCLE_3)
	s_mul_f32 s0, s0, 0x5f7ffffc
	s_mul_f32 s52, s0, 0x2f800000
	s_delay_alu instid0(SALU_CYCLE_3) | instskip(NEXT) | instid1(SALU_CYCLE_3)
	s_trunc_f32 s52, s52
	s_fmamk_f32 s0, s52, 0xcf800000, s0
	s_cvt_u32_f32 s81, s52
	s_delay_alu instid0(SALU_CYCLE_2) | instskip(NEXT) | instid1(SALU_CYCLE_3)
	s_cvt_u32_f32 s80, s0
	s_mul_u64 s[84:85], s[82:83], s[80:81]
	s_delay_alu instid0(SALU_CYCLE_1)
	s_mul_hi_u32 s87, s80, s85
	s_mul_i32 s86, s80, s85
	s_mul_hi_u32 s52, s80, s84
	s_mul_i32 s61, s81, s84
	s_add_nc_u64 s[86:87], s[52:53], s[86:87]
	s_mul_hi_u32 s0, s81, s84
	s_mul_hi_u32 s88, s81, s85
	s_add_co_u32 s52, s86, s61
	s_add_co_ci_u32 s52, s87, s0
	s_mul_i32 s84, s81, s85
	s_add_co_ci_u32 s85, s88, 0
	s_delay_alu instid0(SALU_CYCLE_1) | instskip(NEXT) | instid1(SALU_CYCLE_1)
	s_add_nc_u64 s[84:85], s[52:53], s[84:85]
	s_add_co_u32 s80, s80, s84
	s_cselect_b32 s0, -1, 0
	s_delay_alu instid0(SALU_CYCLE_1) | instskip(SKIP_1) | instid1(SALU_CYCLE_1)
	s_cmp_lg_u32 s0, 0
	s_add_co_ci_u32 s81, s81, s85
	s_mul_u64 s[82:83], s[82:83], s[80:81]
	s_delay_alu instid0(SALU_CYCLE_1)
	s_mul_hi_u32 s85, s80, s83
	s_mul_i32 s84, s80, s83
	s_mul_hi_u32 s52, s80, s82
	s_mul_i32 s61, s81, s82
	s_add_nc_u64 s[84:85], s[52:53], s[84:85]
	s_mul_hi_u32 s0, s81, s82
	s_mul_hi_u32 s86, s81, s83
	s_add_co_u32 s52, s84, s61
	s_add_co_ci_u32 s52, s85, s0
	s_mul_i32 s82, s81, s83
	s_add_co_ci_u32 s83, s86, 0
	s_delay_alu instid0(SALU_CYCLE_1) | instskip(NEXT) | instid1(SALU_CYCLE_1)
	s_add_nc_u64 s[82:83], s[52:53], s[82:83]
	s_add_co_u32 s0, s80, s82
	s_cselect_b32 s52, -1, 0
	v_mul_hi_u32 v26, v18, s0
	s_cmp_lg_u32 s52, 0
	s_add_co_ci_u32 s52, s81, s83
	s_and_b64 s[80:81], s[0:1], s[54:55]
	v_mul_u64_e32 v[20:21], s[52:53], v[18:19]
	v_mul_u64_e32 v[16:17], s[80:81], v[22:23]
	;; [unrolled: 1-line block ×3, first 2 shown]
	s_delay_alu instid0(VALU_DEP_3) | instskip(NEXT) | instid1(VALU_DEP_1)
	v_add_nc_u64_e32 v[20:21], v[26:27], v[20:21]
	v_add_co_u32 v1, vcc_lo, v20, v16
	s_delay_alu instid0(VALU_DEP_2) | instskip(NEXT) | instid1(VALU_DEP_4)
	v_add_co_ci_u32_e32 v26, vcc_lo, v21, v17, vcc_lo
	v_add_co_ci_u32_e32 v25, vcc_lo, 0, v25, vcc_lo
	s_delay_alu instid0(VALU_DEP_1) | instskip(NEXT) | instid1(VALU_DEP_1)
	v_add_nc_u64_e32 v[16:17], v[26:27], v[24:25]
	v_mul_u64_e32 v[20:21], s[62:63], v[16:17]
	s_delay_alu instid0(VALU_DEP_1) | instskip(NEXT) | instid1(VALU_DEP_2)
	v_sub_nc_u32_e32 v1, v22, v21
	v_sub_co_u32 v9, vcc_lo, v18, v20
	s_delay_alu instid0(VALU_DEP_1) | instskip(NEXT) | instid1(VALU_DEP_3)
	v_sub_co_ci_u32_e64 v15, null, v22, v21, vcc_lo
	v_subrev_co_ci_u32_e64 v1, null, s63, v1, vcc_lo
	s_delay_alu instid0(VALU_DEP_3) | instskip(SKIP_1) | instid1(VALU_DEP_3)
	v_sub_co_u32 v13, s0, v9, s62
	v_add_nc_u64_e32 v[20:21], 1, v[16:17]
	v_subrev_co_ci_u32_e64 v1, null, 0, v1, s0
	s_delay_alu instid0(VALU_DEP_3) | instskip(SKIP_1) | instid1(VALU_DEP_3)
	v_cmp_le_u32_e32 vcc_lo, s62, v13
	v_cndmask_b32_e64 v13, 0, -1, vcc_lo
	v_cmp_le_u32_e32 vcc_lo, s63, v1
	v_cndmask_b32_e64 v18, 0, -1, vcc_lo
	;; [unrolled: 2-line block ×4, first 2 shown]
	v_cmp_eq_u32_e32 vcc_lo, s63, v1
	v_cndmask_b32_e32 v1, v18, v13, vcc_lo
	v_cmp_eq_u32_e32 vcc_lo, s63, v15
	v_add_nc_u64_e32 v[18:19], 2, v[16:17]
	v_cndmask_b32_e32 v9, v22, v9, vcc_lo
	s_delay_alu instid0(VALU_DEP_4) | instskip(NEXT) | instid1(VALU_DEP_3)
	v_cmp_ne_u32_e32 vcc_lo, 0, v1
	v_cndmask_b32_e32 v1, v21, v19, vcc_lo
	s_delay_alu instid0(VALU_DEP_3) | instskip(SKIP_1) | instid1(VALU_DEP_2)
	v_cmp_ne_u32_e64 s0, 0, v9
	v_dual_cndmask_b32 v9, v20, v18, vcc_lo :: v_dual_bitop2_b32 v12, s60, v12 bitop3:0x14
	v_cndmask_b32_e64 v1, v17, v1, s0
	s_delay_alu instid0(VALU_DEP_1) | instskip(NEXT) | instid1(VALU_DEP_1)
	v_dual_cndmask_b32 v9, v16, v9, s0 :: v_dual_bitop2_b32 v17, v1, v12 bitop3:0x14
	v_dual_mov_b32 v13, v12 :: v_dual_bitop2_b32 v16, v9, v12 bitop3:0x14
	s_delay_alu instid0(VALU_DEP_1)
	v_sub_nc_u64_e32 v[12:13], v[16:17], v[12:13]
.LBB93_21:                              ;   in Loop: Header=BB93_19 Depth=1
	s_and_not1_saveexec_b32 s0, s78
	s_cbranch_execz .LBB93_18
; %bb.22:                               ;   in Loop: Header=BB93_19 Depth=1
	v_cvt_f32_u32_e32 v1, s58
	s_sub_co_i32 s52, 0, s58
	s_delay_alu instid0(VALU_DEP_1) | instskip(SKIP_1) | instid1(TRANS32_DEP_1)
	v_rcp_iflag_f32_e32 v1, v1
	v_nop
	v_mul_f32_e32 v1, 0x4f7ffffe, v1
	s_delay_alu instid0(VALU_DEP_1) | instskip(NEXT) | instid1(VALU_DEP_1)
	v_cvt_u32_f32_e32 v1, v1
	v_mul_lo_u32 v9, s52, v1
	s_delay_alu instid0(VALU_DEP_1) | instskip(NEXT) | instid1(VALU_DEP_1)
	v_mul_hi_u32 v9, v1, v9
	v_add_nc_u32_e32 v1, v1, v9
	s_delay_alu instid0(VALU_DEP_1) | instskip(NEXT) | instid1(VALU_DEP_1)
	v_mul_hi_u32 v1, v10, v1
	v_mul_lo_u32 v9, v1, s58
	v_add_nc_u32_e32 v12, 1, v1
	s_delay_alu instid0(VALU_DEP_2) | instskip(NEXT) | instid1(VALU_DEP_1)
	v_sub_nc_u32_e32 v9, v10, v9
	v_subrev_nc_u32_e32 v13, s58, v9
	v_cmp_le_u32_e32 vcc_lo, s58, v9
	s_delay_alu instid0(VALU_DEP_2) | instskip(SKIP_1) | instid1(VALU_DEP_2)
	v_dual_cndmask_b32 v9, v9, v13, vcc_lo :: v_dual_mov_b32 v13, v8
	v_cndmask_b32_e32 v1, v1, v12, vcc_lo
	v_cmp_le_u32_e32 vcc_lo, s58, v9
	s_delay_alu instid0(VALU_DEP_2) | instskip(NEXT) | instid1(VALU_DEP_1)
	v_add_nc_u32_e32 v12, 1, v1
	v_cndmask_b32_e32 v12, v1, v12, vcc_lo
	s_branch .LBB93_18
.LBB93_23:
	s_mov_b32 s53, -1
	s_mov_b32 s0, 0
	s_mov_b32 s52, 0
	s_mov_b32 s47, exec_lo
	v_cmpx_gt_i64_e64 v[2:3], v[4:5]
	s_cbranch_execz .LBB93_29
; %bb.24:
	s_delay_alu instid0(VALU_DEP_2) | instskip(SKIP_1) | instid1(VALU_DEP_1)
	v_lshlrev_b64_e32 v[6:7], 3, v[6:7]
	s_xor_b32 s54, s31, -1
                                        ; implicit-def: $sgpr53
                                        ; implicit-def: $sgpr56
                                        ; implicit-def: $sgpr55
	v_lshl_add_u64 v[4:5], v[4:5], 3, v[6:7]
	v_add_nc_u64_e32 v[6:7], s[44:45], v[6:7]
	s_delay_alu instid0(VALU_DEP_2) | instskip(NEXT) | instid1(VALU_DEP_2)
	v_add_nc_u64_e32 v[4:5], s[44:45], v[4:5]
	v_lshl_add_u64 v[2:3], v[2:3], 3, v[6:7]
	s_delay_alu instid0(VALU_DEP_2)
	v_add_nc_u64_e32 v[4:5], 8, v[4:5]
	s_branch .LBB93_26
.LBB93_25:                              ;   in Loop: Header=BB93_26 Depth=1
	s_or_b32 exec_lo, exec_lo, s57
	s_delay_alu instid0(SALU_CYCLE_1) | instskip(NEXT) | instid1(SALU_CYCLE_1)
	s_and_b32 s57, exec_lo, s56
	s_or_b32 s52, s57, s52
	s_and_not1_b32 s53, s53, exec_lo
	s_and_b32 s57, s55, exec_lo
	s_delay_alu instid0(SALU_CYCLE_1)
	s_or_b32 s53, s53, s57
	s_and_not1_b32 exec_lo, exec_lo, s52
	s_cbranch_execz .LBB93_28
.LBB93_26:                              ; =>This Inner Loop Header: Depth=1
	s_or_b32 s55, s55, exec_lo
	s_or_b32 s56, s56, exec_lo
	s_mov_b32 s57, exec_lo
	s_delay_alu instid0(VALU_DEP_1)
	v_cmpx_lt_u64_e64 v[4:5], v[2:3]
	s_cbranch_execz .LBB93_25
; %bb.27:                               ;   in Loop: Header=BB93_26 Depth=1
	global_load_b128 v[6:9], v[4:5], off offset:-8
	s_wait_xcnt 0x0
	v_add_nc_u64_e32 v[4:5], 8, v[4:5]
	s_and_not1_b32 s56, s56, exec_lo
	s_and_not1_b32 s55, s55, exec_lo
	s_wait_loadcnt 0x0
	v_cmp_ge_i64_e32 vcc_lo, v[6:7], v[8:9]
	s_or_b32 s58, s54, vcc_lo
	s_delay_alu instid0(SALU_CYCLE_1) | instskip(NEXT) | instid1(SALU_CYCLE_1)
	s_and_b32 s58, s58, exec_lo
	s_or_b32 s56, s56, s58
	s_branch .LBB93_25
.LBB93_28:
	s_or_b32 exec_lo, exec_lo, s52
	s_delay_alu instid0(SALU_CYCLE_1)
	s_mov_b32 s52, exec_lo
	s_or_not1_b32 s53, s53, exec_lo
.LBB93_29:
	s_or_b32 exec_lo, exec_lo, s47
	s_and_saveexec_b32 s47, s53
	s_cbranch_execz .LBB93_31
; %bb.30:
	v_mov_b64_e32 v[2:3], 0
	v_add_nc_u32_e32 v0, 0x80, v0
	s_mov_b32 s0, exec_lo
	s_and_not1_b32 s52, s52, exec_lo
	global_store_b64 v14, v[2:3], s[4:5]
.LBB93_31:
	s_wait_xcnt 0x0
	s_or_b32 exec_lo, exec_lo, s47
	s_delay_alu instid0(SALU_CYCLE_1)
	s_and_b32 s52, s52, exec_lo
	s_xor_b32 s47, exec_lo, -1
	s_and_b32 s0, s0, exec_lo
.LBB93_32:
	s_or_b32 exec_lo, exec_lo, s77
	s_delay_alu instid0(SALU_CYCLE_1)
	s_and_b32 s53, s52, exec_lo
	s_and_b32 s52, s47, exec_lo
	s_xor_b32 s47, exec_lo, -1
	s_and_b32 s0, s0, exec_lo
.LBB93_33:
	s_or_b32 exec_lo, exec_lo, s76
	s_delay_alu instid0(SALU_CYCLE_1)
	s_and_b32 s54, s53, exec_lo
	s_and_b32 s53, s52, exec_lo
	;; [unrolled: 1-line block ×3, first 2 shown]
	s_xor_b32 s47, exec_lo, -1
	s_and_b32 s0, s0, exec_lo
.LBB93_34:
	s_or_b32 exec_lo, exec_lo, s73
	s_delay_alu instid0(SALU_CYCLE_1)
	s_and_b32 s73, s54, exec_lo
	s_and_b32 s76, s53, exec_lo
	;; [unrolled: 1-line block ×4, first 2 shown]
	s_or_not1_b32 s47, s0, exec_lo
.LBB93_35:
	s_or_b32 exec_lo, exec_lo, s79
                                        ; implicit-def: $vgpr12
                                        ; implicit-def: $vgpr4
                                        ; implicit-def: $vgpr7
                                        ; implicit-def: $vgpr6
                                        ; implicit-def: $vgpr5
	s_and_saveexec_b32 s79, s47
	s_cbranch_execz .LBB93_124
; %bb.36:
	s_mov_b32 s47, -1
	s_mov_b32 s80, s78
	s_mov_b32 s83, s77
	;; [unrolled: 1-line block ×4, first 2 shown]
	s_mov_b32 s84, exec_lo
	v_cmpx_gt_i32_e64 s74, v0
	s_cbranch_execz .LBB93_70
; %bb.37:
	s_and_not1_b32 vcc_lo, exec_lo, s66
	s_cbranch_vccnz .LBB93_43
; %bb.38:
	s_and_not1_b32 vcc_lo, exec_lo, s75
	s_cbranch_vccnz .LBB93_44
; %bb.39:
	v_dual_mov_b32 v6, 0 :: v_dual_mov_b32 v1, v0
	v_dual_mov_b32 v8, 0 :: v_dual_mov_b32 v5, 0
	;; [unrolled: 1-line block ×3, first 2 shown]
	v_mov_b32_e32 v7, 0
	s_add_co_i32 s0, s72, 1
	s_mov_b64 s[52:53], 0xffffffffffffffd0
	s_and_b32 s0, s0, 30
	s_add_nc_u64 s[52:53], s[2:3], s[52:53]
	s_mov_b64 s[54:55], s[2:3]
.LBB93_40:                              ; =>This Inner Loop Header: Depth=1
	s_clause 0x1
	s_load_b128 s[80:83], s[54:55], 0x4
	s_load_b64 s[86:87], s[54:55], 0x14
	s_clause 0x1
	s_load_b256 s[56:63], s[52:53], 0xf4
	s_load_b128 s[88:91], s[52:53], 0x114
	s_add_co_i32 s0, s0, -2
	s_wait_xcnt 0x0
	s_add_nc_u64 s[54:55], s[54:55], 24
	s_cmp_eq_u32 s0, 0
	s_add_nc_u64 s[52:53], s[52:53], 48
	s_wait_kmcnt 0x0
	v_mul_hi_u32 v2, s81, v1
	s_delay_alu instid0(VALU_DEP_1) | instskip(NEXT) | instid1(VALU_DEP_1)
	v_add_nc_u32_e32 v2, v1, v2
	v_lshrrev_b32_e32 v2, s82, v2
	s_delay_alu instid0(VALU_DEP_1) | instskip(SKIP_1) | instid1(VALU_DEP_1)
	v_mul_hi_u32 v3, s86, v2
	v_mul_lo_u32 v9, v2, s80
	v_dual_add_nc_u32 v3, v2, v3 :: v_dual_sub_nc_u32 v9, v1, v9
	s_delay_alu instid0(VALU_DEP_1) | instskip(NEXT) | instid1(VALU_DEP_2)
	v_lshrrev_b32_e32 v1, s87, v3
	v_mad_u32 v3, v9, s57, v7
	v_mad_u32 v10, v9, s56, v14
	;; [unrolled: 1-line block ×4, first 2 shown]
	v_mul_lo_u32 v7, v1, s83
	v_mad_u32 v8, s61, v9, v8
	v_mad_u32 v6, s60, v9, v6
	s_delay_alu instid0(VALU_DEP_3) | instskip(NEXT) | instid1(VALU_DEP_1)
	v_sub_nc_u32_e32 v2, v2, v7
	v_mad_u32 v7, v2, s63, v3
	v_mad_u32 v14, v2, s62, v10
	v_mad_u32 v4, v2, s89, v4
	v_mad_u32 v5, v2, s88, v5
	v_mad_u32 v8, s91, v2, v8
	v_mad_u32 v6, s90, v2, v6
	s_cbranch_scc0 .LBB93_40
; %bb.41:
	s_bitcmp1_b32 s72, 0
	s_cselect_b32 s0, -1, 0
	s_delay_alu instid0(SALU_CYCLE_1)
	s_and_b32 vcc_lo, exec_lo, s0
	s_cbranch_vccnz .LBB93_45
; %bb.42:
	s_load_b96 s[60:62], s[54:55], 0x4
	s_load_b128 s[56:59], s[52:53], 0xf4
	s_wait_xcnt 0x0
	s_load_b64 s[54:55], s[52:53], 0x104
	s_wait_kmcnt 0x0
	v_mul_hi_u32 v2, s61, v1
	s_delay_alu instid0(VALU_DEP_1) | instskip(NEXT) | instid1(VALU_DEP_1)
	v_add_nc_u32_e32 v2, v1, v2
	v_lshrrev_b32_e32 v2, s62, v2
	s_delay_alu instid0(VALU_DEP_1) | instskip(NEXT) | instid1(VALU_DEP_1)
	v_mul_lo_u32 v2, v2, s60
	v_sub_nc_u32_e32 v1, v1, v2
	s_delay_alu instid0(VALU_DEP_1)
	v_mad_u32 v14, v1, s56, v14
	v_mad_u32 v7, v1, s57, v7
	;; [unrolled: 1-line block ×6, first 2 shown]
	s_branch .LBB93_45
.LBB93_43:
                                        ; implicit-def: $vgpr7
                                        ; implicit-def: $vgpr14
                                        ; implicit-def: $vgpr4
                                        ; implicit-def: $vgpr5
                                        ; implicit-def: $vgpr8
                                        ; implicit-def: $vgpr6
	s_branch .LBB93_46
.LBB93_44:
	v_dual_mov_b32 v7, 0 :: v_dual_mov_b32 v14, 0
	v_dual_mov_b32 v4, 0 :: v_dual_mov_b32 v5, 0
	v_dual_mov_b32 v8, 0 :: v_dual_mov_b32 v6, 0
.LBB93_45:
	s_cbranch_execnz .LBB93_48
.LBB93_46:
	v_mov_b32_e32 v1, 0
	s_and_not1_b32 vcc_lo, exec_lo, s71
	s_delay_alu instid0(VALU_DEP_1) | instskip(NEXT) | instid1(VALU_DEP_1)
	v_mul_u64_e32 v[2:3], s[48:49], v[0:1]
	v_add_nc_u32_e32 v2, v0, v3
	s_delay_alu instid0(VALU_DEP_1) | instskip(NEXT) | instid1(VALU_DEP_1)
	v_lshrrev_b32_e32 v2, s42, v2
	v_mul_lo_u32 v3, v2, s40
	s_delay_alu instid0(VALU_DEP_1) | instskip(NEXT) | instid1(VALU_DEP_1)
	v_sub_nc_u32_e32 v3, v0, v3
	v_mul_lo_u32 v7, v3, s21
	v_mul_lo_u32 v14, v3, s20
	;; [unrolled: 1-line block ×6, first 2 shown]
	s_cbranch_vccnz .LBB93_48
; %bb.47:
	v_mov_b32_e32 v3, v1
	s_delay_alu instid0(VALU_DEP_1) | instskip(NEXT) | instid1(VALU_DEP_1)
	v_mul_u64_e32 v[10:11], s[50:51], v[2:3]
	v_add_nc_u32_e32 v1, v2, v11
	s_delay_alu instid0(VALU_DEP_1) | instskip(NEXT) | instid1(VALU_DEP_1)
	v_lshrrev_b32_e32 v1, s1, v1
	v_mul_lo_u32 v1, v1, s43
	s_delay_alu instid0(VALU_DEP_1) | instskip(NEXT) | instid1(VALU_DEP_1)
	v_sub_nc_u32_e32 v1, v2, v1
	v_mad_u32 v14, v1, s26, v14
	v_mad_u32 v7, v1, s27, v7
	;; [unrolled: 1-line block ×6, first 2 shown]
.LBB93_48:
	global_load_b64 v[2:3], v7, s[6:7]
	s_mov_b32 s0, 0
	s_mov_b32 s47, -1
	s_mov_b32 s52, s77
	s_mov_b32 s54, s76
	;; [unrolled: 1-line block ×3, first 2 shown]
	s_wait_loadcnt 0x0
	v_cmp_eq_u64_e32 vcc_lo, s[16:17], v[2:3]
	s_and_b32 s55, s70, vcc_lo
	s_wait_xcnt 0x0
	s_and_saveexec_b32 s80, s55
	s_cbranch_execz .LBB93_69
; %bb.49:
	global_load_b64 v[2:3], v5, s[8:9]
	s_mov_b32 s54, s76
	s_mov_b32 s53, s73
	s_wait_loadcnt 0x0
	v_cmp_eq_u64_e32 vcc_lo, s[28:29], v[2:3]
	s_and_b32 s52, s69, vcc_lo
	s_wait_xcnt 0x0
	s_and_saveexec_b32 s81, s52
	s_cbranch_execz .LBB93_68
; %bb.50:
	global_load_b64 v[4:5], v4, s[10:11]
	global_load_b64 v[2:3], v6, s[12:13]
	s_mov_b32 s52, 0
	s_wait_loadcnt 0x0
	v_sub_nc_u64_e32 v[6:7], v[2:3], v[4:5]
	s_delay_alu instid0(VALU_DEP_1)
	v_cmp_le_i64_e32 vcc_lo, s[16:17], v[6:7]
	v_cmp_ge_i64_e64 s0, s[18:19], v[6:7]
	s_and_b32 s47, vcc_lo, s0
	s_mov_b32 s0, -1
	s_and_b32 s53, s68, s47
	s_mov_b32 s47, s73
	s_and_saveexec_b32 s82, s53
	s_cbranch_execz .LBB93_67
; %bb.51:
	v_cmp_lt_i64_e64 s0, s[28:29], 1
	v_mov_b64_e32 v[6:7], 0
	s_xor_b32 s47, s41, -1
	s_delay_alu instid0(SALU_CYCLE_1) | instskip(NEXT) | instid1(SALU_CYCLE_1)
	s_or_b32 s0, s0, s47
	s_and_b32 vcc_lo, exec_lo, s0
	s_cbranch_vccnz .LBB93_58
; %bb.52:
	global_load_b64 v[6:7], v8, s[14:15]
	s_mov_b32 s53, 0
	s_wait_xcnt 0x0
	v_mov_b32_e32 v8, 0
	s_mov_b32 s47, s53
	s_mov_b64 s[54:55], 0xffffffff
	s_lshl_b64 s[56:57], s[46:47], 3
	s_mov_b32 s47, s30
	s_add_nc_u64 s[56:57], s[2:3], s[56:57]
	s_delay_alu instid0(SALU_CYCLE_1)
	s_add_nc_u64 s[56:57], s[56:57], 0x298
	s_wait_loadcnt 0x0
	v_mul_u64_e32 v[10:11], s[28:29], v[6:7]
	v_mov_b64_e32 v[6:7], 0
	s_branch .LBB93_54
.LBB93_53:                              ;   in Loop: Header=BB93_54 Depth=1
	s_or_b32 exec_lo, exec_lo, s0
	s_delay_alu instid0(VALU_DEP_1)
	v_mul_u64_e32 v[16:17], s[58:59], v[12:13]
	s_load_b64 s[58:59], s[56:57], 0x40
	s_add_co_i32 s47, s47, -1
	s_wait_xcnt 0x0
	s_add_nc_u64 s[56:57], s[56:57], -8
	s_cmp_lg_u32 s47, 0
	s_delay_alu instid0(VALU_DEP_1) | instskip(SKIP_1) | instid1(VALU_DEP_1)
	v_sub_nc_u64_e32 v[10:11], v[10:11], v[16:17]
	s_wait_kmcnt 0x0
	v_mad_nc_u64_u32 v[6:7], v10, s58, v[6:7]
	s_delay_alu instid0(VALU_DEP_1) | instskip(NEXT) | instid1(VALU_DEP_1)
	v_mad_u32 v1, v11, s58, v7
	v_mad_u32 v7, v10, s59, v1
	v_mov_b64_e32 v[10:11], v[12:13]
	s_cbranch_scc0 .LBB93_58
.LBB93_54:                              ; =>This Inner Loop Header: Depth=1
	s_load_b64 s[58:59], s[56:57], 0x0
                                        ; implicit-def: $vgpr12_vgpr13
	s_mov_b32 s0, exec_lo
	s_wait_kmcnt 0x0
	s_delay_alu instid0(VALU_DEP_1) | instskip(NEXT) | instid1(VALU_DEP_1)
	v_or_b32_e32 v9, s59, v11
	v_cmpx_ne_u64_e32 0, v[8:9]
	s_xor_b32 s83, exec_lo, s0
	s_cbranch_execz .LBB93_56
; %bb.55:                               ;   in Loop: Header=BB93_54 Depth=1
	s_ashr_i32 s60, s59, 31
	v_dual_mov_b32 v19, v8 :: v_dual_ashrrev_i32 v12, 31, v11
	s_mov_b32 s61, s60
	v_mov_b32_e32 v23, v8
	s_add_nc_u64 s[62:63], s[58:59], s[60:61]
	s_delay_alu instid0(VALU_DEP_2)
	v_mov_b32_e32 v13, v12
	s_xor_b64 s[62:63], s[62:63], s[60:61]
	v_mov_b32_e32 v27, v8
	s_cvt_f32_u32 s0, s62
	s_cvt_f32_u32 s52, s63
	s_sub_nc_u64 s[88:89], 0, s[62:63]
	v_add_nc_u64_e32 v[16:17], v[10:11], v[12:13]
	s_delay_alu instid0(SALU_CYCLE_1) | instskip(NEXT) | instid1(SALU_CYCLE_3)
	s_fmamk_f32 s0, s52, 0x4f800000, s0
	v_s_rcp_f32 s0, s0
	s_delay_alu instid0(VALU_DEP_1) | instskip(NEXT) | instid1(VALU_DEP_2)
	v_xor_b32_e32 v22, v17, v12
	v_xor_b32_e32 v18, v16, v12
	s_delay_alu instid0(TRANS32_DEP_1) | instskip(NEXT) | instid1(SALU_CYCLE_3)
	s_mul_f32 s0, s0, 0x5f7ffffc
	s_mul_f32 s52, s0, 0x2f800000
	s_delay_alu instid0(SALU_CYCLE_3) | instskip(NEXT) | instid1(SALU_CYCLE_3)
	s_trunc_f32 s52, s52
	s_fmamk_f32 s0, s52, 0xcf800000, s0
	s_cvt_u32_f32 s87, s52
	s_delay_alu instid0(SALU_CYCLE_2) | instskip(NEXT) | instid1(SALU_CYCLE_3)
	s_cvt_u32_f32 s86, s0
	s_mul_u64 s[90:91], s[88:89], s[86:87]
	s_delay_alu instid0(SALU_CYCLE_1)
	s_mul_hi_u32 s93, s86, s91
	s_mul_i32 s92, s86, s91
	s_mul_hi_u32 s52, s86, s90
	s_mul_i32 s61, s87, s90
	s_add_nc_u64 s[92:93], s[52:53], s[92:93]
	s_mul_hi_u32 s0, s87, s90
	s_mul_hi_u32 s85, s87, s91
	s_add_co_u32 s52, s92, s61
	s_add_co_ci_u32 s52, s93, s0
	s_mul_i32 s90, s87, s91
	s_add_co_ci_u32 s91, s85, 0
	s_delay_alu instid0(SALU_CYCLE_1) | instskip(NEXT) | instid1(SALU_CYCLE_1)
	s_add_nc_u64 s[90:91], s[52:53], s[90:91]
	s_add_co_u32 s86, s86, s90
	s_cselect_b32 s0, -1, 0
	s_delay_alu instid0(SALU_CYCLE_1) | instskip(SKIP_1) | instid1(SALU_CYCLE_1)
	s_cmp_lg_u32 s0, 0
	s_add_co_ci_u32 s87, s87, s91
	s_mul_u64 s[88:89], s[88:89], s[86:87]
	s_delay_alu instid0(SALU_CYCLE_1)
	s_mul_hi_u32 s91, s86, s89
	s_mul_i32 s90, s86, s89
	s_mul_hi_u32 s52, s86, s88
	s_mul_i32 s61, s87, s88
	s_add_nc_u64 s[90:91], s[52:53], s[90:91]
	s_mul_hi_u32 s0, s87, s88
	s_mul_hi_u32 s85, s87, s89
	s_add_co_u32 s52, s90, s61
	s_add_co_ci_u32 s52, s91, s0
	s_mul_i32 s88, s87, s89
	s_add_co_ci_u32 s89, s85, 0
	s_delay_alu instid0(SALU_CYCLE_1) | instskip(NEXT) | instid1(SALU_CYCLE_1)
	s_add_nc_u64 s[88:89], s[52:53], s[88:89]
	s_add_co_u32 s0, s86, s88
	s_cselect_b32 s52, -1, 0
	v_mul_hi_u32 v26, v18, s0
	s_cmp_lg_u32 s52, 0
	s_add_co_ci_u32 s52, s87, s89
	s_and_b64 s[86:87], s[0:1], s[54:55]
	v_mul_u64_e32 v[20:21], s[52:53], v[18:19]
	v_mul_u64_e32 v[16:17], s[86:87], v[22:23]
	;; [unrolled: 1-line block ×3, first 2 shown]
	s_delay_alu instid0(VALU_DEP_3) | instskip(NEXT) | instid1(VALU_DEP_1)
	v_add_nc_u64_e32 v[20:21], v[26:27], v[20:21]
	v_add_co_u32 v1, vcc_lo, v20, v16
	s_delay_alu instid0(VALU_DEP_2) | instskip(NEXT) | instid1(VALU_DEP_4)
	v_add_co_ci_u32_e32 v26, vcc_lo, v21, v17, vcc_lo
	v_add_co_ci_u32_e32 v25, vcc_lo, 0, v25, vcc_lo
	s_delay_alu instid0(VALU_DEP_1) | instskip(NEXT) | instid1(VALU_DEP_1)
	v_add_nc_u64_e32 v[16:17], v[26:27], v[24:25]
	v_mul_u64_e32 v[20:21], s[62:63], v[16:17]
	s_delay_alu instid0(VALU_DEP_1) | instskip(NEXT) | instid1(VALU_DEP_2)
	v_sub_nc_u32_e32 v1, v22, v21
	v_sub_co_u32 v9, vcc_lo, v18, v20
	s_delay_alu instid0(VALU_DEP_1) | instskip(NEXT) | instid1(VALU_DEP_3)
	v_sub_co_ci_u32_e64 v15, null, v22, v21, vcc_lo
	v_subrev_co_ci_u32_e64 v1, null, s63, v1, vcc_lo
	s_delay_alu instid0(VALU_DEP_3) | instskip(SKIP_1) | instid1(VALU_DEP_3)
	v_sub_co_u32 v13, s0, v9, s62
	v_add_nc_u64_e32 v[20:21], 1, v[16:17]
	v_subrev_co_ci_u32_e64 v1, null, 0, v1, s0
	s_delay_alu instid0(VALU_DEP_3) | instskip(SKIP_1) | instid1(VALU_DEP_3)
	v_cmp_le_u32_e32 vcc_lo, s62, v13
	v_cndmask_b32_e64 v13, 0, -1, vcc_lo
	v_cmp_le_u32_e32 vcc_lo, s63, v1
	v_cndmask_b32_e64 v18, 0, -1, vcc_lo
	;; [unrolled: 2-line block ×4, first 2 shown]
	v_cmp_eq_u32_e32 vcc_lo, s63, v1
	v_cndmask_b32_e32 v1, v18, v13, vcc_lo
	v_cmp_eq_u32_e32 vcc_lo, s63, v15
	v_add_nc_u64_e32 v[18:19], 2, v[16:17]
	v_cndmask_b32_e32 v9, v22, v9, vcc_lo
	s_delay_alu instid0(VALU_DEP_4) | instskip(NEXT) | instid1(VALU_DEP_3)
	v_cmp_ne_u32_e32 vcc_lo, 0, v1
	v_cndmask_b32_e32 v1, v21, v19, vcc_lo
	s_delay_alu instid0(VALU_DEP_3) | instskip(SKIP_1) | instid1(VALU_DEP_2)
	v_cmp_ne_u32_e64 s0, 0, v9
	v_dual_cndmask_b32 v9, v20, v18, vcc_lo :: v_dual_bitop2_b32 v12, s60, v12 bitop3:0x14
	v_cndmask_b32_e64 v1, v17, v1, s0
	s_delay_alu instid0(VALU_DEP_1) | instskip(NEXT) | instid1(VALU_DEP_1)
	v_dual_cndmask_b32 v9, v16, v9, s0 :: v_dual_bitop2_b32 v17, v1, v12 bitop3:0x14
	v_dual_mov_b32 v13, v12 :: v_dual_bitop2_b32 v16, v9, v12 bitop3:0x14
	s_delay_alu instid0(VALU_DEP_1)
	v_sub_nc_u64_e32 v[12:13], v[16:17], v[12:13]
.LBB93_56:                              ;   in Loop: Header=BB93_54 Depth=1
	s_and_not1_saveexec_b32 s0, s83
	s_cbranch_execz .LBB93_53
; %bb.57:                               ;   in Loop: Header=BB93_54 Depth=1
	v_cvt_f32_u32_e32 v1, s58
	s_sub_co_i32 s52, 0, s58
	s_delay_alu instid0(VALU_DEP_1) | instskip(SKIP_1) | instid1(TRANS32_DEP_1)
	v_rcp_iflag_f32_e32 v1, v1
	v_nop
	v_mul_f32_e32 v1, 0x4f7ffffe, v1
	s_delay_alu instid0(VALU_DEP_1) | instskip(NEXT) | instid1(VALU_DEP_1)
	v_cvt_u32_f32_e32 v1, v1
	v_mul_lo_u32 v9, s52, v1
	s_delay_alu instid0(VALU_DEP_1) | instskip(NEXT) | instid1(VALU_DEP_1)
	v_mul_hi_u32 v9, v1, v9
	v_add_nc_u32_e32 v1, v1, v9
	s_delay_alu instid0(VALU_DEP_1) | instskip(NEXT) | instid1(VALU_DEP_1)
	v_mul_hi_u32 v1, v10, v1
	v_mul_lo_u32 v9, v1, s58
	v_add_nc_u32_e32 v12, 1, v1
	s_delay_alu instid0(VALU_DEP_2) | instskip(NEXT) | instid1(VALU_DEP_1)
	v_sub_nc_u32_e32 v9, v10, v9
	v_subrev_nc_u32_e32 v13, s58, v9
	v_cmp_le_u32_e32 vcc_lo, s58, v9
	s_delay_alu instid0(VALU_DEP_2) | instskip(SKIP_1) | instid1(VALU_DEP_2)
	v_dual_cndmask_b32 v9, v9, v13, vcc_lo :: v_dual_mov_b32 v13, v8
	v_cndmask_b32_e32 v1, v1, v12, vcc_lo
	v_cmp_le_u32_e32 vcc_lo, s58, v9
	s_delay_alu instid0(VALU_DEP_2) | instskip(NEXT) | instid1(VALU_DEP_1)
	v_add_nc_u32_e32 v12, 1, v1
	v_cndmask_b32_e32 v12, v1, v12, vcc_lo
	s_branch .LBB93_53
.LBB93_58:
	s_mov_b32 s53, -1
	s_mov_b32 s47, s73
	s_mov_b32 s0, exec_lo
	v_cmpx_gt_i64_e64 v[2:3], v[4:5]
	s_cbranch_execz .LBB93_64
; %bb.59:
	s_delay_alu instid0(VALU_DEP_2) | instskip(SKIP_2) | instid1(VALU_DEP_1)
	v_lshlrev_b64_e32 v[6:7], 3, v[6:7]
	s_mov_b32 s47, 0
	s_xor_b32 s53, s31, -1
                                        ; implicit-def: $sgpr52
                                        ; implicit-def: $sgpr55
                                        ; implicit-def: $sgpr54
	v_lshl_add_u64 v[4:5], v[4:5], 3, v[6:7]
	v_add_nc_u64_e32 v[6:7], s[44:45], v[6:7]
	s_delay_alu instid0(VALU_DEP_2) | instskip(NEXT) | instid1(VALU_DEP_2)
	v_add_nc_u64_e32 v[4:5], s[44:45], v[4:5]
	v_lshl_add_u64 v[2:3], v[2:3], 3, v[6:7]
	s_delay_alu instid0(VALU_DEP_2)
	v_add_nc_u64_e32 v[4:5], 8, v[4:5]
	s_branch .LBB93_61
.LBB93_60:                              ;   in Loop: Header=BB93_61 Depth=1
	s_or_b32 exec_lo, exec_lo, s56
	s_delay_alu instid0(SALU_CYCLE_1) | instskip(NEXT) | instid1(SALU_CYCLE_1)
	s_and_b32 s56, exec_lo, s55
	s_or_b32 s47, s56, s47
	s_and_not1_b32 s52, s52, exec_lo
	s_and_b32 s56, s54, exec_lo
	s_delay_alu instid0(SALU_CYCLE_1)
	s_or_b32 s52, s52, s56
	s_and_not1_b32 exec_lo, exec_lo, s47
	s_cbranch_execz .LBB93_63
.LBB93_61:                              ; =>This Inner Loop Header: Depth=1
	s_or_b32 s54, s54, exec_lo
	s_or_b32 s55, s55, exec_lo
	s_mov_b32 s56, exec_lo
	s_delay_alu instid0(VALU_DEP_1)
	v_cmpx_lt_u64_e64 v[4:5], v[2:3]
	s_cbranch_execz .LBB93_60
; %bb.62:                               ;   in Loop: Header=BB93_61 Depth=1
	global_load_b128 v[6:9], v[4:5], off offset:-8
	s_wait_xcnt 0x0
	v_add_nc_u64_e32 v[4:5], 8, v[4:5]
	s_and_not1_b32 s55, s55, exec_lo
	s_and_not1_b32 s54, s54, exec_lo
	s_wait_loadcnt 0x0
	v_cmp_ge_i64_e32 vcc_lo, v[6:7], v[8:9]
	s_or_b32 s57, s53, vcc_lo
	s_delay_alu instid0(SALU_CYCLE_1) | instskip(NEXT) | instid1(SALU_CYCLE_1)
	s_and_b32 s57, s57, exec_lo
	s_or_b32 s55, s55, s57
	s_branch .LBB93_60
.LBB93_63:
	s_or_b32 exec_lo, exec_lo, s47
	s_delay_alu instid0(SALU_CYCLE_1)
	s_or_b32 s47, s73, exec_lo
	s_or_not1_b32 s53, s52, exec_lo
.LBB93_64:
	s_or_b32 exec_lo, exec_lo, s0
	s_mov_b32 s52, 0
	s_and_saveexec_b32 s0, s53
	s_cbranch_execz .LBB93_66
; %bb.65:
	v_mov_b64_e32 v[2:3], 0
	v_add_nc_u32_e32 v0, 0x80, v0
	s_mov_b32 s52, exec_lo
	s_and_not1_b32 s47, s47, exec_lo
	global_store_b64 v14, v[2:3], s[4:5]
.LBB93_66:
	s_wait_xcnt 0x0
	s_or_b32 exec_lo, exec_lo, s0
	s_delay_alu instid0(SALU_CYCLE_1)
	s_and_not1_b32 s0, s73, exec_lo
	s_and_b32 s47, s47, exec_lo
	s_and_b32 s52, s52, exec_lo
	s_or_b32 s47, s0, s47
	s_xor_b32 s0, exec_lo, -1
.LBB93_67:
	s_or_b32 exec_lo, exec_lo, s82
	s_delay_alu instid0(SALU_CYCLE_1)
	s_and_not1_b32 s53, s73, exec_lo
	s_and_b32 s47, s47, exec_lo
	s_and_not1_b32 s54, s76, exec_lo
	s_and_b32 s0, s0, exec_lo
	s_or_b32 s53, s53, s47
	s_or_b32 s54, s54, s0
	s_xor_b32 s47, exec_lo, -1
	s_and_b32 s0, s52, exec_lo
.LBB93_68:
	s_or_b32 exec_lo, exec_lo, s81
	s_delay_alu instid0(SALU_CYCLE_1)
	s_and_not1_b32 s52, s73, exec_lo
	s_and_b32 s53, s53, exec_lo
	s_and_b32 s54, s54, exec_lo
	s_or_b32 s53, s52, s53
	s_and_not1_b32 s52, s76, exec_lo
	s_and_not1_b32 s55, s77, exec_lo
	s_and_b32 s47, s47, exec_lo
	s_or_b32 s54, s52, s54
	s_or_b32 s52, s55, s47
	s_xor_b32 s47, exec_lo, -1
	s_and_b32 s0, s0, exec_lo
.LBB93_69:
	s_or_b32 exec_lo, exec_lo, s80
	s_delay_alu instid0(SALU_CYCLE_1)
	s_and_not1_b32 s55, s73, exec_lo
	s_and_b32 s53, s53, exec_lo
	s_and_not1_b32 s56, s76, exec_lo
	s_and_b32 s54, s54, exec_lo
	s_or_b32 s81, s55, s53
	s_or_b32 s82, s56, s54
	s_and_not1_b32 s53, s77, exec_lo
	s_and_b32 s52, s52, exec_lo
	s_and_not1_b32 s54, s78, exec_lo
	s_and_b32 s47, s47, exec_lo
	s_or_b32 s83, s53, s52
	s_or_b32 s80, s54, s47
	s_or_not1_b32 s47, s0, exec_lo
.LBB93_70:
	s_or_b32 exec_lo, exec_lo, s84
	s_mov_b32 s0, 0
                                        ; implicit-def: $vgpr12
                                        ; implicit-def: $vgpr4
                                        ; implicit-def: $vgpr7
                                        ; implicit-def: $vgpr6
                                        ; implicit-def: $vgpr5
	s_and_saveexec_b32 s84, s47
	s_cbranch_execz .LBB93_123
; %bb.71:
	s_mov_b32 s53, -1
	s_mov_b32 s0, s80
	s_mov_b32 s56, s83
	;; [unrolled: 1-line block ×4, first 2 shown]
	s_mov_b32 s85, exec_lo
	v_cmpx_gt_i32_e64 s74, v0
	s_cbranch_execz .LBB93_106
; %bb.72:
	s_and_not1_b32 vcc_lo, exec_lo, s66
	s_cbranch_vccnz .LBB93_78
; %bb.73:
	s_and_not1_b32 vcc_lo, exec_lo, s75
	s_cbranch_vccnz .LBB93_79
; %bb.74:
	v_dual_mov_b32 v6, 0 :: v_dual_mov_b32 v1, v0
	v_dual_mov_b32 v8, 0 :: v_dual_mov_b32 v5, 0
	;; [unrolled: 1-line block ×3, first 2 shown]
	v_mov_b32_e32 v7, 0
	s_add_co_i32 s0, s72, 1
	s_mov_b64 s[52:53], 0xffffffffffffffd0
	s_and_b32 s0, s0, 30
	s_add_nc_u64 s[52:53], s[2:3], s[52:53]
	s_mov_b64 s[54:55], s[2:3]
.LBB93_75:                              ; =>This Inner Loop Header: Depth=1
	s_clause 0x1
	s_load_b128 s[88:91], s[54:55], 0x4
	s_load_b64 s[86:87], s[54:55], 0x14
	s_clause 0x1
	s_load_b256 s[56:63], s[52:53], 0xf4
	s_load_b128 s[92:95], s[52:53], 0x114
	s_add_co_i32 s0, s0, -2
	s_wait_xcnt 0x0
	s_add_nc_u64 s[54:55], s[54:55], 24
	s_cmp_eq_u32 s0, 0
	s_add_nc_u64 s[52:53], s[52:53], 48
	s_wait_kmcnt 0x0
	v_mul_hi_u32 v2, s89, v1
	s_delay_alu instid0(VALU_DEP_1) | instskip(NEXT) | instid1(VALU_DEP_1)
	v_add_nc_u32_e32 v2, v1, v2
	v_lshrrev_b32_e32 v2, s90, v2
	s_delay_alu instid0(VALU_DEP_1) | instskip(SKIP_1) | instid1(VALU_DEP_1)
	v_mul_hi_u32 v3, s86, v2
	v_mul_lo_u32 v9, v2, s88
	v_dual_add_nc_u32 v3, v2, v3 :: v_dual_sub_nc_u32 v9, v1, v9
	s_delay_alu instid0(VALU_DEP_1) | instskip(NEXT) | instid1(VALU_DEP_2)
	v_lshrrev_b32_e32 v1, s87, v3
	v_mad_u32 v3, v9, s57, v7
	v_mad_u32 v10, v9, s56, v14
	;; [unrolled: 1-line block ×4, first 2 shown]
	v_mul_lo_u32 v7, v1, s91
	v_mad_u32 v8, s61, v9, v8
	v_mad_u32 v6, s60, v9, v6
	s_delay_alu instid0(VALU_DEP_3) | instskip(NEXT) | instid1(VALU_DEP_1)
	v_sub_nc_u32_e32 v2, v2, v7
	v_mad_u32 v7, v2, s63, v3
	v_mad_u32 v14, v2, s62, v10
	;; [unrolled: 1-line block ×6, first 2 shown]
	s_cbranch_scc0 .LBB93_75
; %bb.76:
	s_bitcmp1_b32 s72, 0
	s_cselect_b32 s0, -1, 0
	s_delay_alu instid0(SALU_CYCLE_1)
	s_and_b32 vcc_lo, exec_lo, s0
	s_cbranch_vccnz .LBB93_80
; %bb.77:
	s_load_b96 s[60:62], s[54:55], 0x4
	s_load_b128 s[56:59], s[52:53], 0xf4
	s_wait_xcnt 0x0
	s_load_b64 s[54:55], s[52:53], 0x104
	s_wait_kmcnt 0x0
	v_mul_hi_u32 v2, s61, v1
	s_delay_alu instid0(VALU_DEP_1) | instskip(NEXT) | instid1(VALU_DEP_1)
	v_add_nc_u32_e32 v2, v1, v2
	v_lshrrev_b32_e32 v2, s62, v2
	s_delay_alu instid0(VALU_DEP_1) | instskip(NEXT) | instid1(VALU_DEP_1)
	v_mul_lo_u32 v2, v2, s60
	v_sub_nc_u32_e32 v1, v1, v2
	s_delay_alu instid0(VALU_DEP_1)
	v_mad_u32 v14, v1, s56, v14
	v_mad_u32 v7, v1, s57, v7
	v_mad_u32 v5, v1, s58, v5
	v_mad_u32 v4, v1, s59, v4
	v_mad_u32 v6, s54, v1, v6
	v_mad_u32 v8, s55, v1, v8
	s_branch .LBB93_80
.LBB93_78:
	s_mov_b32 s0, -1
                                        ; implicit-def: $vgpr7
                                        ; implicit-def: $vgpr14
                                        ; implicit-def: $vgpr4
                                        ; implicit-def: $vgpr5
                                        ; implicit-def: $vgpr8
                                        ; implicit-def: $vgpr6
	s_branch .LBB93_81
.LBB93_79:
	v_dual_mov_b32 v7, 0 :: v_dual_mov_b32 v14, 0
	v_dual_mov_b32 v4, 0 :: v_dual_mov_b32 v5, 0
	;; [unrolled: 1-line block ×3, first 2 shown]
.LBB93_80:
	s_mov_b32 s0, 0
.LBB93_81:
	s_delay_alu instid0(SALU_CYCLE_1)
	s_and_not1_b32 vcc_lo, exec_lo, s0
	s_cbranch_vccnz .LBB93_84
; %bb.82:
	v_mov_b32_e32 v1, 0
	s_and_not1_b32 vcc_lo, exec_lo, s71
	s_delay_alu instid0(VALU_DEP_1) | instskip(NEXT) | instid1(VALU_DEP_1)
	v_mul_u64_e32 v[2:3], s[48:49], v[0:1]
	v_add_nc_u32_e32 v2, v0, v3
	s_delay_alu instid0(VALU_DEP_1) | instskip(NEXT) | instid1(VALU_DEP_1)
	v_lshrrev_b32_e32 v2, s42, v2
	v_mul_lo_u32 v3, v2, s40
	s_delay_alu instid0(VALU_DEP_1) | instskip(NEXT) | instid1(VALU_DEP_1)
	v_sub_nc_u32_e32 v3, v0, v3
	v_mul_lo_u32 v7, v3, s21
	v_mul_lo_u32 v14, v3, s20
	;; [unrolled: 1-line block ×6, first 2 shown]
	s_cbranch_vccnz .LBB93_84
; %bb.83:
	v_mov_b32_e32 v3, v1
	s_delay_alu instid0(VALU_DEP_1) | instskip(NEXT) | instid1(VALU_DEP_1)
	v_mul_u64_e32 v[10:11], s[50:51], v[2:3]
	v_add_nc_u32_e32 v1, v2, v11
	s_delay_alu instid0(VALU_DEP_1) | instskip(NEXT) | instid1(VALU_DEP_1)
	v_lshrrev_b32_e32 v1, s1, v1
	v_mul_lo_u32 v1, v1, s43
	s_delay_alu instid0(VALU_DEP_1) | instskip(NEXT) | instid1(VALU_DEP_1)
	v_sub_nc_u32_e32 v1, v2, v1
	v_mad_u32 v14, v1, s26, v14
	v_mad_u32 v7, v1, s27, v7
	;; [unrolled: 1-line block ×6, first 2 shown]
.LBB93_84:
	global_load_b64 v[2:3], v7, s[6:7]
	s_mov_b32 s52, 0
	s_mov_b32 s0, -1
	s_mov_b32 s53, s83
	s_mov_b32 s55, s82
	s_mov_b32 s54, s81
	s_wait_loadcnt 0x0
	v_cmp_eq_u64_e32 vcc_lo, s[16:17], v[2:3]
	s_and_b32 s47, s70, vcc_lo
	s_wait_xcnt 0x0
	s_and_saveexec_b32 s86, s47
	s_cbranch_execz .LBB93_105
; %bb.85:
	global_load_b64 v[2:3], v5, s[8:9]
	s_mov_b32 s47, 0
	s_mov_b32 s52, s82
	;; [unrolled: 1-line block ×3, first 2 shown]
	s_wait_loadcnt 0x0
	v_cmp_eq_u64_e32 vcc_lo, s[28:29], v[2:3]
	s_and_b32 s54, s69, vcc_lo
	s_wait_xcnt 0x0
	s_and_saveexec_b32 s87, s54
	s_cbranch_execz .LBB93_104
; %bb.86:
	global_load_b64 v[4:5], v4, s[10:11]
	global_load_b64 v[2:3], v6, s[12:13]
	s_mov_b32 s53, s81
	s_wait_loadcnt 0x0
	v_sub_nc_u64_e32 v[6:7], v[2:3], v[4:5]
	s_delay_alu instid0(VALU_DEP_1) | instskip(SKIP_4) | instid1(SALU_CYCLE_1)
	v_cmp_le_i64_e32 vcc_lo, s[16:17], v[6:7]
	v_cmp_ge_i64_e64 s0, s[18:19], v[6:7]
	s_and_b32 s52, vcc_lo, s0
	s_mov_b32 s0, -1
	s_and_b32 s52, s68, s52
	s_and_saveexec_b32 s88, s52
	s_cbranch_execz .LBB93_103
; %bb.87:
	v_cmp_lt_i64_e64 s0, s[28:29], 1
	v_mov_b64_e32 v[6:7], 0
	s_xor_b32 s47, s41, -1
	s_delay_alu instid0(SALU_CYCLE_1) | instskip(NEXT) | instid1(SALU_CYCLE_1)
	s_or_b32 s0, s0, s47
	s_and_b32 vcc_lo, exec_lo, s0
	s_cbranch_vccnz .LBB93_94
; %bb.88:
	global_load_b64 v[6:7], v8, s[14:15]
	s_mov_b32 s53, 0
	s_wait_xcnt 0x0
	v_mov_b32_e32 v8, 0
	s_mov_b32 s47, s53
	s_mov_b64 s[54:55], 0xffffffff
	s_lshl_b64 s[56:57], s[46:47], 3
	s_mov_b32 s47, s30
	s_add_nc_u64 s[56:57], s[2:3], s[56:57]
	s_delay_alu instid0(SALU_CYCLE_1)
	s_add_nc_u64 s[56:57], s[56:57], 0x298
	s_wait_loadcnt 0x0
	v_mul_u64_e32 v[10:11], s[28:29], v[6:7]
	v_mov_b64_e32 v[6:7], 0
	s_branch .LBB93_90
.LBB93_89:                              ;   in Loop: Header=BB93_90 Depth=1
	s_or_b32 exec_lo, exec_lo, s0
	s_delay_alu instid0(VALU_DEP_1)
	v_mul_u64_e32 v[16:17], s[58:59], v[12:13]
	s_load_b64 s[58:59], s[56:57], 0x40
	s_add_co_i32 s47, s47, -1
	s_wait_xcnt 0x0
	s_add_nc_u64 s[56:57], s[56:57], -8
	s_cmp_lg_u32 s47, 0
	s_delay_alu instid0(VALU_DEP_1) | instskip(SKIP_1) | instid1(VALU_DEP_1)
	v_sub_nc_u64_e32 v[10:11], v[10:11], v[16:17]
	s_wait_kmcnt 0x0
	v_mad_nc_u64_u32 v[6:7], v10, s58, v[6:7]
	s_delay_alu instid0(VALU_DEP_1) | instskip(NEXT) | instid1(VALU_DEP_1)
	v_mad_u32 v1, v11, s58, v7
	v_mad_u32 v7, v10, s59, v1
	v_mov_b64_e32 v[10:11], v[12:13]
	s_cbranch_scc0 .LBB93_94
.LBB93_90:                              ; =>This Inner Loop Header: Depth=1
	s_load_b64 s[58:59], s[56:57], 0x0
                                        ; implicit-def: $vgpr12_vgpr13
	s_mov_b32 s0, exec_lo
	s_wait_kmcnt 0x0
	s_delay_alu instid0(VALU_DEP_1) | instskip(NEXT) | instid1(VALU_DEP_1)
	v_or_b32_e32 v9, s59, v11
	v_cmpx_ne_u64_e32 0, v[8:9]
	s_xor_b32 s89, exec_lo, s0
	s_cbranch_execz .LBB93_92
; %bb.91:                               ;   in Loop: Header=BB93_90 Depth=1
	s_ashr_i32 s60, s59, 31
	v_dual_mov_b32 v19, v8 :: v_dual_ashrrev_i32 v12, 31, v11
	s_mov_b32 s61, s60
	v_mov_b32_e32 v23, v8
	s_add_nc_u64 s[62:63], s[58:59], s[60:61]
	s_delay_alu instid0(VALU_DEP_2)
	v_mov_b32_e32 v13, v12
	s_xor_b64 s[62:63], s[62:63], s[60:61]
	v_mov_b32_e32 v27, v8
	s_cvt_f32_u32 s0, s62
	s_cvt_f32_u32 s52, s63
	s_sub_nc_u64 s[92:93], 0, s[62:63]
	v_add_nc_u64_e32 v[16:17], v[10:11], v[12:13]
	s_delay_alu instid0(SALU_CYCLE_1) | instskip(NEXT) | instid1(SALU_CYCLE_3)
	s_fmamk_f32 s0, s52, 0x4f800000, s0
	v_s_rcp_f32 s0, s0
	s_delay_alu instid0(VALU_DEP_1) | instskip(NEXT) | instid1(VALU_DEP_2)
	v_xor_b32_e32 v22, v17, v12
	v_xor_b32_e32 v18, v16, v12
	s_delay_alu instid0(TRANS32_DEP_1) | instskip(NEXT) | instid1(SALU_CYCLE_3)
	s_mul_f32 s0, s0, 0x5f7ffffc
	s_mul_f32 s52, s0, 0x2f800000
	s_delay_alu instid0(SALU_CYCLE_3) | instskip(NEXT) | instid1(SALU_CYCLE_3)
	s_trunc_f32 s52, s52
	s_fmamk_f32 s0, s52, 0xcf800000, s0
	s_cvt_u32_f32 s91, s52
	s_delay_alu instid0(SALU_CYCLE_2) | instskip(NEXT) | instid1(SALU_CYCLE_3)
	s_cvt_u32_f32 s90, s0
	s_mul_u64 s[94:95], s[92:93], s[90:91]
	s_delay_alu instid0(SALU_CYCLE_1)
	s_mul_hi_u32 s97, s90, s95
	s_mul_i32 s96, s90, s95
	s_mul_hi_u32 s52, s90, s94
	s_mul_i32 s61, s91, s94
	s_add_nc_u64 s[96:97], s[52:53], s[96:97]
	s_mul_hi_u32 s0, s91, s94
	s_mul_hi_u32 s98, s91, s95
	s_add_co_u32 s52, s96, s61
	s_add_co_ci_u32 s52, s97, s0
	s_mul_i32 s94, s91, s95
	s_add_co_ci_u32 s95, s98, 0
	s_delay_alu instid0(SALU_CYCLE_1) | instskip(NEXT) | instid1(SALU_CYCLE_1)
	s_add_nc_u64 s[94:95], s[52:53], s[94:95]
	s_add_co_u32 s90, s90, s94
	s_cselect_b32 s0, -1, 0
	s_delay_alu instid0(SALU_CYCLE_1) | instskip(SKIP_1) | instid1(SALU_CYCLE_1)
	s_cmp_lg_u32 s0, 0
	s_add_co_ci_u32 s91, s91, s95
	s_mul_u64 s[92:93], s[92:93], s[90:91]
	s_delay_alu instid0(SALU_CYCLE_1)
	s_mul_hi_u32 s95, s90, s93
	s_mul_i32 s94, s90, s93
	s_mul_hi_u32 s52, s90, s92
	s_mul_i32 s61, s91, s92
	s_add_nc_u64 s[94:95], s[52:53], s[94:95]
	s_mul_hi_u32 s0, s91, s92
	s_mul_hi_u32 s96, s91, s93
	s_add_co_u32 s52, s94, s61
	s_add_co_ci_u32 s52, s95, s0
	s_mul_i32 s92, s91, s93
	s_add_co_ci_u32 s93, s96, 0
	s_delay_alu instid0(SALU_CYCLE_1) | instskip(NEXT) | instid1(SALU_CYCLE_1)
	s_add_nc_u64 s[92:93], s[52:53], s[92:93]
	s_add_co_u32 s0, s90, s92
	s_cselect_b32 s52, -1, 0
	v_mul_hi_u32 v26, v18, s0
	s_cmp_lg_u32 s52, 0
	s_add_co_ci_u32 s52, s91, s93
	s_and_b64 s[90:91], s[0:1], s[54:55]
	v_mul_u64_e32 v[20:21], s[52:53], v[18:19]
	v_mul_u64_e32 v[16:17], s[90:91], v[22:23]
	;; [unrolled: 1-line block ×3, first 2 shown]
	s_delay_alu instid0(VALU_DEP_3) | instskip(NEXT) | instid1(VALU_DEP_1)
	v_add_nc_u64_e32 v[20:21], v[26:27], v[20:21]
	v_add_co_u32 v1, vcc_lo, v20, v16
	s_delay_alu instid0(VALU_DEP_2) | instskip(NEXT) | instid1(VALU_DEP_4)
	v_add_co_ci_u32_e32 v26, vcc_lo, v21, v17, vcc_lo
	v_add_co_ci_u32_e32 v25, vcc_lo, 0, v25, vcc_lo
	s_delay_alu instid0(VALU_DEP_1) | instskip(NEXT) | instid1(VALU_DEP_1)
	v_add_nc_u64_e32 v[16:17], v[26:27], v[24:25]
	v_mul_u64_e32 v[20:21], s[62:63], v[16:17]
	s_delay_alu instid0(VALU_DEP_1) | instskip(NEXT) | instid1(VALU_DEP_2)
	v_sub_nc_u32_e32 v1, v22, v21
	v_sub_co_u32 v9, vcc_lo, v18, v20
	s_delay_alu instid0(VALU_DEP_1) | instskip(NEXT) | instid1(VALU_DEP_3)
	v_sub_co_ci_u32_e64 v15, null, v22, v21, vcc_lo
	v_subrev_co_ci_u32_e64 v1, null, s63, v1, vcc_lo
	s_delay_alu instid0(VALU_DEP_3) | instskip(SKIP_1) | instid1(VALU_DEP_3)
	v_sub_co_u32 v13, s0, v9, s62
	v_add_nc_u64_e32 v[20:21], 1, v[16:17]
	v_subrev_co_ci_u32_e64 v1, null, 0, v1, s0
	s_delay_alu instid0(VALU_DEP_3) | instskip(SKIP_1) | instid1(VALU_DEP_3)
	v_cmp_le_u32_e32 vcc_lo, s62, v13
	v_cndmask_b32_e64 v13, 0, -1, vcc_lo
	v_cmp_le_u32_e32 vcc_lo, s63, v1
	v_cndmask_b32_e64 v18, 0, -1, vcc_lo
	;; [unrolled: 2-line block ×4, first 2 shown]
	v_cmp_eq_u32_e32 vcc_lo, s63, v1
	v_cndmask_b32_e32 v1, v18, v13, vcc_lo
	v_cmp_eq_u32_e32 vcc_lo, s63, v15
	v_add_nc_u64_e32 v[18:19], 2, v[16:17]
	v_cndmask_b32_e32 v9, v22, v9, vcc_lo
	s_delay_alu instid0(VALU_DEP_4) | instskip(NEXT) | instid1(VALU_DEP_3)
	v_cmp_ne_u32_e32 vcc_lo, 0, v1
	v_cndmask_b32_e32 v1, v21, v19, vcc_lo
	s_delay_alu instid0(VALU_DEP_3) | instskip(SKIP_1) | instid1(VALU_DEP_2)
	v_cmp_ne_u32_e64 s0, 0, v9
	v_dual_cndmask_b32 v9, v20, v18, vcc_lo :: v_dual_bitop2_b32 v12, s60, v12 bitop3:0x14
	v_cndmask_b32_e64 v1, v17, v1, s0
	s_delay_alu instid0(VALU_DEP_1) | instskip(NEXT) | instid1(VALU_DEP_1)
	v_dual_cndmask_b32 v9, v16, v9, s0 :: v_dual_bitop2_b32 v17, v1, v12 bitop3:0x14
	v_dual_mov_b32 v13, v12 :: v_dual_bitop2_b32 v16, v9, v12 bitop3:0x14
	s_delay_alu instid0(VALU_DEP_1)
	v_sub_nc_u64_e32 v[12:13], v[16:17], v[12:13]
.LBB93_92:                              ;   in Loop: Header=BB93_90 Depth=1
	s_and_not1_saveexec_b32 s0, s89
	s_cbranch_execz .LBB93_89
; %bb.93:                               ;   in Loop: Header=BB93_90 Depth=1
	v_cvt_f32_u32_e32 v1, s58
	s_sub_co_i32 s52, 0, s58
	s_delay_alu instid0(VALU_DEP_1) | instskip(SKIP_1) | instid1(TRANS32_DEP_1)
	v_rcp_iflag_f32_e32 v1, v1
	v_nop
	v_mul_f32_e32 v1, 0x4f7ffffe, v1
	s_delay_alu instid0(VALU_DEP_1) | instskip(NEXT) | instid1(VALU_DEP_1)
	v_cvt_u32_f32_e32 v1, v1
	v_mul_lo_u32 v9, s52, v1
	s_delay_alu instid0(VALU_DEP_1) | instskip(NEXT) | instid1(VALU_DEP_1)
	v_mul_hi_u32 v9, v1, v9
	v_add_nc_u32_e32 v1, v1, v9
	s_delay_alu instid0(VALU_DEP_1) | instskip(NEXT) | instid1(VALU_DEP_1)
	v_mul_hi_u32 v1, v10, v1
	v_mul_lo_u32 v9, v1, s58
	v_add_nc_u32_e32 v12, 1, v1
	s_delay_alu instid0(VALU_DEP_2) | instskip(NEXT) | instid1(VALU_DEP_1)
	v_sub_nc_u32_e32 v9, v10, v9
	v_subrev_nc_u32_e32 v13, s58, v9
	v_cmp_le_u32_e32 vcc_lo, s58, v9
	s_delay_alu instid0(VALU_DEP_2) | instskip(SKIP_1) | instid1(VALU_DEP_2)
	v_dual_cndmask_b32 v9, v9, v13, vcc_lo :: v_dual_mov_b32 v13, v8
	v_cndmask_b32_e32 v1, v1, v12, vcc_lo
	v_cmp_le_u32_e32 vcc_lo, s58, v9
	s_delay_alu instid0(VALU_DEP_2) | instskip(NEXT) | instid1(VALU_DEP_1)
	v_add_nc_u32_e32 v12, 1, v1
	v_cndmask_b32_e32 v12, v1, v12, vcc_lo
	s_branch .LBB93_89
.LBB93_94:
	s_mov_b32 s53, -1
	s_mov_b32 s47, s81
	s_mov_b32 s0, exec_lo
	v_cmpx_gt_i64_e64 v[2:3], v[4:5]
	s_cbranch_execz .LBB93_100
; %bb.95:
	s_delay_alu instid0(VALU_DEP_2) | instskip(SKIP_2) | instid1(VALU_DEP_1)
	v_lshlrev_b64_e32 v[6:7], 3, v[6:7]
	s_mov_b32 s47, 0
	s_xor_b32 s53, s31, -1
                                        ; implicit-def: $sgpr52
                                        ; implicit-def: $sgpr55
                                        ; implicit-def: $sgpr54
	v_lshl_add_u64 v[4:5], v[4:5], 3, v[6:7]
	v_add_nc_u64_e32 v[6:7], s[44:45], v[6:7]
	s_delay_alu instid0(VALU_DEP_2) | instskip(NEXT) | instid1(VALU_DEP_2)
	v_add_nc_u64_e32 v[4:5], s[44:45], v[4:5]
	v_lshl_add_u64 v[2:3], v[2:3], 3, v[6:7]
	s_delay_alu instid0(VALU_DEP_2)
	v_add_nc_u64_e32 v[4:5], 8, v[4:5]
	s_branch .LBB93_97
.LBB93_96:                              ;   in Loop: Header=BB93_97 Depth=1
	s_or_b32 exec_lo, exec_lo, s56
	s_delay_alu instid0(SALU_CYCLE_1) | instskip(NEXT) | instid1(SALU_CYCLE_1)
	s_and_b32 s56, exec_lo, s55
	s_or_b32 s47, s56, s47
	s_and_not1_b32 s52, s52, exec_lo
	s_and_b32 s56, s54, exec_lo
	s_delay_alu instid0(SALU_CYCLE_1)
	s_or_b32 s52, s52, s56
	s_and_not1_b32 exec_lo, exec_lo, s47
	s_cbranch_execz .LBB93_99
.LBB93_97:                              ; =>This Inner Loop Header: Depth=1
	s_or_b32 s54, s54, exec_lo
	s_or_b32 s55, s55, exec_lo
	s_mov_b32 s56, exec_lo
	s_delay_alu instid0(VALU_DEP_1)
	v_cmpx_lt_u64_e64 v[4:5], v[2:3]
	s_cbranch_execz .LBB93_96
; %bb.98:                               ;   in Loop: Header=BB93_97 Depth=1
	global_load_b128 v[6:9], v[4:5], off offset:-8
	s_wait_xcnt 0x0
	v_add_nc_u64_e32 v[4:5], 8, v[4:5]
	s_and_not1_b32 s55, s55, exec_lo
	s_and_not1_b32 s54, s54, exec_lo
	s_wait_loadcnt 0x0
	v_cmp_ge_i64_e32 vcc_lo, v[6:7], v[8:9]
	s_or_b32 s57, s53, vcc_lo
	s_delay_alu instid0(SALU_CYCLE_1) | instskip(NEXT) | instid1(SALU_CYCLE_1)
	s_and_b32 s57, s57, exec_lo
	s_or_b32 s55, s55, s57
	s_branch .LBB93_96
.LBB93_99:
	s_or_b32 exec_lo, exec_lo, s47
	s_delay_alu instid0(SALU_CYCLE_1)
	s_or_b32 s47, s81, exec_lo
	s_or_not1_b32 s53, s52, exec_lo
.LBB93_100:
	s_or_b32 exec_lo, exec_lo, s0
	s_mov_b32 s52, 0
	s_and_saveexec_b32 s0, s53
	s_cbranch_execz .LBB93_102
; %bb.101:
	v_mov_b64_e32 v[2:3], 0
	v_add_nc_u32_e32 v0, 0x80, v0
	s_mov_b32 s52, exec_lo
	s_and_not1_b32 s47, s47, exec_lo
	global_store_b64 v14, v[2:3], s[4:5]
.LBB93_102:
	s_wait_xcnt 0x0
	s_or_b32 exec_lo, exec_lo, s0
	s_delay_alu instid0(SALU_CYCLE_1) | instskip(SKIP_1) | instid1(SALU_CYCLE_1)
	s_and_not1_b32 s0, s81, exec_lo
	s_and_b32 s47, s47, exec_lo
	s_or_b32 s53, s0, s47
	s_xor_b32 s0, exec_lo, -1
	s_and_b32 s47, s52, exec_lo
.LBB93_103:
	s_or_b32 exec_lo, exec_lo, s88
	s_delay_alu instid0(SALU_CYCLE_1)
	s_and_not1_b32 s52, s81, exec_lo
	s_and_b32 s53, s53, exec_lo
	s_and_not1_b32 s54, s82, exec_lo
	s_and_b32 s0, s0, exec_lo
	s_or_b32 s53, s52, s53
	s_or_b32 s52, s54, s0
	s_xor_b32 s0, exec_lo, -1
	s_and_b32 s47, s47, exec_lo
.LBB93_104:
	s_or_b32 exec_lo, exec_lo, s87
	s_delay_alu instid0(SALU_CYCLE_1)
	s_and_not1_b32 s54, s81, exec_lo
	s_and_b32 s53, s53, exec_lo
	s_and_b32 s52, s52, exec_lo
	s_or_b32 s54, s54, s53
	s_and_not1_b32 s53, s82, exec_lo
	s_and_not1_b32 s56, s83, exec_lo
	s_and_b32 s0, s0, exec_lo
	s_or_b32 s55, s53, s52
	s_or_b32 s53, s56, s0
	s_xor_b32 s0, exec_lo, -1
	s_and_b32 s52, s47, exec_lo
.LBB93_105:
	s_or_b32 exec_lo, exec_lo, s86
	s_delay_alu instid0(SALU_CYCLE_1)
	s_and_not1_b32 s47, s81, exec_lo
	s_and_b32 s54, s54, exec_lo
	s_and_not1_b32 s56, s82, exec_lo
	s_and_b32 s55, s55, exec_lo
	s_or_b32 s57, s47, s54
	s_or_b32 s47, s56, s55
	s_and_not1_b32 s54, s83, exec_lo
	s_and_b32 s53, s53, exec_lo
	s_and_not1_b32 s55, s80, exec_lo
	s_and_b32 s0, s0, exec_lo
	s_or_b32 s56, s54, s53
	s_or_b32 s0, s55, s0
	s_or_not1_b32 s53, s52, exec_lo
.LBB93_106:
	s_or_b32 exec_lo, exec_lo, s85
	s_mov_b32 s52, 0
                                        ; implicit-def: $vgpr12
                                        ; implicit-def: $vgpr4
                                        ; implicit-def: $vgpr7
                                        ; implicit-def: $vgpr6
                                        ; implicit-def: $vgpr5
	s_and_saveexec_b32 s58, s53
	s_cbranch_execz .LBB93_122
; %bb.107:
	s_mov_b32 s53, s0
	s_mov_b32 s59, exec_lo
                                        ; implicit-def: $vgpr12
                                        ; implicit-def: $vgpr4
                                        ; implicit-def: $vgpr7
                                        ; implicit-def: $vgpr6
                                        ; implicit-def: $vgpr5
	v_cmpx_gt_i32_e64 s74, v0
	s_cbranch_execz .LBB93_121
; %bb.108:
	s_and_not1_b32 vcc_lo, exec_lo, s66
	s_cbranch_vccnz .LBB93_114
; %bb.109:
	s_and_not1_b32 vcc_lo, exec_lo, s75
	s_cbranch_vccnz .LBB93_115
; %bb.110:
	v_dual_mov_b32 v5, 0 :: v_dual_mov_b32 v1, v0
	v_dual_mov_b32 v6, 0 :: v_dual_mov_b32 v7, 0
	v_dual_mov_b32 v4, 0 :: v_dual_mov_b32 v12, 0
	v_mov_b32_e32 v8, 0
	s_add_co_i32 s54, s72, 1
	s_mov_b64 s[52:53], 0xffffffffffffffd0
	s_and_b32 s60, s54, 30
	s_add_nc_u64 s[52:53], s[2:3], s[52:53]
	s_mov_b64 s[54:55], s[2:3]
.LBB93_111:                             ; =>This Inner Loop Header: Depth=1
	s_clause 0x1
	s_load_b128 s[96:99], s[54:55], 0x4
	s_load_b64 s[62:63], s[54:55], 0x14
	s_clause 0x1
	s_load_b256 s[88:95], s[52:53], 0xf4
	s_load_b128 s[100:103], s[52:53], 0x114
	s_add_co_i32 s60, s60, -2
	s_wait_xcnt 0x0
	s_add_nc_u64 s[54:55], s[54:55], 24
	s_cmp_eq_u32 s60, 0
	s_add_nc_u64 s[52:53], s[52:53], 48
	s_wait_kmcnt 0x0
	v_mul_hi_u32 v2, s97, v1
	s_delay_alu instid0(VALU_DEP_1) | instskip(NEXT) | instid1(VALU_DEP_1)
	v_add_nc_u32_e32 v2, v1, v2
	v_lshrrev_b32_e32 v2, s98, v2
	s_delay_alu instid0(VALU_DEP_1) | instskip(SKIP_1) | instid1(VALU_DEP_1)
	v_mul_hi_u32 v3, s62, v2
	v_mul_lo_u32 v9, v2, s96
	v_dual_add_nc_u32 v3, v2, v3 :: v_dual_sub_nc_u32 v9, v1, v9
	s_delay_alu instid0(VALU_DEP_1) | instskip(NEXT) | instid1(VALU_DEP_2)
	v_lshrrev_b32_e32 v1, s63, v3
	v_mad_u32 v3, v9, s89, v8
	v_mad_u32 v10, v9, s88, v12
	;; [unrolled: 1-line block ×4, first 2 shown]
	v_mul_lo_u32 v8, v1, s99
	v_mad_u32 v6, s93, v9, v6
	v_mad_u32 v5, s92, v9, v5
	s_delay_alu instid0(VALU_DEP_3) | instskip(NEXT) | instid1(VALU_DEP_1)
	v_sub_nc_u32_e32 v2, v2, v8
	v_mad_u32 v8, v2, s95, v3
	v_mad_u32 v12, v2, s94, v10
	;; [unrolled: 1-line block ×6, first 2 shown]
	s_cbranch_scc0 .LBB93_111
; %bb.112:
	s_bitcmp1_b32 s72, 0
	s_cselect_b32 s60, -1, 0
	s_delay_alu instid0(SALU_CYCLE_1)
	s_and_b32 vcc_lo, exec_lo, s60
	s_cbranch_vccnz .LBB93_116
; %bb.113:
	s_load_b96 s[88:90], s[54:55], 0x4
	s_load_b128 s[60:63], s[52:53], 0xf4
	s_wait_xcnt 0x0
	s_load_b64 s[54:55], s[52:53], 0x104
	s_wait_kmcnt 0x0
	v_mul_hi_u32 v2, s89, v1
	s_delay_alu instid0(VALU_DEP_1) | instskip(NEXT) | instid1(VALU_DEP_1)
	v_add_nc_u32_e32 v2, v1, v2
	v_lshrrev_b32_e32 v2, s90, v2
	s_delay_alu instid0(VALU_DEP_1) | instskip(NEXT) | instid1(VALU_DEP_1)
	v_mul_lo_u32 v2, v2, s88
	v_sub_nc_u32_e32 v1, v1, v2
	s_delay_alu instid0(VALU_DEP_1)
	v_mad_u32 v12, v1, s60, v12
	v_mad_u32 v8, v1, s61, v8
	;; [unrolled: 1-line block ×6, first 2 shown]
	s_branch .LBB93_116
.LBB93_114:
	s_mov_b32 s52, -1
                                        ; implicit-def: $vgpr8
                                        ; implicit-def: $vgpr12
                                        ; implicit-def: $vgpr4
                                        ; implicit-def: $vgpr7
                                        ; implicit-def: $vgpr6
                                        ; implicit-def: $vgpr5
	s_branch .LBB93_117
.LBB93_115:
	v_dual_mov_b32 v8, 0 :: v_dual_mov_b32 v12, 0
	v_dual_mov_b32 v4, 0 :: v_dual_mov_b32 v7, 0
	;; [unrolled: 1-line block ×3, first 2 shown]
.LBB93_116:
	s_mov_b32 s52, 0
.LBB93_117:
	s_delay_alu instid0(SALU_CYCLE_1)
	s_and_not1_b32 vcc_lo, exec_lo, s52
	s_cbranch_vccnz .LBB93_120
; %bb.118:
	v_mov_b32_e32 v1, 0
	s_and_not1_b32 vcc_lo, exec_lo, s71
	s_delay_alu instid0(VALU_DEP_1) | instskip(NEXT) | instid1(VALU_DEP_1)
	v_mul_u64_e32 v[2:3], s[48:49], v[0:1]
	v_add_nc_u32_e32 v2, v0, v3
	s_delay_alu instid0(VALU_DEP_1) | instskip(NEXT) | instid1(VALU_DEP_1)
	v_lshrrev_b32_e32 v2, s42, v2
	v_mul_lo_u32 v3, v2, s40
	s_delay_alu instid0(VALU_DEP_1) | instskip(NEXT) | instid1(VALU_DEP_1)
	v_sub_nc_u32_e32 v0, v0, v3
	v_mul_lo_u32 v8, v0, s21
	v_mul_lo_u32 v12, v0, s20
	v_mul_lo_u32 v4, v0, s23
	v_mul_lo_u32 v7, v0, s22
	v_mul_lo_u32 v6, s25, v0
	v_mul_lo_u32 v5, s24, v0
	s_cbranch_vccnz .LBB93_120
; %bb.119:
	v_mov_b32_e32 v3, v1
	s_delay_alu instid0(VALU_DEP_1) | instskip(NEXT) | instid1(VALU_DEP_1)
	v_mul_u64_e32 v[0:1], s[50:51], v[2:3]
	v_add_nc_u32_e32 v0, v2, v1
	s_delay_alu instid0(VALU_DEP_1) | instskip(NEXT) | instid1(VALU_DEP_1)
	v_lshrrev_b32_e32 v0, s1, v0
	v_mul_lo_u32 v0, v0, s43
	s_delay_alu instid0(VALU_DEP_1) | instskip(NEXT) | instid1(VALU_DEP_1)
	v_sub_nc_u32_e32 v0, v2, v0
	v_mad_u32 v12, v0, s26, v12
	v_mad_u32 v8, v0, s27, v8
	v_mad_u32 v7, v0, s36, v7
	v_mad_u32 v4, v0, s37, v4
	v_mad_u32 v5, s38, v0, v5
	v_mad_u32 v6, s39, v0, v6
.LBB93_120:
	global_load_b64 v[0:1], v8, s[6:7]
	s_xor_b32 s1, s70, -1
	s_wait_xcnt 0x0
	s_and_not1_b32 s6, s0, exec_lo
	s_mov_b32 s52, exec_lo
	s_wait_loadcnt 0x0
	v_cmp_ne_u64_e32 vcc_lo, s[16:17], v[0:1]
	s_or_b32 s1, s1, vcc_lo
	s_delay_alu instid0(SALU_CYCLE_1) | instskip(NEXT) | instid1(SALU_CYCLE_1)
	s_and_b32 s1, s1, exec_lo
	s_or_b32 s53, s6, s1
.LBB93_121:
	s_or_b32 exec_lo, exec_lo, s59
	s_delay_alu instid0(SALU_CYCLE_1)
	s_and_not1_b32 s0, s0, exec_lo
	s_and_b32 s1, s53, exec_lo
	s_and_b32 s52, s52, exec_lo
	s_or_b32 s0, s0, s1
.LBB93_122:
	s_or_b32 exec_lo, exec_lo, s58
	s_delay_alu instid0(SALU_CYCLE_1)
	s_and_not1_b32 s1, s81, exec_lo
	s_and_b32 s6, s57, exec_lo
	s_and_not1_b32 s7, s83, exec_lo
	s_or_b32 s81, s1, s6
	s_and_not1_b32 s1, s82, exec_lo
	s_and_b32 s6, s47, exec_lo
	s_and_b32 s20, s56, exec_lo
	s_or_b32 s82, s1, s6
	s_and_not1_b32 s1, s80, exec_lo
	s_and_b32 s6, s0, exec_lo
	s_or_b32 s83, s7, s20
	s_and_b32 s0, s52, exec_lo
	s_or_b32 s80, s1, s6
.LBB93_123:
	s_or_b32 exec_lo, exec_lo, s84
	s_delay_alu instid0(SALU_CYCLE_1)
	s_and_not1_b32 s1, s73, exec_lo
	s_and_b32 s6, s81, exec_lo
	s_and_not1_b32 s7, s77, exec_lo
	s_or_b32 s73, s1, s6
	s_and_not1_b32 s1, s76, exec_lo
	s_and_b32 s6, s82, exec_lo
	s_and_b32 s20, s83, exec_lo
	s_or_b32 s76, s1, s6
	s_and_not1_b32 s1, s78, exec_lo
	s_and_b32 s6, s80, exec_lo
	s_or_b32 s77, s7, s20
	s_and_b32 s49, s0, exec_lo
	s_or_b32 s78, s1, s6
.LBB93_124:
	s_or_b32 exec_lo, exec_lo, s79
	s_mov_b32 s0, 0
	s_mov_b32 s1, 0
	s_and_saveexec_b32 s6, s78
	s_cbranch_execnz .LBB93_128
; %bb.125:
	s_or_b32 exec_lo, exec_lo, s6
	s_and_saveexec_b32 s6, s49
	s_delay_alu instid0(SALU_CYCLE_1)
	s_xor_b32 s6, exec_lo, s6
	s_cbranch_execz .LBB93_129
.LBB93_126:
	global_load_b64 v[0:1], v7, s[8:9]
	s_xor_b32 s7, s69, -1
	s_wait_xcnt 0x0
	s_and_not1_b32 s8, s77, exec_lo
	s_mov_b32 s0, exec_lo
	s_wait_loadcnt 0x0
	v_cmp_ne_u64_e32 vcc_lo, s[28:29], v[0:1]
	s_or_b32 s7, s7, vcc_lo
	s_delay_alu instid0(SALU_CYCLE_1) | instskip(NEXT) | instid1(SALU_CYCLE_1)
	s_and_b32 s7, s7, exec_lo
	s_or_b32 s77, s8, s7
	s_or_b32 exec_lo, exec_lo, s6
	s_and_saveexec_b32 s6, s77
	s_cbranch_execz .LBB93_130
.LBB93_127:
	s_or_b32 s1, s1, exec_lo
	s_and_not1_b32 s0, s0, exec_lo
	s_trap 2
	s_branch .LBB93_130
.LBB93_128:
	s_mov_b32 s1, exec_lo
	s_and_not1_b32 s49, s49, exec_lo
	s_trap 2
	s_or_b32 exec_lo, exec_lo, s6
	s_and_saveexec_b32 s6, s49
	s_delay_alu instid0(SALU_CYCLE_1)
	s_xor_b32 s6, exec_lo, s6
	s_cbranch_execnz .LBB93_126
.LBB93_129:
	s_or_b32 exec_lo, exec_lo, s6
	s_and_saveexec_b32 s6, s77
	s_cbranch_execnz .LBB93_127
.LBB93_130:
	s_or_b32 exec_lo, exec_lo, s6
	s_mov_b32 s6, 0
                                        ; implicit-def: $vgpr0_vgpr1
                                        ; implicit-def: $vgpr2_vgpr3
	s_and_saveexec_b32 s7, s0
	s_delay_alu instid0(SALU_CYCLE_1)
	s_xor_b32 s7, exec_lo, s7
	s_cbranch_execz .LBB93_147
; %bb.131:
	global_load_b64 v[2:3], v4, s[10:11]
	global_load_b64 v[0:1], v5, s[12:13]
	s_and_not1_b32 s8, s76, exec_lo
	s_mov_b32 s6, exec_lo
	s_wait_loadcnt 0x0
	v_sub_nc_u64_e32 v[4:5], v[0:1], v[2:3]
	s_delay_alu instid0(VALU_DEP_1) | instskip(SKIP_2) | instid1(SALU_CYCLE_1)
	v_cmp_le_i64_e32 vcc_lo, s[16:17], v[4:5]
	v_cmp_ge_i64_e64 s0, s[18:19], v[4:5]
	s_and_b32 s0, vcc_lo, s0
	s_and_b32 s0, s68, s0
	s_delay_alu instid0(SALU_CYCLE_1) | instskip(NEXT) | instid1(SALU_CYCLE_1)
	s_xor_b32 s0, s0, -1
	s_and_b32 s0, s0, exec_lo
	s_delay_alu instid0(SALU_CYCLE_1)
	s_or_b32 s76, s8, s0
	s_or_b32 exec_lo, exec_lo, s7
	s_and_saveexec_b32 s0, s76
	s_cbranch_execz .LBB93_148
.LBB93_132:
	s_or_b32 s1, s1, exec_lo
	s_and_not1_b32 s6, s6, exec_lo
	s_trap 2
	s_or_b32 exec_lo, exec_lo, s0
	s_mov_b32 s0, 0
	s_and_saveexec_b32 s16, s6
	s_cbranch_execnz .LBB93_149
.LBB93_133:
	s_or_b32 exec_lo, exec_lo, s16
	s_and_saveexec_b32 s6, s73
	s_cbranch_execnz .LBB93_167
.LBB93_134:
	s_or_b32 exec_lo, exec_lo, s6
	s_and_saveexec_b32 s6, s0
	s_delay_alu instid0(SALU_CYCLE_1)
	s_xor_b32 s0, exec_lo, s6
	s_cbranch_execz .LBB93_136
.LBB93_135:
	v_mov_b64_e32 v[0:1], 0
	global_store_b64 v12, v[0:1], s[4:5]
.LBB93_136:
	s_wait_xcnt 0x0
	s_or_b32 exec_lo, exec_lo, s0
	s_delay_alu instid0(SALU_CYCLE_1)
	s_and_b32 s36, s1, exec_lo
                                        ; implicit-def: $vgpr2
                                        ; implicit-def: $vgpr0
.LBB93_137:
	s_or_saveexec_b32 s37, s67
                                        ; implicit-def: $sgpr4_sgpr5_sgpr6_sgpr7_sgpr8_sgpr9_sgpr10_sgpr11_sgpr12_sgpr13_sgpr14_sgpr15_sgpr16_sgpr17_sgpr18_sgpr19
                                        ; implicit-def: $vgpr19
                                        ; implicit-def: $vgpr18
                                        ; implicit-def: $vgpr17
                                        ; implicit-def: $vgpr16
	s_delay_alu instid0(SALU_CYCLE_1)
	s_xor_b32 exec_lo, exec_lo, s37
	s_cbranch_execz .LBB93_144
; %bb.138:
	v_cndmask_b32_e64 v4, 0, 1, s66
	s_and_not1_b32 vcc_lo, exec_lo, s66
	s_cbranch_vccnz .LBB93_156
; %bb.139:
	s_cmp_lg_u32 s33, 0
	s_mov_b32 s6, 0
	s_cbranch_scc0 .LBB93_168
; %bb.140:
	s_min_u32 s7, s64, 15
	v_dual_mov_b32 v8, 0 :: v_dual_mov_b32 v5, v0
	v_dual_mov_b32 v10, 0 :: v_dual_mov_b32 v1, 0
	;; [unrolled: 1-line block ×3, first 2 shown]
	v_mov_b32_e32 v3, 0
	s_add_co_i32 s4, s7, 1
	s_mov_b64 s[0:1], 0xffffffffffffffd0
	s_and_b32 s8, s4, 30
	s_add_nc_u64 s[0:1], s[2:3], s[0:1]
	s_mov_b64 s[4:5], s[2:3]
.LBB93_141:                             ; =>This Inner Loop Header: Depth=1
	s_clause 0x1
	s_load_b128 s[20:23], s[4:5], 0x4
	s_load_b64 s[10:11], s[4:5], 0x14
	s_clause 0x1
	s_load_b256 s[12:19], s[0:1], 0xf4
	s_load_b128 s[24:27], s[0:1], 0x114
	s_add_co_i32 s8, s8, -2
	s_wait_xcnt 0x0
	s_add_nc_u64 s[4:5], s[4:5], 24
	s_cmp_lg_u32 s8, 0
	s_add_nc_u64 s[0:1], s[0:1], 48
	s_wait_kmcnt 0x0
	v_mul_hi_u32 v6, s21, v5
	s_delay_alu instid0(VALU_DEP_1) | instskip(NEXT) | instid1(VALU_DEP_1)
	v_add_nc_u32_e32 v6, v5, v6
	v_lshrrev_b32_e32 v6, s22, v6
	s_delay_alu instid0(VALU_DEP_1) | instskip(SKIP_1) | instid1(VALU_DEP_2)
	v_mul_hi_u32 v7, s10, v6
	v_mul_lo_u32 v11, v6, s20
	v_add_nc_u32_e32 v7, v6, v7
	s_delay_alu instid0(VALU_DEP_2) | instskip(NEXT) | instid1(VALU_DEP_2)
	v_sub_nc_u32_e32 v11, v5, v11
	v_lshrrev_b32_e32 v5, s11, v7
	s_delay_alu instid0(VALU_DEP_2)
	v_mad_u32 v3, v11, s13, v3
	v_mad_u32 v12, v11, s12, v16
	;; [unrolled: 1-line block ×4, first 2 shown]
	v_mul_lo_u32 v7, v5, s23
	v_mad_u32 v10, s17, v11, v10
	v_mad_u32 v8, s16, v11, v8
	s_delay_alu instid0(VALU_DEP_3) | instskip(NEXT) | instid1(VALU_DEP_1)
	v_sub_nc_u32_e32 v6, v6, v7
	v_mad_u32 v3, v6, s19, v3
	v_mad_u32 v16, v6, s18, v12
	v_mad_u32 v9, v6, s25, v9
	v_mad_u32 v1, v6, s24, v1
	v_mad_u32 v10, s27, v6, v10
	v_mad_u32 v8, s26, v6, v8
	s_cbranch_scc1 .LBB93_141
; %bb.142:
	s_bitcmp1_b32 s7, 0
	s_cselect_b32 s7, -1, 0
	s_delay_alu instid0(SALU_CYCLE_1)
	s_and_b32 vcc_lo, exec_lo, s7
	s_cbranch_vccnz .LBB93_157
; %bb.143:
	s_load_b96 s[12:14], s[4:5], 0x4
	s_load_b128 s[8:11], s[0:1], 0xf4
	s_wait_xcnt 0x0
	s_load_b64 s[4:5], s[0:1], 0x104
	s_wait_kmcnt 0x0
	v_mul_hi_u32 v6, s13, v5
	s_delay_alu instid0(VALU_DEP_1) | instskip(NEXT) | instid1(VALU_DEP_1)
	v_add_nc_u32_e32 v6, v5, v6
	v_lshrrev_b32_e32 v6, s14, v6
	s_delay_alu instid0(VALU_DEP_1) | instskip(NEXT) | instid1(VALU_DEP_1)
	v_mul_lo_u32 v6, v6, s12
	v_sub_nc_u32_e32 v5, v5, v6
	s_delay_alu instid0(VALU_DEP_1)
	v_mad_u32 v16, v5, s8, v16
	v_mad_u32 v3, v5, s9, v3
	;; [unrolled: 1-line block ×6, first 2 shown]
	s_and_not1_b32 vcc_lo, exec_lo, s6
	s_cbranch_vccz .LBB93_158
	s_branch .LBB93_169
.LBB93_144:
	s_or_b32 exec_lo, exec_lo, s37
	s_and_saveexec_b32 s0, s36
	s_cbranch_execz .LBB93_308
.LBB93_145:
	; divergent unreachable
	s_or_b32 exec_lo, exec_lo, s0
	s_and_saveexec_b32 s0, s65
	s_cbranch_execnz .LBB93_309
.LBB93_146:
	s_endpgm
.LBB93_147:
	s_or_b32 exec_lo, exec_lo, s7
	s_and_saveexec_b32 s0, s76
	s_cbranch_execnz .LBB93_132
.LBB93_148:
	s_or_b32 exec_lo, exec_lo, s0
	s_mov_b32 s0, 0
	s_and_saveexec_b32 s16, s6
	s_cbranch_execz .LBB93_133
.LBB93_149:
	v_cmp_lt_i64_e64 s0, s[28:29], 1
	v_mov_b64_e32 v[4:5], 0
	s_xor_b32 s6, s41, -1
	s_delay_alu instid0(SALU_CYCLE_1) | instskip(NEXT) | instid1(SALU_CYCLE_1)
	s_or_b32 s0, s0, s6
	s_and_b32 vcc_lo, exec_lo, s0
	s_cbranch_vccnz .LBB93_160
; %bb.150:
	global_load_b64 v[4:5], v6, s[14:15]
	s_mov_b32 s47, 0
	s_wait_xcnt 0x0
	v_mov_b32_e32 v6, 0
	s_lshl_b64 s[8:9], s[46:47], 3
	s_mov_b64 s[6:7], 0xffffffff
	s_add_nc_u64 s[8:9], s[2:3], s[8:9]
	s_delay_alu instid0(SALU_CYCLE_1)
	s_add_nc_u64 s[8:9], s[8:9], 0x298
	s_wait_loadcnt 0x0
	v_mul_u64_e32 v[8:9], s[28:29], v[4:5]
	v_mov_b64_e32 v[4:5], 0
	s_branch .LBB93_152
.LBB93_151:                             ;   in Loop: Header=BB93_152 Depth=1
	s_or_b32 exec_lo, exec_lo, s0
	s_delay_alu instid0(VALU_DEP_1)
	v_mul_u64_e32 v[14:15], s[10:11], v[10:11]
	s_load_b64 s[10:11], s[8:9], 0x40
	s_add_co_i32 s30, s30, -1
	s_wait_xcnt 0x0
	s_add_nc_u64 s[8:9], s[8:9], -8
	s_cmp_lg_u32 s30, 0
	s_delay_alu instid0(VALU_DEP_1) | instskip(SKIP_1) | instid1(VALU_DEP_1)
	v_sub_nc_u64_e32 v[8:9], v[8:9], v[14:15]
	s_wait_kmcnt 0x0
	v_mad_nc_u64_u32 v[4:5], v8, s10, v[4:5]
	s_delay_alu instid0(VALU_DEP_1) | instskip(NEXT) | instid1(VALU_DEP_1)
	v_mad_u32 v5, v9, s10, v5
	v_mad_u32 v5, v8, s11, v5
	v_mov_b64_e32 v[8:9], v[10:11]
	s_cbranch_scc0 .LBB93_160
.LBB93_152:                             ; =>This Inner Loop Header: Depth=1
	s_load_b64 s[10:11], s[8:9], 0x0
                                        ; implicit-def: $vgpr10_vgpr11
	s_mov_b32 s0, exec_lo
	s_wait_kmcnt 0x0
	s_delay_alu instid0(VALU_DEP_1) | instskip(NEXT) | instid1(VALU_DEP_1)
	v_or_b32_e32 v7, s11, v9
	v_cmpx_ne_u64_e32 0, v[6:7]
	s_xor_b32 s17, exec_lo, s0
	s_cbranch_execz .LBB93_154
; %bb.153:                              ;   in Loop: Header=BB93_152 Depth=1
	s_ashr_i32 s12, s11, 31
	v_dual_mov_b32 v17, v6 :: v_dual_ashrrev_i32 v10, 31, v9
	s_mov_b32 s13, s12
	v_mov_b32_e32 v21, v6
	s_add_nc_u64 s[14:15], s[10:11], s[12:13]
	s_delay_alu instid0(VALU_DEP_2)
	v_mov_b32_e32 v11, v10
	s_xor_b64 s[14:15], s[14:15], s[12:13]
	v_mov_b32_e32 v25, v6
	s_cvt_f32_u32 s0, s14
	s_cvt_f32_u32 s13, s15
	s_sub_nc_u64 s[20:21], 0, s[14:15]
	v_add_nc_u64_e32 v[14:15], v[8:9], v[10:11]
	s_delay_alu instid0(SALU_CYCLE_1) | instskip(NEXT) | instid1(SALU_CYCLE_3)
	s_fmamk_f32 s0, s13, 0x4f800000, s0
	v_s_rcp_f32 s0, s0
	s_delay_alu instid0(VALU_DEP_1) | instskip(NEXT) | instid1(VALU_DEP_2)
	v_xor_b32_e32 v20, v15, v10
	v_xor_b32_e32 v16, v14, v10
	s_delay_alu instid0(TRANS32_DEP_1) | instskip(NEXT) | instid1(SALU_CYCLE_3)
	s_mul_f32 s0, s0, 0x5f7ffffc
	s_mul_f32 s13, s0, 0x2f800000
	s_delay_alu instid0(SALU_CYCLE_3) | instskip(NEXT) | instid1(SALU_CYCLE_3)
	s_trunc_f32 s13, s13
	s_fmamk_f32 s0, s13, 0xcf800000, s0
	s_cvt_u32_f32 s19, s13
	s_delay_alu instid0(SALU_CYCLE_2) | instskip(NEXT) | instid1(SALU_CYCLE_3)
	s_cvt_u32_f32 s18, s0
	s_mul_u64 s[22:23], s[20:21], s[18:19]
	s_delay_alu instid0(SALU_CYCLE_1)
	s_mul_hi_u32 s25, s18, s23
	s_mul_i32 s24, s18, s23
	s_mul_hi_u32 s46, s18, s22
	s_mul_i32 s13, s19, s22
	s_add_nc_u64 s[24:25], s[46:47], s[24:25]
	s_mul_hi_u32 s0, s19, s22
	s_mul_hi_u32 s26, s19, s23
	s_add_co_u32 s13, s24, s13
	s_add_co_ci_u32 s46, s25, s0
	s_mul_i32 s22, s19, s23
	s_add_co_ci_u32 s23, s26, 0
	s_delay_alu instid0(SALU_CYCLE_1) | instskip(NEXT) | instid1(SALU_CYCLE_1)
	s_add_nc_u64 s[22:23], s[46:47], s[22:23]
	s_add_co_u32 s18, s18, s22
	s_cselect_b32 s0, -1, 0
	s_delay_alu instid0(SALU_CYCLE_1) | instskip(SKIP_1) | instid1(SALU_CYCLE_1)
	s_cmp_lg_u32 s0, 0
	s_add_co_ci_u32 s19, s19, s23
	s_mul_u64 s[20:21], s[20:21], s[18:19]
	s_delay_alu instid0(SALU_CYCLE_1)
	s_mul_hi_u32 s23, s18, s21
	s_mul_i32 s22, s18, s21
	s_mul_hi_u32 s46, s18, s20
	s_mul_i32 s13, s19, s20
	s_add_nc_u64 s[22:23], s[46:47], s[22:23]
	s_mul_hi_u32 s0, s19, s20
	s_mul_hi_u32 s24, s19, s21
	s_add_co_u32 s13, s22, s13
	s_add_co_ci_u32 s46, s23, s0
	s_mul_i32 s20, s19, s21
	s_add_co_ci_u32 s21, s24, 0
	s_delay_alu instid0(SALU_CYCLE_1) | instskip(NEXT) | instid1(SALU_CYCLE_1)
	s_add_nc_u64 s[20:21], s[46:47], s[20:21]
	s_add_co_u32 s0, s18, s20
	s_cselect_b32 s13, -1, 0
	v_mul_hi_u32 v24, v16, s0
	s_cmp_lg_u32 s13, 0
	s_add_co_ci_u32 s46, s19, s21
	s_and_b64 s[18:19], s[0:1], s[6:7]
	v_mul_u64_e32 v[18:19], s[46:47], v[16:17]
	v_mul_u64_e32 v[14:15], s[18:19], v[20:21]
	;; [unrolled: 1-line block ×3, first 2 shown]
	s_delay_alu instid0(VALU_DEP_3) | instskip(NEXT) | instid1(VALU_DEP_1)
	v_add_nc_u64_e32 v[18:19], v[24:25], v[18:19]
	v_add_co_u32 v7, vcc_lo, v18, v14
	s_delay_alu instid0(VALU_DEP_2) | instskip(NEXT) | instid1(VALU_DEP_4)
	v_add_co_ci_u32_e32 v24, vcc_lo, v19, v15, vcc_lo
	v_add_co_ci_u32_e32 v23, vcc_lo, 0, v23, vcc_lo
	s_delay_alu instid0(VALU_DEP_1) | instskip(NEXT) | instid1(VALU_DEP_1)
	v_add_nc_u64_e32 v[14:15], v[24:25], v[22:23]
	v_mul_u64_e32 v[18:19], s[14:15], v[14:15]
	s_delay_alu instid0(VALU_DEP_1) | instskip(NEXT) | instid1(VALU_DEP_2)
	v_sub_nc_u32_e32 v7, v20, v19
	v_sub_co_u32 v11, vcc_lo, v16, v18
	s_delay_alu instid0(VALU_DEP_1) | instskip(NEXT) | instid1(VALU_DEP_3)
	v_sub_co_ci_u32_e64 v20, null, v20, v19, vcc_lo
	v_subrev_co_ci_u32_e64 v7, null, s15, v7, vcc_lo
	s_delay_alu instid0(VALU_DEP_3) | instskip(SKIP_1) | instid1(VALU_DEP_3)
	v_sub_co_u32 v13, s0, v11, s14
	v_add_nc_u64_e32 v[18:19], 1, v[14:15]
	v_subrev_co_ci_u32_e64 v7, null, 0, v7, s0
	s_delay_alu instid0(VALU_DEP_3) | instskip(SKIP_1) | instid1(VALU_DEP_3)
	v_cmp_le_u32_e32 vcc_lo, s14, v13
	v_cndmask_b32_e64 v13, 0, -1, vcc_lo
	v_cmp_le_u32_e32 vcc_lo, s15, v7
	v_cndmask_b32_e64 v16, 0, -1, vcc_lo
	;; [unrolled: 2-line block ×4, first 2 shown]
	v_cmp_eq_u32_e32 vcc_lo, s15, v7
	v_cndmask_b32_e32 v7, v16, v13, vcc_lo
	v_cmp_eq_u32_e32 vcc_lo, s15, v20
	v_add_nc_u64_e32 v[16:17], 2, v[14:15]
	v_cndmask_b32_e32 v11, v21, v11, vcc_lo
	s_delay_alu instid0(VALU_DEP_4) | instskip(NEXT) | instid1(VALU_DEP_2)
	v_cmp_ne_u32_e32 vcc_lo, 0, v7
	v_cmp_ne_u32_e64 s0, 0, v11
	s_delay_alu instid0(VALU_DEP_4) | instskip(NEXT) | instid1(VALU_DEP_1)
	v_dual_cndmask_b32 v7, v19, v17, vcc_lo :: v_dual_cndmask_b32 v11, v18, v16, vcc_lo
	v_dual_cndmask_b32 v7, v15, v7, s0 :: v_dual_bitop2_b32 v10, s12, v10 bitop3:0x14
	s_delay_alu instid0(VALU_DEP_1) | instskip(NEXT) | instid1(VALU_DEP_1)
	v_dual_cndmask_b32 v13, v14, v11, s0 :: v_dual_bitop2_b32 v15, v7, v10 bitop3:0x14
	v_dual_mov_b32 v11, v10 :: v_dual_bitop2_b32 v14, v13, v10 bitop3:0x14
	s_delay_alu instid0(VALU_DEP_1)
	v_sub_nc_u64_e32 v[10:11], v[14:15], v[10:11]
.LBB93_154:                             ;   in Loop: Header=BB93_152 Depth=1
	s_and_not1_saveexec_b32 s0, s17
	s_cbranch_execz .LBB93_151
; %bb.155:                              ;   in Loop: Header=BB93_152 Depth=1
	v_cvt_f32_u32_e32 v7, s10
	s_sub_co_i32 s12, 0, s10
	s_delay_alu instid0(VALU_DEP_1) | instskip(SKIP_1) | instid1(TRANS32_DEP_1)
	v_rcp_iflag_f32_e32 v7, v7
	v_nop
	v_mul_f32_e32 v7, 0x4f7ffffe, v7
	s_delay_alu instid0(VALU_DEP_1) | instskip(NEXT) | instid1(VALU_DEP_1)
	v_cvt_u32_f32_e32 v7, v7
	v_mul_lo_u32 v10, s12, v7
	s_delay_alu instid0(VALU_DEP_1) | instskip(NEXT) | instid1(VALU_DEP_1)
	v_mul_hi_u32 v10, v7, v10
	v_add_nc_u32_e32 v7, v7, v10
	s_delay_alu instid0(VALU_DEP_1) | instskip(NEXT) | instid1(VALU_DEP_1)
	v_mul_hi_u32 v7, v8, v7
	v_mul_lo_u32 v10, v7, s10
	s_delay_alu instid0(VALU_DEP_1) | instskip(NEXT) | instid1(VALU_DEP_1)
	v_dual_add_nc_u32 v11, 1, v7 :: v_dual_sub_nc_u32 v10, v8, v10
	v_subrev_nc_u32_e32 v13, s10, v10
	v_cmp_le_u32_e32 vcc_lo, s10, v10
	s_delay_alu instid0(VALU_DEP_2) | instskip(NEXT) | instid1(VALU_DEP_1)
	v_dual_cndmask_b32 v10, v10, v13 :: v_dual_cndmask_b32 v7, v7, v11
	v_cmp_le_u32_e32 vcc_lo, s10, v10
	s_delay_alu instid0(VALU_DEP_2) | instskip(NEXT) | instid1(VALU_DEP_1)
	v_add_nc_u32_e32 v11, 1, v7
	v_dual_cndmask_b32 v10, v7, v11 :: v_dual_mov_b32 v11, v6
	s_branch .LBB93_151
.LBB93_156:
	s_mov_b32 s6, -1
                                        ; implicit-def: $vgpr3
                                        ; implicit-def: $vgpr16
                                        ; implicit-def: $vgpr9
                                        ; implicit-def: $vgpr1
                                        ; implicit-def: $vgpr10
                                        ; implicit-def: $vgpr8
.LBB93_157:
	s_delay_alu instid0(SALU_CYCLE_1)
	s_and_not1_b32 vcc_lo, exec_lo, s6
	s_cbranch_vccnz .LBB93_169
.LBB93_158:
	s_clause 0x2
	s_load_b96 s[8:10], s[2:3], 0x4
	s_load_b128 s[4:7], s[2:3], 0xc4
	s_load_b64 s[0:1], s[2:3], 0xd4
	s_cmp_lt_u32 s33, 2
	s_wait_kmcnt 0x0
	v_mul_hi_u32 v1, s9, v0
	s_delay_alu instid0(VALU_DEP_1) | instskip(NEXT) | instid1(VALU_DEP_1)
	v_add_nc_u32_e32 v1, v0, v1
	v_lshrrev_b32_e32 v5, s10, v1
	s_delay_alu instid0(VALU_DEP_1) | instskip(NEXT) | instid1(VALU_DEP_1)
	v_mul_lo_u32 v1, v5, s8
	v_sub_nc_u32_e32 v6, v0, v1
	s_delay_alu instid0(VALU_DEP_1)
	v_mul_lo_u32 v3, v6, s5
	v_mul_lo_u32 v16, v6, s4
	;; [unrolled: 1-line block ×6, first 2 shown]
	s_cbranch_scc1 .LBB93_169
; %bb.159:
	s_clause 0x2
	s_load_b96 s[8:10], s[2:3], 0x10
	s_load_b128 s[4:7], s[2:3], 0xdc
	s_load_b64 s[0:1], s[2:3], 0xec
	s_wait_kmcnt 0x0
	v_mul_hi_u32 v6, s9, v5
	s_delay_alu instid0(VALU_DEP_1) | instskip(NEXT) | instid1(VALU_DEP_1)
	v_add_nc_u32_e32 v6, v5, v6
	v_lshrrev_b32_e32 v6, s10, v6
	s_delay_alu instid0(VALU_DEP_1) | instskip(NEXT) | instid1(VALU_DEP_1)
	v_mul_lo_u32 v6, v6, s8
	v_sub_nc_u32_e32 v5, v5, v6
	s_delay_alu instid0(VALU_DEP_1)
	v_mad_u32 v16, v5, s4, v16
	v_mad_u32 v3, v5, s5, v3
	;; [unrolled: 1-line block ×6, first 2 shown]
	s_branch .LBB93_169
.LBB93_160:
	s_mov_b32 s6, s73
	s_mov_b32 s0, exec_lo
	v_cmpx_gt_i64_e64 v[0:1], v[2:3]
	s_cbranch_execz .LBB93_166
; %bb.161:
	s_delay_alu instid0(VALU_DEP_2) | instskip(SKIP_2) | instid1(VALU_DEP_1)
	v_lshlrev_b64_e32 v[4:5], 3, v[4:5]
	s_mov_b32 s6, 0
	s_xor_b32 s8, s31, -1
                                        ; implicit-def: $sgpr7
                                        ; implicit-def: $sgpr10
                                        ; implicit-def: $sgpr9
	v_lshl_add_u64 v[2:3], v[2:3], 3, v[4:5]
	v_add_nc_u64_e32 v[4:5], s[44:45], v[4:5]
	s_delay_alu instid0(VALU_DEP_2) | instskip(NEXT) | instid1(VALU_DEP_2)
	v_add_nc_u64_e32 v[2:3], s[44:45], v[2:3]
	v_lshl_add_u64 v[0:1], v[0:1], 3, v[4:5]
	s_delay_alu instid0(VALU_DEP_2)
	v_add_nc_u64_e32 v[2:3], 8, v[2:3]
	s_branch .LBB93_163
.LBB93_162:                             ;   in Loop: Header=BB93_163 Depth=1
	s_or_b32 exec_lo, exec_lo, s11
	s_xor_b32 s11, s9, -1
	s_and_b32 s12, exec_lo, s10
	s_delay_alu instid0(SALU_CYCLE_1) | instskip(SKIP_2) | instid1(SALU_CYCLE_1)
	s_or_b32 s6, s12, s6
	s_and_not1_b32 s7, s7, exec_lo
	s_and_b32 s11, s11, exec_lo
	s_or_b32 s7, s7, s11
	s_and_not1_b32 exec_lo, exec_lo, s6
	s_cbranch_execz .LBB93_165
.LBB93_163:                             ; =>This Inner Loop Header: Depth=1
	s_or_b32 s9, s9, exec_lo
	s_or_b32 s10, s10, exec_lo
	s_mov_b32 s11, exec_lo
	s_delay_alu instid0(VALU_DEP_1)
	v_cmpx_lt_u64_e64 v[2:3], v[0:1]
	s_cbranch_execz .LBB93_162
; %bb.164:                              ;   in Loop: Header=BB93_163 Depth=1
	global_load_b128 v[4:7], v[2:3], off offset:-8
	s_wait_xcnt 0x0
	v_add_nc_u64_e32 v[2:3], 8, v[2:3]
	s_and_not1_b32 s10, s10, exec_lo
	s_and_not1_b32 s9, s9, exec_lo
	s_wait_loadcnt 0x0
	v_cmp_ge_i64_e32 vcc_lo, v[4:5], v[6:7]
	s_or_b32 s12, s8, vcc_lo
	s_delay_alu instid0(SALU_CYCLE_1) | instskip(NEXT) | instid1(SALU_CYCLE_1)
	s_and_b32 s12, s12, exec_lo
	s_or_b32 s10, s10, s12
	s_branch .LBB93_162
.LBB93_165:
	s_or_b32 exec_lo, exec_lo, s6
	s_delay_alu instid0(SALU_CYCLE_1) | instskip(SKIP_1) | instid1(SALU_CYCLE_1)
	s_and_not1_b32 s6, s73, exec_lo
	s_and_b32 s7, s7, exec_lo
	s_or_b32 s6, s6, s7
.LBB93_166:
	s_or_b32 exec_lo, exec_lo, s0
	s_delay_alu instid0(SALU_CYCLE_1)
	s_and_not1_b32 s7, s73, exec_lo
	s_and_b32 s6, s6, exec_lo
	s_mov_b32 s0, exec_lo
	s_or_b32 s73, s7, s6
	s_or_b32 exec_lo, exec_lo, s16
	s_and_saveexec_b32 s6, s73
	s_cbranch_execz .LBB93_134
.LBB93_167:
	s_or_b32 s1, s1, exec_lo
	s_and_not1_b32 s0, s0, exec_lo
	s_trap 2
	s_or_b32 exec_lo, exec_lo, s6
	s_and_saveexec_b32 s6, s0
	s_delay_alu instid0(SALU_CYCLE_1)
	s_xor_b32 s0, exec_lo, s6
	s_cbranch_execnz .LBB93_135
	s_branch .LBB93_136
.LBB93_168:
	v_dual_mov_b32 v3, 0 :: v_dual_mov_b32 v16, 0
	v_dual_mov_b32 v9, 0 :: v_dual_mov_b32 v1, 0
	v_dual_mov_b32 v10, 0 :: v_dual_mov_b32 v8, 0
	s_and_not1_b32 vcc_lo, exec_lo, s6
	s_cbranch_vccz .LBB93_158
.LBB93_169:
	v_cmp_ne_u32_e32 vcc_lo, 1, v4
	v_add_nc_u32_e32 v5, 0x80, v0
	s_cbranch_vccnz .LBB93_175
; %bb.170:
	s_cmp_lg_u32 s33, 0
	s_mov_b32 s6, 0
	s_cbranch_scc0 .LBB93_179
; %bb.171:
	s_min_u32 s7, s64, 15
	v_dual_mov_b32 v31, 0 :: v_dual_mov_b32 v6, v5
	v_dual_mov_b32 v30, 0 :: v_dual_mov_b32 v33, 0
	v_dual_mov_b32 v32, 0 :: v_dual_mov_b32 v17, 0
	v_mov_b32_e32 v34, 0
	s_add_co_i32 s4, s7, 1
	s_mov_b64 s[0:1], 0xffffffffffffffd0
	s_and_b32 s8, s4, 30
	s_add_nc_u64 s[0:1], s[2:3], s[0:1]
	s_mov_b64 s[4:5], s[2:3]
.LBB93_172:                             ; =>This Inner Loop Header: Depth=1
	s_clause 0x1
	s_load_b128 s[20:23], s[4:5], 0x4
	s_load_b64 s[10:11], s[4:5], 0x14
	s_clause 0x1
	s_load_b256 s[12:19], s[0:1], 0xf4
	s_load_b128 s[24:27], s[0:1], 0x114
	s_add_co_i32 s8, s8, -2
	s_wait_xcnt 0x0
	s_add_nc_u64 s[4:5], s[4:5], 24
	s_cmp_lg_u32 s8, 0
	s_add_nc_u64 s[0:1], s[0:1], 48
	s_wait_kmcnt 0x0
	v_mul_hi_u32 v7, s21, v6
	s_delay_alu instid0(VALU_DEP_1) | instskip(NEXT) | instid1(VALU_DEP_1)
	v_add_nc_u32_e32 v7, v6, v7
	v_lshrrev_b32_e32 v7, s22, v7
	s_delay_alu instid0(VALU_DEP_1) | instskip(SKIP_1) | instid1(VALU_DEP_1)
	v_mul_hi_u32 v11, s10, v7
	v_mul_lo_u32 v12, v7, s20
	v_dual_add_nc_u32 v11, v7, v11 :: v_dual_sub_nc_u32 v12, v6, v12
	s_delay_alu instid0(VALU_DEP_1) | instskip(NEXT) | instid1(VALU_DEP_2)
	v_lshrrev_b32_e32 v6, s11, v11
	v_mad_u32 v11, v12, s13, v34
	v_mad_u32 v14, v12, s12, v17
	;; [unrolled: 1-line block ×4, first 2 shown]
	v_mul_lo_u32 v13, v6, s23
	v_mad_u32 v19, s17, v12, v30
	v_mad_u32 v12, s16, v12, v31
	s_delay_alu instid0(VALU_DEP_3) | instskip(NEXT) | instid1(VALU_DEP_1)
	v_sub_nc_u32_e32 v7, v7, v13
	v_mad_u32 v34, v7, s19, v11
	v_mad_u32 v17, v7, s18, v14
	;; [unrolled: 1-line block ×6, first 2 shown]
	s_cbranch_scc1 .LBB93_172
; %bb.173:
	s_bitcmp1_b32 s7, 0
	s_cselect_b32 s7, -1, 0
	s_delay_alu instid0(SALU_CYCLE_1)
	s_and_b32 vcc_lo, exec_lo, s7
	s_cbranch_vccnz .LBB93_176
; %bb.174:
	s_load_b96 s[12:14], s[4:5], 0x4
	s_load_b128 s[8:11], s[0:1], 0xf4
	s_wait_xcnt 0x0
	s_load_b64 s[4:5], s[0:1], 0x104
	s_wait_kmcnt 0x0
	v_mul_hi_u32 v7, s13, v6
	s_delay_alu instid0(VALU_DEP_1) | instskip(NEXT) | instid1(VALU_DEP_1)
	v_add_nc_u32_e32 v7, v6, v7
	v_lshrrev_b32_e32 v7, s14, v7
	s_delay_alu instid0(VALU_DEP_1) | instskip(NEXT) | instid1(VALU_DEP_1)
	v_mul_lo_u32 v7, v7, s12
	v_sub_nc_u32_e32 v6, v6, v7
	s_delay_alu instid0(VALU_DEP_1)
	v_mad_u32 v17, v6, s8, v17
	v_mad_u32 v34, v6, s9, v34
	;; [unrolled: 1-line block ×6, first 2 shown]
	s_and_not1_b32 vcc_lo, exec_lo, s6
	s_cbranch_vccz .LBB93_177
	s_branch .LBB93_180
.LBB93_175:
	s_mov_b32 s6, -1
                                        ; implicit-def: $vgpr34
                                        ; implicit-def: $vgpr17
                                        ; implicit-def: $vgpr32
                                        ; implicit-def: $vgpr33
                                        ; implicit-def: $vgpr30
                                        ; implicit-def: $vgpr31
.LBB93_176:
	s_delay_alu instid0(SALU_CYCLE_1)
	s_and_not1_b32 vcc_lo, exec_lo, s6
	s_cbranch_vccnz .LBB93_180
.LBB93_177:
	s_clause 0x2
	s_load_b96 s[8:10], s[2:3], 0x4
	s_load_b128 s[4:7], s[2:3], 0xc4
	s_load_b64 s[0:1], s[2:3], 0xd4
	s_cmp_lt_u32 s33, 2
	s_wait_kmcnt 0x0
	v_mul_hi_u32 v6, s9, v5
	s_delay_alu instid0(VALU_DEP_1) | instskip(NEXT) | instid1(VALU_DEP_1)
	v_add_nc_u32_e32 v6, v5, v6
	v_lshrrev_b32_e32 v6, s10, v6
	s_delay_alu instid0(VALU_DEP_1) | instskip(NEXT) | instid1(VALU_DEP_1)
	v_mul_lo_u32 v7, v6, s8
	v_sub_nc_u32_e32 v5, v5, v7
	s_delay_alu instid0(VALU_DEP_1)
	v_mul_lo_u32 v34, v5, s5
	v_mul_lo_u32 v17, v5, s4
	;; [unrolled: 1-line block ×6, first 2 shown]
	s_cbranch_scc1 .LBB93_180
; %bb.178:
	s_clause 0x2
	s_load_b96 s[8:10], s[2:3], 0x10
	s_load_b128 s[4:7], s[2:3], 0xdc
	s_load_b64 s[0:1], s[2:3], 0xec
	s_wait_kmcnt 0x0
	v_mul_hi_u32 v5, s9, v6
	s_delay_alu instid0(VALU_DEP_1) | instskip(NEXT) | instid1(VALU_DEP_1)
	v_add_nc_u32_e32 v5, v6, v5
	v_lshrrev_b32_e32 v5, s10, v5
	s_delay_alu instid0(VALU_DEP_1) | instskip(NEXT) | instid1(VALU_DEP_1)
	v_mul_lo_u32 v5, v5, s8
	v_sub_nc_u32_e32 v5, v6, v5
	s_delay_alu instid0(VALU_DEP_1)
	v_mad_u32 v17, v5, s4, v17
	v_mad_u32 v34, v5, s5, v34
	;; [unrolled: 1-line block ×6, first 2 shown]
	s_branch .LBB93_180
.LBB93_179:
	v_dual_mov_b32 v34, 0 :: v_dual_mov_b32 v17, 0
	v_dual_mov_b32 v32, 0 :: v_dual_mov_b32 v33, 0
	;; [unrolled: 1-line block ×3, first 2 shown]
	s_and_not1_b32 vcc_lo, exec_lo, s6
	s_cbranch_vccz .LBB93_177
.LBB93_180:
	v_cmp_ne_u32_e32 vcc_lo, 1, v4
	v_add_nc_u32_e32 v0, 0x100, v0
	s_cbranch_vccnz .LBB93_186
; %bb.181:
	s_cmp_lg_u32 s33, 0
	s_mov_b32 s6, 0
	s_cbranch_scc0 .LBB93_190
; %bb.182:
	s_min_u32 s7, s64, 15
	v_dual_mov_b32 v26, 0 :: v_dual_mov_b32 v5, v0
	v_dual_mov_b32 v25, 0 :: v_dual_mov_b32 v28, 0
	;; [unrolled: 1-line block ×3, first 2 shown]
	v_mov_b32_e32 v29, 0
	s_add_co_i32 s4, s7, 1
	s_mov_b64 s[0:1], 0xffffffffffffffd0
	s_and_b32 s8, s4, 30
	s_add_nc_u64 s[0:1], s[2:3], s[0:1]
	s_mov_b64 s[4:5], s[2:3]
.LBB93_183:                             ; =>This Inner Loop Header: Depth=1
	s_clause 0x1
	s_load_b128 s[20:23], s[4:5], 0x4
	s_load_b64 s[10:11], s[4:5], 0x14
	s_clause 0x1
	s_load_b256 s[12:19], s[0:1], 0xf4
	s_load_b128 s[24:27], s[0:1], 0x114
	s_add_co_i32 s8, s8, -2
	s_wait_xcnt 0x0
	s_add_nc_u64 s[4:5], s[4:5], 24
	s_cmp_lg_u32 s8, 0
	s_add_nc_u64 s[0:1], s[0:1], 48
	s_wait_kmcnt 0x0
	v_mul_hi_u32 v6, s21, v5
	s_delay_alu instid0(VALU_DEP_1) | instskip(NEXT) | instid1(VALU_DEP_1)
	v_add_nc_u32_e32 v6, v5, v6
	v_lshrrev_b32_e32 v6, s22, v6
	s_delay_alu instid0(VALU_DEP_1) | instskip(SKIP_1) | instid1(VALU_DEP_2)
	v_mul_hi_u32 v7, s10, v6
	v_mul_lo_u32 v11, v6, s20
	v_add_nc_u32_e32 v7, v6, v7
	s_delay_alu instid0(VALU_DEP_2) | instskip(NEXT) | instid1(VALU_DEP_2)
	v_sub_nc_u32_e32 v11, v5, v11
	v_lshrrev_b32_e32 v5, s11, v7
	s_delay_alu instid0(VALU_DEP_2)
	v_mad_u32 v7, v11, s13, v29
	v_mad_u32 v13, v11, s12, v18
	;; [unrolled: 1-line block ×4, first 2 shown]
	v_mul_lo_u32 v12, v5, s23
	v_mad_u32 v19, s17, v11, v25
	v_mad_u32 v11, s16, v11, v26
	s_delay_alu instid0(VALU_DEP_3) | instskip(NEXT) | instid1(VALU_DEP_1)
	v_sub_nc_u32_e32 v6, v6, v12
	v_mad_u32 v29, v6, s19, v7
	v_mad_u32 v18, v6, s18, v13
	;; [unrolled: 1-line block ×6, first 2 shown]
	s_cbranch_scc1 .LBB93_183
; %bb.184:
	s_bitcmp1_b32 s7, 0
	s_cselect_b32 s7, -1, 0
	s_delay_alu instid0(SALU_CYCLE_1)
	s_and_b32 vcc_lo, exec_lo, s7
	s_cbranch_vccnz .LBB93_187
; %bb.185:
	s_load_b96 s[12:14], s[4:5], 0x4
	s_load_b128 s[8:11], s[0:1], 0xf4
	s_wait_xcnt 0x0
	s_load_b64 s[4:5], s[0:1], 0x104
	s_wait_kmcnt 0x0
	v_mul_hi_u32 v6, s13, v5
	s_delay_alu instid0(VALU_DEP_1) | instskip(NEXT) | instid1(VALU_DEP_1)
	v_add_nc_u32_e32 v6, v5, v6
	v_lshrrev_b32_e32 v6, s14, v6
	s_delay_alu instid0(VALU_DEP_1) | instskip(NEXT) | instid1(VALU_DEP_1)
	v_mul_lo_u32 v6, v6, s12
	v_sub_nc_u32_e32 v5, v5, v6
	s_delay_alu instid0(VALU_DEP_1)
	v_mad_u32 v18, v5, s8, v18
	v_mad_u32 v29, v5, s9, v29
	;; [unrolled: 1-line block ×6, first 2 shown]
	s_and_not1_b32 vcc_lo, exec_lo, s6
	s_cbranch_vccz .LBB93_188
	s_branch .LBB93_191
.LBB93_186:
	s_mov_b32 s6, -1
                                        ; implicit-def: $vgpr29
                                        ; implicit-def: $vgpr18
                                        ; implicit-def: $vgpr27
                                        ; implicit-def: $vgpr28
                                        ; implicit-def: $vgpr25
                                        ; implicit-def: $vgpr26
.LBB93_187:
	s_delay_alu instid0(SALU_CYCLE_1)
	s_and_not1_b32 vcc_lo, exec_lo, s6
	s_cbranch_vccnz .LBB93_191
.LBB93_188:
	s_clause 0x2
	s_load_b96 s[8:10], s[2:3], 0x4
	s_load_b128 s[4:7], s[2:3], 0xc4
	s_load_b64 s[0:1], s[2:3], 0xd4
	s_cmp_lt_u32 s33, 2
	s_wait_kmcnt 0x0
	v_mul_hi_u32 v5, s9, v0
	s_delay_alu instid0(VALU_DEP_1) | instskip(NEXT) | instid1(VALU_DEP_1)
	v_add_nc_u32_e32 v5, v0, v5
	v_lshrrev_b32_e32 v5, s10, v5
	s_delay_alu instid0(VALU_DEP_1) | instskip(NEXT) | instid1(VALU_DEP_1)
	v_mul_lo_u32 v6, v5, s8
	v_sub_nc_u32_e32 v0, v0, v6
	s_delay_alu instid0(VALU_DEP_1)
	v_mul_lo_u32 v29, v0, s5
	v_mul_lo_u32 v18, v0, s4
	;; [unrolled: 1-line block ×6, first 2 shown]
	s_cbranch_scc1 .LBB93_191
; %bb.189:
	s_clause 0x2
	s_load_b96 s[8:10], s[2:3], 0x10
	s_load_b128 s[4:7], s[2:3], 0xdc
	s_load_b64 s[0:1], s[2:3], 0xec
	s_wait_kmcnt 0x0
	v_mul_hi_u32 v0, s9, v5
	s_delay_alu instid0(VALU_DEP_1) | instskip(NEXT) | instid1(VALU_DEP_1)
	v_add_nc_u32_e32 v0, v5, v0
	v_lshrrev_b32_e32 v0, s10, v0
	s_delay_alu instid0(VALU_DEP_1) | instskip(NEXT) | instid1(VALU_DEP_1)
	v_mul_lo_u32 v0, v0, s8
	v_sub_nc_u32_e32 v0, v5, v0
	s_delay_alu instid0(VALU_DEP_1)
	v_mad_u32 v18, v0, s4, v18
	v_mad_u32 v29, v0, s5, v29
	;; [unrolled: 1-line block ×6, first 2 shown]
	s_branch .LBB93_191
.LBB93_190:
	v_dual_mov_b32 v29, 0 :: v_dual_mov_b32 v18, 0
	v_dual_mov_b32 v27, 0 :: v_dual_mov_b32 v28, 0
	;; [unrolled: 1-line block ×3, first 2 shown]
	s_and_not1_b32 vcc_lo, exec_lo, s6
	s_cbranch_vccz .LBB93_188
.LBB93_191:
	v_cmp_ne_u32_e32 vcc_lo, 1, v4
	s_cbranch_vccnz .LBB93_197
; %bb.192:
	s_cmp_lg_u32 s33, 0
	s_mov_b32 s6, 0
	s_cbranch_scc0 .LBB93_201
; %bb.193:
	s_min_u32 s7, s64, 15
	v_dual_mov_b32 v21, 0 :: v_dual_mov_b32 v0, v2
	v_dual_mov_b32 v20, 0 :: v_dual_mov_b32 v23, 0
	;; [unrolled: 1-line block ×3, first 2 shown]
	v_mov_b32_e32 v24, 0
	s_add_co_i32 s4, s7, 1
	s_mov_b64 s[0:1], 0xffffffffffffffd0
	s_and_b32 s8, s4, 30
	s_add_nc_u64 s[0:1], s[2:3], s[0:1]
	s_mov_b64 s[4:5], s[2:3]
.LBB93_194:                             ; =>This Inner Loop Header: Depth=1
	s_clause 0x1
	s_load_b128 s[20:23], s[4:5], 0x4
	s_load_b64 s[10:11], s[4:5], 0x14
	s_clause 0x1
	s_load_b256 s[12:19], s[0:1], 0xf4
	s_load_b128 s[24:27], s[0:1], 0x114
	s_add_co_i32 s8, s8, -2
	s_wait_xcnt 0x0
	s_add_nc_u64 s[4:5], s[4:5], 24
	s_cmp_lg_u32 s8, 0
	s_add_nc_u64 s[0:1], s[0:1], 48
	s_wait_kmcnt 0x0
	v_mul_hi_u32 v4, s21, v0
	s_delay_alu instid0(VALU_DEP_1) | instskip(NEXT) | instid1(VALU_DEP_1)
	v_add_nc_u32_e32 v4, v0, v4
	v_lshrrev_b32_e32 v4, s22, v4
	s_delay_alu instid0(VALU_DEP_1) | instskip(SKIP_1) | instid1(VALU_DEP_2)
	v_mul_hi_u32 v5, s10, v4
	v_mul_lo_u32 v6, v4, s20
	v_add_nc_u32_e32 v5, v4, v5
	s_delay_alu instid0(VALU_DEP_1) | instskip(NEXT) | instid1(VALU_DEP_1)
	v_dual_sub_nc_u32 v6, v0, v6 :: v_dual_lshrrev_b32 v0, s11, v5
	v_mad_u32 v5, v6, s13, v24
	v_mad_u32 v11, v6, s12, v19
	;; [unrolled: 1-line block ×4, first 2 shown]
	v_mul_lo_u32 v7, v0, s23
	v_mad_u32 v14, s17, v6, v20
	v_mad_u32 v6, s16, v6, v21
	s_delay_alu instid0(VALU_DEP_3) | instskip(NEXT) | instid1(VALU_DEP_1)
	v_sub_nc_u32_e32 v4, v4, v7
	v_mad_u32 v24, v4, s19, v5
	v_mad_u32 v19, v4, s18, v11
	;; [unrolled: 1-line block ×6, first 2 shown]
	s_cbranch_scc1 .LBB93_194
; %bb.195:
	s_bitcmp1_b32 s7, 0
	s_cselect_b32 s7, -1, 0
	s_delay_alu instid0(SALU_CYCLE_1)
	s_and_b32 vcc_lo, exec_lo, s7
	s_cbranch_vccnz .LBB93_198
; %bb.196:
	s_load_b96 s[12:14], s[4:5], 0x4
	s_load_b128 s[8:11], s[0:1], 0xf4
	s_wait_xcnt 0x0
	s_load_b64 s[4:5], s[0:1], 0x104
	s_wait_kmcnt 0x0
	v_mul_hi_u32 v4, s13, v0
	s_delay_alu instid0(VALU_DEP_1) | instskip(NEXT) | instid1(VALU_DEP_1)
	v_add_nc_u32_e32 v4, v0, v4
	v_lshrrev_b32_e32 v4, s14, v4
	s_delay_alu instid0(VALU_DEP_1) | instskip(NEXT) | instid1(VALU_DEP_1)
	v_mul_lo_u32 v4, v4, s12
	v_sub_nc_u32_e32 v0, v0, v4
	s_delay_alu instid0(VALU_DEP_1)
	v_mad_u32 v19, v0, s8, v19
	v_mad_u32 v24, v0, s9, v24
	;; [unrolled: 1-line block ×6, first 2 shown]
	s_and_not1_b32 vcc_lo, exec_lo, s6
	s_cbranch_vccz .LBB93_199
	s_branch .LBB93_202
.LBB93_197:
	s_mov_b32 s6, -1
                                        ; implicit-def: $vgpr24
                                        ; implicit-def: $vgpr19
                                        ; implicit-def: $vgpr22
                                        ; implicit-def: $vgpr23
                                        ; implicit-def: $vgpr20
                                        ; implicit-def: $vgpr21
.LBB93_198:
	s_delay_alu instid0(SALU_CYCLE_1)
	s_and_not1_b32 vcc_lo, exec_lo, s6
	s_cbranch_vccnz .LBB93_202
.LBB93_199:
	s_clause 0x2
	s_load_b96 s[8:10], s[2:3], 0x4
	s_load_b128 s[4:7], s[2:3], 0xc4
	s_load_b64 s[0:1], s[2:3], 0xd4
	s_cmp_lt_u32 s33, 2
	s_wait_kmcnt 0x0
	v_mul_hi_u32 v0, s9, v2
	s_delay_alu instid0(VALU_DEP_1) | instskip(NEXT) | instid1(VALU_DEP_1)
	v_add_nc_u32_e32 v0, v2, v0
	v_lshrrev_b32_e32 v0, s10, v0
	s_delay_alu instid0(VALU_DEP_1) | instskip(NEXT) | instid1(VALU_DEP_1)
	v_mul_lo_u32 v4, v0, s8
	v_sub_nc_u32_e32 v2, v2, v4
	s_delay_alu instid0(VALU_DEP_1)
	v_mul_lo_u32 v24, v2, s5
	v_mul_lo_u32 v19, v2, s4
	;; [unrolled: 1-line block ×6, first 2 shown]
	s_cbranch_scc1 .LBB93_202
; %bb.200:
	s_clause 0x2
	s_load_b96 s[8:10], s[2:3], 0x10
	s_load_b128 s[4:7], s[2:3], 0xdc
	s_load_b64 s[0:1], s[2:3], 0xec
	s_wait_kmcnt 0x0
	v_mul_hi_u32 v2, s9, v0
	s_delay_alu instid0(VALU_DEP_1) | instskip(NEXT) | instid1(VALU_DEP_1)
	v_add_nc_u32_e32 v2, v0, v2
	v_lshrrev_b32_e32 v2, s10, v2
	s_delay_alu instid0(VALU_DEP_1) | instskip(NEXT) | instid1(VALU_DEP_1)
	v_mul_lo_u32 v2, v2, s8
	v_sub_nc_u32_e32 v0, v0, v2
	s_delay_alu instid0(VALU_DEP_1)
	v_mad_u32 v19, v0, s4, v19
	v_mad_u32 v24, v0, s5, v24
	;; [unrolled: 1-line block ×6, first 2 shown]
	s_branch .LBB93_202
.LBB93_201:
	v_dual_mov_b32 v24, 0 :: v_dual_mov_b32 v19, 0
	v_dual_mov_b32 v22, 0 :: v_dual_mov_b32 v23, 0
	;; [unrolled: 1-line block ×3, first 2 shown]
	s_and_not1_b32 vcc_lo, exec_lo, s6
	s_cbranch_vccz .LBB93_199
.LBB93_202:
	s_load_b256 s[4:11], s[2:3], 0x248
	s_cmp_eq_u64 s[34:35], 0
	s_mov_b32 s33, s36
	s_wait_kmcnt 0x0
	global_load_b64 v[2:3], v3, s[6:7]
	s_clause 0x1
	s_load_b64 s[0:1], s[2:3], 0x278
	s_load_b128 s[12:15], s[2:3], 0x268
	s_wait_loadcnt 0x0
	s_wait_kmcnt 0x0
	v_cmp_ne_u64_e32 vcc_lo, s[0:1], v[2:3]
	s_cselect_b32 s0, -1, 0
	s_delay_alu instid0(SALU_CYCLE_1) | instskip(NEXT) | instid1(SALU_CYCLE_1)
	s_or_b32 s0, s0, vcc_lo
	s_and_saveexec_b32 s1, s0
	s_delay_alu instid0(SALU_CYCLE_1)
	s_xor_b32 s0, exec_lo, s1
	s_cbranch_execnz .LBB93_258
; %bb.203:
	s_or_saveexec_b32 s34, s0
	s_mov_b32 s0, 0
	s_xor_b32 exec_lo, exec_lo, s34
	s_cbranch_execz .LBB93_307
.LBB93_204:
	global_load_b64 v[0:1], v1, s[8:9]
	s_load_b64 s[0:1], s[2:3], 0x288
	s_get_pc_i64 s[16:17]
	s_add_nc_u64 s[16:17], s[16:17], .str.7@rel64+4
	s_mov_b32 s35, s33
	s_cmp_eq_u64 s[16:17], 0
	s_wait_loadcnt 0x0
	s_wait_kmcnt 0x0
	v_cmp_ne_u64_e32 vcc_lo, s[0:1], v[0:1]
	s_cselect_b32 s0, -1, 0
	s_delay_alu instid0(SALU_CYCLE_1) | instskip(NEXT) | instid1(SALU_CYCLE_1)
	s_or_b32 s0, s0, vcc_lo
	s_and_saveexec_b32 s1, s0
	s_delay_alu instid0(SALU_CYCLE_1)
	s_xor_b32 s0, exec_lo, s1
	s_cbranch_execnz .LBB93_264
; %bb.205:
	s_or_saveexec_b32 s38, s0
	s_mov_b32 s0, 0
	s_xor_b32 exec_lo, exec_lo, s38
	s_cbranch_execz .LBB93_306
.LBB93_206:
	global_load_b64 v[6:7], v9, s[10:11]
	global_load_b64 v[4:5], v8, s[12:13]
	s_load_b64 s[18:19], s[2:3], 0x280
	s_get_pc_i64 s[16:17]
	s_add_nc_u64 s[16:17], s[16:17], .str.8@rel64+4
	s_mov_b32 s39, s35
	s_wait_loadcnt 0x0
	v_sub_nc_u64_e32 v[8:9], v[4:5], v[6:7]
	s_delay_alu instid0(VALU_DEP_1)
	v_cmp_gt_i64_e32 vcc_lo, v[2:3], v[8:9]
	s_wait_kmcnt 0x0
	v_cmp_lt_i64_e64 s0, s[18:19], v[8:9]
	s_or_b32 s0, vcc_lo, s0
	s_cmp_eq_u64 s[16:17], 0
	s_cselect_b32 s1, -1, 0
	s_delay_alu instid0(SALU_CYCLE_1) | instskip(NEXT) | instid1(SALU_CYCLE_1)
	s_or_b32 s0, s1, s0
	s_and_saveexec_b32 s1, s0
	s_delay_alu instid0(SALU_CYCLE_1)
	s_xor_b32 s0, exec_lo, s1
	s_cbranch_execnz .LBB93_282
; %bb.207:
	s_or_saveexec_b32 s40, s0
	s_mov_b32 s0, 0
	s_xor_b32 exec_lo, exec_lo, s40
	s_cbranch_execz .LBB93_305
.LBB93_208:
	s_load_b32 s41, s[2:3], 0x290
	v_cmp_lt_i64_e32 vcc_lo, 0, v[0:1]
	v_mov_b64_e32 v[8:9], 0
	s_wait_kmcnt 0x0
	s_add_co_i32 s16, s41, -1
	s_delay_alu instid0(SALU_CYCLE_1) | instskip(SKIP_1) | instid1(SALU_CYCLE_1)
	s_cmp_gt_i32 s16, -1
	s_cselect_b32 s0, -1, 0
	s_and_b32 s48, vcc_lo, s0
	s_delay_alu instid0(SALU_CYCLE_1)
	s_and_saveexec_b32 s30, s48
	s_cbranch_execz .LBB93_215
; %bb.209:
	global_load_b64 v[8:9], v10, s[14:15]
	s_mov_b32 s1, 0
	s_wait_xcnt 0x0
	v_mov_b32_e32 v10, 0
	s_mov_b32 s17, s1
	s_mov_b64 s[20:21], 0xffffffff
	s_lshl_b64 s[22:23], s[16:17], 3
	s_mov_b32 s17, s41
	s_add_nc_u64 s[22:23], s[2:3], s[22:23]
	s_delay_alu instid0(SALU_CYCLE_1)
	s_add_nc_u64 s[22:23], s[22:23], 0x298
	s_wait_loadcnt 0x0
	v_mul_u64_e32 v[12:13], v[8:9], v[0:1]
	v_mov_b64_e32 v[8:9], 0
	s_branch .LBB93_211
.LBB93_210:                             ;   in Loop: Header=BB93_211 Depth=1
	s_or_b32 exec_lo, exec_lo, s0
	s_delay_alu instid0(VALU_DEP_1)
	v_mul_u64_e32 v[36:37], s[24:25], v[14:15]
	s_load_b64 s[24:25], s[22:23], 0x40
	s_add_co_i32 s17, s17, -1
	s_wait_xcnt 0x0
	s_add_nc_u64 s[22:23], s[22:23], -8
	s_cmp_eq_u32 s17, 0
	s_delay_alu instid0(VALU_DEP_1) | instskip(SKIP_1) | instid1(VALU_DEP_1)
	v_sub_nc_u64_e32 v[12:13], v[12:13], v[36:37]
	s_wait_kmcnt 0x0
	v_mad_nc_u64_u32 v[8:9], v12, s24, v[8:9]
	s_delay_alu instid0(VALU_DEP_1) | instskip(NEXT) | instid1(VALU_DEP_1)
	v_mad_u32 v9, v13, s24, v9
	v_mad_u32 v9, v12, s25, v9
	v_mov_b64_e32 v[12:13], v[14:15]
	s_cbranch_scc1 .LBB93_215
.LBB93_211:                             ; =>This Inner Loop Header: Depth=1
	s_load_b64 s[24:25], s[22:23], 0x0
                                        ; implicit-def: $vgpr14_vgpr15
	s_mov_b32 s0, exec_lo
	s_wait_kmcnt 0x0
	s_delay_alu instid0(VALU_DEP_1) | instskip(NEXT) | instid1(VALU_DEP_1)
	v_or_b32_e32 v11, s25, v13
	v_cmpx_ne_u64_e32 0, v[10:11]
	s_xor_b32 s31, exec_lo, s0
	s_cbranch_execz .LBB93_213
; %bb.212:                              ;   in Loop: Header=BB93_211 Depth=1
	s_ashr_i32 s26, s25, 31
	v_dual_mov_b32 v39, v10 :: v_dual_ashrrev_i32 v14, 31, v13
	s_mov_b32 s27, s26
	v_mov_b32_e32 v47, v10
	s_add_nc_u64 s[28:29], s[24:25], s[26:27]
	s_delay_alu instid0(VALU_DEP_2) | instskip(SKIP_1) | instid1(SALU_CYCLE_1)
	v_mov_b32_e32 v15, v14
	s_xor_b64 s[28:29], s[28:29], s[26:27]
	s_cvt_f32_u32 s0, s28
	s_cvt_f32_u32 s27, s29
	s_sub_nc_u64 s[44:45], 0, s[28:29]
	v_add_nc_u64_e32 v[36:37], v[12:13], v[14:15]
	v_mov_b32_e32 v43, v10
	s_fmamk_f32 s0, s27, 0x4f800000, s0
	s_delay_alu instid0(SALU_CYCLE_3) | instskip(NEXT) | instid1(VALU_DEP_2)
	v_s_rcp_f32 s0, s0
	v_xor_b32_e32 v38, v36, v14
	s_delay_alu instid0(VALU_DEP_3) | instskip(SKIP_1) | instid1(TRANS32_DEP_1)
	v_xor_b32_e32 v42, v37, v14
	v_xor_b32_e32 v14, s26, v14
	s_mul_f32 s0, s0, 0x5f7ffffc
	s_delay_alu instid0(SALU_CYCLE_3) | instskip(NEXT) | instid1(SALU_CYCLE_3)
	s_mul_f32 s27, s0, 0x2f800000
	s_trunc_f32 s27, s27
	s_delay_alu instid0(SALU_CYCLE_3) | instskip(SKIP_1) | instid1(SALU_CYCLE_2)
	s_fmamk_f32 s0, s27, 0xcf800000, s0
	s_cvt_u32_f32 s43, s27
	s_cvt_u32_f32 s42, s0
	s_delay_alu instid0(SALU_CYCLE_3) | instskip(NEXT) | instid1(SALU_CYCLE_1)
	s_mul_u64 s[46:47], s[44:45], s[42:43]
	s_mul_hi_u32 s51, s42, s47
	s_mul_i32 s50, s42, s47
	s_mul_hi_u32 s0, s42, s46
	s_mul_i32 s49, s43, s46
	s_add_nc_u64 s[50:51], s[0:1], s[50:51]
	s_mul_hi_u32 s27, s43, s46
	s_mul_hi_u32 s52, s43, s47
	s_add_co_u32 s0, s50, s49
	s_add_co_ci_u32 s0, s51, s27
	s_mul_i32 s46, s43, s47
	s_add_co_ci_u32 s47, s52, 0
	s_delay_alu instid0(SALU_CYCLE_1) | instskip(NEXT) | instid1(SALU_CYCLE_1)
	s_add_nc_u64 s[46:47], s[0:1], s[46:47]
	s_add_co_u32 s42, s42, s46
	s_cselect_b32 s0, -1, 0
	s_delay_alu instid0(SALU_CYCLE_1) | instskip(SKIP_1) | instid1(SALU_CYCLE_1)
	s_cmp_lg_u32 s0, 0
	s_add_co_ci_u32 s43, s43, s47
	s_mul_u64 s[44:45], s[44:45], s[42:43]
	s_delay_alu instid0(SALU_CYCLE_1)
	s_mul_hi_u32 s47, s42, s45
	s_mul_i32 s46, s42, s45
	s_mul_hi_u32 s0, s42, s44
	s_mul_i32 s49, s43, s44
	s_add_nc_u64 s[46:47], s[0:1], s[46:47]
	s_mul_hi_u32 s27, s43, s44
	s_mul_hi_u32 s50, s43, s45
	s_add_co_u32 s0, s46, s49
	s_add_co_ci_u32 s0, s47, s27
	s_mul_i32 s44, s43, s45
	s_add_co_ci_u32 s45, s50, 0
	s_delay_alu instid0(SALU_CYCLE_1) | instskip(NEXT) | instid1(SALU_CYCLE_1)
	s_add_nc_u64 s[44:45], s[0:1], s[44:45]
	s_add_co_u32 s42, s42, s44
	s_cselect_b32 s0, -1, 0
	v_mul_hi_u32 v46, v38, s42
	s_cmp_lg_u32 s0, 0
	s_add_co_ci_u32 s0, s43, s45
	s_and_b64 s[44:45], s[42:43], s[20:21]
	v_mul_u64_e32 v[40:41], s[0:1], v[38:39]
	v_mul_u64_e32 v[36:37], s[44:45], v[42:43]
	;; [unrolled: 1-line block ×3, first 2 shown]
	s_delay_alu instid0(VALU_DEP_3) | instskip(NEXT) | instid1(VALU_DEP_1)
	v_add_nc_u64_e32 v[40:41], v[46:47], v[40:41]
	v_add_co_u32 v11, vcc_lo, v40, v36
	s_delay_alu instid0(VALU_DEP_2) | instskip(NEXT) | instid1(VALU_DEP_4)
	v_add_co_ci_u32_e32 v46, vcc_lo, v41, v37, vcc_lo
	v_add_co_ci_u32_e32 v45, vcc_lo, 0, v45, vcc_lo
	s_delay_alu instid0(VALU_DEP_1) | instskip(NEXT) | instid1(VALU_DEP_1)
	v_add_nc_u64_e32 v[36:37], v[46:47], v[44:45]
	v_mul_u64_e32 v[40:41], s[28:29], v[36:37]
	s_delay_alu instid0(VALU_DEP_1) | instskip(NEXT) | instid1(VALU_DEP_2)
	v_sub_nc_u32_e32 v11, v42, v41
	v_sub_co_u32 v15, vcc_lo, v38, v40
	s_delay_alu instid0(VALU_DEP_1) | instskip(NEXT) | instid1(VALU_DEP_3)
	v_sub_co_ci_u32_e64 v42, null, v42, v41, vcc_lo
	v_subrev_co_ci_u32_e64 v11, null, s29, v11, vcc_lo
	s_delay_alu instid0(VALU_DEP_3) | instskip(SKIP_1) | instid1(VALU_DEP_3)
	v_sub_co_u32 v35, s0, v15, s28
	v_add_nc_u64_e32 v[40:41], 1, v[36:37]
	v_subrev_co_ci_u32_e64 v11, null, 0, v11, s0
	s_delay_alu instid0(VALU_DEP_3) | instskip(SKIP_1) | instid1(VALU_DEP_3)
	v_cmp_le_u32_e32 vcc_lo, s28, v35
	v_cndmask_b32_e64 v35, 0, -1, vcc_lo
	v_cmp_le_u32_e32 vcc_lo, s29, v11
	v_cndmask_b32_e64 v38, 0, -1, vcc_lo
	;; [unrolled: 2-line block ×4, first 2 shown]
	v_cmp_eq_u32_e32 vcc_lo, s29, v11
	v_cndmask_b32_e32 v11, v38, v35, vcc_lo
	v_cmp_eq_u32_e32 vcc_lo, s29, v42
	v_add_nc_u64_e32 v[38:39], 2, v[36:37]
	v_cndmask_b32_e32 v15, v43, v15, vcc_lo
	s_delay_alu instid0(VALU_DEP_4) | instskip(NEXT) | instid1(VALU_DEP_2)
	v_cmp_ne_u32_e32 vcc_lo, 0, v11
	v_cmp_ne_u32_e64 s0, 0, v15
	s_delay_alu instid0(VALU_DEP_4) | instskip(NEXT) | instid1(VALU_DEP_1)
	v_dual_cndmask_b32 v11, v41, v39, vcc_lo :: v_dual_cndmask_b32 v15, v40, v38, vcc_lo
	v_dual_cndmask_b32 v35, v36, v15, s0 :: v_dual_mov_b32 v15, v14
	s_delay_alu instid0(VALU_DEP_1) | instskip(NEXT) | instid1(VALU_DEP_1)
	v_dual_cndmask_b32 v11, v37, v11, s0 :: v_dual_bitop2_b32 v36, v35, v14 bitop3:0x14
	v_xor_b32_e32 v37, v11, v14
	s_delay_alu instid0(VALU_DEP_1)
	v_sub_nc_u64_e32 v[14:15], v[36:37], v[14:15]
.LBB93_213:                             ;   in Loop: Header=BB93_211 Depth=1
	s_and_not1_saveexec_b32 s0, s31
	s_cbranch_execz .LBB93_210
; %bb.214:                              ;   in Loop: Header=BB93_211 Depth=1
	v_cvt_f32_u32_e32 v11, s24
	s_sub_co_i32 s26, 0, s24
	s_delay_alu instid0(VALU_DEP_1) | instskip(SKIP_1) | instid1(TRANS32_DEP_1)
	v_rcp_iflag_f32_e32 v11, v11
	v_nop
	v_mul_f32_e32 v11, 0x4f7ffffe, v11
	s_delay_alu instid0(VALU_DEP_1) | instskip(NEXT) | instid1(VALU_DEP_1)
	v_cvt_u32_f32_e32 v11, v11
	v_mul_lo_u32 v14, s26, v11
	s_delay_alu instid0(VALU_DEP_1) | instskip(NEXT) | instid1(VALU_DEP_1)
	v_mul_hi_u32 v14, v11, v14
	v_add_nc_u32_e32 v11, v11, v14
	s_delay_alu instid0(VALU_DEP_1) | instskip(NEXT) | instid1(VALU_DEP_1)
	v_mul_hi_u32 v11, v12, v11
	v_mul_lo_u32 v14, v11, s24
	s_delay_alu instid0(VALU_DEP_1) | instskip(NEXT) | instid1(VALU_DEP_1)
	v_dual_add_nc_u32 v15, 1, v11 :: v_dual_sub_nc_u32 v14, v12, v14
	v_subrev_nc_u32_e32 v35, s24, v14
	v_cmp_le_u32_e32 vcc_lo, s24, v14
	s_delay_alu instid0(VALU_DEP_2) | instskip(NEXT) | instid1(VALU_DEP_4)
	v_cndmask_b32_e32 v14, v14, v35, vcc_lo
	v_cndmask_b32_e32 v11, v11, v15, vcc_lo
	s_delay_alu instid0(VALU_DEP_2) | instskip(NEXT) | instid1(VALU_DEP_2)
	v_cmp_le_u32_e32 vcc_lo, s24, v14
	v_add_nc_u32_e32 v15, 1, v11
	s_delay_alu instid0(VALU_DEP_1)
	v_dual_cndmask_b32 v14, v11, v15 :: v_dual_mov_b32 v15, v10
	s_branch .LBB93_210
.LBB93_215:
	s_or_b32 exec_lo, exec_lo, s30
	s_load_b64 s[20:21], s[2:3], 0x318
	s_get_pc_i64 s[0:1]
	s_add_nc_u64 s[0:1], s[0:1], .str.9@rel64+4
	s_mov_b32 s42, s39
	s_cmp_lg_u64 s[0:1], 0
	s_mov_b32 s1, -1
	s_cselect_b32 s47, -1, 0
	s_mov_b32 s0, exec_lo
	v_cmpx_gt_i64_e64 v[4:5], v[6:7]
	s_cbranch_execz .LBB93_222
; %bb.216:
	v_lshlrev_b64_e32 v[8:9], 3, v[8:9]
	s_mov_b32 s17, 0
	s_xor_b32 s22, s47, -1
                                        ; implicit-def: $sgpr1
                                        ; implicit-def: $sgpr24
                                        ; implicit-def: $sgpr23
	s_delay_alu instid0(VALU_DEP_1) | instskip(SKIP_2) | instid1(VALU_DEP_2)
	v_lshl_add_u64 v[6:7], v[6:7], 3, v[8:9]
	s_wait_kmcnt 0x0
	v_add_nc_u64_e32 v[8:9], s[20:21], v[8:9]
	v_add_nc_u64_e32 v[6:7], s[20:21], v[6:7]
	s_delay_alu instid0(VALU_DEP_2) | instskip(NEXT) | instid1(VALU_DEP_2)
	v_lshl_add_u64 v[4:5], v[4:5], 3, v[8:9]
	v_add_nc_u64_e32 v[6:7], 8, v[6:7]
	s_branch .LBB93_218
.LBB93_217:                             ;   in Loop: Header=BB93_218 Depth=1
	s_or_b32 exec_lo, exec_lo, s25
	s_xor_b32 s25, s23, -1
	s_and_b32 s26, exec_lo, s24
	s_delay_alu instid0(SALU_CYCLE_1) | instskip(SKIP_2) | instid1(SALU_CYCLE_1)
	s_or_b32 s17, s26, s17
	s_and_not1_b32 s1, s1, exec_lo
	s_and_b32 s25, s25, exec_lo
	s_or_b32 s1, s1, s25
	s_and_not1_b32 exec_lo, exec_lo, s17
	s_cbranch_execz .LBB93_220
.LBB93_218:                             ; =>This Inner Loop Header: Depth=1
	s_or_b32 s23, s23, exec_lo
	s_or_b32 s24, s24, exec_lo
	s_mov_b32 s25, exec_lo
	s_delay_alu instid0(VALU_DEP_1)
	v_cmpx_lt_u64_e64 v[6:7], v[4:5]
	s_cbranch_execz .LBB93_217
; %bb.219:                              ;   in Loop: Header=BB93_218 Depth=1
	global_load_b128 v[8:11], v[6:7], off offset:-8
	s_wait_xcnt 0x0
	v_add_nc_u64_e32 v[6:7], 8, v[6:7]
	s_and_not1_b32 s24, s24, exec_lo
	s_and_not1_b32 s23, s23, exec_lo
	s_wait_loadcnt 0x0
	v_cmp_ge_i64_e32 vcc_lo, v[8:9], v[10:11]
	s_or_b32 s26, s22, vcc_lo
	s_delay_alu instid0(SALU_CYCLE_1) | instskip(NEXT) | instid1(SALU_CYCLE_1)
	s_and_b32 s26, s26, exec_lo
	s_or_b32 s24, s24, s26
	s_branch .LBB93_217
.LBB93_220:
	s_or_b32 exec_lo, exec_lo, s17
	s_mov_b32 s17, -1
	s_mov_b32 s22, s39
	s_and_saveexec_b32 s23, s1
	s_delay_alu instid0(SALU_CYCLE_1)
	s_xor_b32 s1, exec_lo, s23
	s_cbranch_execnz .LBB93_257
.LBB93_221:
	s_or_b32 exec_lo, exec_lo, s1
	s_delay_alu instid0(SALU_CYCLE_1) | instskip(SKIP_1) | instid1(SALU_CYCLE_1)
	s_and_not1_b32 s1, s39, exec_lo
	s_and_b32 s22, s22, exec_lo
	s_or_b32 s42, s1, s22
	s_or_not1_b32 s1, s17, exec_lo
.LBB93_222:
	s_or_b32 exec_lo, exec_lo, s0
	s_mov_b32 s0, 0
	s_and_saveexec_b32 s43, s1
	s_cbranch_execz .LBB93_304
; %bb.223:
	global_load_b64 v[4:5], v34, s[6:7]
	s_mov_b32 s44, s42
	s_mov_b32 s0, exec_lo
	s_wait_loadcnt 0x0
	v_cmpx_ne_u64_e64 v[4:5], v[2:3]
	s_xor_b32 s0, exec_lo, s0
	s_cbranch_execnz .LBB93_283
; %bb.224:
	s_or_saveexec_b32 s45, s0
	s_mov_b32 s0, 0
	s_xor_b32 exec_lo, exec_lo, s45
	s_cbranch_execz .LBB93_303
.LBB93_225:
	global_load_b64 v[4:5], v33, s[8:9]
	s_mov_b32 s46, s44
	s_mov_b32 s0, exec_lo
	s_wait_loadcnt 0x0
	v_cmpx_ne_u64_e64 v[4:5], v[0:1]
	s_xor_b32 s0, exec_lo, s0
	s_cbranch_execnz .LBB93_289
; %bb.226:
	s_or_saveexec_b32 s49, s0
	s_mov_b32 s0, 0
	s_xor_b32 exec_lo, exec_lo, s49
	s_cbranch_execz .LBB93_302
.LBB93_227:
	global_load_b64 v[6:7], v32, s[10:11]
	global_load_b64 v[4:5], v31, s[12:13]
	s_mov_b32 s50, s46
	s_wait_loadcnt 0x0
	v_sub_nc_u64_e32 v[8:9], v[4:5], v[6:7]
	s_delay_alu instid0(VALU_DEP_1) | instskip(SKIP_4) | instid1(SALU_CYCLE_1)
	v_cmp_gt_i64_e32 vcc_lo, v[2:3], v[8:9]
	v_cmp_lt_i64_e64 s0, s[18:19], v[8:9]
	s_or_b32 s0, vcc_lo, s0
	s_wait_xcnt 0x0
	s_and_saveexec_b32 s1, s0
	s_xor_b32 s0, exec_lo, s1
	s_cbranch_execnz .LBB93_311
; %bb.228:
	s_or_saveexec_b32 s51, s0
	s_mov_b32 s0, 0
	s_xor_b32 exec_lo, exec_lo, s51
	s_cbranch_execz .LBB93_301
.LBB93_229:
	v_mov_b64_e32 v[8:9], 0
	s_and_saveexec_b32 s52, s48
	s_cbranch_execz .LBB93_236
; %bb.230:
	global_load_b64 v[8:9], v30, s[14:15]
	s_mov_b32 s1, 0
	v_mov_b32_e32 v10, 0
	s_mov_b32 s17, s1
	s_mov_b64 s[22:23], 0xffffffff
	s_lshl_b64 s[24:25], s[16:17], 3
	s_mov_b32 s17, s41
	s_add_nc_u64 s[24:25], s[2:3], s[24:25]
	s_delay_alu instid0(SALU_CYCLE_1)
	s_add_nc_u64 s[24:25], s[24:25], 0x298
	s_wait_loadcnt 0x0
	v_mul_u64_e32 v[12:13], v[8:9], v[0:1]
	v_mov_b64_e32 v[8:9], 0
	s_branch .LBB93_232
.LBB93_231:                             ;   in Loop: Header=BB93_232 Depth=1
	s_or_b32 exec_lo, exec_lo, s0
	s_delay_alu instid0(VALU_DEP_1)
	v_mul_u64_e32 v[30:31], s[26:27], v[14:15]
	s_load_b64 s[26:27], s[24:25], 0x40
	s_add_co_i32 s17, s17, -1
	s_wait_xcnt 0x0
	s_add_nc_u64 s[24:25], s[24:25], -8
	s_cmp_eq_u32 s17, 0
	s_delay_alu instid0(VALU_DEP_1) | instskip(SKIP_1) | instid1(VALU_DEP_1)
	v_sub_nc_u64_e32 v[12:13], v[12:13], v[30:31]
	s_wait_kmcnt 0x0
	v_mad_nc_u64_u32 v[8:9], v12, s26, v[8:9]
	s_delay_alu instid0(VALU_DEP_1) | instskip(NEXT) | instid1(VALU_DEP_1)
	v_mad_u32 v9, v13, s26, v9
	v_mad_u32 v9, v12, s27, v9
	v_mov_b64_e32 v[12:13], v[14:15]
	s_cbranch_scc1 .LBB93_236
.LBB93_232:                             ; =>This Inner Loop Header: Depth=1
	s_load_b64 s[26:27], s[24:25], 0x0
                                        ; implicit-def: $vgpr14_vgpr15
	s_mov_b32 s0, exec_lo
	s_wait_kmcnt 0x0
	s_delay_alu instid0(VALU_DEP_1) | instskip(NEXT) | instid1(VALU_DEP_1)
	v_or_b32_e32 v11, s27, v13
	v_cmpx_ne_u64_e32 0, v[10:11]
	s_xor_b32 s53, exec_lo, s0
	s_cbranch_execz .LBB93_234
; %bb.233:                              ;   in Loop: Header=BB93_232 Depth=1
	s_ashr_i32 s28, s27, 31
	v_dual_mov_b32 v33, v10 :: v_dual_ashrrev_i32 v14, 31, v13
	s_mov_b32 s29, s28
	v_mov_b32_e32 v37, v10
	s_add_nc_u64 s[30:31], s[26:27], s[28:29]
	s_delay_alu instid0(VALU_DEP_2)
	v_mov_b32_e32 v15, v14
	s_xor_b64 s[30:31], s[30:31], s[28:29]
	v_mov_b32_e32 v41, v10
	s_cvt_f32_u32 s0, s30
	s_cvt_f32_u32 s29, s31
	s_sub_nc_u64 s[56:57], 0, s[30:31]
	v_add_nc_u64_e32 v[30:31], v[12:13], v[14:15]
	s_delay_alu instid0(SALU_CYCLE_1) | instskip(NEXT) | instid1(SALU_CYCLE_3)
	s_fmamk_f32 s0, s29, 0x4f800000, s0
	v_s_rcp_f32 s0, s0
	s_delay_alu instid0(VALU_DEP_1) | instskip(NEXT) | instid1(VALU_DEP_2)
	v_xor_b32_e32 v36, v31, v14
	v_xor_b32_e32 v32, v30, v14
	s_delay_alu instid0(TRANS32_DEP_1) | instskip(NEXT) | instid1(SALU_CYCLE_3)
	s_mul_f32 s0, s0, 0x5f7ffffc
	s_mul_f32 s29, s0, 0x2f800000
	s_delay_alu instid0(SALU_CYCLE_3) | instskip(NEXT) | instid1(SALU_CYCLE_3)
	s_trunc_f32 s29, s29
	s_fmamk_f32 s0, s29, 0xcf800000, s0
	s_cvt_u32_f32 s55, s29
	s_delay_alu instid0(SALU_CYCLE_2) | instskip(NEXT) | instid1(SALU_CYCLE_3)
	s_cvt_u32_f32 s54, s0
	s_mul_u64 s[58:59], s[56:57], s[54:55]
	s_delay_alu instid0(SALU_CYCLE_1)
	s_mul_hi_u32 s61, s54, s59
	s_mul_i32 s60, s54, s59
	s_mul_hi_u32 s0, s54, s58
	s_mul_i32 s62, s55, s58
	s_add_nc_u64 s[60:61], s[0:1], s[60:61]
	s_mul_hi_u32 s29, s55, s58
	s_mul_hi_u32 s63, s55, s59
	s_add_co_u32 s0, s60, s62
	s_add_co_ci_u32 s0, s61, s29
	s_mul_i32 s58, s55, s59
	s_add_co_ci_u32 s59, s63, 0
	s_delay_alu instid0(SALU_CYCLE_1) | instskip(NEXT) | instid1(SALU_CYCLE_1)
	s_add_nc_u64 s[58:59], s[0:1], s[58:59]
	s_add_co_u32 s54, s54, s58
	s_cselect_b32 s0, -1, 0
	s_delay_alu instid0(SALU_CYCLE_1) | instskip(SKIP_1) | instid1(SALU_CYCLE_1)
	s_cmp_lg_u32 s0, 0
	s_add_co_ci_u32 s55, s55, s59
	s_mul_u64 s[56:57], s[56:57], s[54:55]
	s_delay_alu instid0(SALU_CYCLE_1)
	s_mul_hi_u32 s59, s54, s57
	s_mul_i32 s58, s54, s57
	s_mul_hi_u32 s0, s54, s56
	s_mul_i32 s60, s55, s56
	s_add_nc_u64 s[58:59], s[0:1], s[58:59]
	s_mul_hi_u32 s29, s55, s56
	s_mul_hi_u32 s61, s55, s57
	s_add_co_u32 s0, s58, s60
	s_add_co_ci_u32 s0, s59, s29
	s_mul_i32 s56, s55, s57
	s_add_co_ci_u32 s57, s61, 0
	s_delay_alu instid0(SALU_CYCLE_1) | instskip(NEXT) | instid1(SALU_CYCLE_1)
	s_add_nc_u64 s[56:57], s[0:1], s[56:57]
	s_add_co_u32 s54, s54, s56
	s_cselect_b32 s0, -1, 0
	v_mul_hi_u32 v40, v32, s54
	s_cmp_lg_u32 s0, 0
	s_add_co_ci_u32 s0, s55, s57
	s_and_b64 s[56:57], s[54:55], s[22:23]
	v_mul_u64_e32 v[34:35], s[0:1], v[32:33]
	v_mul_u64_e32 v[30:31], s[56:57], v[36:37]
	;; [unrolled: 1-line block ×3, first 2 shown]
	s_delay_alu instid0(VALU_DEP_3) | instskip(NEXT) | instid1(VALU_DEP_1)
	v_add_nc_u64_e32 v[34:35], v[40:41], v[34:35]
	v_add_co_u32 v11, vcc_lo, v34, v30
	s_delay_alu instid0(VALU_DEP_2) | instskip(NEXT) | instid1(VALU_DEP_4)
	v_add_co_ci_u32_e32 v40, vcc_lo, v35, v31, vcc_lo
	v_add_co_ci_u32_e32 v39, vcc_lo, 0, v39, vcc_lo
	s_delay_alu instid0(VALU_DEP_1) | instskip(NEXT) | instid1(VALU_DEP_1)
	v_add_nc_u64_e32 v[30:31], v[40:41], v[38:39]
	v_mul_u64_e32 v[34:35], s[30:31], v[30:31]
	s_delay_alu instid0(VALU_DEP_1) | instskip(NEXT) | instid1(VALU_DEP_2)
	v_sub_nc_u32_e32 v11, v36, v35
	v_sub_co_u32 v15, vcc_lo, v32, v34
	s_delay_alu instid0(VALU_DEP_1) | instskip(NEXT) | instid1(VALU_DEP_3)
	v_sub_co_ci_u32_e64 v36, null, v36, v35, vcc_lo
	v_subrev_co_ci_u32_e64 v11, null, s31, v11, vcc_lo
	s_delay_alu instid0(VALU_DEP_3) | instskip(SKIP_1) | instid1(VALU_DEP_3)
	v_sub_co_u32 v32, s0, v15, s30
	v_add_nc_u64_e32 v[34:35], 1, v[30:31]
	v_subrev_co_ci_u32_e64 v11, null, 0, v11, s0
	s_delay_alu instid0(VALU_DEP_3) | instskip(SKIP_1) | instid1(VALU_DEP_3)
	v_cmp_le_u32_e32 vcc_lo, s30, v32
	v_cndmask_b32_e64 v32, 0, -1, vcc_lo
	v_cmp_le_u32_e32 vcc_lo, s31, v11
	v_cndmask_b32_e64 v33, 0, -1, vcc_lo
	;; [unrolled: 2-line block ×4, first 2 shown]
	v_cmp_eq_u32_e32 vcc_lo, s31, v11
	v_cndmask_b32_e32 v11, v33, v32, vcc_lo
	v_cmp_eq_u32_e32 vcc_lo, s31, v36
	v_add_nc_u64_e32 v[32:33], 2, v[30:31]
	v_cndmask_b32_e32 v15, v37, v15, vcc_lo
	s_delay_alu instid0(VALU_DEP_4) | instskip(NEXT) | instid1(VALU_DEP_3)
	v_cmp_ne_u32_e32 vcc_lo, 0, v11
	v_cndmask_b32_e32 v11, v35, v33, vcc_lo
	s_delay_alu instid0(VALU_DEP_3) | instskip(SKIP_1) | instid1(VALU_DEP_2)
	v_cmp_ne_u32_e64 s0, 0, v15
	v_dual_cndmask_b32 v15, v34, v32, vcc_lo :: v_dual_bitop2_b32 v14, s28, v14 bitop3:0x14
	v_cndmask_b32_e64 v11, v31, v11, s0
	s_delay_alu instid0(VALU_DEP_2) | instskip(NEXT) | instid1(VALU_DEP_2)
	v_cndmask_b32_e64 v30, v30, v15, s0
	v_dual_mov_b32 v15, v14 :: v_dual_bitop2_b32 v31, v11, v14 bitop3:0x14
	s_delay_alu instid0(VALU_DEP_2) | instskip(NEXT) | instid1(VALU_DEP_1)
	v_xor_b32_e32 v30, v30, v14
	v_sub_nc_u64_e32 v[14:15], v[30:31], v[14:15]
.LBB93_234:                             ;   in Loop: Header=BB93_232 Depth=1
	s_and_not1_saveexec_b32 s0, s53
	s_cbranch_execz .LBB93_231
; %bb.235:                              ;   in Loop: Header=BB93_232 Depth=1
	v_cvt_f32_u32_e32 v11, s26
	s_sub_co_i32 s28, 0, s26
	s_delay_alu instid0(VALU_DEP_1) | instskip(SKIP_1) | instid1(TRANS32_DEP_1)
	v_rcp_iflag_f32_e32 v11, v11
	v_nop
	v_mul_f32_e32 v11, 0x4f7ffffe, v11
	s_delay_alu instid0(VALU_DEP_1) | instskip(NEXT) | instid1(VALU_DEP_1)
	v_cvt_u32_f32_e32 v11, v11
	v_mul_lo_u32 v14, s28, v11
	s_delay_alu instid0(VALU_DEP_1) | instskip(NEXT) | instid1(VALU_DEP_1)
	v_mul_hi_u32 v14, v11, v14
	v_add_nc_u32_e32 v11, v11, v14
	s_delay_alu instid0(VALU_DEP_1) | instskip(NEXT) | instid1(VALU_DEP_1)
	v_mul_hi_u32 v11, v12, v11
	v_mul_lo_u32 v14, v11, s26
	s_delay_alu instid0(VALU_DEP_1) | instskip(NEXT) | instid1(VALU_DEP_1)
	v_sub_nc_u32_e32 v14, v12, v14
	v_subrev_nc_u32_e32 v30, s26, v14
	v_cmp_le_u32_e32 vcc_lo, s26, v14
	s_delay_alu instid0(VALU_DEP_2) | instskip(NEXT) | instid1(VALU_DEP_1)
	v_dual_cndmask_b32 v14, v14, v30 :: v_dual_add_nc_u32 v15, 1, v11
	v_cndmask_b32_e32 v11, v11, v15, vcc_lo
	s_delay_alu instid0(VALU_DEP_2) | instskip(NEXT) | instid1(VALU_DEP_2)
	v_cmp_le_u32_e32 vcc_lo, s26, v14
	v_add_nc_u32_e32 v15, 1, v11
	s_delay_alu instid0(VALU_DEP_1)
	v_dual_cndmask_b32 v14, v11, v15 :: v_dual_mov_b32 v15, v10
	s_branch .LBB93_231
.LBB93_236:
	s_or_b32 exec_lo, exec_lo, s52
	s_mov_b32 s1, -1
	s_mov_b32 s52, s50
	s_mov_b32 s0, exec_lo
	v_cmpx_gt_i64_e64 v[4:5], v[6:7]
	s_cbranch_execz .LBB93_243
; %bb.237:
	s_delay_alu instid0(VALU_DEP_2) | instskip(SKIP_2) | instid1(VALU_DEP_1)
	v_lshlrev_b64_e32 v[8:9], 3, v[8:9]
	s_mov_b32 s17, 0
	s_xor_b32 s22, s47, -1
                                        ; implicit-def: $sgpr1
                                        ; implicit-def: $sgpr24
                                        ; implicit-def: $sgpr23
	v_lshl_add_u64 v[6:7], v[6:7], 3, v[8:9]
	s_wait_kmcnt 0x0
	v_add_nc_u64_e32 v[8:9], s[20:21], v[8:9]
	s_delay_alu instid0(VALU_DEP_2) | instskip(NEXT) | instid1(VALU_DEP_2)
	v_add_nc_u64_e32 v[6:7], s[20:21], v[6:7]
	v_lshl_add_u64 v[4:5], v[4:5], 3, v[8:9]
	s_delay_alu instid0(VALU_DEP_2)
	v_add_nc_u64_e32 v[6:7], 8, v[6:7]
	s_branch .LBB93_239
.LBB93_238:                             ;   in Loop: Header=BB93_239 Depth=1
	s_or_b32 exec_lo, exec_lo, s25
	s_xor_b32 s25, s23, -1
	s_and_b32 s26, exec_lo, s24
	s_delay_alu instid0(SALU_CYCLE_1) | instskip(SKIP_2) | instid1(SALU_CYCLE_1)
	s_or_b32 s17, s26, s17
	s_and_not1_b32 s1, s1, exec_lo
	s_and_b32 s25, s25, exec_lo
	s_or_b32 s1, s1, s25
	s_and_not1_b32 exec_lo, exec_lo, s17
	s_cbranch_execz .LBB93_241
.LBB93_239:                             ; =>This Inner Loop Header: Depth=1
	s_or_b32 s23, s23, exec_lo
	s_or_b32 s24, s24, exec_lo
	s_mov_b32 s25, exec_lo
	s_delay_alu instid0(VALU_DEP_1)
	v_cmpx_lt_u64_e64 v[6:7], v[4:5]
	s_cbranch_execz .LBB93_238
; %bb.240:                              ;   in Loop: Header=BB93_239 Depth=1
	global_load_b128 v[8:11], v[6:7], off offset:-8
	s_wait_xcnt 0x0
	v_add_nc_u64_e32 v[6:7], 8, v[6:7]
	s_and_not1_b32 s24, s24, exec_lo
	s_and_not1_b32 s23, s23, exec_lo
	s_wait_loadcnt 0x0
	v_cmp_ge_i64_e32 vcc_lo, v[8:9], v[10:11]
	s_or_b32 s26, s22, vcc_lo
	s_delay_alu instid0(SALU_CYCLE_1) | instskip(NEXT) | instid1(SALU_CYCLE_1)
	s_and_b32 s26, s26, exec_lo
	s_or_b32 s24, s24, s26
	s_branch .LBB93_238
.LBB93_241:
	s_or_b32 exec_lo, exec_lo, s17
	s_mov_b32 s17, -1
	s_mov_b32 s22, s50
	s_and_saveexec_b32 s23, s1
	s_delay_alu instid0(SALU_CYCLE_1)
	s_xor_b32 s1, exec_lo, s23
	s_cbranch_execnz .LBB93_281
.LBB93_242:
	s_or_b32 exec_lo, exec_lo, s1
	s_delay_alu instid0(SALU_CYCLE_1) | instskip(SKIP_1) | instid1(SALU_CYCLE_1)
	s_and_not1_b32 s1, s50, exec_lo
	s_and_b32 s22, s22, exec_lo
	s_or_b32 s52, s1, s22
	s_or_not1_b32 s1, s17, exec_lo
.LBB93_243:
	s_or_b32 exec_lo, exec_lo, s0
	s_mov_b32 s0, 0
	s_and_saveexec_b32 s53, s1
	s_cbranch_execz .LBB93_300
; %bb.244:
	global_load_b64 v[4:5], v29, s[6:7]
	s_mov_b32 s54, s52
	s_mov_b32 s0, exec_lo
	s_wait_loadcnt 0x0
	v_cmpx_ne_u64_e64 v[4:5], v[2:3]
	s_xor_b32 s0, exec_lo, s0
	s_cbranch_execnz .LBB93_312
; %bb.245:
	s_or_saveexec_b32 s55, s0
	s_mov_b32 s0, 0
	s_xor_b32 exec_lo, exec_lo, s55
	s_cbranch_execz .LBB93_299
.LBB93_246:
	global_load_b64 v[4:5], v28, s[8:9]
	s_mov_b32 s56, s54
	s_mov_b32 s0, exec_lo
	s_wait_loadcnt 0x0
	v_cmpx_ne_u64_e64 v[4:5], v[0:1]
	s_xor_b32 s0, exec_lo, s0
	s_cbranch_execnz .LBB93_313
; %bb.247:
	s_or_saveexec_b32 s57, s0
	s_mov_b32 s0, 0
	s_xor_b32 exec_lo, exec_lo, s57
	s_cbranch_execz .LBB93_298
.LBB93_248:
	global_load_b64 v[6:7], v27, s[10:11]
	global_load_b64 v[4:5], v26, s[12:13]
	s_mov_b32 s58, s56
	s_wait_loadcnt 0x0
	v_sub_nc_u64_e32 v[8:9], v[4:5], v[6:7]
	s_delay_alu instid0(VALU_DEP_1) | instskip(SKIP_4) | instid1(SALU_CYCLE_1)
	v_cmp_gt_i64_e32 vcc_lo, v[2:3], v[8:9]
	v_cmp_lt_i64_e64 s0, s[18:19], v[8:9]
	s_or_b32 s0, vcc_lo, s0
	s_wait_xcnt 0x0
	s_and_saveexec_b32 s1, s0
	s_xor_b32 s0, exec_lo, s1
	s_cbranch_execnz .LBB93_315
; %bb.249:
	s_or_saveexec_b32 s59, s0
	s_mov_b32 s0, 0
	s_xor_b32 exec_lo, exec_lo, s59
	s_cbranch_execz .LBB93_297
.LBB93_250:
	v_mov_b64_e32 v[8:9], 0
	s_and_saveexec_b32 s60, s48
	s_cbranch_execz .LBB93_259
; %bb.251:
	global_load_b64 v[8:9], v25, s[14:15]
	s_mov_b32 s1, 0
	v_mov_b32_e32 v10, 0
	s_mov_b32 s17, s1
	s_mov_b64 s[22:23], 0xffffffff
	s_lshl_b64 s[24:25], s[16:17], 3
	s_mov_b32 s17, s41
	s_add_nc_u64 s[24:25], s[2:3], s[24:25]
	s_delay_alu instid0(SALU_CYCLE_1)
	s_add_nc_u64 s[24:25], s[24:25], 0x298
	s_wait_loadcnt 0x0
	v_mul_u64_e32 v[12:13], v[8:9], v[0:1]
	v_mov_b64_e32 v[8:9], 0
	s_branch .LBB93_253
.LBB93_252:                             ;   in Loop: Header=BB93_253 Depth=1
	s_or_b32 exec_lo, exec_lo, s0
	s_delay_alu instid0(VALU_DEP_1)
	v_mul_u64_e32 v[26:27], s[26:27], v[14:15]
	s_load_b64 s[26:27], s[24:25], 0x40
	s_add_co_i32 s17, s17, -1
	s_wait_xcnt 0x0
	s_add_nc_u64 s[24:25], s[24:25], -8
	s_cmp_eq_u32 s17, 0
	s_delay_alu instid0(VALU_DEP_1) | instskip(SKIP_1) | instid1(VALU_DEP_1)
	v_sub_nc_u64_e32 v[12:13], v[12:13], v[26:27]
	s_wait_kmcnt 0x0
	v_mad_nc_u64_u32 v[8:9], v12, s26, v[8:9]
	s_delay_alu instid0(VALU_DEP_1) | instskip(NEXT) | instid1(VALU_DEP_1)
	v_mad_u32 v9, v13, s26, v9
	v_mad_u32 v9, v12, s27, v9
	v_mov_b64_e32 v[12:13], v[14:15]
	s_cbranch_scc1 .LBB93_259
.LBB93_253:                             ; =>This Inner Loop Header: Depth=1
	s_load_b64 s[26:27], s[24:25], 0x0
                                        ; implicit-def: $vgpr14_vgpr15
	s_mov_b32 s0, exec_lo
	s_wait_kmcnt 0x0
	s_delay_alu instid0(VALU_DEP_1) | instskip(NEXT) | instid1(VALU_DEP_1)
	v_or_b32_e32 v11, s27, v13
	v_cmpx_ne_u64_e32 0, v[10:11]
	s_xor_b32 s61, exec_lo, s0
	s_cbranch_execz .LBB93_255
; %bb.254:                              ;   in Loop: Header=BB93_253 Depth=1
	s_ashr_i32 s28, s27, 31
	v_dual_mov_b32 v29, v10 :: v_dual_ashrrev_i32 v14, 31, v13
	s_mov_b32 s29, s28
	v_mov_b32_e32 v33, v10
	s_add_nc_u64 s[30:31], s[26:27], s[28:29]
	s_delay_alu instid0(VALU_DEP_2)
	v_mov_b32_e32 v15, v14
	s_xor_b64 s[30:31], s[30:31], s[28:29]
	v_mov_b32_e32 v37, v10
	s_cvt_f32_u32 s0, s30
	s_cvt_f32_u32 s29, s31
	s_sub_nc_u64 s[64:65], 0, s[30:31]
	v_add_nc_u64_e32 v[26:27], v[12:13], v[14:15]
	s_delay_alu instid0(SALU_CYCLE_1) | instskip(NEXT) | instid1(SALU_CYCLE_3)
	s_fmamk_f32 s0, s29, 0x4f800000, s0
	v_s_rcp_f32 s0, s0
	s_delay_alu instid0(VALU_DEP_1) | instskip(NEXT) | instid1(VALU_DEP_2)
	v_xor_b32_e32 v32, v27, v14
	v_xor_b32_e32 v28, v26, v14
	s_delay_alu instid0(TRANS32_DEP_1) | instskip(NEXT) | instid1(SALU_CYCLE_3)
	s_mul_f32 s0, s0, 0x5f7ffffc
	s_mul_f32 s29, s0, 0x2f800000
	s_delay_alu instid0(SALU_CYCLE_3) | instskip(NEXT) | instid1(SALU_CYCLE_3)
	s_trunc_f32 s29, s29
	s_fmamk_f32 s0, s29, 0xcf800000, s0
	s_cvt_u32_f32 s63, s29
	s_delay_alu instid0(SALU_CYCLE_2) | instskip(NEXT) | instid1(SALU_CYCLE_3)
	s_cvt_u32_f32 s62, s0
	s_mul_u64 s[66:67], s[64:65], s[62:63]
	s_delay_alu instid0(SALU_CYCLE_1)
	s_mul_hi_u32 s69, s62, s67
	s_mul_i32 s68, s62, s67
	s_mul_hi_u32 s0, s62, s66
	s_mul_i32 s70, s63, s66
	s_add_nc_u64 s[68:69], s[0:1], s[68:69]
	s_mul_hi_u32 s29, s63, s66
	s_mul_hi_u32 s71, s63, s67
	s_add_co_u32 s0, s68, s70
	s_add_co_ci_u32 s0, s69, s29
	s_mul_i32 s66, s63, s67
	s_add_co_ci_u32 s67, s71, 0
	s_delay_alu instid0(SALU_CYCLE_1) | instskip(NEXT) | instid1(SALU_CYCLE_1)
	s_add_nc_u64 s[66:67], s[0:1], s[66:67]
	s_add_co_u32 s62, s62, s66
	s_cselect_b32 s0, -1, 0
	s_delay_alu instid0(SALU_CYCLE_1) | instskip(SKIP_1) | instid1(SALU_CYCLE_1)
	s_cmp_lg_u32 s0, 0
	s_add_co_ci_u32 s63, s63, s67
	s_mul_u64 s[64:65], s[64:65], s[62:63]
	s_delay_alu instid0(SALU_CYCLE_1)
	s_mul_hi_u32 s67, s62, s65
	s_mul_i32 s66, s62, s65
	s_mul_hi_u32 s0, s62, s64
	s_mul_i32 s68, s63, s64
	s_add_nc_u64 s[66:67], s[0:1], s[66:67]
	s_mul_hi_u32 s29, s63, s64
	s_mul_hi_u32 s69, s63, s65
	s_add_co_u32 s0, s66, s68
	s_add_co_ci_u32 s0, s67, s29
	s_mul_i32 s64, s63, s65
	s_add_co_ci_u32 s65, s69, 0
	s_delay_alu instid0(SALU_CYCLE_1) | instskip(NEXT) | instid1(SALU_CYCLE_1)
	s_add_nc_u64 s[64:65], s[0:1], s[64:65]
	s_add_co_u32 s62, s62, s64
	s_cselect_b32 s0, -1, 0
	v_mul_hi_u32 v36, v28, s62
	s_cmp_lg_u32 s0, 0
	s_add_co_ci_u32 s0, s63, s65
	s_and_b64 s[64:65], s[62:63], s[22:23]
	v_mul_u64_e32 v[30:31], s[0:1], v[28:29]
	v_mul_u64_e32 v[26:27], s[64:65], v[32:33]
	;; [unrolled: 1-line block ×3, first 2 shown]
	s_delay_alu instid0(VALU_DEP_3) | instskip(NEXT) | instid1(VALU_DEP_1)
	v_add_nc_u64_e32 v[30:31], v[36:37], v[30:31]
	v_add_co_u32 v11, vcc_lo, v30, v26
	s_delay_alu instid0(VALU_DEP_2) | instskip(NEXT) | instid1(VALU_DEP_4)
	v_add_co_ci_u32_e32 v36, vcc_lo, v31, v27, vcc_lo
	v_add_co_ci_u32_e32 v35, vcc_lo, 0, v35, vcc_lo
	s_delay_alu instid0(VALU_DEP_1) | instskip(NEXT) | instid1(VALU_DEP_1)
	v_add_nc_u64_e32 v[26:27], v[36:37], v[34:35]
	v_mul_u64_e32 v[30:31], s[30:31], v[26:27]
	s_delay_alu instid0(VALU_DEP_1) | instskip(NEXT) | instid1(VALU_DEP_2)
	v_sub_nc_u32_e32 v11, v32, v31
	v_sub_co_u32 v15, vcc_lo, v28, v30
	s_delay_alu instid0(VALU_DEP_1) | instskip(NEXT) | instid1(VALU_DEP_3)
	v_sub_co_ci_u32_e64 v32, null, v32, v31, vcc_lo
	v_subrev_co_ci_u32_e64 v11, null, s31, v11, vcc_lo
	s_delay_alu instid0(VALU_DEP_3) | instskip(SKIP_1) | instid1(VALU_DEP_3)
	v_sub_co_u32 v25, s0, v15, s30
	v_add_nc_u64_e32 v[30:31], 1, v[26:27]
	v_subrev_co_ci_u32_e64 v11, null, 0, v11, s0
	s_delay_alu instid0(VALU_DEP_3) | instskip(SKIP_1) | instid1(VALU_DEP_3)
	v_cmp_le_u32_e32 vcc_lo, s30, v25
	v_cndmask_b32_e64 v25, 0, -1, vcc_lo
	v_cmp_le_u32_e32 vcc_lo, s31, v11
	v_cndmask_b32_e64 v28, 0, -1, vcc_lo
	;; [unrolled: 2-line block ×4, first 2 shown]
	v_cmp_eq_u32_e32 vcc_lo, s31, v11
	v_cndmask_b32_e32 v11, v28, v25, vcc_lo
	v_cmp_eq_u32_e32 vcc_lo, s31, v32
	v_add_nc_u64_e32 v[28:29], 2, v[26:27]
	v_cndmask_b32_e32 v15, v33, v15, vcc_lo
	s_delay_alu instid0(VALU_DEP_4) | instskip(NEXT) | instid1(VALU_DEP_2)
	v_cmp_ne_u32_e32 vcc_lo, 0, v11
	v_cmp_ne_u32_e64 s0, 0, v15
	s_delay_alu instid0(VALU_DEP_4) | instskip(NEXT) | instid1(VALU_DEP_1)
	v_dual_cndmask_b32 v11, v31, v29, vcc_lo :: v_dual_cndmask_b32 v15, v30, v28, vcc_lo
	v_dual_cndmask_b32 v11, v27, v11, s0 :: v_dual_bitop2_b32 v14, s28, v14 bitop3:0x14
	s_delay_alu instid0(VALU_DEP_1) | instskip(NEXT) | instid1(VALU_DEP_1)
	v_dual_cndmask_b32 v25, v26, v15, s0 :: v_dual_bitop2_b32 v27, v11, v14 bitop3:0x14
	v_dual_mov_b32 v15, v14 :: v_dual_bitop2_b32 v26, v25, v14 bitop3:0x14
	s_delay_alu instid0(VALU_DEP_1)
	v_sub_nc_u64_e32 v[14:15], v[26:27], v[14:15]
.LBB93_255:                             ;   in Loop: Header=BB93_253 Depth=1
	s_and_not1_saveexec_b32 s0, s61
	s_cbranch_execz .LBB93_252
; %bb.256:                              ;   in Loop: Header=BB93_253 Depth=1
	v_cvt_f32_u32_e32 v11, s26
	s_sub_co_i32 s28, 0, s26
	s_delay_alu instid0(VALU_DEP_1) | instskip(SKIP_1) | instid1(TRANS32_DEP_1)
	v_rcp_iflag_f32_e32 v11, v11
	v_nop
	v_mul_f32_e32 v11, 0x4f7ffffe, v11
	s_delay_alu instid0(VALU_DEP_1) | instskip(NEXT) | instid1(VALU_DEP_1)
	v_cvt_u32_f32_e32 v11, v11
	v_mul_lo_u32 v14, s28, v11
	s_delay_alu instid0(VALU_DEP_1) | instskip(NEXT) | instid1(VALU_DEP_1)
	v_mul_hi_u32 v14, v11, v14
	v_add_nc_u32_e32 v11, v11, v14
	s_delay_alu instid0(VALU_DEP_1) | instskip(NEXT) | instid1(VALU_DEP_1)
	v_mul_hi_u32 v11, v12, v11
	v_mul_lo_u32 v14, v11, s26
	s_delay_alu instid0(VALU_DEP_1) | instskip(NEXT) | instid1(VALU_DEP_1)
	v_dual_add_nc_u32 v15, 1, v11 :: v_dual_sub_nc_u32 v14, v12, v14
	v_subrev_nc_u32_e32 v25, s26, v14
	v_cmp_le_u32_e32 vcc_lo, s26, v14
	s_delay_alu instid0(VALU_DEP_2) | instskip(NEXT) | instid1(VALU_DEP_1)
	v_dual_cndmask_b32 v14, v14, v25 :: v_dual_cndmask_b32 v11, v11, v15
	v_cmp_le_u32_e32 vcc_lo, s26, v14
	s_delay_alu instid0(VALU_DEP_2) | instskip(NEXT) | instid1(VALU_DEP_1)
	v_add_nc_u32_e32 v15, 1, v11
	v_dual_cndmask_b32 v14, v11, v15 :: v_dual_mov_b32 v15, v10
	s_branch .LBB93_252
.LBB93_257:
	s_or_b32 s22, s39, exec_lo
	s_xor_b32 s17, exec_lo, -1
	s_trap 2
	s_branch .LBB93_221
.LBB93_258:
	s_or_b32 s33, s36, exec_lo
	s_trap 2
                                        ; implicit-def: $vgpr8
                                        ; implicit-def: $vgpr10
                                        ; implicit-def: $vgpr1
                                        ; implicit-def: $vgpr9
                                        ; implicit-def: $vgpr31
                                        ; implicit-def: $vgpr30
                                        ; implicit-def: $vgpr33
                                        ; implicit-def: $vgpr32
                                        ; implicit-def: $vgpr34
                                        ; implicit-def: $vgpr26
                                        ; implicit-def: $vgpr25
                                        ; implicit-def: $vgpr28
                                        ; implicit-def: $vgpr27
                                        ; implicit-def: $vgpr29
                                        ; implicit-def: $vgpr21
                                        ; implicit-def: $vgpr20
                                        ; implicit-def: $vgpr23
                                        ; implicit-def: $vgpr22
                                        ; implicit-def: $vgpr24
                                        ; implicit-def: $vgpr2_vgpr3
	s_or_saveexec_b32 s34, s0
	s_mov_b32 s0, 0
	s_xor_b32 exec_lo, exec_lo, s34
	s_cbranch_execnz .LBB93_204
	s_branch .LBB93_307
.LBB93_259:
	s_or_b32 exec_lo, exec_lo, s60
	s_mov_b32 s17, -1
	s_mov_b32 s1, s58
	s_mov_b32 s0, exec_lo
	v_cmpx_gt_i64_e64 v[4:5], v[6:7]
	s_cbranch_execz .LBB93_267
; %bb.260:
	s_delay_alu instid0(VALU_DEP_2) | instskip(SKIP_2) | instid1(VALU_DEP_1)
	v_lshlrev_b64_e32 v[8:9], 3, v[8:9]
	s_mov_b32 s17, 0
	s_xor_b32 s22, s47, -1
                                        ; implicit-def: $sgpr1
                                        ; implicit-def: $sgpr24
                                        ; implicit-def: $sgpr23
	v_lshl_add_u64 v[6:7], v[6:7], 3, v[8:9]
	s_wait_kmcnt 0x0
	v_add_nc_u64_e32 v[8:9], s[20:21], v[8:9]
	s_delay_alu instid0(VALU_DEP_2) | instskip(NEXT) | instid1(VALU_DEP_2)
	v_add_nc_u64_e32 v[6:7], s[20:21], v[6:7]
	v_lshl_add_u64 v[4:5], v[4:5], 3, v[8:9]
	s_delay_alu instid0(VALU_DEP_2)
	v_add_nc_u64_e32 v[6:7], 8, v[6:7]
	s_branch .LBB93_262
.LBB93_261:                             ;   in Loop: Header=BB93_262 Depth=1
	s_or_b32 exec_lo, exec_lo, s25
	s_xor_b32 s25, s23, -1
	s_and_b32 s26, exec_lo, s24
	s_delay_alu instid0(SALU_CYCLE_1) | instskip(SKIP_2) | instid1(SALU_CYCLE_1)
	s_or_b32 s17, s26, s17
	s_and_not1_b32 s1, s1, exec_lo
	s_and_b32 s25, s25, exec_lo
	s_or_b32 s1, s1, s25
	s_and_not1_b32 exec_lo, exec_lo, s17
	s_cbranch_execz .LBB93_265
.LBB93_262:                             ; =>This Inner Loop Header: Depth=1
	s_or_b32 s23, s23, exec_lo
	s_or_b32 s24, s24, exec_lo
	s_mov_b32 s25, exec_lo
	s_delay_alu instid0(VALU_DEP_1)
	v_cmpx_lt_u64_e64 v[6:7], v[4:5]
	s_cbranch_execz .LBB93_261
; %bb.263:                              ;   in Loop: Header=BB93_262 Depth=1
	global_load_b128 v[8:11], v[6:7], off offset:-8
	s_wait_xcnt 0x0
	v_add_nc_u64_e32 v[6:7], 8, v[6:7]
	s_and_not1_b32 s24, s24, exec_lo
	s_and_not1_b32 s23, s23, exec_lo
	s_wait_loadcnt 0x0
	v_cmp_ge_i64_e32 vcc_lo, v[8:9], v[10:11]
	s_or_b32 s26, s22, vcc_lo
	s_delay_alu instid0(SALU_CYCLE_1) | instskip(NEXT) | instid1(SALU_CYCLE_1)
	s_and_b32 s26, s26, exec_lo
	s_or_b32 s24, s24, s26
	s_branch .LBB93_261
.LBB93_264:
	s_or_b32 s35, s33, exec_lo
	s_trap 2
                                        ; implicit-def: $vgpr0_vgpr1
                                        ; implicit-def: $vgpr8
                                        ; implicit-def: $vgpr10
                                        ; implicit-def: $vgpr9
                                        ; implicit-def: $vgpr31
                                        ; implicit-def: $vgpr30
                                        ; implicit-def: $vgpr33
                                        ; implicit-def: $vgpr32
                                        ; implicit-def: $vgpr34
                                        ; implicit-def: $vgpr26
                                        ; implicit-def: $vgpr25
                                        ; implicit-def: $vgpr28
                                        ; implicit-def: $vgpr27
                                        ; implicit-def: $vgpr29
                                        ; implicit-def: $vgpr21
                                        ; implicit-def: $vgpr20
                                        ; implicit-def: $vgpr23
                                        ; implicit-def: $vgpr22
                                        ; implicit-def: $vgpr24
                                        ; implicit-def: $vgpr2_vgpr3
	s_or_saveexec_b32 s38, s0
	s_mov_b32 s0, 0
	s_xor_b32 exec_lo, exec_lo, s38
	s_cbranch_execnz .LBB93_206
	s_branch .LBB93_306
.LBB93_265:
	s_or_b32 exec_lo, exec_lo, s17
	s_mov_b32 s17, -1
	s_mov_b32 s22, s58
	s_and_saveexec_b32 s23, s1
	s_delay_alu instid0(SALU_CYCLE_1)
	s_xor_b32 s1, exec_lo, s23
	s_cbranch_execnz .LBB93_310
.LBB93_266:
	s_or_b32 exec_lo, exec_lo, s1
	s_delay_alu instid0(SALU_CYCLE_1)
	s_and_not1_b32 s1, s58, exec_lo
	s_and_b32 s22, s22, exec_lo
	s_or_not1_b32 s17, s17, exec_lo
	s_or_b32 s1, s1, s22
.LBB93_267:
	s_or_b32 exec_lo, exec_lo, s0
	s_mov_b32 s0, 0
	s_and_saveexec_b32 s22, s17
	s_cbranch_execz .LBB93_296
; %bb.268:
	global_load_b64 v[4:5], v24, s[6:7]
	s_mov_b32 s23, s1
	s_mov_b32 s0, exec_lo
	s_wait_loadcnt 0x0
	v_cmpx_ne_u64_e64 v[4:5], v[2:3]
	s_xor_b32 s0, exec_lo, s0
	s_cbranch_execnz .LBB93_316
; %bb.269:
	s_or_saveexec_b32 s24, s0
	s_mov_b32 s0, 0
	s_xor_b32 exec_lo, exec_lo, s24
	s_cbranch_execz .LBB93_295
.LBB93_270:
	global_load_b64 v[4:5], v23, s[8:9]
	s_mov_b32 s25, s23
	s_mov_b32 s0, exec_lo
	s_wait_loadcnt 0x0
	v_cmpx_ne_u64_e64 v[4:5], v[0:1]
	s_xor_b32 s0, exec_lo, s0
	s_cbranch_execnz .LBB93_317
; %bb.271:
	s_or_saveexec_b32 s26, s0
	s_mov_b32 s0, 0
	s_xor_b32 exec_lo, exec_lo, s26
	s_cbranch_execz .LBB93_294
.LBB93_272:
	global_load_b64 v[6:7], v22, s[10:11]
	global_load_b64 v[4:5], v21, s[12:13]
	s_wait_loadcnt 0x0
	v_sub_nc_u64_e32 v[8:9], v[4:5], v[6:7]
	s_delay_alu instid0(VALU_DEP_1)
	v_cmp_gt_i64_e32 vcc_lo, v[2:3], v[8:9]
	v_cmp_lt_i64_e64 s0, s[18:19], v[8:9]
	s_mov_b32 s18, s25
	s_or_b32 s0, vcc_lo, s0
	s_wait_xcnt 0x0
	s_and_saveexec_b32 s6, s0
	s_delay_alu instid0(SALU_CYCLE_1)
	s_xor_b32 s0, exec_lo, s6
	s_cbranch_execnz .LBB93_318
; %bb.273:
	s_or_saveexec_b32 s19, s0
	s_mov_b32 s0, 0
	s_xor_b32 exec_lo, exec_lo, s19
	s_cbranch_execz .LBB93_293
.LBB93_274:
	v_mov_b64_e32 v[2:3], 0
	s_and_saveexec_b32 s27, s48
	s_cbranch_execz .LBB93_284
; %bb.275:
	global_load_b64 v[2:3], v20, s[14:15]
	s_mov_b32 s17, 0
	s_mov_b64 s[6:7], 0xffffffff
	s_lshl_b64 s[8:9], s[16:17], 3
	s_delay_alu instid0(SALU_CYCLE_1) | instskip(NEXT) | instid1(SALU_CYCLE_1)
	s_add_nc_u64 s[2:3], s[2:3], s[8:9]
	s_add_nc_u64 s[2:3], s[2:3], 0x298
	s_wait_loadcnt 0x0
	v_mul_u64_e32 v[8:9], v[2:3], v[0:1]
	v_mov_b64_e32 v[2:3], 0
	v_mov_b32_e32 v0, 0
	s_branch .LBB93_277
.LBB93_276:                             ;   in Loop: Header=BB93_277 Depth=1
	s_or_b32 exec_lo, exec_lo, s0
	s_delay_alu instid0(VALU_DEP_1)
	v_mul_u64_e32 v[12:13], s[8:9], v[10:11]
	s_load_b64 s[8:9], s[2:3], 0x40
	s_add_co_i32 s41, s41, -1
	s_wait_xcnt 0x0
	s_add_nc_u64 s[2:3], s[2:3], -8
	s_cmp_eq_u32 s41, 0
	s_delay_alu instid0(VALU_DEP_1) | instskip(SKIP_1) | instid1(VALU_DEP_1)
	v_sub_nc_u64_e32 v[8:9], v[8:9], v[12:13]
	s_wait_kmcnt 0x0
	v_mad_nc_u64_u32 v[2:3], v8, s8, v[2:3]
	s_delay_alu instid0(VALU_DEP_1) | instskip(NEXT) | instid1(VALU_DEP_1)
	v_mad_u32 v1, v9, s8, v3
	v_mad_u32 v3, v8, s9, v1
	v_mov_b64_e32 v[8:9], v[10:11]
	s_cbranch_scc1 .LBB93_284
.LBB93_277:                             ; =>This Inner Loop Header: Depth=1
	s_load_b64 s[8:9], s[2:3], 0x0
                                        ; implicit-def: $vgpr10_vgpr11
	s_mov_b32 s0, exec_lo
	s_wait_kmcnt 0x0
	s_delay_alu instid0(VALU_DEP_1) | instskip(NEXT) | instid1(VALU_DEP_1)
	v_or_b32_e32 v1, s9, v9
	v_cmpx_ne_u64_e32 0, v[0:1]
	s_xor_b32 s14, exec_lo, s0
	s_cbranch_execz .LBB93_279
; %bb.278:                              ;   in Loop: Header=BB93_277 Depth=1
	s_ashr_i32 s10, s9, 31
	v_dual_mov_b32 v15, v0 :: v_dual_ashrrev_i32 v10, 31, v9
	s_mov_b32 s11, s10
	s_delay_alu instid0(SALU_CYCLE_1) | instskip(NEXT) | instid1(VALU_DEP_1)
	s_add_nc_u64 s[12:13], s[8:9], s[10:11]
	v_mov_b32_e32 v11, v10
	s_xor_b64 s[12:13], s[12:13], s[10:11]
	s_delay_alu instid0(SALU_CYCLE_1)
	s_cvt_f32_u32 s0, s12
	s_cvt_f32_u32 s11, s13
	s_sub_nc_u64 s[30:31], 0, s[12:13]
	v_add_nc_u64_e32 v[12:13], v[8:9], v[10:11]
	v_mov_b32_e32 v23, v0
	s_fmamk_f32 s0, s11, 0x4f800000, s0
	s_delay_alu instid0(SALU_CYCLE_3) | instskip(NEXT) | instid1(VALU_DEP_2)
	v_s_rcp_f32 s0, s0
	v_xor_b32_e32 v14, v12, v10
	s_delay_alu instid0(VALU_DEP_3) | instskip(SKIP_1) | instid1(TRANS32_DEP_1)
	v_dual_mov_b32 v27, v0 :: v_dual_bitop2_b32 v22, v13, v10 bitop3:0x14
	v_xor_b32_e32 v10, s10, v10
	s_mul_f32 s0, s0, 0x5f7ffffc
	s_delay_alu instid0(SALU_CYCLE_3) | instskip(NEXT) | instid1(SALU_CYCLE_3)
	s_mul_f32 s11, s0, 0x2f800000
	s_trunc_f32 s11, s11
	s_delay_alu instid0(SALU_CYCLE_3) | instskip(SKIP_1) | instid1(SALU_CYCLE_2)
	s_fmamk_f32 s0, s11, 0xcf800000, s0
	s_cvt_u32_f32 s29, s11
	s_cvt_u32_f32 s28, s0
	s_delay_alu instid0(SALU_CYCLE_3) | instskip(NEXT) | instid1(SALU_CYCLE_1)
	s_mul_u64 s[60:61], s[30:31], s[28:29]
	s_mul_hi_u32 s63, s28, s61
	s_mul_i32 s62, s28, s61
	s_mul_hi_u32 s16, s28, s60
	s_mul_i32 s11, s29, s60
	s_add_nc_u64 s[62:63], s[16:17], s[62:63]
	s_mul_hi_u32 s0, s29, s60
	s_mul_hi_u32 s15, s29, s61
	s_add_co_u32 s11, s62, s11
	s_add_co_ci_u32 s16, s63, s0
	s_mul_i32 s60, s29, s61
	s_add_co_ci_u32 s61, s15, 0
	s_delay_alu instid0(SALU_CYCLE_1) | instskip(NEXT) | instid1(SALU_CYCLE_1)
	s_add_nc_u64 s[60:61], s[16:17], s[60:61]
	s_add_co_u32 s28, s28, s60
	s_cselect_b32 s0, -1, 0
	s_delay_alu instid0(SALU_CYCLE_1) | instskip(SKIP_1) | instid1(SALU_CYCLE_1)
	s_cmp_lg_u32 s0, 0
	s_add_co_ci_u32 s29, s29, s61
	s_mul_u64 s[30:31], s[30:31], s[28:29]
	s_delay_alu instid0(SALU_CYCLE_1)
	s_mul_hi_u32 s61, s28, s31
	s_mul_i32 s60, s28, s31
	s_mul_hi_u32 s16, s28, s30
	s_mul_i32 s11, s29, s30
	s_add_nc_u64 s[60:61], s[16:17], s[60:61]
	s_mul_hi_u32 s0, s29, s30
	s_mul_hi_u32 s15, s29, s31
	s_add_co_u32 s11, s60, s11
	s_add_co_ci_u32 s16, s61, s0
	s_mul_i32 s30, s29, s31
	s_add_co_ci_u32 s31, s15, 0
	s_delay_alu instid0(SALU_CYCLE_1) | instskip(NEXT) | instid1(SALU_CYCLE_1)
	s_add_nc_u64 s[30:31], s[16:17], s[30:31]
	s_add_co_u32 s0, s28, s30
	s_cselect_b32 s11, -1, 0
	v_mul_hi_u32 v26, v14, s0
	s_cmp_lg_u32 s11, 0
	s_add_co_ci_u32 s16, s29, s31
	s_and_b64 s[28:29], s[0:1], s[6:7]
	v_mul_u64_e32 v[20:21], s[16:17], v[14:15]
	v_mul_u64_e32 v[12:13], s[28:29], v[22:23]
	;; [unrolled: 1-line block ×3, first 2 shown]
	s_delay_alu instid0(VALU_DEP_3) | instskip(NEXT) | instid1(VALU_DEP_1)
	v_add_nc_u64_e32 v[20:21], v[26:27], v[20:21]
	v_add_co_u32 v1, vcc_lo, v20, v12
	s_delay_alu instid0(VALU_DEP_2) | instskip(NEXT) | instid1(VALU_DEP_4)
	v_add_co_ci_u32_e32 v26, vcc_lo, v21, v13, vcc_lo
	v_add_co_ci_u32_e32 v25, vcc_lo, 0, v25, vcc_lo
	s_delay_alu instid0(VALU_DEP_1) | instskip(NEXT) | instid1(VALU_DEP_1)
	v_add_nc_u64_e32 v[12:13], v[26:27], v[24:25]
	v_mul_u64_e32 v[20:21], s[12:13], v[12:13]
	s_delay_alu instid0(VALU_DEP_1) | instskip(NEXT) | instid1(VALU_DEP_2)
	v_sub_nc_u32_e32 v1, v22, v21
	v_sub_co_u32 v11, vcc_lo, v14, v20
	s_delay_alu instid0(VALU_DEP_1) | instskip(NEXT) | instid1(VALU_DEP_3)
	v_sub_co_ci_u32_e64 v22, null, v22, v21, vcc_lo
	v_subrev_co_ci_u32_e64 v1, null, s13, v1, vcc_lo
	s_delay_alu instid0(VALU_DEP_3) | instskip(SKIP_1) | instid1(VALU_DEP_3)
	v_sub_co_u32 v14, s0, v11, s12
	v_add_nc_u64_e32 v[20:21], 1, v[12:13]
	v_subrev_co_ci_u32_e64 v1, null, 0, v1, s0
	s_delay_alu instid0(VALU_DEP_3) | instskip(SKIP_1) | instid1(VALU_DEP_3)
	v_cmp_le_u32_e32 vcc_lo, s12, v14
	v_cndmask_b32_e64 v14, 0, -1, vcc_lo
	v_cmp_le_u32_e32 vcc_lo, s13, v1
	v_cndmask_b32_e64 v15, 0, -1, vcc_lo
	v_cmp_le_u32_e32 vcc_lo, s12, v11
	v_cndmask_b32_e64 v11, 0, -1, vcc_lo
	v_cmp_le_u32_e32 vcc_lo, s13, v22
	v_cndmask_b32_e64 v23, 0, -1, vcc_lo
	v_cmp_eq_u32_e32 vcc_lo, s13, v1
	v_cndmask_b32_e32 v1, v15, v14, vcc_lo
	v_cmp_eq_u32_e32 vcc_lo, s13, v22
	v_add_nc_u64_e32 v[14:15], 2, v[12:13]
	v_cndmask_b32_e32 v11, v23, v11, vcc_lo
	s_delay_alu instid0(VALU_DEP_4) | instskip(NEXT) | instid1(VALU_DEP_2)
	v_cmp_ne_u32_e32 vcc_lo, 0, v1
	v_cmp_ne_u32_e64 s0, 0, v11
	s_delay_alu instid0(VALU_DEP_4) | instskip(NEXT) | instid1(VALU_DEP_1)
	v_dual_cndmask_b32 v1, v21, v15, vcc_lo :: v_dual_cndmask_b32 v11, v20, v14, vcc_lo
	v_dual_cndmask_b32 v12, v12, v11, s0 :: v_dual_mov_b32 v11, v10
	s_delay_alu instid0(VALU_DEP_1) | instskip(NEXT) | instid1(VALU_DEP_1)
	v_dual_cndmask_b32 v1, v13, v1, s0 :: v_dual_bitop2_b32 v12, v12, v10 bitop3:0x14
	v_xor_b32_e32 v13, v1, v10
	s_delay_alu instid0(VALU_DEP_1)
	v_sub_nc_u64_e32 v[10:11], v[12:13], v[10:11]
.LBB93_279:                             ;   in Loop: Header=BB93_277 Depth=1
	s_and_not1_saveexec_b32 s0, s14
	s_cbranch_execz .LBB93_276
; %bb.280:                              ;   in Loop: Header=BB93_277 Depth=1
	v_cvt_f32_u32_e32 v1, s8
	s_sub_co_i32 s10, 0, s8
	s_delay_alu instid0(VALU_DEP_1) | instskip(SKIP_1) | instid1(TRANS32_DEP_1)
	v_rcp_iflag_f32_e32 v1, v1
	v_nop
	v_mul_f32_e32 v1, 0x4f7ffffe, v1
	s_delay_alu instid0(VALU_DEP_1) | instskip(NEXT) | instid1(VALU_DEP_1)
	v_cvt_u32_f32_e32 v1, v1
	v_mul_lo_u32 v10, s10, v1
	s_delay_alu instid0(VALU_DEP_1) | instskip(NEXT) | instid1(VALU_DEP_1)
	v_mul_hi_u32 v10, v1, v10
	v_add_nc_u32_e32 v1, v1, v10
	s_delay_alu instid0(VALU_DEP_1) | instskip(NEXT) | instid1(VALU_DEP_1)
	v_mul_hi_u32 v1, v8, v1
	v_mul_lo_u32 v10, v1, s8
	s_delay_alu instid0(VALU_DEP_1) | instskip(NEXT) | instid1(VALU_DEP_1)
	v_dual_add_nc_u32 v11, 1, v1 :: v_dual_sub_nc_u32 v10, v8, v10
	v_subrev_nc_u32_e32 v12, s8, v10
	v_cmp_le_u32_e32 vcc_lo, s8, v10
	s_delay_alu instid0(VALU_DEP_2) | instskip(NEXT) | instid1(VALU_DEP_1)
	v_dual_cndmask_b32 v10, v10, v12 :: v_dual_cndmask_b32 v1, v1, v11
	v_cmp_le_u32_e32 vcc_lo, s8, v10
	s_delay_alu instid0(VALU_DEP_2) | instskip(NEXT) | instid1(VALU_DEP_1)
	v_add_nc_u32_e32 v11, 1, v1
	v_dual_cndmask_b32 v10, v1, v11 :: v_dual_mov_b32 v11, v0
	s_branch .LBB93_276
.LBB93_281:
	s_or_b32 s22, s50, exec_lo
	s_xor_b32 s17, exec_lo, -1
	s_trap 2
	s_branch .LBB93_242
.LBB93_282:
	s_or_b32 s39, s35, exec_lo
	s_trap 2
                                        ; implicit-def: $vgpr6_vgpr7
                                        ; implicit-def: $vgpr4_vgpr5
                                        ; implicit-def: $vgpr0_vgpr1
                                        ; implicit-def: $vgpr10
                                        ; implicit-def: $vgpr31
                                        ; implicit-def: $vgpr30
                                        ; implicit-def: $vgpr33
                                        ; implicit-def: $vgpr32
                                        ; implicit-def: $vgpr34
                                        ; implicit-def: $vgpr26
                                        ; implicit-def: $vgpr25
                                        ; implicit-def: $vgpr28
                                        ; implicit-def: $vgpr27
                                        ; implicit-def: $vgpr29
                                        ; implicit-def: $vgpr21
                                        ; implicit-def: $vgpr20
                                        ; implicit-def: $vgpr23
                                        ; implicit-def: $vgpr22
                                        ; implicit-def: $vgpr24
                                        ; implicit-def: $vgpr2_vgpr3
	s_or_saveexec_b32 s40, s0
	s_mov_b32 s0, 0
	s_xor_b32 exec_lo, exec_lo, s40
	s_cbranch_execnz .LBB93_208
	s_branch .LBB93_305
.LBB93_283:
	s_or_b32 s44, s42, exec_lo
	s_trap 2
                                        ; implicit-def: $vgpr0_vgpr1
                                        ; implicit-def: $vgpr31
                                        ; implicit-def: $vgpr30
                                        ; implicit-def: $vgpr33
                                        ; implicit-def: $vgpr32
                                        ; implicit-def: $vgpr26
                                        ; implicit-def: $vgpr25
                                        ; implicit-def: $vgpr28
                                        ; implicit-def: $vgpr27
                                        ; implicit-def: $vgpr29
                                        ; implicit-def: $vgpr21
                                        ; implicit-def: $vgpr20
                                        ; implicit-def: $vgpr23
                                        ; implicit-def: $vgpr22
                                        ; implicit-def: $vgpr24
                                        ; implicit-def: $vgpr2_vgpr3
	s_or_saveexec_b32 s45, s0
	s_mov_b32 s0, 0
	s_xor_b32 exec_lo, exec_lo, s45
	s_cbranch_execnz .LBB93_225
	s_branch .LBB93_303
.LBB93_284:
	s_or_b32 exec_lo, exec_lo, s27
	s_mov_b32 s2, -1
	s_mov_b32 s3, s18
	s_mov_b32 s0, exec_lo
	v_cmpx_gt_i64_e64 v[4:5], v[6:7]
	s_cbranch_execz .LBB93_292
; %bb.285:
	s_delay_alu instid0(VALU_DEP_2) | instskip(SKIP_2) | instid1(VALU_DEP_1)
	v_lshlrev_b64_e32 v[0:1], 3, v[2:3]
	s_mov_b32 s3, 0
	s_xor_b32 s6, s47, -1
                                        ; implicit-def: $sgpr2
                                        ; implicit-def: $sgpr8
                                        ; implicit-def: $sgpr7
	v_lshl_add_u64 v[2:3], v[6:7], 3, v[0:1]
	s_wait_kmcnt 0x0
	v_add_nc_u64_e32 v[6:7], s[20:21], v[0:1]
	s_delay_alu instid0(VALU_DEP_2) | instskip(NEXT) | instid1(VALU_DEP_1)
	v_add_nc_u64_e32 v[2:3], s[20:21], v[2:3]
	v_add_nc_u64_e32 v[0:1], 8, v[2:3]
	s_delay_alu instid0(VALU_DEP_3)
	v_lshl_add_u64 v[2:3], v[4:5], 3, v[6:7]
	s_branch .LBB93_287
.LBB93_286:                             ;   in Loop: Header=BB93_287 Depth=1
	s_or_b32 exec_lo, exec_lo, s9
	s_xor_b32 s9, s7, -1
	s_and_b32 s10, exec_lo, s8
	s_delay_alu instid0(SALU_CYCLE_1) | instskip(SKIP_2) | instid1(SALU_CYCLE_1)
	s_or_b32 s3, s10, s3
	s_and_not1_b32 s2, s2, exec_lo
	s_and_b32 s9, s9, exec_lo
	s_or_b32 s2, s2, s9
	s_and_not1_b32 exec_lo, exec_lo, s3
	s_cbranch_execz .LBB93_290
.LBB93_287:                             ; =>This Inner Loop Header: Depth=1
	s_or_b32 s7, s7, exec_lo
	s_or_b32 s8, s8, exec_lo
	s_mov_b32 s9, exec_lo
	s_delay_alu instid0(VALU_DEP_2)
	v_cmpx_lt_u64_e64 v[0:1], v[2:3]
	s_cbranch_execz .LBB93_286
; %bb.288:                              ;   in Loop: Header=BB93_287 Depth=1
	global_load_b128 v[4:7], v[0:1], off offset:-8
	s_wait_xcnt 0x0
	v_add_nc_u64_e32 v[0:1], 8, v[0:1]
	s_and_not1_b32 s8, s8, exec_lo
	s_and_not1_b32 s7, s7, exec_lo
	s_wait_loadcnt 0x0
	v_cmp_ge_i64_e32 vcc_lo, v[4:5], v[6:7]
	s_or_b32 s10, s6, vcc_lo
	s_delay_alu instid0(SALU_CYCLE_1) | instskip(NEXT) | instid1(SALU_CYCLE_1)
	s_and_b32 s10, s10, exec_lo
	s_or_b32 s8, s8, s10
	s_branch .LBB93_286
.LBB93_289:
	s_or_b32 s46, s44, exec_lo
	s_trap 2
                                        ; implicit-def: $vgpr0_vgpr1
                                        ; implicit-def: $vgpr31
                                        ; implicit-def: $vgpr30
                                        ; implicit-def: $vgpr32
                                        ; implicit-def: $vgpr26
                                        ; implicit-def: $vgpr25
                                        ; implicit-def: $vgpr28
                                        ; implicit-def: $vgpr27
                                        ; implicit-def: $vgpr29
                                        ; implicit-def: $vgpr21
                                        ; implicit-def: $vgpr20
                                        ; implicit-def: $vgpr23
                                        ; implicit-def: $vgpr22
                                        ; implicit-def: $vgpr24
                                        ; implicit-def: $vgpr2_vgpr3
	s_or_saveexec_b32 s49, s0
	s_mov_b32 s0, 0
	s_xor_b32 exec_lo, exec_lo, s49
	s_cbranch_execnz .LBB93_227
	s_branch .LBB93_302
.LBB93_290:
	s_or_b32 exec_lo, exec_lo, s3
	s_mov_b32 s3, -1
	s_mov_b32 s6, s18
	s_and_saveexec_b32 s7, s2
	s_delay_alu instid0(SALU_CYCLE_1)
	s_xor_b32 s2, exec_lo, s7
	s_cbranch_execnz .LBB93_314
.LBB93_291:
	s_or_b32 exec_lo, exec_lo, s2
	s_delay_alu instid0(SALU_CYCLE_1)
	s_and_not1_b32 s7, s18, exec_lo
	s_and_b32 s6, s6, exec_lo
	s_or_not1_b32 s2, s3, exec_lo
	s_or_b32 s3, s7, s6
.LBB93_292:
	s_or_b32 exec_lo, exec_lo, s0
	s_delay_alu instid0(SALU_CYCLE_1)
	s_and_not1_b32 s6, s18, exec_lo
	s_and_b32 s3, s3, exec_lo
	s_and_b32 s0, s2, exec_lo
	s_or_b32 s18, s6, s3
.LBB93_293:
	s_or_b32 exec_lo, exec_lo, s19
	s_delay_alu instid0(SALU_CYCLE_1)
	s_and_not1_b32 s2, s25, exec_lo
	s_and_b32 s3, s18, exec_lo
	s_and_b32 s0, s0, exec_lo
	s_or_b32 s25, s2, s3
.LBB93_294:
	s_or_b32 exec_lo, exec_lo, s26
	s_delay_alu instid0(SALU_CYCLE_1)
	s_and_not1_b32 s2, s23, exec_lo
	s_and_b32 s3, s25, exec_lo
	s_and_b32 s0, s0, exec_lo
	s_or_b32 s23, s2, s3
.LBB93_295:
	s_or_b32 exec_lo, exec_lo, s24
	s_delay_alu instid0(SALU_CYCLE_1)
	s_and_not1_b32 s1, s1, exec_lo
	s_and_b32 s2, s23, exec_lo
	s_and_b32 s0, s0, exec_lo
	s_or_b32 s1, s1, s2
.LBB93_296:
	s_or_b32 exec_lo, exec_lo, s22
	s_delay_alu instid0(SALU_CYCLE_1)
	s_and_not1_b32 s2, s58, exec_lo
	s_and_b32 s1, s1, exec_lo
	s_and_b32 s0, s0, exec_lo
	s_or_b32 s58, s2, s1
.LBB93_297:
	s_or_b32 exec_lo, exec_lo, s59
	s_delay_alu instid0(SALU_CYCLE_1)
	s_and_not1_b32 s1, s56, exec_lo
	s_and_b32 s2, s58, exec_lo
	s_and_b32 s0, s0, exec_lo
	s_or_b32 s56, s1, s2
.LBB93_298:
	s_or_b32 exec_lo, exec_lo, s57
	s_delay_alu instid0(SALU_CYCLE_1)
	s_and_not1_b32 s1, s54, exec_lo
	s_and_b32 s2, s56, exec_lo
	s_and_b32 s0, s0, exec_lo
	s_or_b32 s54, s1, s2
.LBB93_299:
	s_or_b32 exec_lo, exec_lo, s55
	s_delay_alu instid0(SALU_CYCLE_1)
	s_and_not1_b32 s1, s52, exec_lo
	s_and_b32 s2, s54, exec_lo
	s_and_b32 s0, s0, exec_lo
	s_or_b32 s52, s1, s2
.LBB93_300:
	s_or_b32 exec_lo, exec_lo, s53
	s_delay_alu instid0(SALU_CYCLE_1)
	s_and_not1_b32 s1, s50, exec_lo
	s_and_b32 s2, s52, exec_lo
	s_and_b32 s0, s0, exec_lo
	s_or_b32 s50, s1, s2
.LBB93_301:
	s_or_b32 exec_lo, exec_lo, s51
	s_delay_alu instid0(SALU_CYCLE_1)
	s_and_not1_b32 s1, s46, exec_lo
	s_and_b32 s2, s50, exec_lo
	s_and_b32 s0, s0, exec_lo
	s_or_b32 s46, s1, s2
.LBB93_302:
	s_or_b32 exec_lo, exec_lo, s49
	s_delay_alu instid0(SALU_CYCLE_1)
	s_and_not1_b32 s1, s44, exec_lo
	s_and_b32 s2, s46, exec_lo
	s_and_b32 s0, s0, exec_lo
	s_or_b32 s44, s1, s2
.LBB93_303:
	s_or_b32 exec_lo, exec_lo, s45
	s_delay_alu instid0(SALU_CYCLE_1)
	s_and_not1_b32 s1, s42, exec_lo
	s_and_b32 s2, s44, exec_lo
	s_and_b32 s0, s0, exec_lo
	s_or_b32 s42, s1, s2
.LBB93_304:
	s_or_b32 exec_lo, exec_lo, s43
	s_delay_alu instid0(SALU_CYCLE_1)
	s_and_not1_b32 s1, s39, exec_lo
	s_wait_xcnt 0x0
	s_and_b32 s2, s42, exec_lo
	s_and_b32 s0, s0, exec_lo
	s_or_b32 s39, s1, s2
.LBB93_305:
	s_or_b32 exec_lo, exec_lo, s40
	s_delay_alu instid0(SALU_CYCLE_1)
	s_and_not1_b32 s1, s35, exec_lo
	s_and_b32 s2, s39, exec_lo
	s_and_b32 s0, s0, exec_lo
	s_or_b32 s35, s1, s2
.LBB93_306:
	s_or_b32 exec_lo, exec_lo, s38
	s_delay_alu instid0(SALU_CYCLE_1)
	s_and_not1_b32 s1, s33, exec_lo
	s_and_b32 s2, s35, exec_lo
	s_and_b32 s0, s0, exec_lo
	s_or_b32 s33, s1, s2
.LBB93_307:
	s_or_b32 exec_lo, exec_lo, s34
	s_delay_alu instid0(SALU_CYCLE_1)
	s_and_not1_b32 s1, s36, exec_lo
	s_and_b32 s2, s33, exec_lo
	s_and_b32 s65, s0, exec_lo
	s_or_b32 s36, s1, s2
	s_or_b32 exec_lo, exec_lo, s37
	s_and_saveexec_b32 s0, s36
	s_cbranch_execnz .LBB93_145
.LBB93_308:
	s_or_b32 exec_lo, exec_lo, s0
	s_and_saveexec_b32 s0, s65
	s_cbranch_execz .LBB93_146
.LBB93_309:
	v_mov_b64_e32 v[0:1], 0
	s_clause 0x3
	global_store_b64 v16, v[0:1], s[4:5]
	global_store_b64 v17, v[0:1], s[4:5]
	;; [unrolled: 1-line block ×4, first 2 shown]
	s_endpgm
.LBB93_310:
	s_or_b32 s22, s58, exec_lo
	s_xor_b32 s17, exec_lo, -1
	s_trap 2
	s_branch .LBB93_266
.LBB93_311:
	s_or_b32 s50, s46, exec_lo
	s_trap 2
                                        ; implicit-def: $vgpr6_vgpr7
                                        ; implicit-def: $vgpr4_vgpr5
                                        ; implicit-def: $vgpr0_vgpr1
                                        ; implicit-def: $vgpr30
                                        ; implicit-def: $vgpr26
                                        ; implicit-def: $vgpr25
                                        ; implicit-def: $vgpr28
                                        ; implicit-def: $vgpr27
                                        ; implicit-def: $vgpr29
                                        ; implicit-def: $vgpr21
                                        ; implicit-def: $vgpr20
                                        ; implicit-def: $vgpr23
                                        ; implicit-def: $vgpr22
                                        ; implicit-def: $vgpr24
                                        ; implicit-def: $vgpr2_vgpr3
	s_or_saveexec_b32 s51, s0
	s_mov_b32 s0, 0
	s_xor_b32 exec_lo, exec_lo, s51
	s_cbranch_execnz .LBB93_229
	s_branch .LBB93_301
.LBB93_312:
	s_or_b32 s54, s52, exec_lo
	s_trap 2
                                        ; implicit-def: $vgpr0_vgpr1
                                        ; implicit-def: $vgpr26
                                        ; implicit-def: $vgpr25
                                        ; implicit-def: $vgpr28
                                        ; implicit-def: $vgpr27
                                        ; implicit-def: $vgpr21
                                        ; implicit-def: $vgpr20
                                        ; implicit-def: $vgpr23
                                        ; implicit-def: $vgpr22
                                        ; implicit-def: $vgpr24
                                        ; implicit-def: $vgpr2_vgpr3
	s_or_saveexec_b32 s55, s0
	s_mov_b32 s0, 0
	s_xor_b32 exec_lo, exec_lo, s55
	s_cbranch_execnz .LBB93_246
	s_branch .LBB93_299
.LBB93_313:
	s_or_b32 s56, s54, exec_lo
	s_trap 2
                                        ; implicit-def: $vgpr0_vgpr1
                                        ; implicit-def: $vgpr26
                                        ; implicit-def: $vgpr25
                                        ; implicit-def: $vgpr27
                                        ; implicit-def: $vgpr21
                                        ; implicit-def: $vgpr20
                                        ; implicit-def: $vgpr23
                                        ; implicit-def: $vgpr22
                                        ; implicit-def: $vgpr24
                                        ; implicit-def: $vgpr2_vgpr3
	s_or_saveexec_b32 s57, s0
	s_mov_b32 s0, 0
	s_xor_b32 exec_lo, exec_lo, s57
	s_cbranch_execnz .LBB93_248
	s_branch .LBB93_298
.LBB93_314:
	s_xor_b32 s3, exec_lo, -1
	s_or_b32 s6, s18, exec_lo
	s_trap 2
	s_branch .LBB93_291
.LBB93_315:
	s_or_b32 s58, s56, exec_lo
	s_trap 2
                                        ; implicit-def: $vgpr6_vgpr7
                                        ; implicit-def: $vgpr4_vgpr5
                                        ; implicit-def: $vgpr0_vgpr1
                                        ; implicit-def: $vgpr25
                                        ; implicit-def: $vgpr21
                                        ; implicit-def: $vgpr20
                                        ; implicit-def: $vgpr23
                                        ; implicit-def: $vgpr22
                                        ; implicit-def: $vgpr24
                                        ; implicit-def: $vgpr2_vgpr3
	s_or_saveexec_b32 s59, s0
	s_mov_b32 s0, 0
	s_xor_b32 exec_lo, exec_lo, s59
	s_cbranch_execnz .LBB93_250
	s_branch .LBB93_297
.LBB93_316:
	s_or_b32 s23, s1, exec_lo
	s_trap 2
                                        ; implicit-def: $vgpr23
                                        ; implicit-def: $vgpr0_vgpr1
                                        ; implicit-def: $vgpr22
                                        ; implicit-def: $vgpr21
                                        ; implicit-def: $vgpr2_vgpr3
                                        ; implicit-def: $vgpr20
	s_or_saveexec_b32 s24, s0
	s_mov_b32 s0, 0
	s_xor_b32 exec_lo, exec_lo, s24
	s_cbranch_execnz .LBB93_270
	s_branch .LBB93_295
.LBB93_317:
	s_or_b32 s25, s23, exec_lo
	s_trap 2
                                        ; implicit-def: $vgpr22
                                        ; implicit-def: $vgpr21
                                        ; implicit-def: $vgpr2_vgpr3
                                        ; implicit-def: $vgpr20
                                        ; implicit-def: $vgpr0_vgpr1
	s_or_saveexec_b32 s26, s0
	s_mov_b32 s0, 0
	s_xor_b32 exec_lo, exec_lo, s26
	s_cbranch_execnz .LBB93_272
	s_branch .LBB93_294
.LBB93_318:
	s_or_b32 s18, s25, exec_lo
	s_trap 2
                                        ; implicit-def: $vgpr4_vgpr5
                                        ; implicit-def: $vgpr6_vgpr7
                                        ; implicit-def: $vgpr20
                                        ; implicit-def: $vgpr0_vgpr1
	s_or_saveexec_b32 s19, s0
	s_mov_b32 s0, 0
	s_xor_b32 exec_lo, exec_lo, s19
	s_cbranch_execnz .LBB93_274
	s_branch .LBB93_293
	.section	.rodata,"a",@progbits
	.p2align	6, 0x0
	.amdhsa_kernel _ZN2at6native32elementwise_kernel_manual_unrollILi128ELi4EZNS0_22gpu_kernel_impl_nocastIZZZNS0_12_GLOBAL__N_142_validate_compressed_sparse_indices_kernelILNS3_8CDimNameE1ENS3_18CUDAKernelLauncherENS3_14EmptyVecKernelENS3_8DummyVecELm8EEEvRKNS_6TensorESB_lllENKUlvE1_clEvENKUlvE0_clEvEUllllllE_EEvRNS_18TensorIteratorBaseERKT_EUlibE_EEviT1_
		.amdhsa_group_segment_fixed_size 0
		.amdhsa_private_segment_fixed_size 0
		.amdhsa_kernarg_size 808
		.amdhsa_user_sgpr_count 2
		.amdhsa_user_sgpr_dispatch_ptr 0
		.amdhsa_user_sgpr_queue_ptr 0
		.amdhsa_user_sgpr_kernarg_segment_ptr 1
		.amdhsa_user_sgpr_dispatch_id 0
		.amdhsa_user_sgpr_kernarg_preload_length 0
		.amdhsa_user_sgpr_kernarg_preload_offset 0
		.amdhsa_user_sgpr_private_segment_size 0
		.amdhsa_wavefront_size32 1
		.amdhsa_uses_dynamic_stack 0
		.amdhsa_enable_private_segment 0
		.amdhsa_system_sgpr_workgroup_id_x 1
		.amdhsa_system_sgpr_workgroup_id_y 0
		.amdhsa_system_sgpr_workgroup_id_z 0
		.amdhsa_system_sgpr_workgroup_info 0
		.amdhsa_system_vgpr_workitem_id 0
		.amdhsa_next_free_vgpr 48
		.amdhsa_next_free_sgpr 104
		.amdhsa_named_barrier_count 0
		.amdhsa_reserve_vcc 1
		.amdhsa_float_round_mode_32 0
		.amdhsa_float_round_mode_16_64 0
		.amdhsa_float_denorm_mode_32 3
		.amdhsa_float_denorm_mode_16_64 3
		.amdhsa_fp16_overflow 0
		.amdhsa_memory_ordered 1
		.amdhsa_forward_progress 1
		.amdhsa_inst_pref_size 153
		.amdhsa_round_robin_scheduling 0
		.amdhsa_exception_fp_ieee_invalid_op 0
		.amdhsa_exception_fp_denorm_src 0
		.amdhsa_exception_fp_ieee_div_zero 0
		.amdhsa_exception_fp_ieee_overflow 0
		.amdhsa_exception_fp_ieee_underflow 0
		.amdhsa_exception_fp_ieee_inexact 0
		.amdhsa_exception_int_div_zero 0
	.end_amdhsa_kernel
	.section	.text._ZN2at6native32elementwise_kernel_manual_unrollILi128ELi4EZNS0_22gpu_kernel_impl_nocastIZZZNS0_12_GLOBAL__N_142_validate_compressed_sparse_indices_kernelILNS3_8CDimNameE1ENS3_18CUDAKernelLauncherENS3_14EmptyVecKernelENS3_8DummyVecELm8EEEvRKNS_6TensorESB_lllENKUlvE1_clEvENKUlvE0_clEvEUllllllE_EEvRNS_18TensorIteratorBaseERKT_EUlibE_EEviT1_,"axG",@progbits,_ZN2at6native32elementwise_kernel_manual_unrollILi128ELi4EZNS0_22gpu_kernel_impl_nocastIZZZNS0_12_GLOBAL__N_142_validate_compressed_sparse_indices_kernelILNS3_8CDimNameE1ENS3_18CUDAKernelLauncherENS3_14EmptyVecKernelENS3_8DummyVecELm8EEEvRKNS_6TensorESB_lllENKUlvE1_clEvENKUlvE0_clEvEUllllllE_EEvRNS_18TensorIteratorBaseERKT_EUlibE_EEviT1_,comdat
.Lfunc_end93:
	.size	_ZN2at6native32elementwise_kernel_manual_unrollILi128ELi4EZNS0_22gpu_kernel_impl_nocastIZZZNS0_12_GLOBAL__N_142_validate_compressed_sparse_indices_kernelILNS3_8CDimNameE1ENS3_18CUDAKernelLauncherENS3_14EmptyVecKernelENS3_8DummyVecELm8EEEvRKNS_6TensorESB_lllENKUlvE1_clEvENKUlvE0_clEvEUllllllE_EEvRNS_18TensorIteratorBaseERKT_EUlibE_EEviT1_, .Lfunc_end93-_ZN2at6native32elementwise_kernel_manual_unrollILi128ELi4EZNS0_22gpu_kernel_impl_nocastIZZZNS0_12_GLOBAL__N_142_validate_compressed_sparse_indices_kernelILNS3_8CDimNameE1ENS3_18CUDAKernelLauncherENS3_14EmptyVecKernelENS3_8DummyVecELm8EEEvRKNS_6TensorESB_lllENKUlvE1_clEvENKUlvE0_clEvEUllllllE_EEvRNS_18TensorIteratorBaseERKT_EUlibE_EEviT1_
                                        ; -- End function
	.set _ZN2at6native32elementwise_kernel_manual_unrollILi128ELi4EZNS0_22gpu_kernel_impl_nocastIZZZNS0_12_GLOBAL__N_142_validate_compressed_sparse_indices_kernelILNS3_8CDimNameE1ENS3_18CUDAKernelLauncherENS3_14EmptyVecKernelENS3_8DummyVecELm8EEEvRKNS_6TensorESB_lllENKUlvE1_clEvENKUlvE0_clEvEUllllllE_EEvRNS_18TensorIteratorBaseERKT_EUlibE_EEviT1_.num_vgpr, 48
	.set _ZN2at6native32elementwise_kernel_manual_unrollILi128ELi4EZNS0_22gpu_kernel_impl_nocastIZZZNS0_12_GLOBAL__N_142_validate_compressed_sparse_indices_kernelILNS3_8CDimNameE1ENS3_18CUDAKernelLauncherENS3_14EmptyVecKernelENS3_8DummyVecELm8EEEvRKNS_6TensorESB_lllENKUlvE1_clEvENKUlvE0_clEvEUllllllE_EEvRNS_18TensorIteratorBaseERKT_EUlibE_EEviT1_.num_agpr, 0
	.set _ZN2at6native32elementwise_kernel_manual_unrollILi128ELi4EZNS0_22gpu_kernel_impl_nocastIZZZNS0_12_GLOBAL__N_142_validate_compressed_sparse_indices_kernelILNS3_8CDimNameE1ENS3_18CUDAKernelLauncherENS3_14EmptyVecKernelENS3_8DummyVecELm8EEEvRKNS_6TensorESB_lllENKUlvE1_clEvENKUlvE0_clEvEUllllllE_EEvRNS_18TensorIteratorBaseERKT_EUlibE_EEviT1_.numbered_sgpr, 104
	.set _ZN2at6native32elementwise_kernel_manual_unrollILi128ELi4EZNS0_22gpu_kernel_impl_nocastIZZZNS0_12_GLOBAL__N_142_validate_compressed_sparse_indices_kernelILNS3_8CDimNameE1ENS3_18CUDAKernelLauncherENS3_14EmptyVecKernelENS3_8DummyVecELm8EEEvRKNS_6TensorESB_lllENKUlvE1_clEvENKUlvE0_clEvEUllllllE_EEvRNS_18TensorIteratorBaseERKT_EUlibE_EEviT1_.num_named_barrier, 0
	.set _ZN2at6native32elementwise_kernel_manual_unrollILi128ELi4EZNS0_22gpu_kernel_impl_nocastIZZZNS0_12_GLOBAL__N_142_validate_compressed_sparse_indices_kernelILNS3_8CDimNameE1ENS3_18CUDAKernelLauncherENS3_14EmptyVecKernelENS3_8DummyVecELm8EEEvRKNS_6TensorESB_lllENKUlvE1_clEvENKUlvE0_clEvEUllllllE_EEvRNS_18TensorIteratorBaseERKT_EUlibE_EEviT1_.private_seg_size, 0
	.set _ZN2at6native32elementwise_kernel_manual_unrollILi128ELi4EZNS0_22gpu_kernel_impl_nocastIZZZNS0_12_GLOBAL__N_142_validate_compressed_sparse_indices_kernelILNS3_8CDimNameE1ENS3_18CUDAKernelLauncherENS3_14EmptyVecKernelENS3_8DummyVecELm8EEEvRKNS_6TensorESB_lllENKUlvE1_clEvENKUlvE0_clEvEUllllllE_EEvRNS_18TensorIteratorBaseERKT_EUlibE_EEviT1_.uses_vcc, 1
	.set _ZN2at6native32elementwise_kernel_manual_unrollILi128ELi4EZNS0_22gpu_kernel_impl_nocastIZZZNS0_12_GLOBAL__N_142_validate_compressed_sparse_indices_kernelILNS3_8CDimNameE1ENS3_18CUDAKernelLauncherENS3_14EmptyVecKernelENS3_8DummyVecELm8EEEvRKNS_6TensorESB_lllENKUlvE1_clEvENKUlvE0_clEvEUllllllE_EEvRNS_18TensorIteratorBaseERKT_EUlibE_EEviT1_.uses_flat_scratch, 0
	.set _ZN2at6native32elementwise_kernel_manual_unrollILi128ELi4EZNS0_22gpu_kernel_impl_nocastIZZZNS0_12_GLOBAL__N_142_validate_compressed_sparse_indices_kernelILNS3_8CDimNameE1ENS3_18CUDAKernelLauncherENS3_14EmptyVecKernelENS3_8DummyVecELm8EEEvRKNS_6TensorESB_lllENKUlvE1_clEvENKUlvE0_clEvEUllllllE_EEvRNS_18TensorIteratorBaseERKT_EUlibE_EEviT1_.has_dyn_sized_stack, 0
	.set _ZN2at6native32elementwise_kernel_manual_unrollILi128ELi4EZNS0_22gpu_kernel_impl_nocastIZZZNS0_12_GLOBAL__N_142_validate_compressed_sparse_indices_kernelILNS3_8CDimNameE1ENS3_18CUDAKernelLauncherENS3_14EmptyVecKernelENS3_8DummyVecELm8EEEvRKNS_6TensorESB_lllENKUlvE1_clEvENKUlvE0_clEvEUllllllE_EEvRNS_18TensorIteratorBaseERKT_EUlibE_EEviT1_.has_recursion, 0
	.set _ZN2at6native32elementwise_kernel_manual_unrollILi128ELi4EZNS0_22gpu_kernel_impl_nocastIZZZNS0_12_GLOBAL__N_142_validate_compressed_sparse_indices_kernelILNS3_8CDimNameE1ENS3_18CUDAKernelLauncherENS3_14EmptyVecKernelENS3_8DummyVecELm8EEEvRKNS_6TensorESB_lllENKUlvE1_clEvENKUlvE0_clEvEUllllllE_EEvRNS_18TensorIteratorBaseERKT_EUlibE_EEviT1_.has_indirect_call, 0
	.section	.AMDGPU.csdata,"",@progbits
; Kernel info:
; codeLenInByte = 19512
; TotalNumSgprs: 106
; NumVgprs: 48
; ScratchSize: 0
; MemoryBound: 0
; FloatMode: 240
; IeeeMode: 1
; LDSByteSize: 0 bytes/workgroup (compile time only)
; SGPRBlocks: 0
; VGPRBlocks: 2
; NumSGPRsForWavesPerEU: 106
; NumVGPRsForWavesPerEU: 48
; NamedBarCnt: 0
; Occupancy: 16
; WaveLimiterHint : 1
; COMPUTE_PGM_RSRC2:SCRATCH_EN: 0
; COMPUTE_PGM_RSRC2:USER_SGPR: 2
; COMPUTE_PGM_RSRC2:TRAP_HANDLER: 0
; COMPUTE_PGM_RSRC2:TGID_X_EN: 1
; COMPUTE_PGM_RSRC2:TGID_Y_EN: 0
; COMPUTE_PGM_RSRC2:TGID_Z_EN: 0
; COMPUTE_PGM_RSRC2:TIDIG_COMP_CNT: 0
	.section	.text._ZN2at6native32elementwise_kernel_manual_unrollILi128ELi4EZNS0_15gpu_kernel_implIZZZNS0_12_GLOBAL__N_142_validate_compressed_sparse_indices_kernelILNS3_8CDimNameE1ENS3_18CUDAKernelLauncherENS3_14EmptyVecKernelENS3_8DummyVecELm8EEEvRKNS_6TensorESB_lllENKUlvE1_clEvENKUlvE0_clEvEUllllllE_EEvRNS_18TensorIteratorBaseERKT_EUlibE_EEviT1_,"axG",@progbits,_ZN2at6native32elementwise_kernel_manual_unrollILi128ELi4EZNS0_15gpu_kernel_implIZZZNS0_12_GLOBAL__N_142_validate_compressed_sparse_indices_kernelILNS3_8CDimNameE1ENS3_18CUDAKernelLauncherENS3_14EmptyVecKernelENS3_8DummyVecELm8EEEvRKNS_6TensorESB_lllENKUlvE1_clEvENKUlvE0_clEvEUllllllE_EEvRNS_18TensorIteratorBaseERKT_EUlibE_EEviT1_,comdat
	.globl	_ZN2at6native32elementwise_kernel_manual_unrollILi128ELi4EZNS0_15gpu_kernel_implIZZZNS0_12_GLOBAL__N_142_validate_compressed_sparse_indices_kernelILNS3_8CDimNameE1ENS3_18CUDAKernelLauncherENS3_14EmptyVecKernelENS3_8DummyVecELm8EEEvRKNS_6TensorESB_lllENKUlvE1_clEvENKUlvE0_clEvEUllllllE_EEvRNS_18TensorIteratorBaseERKT_EUlibE_EEviT1_ ; -- Begin function _ZN2at6native32elementwise_kernel_manual_unrollILi128ELi4EZNS0_15gpu_kernel_implIZZZNS0_12_GLOBAL__N_142_validate_compressed_sparse_indices_kernelILNS3_8CDimNameE1ENS3_18CUDAKernelLauncherENS3_14EmptyVecKernelENS3_8DummyVecELm8EEEvRKNS_6TensorESB_lllENKUlvE1_clEvENKUlvE0_clEvEUllllllE_EEvRNS_18TensorIteratorBaseERKT_EUlibE_EEviT1_
	.p2align	8
	.type	_ZN2at6native32elementwise_kernel_manual_unrollILi128ELi4EZNS0_15gpu_kernel_implIZZZNS0_12_GLOBAL__N_142_validate_compressed_sparse_indices_kernelILNS3_8CDimNameE1ENS3_18CUDAKernelLauncherENS3_14EmptyVecKernelENS3_8DummyVecELm8EEEvRKNS_6TensorESB_lllENKUlvE1_clEvENKUlvE0_clEvEUllllllE_EEvRNS_18TensorIteratorBaseERKT_EUlibE_EEviT1_,@function
_ZN2at6native32elementwise_kernel_manual_unrollILi128ELi4EZNS0_15gpu_kernel_implIZZZNS0_12_GLOBAL__N_142_validate_compressed_sparse_indices_kernelILNS3_8CDimNameE1ENS3_18CUDAKernelLauncherENS3_14EmptyVecKernelENS3_8DummyVecELm8EEEvRKNS_6TensorESB_lllENKUlvE1_clEvENKUlvE0_clEvEUllllllE_EEvRNS_18TensorIteratorBaseERKT_EUlibE_EEviT1_: ; @_ZN2at6native32elementwise_kernel_manual_unrollILi128ELi4EZNS0_15gpu_kernel_implIZZZNS0_12_GLOBAL__N_142_validate_compressed_sparse_indices_kernelILNS3_8CDimNameE1ENS3_18CUDAKernelLauncherENS3_14EmptyVecKernelENS3_8DummyVecELm8EEEvRKNS_6TensorESB_lllENKUlvE1_clEvENKUlvE0_clEvEUllllllE_EEvRNS_18TensorIteratorBaseERKT_EUlibE_EEviT1_
; %bb.0:
	s_bfe_u32 s4, ttmp6, 0x4000c
	s_clause 0x2
	s_load_b32 s57, s[0:1], 0x0
	s_load_b64 s[2:3], s[0:1], 0x8
	s_load_b32 s33, s[0:1], 0x38
	s_add_co_i32 s4, s4, 1
	s_and_b32 s5, ttmp6, 15
	s_mul_i32 s4, ttmp9, s4
	s_getreg_b32 s6, hwreg(HW_REG_IB_STS2, 6, 4)
	s_add_co_i32 s5, s5, s4
	s_cmp_eq_u32 s6, 0
	s_add_nc_u64 s[28:29], s[0:1], 8
	s_cselect_b32 s4, ttmp9, s5
	s_mov_b32 s48, 0
	v_lshl_or_b32 v26, s4, 9, v0
	s_mov_b32 s34, 0
	s_wait_xcnt 0x0
	s_mov_b32 s0, exec_lo
	s_delay_alu instid0(VALU_DEP_1) | instskip(SKIP_1) | instid1(VALU_DEP_1)
	v_or_b32_e32 v0, 0x180, v26
	s_wait_kmcnt 0x0
	v_cmpx_le_i32_e64 s57, v0
	s_xor_b32 s49, exec_lo, s0
	s_cbranch_execz .LBB94_2803
; %bb.1:
	s_clause 0x5
	s_load_b128 s[20:23], s[28:29], 0xe8
	s_load_b256 s[12:19], s[28:29], 0x8
	s_load_b64 s[34:35], s[28:29], 0x28
	s_load_b128 s[24:27], s[28:29], 0x34
	s_load_b32 s53, s[28:29], 0x44
	s_load_b256 s[4:11], s[28:29], 0x48
	s_get_pc_i64 s[30:31]
	s_add_nc_u64 s[30:31], s[30:31], .str.6@rel64+4
	s_get_pc_i64 s[38:39]
	s_add_nc_u64 s[38:39], s[38:39], .str.7@rel64+4
	;; [unrolled: 2-line block ×4, first 2 shown]
	v_cmp_gt_i32_e32 vcc_lo, s57, v26
	s_mov_b32 s1, -1
	s_mov_b32 s69, 0
	s_mov_b32 s67, 0
	;; [unrolled: 1-line block ×8, first 2 shown]
	s_wait_kmcnt 0x0
	s_lshr_b32 s58, s22, 8
	s_lshr_b32 s55, s22, 16
	s_lshr_b64 s[36:37], s[22:23], 24
	s_lshr_b32 s54, s23, 8
	s_cmp_lg_u64 s[30:31], 0
	s_mov_b32 s60, 0
	s_cselect_b32 s52, -1, 0
	s_cmp_lg_u64 s[38:39], 0
	s_mov_b32 s59, 0
	s_cselect_b32 s51, -1, 0
	;; [unrolled: 3-line block ×3, first 2 shown]
	s_add_co_i32 s30, s10, -1
	s_delay_alu instid0(SALU_CYCLE_1)
	s_cmp_gt_i32 s30, -1
	s_cselect_b32 s37, -1, 0
	s_cmp_lg_u64 s[42:43], 0
	s_cselect_b32 s11, -1, 0
	s_and_saveexec_b32 s68, vcc_lo
	s_cbranch_execz .LBB94_630
; %bb.2:
	v_mul_lo_u32 v0, s24, v26
	s_and_b32 s0, s58, 0xff
	s_delay_alu instid0(SALU_CYCLE_1) | instskip(NEXT) | instid1(VALU_DEP_1)
	s_cmp_lt_i32 s0, 11
	v_ashrrev_i32_e32 v1, 31, v0
	s_delay_alu instid0(VALU_DEP_1)
	v_add_nc_u64_e32 v[2:3], s[12:13], v[0:1]
	s_cbranch_scc1 .LBB94_9
; %bb.3:
	s_and_b32 s1, 0xffff, s0
	s_delay_alu instid0(SALU_CYCLE_1)
	s_cmp_gt_i32 s1, 25
	s_cbranch_scc0 .LBB94_11
; %bb.4:
	s_cmp_gt_i32 s1, 28
	s_cbranch_scc0 .LBB94_12
; %bb.5:
	;; [unrolled: 3-line block ×4, first 2 shown]
	s_cmp_eq_u32 s1, 46
	s_mov_b32 s38, 0
	s_cbranch_scc0 .LBB94_15
; %bb.8:
	global_load_b32 v0, v[2:3], off
	s_mov_b32 s31, -1
	s_wait_loadcnt 0x0
	v_lshlrev_b32_e32 v0, 16, v0
	s_delay_alu instid0(VALU_DEP_1) | instskip(NEXT) | instid1(VALU_DEP_1)
	v_trunc_f32_e32 v0, v0
	v_mul_f32_e64 v1, 0x2f800000, |v0|
	s_delay_alu instid0(VALU_DEP_1) | instskip(NEXT) | instid1(VALU_DEP_1)
	v_floor_f32_e32 v1, v1
	v_fma_f32 v4, 0xcf800000, v1, |v0|
	v_ashrrev_i32_e32 v0, 31, v0
	v_cvt_u32_f32_e32 v5, v1
	s_delay_alu instid0(VALU_DEP_3) | instskip(NEXT) | instid1(VALU_DEP_2)
	v_cvt_u32_f32_e32 v4, v4
	v_dual_mov_b32 v1, v0 :: v_dual_bitop2_b32 v5, v5, v0 bitop3:0x14
	s_delay_alu instid0(VALU_DEP_2) | instskip(NEXT) | instid1(VALU_DEP_1)
	v_xor_b32_e32 v4, v4, v0
	v_sub_nc_u64_e32 v[0:1], v[4:5], v[0:1]
	s_branch .LBB94_17
.LBB94_9:
	s_mov_b32 s31, 0
                                        ; implicit-def: $vgpr0_vgpr1
	s_and_b32 vcc_lo, exec_lo, s1
	s_cbranch_vccnz .LBB94_77
.LBB94_10:
	s_and_not1_b32 vcc_lo, exec_lo, s31
	s_cbranch_vccz .LBB94_124
	s_branch .LBB94_628
.LBB94_11:
	s_mov_b32 s31, 0
                                        ; implicit-def: $vgpr0_vgpr1
	s_cbranch_execnz .LBB94_44
	s_branch .LBB94_76
.LBB94_12:
	s_mov_b32 s38, -1
	s_mov_b32 s31, 0
                                        ; implicit-def: $vgpr0_vgpr1
	s_branch .LBB94_27
.LBB94_13:
	s_mov_b32 s38, -1
	s_mov_b32 s31, 0
                                        ; implicit-def: $vgpr0_vgpr1
	s_branch .LBB94_22
.LBB94_14:
	s_mov_b32 s38, -1
	s_branch .LBB94_16
.LBB94_15:
	s_mov_b32 s67, -1
.LBB94_16:
	s_mov_b32 s31, 0
                                        ; implicit-def: $vgpr0_vgpr1
.LBB94_17:
	s_and_b32 vcc_lo, exec_lo, s38
	s_cbranch_vccz .LBB94_21
; %bb.18:
	s_cmp_eq_u32 s1, 44
	s_cbranch_scc0 .LBB94_20
; %bb.19:
	global_load_u8 v6, v[2:3], off
	s_mov_b32 s67, 0
	s_mov_b32 s31, -1
	s_wait_loadcnt 0x0
	v_cmp_ne_u32_e32 vcc_lo, 0, v6
	v_lshlrev_b32_e32 v0, 23, v6
	s_delay_alu instid0(VALU_DEP_1) | instskip(NEXT) | instid1(VALU_DEP_1)
	v_trunc_f32_e32 v0, v0
	v_mul_f32_e64 v1, 0x2f800000, |v0|
	s_delay_alu instid0(VALU_DEP_1) | instskip(NEXT) | instid1(VALU_DEP_1)
	v_floor_f32_e32 v1, v1
	v_fma_f32 v4, 0xcf800000, v1, |v0|
	v_ashrrev_i32_e32 v0, 31, v0
	v_cvt_u32_f32_e32 v5, v1
	s_delay_alu instid0(VALU_DEP_3) | instskip(NEXT) | instid1(VALU_DEP_2)
	v_cvt_u32_f32_e32 v4, v4
	v_dual_mov_b32 v1, v0 :: v_dual_bitop2_b32 v5, v5, v0 bitop3:0x14
	s_delay_alu instid0(VALU_DEP_2) | instskip(NEXT) | instid1(VALU_DEP_1)
	v_xor_b32_e32 v4, v4, v0
	v_sub_nc_u64_e32 v[0:1], v[4:5], v[0:1]
	s_delay_alu instid0(VALU_DEP_1)
	v_dual_cndmask_b32 v1, 0, v1 :: v_dual_cndmask_b32 v0, 0, v0
	s_branch .LBB94_21
.LBB94_20:
	s_mov_b32 s67, -1
                                        ; implicit-def: $vgpr0_vgpr1
.LBB94_21:
	s_mov_b32 s38, 0
.LBB94_22:
	s_delay_alu instid0(SALU_CYCLE_1)
	s_and_b32 vcc_lo, exec_lo, s38
	s_cbranch_vccz .LBB94_26
; %bb.23:
	s_cmp_eq_u32 s1, 29
	s_cbranch_scc0 .LBB94_25
; %bb.24:
	global_load_b64 v[0:1], v[2:3], off
	s_mov_b32 s31, -1
	s_mov_b32 s67, 0
	s_branch .LBB94_26
.LBB94_25:
	s_mov_b32 s67, -1
                                        ; implicit-def: $vgpr0_vgpr1
.LBB94_26:
	s_mov_b32 s38, 0
.LBB94_27:
	s_delay_alu instid0(SALU_CYCLE_1)
	s_and_b32 vcc_lo, exec_lo, s38
	s_cbranch_vccz .LBB94_43
; %bb.28:
	s_cmp_lt_i32 s1, 27
	s_cbranch_scc1 .LBB94_31
; %bb.29:
	s_cmp_gt_i32 s1, 27
	s_cbranch_scc0 .LBB94_32
; %bb.30:
	s_wait_loadcnt 0x0
	global_load_b32 v0, v[2:3], off
	v_mov_b32_e32 v1, 0
	s_mov_b32 s31, 0
	s_branch .LBB94_33
.LBB94_31:
	s_mov_b32 s31, -1
                                        ; implicit-def: $vgpr0_vgpr1
	s_branch .LBB94_36
.LBB94_32:
	s_mov_b32 s31, -1
                                        ; implicit-def: $vgpr0_vgpr1
.LBB94_33:
	s_delay_alu instid0(SALU_CYCLE_1)
	s_and_not1_b32 vcc_lo, exec_lo, s31
	s_cbranch_vccnz .LBB94_35
; %bb.34:
	s_wait_loadcnt 0x0
	global_load_u16 v0, v[2:3], off
	s_mov_b32 s31, 0
	s_delay_alu instid0(SALU_CYCLE_1)
	v_mov_b32_e32 v1, s31
	s_wait_loadcnt 0x0
	v_and_b32_e32 v0, 0xffff, v0
.LBB94_35:
	s_mov_b32 s31, 0
.LBB94_36:
	s_delay_alu instid0(SALU_CYCLE_1)
	s_and_not1_b32 vcc_lo, exec_lo, s31
	s_cbranch_vccnz .LBB94_42
; %bb.37:
	global_load_u8 v4, v[2:3], off
	s_mov_b32 s38, 0
	s_mov_b32 s31, exec_lo
	s_wait_loadcnt 0x0
	v_cmpx_lt_i16_e32 0x7f, v4
	s_xor_b32 s31, exec_lo, s31
	s_cbranch_execz .LBB94_53
; %bb.38:
	v_cmp_ne_u16_e32 vcc_lo, 0x80, v4
	s_and_b32 s38, vcc_lo, exec_lo
	s_and_not1_saveexec_b32 s31, s31
	s_cbranch_execnz .LBB94_54
.LBB94_39:
	s_or_b32 exec_lo, exec_lo, s31
	v_mov_b64_e32 v[0:1], 0
	s_and_saveexec_b32 s31, s38
	s_cbranch_execz .LBB94_41
.LBB94_40:
	v_and_b32_e32 v0, 0xffff, v4
	s_delay_alu instid0(VALU_DEP_1) | instskip(SKIP_1) | instid1(VALU_DEP_2)
	v_and_b32_e32 v1, 7, v0
	v_bfe_u32 v7, v0, 3, 4
	v_clz_i32_u32_e32 v5, v1
	s_delay_alu instid0(VALU_DEP_2) | instskip(NEXT) | instid1(VALU_DEP_2)
	v_cmp_eq_u32_e32 vcc_lo, 0, v7
	v_min_u32_e32 v5, 32, v5
	s_delay_alu instid0(VALU_DEP_1) | instskip(NEXT) | instid1(VALU_DEP_1)
	v_subrev_nc_u32_e32 v6, 28, v5
	v_dual_lshlrev_b32 v0, v6, v0 :: v_dual_sub_nc_u32 v5, 29, v5
	s_delay_alu instid0(VALU_DEP_1) | instskip(NEXT) | instid1(VALU_DEP_2)
	v_and_b32_e32 v0, 7, v0
	v_dual_cndmask_b32 v5, v7, v5 :: v_dual_lshlrev_b32 v4, 24, v4
	s_delay_alu instid0(VALU_DEP_2) | instskip(NEXT) | instid1(VALU_DEP_2)
	v_cndmask_b32_e32 v0, v1, v0, vcc_lo
	v_and_b32_e32 v1, 0x80000000, v4
	s_delay_alu instid0(VALU_DEP_3) | instskip(NEXT) | instid1(VALU_DEP_3)
	v_lshl_add_u32 v4, v5, 23, 0x3b800000
	v_lshlrev_b32_e32 v0, 20, v0
	s_delay_alu instid0(VALU_DEP_1) | instskip(NEXT) | instid1(VALU_DEP_1)
	v_or3_b32 v0, v1, v4, v0
	v_trunc_f32_e32 v0, v0
	s_delay_alu instid0(VALU_DEP_1) | instskip(NEXT) | instid1(VALU_DEP_1)
	v_mul_f32_e64 v1, 0x2f800000, |v0|
	v_floor_f32_e32 v1, v1
	s_delay_alu instid0(VALU_DEP_1) | instskip(SKIP_2) | instid1(VALU_DEP_3)
	v_fma_f32 v4, 0xcf800000, v1, |v0|
	v_ashrrev_i32_e32 v0, 31, v0
	v_cvt_u32_f32_e32 v5, v1
	v_cvt_u32_f32_e32 v4, v4
	s_delay_alu instid0(VALU_DEP_2) | instskip(NEXT) | instid1(VALU_DEP_2)
	v_dual_mov_b32 v1, v0 :: v_dual_bitop2_b32 v5, v5, v0 bitop3:0x14
	v_xor_b32_e32 v4, v4, v0
	s_delay_alu instid0(VALU_DEP_1)
	v_sub_nc_u64_e32 v[0:1], v[4:5], v[0:1]
.LBB94_41:
	s_or_b32 exec_lo, exec_lo, s31
.LBB94_42:
	s_mov_b32 s31, -1
.LBB94_43:
	s_branch .LBB94_76
.LBB94_44:
	s_cmp_gt_i32 s1, 22
	s_cbranch_scc0 .LBB94_52
; %bb.45:
	s_cmp_lt_i32 s1, 24
	s_cbranch_scc1 .LBB94_55
; %bb.46:
	s_cmp_gt_i32 s1, 24
	s_cbranch_scc0 .LBB94_56
; %bb.47:
	global_load_u8 v4, v[2:3], off
	s_mov_b32 s38, 0
	s_mov_b32 s31, exec_lo
	s_wait_loadcnt 0x0
	v_cmpx_lt_i16_e32 0x7f, v4
	s_xor_b32 s31, exec_lo, s31
	s_cbranch_execz .LBB94_68
; %bb.48:
	v_cmp_ne_u16_e32 vcc_lo, 0x80, v4
	s_and_b32 s38, vcc_lo, exec_lo
	s_and_not1_saveexec_b32 s31, s31
	s_cbranch_execnz .LBB94_69
.LBB94_49:
	s_or_b32 exec_lo, exec_lo, s31
	v_mov_b64_e32 v[0:1], 0
	s_and_saveexec_b32 s31, s38
	s_cbranch_execz .LBB94_51
.LBB94_50:
	v_and_b32_e32 v0, 0xffff, v4
	s_delay_alu instid0(VALU_DEP_1) | instskip(SKIP_1) | instid1(VALU_DEP_2)
	v_and_b32_e32 v1, 3, v0
	v_bfe_u32 v7, v0, 2, 5
	v_clz_i32_u32_e32 v5, v1
	s_delay_alu instid0(VALU_DEP_2) | instskip(NEXT) | instid1(VALU_DEP_2)
	v_cmp_eq_u32_e32 vcc_lo, 0, v7
	v_min_u32_e32 v5, 32, v5
	s_delay_alu instid0(VALU_DEP_1) | instskip(NEXT) | instid1(VALU_DEP_1)
	v_subrev_nc_u32_e32 v6, 29, v5
	v_dual_lshlrev_b32 v0, v6, v0 :: v_dual_sub_nc_u32 v5, 30, v5
	s_delay_alu instid0(VALU_DEP_1) | instskip(NEXT) | instid1(VALU_DEP_2)
	v_and_b32_e32 v0, 3, v0
	v_dual_cndmask_b32 v5, v7, v5 :: v_dual_lshlrev_b32 v4, 24, v4
	s_delay_alu instid0(VALU_DEP_2) | instskip(NEXT) | instid1(VALU_DEP_2)
	v_cndmask_b32_e32 v0, v1, v0, vcc_lo
	v_and_b32_e32 v1, 0x80000000, v4
	s_delay_alu instid0(VALU_DEP_3) | instskip(NEXT) | instid1(VALU_DEP_3)
	v_lshl_add_u32 v4, v5, 23, 0x37800000
	v_lshlrev_b32_e32 v0, 21, v0
	s_delay_alu instid0(VALU_DEP_1) | instskip(NEXT) | instid1(VALU_DEP_1)
	v_or3_b32 v0, v1, v4, v0
	v_trunc_f32_e32 v0, v0
	s_delay_alu instid0(VALU_DEP_1) | instskip(NEXT) | instid1(VALU_DEP_1)
	v_mul_f32_e64 v1, 0x2f800000, |v0|
	v_floor_f32_e32 v1, v1
	s_delay_alu instid0(VALU_DEP_1) | instskip(SKIP_2) | instid1(VALU_DEP_3)
	v_fma_f32 v4, 0xcf800000, v1, |v0|
	v_ashrrev_i32_e32 v0, 31, v0
	v_cvt_u32_f32_e32 v5, v1
	v_cvt_u32_f32_e32 v4, v4
	s_delay_alu instid0(VALU_DEP_2) | instskip(NEXT) | instid1(VALU_DEP_2)
	v_dual_mov_b32 v1, v0 :: v_dual_bitop2_b32 v5, v5, v0 bitop3:0x14
	v_xor_b32_e32 v4, v4, v0
	s_delay_alu instid0(VALU_DEP_1)
	v_sub_nc_u64_e32 v[0:1], v[4:5], v[0:1]
.LBB94_51:
	s_or_b32 exec_lo, exec_lo, s31
	s_mov_b32 s31, 0
	s_branch .LBB94_57
.LBB94_52:
	s_mov_b32 s38, -1
                                        ; implicit-def: $vgpr0_vgpr1
	s_branch .LBB94_63
.LBB94_53:
	s_and_not1_saveexec_b32 s31, s31
	s_cbranch_execz .LBB94_39
.LBB94_54:
	v_cmp_ne_u16_e32 vcc_lo, 0, v4
	s_and_not1_b32 s38, s38, exec_lo
	s_and_b32 s39, vcc_lo, exec_lo
	s_delay_alu instid0(SALU_CYCLE_1)
	s_or_b32 s38, s38, s39
	s_or_b32 exec_lo, exec_lo, s31
	v_mov_b64_e32 v[0:1], 0
	s_and_saveexec_b32 s31, s38
	s_cbranch_execnz .LBB94_40
	s_branch .LBB94_41
.LBB94_55:
	s_mov_b32 s31, -1
                                        ; implicit-def: $vgpr0_vgpr1
	s_branch .LBB94_60
.LBB94_56:
	s_mov_b32 s31, -1
                                        ; implicit-def: $vgpr0_vgpr1
.LBB94_57:
	s_delay_alu instid0(SALU_CYCLE_1)
	s_and_b32 vcc_lo, exec_lo, s31
	s_cbranch_vccz .LBB94_59
; %bb.58:
	s_wait_loadcnt 0x0
	global_load_u8 v0, v[2:3], off
	s_wait_loadcnt 0x0
	v_lshlrev_b32_e32 v0, 24, v0
	s_delay_alu instid0(VALU_DEP_1) | instskip(NEXT) | instid1(VALU_DEP_1)
	v_and_b32_e32 v1, 0x7f000000, v0
	v_clz_i32_u32_e32 v4, v1
	v_cmp_ne_u32_e32 vcc_lo, 0, v1
	v_add_nc_u32_e32 v6, 0x1000000, v1
	s_delay_alu instid0(VALU_DEP_3) | instskip(NEXT) | instid1(VALU_DEP_1)
	v_min_u32_e32 v4, 32, v4
	v_sub_nc_u32_e64 v4, v4, 4 clamp
	s_delay_alu instid0(VALU_DEP_1) | instskip(NEXT) | instid1(VALU_DEP_1)
	v_dual_lshlrev_b32 v5, v4, v1 :: v_dual_lshlrev_b32 v4, 23, v4
	v_lshrrev_b32_e32 v5, 4, v5
	s_delay_alu instid0(VALU_DEP_1) | instskip(NEXT) | instid1(VALU_DEP_1)
	v_dual_sub_nc_u32 v4, v5, v4 :: v_dual_ashrrev_i32 v5, 8, v6
	v_add_nc_u32_e32 v4, 0x3c000000, v4
	s_delay_alu instid0(VALU_DEP_1) | instskip(NEXT) | instid1(VALU_DEP_1)
	v_and_or_b32 v4, 0x7f800000, v5, v4
	v_cndmask_b32_e32 v1, 0, v4, vcc_lo
	s_delay_alu instid0(VALU_DEP_1) | instskip(NEXT) | instid1(VALU_DEP_1)
	v_and_or_b32 v0, 0x80000000, v0, v1
	v_trunc_f32_e32 v0, v0
	s_delay_alu instid0(VALU_DEP_1) | instskip(NEXT) | instid1(VALU_DEP_1)
	v_mul_f32_e64 v1, 0x2f800000, |v0|
	v_floor_f32_e32 v1, v1
	s_delay_alu instid0(VALU_DEP_1) | instskip(SKIP_2) | instid1(VALU_DEP_3)
	v_fma_f32 v4, 0xcf800000, v1, |v0|
	v_ashrrev_i32_e32 v0, 31, v0
	v_cvt_u32_f32_e32 v5, v1
	v_cvt_u32_f32_e32 v4, v4
	s_delay_alu instid0(VALU_DEP_2) | instskip(NEXT) | instid1(VALU_DEP_2)
	v_dual_mov_b32 v1, v0 :: v_dual_bitop2_b32 v5, v5, v0 bitop3:0x14
	v_xor_b32_e32 v4, v4, v0
	s_delay_alu instid0(VALU_DEP_1)
	v_sub_nc_u64_e32 v[0:1], v[4:5], v[0:1]
.LBB94_59:
	s_mov_b32 s31, 0
.LBB94_60:
	s_delay_alu instid0(SALU_CYCLE_1)
	s_and_not1_b32 vcc_lo, exec_lo, s31
	s_cbranch_vccnz .LBB94_62
; %bb.61:
	s_wait_loadcnt 0x0
	global_load_u8 v0, v[2:3], off
	s_wait_loadcnt 0x0
	v_lshlrev_b32_e32 v1, 25, v0
	v_lshlrev_b16 v0, 8, v0
	s_delay_alu instid0(VALU_DEP_1) | instskip(SKIP_1) | instid1(VALU_DEP_2)
	v_and_or_b32 v5, 0x7f00, v0, 0.5
	v_bfe_i32 v0, v0, 0, 16
	v_add_f32_e32 v5, -0.5, v5
	v_lshrrev_b32_e32 v4, 4, v1
	v_cmp_gt_u32_e32 vcc_lo, 0x8000000, v1
	s_delay_alu instid0(VALU_DEP_2) | instskip(NEXT) | instid1(VALU_DEP_1)
	v_or_b32_e32 v4, 0x70000000, v4
	v_mul_f32_e32 v4, 0x7800000, v4
	s_delay_alu instid0(VALU_DEP_1) | instskip(NEXT) | instid1(VALU_DEP_1)
	v_cndmask_b32_e32 v1, v4, v5, vcc_lo
	v_and_or_b32 v0, 0x80000000, v0, v1
	s_delay_alu instid0(VALU_DEP_1) | instskip(NEXT) | instid1(VALU_DEP_1)
	v_trunc_f32_e32 v0, v0
	v_mul_f32_e64 v1, 0x2f800000, |v0|
	s_delay_alu instid0(VALU_DEP_1) | instskip(NEXT) | instid1(VALU_DEP_1)
	v_floor_f32_e32 v1, v1
	v_fma_f32 v4, 0xcf800000, v1, |v0|
	v_ashrrev_i32_e32 v0, 31, v0
	v_cvt_u32_f32_e32 v5, v1
	s_delay_alu instid0(VALU_DEP_3) | instskip(NEXT) | instid1(VALU_DEP_2)
	v_cvt_u32_f32_e32 v4, v4
	v_dual_mov_b32 v1, v0 :: v_dual_bitop2_b32 v5, v5, v0 bitop3:0x14
	s_delay_alu instid0(VALU_DEP_2) | instskip(NEXT) | instid1(VALU_DEP_1)
	v_xor_b32_e32 v4, v4, v0
	v_sub_nc_u64_e32 v[0:1], v[4:5], v[0:1]
.LBB94_62:
	s_mov_b32 s38, 0
	s_mov_b32 s31, -1
.LBB94_63:
	s_and_not1_b32 vcc_lo, exec_lo, s38
	s_cbranch_vccnz .LBB94_76
; %bb.64:
	s_cmp_gt_i32 s1, 14
	s_cbranch_scc0 .LBB94_67
; %bb.65:
	s_cmp_eq_u32 s1, 15
	s_cbranch_scc0 .LBB94_70
; %bb.66:
	s_wait_loadcnt 0x0
	global_load_u16 v0, v[2:3], off
	s_mov_b32 s31, -1
	s_mov_b32 s67, 0
	s_wait_loadcnt 0x0
	v_lshlrev_b32_e32 v0, 16, v0
	s_delay_alu instid0(VALU_DEP_1) | instskip(NEXT) | instid1(VALU_DEP_1)
	v_trunc_f32_e32 v0, v0
	v_mul_f32_e64 v1, 0x2f800000, |v0|
	s_delay_alu instid0(VALU_DEP_1) | instskip(NEXT) | instid1(VALU_DEP_1)
	v_floor_f32_e32 v1, v1
	v_fma_f32 v4, 0xcf800000, v1, |v0|
	v_ashrrev_i32_e32 v0, 31, v0
	v_cvt_u32_f32_e32 v5, v1
	s_delay_alu instid0(VALU_DEP_3) | instskip(NEXT) | instid1(VALU_DEP_2)
	v_cvt_u32_f32_e32 v4, v4
	v_dual_mov_b32 v1, v0 :: v_dual_bitop2_b32 v5, v5, v0 bitop3:0x14
	s_delay_alu instid0(VALU_DEP_2) | instskip(NEXT) | instid1(VALU_DEP_1)
	v_xor_b32_e32 v4, v4, v0
	v_sub_nc_u64_e32 v[0:1], v[4:5], v[0:1]
	s_branch .LBB94_71
.LBB94_67:
	s_mov_b32 s38, -1
                                        ; implicit-def: $vgpr0_vgpr1
	s_branch .LBB94_72
.LBB94_68:
	s_and_not1_saveexec_b32 s31, s31
	s_cbranch_execz .LBB94_49
.LBB94_69:
	v_cmp_ne_u16_e32 vcc_lo, 0, v4
	s_and_not1_b32 s38, s38, exec_lo
	s_and_b32 s39, vcc_lo, exec_lo
	s_delay_alu instid0(SALU_CYCLE_1)
	s_or_b32 s38, s38, s39
	s_or_b32 exec_lo, exec_lo, s31
	v_mov_b64_e32 v[0:1], 0
	s_and_saveexec_b32 s31, s38
	s_cbranch_execnz .LBB94_50
	s_branch .LBB94_51
.LBB94_70:
	s_mov_b32 s67, -1
                                        ; implicit-def: $vgpr0_vgpr1
.LBB94_71:
	s_mov_b32 s38, 0
.LBB94_72:
	s_delay_alu instid0(SALU_CYCLE_1)
	s_and_b32 vcc_lo, exec_lo, s38
	s_cbranch_vccz .LBB94_76
; %bb.73:
	s_cmp_eq_u32 s1, 11
	s_cbranch_scc0 .LBB94_75
; %bb.74:
	s_wait_loadcnt 0x0
	global_load_u8 v0, v[2:3], off
	s_mov_b32 s67, 0
	s_mov_b32 s31, -1
	v_mov_b32_e32 v1, s67
	s_wait_loadcnt 0x0
	v_cmp_ne_u16_e32 vcc_lo, 0, v0
	v_cndmask_b32_e64 v0, 0, 1, vcc_lo
	s_branch .LBB94_76
.LBB94_75:
	s_mov_b32 s67, -1
                                        ; implicit-def: $vgpr0_vgpr1
.LBB94_76:
	s_branch .LBB94_10
.LBB94_77:
	s_and_b32 s0, 0xffff, s0
	s_delay_alu instid0(SALU_CYCLE_1)
	s_cmp_lt_i32 s0, 5
	s_cbranch_scc1 .LBB94_82
; %bb.78:
	s_cmp_lt_i32 s0, 8
	s_cbranch_scc1 .LBB94_83
; %bb.79:
	;; [unrolled: 3-line block ×3, first 2 shown]
	s_cmp_gt_i32 s0, 9
	s_cbranch_scc0 .LBB94_85
; %bb.81:
	s_wait_loadcnt 0x0
	global_load_b64 v[0:1], v[2:3], off
	s_mov_b32 s1, 0
	s_wait_loadcnt 0x0
	v_trunc_f64_e32 v[0:1], v[0:1]
	s_delay_alu instid0(VALU_DEP_1) | instskip(NEXT) | instid1(VALU_DEP_1)
	v_ldexp_f64 v[4:5], v[0:1], 0xffffffe0
	v_floor_f64_e32 v[4:5], v[4:5]
	s_delay_alu instid0(VALU_DEP_1) | instskip(SKIP_1) | instid1(VALU_DEP_2)
	v_fmamk_f64 v[6:7], v[4:5], 0xc1f00000, v[0:1]
	v_cvt_i32_f64_e32 v1, v[4:5]
	v_cvt_u32_f64_e32 v0, v[6:7]
	s_branch .LBB94_86
.LBB94_82:
                                        ; implicit-def: $vgpr0_vgpr1
	s_branch .LBB94_104
.LBB94_83:
	s_mov_b32 s1, -1
                                        ; implicit-def: $vgpr0_vgpr1
	s_branch .LBB94_92
.LBB94_84:
	s_mov_b32 s1, -1
                                        ; implicit-def: $vgpr0_vgpr1
	s_branch .LBB94_89
.LBB94_85:
	s_mov_b32 s1, -1
                                        ; implicit-def: $vgpr0_vgpr1
.LBB94_86:
	s_delay_alu instid0(SALU_CYCLE_1)
	s_and_not1_b32 vcc_lo, exec_lo, s1
	s_cbranch_vccnz .LBB94_88
; %bb.87:
	s_wait_loadcnt 0x0
	global_load_b32 v0, v[2:3], off
	s_wait_loadcnt 0x0
	v_trunc_f32_e32 v0, v0
	s_delay_alu instid0(VALU_DEP_1) | instskip(NEXT) | instid1(VALU_DEP_1)
	v_mul_f32_e64 v1, 0x2f800000, |v0|
	v_floor_f32_e32 v1, v1
	s_delay_alu instid0(VALU_DEP_1) | instskip(SKIP_2) | instid1(VALU_DEP_3)
	v_fma_f32 v4, 0xcf800000, v1, |v0|
	v_ashrrev_i32_e32 v0, 31, v0
	v_cvt_u32_f32_e32 v5, v1
	v_cvt_u32_f32_e32 v4, v4
	s_delay_alu instid0(VALU_DEP_2) | instskip(NEXT) | instid1(VALU_DEP_2)
	v_dual_mov_b32 v1, v0 :: v_dual_bitop2_b32 v5, v5, v0 bitop3:0x14
	v_xor_b32_e32 v4, v4, v0
	s_delay_alu instid0(VALU_DEP_1)
	v_sub_nc_u64_e32 v[0:1], v[4:5], v[0:1]
.LBB94_88:
	s_mov_b32 s1, 0
.LBB94_89:
	s_delay_alu instid0(SALU_CYCLE_1)
	s_and_not1_b32 vcc_lo, exec_lo, s1
	s_cbranch_vccnz .LBB94_91
; %bb.90:
	s_wait_loadcnt 0x0
	global_load_b32 v0, v[2:3], off
	s_wait_loadcnt 0x0
	v_cvt_f32_f16_e32 v0, v0
	s_delay_alu instid0(VALU_DEP_1) | instskip(NEXT) | instid1(VALU_DEP_1)
	v_cvt_i32_f32_e32 v0, v0
	v_ashrrev_i32_e32 v1, 31, v0
.LBB94_91:
	s_mov_b32 s1, 0
.LBB94_92:
	s_delay_alu instid0(SALU_CYCLE_1)
	s_and_not1_b32 vcc_lo, exec_lo, s1
	s_cbranch_vccnz .LBB94_103
; %bb.93:
	s_cmp_lt_i32 s0, 6
	s_cbranch_scc1 .LBB94_96
; %bb.94:
	s_cmp_gt_i32 s0, 6
	s_cbranch_scc0 .LBB94_97
; %bb.95:
	s_wait_loadcnt 0x0
	global_load_b64 v[0:1], v[2:3], off
	s_mov_b32 s1, 0
	s_wait_loadcnt 0x0
	v_trunc_f64_e32 v[0:1], v[0:1]
	s_delay_alu instid0(VALU_DEP_1) | instskip(NEXT) | instid1(VALU_DEP_1)
	v_ldexp_f64 v[4:5], v[0:1], 0xffffffe0
	v_floor_f64_e32 v[4:5], v[4:5]
	s_delay_alu instid0(VALU_DEP_1) | instskip(SKIP_1) | instid1(VALU_DEP_2)
	v_fmamk_f64 v[6:7], v[4:5], 0xc1f00000, v[0:1]
	v_cvt_i32_f64_e32 v1, v[4:5]
	v_cvt_u32_f64_e32 v0, v[6:7]
	s_branch .LBB94_98
.LBB94_96:
	s_mov_b32 s1, -1
                                        ; implicit-def: $vgpr0_vgpr1
	s_branch .LBB94_101
.LBB94_97:
	s_mov_b32 s1, -1
                                        ; implicit-def: $vgpr0_vgpr1
.LBB94_98:
	s_delay_alu instid0(SALU_CYCLE_1)
	s_and_not1_b32 vcc_lo, exec_lo, s1
	s_cbranch_vccnz .LBB94_100
; %bb.99:
	s_wait_loadcnt 0x0
	global_load_b32 v0, v[2:3], off
	s_wait_loadcnt 0x0
	v_trunc_f32_e32 v0, v0
	s_delay_alu instid0(VALU_DEP_1) | instskip(NEXT) | instid1(VALU_DEP_1)
	v_mul_f32_e64 v1, 0x2f800000, |v0|
	v_floor_f32_e32 v1, v1
	s_delay_alu instid0(VALU_DEP_1) | instskip(SKIP_2) | instid1(VALU_DEP_3)
	v_fma_f32 v4, 0xcf800000, v1, |v0|
	v_ashrrev_i32_e32 v0, 31, v0
	v_cvt_u32_f32_e32 v5, v1
	v_cvt_u32_f32_e32 v4, v4
	s_delay_alu instid0(VALU_DEP_2) | instskip(NEXT) | instid1(VALU_DEP_2)
	v_dual_mov_b32 v1, v0 :: v_dual_bitop2_b32 v5, v5, v0 bitop3:0x14
	v_xor_b32_e32 v4, v4, v0
	s_delay_alu instid0(VALU_DEP_1)
	v_sub_nc_u64_e32 v[0:1], v[4:5], v[0:1]
.LBB94_100:
	s_mov_b32 s1, 0
.LBB94_101:
	s_delay_alu instid0(SALU_CYCLE_1)
	s_and_not1_b32 vcc_lo, exec_lo, s1
	s_cbranch_vccnz .LBB94_103
; %bb.102:
	s_wait_loadcnt 0x0
	global_load_u16 v0, v[2:3], off
	s_wait_loadcnt 0x0
	v_cvt_f32_f16_e32 v0, v0
	s_delay_alu instid0(VALU_DEP_1) | instskip(NEXT) | instid1(VALU_DEP_1)
	v_cvt_i32_f32_e32 v0, v0
	v_ashrrev_i32_e32 v1, 31, v0
.LBB94_103:
	s_cbranch_execnz .LBB94_123
.LBB94_104:
	s_cmp_lt_i32 s0, 2
	s_cbranch_scc1 .LBB94_108
; %bb.105:
	s_cmp_lt_i32 s0, 3
	s_cbranch_scc1 .LBB94_109
; %bb.106:
	s_cmp_gt_i32 s0, 3
	s_cbranch_scc0 .LBB94_110
; %bb.107:
	s_wait_loadcnt 0x0
	global_load_b64 v[0:1], v[2:3], off
	s_mov_b32 s1, 0
	s_branch .LBB94_111
.LBB94_108:
	s_mov_b32 s1, -1
                                        ; implicit-def: $vgpr0_vgpr1
	s_branch .LBB94_117
.LBB94_109:
	s_mov_b32 s1, -1
                                        ; implicit-def: $vgpr0_vgpr1
	s_branch .LBB94_114
.LBB94_110:
	s_mov_b32 s1, -1
                                        ; implicit-def: $vgpr0_vgpr1
.LBB94_111:
	s_delay_alu instid0(SALU_CYCLE_1)
	s_and_not1_b32 vcc_lo, exec_lo, s1
	s_cbranch_vccnz .LBB94_113
; %bb.112:
	s_wait_loadcnt 0x0
	global_load_b32 v0, v[2:3], off
	s_wait_loadcnt 0x0
	v_ashrrev_i32_e32 v1, 31, v0
.LBB94_113:
	s_mov_b32 s1, 0
.LBB94_114:
	s_delay_alu instid0(SALU_CYCLE_1)
	s_and_not1_b32 vcc_lo, exec_lo, s1
	s_cbranch_vccnz .LBB94_116
; %bb.115:
	s_wait_loadcnt 0x0
	global_load_u16 v0, v[2:3], off
	s_wait_loadcnt 0x0
	v_bfe_i32 v0, v0, 0, 16
	s_delay_alu instid0(VALU_DEP_1)
	v_ashrrev_i32_e32 v1, 31, v0
.LBB94_116:
	s_mov_b32 s1, 0
.LBB94_117:
	s_delay_alu instid0(SALU_CYCLE_1)
	s_and_not1_b32 vcc_lo, exec_lo, s1
	s_cbranch_vccnz .LBB94_123
; %bb.118:
	s_cmp_gt_i32 s0, 0
	s_mov_b32 s0, 0
	s_cbranch_scc0 .LBB94_120
; %bb.119:
	s_wait_loadcnt 0x0
	global_load_i8 v0, v[2:3], off
	s_wait_loadcnt 0x0
	v_bfe_i32 v0, v0, 0, 16
	s_delay_alu instid0(VALU_DEP_1)
	v_ashrrev_i32_e32 v1, 31, v0
	s_branch .LBB94_121
.LBB94_120:
	s_mov_b32 s0, -1
                                        ; implicit-def: $vgpr0_vgpr1
.LBB94_121:
	s_delay_alu instid0(SALU_CYCLE_1)
	s_and_not1_b32 vcc_lo, exec_lo, s0
	s_cbranch_vccnz .LBB94_123
; %bb.122:
	s_wait_loadcnt 0x0
	global_load_u8 v0, v[2:3], off
	s_mov_b32 s0, 0
	s_delay_alu instid0(SALU_CYCLE_1)
	v_mov_b32_e32 v1, s0
	s_wait_loadcnt 0x0
	v_and_b32_e32 v0, 0xffff, v0
.LBB94_123:
.LBB94_124:
	s_wait_xcnt 0x0
	v_mul_lo_u32 v2, s25, v26
	s_and_b32 s0, s55, 0xff
	s_delay_alu instid0(SALU_CYCLE_1) | instskip(NEXT) | instid1(VALU_DEP_1)
	s_cmp_lt_i32 s0, 11
	v_ashrrev_i32_e32 v3, 31, v2
	s_delay_alu instid0(VALU_DEP_1)
	v_add_nc_u64_e32 v[4:5], s[14:15], v[2:3]
	s_cbranch_scc1 .LBB94_131
; %bb.125:
	s_and_b32 s1, 0xffff, s0
	s_delay_alu instid0(SALU_CYCLE_1)
	s_cmp_gt_i32 s1, 25
	s_cbranch_scc0 .LBB94_133
; %bb.126:
	s_cmp_gt_i32 s1, 28
	s_cbranch_scc0 .LBB94_134
; %bb.127:
	;; [unrolled: 3-line block ×4, first 2 shown]
	s_cmp_eq_u32 s1, 46
	s_mov_b32 s38, 0
	s_cbranch_scc0 .LBB94_137
; %bb.130:
	global_load_b32 v2, v[4:5], off
	s_mov_b32 s31, -1
	s_wait_loadcnt 0x0
	v_lshlrev_b32_e32 v2, 16, v2
	s_delay_alu instid0(VALU_DEP_1) | instskip(NEXT) | instid1(VALU_DEP_1)
	v_trunc_f32_e32 v2, v2
	v_mul_f32_e64 v3, 0x2f800000, |v2|
	s_delay_alu instid0(VALU_DEP_1) | instskip(NEXT) | instid1(VALU_DEP_1)
	v_floor_f32_e32 v3, v3
	v_fma_f32 v6, 0xcf800000, v3, |v2|
	v_ashrrev_i32_e32 v2, 31, v2
	v_cvt_u32_f32_e32 v7, v3
	s_delay_alu instid0(VALU_DEP_3) | instskip(NEXT) | instid1(VALU_DEP_2)
	v_cvt_u32_f32_e32 v6, v6
	v_dual_mov_b32 v3, v2 :: v_dual_bitop2_b32 v7, v7, v2 bitop3:0x14
	s_delay_alu instid0(VALU_DEP_2) | instskip(NEXT) | instid1(VALU_DEP_1)
	v_xor_b32_e32 v6, v6, v2
	v_sub_nc_u64_e32 v[2:3], v[6:7], v[2:3]
	s_branch .LBB94_139
.LBB94_131:
	s_mov_b32 s31, 0
                                        ; implicit-def: $vgpr2_vgpr3
	s_cbranch_execnz .LBB94_200
.LBB94_132:
	s_and_not1_b32 vcc_lo, exec_lo, s31
	s_cbranch_vccnz .LBB94_628
	s_branch .LBB94_248
.LBB94_133:
	s_mov_b32 s38, -1
	s_mov_b32 s31, 0
                                        ; implicit-def: $vgpr2_vgpr3
	s_branch .LBB94_166
.LBB94_134:
	s_mov_b32 s38, -1
	s_mov_b32 s31, 0
                                        ; implicit-def: $vgpr2_vgpr3
	s_branch .LBB94_149
.LBB94_135:
	s_mov_b32 s38, -1
	s_mov_b32 s31, 0
                                        ; implicit-def: $vgpr2_vgpr3
	s_branch .LBB94_144
.LBB94_136:
	s_mov_b32 s38, -1
	s_branch .LBB94_138
.LBB94_137:
	s_mov_b32 s66, -1
.LBB94_138:
	s_mov_b32 s31, 0
                                        ; implicit-def: $vgpr2_vgpr3
.LBB94_139:
	s_and_b32 vcc_lo, exec_lo, s38
	s_cbranch_vccz .LBB94_143
; %bb.140:
	s_cmp_eq_u32 s1, 44
	s_cbranch_scc0 .LBB94_142
; %bb.141:
	global_load_u8 v8, v[4:5], off
	s_mov_b32 s66, 0
	s_mov_b32 s31, -1
	s_wait_loadcnt 0x0
	v_cmp_ne_u32_e32 vcc_lo, 0, v8
	v_lshlrev_b32_e32 v2, 23, v8
	s_delay_alu instid0(VALU_DEP_1) | instskip(NEXT) | instid1(VALU_DEP_1)
	v_trunc_f32_e32 v2, v2
	v_mul_f32_e64 v3, 0x2f800000, |v2|
	s_delay_alu instid0(VALU_DEP_1) | instskip(NEXT) | instid1(VALU_DEP_1)
	v_floor_f32_e32 v3, v3
	v_fma_f32 v6, 0xcf800000, v3, |v2|
	v_ashrrev_i32_e32 v2, 31, v2
	v_cvt_u32_f32_e32 v7, v3
	s_delay_alu instid0(VALU_DEP_3) | instskip(NEXT) | instid1(VALU_DEP_2)
	v_cvt_u32_f32_e32 v6, v6
	v_dual_mov_b32 v3, v2 :: v_dual_bitop2_b32 v7, v7, v2 bitop3:0x14
	s_delay_alu instid0(VALU_DEP_2) | instskip(NEXT) | instid1(VALU_DEP_1)
	v_xor_b32_e32 v6, v6, v2
	v_sub_nc_u64_e32 v[2:3], v[6:7], v[2:3]
	s_delay_alu instid0(VALU_DEP_1)
	v_dual_cndmask_b32 v3, 0, v3 :: v_dual_cndmask_b32 v2, 0, v2
	s_branch .LBB94_143
.LBB94_142:
	s_mov_b32 s66, -1
                                        ; implicit-def: $vgpr2_vgpr3
.LBB94_143:
	s_mov_b32 s38, 0
.LBB94_144:
	s_delay_alu instid0(SALU_CYCLE_1)
	s_and_b32 vcc_lo, exec_lo, s38
	s_cbranch_vccz .LBB94_148
; %bb.145:
	s_cmp_eq_u32 s1, 29
	s_cbranch_scc0 .LBB94_147
; %bb.146:
	global_load_b64 v[2:3], v[4:5], off
	s_mov_b32 s31, -1
	s_mov_b32 s66, 0
	s_branch .LBB94_148
.LBB94_147:
	s_mov_b32 s66, -1
                                        ; implicit-def: $vgpr2_vgpr3
.LBB94_148:
	s_mov_b32 s38, 0
.LBB94_149:
	s_delay_alu instid0(SALU_CYCLE_1)
	s_and_b32 vcc_lo, exec_lo, s38
	s_cbranch_vccz .LBB94_165
; %bb.150:
	s_cmp_lt_i32 s1, 27
	s_cbranch_scc1 .LBB94_153
; %bb.151:
	s_cmp_gt_i32 s1, 27
	s_cbranch_scc0 .LBB94_154
; %bb.152:
	s_wait_loadcnt 0x0
	global_load_b32 v2, v[4:5], off
	v_mov_b32_e32 v3, 0
	s_mov_b32 s31, 0
	s_branch .LBB94_155
.LBB94_153:
	s_mov_b32 s31, -1
                                        ; implicit-def: $vgpr2_vgpr3
	s_branch .LBB94_158
.LBB94_154:
	s_mov_b32 s31, -1
                                        ; implicit-def: $vgpr2_vgpr3
.LBB94_155:
	s_delay_alu instid0(SALU_CYCLE_1)
	s_and_not1_b32 vcc_lo, exec_lo, s31
	s_cbranch_vccnz .LBB94_157
; %bb.156:
	s_wait_loadcnt 0x0
	global_load_u16 v2, v[4:5], off
	s_mov_b32 s31, 0
	s_delay_alu instid0(SALU_CYCLE_1)
	v_mov_b32_e32 v3, s31
	s_wait_loadcnt 0x0
	v_and_b32_e32 v2, 0xffff, v2
.LBB94_157:
	s_mov_b32 s31, 0
.LBB94_158:
	s_delay_alu instid0(SALU_CYCLE_1)
	s_and_not1_b32 vcc_lo, exec_lo, s31
	s_cbranch_vccnz .LBB94_164
; %bb.159:
	global_load_u8 v6, v[4:5], off
	s_mov_b32 s38, 0
	s_mov_b32 s31, exec_lo
	s_wait_loadcnt 0x0
	v_cmpx_lt_i16_e32 0x7f, v6
	s_xor_b32 s31, exec_lo, s31
	s_cbranch_execz .LBB94_176
; %bb.160:
	v_cmp_ne_u16_e32 vcc_lo, 0x80, v6
	s_and_b32 s38, vcc_lo, exec_lo
	s_and_not1_saveexec_b32 s31, s31
	s_cbranch_execnz .LBB94_177
.LBB94_161:
	s_or_b32 exec_lo, exec_lo, s31
	v_mov_b64_e32 v[2:3], 0
	s_and_saveexec_b32 s31, s38
	s_cbranch_execz .LBB94_163
.LBB94_162:
	v_and_b32_e32 v2, 0xffff, v6
	s_delay_alu instid0(VALU_DEP_1) | instskip(SKIP_1) | instid1(VALU_DEP_2)
	v_and_b32_e32 v3, 7, v2
	v_bfe_u32 v9, v2, 3, 4
	v_clz_i32_u32_e32 v7, v3
	s_delay_alu instid0(VALU_DEP_2) | instskip(NEXT) | instid1(VALU_DEP_2)
	v_cmp_eq_u32_e32 vcc_lo, 0, v9
	v_min_u32_e32 v7, 32, v7
	s_delay_alu instid0(VALU_DEP_1) | instskip(NEXT) | instid1(VALU_DEP_1)
	v_subrev_nc_u32_e32 v8, 28, v7
	v_dual_lshlrev_b32 v2, v8, v2 :: v_dual_sub_nc_u32 v7, 29, v7
	s_delay_alu instid0(VALU_DEP_1) | instskip(NEXT) | instid1(VALU_DEP_2)
	v_and_b32_e32 v2, 7, v2
	v_dual_cndmask_b32 v7, v9, v7 :: v_dual_lshlrev_b32 v6, 24, v6
	s_delay_alu instid0(VALU_DEP_2) | instskip(NEXT) | instid1(VALU_DEP_2)
	v_cndmask_b32_e32 v2, v3, v2, vcc_lo
	v_and_b32_e32 v3, 0x80000000, v6
	s_delay_alu instid0(VALU_DEP_3) | instskip(NEXT) | instid1(VALU_DEP_3)
	v_lshl_add_u32 v6, v7, 23, 0x3b800000
	v_lshlrev_b32_e32 v2, 20, v2
	s_delay_alu instid0(VALU_DEP_1) | instskip(NEXT) | instid1(VALU_DEP_1)
	v_or3_b32 v2, v3, v6, v2
	v_trunc_f32_e32 v2, v2
	s_delay_alu instid0(VALU_DEP_1) | instskip(NEXT) | instid1(VALU_DEP_1)
	v_mul_f32_e64 v3, 0x2f800000, |v2|
	v_floor_f32_e32 v3, v3
	s_delay_alu instid0(VALU_DEP_1) | instskip(SKIP_2) | instid1(VALU_DEP_3)
	v_fma_f32 v6, 0xcf800000, v3, |v2|
	v_ashrrev_i32_e32 v2, 31, v2
	v_cvt_u32_f32_e32 v7, v3
	v_cvt_u32_f32_e32 v6, v6
	s_delay_alu instid0(VALU_DEP_2) | instskip(NEXT) | instid1(VALU_DEP_2)
	v_dual_mov_b32 v3, v2 :: v_dual_bitop2_b32 v7, v7, v2 bitop3:0x14
	v_xor_b32_e32 v6, v6, v2
	s_delay_alu instid0(VALU_DEP_1)
	v_sub_nc_u64_e32 v[2:3], v[6:7], v[2:3]
.LBB94_163:
	s_or_b32 exec_lo, exec_lo, s31
.LBB94_164:
	s_mov_b32 s31, -1
.LBB94_165:
	s_mov_b32 s38, 0
.LBB94_166:
	s_delay_alu instid0(SALU_CYCLE_1)
	s_and_b32 vcc_lo, exec_lo, s38
	s_cbranch_vccz .LBB94_199
; %bb.167:
	s_cmp_gt_i32 s1, 22
	s_cbranch_scc0 .LBB94_175
; %bb.168:
	s_cmp_lt_i32 s1, 24
	s_cbranch_scc1 .LBB94_178
; %bb.169:
	s_cmp_gt_i32 s1, 24
	s_cbranch_scc0 .LBB94_179
; %bb.170:
	global_load_u8 v6, v[4:5], off
	s_mov_b32 s38, 0
	s_mov_b32 s31, exec_lo
	s_wait_loadcnt 0x0
	v_cmpx_lt_i16_e32 0x7f, v6
	s_xor_b32 s31, exec_lo, s31
	s_cbranch_execz .LBB94_191
; %bb.171:
	v_cmp_ne_u16_e32 vcc_lo, 0x80, v6
	s_and_b32 s38, vcc_lo, exec_lo
	s_and_not1_saveexec_b32 s31, s31
	s_cbranch_execnz .LBB94_192
.LBB94_172:
	s_or_b32 exec_lo, exec_lo, s31
	v_mov_b64_e32 v[2:3], 0
	s_and_saveexec_b32 s31, s38
	s_cbranch_execz .LBB94_174
.LBB94_173:
	v_and_b32_e32 v2, 0xffff, v6
	s_delay_alu instid0(VALU_DEP_1) | instskip(SKIP_1) | instid1(VALU_DEP_2)
	v_and_b32_e32 v3, 3, v2
	v_bfe_u32 v9, v2, 2, 5
	v_clz_i32_u32_e32 v7, v3
	s_delay_alu instid0(VALU_DEP_2) | instskip(NEXT) | instid1(VALU_DEP_2)
	v_cmp_eq_u32_e32 vcc_lo, 0, v9
	v_min_u32_e32 v7, 32, v7
	s_delay_alu instid0(VALU_DEP_1) | instskip(NEXT) | instid1(VALU_DEP_1)
	v_subrev_nc_u32_e32 v8, 29, v7
	v_dual_lshlrev_b32 v2, v8, v2 :: v_dual_sub_nc_u32 v7, 30, v7
	s_delay_alu instid0(VALU_DEP_1) | instskip(NEXT) | instid1(VALU_DEP_2)
	v_and_b32_e32 v2, 3, v2
	v_dual_cndmask_b32 v7, v9, v7 :: v_dual_lshlrev_b32 v6, 24, v6
	s_delay_alu instid0(VALU_DEP_2) | instskip(NEXT) | instid1(VALU_DEP_2)
	v_cndmask_b32_e32 v2, v3, v2, vcc_lo
	v_and_b32_e32 v3, 0x80000000, v6
	s_delay_alu instid0(VALU_DEP_3) | instskip(NEXT) | instid1(VALU_DEP_3)
	v_lshl_add_u32 v6, v7, 23, 0x37800000
	v_lshlrev_b32_e32 v2, 21, v2
	s_delay_alu instid0(VALU_DEP_1) | instskip(NEXT) | instid1(VALU_DEP_1)
	v_or3_b32 v2, v3, v6, v2
	v_trunc_f32_e32 v2, v2
	s_delay_alu instid0(VALU_DEP_1) | instskip(NEXT) | instid1(VALU_DEP_1)
	v_mul_f32_e64 v3, 0x2f800000, |v2|
	v_floor_f32_e32 v3, v3
	s_delay_alu instid0(VALU_DEP_1) | instskip(SKIP_2) | instid1(VALU_DEP_3)
	v_fma_f32 v6, 0xcf800000, v3, |v2|
	v_ashrrev_i32_e32 v2, 31, v2
	v_cvt_u32_f32_e32 v7, v3
	v_cvt_u32_f32_e32 v6, v6
	s_delay_alu instid0(VALU_DEP_2) | instskip(NEXT) | instid1(VALU_DEP_2)
	v_dual_mov_b32 v3, v2 :: v_dual_bitop2_b32 v7, v7, v2 bitop3:0x14
	v_xor_b32_e32 v6, v6, v2
	s_delay_alu instid0(VALU_DEP_1)
	v_sub_nc_u64_e32 v[2:3], v[6:7], v[2:3]
.LBB94_174:
	s_or_b32 exec_lo, exec_lo, s31
	s_mov_b32 s31, 0
	s_branch .LBB94_180
.LBB94_175:
	s_mov_b32 s38, -1
                                        ; implicit-def: $vgpr2_vgpr3
	s_branch .LBB94_186
.LBB94_176:
	s_and_not1_saveexec_b32 s31, s31
	s_cbranch_execz .LBB94_161
.LBB94_177:
	v_cmp_ne_u16_e32 vcc_lo, 0, v6
	s_and_not1_b32 s38, s38, exec_lo
	s_and_b32 s39, vcc_lo, exec_lo
	s_delay_alu instid0(SALU_CYCLE_1)
	s_or_b32 s38, s38, s39
	s_or_b32 exec_lo, exec_lo, s31
	v_mov_b64_e32 v[2:3], 0
	s_and_saveexec_b32 s31, s38
	s_cbranch_execnz .LBB94_162
	s_branch .LBB94_163
.LBB94_178:
	s_mov_b32 s31, -1
                                        ; implicit-def: $vgpr2_vgpr3
	s_branch .LBB94_183
.LBB94_179:
	s_mov_b32 s31, -1
                                        ; implicit-def: $vgpr2_vgpr3
.LBB94_180:
	s_delay_alu instid0(SALU_CYCLE_1)
	s_and_b32 vcc_lo, exec_lo, s31
	s_cbranch_vccz .LBB94_182
; %bb.181:
	s_wait_loadcnt 0x0
	global_load_u8 v2, v[4:5], off
	s_wait_loadcnt 0x0
	v_lshlrev_b32_e32 v2, 24, v2
	s_delay_alu instid0(VALU_DEP_1) | instskip(NEXT) | instid1(VALU_DEP_1)
	v_and_b32_e32 v3, 0x7f000000, v2
	v_clz_i32_u32_e32 v6, v3
	v_cmp_ne_u32_e32 vcc_lo, 0, v3
	v_add_nc_u32_e32 v8, 0x1000000, v3
	s_delay_alu instid0(VALU_DEP_3) | instskip(NEXT) | instid1(VALU_DEP_1)
	v_min_u32_e32 v6, 32, v6
	v_sub_nc_u32_e64 v6, v6, 4 clamp
	s_delay_alu instid0(VALU_DEP_1) | instskip(NEXT) | instid1(VALU_DEP_1)
	v_dual_lshlrev_b32 v7, v6, v3 :: v_dual_lshlrev_b32 v6, 23, v6
	v_lshrrev_b32_e32 v7, 4, v7
	s_delay_alu instid0(VALU_DEP_1) | instskip(NEXT) | instid1(VALU_DEP_1)
	v_dual_sub_nc_u32 v6, v7, v6 :: v_dual_ashrrev_i32 v7, 8, v8
	v_add_nc_u32_e32 v6, 0x3c000000, v6
	s_delay_alu instid0(VALU_DEP_1) | instskip(NEXT) | instid1(VALU_DEP_1)
	v_and_or_b32 v6, 0x7f800000, v7, v6
	v_cndmask_b32_e32 v3, 0, v6, vcc_lo
	s_delay_alu instid0(VALU_DEP_1) | instskip(NEXT) | instid1(VALU_DEP_1)
	v_and_or_b32 v2, 0x80000000, v2, v3
	v_trunc_f32_e32 v2, v2
	s_delay_alu instid0(VALU_DEP_1) | instskip(NEXT) | instid1(VALU_DEP_1)
	v_mul_f32_e64 v3, 0x2f800000, |v2|
	v_floor_f32_e32 v3, v3
	s_delay_alu instid0(VALU_DEP_1) | instskip(SKIP_2) | instid1(VALU_DEP_3)
	v_fma_f32 v6, 0xcf800000, v3, |v2|
	v_ashrrev_i32_e32 v2, 31, v2
	v_cvt_u32_f32_e32 v7, v3
	v_cvt_u32_f32_e32 v6, v6
	s_delay_alu instid0(VALU_DEP_2) | instskip(NEXT) | instid1(VALU_DEP_2)
	v_dual_mov_b32 v3, v2 :: v_dual_bitop2_b32 v7, v7, v2 bitop3:0x14
	v_xor_b32_e32 v6, v6, v2
	s_delay_alu instid0(VALU_DEP_1)
	v_sub_nc_u64_e32 v[2:3], v[6:7], v[2:3]
.LBB94_182:
	s_mov_b32 s31, 0
.LBB94_183:
	s_delay_alu instid0(SALU_CYCLE_1)
	s_and_not1_b32 vcc_lo, exec_lo, s31
	s_cbranch_vccnz .LBB94_185
; %bb.184:
	s_wait_loadcnt 0x0
	global_load_u8 v2, v[4:5], off
	s_wait_loadcnt 0x0
	v_lshlrev_b32_e32 v3, 25, v2
	v_lshlrev_b16 v2, 8, v2
	s_delay_alu instid0(VALU_DEP_1) | instskip(SKIP_1) | instid1(VALU_DEP_2)
	v_and_or_b32 v7, 0x7f00, v2, 0.5
	v_bfe_i32 v2, v2, 0, 16
	v_add_f32_e32 v7, -0.5, v7
	v_lshrrev_b32_e32 v6, 4, v3
	v_cmp_gt_u32_e32 vcc_lo, 0x8000000, v3
	s_delay_alu instid0(VALU_DEP_2) | instskip(NEXT) | instid1(VALU_DEP_1)
	v_or_b32_e32 v6, 0x70000000, v6
	v_mul_f32_e32 v6, 0x7800000, v6
	s_delay_alu instid0(VALU_DEP_1) | instskip(NEXT) | instid1(VALU_DEP_1)
	v_cndmask_b32_e32 v3, v6, v7, vcc_lo
	v_and_or_b32 v2, 0x80000000, v2, v3
	s_delay_alu instid0(VALU_DEP_1) | instskip(NEXT) | instid1(VALU_DEP_1)
	v_trunc_f32_e32 v2, v2
	v_mul_f32_e64 v3, 0x2f800000, |v2|
	s_delay_alu instid0(VALU_DEP_1) | instskip(NEXT) | instid1(VALU_DEP_1)
	v_floor_f32_e32 v3, v3
	v_fma_f32 v6, 0xcf800000, v3, |v2|
	v_ashrrev_i32_e32 v2, 31, v2
	v_cvt_u32_f32_e32 v7, v3
	s_delay_alu instid0(VALU_DEP_3) | instskip(NEXT) | instid1(VALU_DEP_2)
	v_cvt_u32_f32_e32 v6, v6
	v_dual_mov_b32 v3, v2 :: v_dual_bitop2_b32 v7, v7, v2 bitop3:0x14
	s_delay_alu instid0(VALU_DEP_2) | instskip(NEXT) | instid1(VALU_DEP_1)
	v_xor_b32_e32 v6, v6, v2
	v_sub_nc_u64_e32 v[2:3], v[6:7], v[2:3]
.LBB94_185:
	s_mov_b32 s38, 0
	s_mov_b32 s31, -1
.LBB94_186:
	s_and_not1_b32 vcc_lo, exec_lo, s38
	s_cbranch_vccnz .LBB94_199
; %bb.187:
	s_cmp_gt_i32 s1, 14
	s_cbranch_scc0 .LBB94_190
; %bb.188:
	s_cmp_eq_u32 s1, 15
	s_cbranch_scc0 .LBB94_193
; %bb.189:
	s_wait_loadcnt 0x0
	global_load_u16 v2, v[4:5], off
	s_mov_b32 s31, -1
	s_mov_b32 s66, 0
	s_wait_loadcnt 0x0
	v_lshlrev_b32_e32 v2, 16, v2
	s_delay_alu instid0(VALU_DEP_1) | instskip(NEXT) | instid1(VALU_DEP_1)
	v_trunc_f32_e32 v2, v2
	v_mul_f32_e64 v3, 0x2f800000, |v2|
	s_delay_alu instid0(VALU_DEP_1) | instskip(NEXT) | instid1(VALU_DEP_1)
	v_floor_f32_e32 v3, v3
	v_fma_f32 v6, 0xcf800000, v3, |v2|
	v_ashrrev_i32_e32 v2, 31, v2
	v_cvt_u32_f32_e32 v7, v3
	s_delay_alu instid0(VALU_DEP_3) | instskip(NEXT) | instid1(VALU_DEP_2)
	v_cvt_u32_f32_e32 v6, v6
	v_dual_mov_b32 v3, v2 :: v_dual_bitop2_b32 v7, v7, v2 bitop3:0x14
	s_delay_alu instid0(VALU_DEP_2) | instskip(NEXT) | instid1(VALU_DEP_1)
	v_xor_b32_e32 v6, v6, v2
	v_sub_nc_u64_e32 v[2:3], v[6:7], v[2:3]
	s_branch .LBB94_194
.LBB94_190:
	s_mov_b32 s38, -1
                                        ; implicit-def: $vgpr2_vgpr3
	s_branch .LBB94_195
.LBB94_191:
	s_and_not1_saveexec_b32 s31, s31
	s_cbranch_execz .LBB94_172
.LBB94_192:
	v_cmp_ne_u16_e32 vcc_lo, 0, v6
	s_and_not1_b32 s38, s38, exec_lo
	s_and_b32 s39, vcc_lo, exec_lo
	s_delay_alu instid0(SALU_CYCLE_1)
	s_or_b32 s38, s38, s39
	s_or_b32 exec_lo, exec_lo, s31
	v_mov_b64_e32 v[2:3], 0
	s_and_saveexec_b32 s31, s38
	s_cbranch_execnz .LBB94_173
	s_branch .LBB94_174
.LBB94_193:
	s_mov_b32 s66, -1
                                        ; implicit-def: $vgpr2_vgpr3
.LBB94_194:
	s_mov_b32 s38, 0
.LBB94_195:
	s_delay_alu instid0(SALU_CYCLE_1)
	s_and_b32 vcc_lo, exec_lo, s38
	s_cbranch_vccz .LBB94_199
; %bb.196:
	s_cmp_eq_u32 s1, 11
	s_cbranch_scc0 .LBB94_198
; %bb.197:
	s_wait_loadcnt 0x0
	global_load_u8 v2, v[4:5], off
	s_mov_b32 s66, 0
	s_mov_b32 s31, -1
	v_mov_b32_e32 v3, s66
	s_wait_loadcnt 0x0
	v_cmp_ne_u16_e32 vcc_lo, 0, v2
	v_cndmask_b32_e64 v2, 0, 1, vcc_lo
	s_branch .LBB94_199
.LBB94_198:
	s_mov_b32 s66, -1
                                        ; implicit-def: $vgpr2_vgpr3
.LBB94_199:
	s_branch .LBB94_132
.LBB94_200:
	s_and_b32 s0, 0xffff, s0
	s_delay_alu instid0(SALU_CYCLE_1)
	s_cmp_lt_i32 s0, 5
	s_cbranch_scc1 .LBB94_205
; %bb.201:
	s_cmp_lt_i32 s0, 8
	s_cbranch_scc1 .LBB94_206
; %bb.202:
	;; [unrolled: 3-line block ×3, first 2 shown]
	s_cmp_gt_i32 s0, 9
	s_cbranch_scc0 .LBB94_208
; %bb.204:
	s_wait_loadcnt 0x0
	global_load_b64 v[2:3], v[4:5], off
	s_mov_b32 s1, 0
	s_wait_loadcnt 0x0
	v_trunc_f64_e32 v[2:3], v[2:3]
	s_delay_alu instid0(VALU_DEP_1) | instskip(NEXT) | instid1(VALU_DEP_1)
	v_ldexp_f64 v[6:7], v[2:3], 0xffffffe0
	v_floor_f64_e32 v[6:7], v[6:7]
	s_delay_alu instid0(VALU_DEP_1) | instskip(SKIP_1) | instid1(VALU_DEP_2)
	v_fmamk_f64 v[8:9], v[6:7], 0xc1f00000, v[2:3]
	v_cvt_i32_f64_e32 v3, v[6:7]
	v_cvt_u32_f64_e32 v2, v[8:9]
	s_branch .LBB94_209
.LBB94_205:
	s_mov_b32 s1, -1
                                        ; implicit-def: $vgpr2_vgpr3
	s_branch .LBB94_227
.LBB94_206:
	s_mov_b32 s1, -1
                                        ; implicit-def: $vgpr2_vgpr3
	s_branch .LBB94_215
.LBB94_207:
	s_mov_b32 s1, -1
                                        ; implicit-def: $vgpr2_vgpr3
	s_branch .LBB94_212
.LBB94_208:
	s_mov_b32 s1, -1
                                        ; implicit-def: $vgpr2_vgpr3
.LBB94_209:
	s_delay_alu instid0(SALU_CYCLE_1)
	s_and_not1_b32 vcc_lo, exec_lo, s1
	s_cbranch_vccnz .LBB94_211
; %bb.210:
	s_wait_loadcnt 0x0
	global_load_b32 v2, v[4:5], off
	s_wait_loadcnt 0x0
	v_trunc_f32_e32 v2, v2
	s_delay_alu instid0(VALU_DEP_1) | instskip(NEXT) | instid1(VALU_DEP_1)
	v_mul_f32_e64 v3, 0x2f800000, |v2|
	v_floor_f32_e32 v3, v3
	s_delay_alu instid0(VALU_DEP_1) | instskip(SKIP_2) | instid1(VALU_DEP_3)
	v_fma_f32 v6, 0xcf800000, v3, |v2|
	v_ashrrev_i32_e32 v2, 31, v2
	v_cvt_u32_f32_e32 v7, v3
	v_cvt_u32_f32_e32 v6, v6
	s_delay_alu instid0(VALU_DEP_2) | instskip(NEXT) | instid1(VALU_DEP_2)
	v_dual_mov_b32 v3, v2 :: v_dual_bitop2_b32 v7, v7, v2 bitop3:0x14
	v_xor_b32_e32 v6, v6, v2
	s_delay_alu instid0(VALU_DEP_1)
	v_sub_nc_u64_e32 v[2:3], v[6:7], v[2:3]
.LBB94_211:
	s_mov_b32 s1, 0
.LBB94_212:
	s_delay_alu instid0(SALU_CYCLE_1)
	s_and_not1_b32 vcc_lo, exec_lo, s1
	s_cbranch_vccnz .LBB94_214
; %bb.213:
	s_wait_loadcnt 0x0
	global_load_b32 v2, v[4:5], off
	s_wait_loadcnt 0x0
	v_cvt_f32_f16_e32 v2, v2
	s_delay_alu instid0(VALU_DEP_1) | instskip(NEXT) | instid1(VALU_DEP_1)
	v_cvt_i32_f32_e32 v2, v2
	v_ashrrev_i32_e32 v3, 31, v2
.LBB94_214:
	s_mov_b32 s1, 0
.LBB94_215:
	s_delay_alu instid0(SALU_CYCLE_1)
	s_and_not1_b32 vcc_lo, exec_lo, s1
	s_cbranch_vccnz .LBB94_226
; %bb.216:
	s_cmp_lt_i32 s0, 6
	s_cbranch_scc1 .LBB94_219
; %bb.217:
	s_cmp_gt_i32 s0, 6
	s_cbranch_scc0 .LBB94_220
; %bb.218:
	s_wait_loadcnt 0x0
	global_load_b64 v[2:3], v[4:5], off
	s_mov_b32 s1, 0
	s_wait_loadcnt 0x0
	v_trunc_f64_e32 v[2:3], v[2:3]
	s_delay_alu instid0(VALU_DEP_1) | instskip(NEXT) | instid1(VALU_DEP_1)
	v_ldexp_f64 v[6:7], v[2:3], 0xffffffe0
	v_floor_f64_e32 v[6:7], v[6:7]
	s_delay_alu instid0(VALU_DEP_1) | instskip(SKIP_1) | instid1(VALU_DEP_2)
	v_fmamk_f64 v[8:9], v[6:7], 0xc1f00000, v[2:3]
	v_cvt_i32_f64_e32 v3, v[6:7]
	v_cvt_u32_f64_e32 v2, v[8:9]
	s_branch .LBB94_221
.LBB94_219:
	s_mov_b32 s1, -1
                                        ; implicit-def: $vgpr2_vgpr3
	s_branch .LBB94_224
.LBB94_220:
	s_mov_b32 s1, -1
                                        ; implicit-def: $vgpr2_vgpr3
.LBB94_221:
	s_delay_alu instid0(SALU_CYCLE_1)
	s_and_not1_b32 vcc_lo, exec_lo, s1
	s_cbranch_vccnz .LBB94_223
; %bb.222:
	s_wait_loadcnt 0x0
	global_load_b32 v2, v[4:5], off
	s_wait_loadcnt 0x0
	v_trunc_f32_e32 v2, v2
	s_delay_alu instid0(VALU_DEP_1) | instskip(NEXT) | instid1(VALU_DEP_1)
	v_mul_f32_e64 v3, 0x2f800000, |v2|
	v_floor_f32_e32 v3, v3
	s_delay_alu instid0(VALU_DEP_1) | instskip(SKIP_2) | instid1(VALU_DEP_3)
	v_fma_f32 v6, 0xcf800000, v3, |v2|
	v_ashrrev_i32_e32 v2, 31, v2
	v_cvt_u32_f32_e32 v7, v3
	v_cvt_u32_f32_e32 v6, v6
	s_delay_alu instid0(VALU_DEP_2) | instskip(NEXT) | instid1(VALU_DEP_2)
	v_dual_mov_b32 v3, v2 :: v_dual_bitop2_b32 v7, v7, v2 bitop3:0x14
	v_xor_b32_e32 v6, v6, v2
	s_delay_alu instid0(VALU_DEP_1)
	v_sub_nc_u64_e32 v[2:3], v[6:7], v[2:3]
.LBB94_223:
	s_mov_b32 s1, 0
.LBB94_224:
	s_delay_alu instid0(SALU_CYCLE_1)
	s_and_not1_b32 vcc_lo, exec_lo, s1
	s_cbranch_vccnz .LBB94_226
; %bb.225:
	s_wait_loadcnt 0x0
	global_load_u16 v2, v[4:5], off
	s_wait_loadcnt 0x0
	v_cvt_f32_f16_e32 v2, v2
	s_delay_alu instid0(VALU_DEP_1) | instskip(NEXT) | instid1(VALU_DEP_1)
	v_cvt_i32_f32_e32 v2, v2
	v_ashrrev_i32_e32 v3, 31, v2
.LBB94_226:
	s_mov_b32 s1, 0
.LBB94_227:
	s_delay_alu instid0(SALU_CYCLE_1)
	s_and_not1_b32 vcc_lo, exec_lo, s1
	s_cbranch_vccnz .LBB94_247
; %bb.228:
	s_cmp_lt_i32 s0, 2
	s_cbranch_scc1 .LBB94_232
; %bb.229:
	s_cmp_lt_i32 s0, 3
	s_cbranch_scc1 .LBB94_233
; %bb.230:
	s_cmp_gt_i32 s0, 3
	s_cbranch_scc0 .LBB94_234
; %bb.231:
	s_wait_loadcnt 0x0
	global_load_b64 v[2:3], v[4:5], off
	s_mov_b32 s1, 0
	s_branch .LBB94_235
.LBB94_232:
	s_mov_b32 s1, -1
                                        ; implicit-def: $vgpr2_vgpr3
	s_branch .LBB94_241
.LBB94_233:
	s_mov_b32 s1, -1
                                        ; implicit-def: $vgpr2_vgpr3
	s_branch .LBB94_238
.LBB94_234:
	s_mov_b32 s1, -1
                                        ; implicit-def: $vgpr2_vgpr3
.LBB94_235:
	s_delay_alu instid0(SALU_CYCLE_1)
	s_and_not1_b32 vcc_lo, exec_lo, s1
	s_cbranch_vccnz .LBB94_237
; %bb.236:
	s_wait_loadcnt 0x0
	global_load_b32 v2, v[4:5], off
	s_wait_loadcnt 0x0
	v_ashrrev_i32_e32 v3, 31, v2
.LBB94_237:
	s_mov_b32 s1, 0
.LBB94_238:
	s_delay_alu instid0(SALU_CYCLE_1)
	s_and_not1_b32 vcc_lo, exec_lo, s1
	s_cbranch_vccnz .LBB94_240
; %bb.239:
	s_wait_loadcnt 0x0
	global_load_u16 v2, v[4:5], off
	s_wait_loadcnt 0x0
	v_bfe_i32 v2, v2, 0, 16
	s_delay_alu instid0(VALU_DEP_1)
	v_ashrrev_i32_e32 v3, 31, v2
.LBB94_240:
	s_mov_b32 s1, 0
.LBB94_241:
	s_delay_alu instid0(SALU_CYCLE_1)
	s_and_not1_b32 vcc_lo, exec_lo, s1
	s_cbranch_vccnz .LBB94_247
; %bb.242:
	s_cmp_gt_i32 s0, 0
	s_mov_b32 s0, 0
	s_cbranch_scc0 .LBB94_244
; %bb.243:
	s_wait_loadcnt 0x0
	global_load_i8 v2, v[4:5], off
	s_wait_loadcnt 0x0
	v_bfe_i32 v2, v2, 0, 16
	s_delay_alu instid0(VALU_DEP_1)
	v_ashrrev_i32_e32 v3, 31, v2
	s_branch .LBB94_245
.LBB94_244:
	s_mov_b32 s0, -1
                                        ; implicit-def: $vgpr2_vgpr3
.LBB94_245:
	s_delay_alu instid0(SALU_CYCLE_1)
	s_and_not1_b32 vcc_lo, exec_lo, s0
	s_cbranch_vccnz .LBB94_247
; %bb.246:
	s_wait_loadcnt 0x0
	global_load_u8 v2, v[4:5], off
	s_mov_b32 s0, 0
	s_delay_alu instid0(SALU_CYCLE_1)
	v_mov_b32_e32 v3, s0
	s_wait_loadcnt 0x0
	v_and_b32_e32 v2, 0xffff, v2
.LBB94_247:
.LBB94_248:
	s_wait_xcnt 0x0
	v_mul_lo_u32 v4, s26, v26
	s_and_b32 s0, s36, 0xff
	s_delay_alu instid0(SALU_CYCLE_1) | instskip(NEXT) | instid1(VALU_DEP_1)
	s_cmp_lt_i32 s0, 11
	v_ashrrev_i32_e32 v5, 31, v4
	s_delay_alu instid0(VALU_DEP_1)
	v_add_nc_u64_e32 v[6:7], s[16:17], v[4:5]
	s_cbranch_scc1 .LBB94_255
; %bb.249:
	s_and_b32 s1, 0xffff, s0
	s_delay_alu instid0(SALU_CYCLE_1)
	s_cmp_gt_i32 s1, 25
	s_cbranch_scc0 .LBB94_256
; %bb.250:
	s_cmp_gt_i32 s1, 28
	s_cbranch_scc0 .LBB94_257
; %bb.251:
	;; [unrolled: 3-line block ×4, first 2 shown]
	s_cmp_eq_u32 s1, 46
	s_mov_b32 s38, 0
	s_cbranch_scc0 .LBB94_260
; %bb.254:
	global_load_b32 v4, v[6:7], off
	s_mov_b32 s31, -1
	s_wait_loadcnt 0x0
	v_lshlrev_b32_e32 v4, 16, v4
	s_delay_alu instid0(VALU_DEP_1) | instskip(NEXT) | instid1(VALU_DEP_1)
	v_trunc_f32_e32 v4, v4
	v_mul_f32_e64 v5, 0x2f800000, |v4|
	s_delay_alu instid0(VALU_DEP_1) | instskip(NEXT) | instid1(VALU_DEP_1)
	v_floor_f32_e32 v5, v5
	v_fma_f32 v8, 0xcf800000, v5, |v4|
	v_ashrrev_i32_e32 v4, 31, v4
	v_cvt_u32_f32_e32 v9, v5
	s_delay_alu instid0(VALU_DEP_3) | instskip(NEXT) | instid1(VALU_DEP_2)
	v_cvt_u32_f32_e32 v8, v8
	v_dual_mov_b32 v5, v4 :: v_dual_bitop2_b32 v9, v9, v4 bitop3:0x14
	s_delay_alu instid0(VALU_DEP_2) | instskip(NEXT) | instid1(VALU_DEP_1)
	v_xor_b32_e32 v8, v8, v4
	v_sub_nc_u64_e32 v[4:5], v[8:9], v[4:5]
	s_branch .LBB94_262
.LBB94_255:
	s_mov_b32 s1, -1
	s_mov_b32 s31, 0
                                        ; implicit-def: $vgpr4_vgpr5
	s_branch .LBB94_323
.LBB94_256:
	s_mov_b32 s38, -1
	s_mov_b32 s31, 0
                                        ; implicit-def: $vgpr4_vgpr5
	s_branch .LBB94_289
.LBB94_257:
	s_mov_b32 s38, -1
	s_mov_b32 s31, 0
                                        ; implicit-def: $vgpr4_vgpr5
	s_branch .LBB94_272
.LBB94_258:
	s_mov_b32 s38, -1
	s_mov_b32 s31, 0
                                        ; implicit-def: $vgpr4_vgpr5
	s_branch .LBB94_267
.LBB94_259:
	s_mov_b32 s38, -1
	s_branch .LBB94_261
.LBB94_260:
	s_mov_b32 s65, -1
.LBB94_261:
	s_mov_b32 s31, 0
                                        ; implicit-def: $vgpr4_vgpr5
.LBB94_262:
	s_and_b32 vcc_lo, exec_lo, s38
	s_cbranch_vccz .LBB94_266
; %bb.263:
	s_cmp_eq_u32 s1, 44
	s_cbranch_scc0 .LBB94_265
; %bb.264:
	global_load_u8 v10, v[6:7], off
	s_mov_b32 s65, 0
	s_mov_b32 s31, -1
	s_wait_loadcnt 0x0
	v_cmp_ne_u32_e32 vcc_lo, 0, v10
	v_lshlrev_b32_e32 v4, 23, v10
	s_delay_alu instid0(VALU_DEP_1) | instskip(NEXT) | instid1(VALU_DEP_1)
	v_trunc_f32_e32 v4, v4
	v_mul_f32_e64 v5, 0x2f800000, |v4|
	s_delay_alu instid0(VALU_DEP_1) | instskip(NEXT) | instid1(VALU_DEP_1)
	v_floor_f32_e32 v5, v5
	v_fma_f32 v8, 0xcf800000, v5, |v4|
	v_ashrrev_i32_e32 v4, 31, v4
	v_cvt_u32_f32_e32 v9, v5
	s_delay_alu instid0(VALU_DEP_3) | instskip(NEXT) | instid1(VALU_DEP_2)
	v_cvt_u32_f32_e32 v8, v8
	v_dual_mov_b32 v5, v4 :: v_dual_bitop2_b32 v9, v9, v4 bitop3:0x14
	s_delay_alu instid0(VALU_DEP_2) | instskip(NEXT) | instid1(VALU_DEP_1)
	v_xor_b32_e32 v8, v8, v4
	v_sub_nc_u64_e32 v[4:5], v[8:9], v[4:5]
	s_delay_alu instid0(VALU_DEP_1)
	v_dual_cndmask_b32 v5, 0, v5 :: v_dual_cndmask_b32 v4, 0, v4
	s_branch .LBB94_266
.LBB94_265:
	s_mov_b32 s65, -1
                                        ; implicit-def: $vgpr4_vgpr5
.LBB94_266:
	s_mov_b32 s38, 0
.LBB94_267:
	s_delay_alu instid0(SALU_CYCLE_1)
	s_and_b32 vcc_lo, exec_lo, s38
	s_cbranch_vccz .LBB94_271
; %bb.268:
	s_cmp_eq_u32 s1, 29
	s_cbranch_scc0 .LBB94_270
; %bb.269:
	global_load_b64 v[4:5], v[6:7], off
	s_mov_b32 s31, -1
	s_mov_b32 s65, 0
	s_branch .LBB94_271
.LBB94_270:
	s_mov_b32 s65, -1
                                        ; implicit-def: $vgpr4_vgpr5
.LBB94_271:
	s_mov_b32 s38, 0
.LBB94_272:
	s_delay_alu instid0(SALU_CYCLE_1)
	s_and_b32 vcc_lo, exec_lo, s38
	s_cbranch_vccz .LBB94_288
; %bb.273:
	s_cmp_lt_i32 s1, 27
	s_cbranch_scc1 .LBB94_276
; %bb.274:
	s_cmp_gt_i32 s1, 27
	s_cbranch_scc0 .LBB94_277
; %bb.275:
	s_wait_loadcnt 0x0
	global_load_b32 v4, v[6:7], off
	v_mov_b32_e32 v5, 0
	s_mov_b32 s31, 0
	s_branch .LBB94_278
.LBB94_276:
	s_mov_b32 s31, -1
                                        ; implicit-def: $vgpr4_vgpr5
	s_branch .LBB94_281
.LBB94_277:
	s_mov_b32 s31, -1
                                        ; implicit-def: $vgpr4_vgpr5
.LBB94_278:
	s_delay_alu instid0(SALU_CYCLE_1)
	s_and_not1_b32 vcc_lo, exec_lo, s31
	s_cbranch_vccnz .LBB94_280
; %bb.279:
	s_wait_loadcnt 0x0
	global_load_u16 v4, v[6:7], off
	s_mov_b32 s31, 0
	s_delay_alu instid0(SALU_CYCLE_1)
	v_mov_b32_e32 v5, s31
	s_wait_loadcnt 0x0
	v_and_b32_e32 v4, 0xffff, v4
.LBB94_280:
	s_mov_b32 s31, 0
.LBB94_281:
	s_delay_alu instid0(SALU_CYCLE_1)
	s_and_not1_b32 vcc_lo, exec_lo, s31
	s_cbranch_vccnz .LBB94_287
; %bb.282:
	global_load_u8 v8, v[6:7], off
	s_mov_b32 s38, 0
	s_mov_b32 s31, exec_lo
	s_wait_loadcnt 0x0
	v_cmpx_lt_i16_e32 0x7f, v8
	s_xor_b32 s31, exec_lo, s31
	s_cbranch_execz .LBB94_299
; %bb.283:
	v_cmp_ne_u16_e32 vcc_lo, 0x80, v8
	s_and_b32 s38, vcc_lo, exec_lo
	s_and_not1_saveexec_b32 s31, s31
	s_cbranch_execnz .LBB94_300
.LBB94_284:
	s_or_b32 exec_lo, exec_lo, s31
	v_mov_b64_e32 v[4:5], 0
	s_and_saveexec_b32 s31, s38
	s_cbranch_execz .LBB94_286
.LBB94_285:
	v_and_b32_e32 v4, 0xffff, v8
	s_delay_alu instid0(VALU_DEP_1) | instskip(SKIP_1) | instid1(VALU_DEP_2)
	v_and_b32_e32 v5, 7, v4
	v_bfe_u32 v11, v4, 3, 4
	v_clz_i32_u32_e32 v9, v5
	s_delay_alu instid0(VALU_DEP_2) | instskip(NEXT) | instid1(VALU_DEP_2)
	v_cmp_eq_u32_e32 vcc_lo, 0, v11
	v_min_u32_e32 v9, 32, v9
	s_delay_alu instid0(VALU_DEP_1) | instskip(NEXT) | instid1(VALU_DEP_1)
	v_subrev_nc_u32_e32 v10, 28, v9
	v_dual_lshlrev_b32 v4, v10, v4 :: v_dual_sub_nc_u32 v9, 29, v9
	s_delay_alu instid0(VALU_DEP_1) | instskip(NEXT) | instid1(VALU_DEP_2)
	v_and_b32_e32 v4, 7, v4
	v_dual_cndmask_b32 v9, v11, v9 :: v_dual_lshlrev_b32 v8, 24, v8
	s_delay_alu instid0(VALU_DEP_2) | instskip(NEXT) | instid1(VALU_DEP_2)
	v_cndmask_b32_e32 v4, v5, v4, vcc_lo
	v_and_b32_e32 v5, 0x80000000, v8
	s_delay_alu instid0(VALU_DEP_3) | instskip(NEXT) | instid1(VALU_DEP_3)
	v_lshl_add_u32 v8, v9, 23, 0x3b800000
	v_lshlrev_b32_e32 v4, 20, v4
	s_delay_alu instid0(VALU_DEP_1) | instskip(NEXT) | instid1(VALU_DEP_1)
	v_or3_b32 v4, v5, v8, v4
	v_trunc_f32_e32 v4, v4
	s_delay_alu instid0(VALU_DEP_1) | instskip(NEXT) | instid1(VALU_DEP_1)
	v_mul_f32_e64 v5, 0x2f800000, |v4|
	v_floor_f32_e32 v5, v5
	s_delay_alu instid0(VALU_DEP_1) | instskip(SKIP_2) | instid1(VALU_DEP_3)
	v_fma_f32 v8, 0xcf800000, v5, |v4|
	v_ashrrev_i32_e32 v4, 31, v4
	v_cvt_u32_f32_e32 v9, v5
	v_cvt_u32_f32_e32 v8, v8
	s_delay_alu instid0(VALU_DEP_2) | instskip(NEXT) | instid1(VALU_DEP_2)
	v_dual_mov_b32 v5, v4 :: v_dual_bitop2_b32 v9, v9, v4 bitop3:0x14
	v_xor_b32_e32 v8, v8, v4
	s_delay_alu instid0(VALU_DEP_1)
	v_sub_nc_u64_e32 v[4:5], v[8:9], v[4:5]
.LBB94_286:
	s_or_b32 exec_lo, exec_lo, s31
.LBB94_287:
	s_mov_b32 s31, -1
.LBB94_288:
	s_mov_b32 s38, 0
.LBB94_289:
	s_delay_alu instid0(SALU_CYCLE_1)
	s_and_b32 vcc_lo, exec_lo, s38
	s_cbranch_vccz .LBB94_322
; %bb.290:
	s_cmp_gt_i32 s1, 22
	s_cbranch_scc0 .LBB94_298
; %bb.291:
	s_cmp_lt_i32 s1, 24
	s_cbranch_scc1 .LBB94_301
; %bb.292:
	s_cmp_gt_i32 s1, 24
	s_cbranch_scc0 .LBB94_302
; %bb.293:
	global_load_u8 v8, v[6:7], off
	s_mov_b32 s38, 0
	s_mov_b32 s31, exec_lo
	s_wait_loadcnt 0x0
	v_cmpx_lt_i16_e32 0x7f, v8
	s_xor_b32 s31, exec_lo, s31
	s_cbranch_execz .LBB94_314
; %bb.294:
	v_cmp_ne_u16_e32 vcc_lo, 0x80, v8
	s_and_b32 s38, vcc_lo, exec_lo
	s_and_not1_saveexec_b32 s31, s31
	s_cbranch_execnz .LBB94_315
.LBB94_295:
	s_or_b32 exec_lo, exec_lo, s31
	v_mov_b64_e32 v[4:5], 0
	s_and_saveexec_b32 s31, s38
	s_cbranch_execz .LBB94_297
.LBB94_296:
	v_and_b32_e32 v4, 0xffff, v8
	s_delay_alu instid0(VALU_DEP_1) | instskip(SKIP_1) | instid1(VALU_DEP_2)
	v_and_b32_e32 v5, 3, v4
	v_bfe_u32 v11, v4, 2, 5
	v_clz_i32_u32_e32 v9, v5
	s_delay_alu instid0(VALU_DEP_2) | instskip(NEXT) | instid1(VALU_DEP_2)
	v_cmp_eq_u32_e32 vcc_lo, 0, v11
	v_min_u32_e32 v9, 32, v9
	s_delay_alu instid0(VALU_DEP_1) | instskip(NEXT) | instid1(VALU_DEP_1)
	v_subrev_nc_u32_e32 v10, 29, v9
	v_dual_lshlrev_b32 v4, v10, v4 :: v_dual_sub_nc_u32 v9, 30, v9
	s_delay_alu instid0(VALU_DEP_1) | instskip(NEXT) | instid1(VALU_DEP_2)
	v_and_b32_e32 v4, 3, v4
	v_dual_cndmask_b32 v9, v11, v9 :: v_dual_lshlrev_b32 v8, 24, v8
	s_delay_alu instid0(VALU_DEP_2) | instskip(NEXT) | instid1(VALU_DEP_2)
	v_cndmask_b32_e32 v4, v5, v4, vcc_lo
	v_and_b32_e32 v5, 0x80000000, v8
	s_delay_alu instid0(VALU_DEP_3) | instskip(NEXT) | instid1(VALU_DEP_3)
	v_lshl_add_u32 v8, v9, 23, 0x37800000
	v_lshlrev_b32_e32 v4, 21, v4
	s_delay_alu instid0(VALU_DEP_1) | instskip(NEXT) | instid1(VALU_DEP_1)
	v_or3_b32 v4, v5, v8, v4
	v_trunc_f32_e32 v4, v4
	s_delay_alu instid0(VALU_DEP_1) | instskip(NEXT) | instid1(VALU_DEP_1)
	v_mul_f32_e64 v5, 0x2f800000, |v4|
	v_floor_f32_e32 v5, v5
	s_delay_alu instid0(VALU_DEP_1) | instskip(SKIP_2) | instid1(VALU_DEP_3)
	v_fma_f32 v8, 0xcf800000, v5, |v4|
	v_ashrrev_i32_e32 v4, 31, v4
	v_cvt_u32_f32_e32 v9, v5
	v_cvt_u32_f32_e32 v8, v8
	s_delay_alu instid0(VALU_DEP_2) | instskip(NEXT) | instid1(VALU_DEP_2)
	v_dual_mov_b32 v5, v4 :: v_dual_bitop2_b32 v9, v9, v4 bitop3:0x14
	v_xor_b32_e32 v8, v8, v4
	s_delay_alu instid0(VALU_DEP_1)
	v_sub_nc_u64_e32 v[4:5], v[8:9], v[4:5]
.LBB94_297:
	s_or_b32 exec_lo, exec_lo, s31
	s_mov_b32 s31, 0
	s_branch .LBB94_303
.LBB94_298:
	s_mov_b32 s38, -1
                                        ; implicit-def: $vgpr4_vgpr5
	s_branch .LBB94_309
.LBB94_299:
	s_and_not1_saveexec_b32 s31, s31
	s_cbranch_execz .LBB94_284
.LBB94_300:
	v_cmp_ne_u16_e32 vcc_lo, 0, v8
	s_and_not1_b32 s38, s38, exec_lo
	s_and_b32 s39, vcc_lo, exec_lo
	s_delay_alu instid0(SALU_CYCLE_1)
	s_or_b32 s38, s38, s39
	s_or_b32 exec_lo, exec_lo, s31
	v_mov_b64_e32 v[4:5], 0
	s_and_saveexec_b32 s31, s38
	s_cbranch_execnz .LBB94_285
	s_branch .LBB94_286
.LBB94_301:
	s_mov_b32 s31, -1
                                        ; implicit-def: $vgpr4_vgpr5
	s_branch .LBB94_306
.LBB94_302:
	s_mov_b32 s31, -1
                                        ; implicit-def: $vgpr4_vgpr5
.LBB94_303:
	s_delay_alu instid0(SALU_CYCLE_1)
	s_and_b32 vcc_lo, exec_lo, s31
	s_cbranch_vccz .LBB94_305
; %bb.304:
	s_wait_loadcnt 0x0
	global_load_u8 v4, v[6:7], off
	s_wait_loadcnt 0x0
	v_lshlrev_b32_e32 v4, 24, v4
	s_delay_alu instid0(VALU_DEP_1) | instskip(NEXT) | instid1(VALU_DEP_1)
	v_and_b32_e32 v5, 0x7f000000, v4
	v_clz_i32_u32_e32 v8, v5
	v_cmp_ne_u32_e32 vcc_lo, 0, v5
	v_add_nc_u32_e32 v10, 0x1000000, v5
	s_delay_alu instid0(VALU_DEP_3) | instskip(NEXT) | instid1(VALU_DEP_1)
	v_min_u32_e32 v8, 32, v8
	v_sub_nc_u32_e64 v8, v8, 4 clamp
	s_delay_alu instid0(VALU_DEP_1) | instskip(NEXT) | instid1(VALU_DEP_1)
	v_dual_lshlrev_b32 v9, v8, v5 :: v_dual_lshlrev_b32 v8, 23, v8
	v_lshrrev_b32_e32 v9, 4, v9
	s_delay_alu instid0(VALU_DEP_1) | instskip(NEXT) | instid1(VALU_DEP_1)
	v_dual_sub_nc_u32 v8, v9, v8 :: v_dual_ashrrev_i32 v9, 8, v10
	v_add_nc_u32_e32 v8, 0x3c000000, v8
	s_delay_alu instid0(VALU_DEP_1) | instskip(NEXT) | instid1(VALU_DEP_1)
	v_and_or_b32 v8, 0x7f800000, v9, v8
	v_cndmask_b32_e32 v5, 0, v8, vcc_lo
	s_delay_alu instid0(VALU_DEP_1) | instskip(NEXT) | instid1(VALU_DEP_1)
	v_and_or_b32 v4, 0x80000000, v4, v5
	v_trunc_f32_e32 v4, v4
	s_delay_alu instid0(VALU_DEP_1) | instskip(NEXT) | instid1(VALU_DEP_1)
	v_mul_f32_e64 v5, 0x2f800000, |v4|
	v_floor_f32_e32 v5, v5
	s_delay_alu instid0(VALU_DEP_1) | instskip(SKIP_2) | instid1(VALU_DEP_3)
	v_fma_f32 v8, 0xcf800000, v5, |v4|
	v_ashrrev_i32_e32 v4, 31, v4
	v_cvt_u32_f32_e32 v9, v5
	v_cvt_u32_f32_e32 v8, v8
	s_delay_alu instid0(VALU_DEP_2) | instskip(NEXT) | instid1(VALU_DEP_2)
	v_dual_mov_b32 v5, v4 :: v_dual_bitop2_b32 v9, v9, v4 bitop3:0x14
	v_xor_b32_e32 v8, v8, v4
	s_delay_alu instid0(VALU_DEP_1)
	v_sub_nc_u64_e32 v[4:5], v[8:9], v[4:5]
.LBB94_305:
	s_mov_b32 s31, 0
.LBB94_306:
	s_delay_alu instid0(SALU_CYCLE_1)
	s_and_not1_b32 vcc_lo, exec_lo, s31
	s_cbranch_vccnz .LBB94_308
; %bb.307:
	s_wait_loadcnt 0x0
	global_load_u8 v4, v[6:7], off
	s_wait_loadcnt 0x0
	v_lshlrev_b32_e32 v5, 25, v4
	v_lshlrev_b16 v4, 8, v4
	s_delay_alu instid0(VALU_DEP_1) | instskip(SKIP_1) | instid1(VALU_DEP_2)
	v_and_or_b32 v9, 0x7f00, v4, 0.5
	v_bfe_i32 v4, v4, 0, 16
	v_add_f32_e32 v9, -0.5, v9
	v_lshrrev_b32_e32 v8, 4, v5
	v_cmp_gt_u32_e32 vcc_lo, 0x8000000, v5
	s_delay_alu instid0(VALU_DEP_2) | instskip(NEXT) | instid1(VALU_DEP_1)
	v_or_b32_e32 v8, 0x70000000, v8
	v_mul_f32_e32 v8, 0x7800000, v8
	s_delay_alu instid0(VALU_DEP_1) | instskip(NEXT) | instid1(VALU_DEP_1)
	v_cndmask_b32_e32 v5, v8, v9, vcc_lo
	v_and_or_b32 v4, 0x80000000, v4, v5
	s_delay_alu instid0(VALU_DEP_1) | instskip(NEXT) | instid1(VALU_DEP_1)
	v_trunc_f32_e32 v4, v4
	v_mul_f32_e64 v5, 0x2f800000, |v4|
	s_delay_alu instid0(VALU_DEP_1) | instskip(NEXT) | instid1(VALU_DEP_1)
	v_floor_f32_e32 v5, v5
	v_fma_f32 v8, 0xcf800000, v5, |v4|
	v_ashrrev_i32_e32 v4, 31, v4
	v_cvt_u32_f32_e32 v9, v5
	s_delay_alu instid0(VALU_DEP_3) | instskip(NEXT) | instid1(VALU_DEP_2)
	v_cvt_u32_f32_e32 v8, v8
	v_dual_mov_b32 v5, v4 :: v_dual_bitop2_b32 v9, v9, v4 bitop3:0x14
	s_delay_alu instid0(VALU_DEP_2) | instskip(NEXT) | instid1(VALU_DEP_1)
	v_xor_b32_e32 v8, v8, v4
	v_sub_nc_u64_e32 v[4:5], v[8:9], v[4:5]
.LBB94_308:
	s_mov_b32 s38, 0
	s_mov_b32 s31, -1
.LBB94_309:
	s_and_not1_b32 vcc_lo, exec_lo, s38
	s_cbranch_vccnz .LBB94_322
; %bb.310:
	s_cmp_gt_i32 s1, 14
	s_cbranch_scc0 .LBB94_313
; %bb.311:
	s_cmp_eq_u32 s1, 15
	s_cbranch_scc0 .LBB94_316
; %bb.312:
	s_wait_loadcnt 0x0
	global_load_u16 v4, v[6:7], off
	s_mov_b32 s31, -1
	s_mov_b32 s65, 0
	s_wait_loadcnt 0x0
	v_lshlrev_b32_e32 v4, 16, v4
	s_delay_alu instid0(VALU_DEP_1) | instskip(NEXT) | instid1(VALU_DEP_1)
	v_trunc_f32_e32 v4, v4
	v_mul_f32_e64 v5, 0x2f800000, |v4|
	s_delay_alu instid0(VALU_DEP_1) | instskip(NEXT) | instid1(VALU_DEP_1)
	v_floor_f32_e32 v5, v5
	v_fma_f32 v8, 0xcf800000, v5, |v4|
	v_ashrrev_i32_e32 v4, 31, v4
	v_cvt_u32_f32_e32 v9, v5
	s_delay_alu instid0(VALU_DEP_3) | instskip(NEXT) | instid1(VALU_DEP_2)
	v_cvt_u32_f32_e32 v8, v8
	v_dual_mov_b32 v5, v4 :: v_dual_bitop2_b32 v9, v9, v4 bitop3:0x14
	s_delay_alu instid0(VALU_DEP_2) | instskip(NEXT) | instid1(VALU_DEP_1)
	v_xor_b32_e32 v8, v8, v4
	v_sub_nc_u64_e32 v[4:5], v[8:9], v[4:5]
	s_branch .LBB94_317
.LBB94_313:
	s_mov_b32 s38, -1
                                        ; implicit-def: $vgpr4_vgpr5
	s_branch .LBB94_318
.LBB94_314:
	s_and_not1_saveexec_b32 s31, s31
	s_cbranch_execz .LBB94_295
.LBB94_315:
	v_cmp_ne_u16_e32 vcc_lo, 0, v8
	s_and_not1_b32 s38, s38, exec_lo
	s_and_b32 s39, vcc_lo, exec_lo
	s_delay_alu instid0(SALU_CYCLE_1)
	s_or_b32 s38, s38, s39
	s_or_b32 exec_lo, exec_lo, s31
	v_mov_b64_e32 v[4:5], 0
	s_and_saveexec_b32 s31, s38
	s_cbranch_execnz .LBB94_296
	s_branch .LBB94_297
.LBB94_316:
	s_mov_b32 s65, -1
                                        ; implicit-def: $vgpr4_vgpr5
.LBB94_317:
	s_mov_b32 s38, 0
.LBB94_318:
	s_delay_alu instid0(SALU_CYCLE_1)
	s_and_b32 vcc_lo, exec_lo, s38
	s_cbranch_vccz .LBB94_322
; %bb.319:
	s_cmp_eq_u32 s1, 11
	s_cbranch_scc0 .LBB94_321
; %bb.320:
	s_wait_loadcnt 0x0
	global_load_u8 v4, v[6:7], off
	s_mov_b32 s65, 0
	s_mov_b32 s31, -1
	v_mov_b32_e32 v5, s65
	s_wait_loadcnt 0x0
	v_cmp_ne_u16_e32 vcc_lo, 0, v4
	v_cndmask_b32_e64 v4, 0, 1, vcc_lo
	s_branch .LBB94_322
.LBB94_321:
	s_mov_b32 s65, -1
                                        ; implicit-def: $vgpr4_vgpr5
.LBB94_322:
	s_mov_b32 s1, 0
.LBB94_323:
	s_delay_alu instid0(SALU_CYCLE_1)
	s_and_b32 vcc_lo, exec_lo, s1
	s_cbranch_vccz .LBB94_372
; %bb.324:
	s_and_b32 s0, 0xffff, s0
	s_delay_alu instid0(SALU_CYCLE_1)
	s_cmp_lt_i32 s0, 5
	s_cbranch_scc1 .LBB94_329
; %bb.325:
	s_cmp_lt_i32 s0, 8
	s_cbranch_scc1 .LBB94_330
; %bb.326:
	;; [unrolled: 3-line block ×3, first 2 shown]
	s_cmp_gt_i32 s0, 9
	s_cbranch_scc0 .LBB94_332
; %bb.328:
	s_wait_loadcnt 0x0
	global_load_b64 v[4:5], v[6:7], off
	s_mov_b32 s1, 0
	s_wait_loadcnt 0x0
	v_trunc_f64_e32 v[4:5], v[4:5]
	s_delay_alu instid0(VALU_DEP_1) | instskip(NEXT) | instid1(VALU_DEP_1)
	v_ldexp_f64 v[8:9], v[4:5], 0xffffffe0
	v_floor_f64_e32 v[8:9], v[8:9]
	s_delay_alu instid0(VALU_DEP_1) | instskip(SKIP_1) | instid1(VALU_DEP_2)
	v_fmamk_f64 v[10:11], v[8:9], 0xc1f00000, v[4:5]
	v_cvt_i32_f64_e32 v5, v[8:9]
	v_cvt_u32_f64_e32 v4, v[10:11]
	s_branch .LBB94_333
.LBB94_329:
	s_mov_b32 s1, -1
                                        ; implicit-def: $vgpr4_vgpr5
	s_branch .LBB94_351
.LBB94_330:
	s_mov_b32 s1, -1
                                        ; implicit-def: $vgpr4_vgpr5
	s_branch .LBB94_339
.LBB94_331:
	s_mov_b32 s1, -1
                                        ; implicit-def: $vgpr4_vgpr5
	s_branch .LBB94_336
.LBB94_332:
	s_mov_b32 s1, -1
                                        ; implicit-def: $vgpr4_vgpr5
.LBB94_333:
	s_delay_alu instid0(SALU_CYCLE_1)
	s_and_not1_b32 vcc_lo, exec_lo, s1
	s_cbranch_vccnz .LBB94_335
; %bb.334:
	s_wait_loadcnt 0x0
	global_load_b32 v4, v[6:7], off
	s_wait_loadcnt 0x0
	v_trunc_f32_e32 v4, v4
	s_delay_alu instid0(VALU_DEP_1) | instskip(NEXT) | instid1(VALU_DEP_1)
	v_mul_f32_e64 v5, 0x2f800000, |v4|
	v_floor_f32_e32 v5, v5
	s_delay_alu instid0(VALU_DEP_1) | instskip(SKIP_2) | instid1(VALU_DEP_3)
	v_fma_f32 v8, 0xcf800000, v5, |v4|
	v_ashrrev_i32_e32 v4, 31, v4
	v_cvt_u32_f32_e32 v9, v5
	v_cvt_u32_f32_e32 v8, v8
	s_delay_alu instid0(VALU_DEP_2) | instskip(NEXT) | instid1(VALU_DEP_2)
	v_dual_mov_b32 v5, v4 :: v_dual_bitop2_b32 v9, v9, v4 bitop3:0x14
	v_xor_b32_e32 v8, v8, v4
	s_delay_alu instid0(VALU_DEP_1)
	v_sub_nc_u64_e32 v[4:5], v[8:9], v[4:5]
.LBB94_335:
	s_mov_b32 s1, 0
.LBB94_336:
	s_delay_alu instid0(SALU_CYCLE_1)
	s_and_not1_b32 vcc_lo, exec_lo, s1
	s_cbranch_vccnz .LBB94_338
; %bb.337:
	s_wait_loadcnt 0x0
	global_load_b32 v4, v[6:7], off
	s_wait_loadcnt 0x0
	v_cvt_f32_f16_e32 v4, v4
	s_delay_alu instid0(VALU_DEP_1) | instskip(NEXT) | instid1(VALU_DEP_1)
	v_cvt_i32_f32_e32 v4, v4
	v_ashrrev_i32_e32 v5, 31, v4
.LBB94_338:
	s_mov_b32 s1, 0
.LBB94_339:
	s_delay_alu instid0(SALU_CYCLE_1)
	s_and_not1_b32 vcc_lo, exec_lo, s1
	s_cbranch_vccnz .LBB94_350
; %bb.340:
	s_cmp_lt_i32 s0, 6
	s_cbranch_scc1 .LBB94_343
; %bb.341:
	s_cmp_gt_i32 s0, 6
	s_cbranch_scc0 .LBB94_344
; %bb.342:
	s_wait_loadcnt 0x0
	global_load_b64 v[4:5], v[6:7], off
	s_mov_b32 s1, 0
	s_wait_loadcnt 0x0
	v_trunc_f64_e32 v[4:5], v[4:5]
	s_delay_alu instid0(VALU_DEP_1) | instskip(NEXT) | instid1(VALU_DEP_1)
	v_ldexp_f64 v[8:9], v[4:5], 0xffffffe0
	v_floor_f64_e32 v[8:9], v[8:9]
	s_delay_alu instid0(VALU_DEP_1) | instskip(SKIP_1) | instid1(VALU_DEP_2)
	v_fmamk_f64 v[10:11], v[8:9], 0xc1f00000, v[4:5]
	v_cvt_i32_f64_e32 v5, v[8:9]
	v_cvt_u32_f64_e32 v4, v[10:11]
	s_branch .LBB94_345
.LBB94_343:
	s_mov_b32 s1, -1
                                        ; implicit-def: $vgpr4_vgpr5
	s_branch .LBB94_348
.LBB94_344:
	s_mov_b32 s1, -1
                                        ; implicit-def: $vgpr4_vgpr5
.LBB94_345:
	s_delay_alu instid0(SALU_CYCLE_1)
	s_and_not1_b32 vcc_lo, exec_lo, s1
	s_cbranch_vccnz .LBB94_347
; %bb.346:
	s_wait_loadcnt 0x0
	global_load_b32 v4, v[6:7], off
	s_wait_loadcnt 0x0
	v_trunc_f32_e32 v4, v4
	s_delay_alu instid0(VALU_DEP_1) | instskip(NEXT) | instid1(VALU_DEP_1)
	v_mul_f32_e64 v5, 0x2f800000, |v4|
	v_floor_f32_e32 v5, v5
	s_delay_alu instid0(VALU_DEP_1) | instskip(SKIP_2) | instid1(VALU_DEP_3)
	v_fma_f32 v8, 0xcf800000, v5, |v4|
	v_ashrrev_i32_e32 v4, 31, v4
	v_cvt_u32_f32_e32 v9, v5
	v_cvt_u32_f32_e32 v8, v8
	s_delay_alu instid0(VALU_DEP_2) | instskip(NEXT) | instid1(VALU_DEP_2)
	v_dual_mov_b32 v5, v4 :: v_dual_bitop2_b32 v9, v9, v4 bitop3:0x14
	v_xor_b32_e32 v8, v8, v4
	s_delay_alu instid0(VALU_DEP_1)
	v_sub_nc_u64_e32 v[4:5], v[8:9], v[4:5]
.LBB94_347:
	s_mov_b32 s1, 0
.LBB94_348:
	s_delay_alu instid0(SALU_CYCLE_1)
	s_and_not1_b32 vcc_lo, exec_lo, s1
	s_cbranch_vccnz .LBB94_350
; %bb.349:
	s_wait_loadcnt 0x0
	global_load_u16 v4, v[6:7], off
	s_wait_loadcnt 0x0
	v_cvt_f32_f16_e32 v4, v4
	s_delay_alu instid0(VALU_DEP_1) | instskip(NEXT) | instid1(VALU_DEP_1)
	v_cvt_i32_f32_e32 v4, v4
	v_ashrrev_i32_e32 v5, 31, v4
.LBB94_350:
	s_mov_b32 s1, 0
.LBB94_351:
	s_delay_alu instid0(SALU_CYCLE_1)
	s_and_not1_b32 vcc_lo, exec_lo, s1
	s_cbranch_vccnz .LBB94_371
; %bb.352:
	s_cmp_lt_i32 s0, 2
	s_cbranch_scc1 .LBB94_356
; %bb.353:
	s_cmp_lt_i32 s0, 3
	s_cbranch_scc1 .LBB94_357
; %bb.354:
	s_cmp_gt_i32 s0, 3
	s_cbranch_scc0 .LBB94_358
; %bb.355:
	s_wait_loadcnt 0x0
	global_load_b64 v[4:5], v[6:7], off
	s_mov_b32 s1, 0
	s_branch .LBB94_359
.LBB94_356:
	s_mov_b32 s1, -1
                                        ; implicit-def: $vgpr4_vgpr5
	s_branch .LBB94_365
.LBB94_357:
	s_mov_b32 s1, -1
                                        ; implicit-def: $vgpr4_vgpr5
	s_branch .LBB94_362
.LBB94_358:
	s_mov_b32 s1, -1
                                        ; implicit-def: $vgpr4_vgpr5
.LBB94_359:
	s_delay_alu instid0(SALU_CYCLE_1)
	s_and_not1_b32 vcc_lo, exec_lo, s1
	s_cbranch_vccnz .LBB94_361
; %bb.360:
	s_wait_loadcnt 0x0
	global_load_b32 v4, v[6:7], off
	s_wait_loadcnt 0x0
	v_ashrrev_i32_e32 v5, 31, v4
.LBB94_361:
	s_mov_b32 s1, 0
.LBB94_362:
	s_delay_alu instid0(SALU_CYCLE_1)
	s_and_not1_b32 vcc_lo, exec_lo, s1
	s_cbranch_vccnz .LBB94_364
; %bb.363:
	s_wait_loadcnt 0x0
	global_load_u16 v4, v[6:7], off
	s_wait_loadcnt 0x0
	v_bfe_i32 v4, v4, 0, 16
	s_delay_alu instid0(VALU_DEP_1)
	v_ashrrev_i32_e32 v5, 31, v4
.LBB94_364:
	s_mov_b32 s1, 0
.LBB94_365:
	s_delay_alu instid0(SALU_CYCLE_1)
	s_and_not1_b32 vcc_lo, exec_lo, s1
	s_cbranch_vccnz .LBB94_371
; %bb.366:
	s_cmp_gt_i32 s0, 0
	s_mov_b32 s0, 0
	s_cbranch_scc0 .LBB94_368
; %bb.367:
	s_wait_loadcnt 0x0
	global_load_i8 v4, v[6:7], off
	s_wait_loadcnt 0x0
	v_bfe_i32 v4, v4, 0, 16
	s_delay_alu instid0(VALU_DEP_1)
	v_ashrrev_i32_e32 v5, 31, v4
	s_branch .LBB94_369
.LBB94_368:
	s_mov_b32 s0, -1
                                        ; implicit-def: $vgpr4_vgpr5
.LBB94_369:
	s_delay_alu instid0(SALU_CYCLE_1)
	s_and_not1_b32 vcc_lo, exec_lo, s0
	s_cbranch_vccnz .LBB94_371
; %bb.370:
	s_wait_loadcnt 0x0
	global_load_u8 v4, v[6:7], off
	s_mov_b32 s0, 0
	s_delay_alu instid0(SALU_CYCLE_1)
	v_mov_b32_e32 v5, s0
	s_wait_loadcnt 0x0
	v_and_b32_e32 v4, 0xffff, v4
.LBB94_371:
	s_mov_b32 s31, -1
.LBB94_372:
	s_delay_alu instid0(SALU_CYCLE_1)
	s_and_not1_b32 vcc_lo, exec_lo, s31
	s_cbranch_vccnz .LBB94_628
; %bb.373:
	s_wait_xcnt 0x0
	v_mul_lo_u32 v6, s27, v26
	s_and_b32 s0, s23, 0xff
	s_delay_alu instid0(SALU_CYCLE_1) | instskip(NEXT) | instid1(VALU_DEP_1)
	s_cmp_lt_i32 s0, 11
	v_ashrrev_i32_e32 v7, 31, v6
	s_delay_alu instid0(VALU_DEP_1)
	v_add_nc_u64_e32 v[8:9], s[18:19], v[6:7]
	s_cbranch_scc1 .LBB94_380
; %bb.374:
	s_and_b32 s1, 0xffff, s0
	s_delay_alu instid0(SALU_CYCLE_1)
	s_cmp_gt_i32 s1, 25
	s_cbranch_scc0 .LBB94_381
; %bb.375:
	s_cmp_gt_i32 s1, 28
	s_cbranch_scc0 .LBB94_382
; %bb.376:
	;; [unrolled: 3-line block ×4, first 2 shown]
	s_cmp_eq_u32 s1, 46
	s_mov_b32 s38, 0
	s_cbranch_scc0 .LBB94_385
; %bb.379:
	global_load_b32 v6, v[8:9], off
	s_mov_b32 s31, -1
	s_wait_loadcnt 0x0
	v_lshlrev_b32_e32 v6, 16, v6
	s_delay_alu instid0(VALU_DEP_1) | instskip(NEXT) | instid1(VALU_DEP_1)
	v_trunc_f32_e32 v6, v6
	v_mul_f32_e64 v7, 0x2f800000, |v6|
	s_delay_alu instid0(VALU_DEP_1) | instskip(NEXT) | instid1(VALU_DEP_1)
	v_floor_f32_e32 v7, v7
	v_fma_f32 v10, 0xcf800000, v7, |v6|
	v_ashrrev_i32_e32 v6, 31, v6
	v_cvt_u32_f32_e32 v11, v7
	s_delay_alu instid0(VALU_DEP_3) | instskip(NEXT) | instid1(VALU_DEP_2)
	v_cvt_u32_f32_e32 v10, v10
	v_dual_mov_b32 v7, v6 :: v_dual_bitop2_b32 v11, v11, v6 bitop3:0x14
	s_delay_alu instid0(VALU_DEP_2) | instskip(NEXT) | instid1(VALU_DEP_1)
	v_xor_b32_e32 v10, v10, v6
	v_sub_nc_u64_e32 v[6:7], v[10:11], v[6:7]
	s_branch .LBB94_387
.LBB94_380:
	s_mov_b32 s1, -1
	s_mov_b32 s31, 0
                                        ; implicit-def: $vgpr6_vgpr7
	s_branch .LBB94_448
.LBB94_381:
	s_mov_b32 s38, -1
	s_mov_b32 s31, 0
                                        ; implicit-def: $vgpr6_vgpr7
	s_branch .LBB94_414
.LBB94_382:
	s_mov_b32 s38, -1
	s_mov_b32 s31, 0
                                        ; implicit-def: $vgpr6_vgpr7
	s_branch .LBB94_397
.LBB94_383:
	s_mov_b32 s38, -1
	s_mov_b32 s31, 0
                                        ; implicit-def: $vgpr6_vgpr7
	s_branch .LBB94_392
.LBB94_384:
	s_mov_b32 s38, -1
	s_branch .LBB94_386
.LBB94_385:
	s_mov_b32 s64, -1
.LBB94_386:
	s_mov_b32 s31, 0
                                        ; implicit-def: $vgpr6_vgpr7
.LBB94_387:
	s_and_b32 vcc_lo, exec_lo, s38
	s_cbranch_vccz .LBB94_391
; %bb.388:
	s_cmp_eq_u32 s1, 44
	s_cbranch_scc0 .LBB94_390
; %bb.389:
	global_load_u8 v12, v[8:9], off
	s_mov_b32 s64, 0
	s_mov_b32 s31, -1
	s_wait_loadcnt 0x0
	v_cmp_ne_u32_e32 vcc_lo, 0, v12
	v_lshlrev_b32_e32 v6, 23, v12
	s_delay_alu instid0(VALU_DEP_1) | instskip(NEXT) | instid1(VALU_DEP_1)
	v_trunc_f32_e32 v6, v6
	v_mul_f32_e64 v7, 0x2f800000, |v6|
	s_delay_alu instid0(VALU_DEP_1) | instskip(NEXT) | instid1(VALU_DEP_1)
	v_floor_f32_e32 v7, v7
	v_fma_f32 v10, 0xcf800000, v7, |v6|
	v_ashrrev_i32_e32 v6, 31, v6
	v_cvt_u32_f32_e32 v11, v7
	s_delay_alu instid0(VALU_DEP_3) | instskip(NEXT) | instid1(VALU_DEP_2)
	v_cvt_u32_f32_e32 v10, v10
	v_dual_mov_b32 v7, v6 :: v_dual_bitop2_b32 v11, v11, v6 bitop3:0x14
	s_delay_alu instid0(VALU_DEP_2) | instskip(NEXT) | instid1(VALU_DEP_1)
	v_xor_b32_e32 v10, v10, v6
	v_sub_nc_u64_e32 v[6:7], v[10:11], v[6:7]
	s_delay_alu instid0(VALU_DEP_1)
	v_dual_cndmask_b32 v7, 0, v7 :: v_dual_cndmask_b32 v6, 0, v6
	s_branch .LBB94_391
.LBB94_390:
	s_mov_b32 s64, -1
                                        ; implicit-def: $vgpr6_vgpr7
.LBB94_391:
	s_mov_b32 s38, 0
.LBB94_392:
	s_delay_alu instid0(SALU_CYCLE_1)
	s_and_b32 vcc_lo, exec_lo, s38
	s_cbranch_vccz .LBB94_396
; %bb.393:
	s_cmp_eq_u32 s1, 29
	s_cbranch_scc0 .LBB94_395
; %bb.394:
	global_load_b64 v[6:7], v[8:9], off
	s_mov_b32 s31, -1
	s_mov_b32 s64, 0
	s_branch .LBB94_396
.LBB94_395:
	s_mov_b32 s64, -1
                                        ; implicit-def: $vgpr6_vgpr7
.LBB94_396:
	s_mov_b32 s38, 0
.LBB94_397:
	s_delay_alu instid0(SALU_CYCLE_1)
	s_and_b32 vcc_lo, exec_lo, s38
	s_cbranch_vccz .LBB94_413
; %bb.398:
	s_cmp_lt_i32 s1, 27
	s_cbranch_scc1 .LBB94_401
; %bb.399:
	s_cmp_gt_i32 s1, 27
	s_cbranch_scc0 .LBB94_402
; %bb.400:
	s_wait_loadcnt 0x0
	global_load_b32 v6, v[8:9], off
	v_mov_b32_e32 v7, 0
	s_mov_b32 s31, 0
	s_branch .LBB94_403
.LBB94_401:
	s_mov_b32 s31, -1
                                        ; implicit-def: $vgpr6_vgpr7
	s_branch .LBB94_406
.LBB94_402:
	s_mov_b32 s31, -1
                                        ; implicit-def: $vgpr6_vgpr7
.LBB94_403:
	s_delay_alu instid0(SALU_CYCLE_1)
	s_and_not1_b32 vcc_lo, exec_lo, s31
	s_cbranch_vccnz .LBB94_405
; %bb.404:
	s_wait_loadcnt 0x0
	global_load_u16 v6, v[8:9], off
	s_mov_b32 s31, 0
	s_delay_alu instid0(SALU_CYCLE_1)
	v_mov_b32_e32 v7, s31
	s_wait_loadcnt 0x0
	v_and_b32_e32 v6, 0xffff, v6
.LBB94_405:
	s_mov_b32 s31, 0
.LBB94_406:
	s_delay_alu instid0(SALU_CYCLE_1)
	s_and_not1_b32 vcc_lo, exec_lo, s31
	s_cbranch_vccnz .LBB94_412
; %bb.407:
	global_load_u8 v10, v[8:9], off
	s_mov_b32 s38, 0
	s_mov_b32 s31, exec_lo
	s_wait_loadcnt 0x0
	v_cmpx_lt_i16_e32 0x7f, v10
	s_xor_b32 s31, exec_lo, s31
	s_cbranch_execz .LBB94_424
; %bb.408:
	v_cmp_ne_u16_e32 vcc_lo, 0x80, v10
	s_and_b32 s38, vcc_lo, exec_lo
	s_and_not1_saveexec_b32 s31, s31
	s_cbranch_execnz .LBB94_425
.LBB94_409:
	s_or_b32 exec_lo, exec_lo, s31
	v_mov_b64_e32 v[6:7], 0
	s_and_saveexec_b32 s31, s38
	s_cbranch_execz .LBB94_411
.LBB94_410:
	v_and_b32_e32 v6, 0xffff, v10
	s_delay_alu instid0(VALU_DEP_1) | instskip(SKIP_1) | instid1(VALU_DEP_2)
	v_and_b32_e32 v7, 7, v6
	v_bfe_u32 v13, v6, 3, 4
	v_clz_i32_u32_e32 v11, v7
	s_delay_alu instid0(VALU_DEP_2) | instskip(NEXT) | instid1(VALU_DEP_2)
	v_cmp_eq_u32_e32 vcc_lo, 0, v13
	v_min_u32_e32 v11, 32, v11
	s_delay_alu instid0(VALU_DEP_1) | instskip(NEXT) | instid1(VALU_DEP_1)
	v_subrev_nc_u32_e32 v12, 28, v11
	v_dual_lshlrev_b32 v6, v12, v6 :: v_dual_sub_nc_u32 v11, 29, v11
	s_delay_alu instid0(VALU_DEP_1) | instskip(NEXT) | instid1(VALU_DEP_2)
	v_and_b32_e32 v6, 7, v6
	v_dual_cndmask_b32 v11, v13, v11 :: v_dual_lshlrev_b32 v10, 24, v10
	s_delay_alu instid0(VALU_DEP_2) | instskip(NEXT) | instid1(VALU_DEP_2)
	v_cndmask_b32_e32 v6, v7, v6, vcc_lo
	v_and_b32_e32 v7, 0x80000000, v10
	s_delay_alu instid0(VALU_DEP_3) | instskip(NEXT) | instid1(VALU_DEP_3)
	v_lshl_add_u32 v10, v11, 23, 0x3b800000
	v_lshlrev_b32_e32 v6, 20, v6
	s_delay_alu instid0(VALU_DEP_1) | instskip(NEXT) | instid1(VALU_DEP_1)
	v_or3_b32 v6, v7, v10, v6
	v_trunc_f32_e32 v6, v6
	s_delay_alu instid0(VALU_DEP_1) | instskip(NEXT) | instid1(VALU_DEP_1)
	v_mul_f32_e64 v7, 0x2f800000, |v6|
	v_floor_f32_e32 v7, v7
	s_delay_alu instid0(VALU_DEP_1) | instskip(SKIP_2) | instid1(VALU_DEP_3)
	v_fma_f32 v10, 0xcf800000, v7, |v6|
	v_ashrrev_i32_e32 v6, 31, v6
	v_cvt_u32_f32_e32 v11, v7
	v_cvt_u32_f32_e32 v10, v10
	s_delay_alu instid0(VALU_DEP_2) | instskip(NEXT) | instid1(VALU_DEP_2)
	v_dual_mov_b32 v7, v6 :: v_dual_bitop2_b32 v11, v11, v6 bitop3:0x14
	v_xor_b32_e32 v10, v10, v6
	s_delay_alu instid0(VALU_DEP_1)
	v_sub_nc_u64_e32 v[6:7], v[10:11], v[6:7]
.LBB94_411:
	s_or_b32 exec_lo, exec_lo, s31
.LBB94_412:
	s_mov_b32 s31, -1
.LBB94_413:
	s_mov_b32 s38, 0
.LBB94_414:
	s_delay_alu instid0(SALU_CYCLE_1)
	s_and_b32 vcc_lo, exec_lo, s38
	s_cbranch_vccz .LBB94_447
; %bb.415:
	s_cmp_gt_i32 s1, 22
	s_cbranch_scc0 .LBB94_423
; %bb.416:
	s_cmp_lt_i32 s1, 24
	s_cbranch_scc1 .LBB94_426
; %bb.417:
	s_cmp_gt_i32 s1, 24
	s_cbranch_scc0 .LBB94_427
; %bb.418:
	global_load_u8 v10, v[8:9], off
	s_mov_b32 s38, 0
	s_mov_b32 s31, exec_lo
	s_wait_loadcnt 0x0
	v_cmpx_lt_i16_e32 0x7f, v10
	s_xor_b32 s31, exec_lo, s31
	s_cbranch_execz .LBB94_439
; %bb.419:
	v_cmp_ne_u16_e32 vcc_lo, 0x80, v10
	s_and_b32 s38, vcc_lo, exec_lo
	s_and_not1_saveexec_b32 s31, s31
	s_cbranch_execnz .LBB94_440
.LBB94_420:
	s_or_b32 exec_lo, exec_lo, s31
	v_mov_b64_e32 v[6:7], 0
	s_and_saveexec_b32 s31, s38
	s_cbranch_execz .LBB94_422
.LBB94_421:
	v_and_b32_e32 v6, 0xffff, v10
	s_delay_alu instid0(VALU_DEP_1) | instskip(SKIP_1) | instid1(VALU_DEP_2)
	v_and_b32_e32 v7, 3, v6
	v_bfe_u32 v13, v6, 2, 5
	v_clz_i32_u32_e32 v11, v7
	s_delay_alu instid0(VALU_DEP_2) | instskip(NEXT) | instid1(VALU_DEP_2)
	v_cmp_eq_u32_e32 vcc_lo, 0, v13
	v_min_u32_e32 v11, 32, v11
	s_delay_alu instid0(VALU_DEP_1) | instskip(NEXT) | instid1(VALU_DEP_1)
	v_subrev_nc_u32_e32 v12, 29, v11
	v_dual_lshlrev_b32 v6, v12, v6 :: v_dual_sub_nc_u32 v11, 30, v11
	s_delay_alu instid0(VALU_DEP_1) | instskip(NEXT) | instid1(VALU_DEP_2)
	v_and_b32_e32 v6, 3, v6
	v_dual_cndmask_b32 v11, v13, v11 :: v_dual_lshlrev_b32 v10, 24, v10
	s_delay_alu instid0(VALU_DEP_2) | instskip(NEXT) | instid1(VALU_DEP_2)
	v_cndmask_b32_e32 v6, v7, v6, vcc_lo
	v_and_b32_e32 v7, 0x80000000, v10
	s_delay_alu instid0(VALU_DEP_3) | instskip(NEXT) | instid1(VALU_DEP_3)
	v_lshl_add_u32 v10, v11, 23, 0x37800000
	v_lshlrev_b32_e32 v6, 21, v6
	s_delay_alu instid0(VALU_DEP_1) | instskip(NEXT) | instid1(VALU_DEP_1)
	v_or3_b32 v6, v7, v10, v6
	v_trunc_f32_e32 v6, v6
	s_delay_alu instid0(VALU_DEP_1) | instskip(NEXT) | instid1(VALU_DEP_1)
	v_mul_f32_e64 v7, 0x2f800000, |v6|
	v_floor_f32_e32 v7, v7
	s_delay_alu instid0(VALU_DEP_1) | instskip(SKIP_2) | instid1(VALU_DEP_3)
	v_fma_f32 v10, 0xcf800000, v7, |v6|
	v_ashrrev_i32_e32 v6, 31, v6
	v_cvt_u32_f32_e32 v11, v7
	v_cvt_u32_f32_e32 v10, v10
	s_delay_alu instid0(VALU_DEP_2) | instskip(NEXT) | instid1(VALU_DEP_2)
	v_dual_mov_b32 v7, v6 :: v_dual_bitop2_b32 v11, v11, v6 bitop3:0x14
	v_xor_b32_e32 v10, v10, v6
	s_delay_alu instid0(VALU_DEP_1)
	v_sub_nc_u64_e32 v[6:7], v[10:11], v[6:7]
.LBB94_422:
	s_or_b32 exec_lo, exec_lo, s31
	s_mov_b32 s31, 0
	s_branch .LBB94_428
.LBB94_423:
	s_mov_b32 s38, -1
                                        ; implicit-def: $vgpr6_vgpr7
	s_branch .LBB94_434
.LBB94_424:
	s_and_not1_saveexec_b32 s31, s31
	s_cbranch_execz .LBB94_409
.LBB94_425:
	v_cmp_ne_u16_e32 vcc_lo, 0, v10
	s_and_not1_b32 s38, s38, exec_lo
	s_and_b32 s39, vcc_lo, exec_lo
	s_delay_alu instid0(SALU_CYCLE_1)
	s_or_b32 s38, s38, s39
	s_or_b32 exec_lo, exec_lo, s31
	v_mov_b64_e32 v[6:7], 0
	s_and_saveexec_b32 s31, s38
	s_cbranch_execnz .LBB94_410
	s_branch .LBB94_411
.LBB94_426:
	s_mov_b32 s31, -1
                                        ; implicit-def: $vgpr6_vgpr7
	s_branch .LBB94_431
.LBB94_427:
	s_mov_b32 s31, -1
                                        ; implicit-def: $vgpr6_vgpr7
.LBB94_428:
	s_delay_alu instid0(SALU_CYCLE_1)
	s_and_b32 vcc_lo, exec_lo, s31
	s_cbranch_vccz .LBB94_430
; %bb.429:
	s_wait_loadcnt 0x0
	global_load_u8 v6, v[8:9], off
	s_wait_loadcnt 0x0
	v_lshlrev_b32_e32 v6, 24, v6
	s_delay_alu instid0(VALU_DEP_1) | instskip(NEXT) | instid1(VALU_DEP_1)
	v_and_b32_e32 v7, 0x7f000000, v6
	v_clz_i32_u32_e32 v10, v7
	v_cmp_ne_u32_e32 vcc_lo, 0, v7
	v_add_nc_u32_e32 v12, 0x1000000, v7
	s_delay_alu instid0(VALU_DEP_3) | instskip(NEXT) | instid1(VALU_DEP_1)
	v_min_u32_e32 v10, 32, v10
	v_sub_nc_u32_e64 v10, v10, 4 clamp
	s_delay_alu instid0(VALU_DEP_1) | instskip(NEXT) | instid1(VALU_DEP_1)
	v_dual_lshlrev_b32 v11, v10, v7 :: v_dual_lshlrev_b32 v10, 23, v10
	v_lshrrev_b32_e32 v11, 4, v11
	s_delay_alu instid0(VALU_DEP_1) | instskip(NEXT) | instid1(VALU_DEP_1)
	v_dual_sub_nc_u32 v10, v11, v10 :: v_dual_ashrrev_i32 v11, 8, v12
	v_add_nc_u32_e32 v10, 0x3c000000, v10
	s_delay_alu instid0(VALU_DEP_1) | instskip(NEXT) | instid1(VALU_DEP_1)
	v_and_or_b32 v10, 0x7f800000, v11, v10
	v_cndmask_b32_e32 v7, 0, v10, vcc_lo
	s_delay_alu instid0(VALU_DEP_1) | instskip(NEXT) | instid1(VALU_DEP_1)
	v_and_or_b32 v6, 0x80000000, v6, v7
	v_trunc_f32_e32 v6, v6
	s_delay_alu instid0(VALU_DEP_1) | instskip(NEXT) | instid1(VALU_DEP_1)
	v_mul_f32_e64 v7, 0x2f800000, |v6|
	v_floor_f32_e32 v7, v7
	s_delay_alu instid0(VALU_DEP_1) | instskip(SKIP_2) | instid1(VALU_DEP_3)
	v_fma_f32 v10, 0xcf800000, v7, |v6|
	v_ashrrev_i32_e32 v6, 31, v6
	v_cvt_u32_f32_e32 v11, v7
	v_cvt_u32_f32_e32 v10, v10
	s_delay_alu instid0(VALU_DEP_2) | instskip(NEXT) | instid1(VALU_DEP_2)
	v_dual_mov_b32 v7, v6 :: v_dual_bitop2_b32 v11, v11, v6 bitop3:0x14
	v_xor_b32_e32 v10, v10, v6
	s_delay_alu instid0(VALU_DEP_1)
	v_sub_nc_u64_e32 v[6:7], v[10:11], v[6:7]
.LBB94_430:
	s_mov_b32 s31, 0
.LBB94_431:
	s_delay_alu instid0(SALU_CYCLE_1)
	s_and_not1_b32 vcc_lo, exec_lo, s31
	s_cbranch_vccnz .LBB94_433
; %bb.432:
	s_wait_loadcnt 0x0
	global_load_u8 v6, v[8:9], off
	s_wait_loadcnt 0x0
	v_lshlrev_b32_e32 v7, 25, v6
	v_lshlrev_b16 v6, 8, v6
	s_delay_alu instid0(VALU_DEP_1) | instskip(SKIP_1) | instid1(VALU_DEP_2)
	v_and_or_b32 v11, 0x7f00, v6, 0.5
	v_bfe_i32 v6, v6, 0, 16
	v_add_f32_e32 v11, -0.5, v11
	v_lshrrev_b32_e32 v10, 4, v7
	v_cmp_gt_u32_e32 vcc_lo, 0x8000000, v7
	s_delay_alu instid0(VALU_DEP_2) | instskip(NEXT) | instid1(VALU_DEP_1)
	v_or_b32_e32 v10, 0x70000000, v10
	v_mul_f32_e32 v10, 0x7800000, v10
	s_delay_alu instid0(VALU_DEP_1) | instskip(NEXT) | instid1(VALU_DEP_1)
	v_cndmask_b32_e32 v7, v10, v11, vcc_lo
	v_and_or_b32 v6, 0x80000000, v6, v7
	s_delay_alu instid0(VALU_DEP_1) | instskip(NEXT) | instid1(VALU_DEP_1)
	v_trunc_f32_e32 v6, v6
	v_mul_f32_e64 v7, 0x2f800000, |v6|
	s_delay_alu instid0(VALU_DEP_1) | instskip(NEXT) | instid1(VALU_DEP_1)
	v_floor_f32_e32 v7, v7
	v_fma_f32 v10, 0xcf800000, v7, |v6|
	v_ashrrev_i32_e32 v6, 31, v6
	v_cvt_u32_f32_e32 v11, v7
	s_delay_alu instid0(VALU_DEP_3) | instskip(NEXT) | instid1(VALU_DEP_2)
	v_cvt_u32_f32_e32 v10, v10
	v_dual_mov_b32 v7, v6 :: v_dual_bitop2_b32 v11, v11, v6 bitop3:0x14
	s_delay_alu instid0(VALU_DEP_2) | instskip(NEXT) | instid1(VALU_DEP_1)
	v_xor_b32_e32 v10, v10, v6
	v_sub_nc_u64_e32 v[6:7], v[10:11], v[6:7]
.LBB94_433:
	s_mov_b32 s38, 0
	s_mov_b32 s31, -1
.LBB94_434:
	s_and_not1_b32 vcc_lo, exec_lo, s38
	s_cbranch_vccnz .LBB94_447
; %bb.435:
	s_cmp_gt_i32 s1, 14
	s_cbranch_scc0 .LBB94_438
; %bb.436:
	s_cmp_eq_u32 s1, 15
	s_cbranch_scc0 .LBB94_441
; %bb.437:
	s_wait_loadcnt 0x0
	global_load_u16 v6, v[8:9], off
	s_mov_b32 s31, -1
	s_mov_b32 s64, 0
	s_wait_loadcnt 0x0
	v_lshlrev_b32_e32 v6, 16, v6
	s_delay_alu instid0(VALU_DEP_1) | instskip(NEXT) | instid1(VALU_DEP_1)
	v_trunc_f32_e32 v6, v6
	v_mul_f32_e64 v7, 0x2f800000, |v6|
	s_delay_alu instid0(VALU_DEP_1) | instskip(NEXT) | instid1(VALU_DEP_1)
	v_floor_f32_e32 v7, v7
	v_fma_f32 v10, 0xcf800000, v7, |v6|
	v_ashrrev_i32_e32 v6, 31, v6
	v_cvt_u32_f32_e32 v11, v7
	s_delay_alu instid0(VALU_DEP_3) | instskip(NEXT) | instid1(VALU_DEP_2)
	v_cvt_u32_f32_e32 v10, v10
	v_dual_mov_b32 v7, v6 :: v_dual_bitop2_b32 v11, v11, v6 bitop3:0x14
	s_delay_alu instid0(VALU_DEP_2) | instskip(NEXT) | instid1(VALU_DEP_1)
	v_xor_b32_e32 v10, v10, v6
	v_sub_nc_u64_e32 v[6:7], v[10:11], v[6:7]
	s_branch .LBB94_442
.LBB94_438:
	s_mov_b32 s38, -1
                                        ; implicit-def: $vgpr6_vgpr7
	s_branch .LBB94_443
.LBB94_439:
	s_and_not1_saveexec_b32 s31, s31
	s_cbranch_execz .LBB94_420
.LBB94_440:
	v_cmp_ne_u16_e32 vcc_lo, 0, v10
	s_and_not1_b32 s38, s38, exec_lo
	s_and_b32 s39, vcc_lo, exec_lo
	s_delay_alu instid0(SALU_CYCLE_1)
	s_or_b32 s38, s38, s39
	s_or_b32 exec_lo, exec_lo, s31
	v_mov_b64_e32 v[6:7], 0
	s_and_saveexec_b32 s31, s38
	s_cbranch_execnz .LBB94_421
	s_branch .LBB94_422
.LBB94_441:
	s_mov_b32 s64, -1
                                        ; implicit-def: $vgpr6_vgpr7
.LBB94_442:
	s_mov_b32 s38, 0
.LBB94_443:
	s_delay_alu instid0(SALU_CYCLE_1)
	s_and_b32 vcc_lo, exec_lo, s38
	s_cbranch_vccz .LBB94_447
; %bb.444:
	s_cmp_eq_u32 s1, 11
	s_cbranch_scc0 .LBB94_446
; %bb.445:
	s_wait_loadcnt 0x0
	global_load_u8 v6, v[8:9], off
	s_mov_b32 s64, 0
	s_mov_b32 s31, -1
	v_mov_b32_e32 v7, s64
	s_wait_loadcnt 0x0
	v_cmp_ne_u16_e32 vcc_lo, 0, v6
	v_cndmask_b32_e64 v6, 0, 1, vcc_lo
	s_branch .LBB94_447
.LBB94_446:
	s_mov_b32 s64, -1
                                        ; implicit-def: $vgpr6_vgpr7
.LBB94_447:
	s_mov_b32 s1, 0
.LBB94_448:
	s_delay_alu instid0(SALU_CYCLE_1)
	s_and_b32 vcc_lo, exec_lo, s1
	s_cbranch_vccz .LBB94_497
; %bb.449:
	s_and_b32 s0, 0xffff, s0
	s_delay_alu instid0(SALU_CYCLE_1)
	s_cmp_lt_i32 s0, 5
	s_cbranch_scc1 .LBB94_454
; %bb.450:
	s_cmp_lt_i32 s0, 8
	s_cbranch_scc1 .LBB94_455
; %bb.451:
	;; [unrolled: 3-line block ×3, first 2 shown]
	s_cmp_gt_i32 s0, 9
	s_cbranch_scc0 .LBB94_457
; %bb.453:
	s_wait_loadcnt 0x0
	global_load_b64 v[6:7], v[8:9], off
	s_mov_b32 s1, 0
	s_wait_loadcnt 0x0
	v_trunc_f64_e32 v[6:7], v[6:7]
	s_delay_alu instid0(VALU_DEP_1) | instskip(NEXT) | instid1(VALU_DEP_1)
	v_ldexp_f64 v[10:11], v[6:7], 0xffffffe0
	v_floor_f64_e32 v[10:11], v[10:11]
	s_delay_alu instid0(VALU_DEP_1) | instskip(SKIP_1) | instid1(VALU_DEP_2)
	v_fmamk_f64 v[12:13], v[10:11], 0xc1f00000, v[6:7]
	v_cvt_i32_f64_e32 v7, v[10:11]
	v_cvt_u32_f64_e32 v6, v[12:13]
	s_branch .LBB94_458
.LBB94_454:
	s_mov_b32 s1, -1
                                        ; implicit-def: $vgpr6_vgpr7
	s_branch .LBB94_476
.LBB94_455:
	s_mov_b32 s1, -1
                                        ; implicit-def: $vgpr6_vgpr7
	s_branch .LBB94_464
.LBB94_456:
	s_mov_b32 s1, -1
                                        ; implicit-def: $vgpr6_vgpr7
	s_branch .LBB94_461
.LBB94_457:
	s_mov_b32 s1, -1
                                        ; implicit-def: $vgpr6_vgpr7
.LBB94_458:
	s_delay_alu instid0(SALU_CYCLE_1)
	s_and_not1_b32 vcc_lo, exec_lo, s1
	s_cbranch_vccnz .LBB94_460
; %bb.459:
	s_wait_loadcnt 0x0
	global_load_b32 v6, v[8:9], off
	s_wait_loadcnt 0x0
	v_trunc_f32_e32 v6, v6
	s_delay_alu instid0(VALU_DEP_1) | instskip(NEXT) | instid1(VALU_DEP_1)
	v_mul_f32_e64 v7, 0x2f800000, |v6|
	v_floor_f32_e32 v7, v7
	s_delay_alu instid0(VALU_DEP_1) | instskip(SKIP_2) | instid1(VALU_DEP_3)
	v_fma_f32 v10, 0xcf800000, v7, |v6|
	v_ashrrev_i32_e32 v6, 31, v6
	v_cvt_u32_f32_e32 v11, v7
	v_cvt_u32_f32_e32 v10, v10
	s_delay_alu instid0(VALU_DEP_2) | instskip(NEXT) | instid1(VALU_DEP_2)
	v_dual_mov_b32 v7, v6 :: v_dual_bitop2_b32 v11, v11, v6 bitop3:0x14
	v_xor_b32_e32 v10, v10, v6
	s_delay_alu instid0(VALU_DEP_1)
	v_sub_nc_u64_e32 v[6:7], v[10:11], v[6:7]
.LBB94_460:
	s_mov_b32 s1, 0
.LBB94_461:
	s_delay_alu instid0(SALU_CYCLE_1)
	s_and_not1_b32 vcc_lo, exec_lo, s1
	s_cbranch_vccnz .LBB94_463
; %bb.462:
	s_wait_loadcnt 0x0
	global_load_b32 v6, v[8:9], off
	s_wait_loadcnt 0x0
	v_cvt_f32_f16_e32 v6, v6
	s_delay_alu instid0(VALU_DEP_1) | instskip(NEXT) | instid1(VALU_DEP_1)
	v_cvt_i32_f32_e32 v6, v6
	v_ashrrev_i32_e32 v7, 31, v6
.LBB94_463:
	s_mov_b32 s1, 0
.LBB94_464:
	s_delay_alu instid0(SALU_CYCLE_1)
	s_and_not1_b32 vcc_lo, exec_lo, s1
	s_cbranch_vccnz .LBB94_475
; %bb.465:
	s_cmp_lt_i32 s0, 6
	s_cbranch_scc1 .LBB94_468
; %bb.466:
	s_cmp_gt_i32 s0, 6
	s_cbranch_scc0 .LBB94_469
; %bb.467:
	s_wait_loadcnt 0x0
	global_load_b64 v[6:7], v[8:9], off
	s_mov_b32 s1, 0
	s_wait_loadcnt 0x0
	v_trunc_f64_e32 v[6:7], v[6:7]
	s_delay_alu instid0(VALU_DEP_1) | instskip(NEXT) | instid1(VALU_DEP_1)
	v_ldexp_f64 v[10:11], v[6:7], 0xffffffe0
	v_floor_f64_e32 v[10:11], v[10:11]
	s_delay_alu instid0(VALU_DEP_1) | instskip(SKIP_1) | instid1(VALU_DEP_2)
	v_fmamk_f64 v[12:13], v[10:11], 0xc1f00000, v[6:7]
	v_cvt_i32_f64_e32 v7, v[10:11]
	v_cvt_u32_f64_e32 v6, v[12:13]
	s_branch .LBB94_470
.LBB94_468:
	s_mov_b32 s1, -1
                                        ; implicit-def: $vgpr6_vgpr7
	s_branch .LBB94_473
.LBB94_469:
	s_mov_b32 s1, -1
                                        ; implicit-def: $vgpr6_vgpr7
.LBB94_470:
	s_delay_alu instid0(SALU_CYCLE_1)
	s_and_not1_b32 vcc_lo, exec_lo, s1
	s_cbranch_vccnz .LBB94_472
; %bb.471:
	s_wait_loadcnt 0x0
	global_load_b32 v6, v[8:9], off
	s_wait_loadcnt 0x0
	v_trunc_f32_e32 v6, v6
	s_delay_alu instid0(VALU_DEP_1) | instskip(NEXT) | instid1(VALU_DEP_1)
	v_mul_f32_e64 v7, 0x2f800000, |v6|
	v_floor_f32_e32 v7, v7
	s_delay_alu instid0(VALU_DEP_1) | instskip(SKIP_2) | instid1(VALU_DEP_3)
	v_fma_f32 v10, 0xcf800000, v7, |v6|
	v_ashrrev_i32_e32 v6, 31, v6
	v_cvt_u32_f32_e32 v11, v7
	v_cvt_u32_f32_e32 v10, v10
	s_delay_alu instid0(VALU_DEP_2) | instskip(NEXT) | instid1(VALU_DEP_2)
	v_dual_mov_b32 v7, v6 :: v_dual_bitop2_b32 v11, v11, v6 bitop3:0x14
	v_xor_b32_e32 v10, v10, v6
	s_delay_alu instid0(VALU_DEP_1)
	v_sub_nc_u64_e32 v[6:7], v[10:11], v[6:7]
.LBB94_472:
	s_mov_b32 s1, 0
.LBB94_473:
	s_delay_alu instid0(SALU_CYCLE_1)
	s_and_not1_b32 vcc_lo, exec_lo, s1
	s_cbranch_vccnz .LBB94_475
; %bb.474:
	s_wait_loadcnt 0x0
	global_load_u16 v6, v[8:9], off
	s_wait_loadcnt 0x0
	v_cvt_f32_f16_e32 v6, v6
	s_delay_alu instid0(VALU_DEP_1) | instskip(NEXT) | instid1(VALU_DEP_1)
	v_cvt_i32_f32_e32 v6, v6
	v_ashrrev_i32_e32 v7, 31, v6
.LBB94_475:
	s_mov_b32 s1, 0
.LBB94_476:
	s_delay_alu instid0(SALU_CYCLE_1)
	s_and_not1_b32 vcc_lo, exec_lo, s1
	s_cbranch_vccnz .LBB94_496
; %bb.477:
	s_cmp_lt_i32 s0, 2
	s_cbranch_scc1 .LBB94_481
; %bb.478:
	s_cmp_lt_i32 s0, 3
	s_cbranch_scc1 .LBB94_482
; %bb.479:
	s_cmp_gt_i32 s0, 3
	s_cbranch_scc0 .LBB94_483
; %bb.480:
	s_wait_loadcnt 0x0
	global_load_b64 v[6:7], v[8:9], off
	s_mov_b32 s1, 0
	s_branch .LBB94_484
.LBB94_481:
	s_mov_b32 s1, -1
                                        ; implicit-def: $vgpr6_vgpr7
	s_branch .LBB94_490
.LBB94_482:
	s_mov_b32 s1, -1
                                        ; implicit-def: $vgpr6_vgpr7
	s_branch .LBB94_487
.LBB94_483:
	s_mov_b32 s1, -1
                                        ; implicit-def: $vgpr6_vgpr7
.LBB94_484:
	s_delay_alu instid0(SALU_CYCLE_1)
	s_and_not1_b32 vcc_lo, exec_lo, s1
	s_cbranch_vccnz .LBB94_486
; %bb.485:
	s_wait_loadcnt 0x0
	global_load_b32 v6, v[8:9], off
	s_wait_loadcnt 0x0
	v_ashrrev_i32_e32 v7, 31, v6
.LBB94_486:
	s_mov_b32 s1, 0
.LBB94_487:
	s_delay_alu instid0(SALU_CYCLE_1)
	s_and_not1_b32 vcc_lo, exec_lo, s1
	s_cbranch_vccnz .LBB94_489
; %bb.488:
	s_wait_loadcnt 0x0
	global_load_u16 v6, v[8:9], off
	s_wait_loadcnt 0x0
	v_bfe_i32 v6, v6, 0, 16
	s_delay_alu instid0(VALU_DEP_1)
	v_ashrrev_i32_e32 v7, 31, v6
.LBB94_489:
	s_mov_b32 s1, 0
.LBB94_490:
	s_delay_alu instid0(SALU_CYCLE_1)
	s_and_not1_b32 vcc_lo, exec_lo, s1
	s_cbranch_vccnz .LBB94_496
; %bb.491:
	s_cmp_gt_i32 s0, 0
	s_mov_b32 s0, 0
	s_cbranch_scc0 .LBB94_493
; %bb.492:
	s_wait_loadcnt 0x0
	global_load_i8 v6, v[8:9], off
	s_wait_loadcnt 0x0
	v_bfe_i32 v6, v6, 0, 16
	s_delay_alu instid0(VALU_DEP_1)
	v_ashrrev_i32_e32 v7, 31, v6
	s_branch .LBB94_494
.LBB94_493:
	s_mov_b32 s0, -1
                                        ; implicit-def: $vgpr6_vgpr7
.LBB94_494:
	s_delay_alu instid0(SALU_CYCLE_1)
	s_and_not1_b32 vcc_lo, exec_lo, s0
	s_cbranch_vccnz .LBB94_496
; %bb.495:
	s_wait_loadcnt 0x0
	global_load_u8 v6, v[8:9], off
	s_mov_b32 s0, 0
	s_delay_alu instid0(SALU_CYCLE_1)
	v_mov_b32_e32 v7, s0
	s_wait_loadcnt 0x0
	v_and_b32_e32 v6, 0xffff, v6
.LBB94_496:
	s_mov_b32 s31, -1
.LBB94_497:
	s_delay_alu instid0(SALU_CYCLE_1)
	s_and_not1_b32 vcc_lo, exec_lo, s31
	s_cbranch_vccnz .LBB94_628
; %bb.498:
	s_wait_xcnt 0x0
	v_mul_lo_u32 v8, s53, v26
	s_and_b32 s0, s54, 0xff
	s_delay_alu instid0(SALU_CYCLE_1) | instskip(NEXT) | instid1(VALU_DEP_1)
	s_cmp_lt_i32 s0, 11
	v_ashrrev_i32_e32 v9, 31, v8
	s_delay_alu instid0(VALU_DEP_1)
	v_add_nc_u64_e32 v[8:9], s[34:35], v[8:9]
	s_cbranch_scc1 .LBB94_505
; %bb.499:
	s_and_b32 s1, 0xffff, s0
	s_delay_alu instid0(SALU_CYCLE_1)
	s_cmp_gt_i32 s1, 25
	s_cbranch_scc0 .LBB94_506
; %bb.500:
	s_cmp_gt_i32 s1, 28
	s_cbranch_scc0 .LBB94_507
; %bb.501:
	;; [unrolled: 3-line block ×4, first 2 shown]
	s_cmp_eq_u32 s1, 46
	s_mov_b32 s38, 0
	s_cbranch_scc0 .LBB94_510
; %bb.504:
	global_load_b32 v10, v[8:9], off
	s_mov_b32 s31, -1
	s_wait_loadcnt 0x0
	v_lshlrev_b32_e32 v10, 16, v10
	s_delay_alu instid0(VALU_DEP_1) | instskip(NEXT) | instid1(VALU_DEP_1)
	v_trunc_f32_e32 v10, v10
	v_mul_f32_e64 v11, 0x2f800000, |v10|
	s_delay_alu instid0(VALU_DEP_1) | instskip(NEXT) | instid1(VALU_DEP_1)
	v_floor_f32_e32 v11, v11
	v_fma_f32 v12, 0xcf800000, v11, |v10|
	v_ashrrev_i32_e32 v10, 31, v10
	v_cvt_u32_f32_e32 v13, v11
	s_delay_alu instid0(VALU_DEP_3) | instskip(NEXT) | instid1(VALU_DEP_2)
	v_cvt_u32_f32_e32 v12, v12
	v_dual_mov_b32 v11, v10 :: v_dual_bitop2_b32 v13, v13, v10 bitop3:0x14
	s_delay_alu instid0(VALU_DEP_2) | instskip(NEXT) | instid1(VALU_DEP_1)
	v_xor_b32_e32 v12, v12, v10
	v_sub_nc_u64_e32 v[10:11], v[12:13], v[10:11]
	s_branch .LBB94_512
.LBB94_505:
	s_mov_b32 s1, -1
	s_mov_b32 s31, 0
                                        ; implicit-def: $vgpr10_vgpr11
	s_branch .LBB94_573
.LBB94_506:
	s_mov_b32 s38, -1
	s_mov_b32 s31, 0
                                        ; implicit-def: $vgpr10_vgpr11
	s_branch .LBB94_539
.LBB94_507:
	s_mov_b32 s38, -1
	s_mov_b32 s31, 0
                                        ; implicit-def: $vgpr10_vgpr11
	s_branch .LBB94_522
.LBB94_508:
	s_mov_b32 s38, -1
	s_mov_b32 s31, 0
                                        ; implicit-def: $vgpr10_vgpr11
	s_branch .LBB94_517
.LBB94_509:
	s_mov_b32 s38, -1
	s_branch .LBB94_511
.LBB94_510:
	s_mov_b32 s63, -1
.LBB94_511:
	s_mov_b32 s31, 0
                                        ; implicit-def: $vgpr10_vgpr11
.LBB94_512:
	s_and_b32 vcc_lo, exec_lo, s38
	s_cbranch_vccz .LBB94_516
; %bb.513:
	s_cmp_eq_u32 s1, 44
	s_cbranch_scc0 .LBB94_515
; %bb.514:
	global_load_u8 v14, v[8:9], off
	s_mov_b32 s63, 0
	s_mov_b32 s31, -1
	s_wait_loadcnt 0x0
	v_cmp_ne_u32_e32 vcc_lo, 0, v14
	v_lshlrev_b32_e32 v10, 23, v14
	s_delay_alu instid0(VALU_DEP_1) | instskip(NEXT) | instid1(VALU_DEP_1)
	v_trunc_f32_e32 v10, v10
	v_mul_f32_e64 v11, 0x2f800000, |v10|
	s_delay_alu instid0(VALU_DEP_1) | instskip(NEXT) | instid1(VALU_DEP_1)
	v_floor_f32_e32 v11, v11
	v_fma_f32 v12, 0xcf800000, v11, |v10|
	v_ashrrev_i32_e32 v10, 31, v10
	v_cvt_u32_f32_e32 v13, v11
	s_delay_alu instid0(VALU_DEP_3) | instskip(NEXT) | instid1(VALU_DEP_2)
	v_cvt_u32_f32_e32 v12, v12
	v_dual_mov_b32 v11, v10 :: v_dual_bitop2_b32 v13, v13, v10 bitop3:0x14
	s_delay_alu instid0(VALU_DEP_2) | instskip(NEXT) | instid1(VALU_DEP_1)
	v_xor_b32_e32 v12, v12, v10
	v_sub_nc_u64_e32 v[10:11], v[12:13], v[10:11]
	s_delay_alu instid0(VALU_DEP_1)
	v_dual_cndmask_b32 v11, 0, v11 :: v_dual_cndmask_b32 v10, 0, v10
	s_branch .LBB94_516
.LBB94_515:
	s_mov_b32 s63, -1
                                        ; implicit-def: $vgpr10_vgpr11
.LBB94_516:
	s_mov_b32 s38, 0
.LBB94_517:
	s_delay_alu instid0(SALU_CYCLE_1)
	s_and_b32 vcc_lo, exec_lo, s38
	s_cbranch_vccz .LBB94_521
; %bb.518:
	s_cmp_eq_u32 s1, 29
	s_cbranch_scc0 .LBB94_520
; %bb.519:
	global_load_b64 v[10:11], v[8:9], off
	s_mov_b32 s31, -1
	s_mov_b32 s63, 0
	s_branch .LBB94_521
.LBB94_520:
	s_mov_b32 s63, -1
                                        ; implicit-def: $vgpr10_vgpr11
.LBB94_521:
	s_mov_b32 s38, 0
.LBB94_522:
	s_delay_alu instid0(SALU_CYCLE_1)
	s_and_b32 vcc_lo, exec_lo, s38
	s_cbranch_vccz .LBB94_538
; %bb.523:
	s_cmp_lt_i32 s1, 27
	s_cbranch_scc1 .LBB94_526
; %bb.524:
	s_cmp_gt_i32 s1, 27
	s_cbranch_scc0 .LBB94_527
; %bb.525:
	s_wait_loadcnt 0x0
	global_load_b32 v10, v[8:9], off
	v_mov_b32_e32 v11, 0
	s_mov_b32 s31, 0
	s_branch .LBB94_528
.LBB94_526:
	s_mov_b32 s31, -1
                                        ; implicit-def: $vgpr10_vgpr11
	s_branch .LBB94_531
.LBB94_527:
	s_mov_b32 s31, -1
                                        ; implicit-def: $vgpr10_vgpr11
.LBB94_528:
	s_delay_alu instid0(SALU_CYCLE_1)
	s_and_not1_b32 vcc_lo, exec_lo, s31
	s_cbranch_vccnz .LBB94_530
; %bb.529:
	s_wait_loadcnt 0x0
	global_load_u16 v10, v[8:9], off
	s_mov_b32 s31, 0
	s_delay_alu instid0(SALU_CYCLE_1)
	v_mov_b32_e32 v11, s31
	s_wait_loadcnt 0x0
	v_and_b32_e32 v10, 0xffff, v10
.LBB94_530:
	s_mov_b32 s31, 0
.LBB94_531:
	s_delay_alu instid0(SALU_CYCLE_1)
	s_and_not1_b32 vcc_lo, exec_lo, s31
	s_cbranch_vccnz .LBB94_537
; %bb.532:
	global_load_u8 v12, v[8:9], off
	s_mov_b32 s38, 0
	s_mov_b32 s31, exec_lo
	s_wait_loadcnt 0x0
	v_cmpx_lt_i16_e32 0x7f, v12
	s_xor_b32 s31, exec_lo, s31
	s_cbranch_execz .LBB94_549
; %bb.533:
	v_cmp_ne_u16_e32 vcc_lo, 0x80, v12
	s_and_b32 s38, vcc_lo, exec_lo
	s_and_not1_saveexec_b32 s31, s31
	s_cbranch_execnz .LBB94_550
.LBB94_534:
	s_or_b32 exec_lo, exec_lo, s31
	v_mov_b64_e32 v[10:11], 0
	s_and_saveexec_b32 s31, s38
	s_cbranch_execz .LBB94_536
.LBB94_535:
	v_and_b32_e32 v10, 0xffff, v12
	s_delay_alu instid0(VALU_DEP_1) | instskip(SKIP_1) | instid1(VALU_DEP_2)
	v_and_b32_e32 v11, 7, v10
	v_bfe_u32 v15, v10, 3, 4
	v_clz_i32_u32_e32 v13, v11
	s_delay_alu instid0(VALU_DEP_2) | instskip(NEXT) | instid1(VALU_DEP_2)
	v_cmp_eq_u32_e32 vcc_lo, 0, v15
	v_min_u32_e32 v13, 32, v13
	s_delay_alu instid0(VALU_DEP_1) | instskip(NEXT) | instid1(VALU_DEP_1)
	v_subrev_nc_u32_e32 v14, 28, v13
	v_dual_lshlrev_b32 v10, v14, v10 :: v_dual_sub_nc_u32 v13, 29, v13
	s_delay_alu instid0(VALU_DEP_1) | instskip(NEXT) | instid1(VALU_DEP_2)
	v_dual_lshlrev_b32 v12, 24, v12 :: v_dual_bitop2_b32 v10, 7, v10 bitop3:0x40
	v_cndmask_b32_e32 v13, v15, v13, vcc_lo
	s_delay_alu instid0(VALU_DEP_2) | instskip(NEXT) | instid1(VALU_DEP_3)
	v_cndmask_b32_e32 v10, v11, v10, vcc_lo
	v_and_b32_e32 v11, 0x80000000, v12
	s_delay_alu instid0(VALU_DEP_3) | instskip(NEXT) | instid1(VALU_DEP_3)
	v_lshl_add_u32 v12, v13, 23, 0x3b800000
	v_lshlrev_b32_e32 v10, 20, v10
	s_delay_alu instid0(VALU_DEP_1) | instskip(NEXT) | instid1(VALU_DEP_1)
	v_or3_b32 v10, v11, v12, v10
	v_trunc_f32_e32 v10, v10
	s_delay_alu instid0(VALU_DEP_1) | instskip(NEXT) | instid1(VALU_DEP_1)
	v_mul_f32_e64 v11, 0x2f800000, |v10|
	v_floor_f32_e32 v11, v11
	s_delay_alu instid0(VALU_DEP_1) | instskip(SKIP_2) | instid1(VALU_DEP_3)
	v_fma_f32 v12, 0xcf800000, v11, |v10|
	v_ashrrev_i32_e32 v10, 31, v10
	v_cvt_u32_f32_e32 v13, v11
	v_cvt_u32_f32_e32 v12, v12
	s_delay_alu instid0(VALU_DEP_2) | instskip(NEXT) | instid1(VALU_DEP_2)
	v_dual_mov_b32 v11, v10 :: v_dual_bitop2_b32 v13, v13, v10 bitop3:0x14
	v_xor_b32_e32 v12, v12, v10
	s_delay_alu instid0(VALU_DEP_1)
	v_sub_nc_u64_e32 v[10:11], v[12:13], v[10:11]
.LBB94_536:
	s_or_b32 exec_lo, exec_lo, s31
.LBB94_537:
	s_mov_b32 s31, -1
.LBB94_538:
	s_mov_b32 s38, 0
.LBB94_539:
	s_delay_alu instid0(SALU_CYCLE_1)
	s_and_b32 vcc_lo, exec_lo, s38
	s_cbranch_vccz .LBB94_572
; %bb.540:
	s_cmp_gt_i32 s1, 22
	s_cbranch_scc0 .LBB94_548
; %bb.541:
	s_cmp_lt_i32 s1, 24
	s_cbranch_scc1 .LBB94_551
; %bb.542:
	s_cmp_gt_i32 s1, 24
	s_cbranch_scc0 .LBB94_552
; %bb.543:
	global_load_u8 v12, v[8:9], off
	s_mov_b32 s38, 0
	s_mov_b32 s31, exec_lo
	s_wait_loadcnt 0x0
	v_cmpx_lt_i16_e32 0x7f, v12
	s_xor_b32 s31, exec_lo, s31
	s_cbranch_execz .LBB94_564
; %bb.544:
	v_cmp_ne_u16_e32 vcc_lo, 0x80, v12
	s_and_b32 s38, vcc_lo, exec_lo
	s_and_not1_saveexec_b32 s31, s31
	s_cbranch_execnz .LBB94_565
.LBB94_545:
	s_or_b32 exec_lo, exec_lo, s31
	v_mov_b64_e32 v[10:11], 0
	s_and_saveexec_b32 s31, s38
	s_cbranch_execz .LBB94_547
.LBB94_546:
	v_and_b32_e32 v10, 0xffff, v12
	s_delay_alu instid0(VALU_DEP_1) | instskip(SKIP_1) | instid1(VALU_DEP_2)
	v_and_b32_e32 v11, 3, v10
	v_bfe_u32 v15, v10, 2, 5
	v_clz_i32_u32_e32 v13, v11
	s_delay_alu instid0(VALU_DEP_2) | instskip(NEXT) | instid1(VALU_DEP_2)
	v_cmp_eq_u32_e32 vcc_lo, 0, v15
	v_min_u32_e32 v13, 32, v13
	s_delay_alu instid0(VALU_DEP_1) | instskip(NEXT) | instid1(VALU_DEP_1)
	v_subrev_nc_u32_e32 v14, 29, v13
	v_dual_lshlrev_b32 v10, v14, v10 :: v_dual_sub_nc_u32 v13, 30, v13
	s_delay_alu instid0(VALU_DEP_1) | instskip(NEXT) | instid1(VALU_DEP_2)
	v_dual_lshlrev_b32 v12, 24, v12 :: v_dual_bitop2_b32 v10, 3, v10 bitop3:0x40
	v_cndmask_b32_e32 v13, v15, v13, vcc_lo
	s_delay_alu instid0(VALU_DEP_2) | instskip(NEXT) | instid1(VALU_DEP_3)
	v_cndmask_b32_e32 v10, v11, v10, vcc_lo
	v_and_b32_e32 v11, 0x80000000, v12
	s_delay_alu instid0(VALU_DEP_3) | instskip(NEXT) | instid1(VALU_DEP_3)
	v_lshl_add_u32 v12, v13, 23, 0x37800000
	v_lshlrev_b32_e32 v10, 21, v10
	s_delay_alu instid0(VALU_DEP_1) | instskip(NEXT) | instid1(VALU_DEP_1)
	v_or3_b32 v10, v11, v12, v10
	v_trunc_f32_e32 v10, v10
	s_delay_alu instid0(VALU_DEP_1) | instskip(NEXT) | instid1(VALU_DEP_1)
	v_mul_f32_e64 v11, 0x2f800000, |v10|
	v_floor_f32_e32 v11, v11
	s_delay_alu instid0(VALU_DEP_1) | instskip(SKIP_2) | instid1(VALU_DEP_3)
	v_fma_f32 v12, 0xcf800000, v11, |v10|
	v_ashrrev_i32_e32 v10, 31, v10
	v_cvt_u32_f32_e32 v13, v11
	v_cvt_u32_f32_e32 v12, v12
	s_delay_alu instid0(VALU_DEP_2) | instskip(NEXT) | instid1(VALU_DEP_2)
	v_dual_mov_b32 v11, v10 :: v_dual_bitop2_b32 v13, v13, v10 bitop3:0x14
	v_xor_b32_e32 v12, v12, v10
	s_delay_alu instid0(VALU_DEP_1)
	v_sub_nc_u64_e32 v[10:11], v[12:13], v[10:11]
.LBB94_547:
	s_or_b32 exec_lo, exec_lo, s31
	s_mov_b32 s31, 0
	s_branch .LBB94_553
.LBB94_548:
	s_mov_b32 s38, -1
                                        ; implicit-def: $vgpr10_vgpr11
	s_branch .LBB94_559
.LBB94_549:
	s_and_not1_saveexec_b32 s31, s31
	s_cbranch_execz .LBB94_534
.LBB94_550:
	v_cmp_ne_u16_e32 vcc_lo, 0, v12
	s_and_not1_b32 s38, s38, exec_lo
	s_and_b32 s39, vcc_lo, exec_lo
	s_delay_alu instid0(SALU_CYCLE_1)
	s_or_b32 s38, s38, s39
	s_or_b32 exec_lo, exec_lo, s31
	v_mov_b64_e32 v[10:11], 0
	s_and_saveexec_b32 s31, s38
	s_cbranch_execnz .LBB94_535
	s_branch .LBB94_536
.LBB94_551:
	s_mov_b32 s31, -1
                                        ; implicit-def: $vgpr10_vgpr11
	s_branch .LBB94_556
.LBB94_552:
	s_mov_b32 s31, -1
                                        ; implicit-def: $vgpr10_vgpr11
.LBB94_553:
	s_delay_alu instid0(SALU_CYCLE_1)
	s_and_b32 vcc_lo, exec_lo, s31
	s_cbranch_vccz .LBB94_555
; %bb.554:
	s_wait_loadcnt 0x0
	global_load_u8 v10, v[8:9], off
	s_wait_loadcnt 0x0
	v_lshlrev_b32_e32 v10, 24, v10
	s_delay_alu instid0(VALU_DEP_1) | instskip(NEXT) | instid1(VALU_DEP_1)
	v_and_b32_e32 v11, 0x7f000000, v10
	v_clz_i32_u32_e32 v12, v11
	v_cmp_ne_u32_e32 vcc_lo, 0, v11
	v_add_nc_u32_e32 v14, 0x1000000, v11
	s_delay_alu instid0(VALU_DEP_3) | instskip(NEXT) | instid1(VALU_DEP_1)
	v_min_u32_e32 v12, 32, v12
	v_sub_nc_u32_e64 v12, v12, 4 clamp
	s_delay_alu instid0(VALU_DEP_1) | instskip(NEXT) | instid1(VALU_DEP_1)
	v_dual_lshlrev_b32 v13, v12, v11 :: v_dual_lshlrev_b32 v12, 23, v12
	v_lshrrev_b32_e32 v13, 4, v13
	s_delay_alu instid0(VALU_DEP_1) | instskip(NEXT) | instid1(VALU_DEP_1)
	v_dual_sub_nc_u32 v12, v13, v12 :: v_dual_ashrrev_i32 v13, 8, v14
	v_add_nc_u32_e32 v12, 0x3c000000, v12
	s_delay_alu instid0(VALU_DEP_1) | instskip(NEXT) | instid1(VALU_DEP_1)
	v_and_or_b32 v12, 0x7f800000, v13, v12
	v_cndmask_b32_e32 v11, 0, v12, vcc_lo
	s_delay_alu instid0(VALU_DEP_1) | instskip(NEXT) | instid1(VALU_DEP_1)
	v_and_or_b32 v10, 0x80000000, v10, v11
	v_trunc_f32_e32 v10, v10
	s_delay_alu instid0(VALU_DEP_1) | instskip(NEXT) | instid1(VALU_DEP_1)
	v_mul_f32_e64 v11, 0x2f800000, |v10|
	v_floor_f32_e32 v11, v11
	s_delay_alu instid0(VALU_DEP_1) | instskip(SKIP_2) | instid1(VALU_DEP_3)
	v_fma_f32 v12, 0xcf800000, v11, |v10|
	v_ashrrev_i32_e32 v10, 31, v10
	v_cvt_u32_f32_e32 v13, v11
	v_cvt_u32_f32_e32 v12, v12
	s_delay_alu instid0(VALU_DEP_2) | instskip(NEXT) | instid1(VALU_DEP_2)
	v_dual_mov_b32 v11, v10 :: v_dual_bitop2_b32 v13, v13, v10 bitop3:0x14
	v_xor_b32_e32 v12, v12, v10
	s_delay_alu instid0(VALU_DEP_1)
	v_sub_nc_u64_e32 v[10:11], v[12:13], v[10:11]
.LBB94_555:
	s_mov_b32 s31, 0
.LBB94_556:
	s_delay_alu instid0(SALU_CYCLE_1)
	s_and_not1_b32 vcc_lo, exec_lo, s31
	s_cbranch_vccnz .LBB94_558
; %bb.557:
	s_wait_loadcnt 0x0
	global_load_u8 v10, v[8:9], off
	s_wait_loadcnt 0x0
	v_lshlrev_b32_e32 v11, 25, v10
	v_lshlrev_b16 v10, 8, v10
	s_delay_alu instid0(VALU_DEP_1) | instskip(SKIP_1) | instid1(VALU_DEP_2)
	v_and_or_b32 v13, 0x7f00, v10, 0.5
	v_bfe_i32 v10, v10, 0, 16
	v_dual_add_f32 v13, -0.5, v13 :: v_dual_lshrrev_b32 v12, 4, v11
	v_cmp_gt_u32_e32 vcc_lo, 0x8000000, v11
	s_delay_alu instid0(VALU_DEP_2) | instskip(NEXT) | instid1(VALU_DEP_1)
	v_or_b32_e32 v12, 0x70000000, v12
	v_mul_f32_e32 v12, 0x7800000, v12
	s_delay_alu instid0(VALU_DEP_1) | instskip(NEXT) | instid1(VALU_DEP_1)
	v_cndmask_b32_e32 v11, v12, v13, vcc_lo
	v_and_or_b32 v10, 0x80000000, v10, v11
	s_delay_alu instid0(VALU_DEP_1) | instskip(NEXT) | instid1(VALU_DEP_1)
	v_trunc_f32_e32 v10, v10
	v_mul_f32_e64 v11, 0x2f800000, |v10|
	s_delay_alu instid0(VALU_DEP_1) | instskip(NEXT) | instid1(VALU_DEP_1)
	v_floor_f32_e32 v11, v11
	v_fma_f32 v12, 0xcf800000, v11, |v10|
	v_ashrrev_i32_e32 v10, 31, v10
	v_cvt_u32_f32_e32 v13, v11
	s_delay_alu instid0(VALU_DEP_3) | instskip(NEXT) | instid1(VALU_DEP_2)
	v_cvt_u32_f32_e32 v12, v12
	v_dual_mov_b32 v11, v10 :: v_dual_bitop2_b32 v13, v13, v10 bitop3:0x14
	s_delay_alu instid0(VALU_DEP_2) | instskip(NEXT) | instid1(VALU_DEP_1)
	v_xor_b32_e32 v12, v12, v10
	v_sub_nc_u64_e32 v[10:11], v[12:13], v[10:11]
.LBB94_558:
	s_mov_b32 s38, 0
	s_mov_b32 s31, -1
.LBB94_559:
	s_and_not1_b32 vcc_lo, exec_lo, s38
	s_cbranch_vccnz .LBB94_572
; %bb.560:
	s_cmp_gt_i32 s1, 14
	s_cbranch_scc0 .LBB94_563
; %bb.561:
	s_cmp_eq_u32 s1, 15
	s_cbranch_scc0 .LBB94_566
; %bb.562:
	s_wait_loadcnt 0x0
	global_load_u16 v10, v[8:9], off
	s_mov_b32 s31, -1
	s_mov_b32 s63, 0
	s_wait_loadcnt 0x0
	v_lshlrev_b32_e32 v10, 16, v10
	s_delay_alu instid0(VALU_DEP_1) | instskip(NEXT) | instid1(VALU_DEP_1)
	v_trunc_f32_e32 v10, v10
	v_mul_f32_e64 v11, 0x2f800000, |v10|
	s_delay_alu instid0(VALU_DEP_1) | instskip(NEXT) | instid1(VALU_DEP_1)
	v_floor_f32_e32 v11, v11
	v_fma_f32 v12, 0xcf800000, v11, |v10|
	v_ashrrev_i32_e32 v10, 31, v10
	v_cvt_u32_f32_e32 v13, v11
	s_delay_alu instid0(VALU_DEP_3) | instskip(NEXT) | instid1(VALU_DEP_2)
	v_cvt_u32_f32_e32 v12, v12
	v_dual_mov_b32 v11, v10 :: v_dual_bitop2_b32 v13, v13, v10 bitop3:0x14
	s_delay_alu instid0(VALU_DEP_2) | instskip(NEXT) | instid1(VALU_DEP_1)
	v_xor_b32_e32 v12, v12, v10
	v_sub_nc_u64_e32 v[10:11], v[12:13], v[10:11]
	s_branch .LBB94_567
.LBB94_563:
	s_mov_b32 s38, -1
                                        ; implicit-def: $vgpr10_vgpr11
	s_branch .LBB94_568
.LBB94_564:
	s_and_not1_saveexec_b32 s31, s31
	s_cbranch_execz .LBB94_545
.LBB94_565:
	v_cmp_ne_u16_e32 vcc_lo, 0, v12
	s_and_not1_b32 s38, s38, exec_lo
	s_and_b32 s39, vcc_lo, exec_lo
	s_delay_alu instid0(SALU_CYCLE_1)
	s_or_b32 s38, s38, s39
	s_or_b32 exec_lo, exec_lo, s31
	v_mov_b64_e32 v[10:11], 0
	s_and_saveexec_b32 s31, s38
	s_cbranch_execnz .LBB94_546
	s_branch .LBB94_547
.LBB94_566:
	s_mov_b32 s63, -1
                                        ; implicit-def: $vgpr10_vgpr11
.LBB94_567:
	s_mov_b32 s38, 0
.LBB94_568:
	s_delay_alu instid0(SALU_CYCLE_1)
	s_and_b32 vcc_lo, exec_lo, s38
	s_cbranch_vccz .LBB94_572
; %bb.569:
	s_cmp_eq_u32 s1, 11
	s_cbranch_scc0 .LBB94_571
; %bb.570:
	s_wait_loadcnt 0x0
	global_load_u8 v10, v[8:9], off
	s_mov_b32 s63, 0
	s_mov_b32 s31, -1
	v_mov_b32_e32 v11, s63
	s_wait_loadcnt 0x0
	v_cmp_ne_u16_e32 vcc_lo, 0, v10
	v_cndmask_b32_e64 v10, 0, 1, vcc_lo
	s_branch .LBB94_572
.LBB94_571:
	s_mov_b32 s63, -1
                                        ; implicit-def: $vgpr10_vgpr11
.LBB94_572:
	s_mov_b32 s1, 0
.LBB94_573:
	s_delay_alu instid0(SALU_CYCLE_1)
	s_and_b32 vcc_lo, exec_lo, s1
	s_cbranch_vccz .LBB94_622
; %bb.574:
	s_and_b32 s0, 0xffff, s0
	s_delay_alu instid0(SALU_CYCLE_1)
	s_cmp_lt_i32 s0, 5
	s_cbranch_scc1 .LBB94_579
; %bb.575:
	s_cmp_lt_i32 s0, 8
	s_cbranch_scc1 .LBB94_580
; %bb.576:
	;; [unrolled: 3-line block ×3, first 2 shown]
	s_cmp_gt_i32 s0, 9
	s_cbranch_scc0 .LBB94_582
; %bb.578:
	s_wait_loadcnt 0x0
	global_load_b64 v[10:11], v[8:9], off
	s_mov_b32 s1, 0
	s_wait_loadcnt 0x0
	v_trunc_f64_e32 v[10:11], v[10:11]
	s_delay_alu instid0(VALU_DEP_1) | instskip(NEXT) | instid1(VALU_DEP_1)
	v_ldexp_f64 v[12:13], v[10:11], 0xffffffe0
	v_floor_f64_e32 v[12:13], v[12:13]
	s_delay_alu instid0(VALU_DEP_1) | instskip(SKIP_1) | instid1(VALU_DEP_2)
	v_fmamk_f64 v[14:15], v[12:13], 0xc1f00000, v[10:11]
	v_cvt_i32_f64_e32 v11, v[12:13]
	v_cvt_u32_f64_e32 v10, v[14:15]
	s_branch .LBB94_583
.LBB94_579:
	s_mov_b32 s1, -1
                                        ; implicit-def: $vgpr10_vgpr11
	s_branch .LBB94_601
.LBB94_580:
	s_mov_b32 s1, -1
                                        ; implicit-def: $vgpr10_vgpr11
	s_branch .LBB94_589
.LBB94_581:
	s_mov_b32 s1, -1
                                        ; implicit-def: $vgpr10_vgpr11
	s_branch .LBB94_586
.LBB94_582:
	s_mov_b32 s1, -1
                                        ; implicit-def: $vgpr10_vgpr11
.LBB94_583:
	s_delay_alu instid0(SALU_CYCLE_1)
	s_and_not1_b32 vcc_lo, exec_lo, s1
	s_cbranch_vccnz .LBB94_585
; %bb.584:
	s_wait_loadcnt 0x0
	global_load_b32 v10, v[8:9], off
	s_wait_loadcnt 0x0
	v_trunc_f32_e32 v10, v10
	s_delay_alu instid0(VALU_DEP_1) | instskip(NEXT) | instid1(VALU_DEP_1)
	v_mul_f32_e64 v11, 0x2f800000, |v10|
	v_floor_f32_e32 v11, v11
	s_delay_alu instid0(VALU_DEP_1) | instskip(SKIP_2) | instid1(VALU_DEP_3)
	v_fma_f32 v12, 0xcf800000, v11, |v10|
	v_ashrrev_i32_e32 v10, 31, v10
	v_cvt_u32_f32_e32 v13, v11
	v_cvt_u32_f32_e32 v12, v12
	s_delay_alu instid0(VALU_DEP_2) | instskip(NEXT) | instid1(VALU_DEP_2)
	v_dual_mov_b32 v11, v10 :: v_dual_bitop2_b32 v13, v13, v10 bitop3:0x14
	v_xor_b32_e32 v12, v12, v10
	s_delay_alu instid0(VALU_DEP_1)
	v_sub_nc_u64_e32 v[10:11], v[12:13], v[10:11]
.LBB94_585:
	s_mov_b32 s1, 0
.LBB94_586:
	s_delay_alu instid0(SALU_CYCLE_1)
	s_and_not1_b32 vcc_lo, exec_lo, s1
	s_cbranch_vccnz .LBB94_588
; %bb.587:
	s_wait_loadcnt 0x0
	global_load_b32 v10, v[8:9], off
	s_wait_loadcnt 0x0
	v_cvt_f32_f16_e32 v10, v10
	s_delay_alu instid0(VALU_DEP_1) | instskip(NEXT) | instid1(VALU_DEP_1)
	v_cvt_i32_f32_e32 v10, v10
	v_ashrrev_i32_e32 v11, 31, v10
.LBB94_588:
	s_mov_b32 s1, 0
.LBB94_589:
	s_delay_alu instid0(SALU_CYCLE_1)
	s_and_not1_b32 vcc_lo, exec_lo, s1
	s_cbranch_vccnz .LBB94_600
; %bb.590:
	s_cmp_lt_i32 s0, 6
	s_cbranch_scc1 .LBB94_593
; %bb.591:
	s_cmp_gt_i32 s0, 6
	s_cbranch_scc0 .LBB94_594
; %bb.592:
	s_wait_loadcnt 0x0
	global_load_b64 v[10:11], v[8:9], off
	s_mov_b32 s1, 0
	s_wait_loadcnt 0x0
	v_trunc_f64_e32 v[10:11], v[10:11]
	s_delay_alu instid0(VALU_DEP_1) | instskip(NEXT) | instid1(VALU_DEP_1)
	v_ldexp_f64 v[12:13], v[10:11], 0xffffffe0
	v_floor_f64_e32 v[12:13], v[12:13]
	s_delay_alu instid0(VALU_DEP_1) | instskip(SKIP_1) | instid1(VALU_DEP_2)
	v_fmamk_f64 v[14:15], v[12:13], 0xc1f00000, v[10:11]
	v_cvt_i32_f64_e32 v11, v[12:13]
	v_cvt_u32_f64_e32 v10, v[14:15]
	s_branch .LBB94_595
.LBB94_593:
	s_mov_b32 s1, -1
                                        ; implicit-def: $vgpr10_vgpr11
	s_branch .LBB94_598
.LBB94_594:
	s_mov_b32 s1, -1
                                        ; implicit-def: $vgpr10_vgpr11
.LBB94_595:
	s_delay_alu instid0(SALU_CYCLE_1)
	s_and_not1_b32 vcc_lo, exec_lo, s1
	s_cbranch_vccnz .LBB94_597
; %bb.596:
	s_wait_loadcnt 0x0
	global_load_b32 v10, v[8:9], off
	s_wait_loadcnt 0x0
	v_trunc_f32_e32 v10, v10
	s_delay_alu instid0(VALU_DEP_1) | instskip(NEXT) | instid1(VALU_DEP_1)
	v_mul_f32_e64 v11, 0x2f800000, |v10|
	v_floor_f32_e32 v11, v11
	s_delay_alu instid0(VALU_DEP_1) | instskip(SKIP_2) | instid1(VALU_DEP_3)
	v_fma_f32 v12, 0xcf800000, v11, |v10|
	v_ashrrev_i32_e32 v10, 31, v10
	v_cvt_u32_f32_e32 v13, v11
	v_cvt_u32_f32_e32 v12, v12
	s_delay_alu instid0(VALU_DEP_2) | instskip(NEXT) | instid1(VALU_DEP_2)
	v_dual_mov_b32 v11, v10 :: v_dual_bitop2_b32 v13, v13, v10 bitop3:0x14
	v_xor_b32_e32 v12, v12, v10
	s_delay_alu instid0(VALU_DEP_1)
	v_sub_nc_u64_e32 v[10:11], v[12:13], v[10:11]
.LBB94_597:
	s_mov_b32 s1, 0
.LBB94_598:
	s_delay_alu instid0(SALU_CYCLE_1)
	s_and_not1_b32 vcc_lo, exec_lo, s1
	s_cbranch_vccnz .LBB94_600
; %bb.599:
	s_wait_loadcnt 0x0
	global_load_u16 v10, v[8:9], off
	s_wait_loadcnt 0x0
	v_cvt_f32_f16_e32 v10, v10
	s_delay_alu instid0(VALU_DEP_1) | instskip(NEXT) | instid1(VALU_DEP_1)
	v_cvt_i32_f32_e32 v10, v10
	v_ashrrev_i32_e32 v11, 31, v10
.LBB94_600:
	s_mov_b32 s1, 0
.LBB94_601:
	s_delay_alu instid0(SALU_CYCLE_1)
	s_and_not1_b32 vcc_lo, exec_lo, s1
	s_cbranch_vccnz .LBB94_621
; %bb.602:
	s_cmp_lt_i32 s0, 2
	s_cbranch_scc1 .LBB94_606
; %bb.603:
	s_cmp_lt_i32 s0, 3
	s_cbranch_scc1 .LBB94_607
; %bb.604:
	s_cmp_gt_i32 s0, 3
	s_cbranch_scc0 .LBB94_608
; %bb.605:
	s_wait_loadcnt 0x0
	global_load_b64 v[10:11], v[8:9], off
	s_mov_b32 s1, 0
	s_branch .LBB94_609
.LBB94_606:
	s_mov_b32 s1, -1
                                        ; implicit-def: $vgpr10_vgpr11
	s_branch .LBB94_615
.LBB94_607:
	s_mov_b32 s1, -1
                                        ; implicit-def: $vgpr10_vgpr11
	s_branch .LBB94_612
.LBB94_608:
	s_mov_b32 s1, -1
                                        ; implicit-def: $vgpr10_vgpr11
.LBB94_609:
	s_delay_alu instid0(SALU_CYCLE_1)
	s_and_not1_b32 vcc_lo, exec_lo, s1
	s_cbranch_vccnz .LBB94_611
; %bb.610:
	s_wait_loadcnt 0x0
	global_load_b32 v10, v[8:9], off
	s_wait_loadcnt 0x0
	v_ashrrev_i32_e32 v11, 31, v10
.LBB94_611:
	s_mov_b32 s1, 0
.LBB94_612:
	s_delay_alu instid0(SALU_CYCLE_1)
	s_and_not1_b32 vcc_lo, exec_lo, s1
	s_cbranch_vccnz .LBB94_614
; %bb.613:
	s_wait_loadcnt 0x0
	global_load_u16 v10, v[8:9], off
	s_wait_loadcnt 0x0
	v_bfe_i32 v10, v10, 0, 16
	s_delay_alu instid0(VALU_DEP_1)
	v_ashrrev_i32_e32 v11, 31, v10
.LBB94_614:
	s_mov_b32 s1, 0
.LBB94_615:
	s_delay_alu instid0(SALU_CYCLE_1)
	s_and_not1_b32 vcc_lo, exec_lo, s1
	s_cbranch_vccnz .LBB94_621
; %bb.616:
	s_cmp_gt_i32 s0, 0
	s_mov_b32 s0, 0
	s_cbranch_scc0 .LBB94_618
; %bb.617:
	s_wait_loadcnt 0x0
	global_load_i8 v10, v[8:9], off
	s_wait_loadcnt 0x0
	v_bfe_i32 v10, v10, 0, 16
	s_delay_alu instid0(VALU_DEP_1)
	v_ashrrev_i32_e32 v11, 31, v10
	s_branch .LBB94_619
.LBB94_618:
	s_mov_b32 s0, -1
                                        ; implicit-def: $vgpr10_vgpr11
.LBB94_619:
	s_delay_alu instid0(SALU_CYCLE_1)
	s_and_not1_b32 vcc_lo, exec_lo, s0
	s_cbranch_vccnz .LBB94_621
; %bb.620:
	global_load_u8 v8, v[8:9], off
	s_mov_b32 s0, 0
	s_wait_loadcnt 0x1
	v_mov_b32_e32 v11, s0
	s_wait_loadcnt 0x0
	v_and_b32_e32 v10, 0xffff, v8
.LBB94_621:
	s_mov_b32 s31, -1
.LBB94_622:
	s_delay_alu instid0(SALU_CYCLE_1)
	s_and_not1_b32 vcc_lo, exec_lo, s31
	s_cbranch_vccnz .LBB94_628
; %bb.623:
	s_wait_loadcnt 0x0
	v_cmp_eq_u64_e32 vcc_lo, s[4:5], v[0:1]
	s_mov_b32 s1, -1
	s_mov_b32 s0, 0
	s_mov_b32 s31, 0
	;; [unrolled: 1-line block ×5, first 2 shown]
	s_and_b32 s41, s52, vcc_lo
	s_delay_alu instid0(SALU_CYCLE_1)
	s_and_saveexec_b32 s56, s41
	s_cbranch_execz .LBB94_3937
; %bb.624:
	v_cmp_eq_u64_e32 vcc_lo, s[8:9], v[2:3]
	s_and_b32 s31, s51, vcc_lo
	s_delay_alu instid0(SALU_CYCLE_1)
	s_and_saveexec_b32 s59, s31
	s_cbranch_execz .LBB94_1919
; %bb.625:
	v_sub_nc_u64_e32 v[0:1], v[6:7], v[4:5]
	s_mov_b32 s31, 0
	s_delay_alu instid0(VALU_DEP_1)
	v_cmp_le_i64_e32 vcc_lo, s[4:5], v[0:1]
	v_cmp_ge_i64_e64 s0, s[6:7], v[0:1]
	s_and_b32 s38, vcc_lo, s0
	s_mov_b32 s0, 0
	s_and_b32 s39, s50, s38
	s_mov_b32 s38, 0
	s_and_saveexec_b32 s60, s39
	s_cbranch_execz .LBB94_1918
; %bb.626:
	v_cmp_lt_i64_e64 s0, s[8:9], 1
	v_mov_b64_e32 v[0:1], 0
	s_xor_b32 s1, s37, -1
	s_delay_alu instid0(SALU_CYCLE_1) | instskip(NEXT) | instid1(SALU_CYCLE_1)
	s_or_b32 s0, s0, s1
	s_and_b32 vcc_lo, exec_lo, s0
	s_cbranch_vccnz .LBB94_662
; %bb.627:
	v_mul_u64_e32 v[8:9], s[8:9], v[10:11]
	s_mov_b32 s1, 0
	v_mov_b64_e32 v[0:1], 0
	s_mov_b32 s31, s1
	v_mov_b32_e32 v2, 0
	s_lshl_b64 s[40:41], s[30:31], 3
	s_mov_b64 s[38:39], 0xffffffff
	s_add_nc_u64 s[40:41], s[28:29], s[40:41]
	s_mov_b32 s31, s10
	s_add_nc_u64 s[40:41], s[40:41], 0x68
	s_branch .LBB94_643
.LBB94_628:
	s_mov_b32 s0, 0
	s_mov_b32 s1, 0
	;; [unrolled: 1-line block ×6, first 2 shown]
                                        ; implicit-def: $vgpr26
.LBB94_629:
	s_delay_alu instid0(SALU_CYCLE_1)
	s_and_b32 s56, s40, exec_lo
	s_and_b32 s59, s39, exec_lo
	;; [unrolled: 1-line block ×10, first 2 shown]
	s_or_not1_b32 s1, s0, exec_lo
.LBB94_630:
	s_wait_xcnt 0x0
	s_or_b32 exec_lo, exec_lo, s68
	s_mov_b32 s38, 0
	s_mov_b32 s31, 0
                                        ; implicit-def: $sgpr0
                                        ; implicit-def: $vgpr2_vgpr3
                                        ; implicit-def: $vgpr0_vgpr1
	s_and_saveexec_b32 s68, s1
	s_cbranch_execz .LBB94_639
; %bb.631:
	s_mov_b32 s39, -1
	s_mov_b32 s69, s67
	s_mov_b32 s71, s66
	;; [unrolled: 1-line block ×10, first 2 shown]
	s_mov_b32 s79, exec_lo
	v_cmpx_gt_i32_e64 s57, v26
	s_cbranch_execz .LBB94_1299
; %bb.632:
	s_wait_loadcnt 0x0
	v_mul_lo_u32 v0, s24, v26
	s_and_b32 s0, s58, 0xff
	s_delay_alu instid0(SALU_CYCLE_1) | instskip(NEXT) | instid1(VALU_DEP_1)
	s_cmp_lt_i32 s0, 11
	v_ashrrev_i32_e32 v1, 31, v0
	s_delay_alu instid0(VALU_DEP_1)
	v_add_nc_u64_e32 v[2:3], s[12:13], v[0:1]
	s_cbranch_scc1 .LBB94_647
; %bb.633:
	s_and_b32 s1, 0xffff, s0
	s_delay_alu instid0(SALU_CYCLE_1)
	s_cmp_gt_i32 s1, 25
	s_cbranch_scc0 .LBB94_656
; %bb.634:
	s_cmp_gt_i32 s1, 28
	s_cbranch_scc0 .LBB94_658
; %bb.635:
	;; [unrolled: 3-line block ×4, first 2 shown]
	s_cmp_eq_u32 s1, 46
	s_cbranch_scc0 .LBB94_678
; %bb.638:
	global_load_b32 v0, v[2:3], off
	s_mov_b32 s31, -1
	s_mov_b32 s69, 0
	s_wait_loadcnt 0x0
	v_lshlrev_b32_e32 v0, 16, v0
	s_delay_alu instid0(VALU_DEP_1) | instskip(NEXT) | instid1(VALU_DEP_1)
	v_trunc_f32_e32 v0, v0
	v_mul_f32_e64 v1, 0x2f800000, |v0|
	s_delay_alu instid0(VALU_DEP_1) | instskip(NEXT) | instid1(VALU_DEP_1)
	v_floor_f32_e32 v1, v1
	v_fma_f32 v4, 0xcf800000, v1, |v0|
	v_ashrrev_i32_e32 v0, 31, v0
	v_cvt_u32_f32_e32 v5, v1
	s_delay_alu instid0(VALU_DEP_3) | instskip(NEXT) | instid1(VALU_DEP_2)
	v_cvt_u32_f32_e32 v4, v4
	v_dual_mov_b32 v1, v0 :: v_dual_bitop2_b32 v5, v5, v0 bitop3:0x14
	s_delay_alu instid0(VALU_DEP_2) | instskip(NEXT) | instid1(VALU_DEP_1)
	v_xor_b32_e32 v4, v4, v0
	v_sub_nc_u64_e32 v[0:1], v[4:5], v[0:1]
	s_branch .LBB94_680
.LBB94_639:
	s_or_b32 exec_lo, exec_lo, s68
	s_mov_b32 s1, 0
	s_and_saveexec_b32 s12, s67
	s_cbranch_execnz .LBB94_2140
.LBB94_640:
	s_or_b32 exec_lo, exec_lo, s12
	s_and_saveexec_b32 s12, s69
	s_delay_alu instid0(SALU_CYCLE_1)
	s_xor_b32 s12, exec_lo, s12
	s_cbranch_execz .LBB94_2141
.LBB94_641:
	s_wait_loadcnt 0x0
	global_load_u8 v0, v[2:3], off
	s_mov_b32 s13, 0
	s_or_b32 s31, s31, exec_lo
	v_mov_b32_e32 v1, s13
	s_wait_loadcnt 0x0
	v_cmp_ne_u16_e32 vcc_lo, 0, v0
	v_cndmask_b32_e64 v0, 0, 1, vcc_lo
	s_wait_xcnt 0x0
	s_or_b32 exec_lo, exec_lo, s12
	s_and_saveexec_b32 s12, s38
	s_cbranch_execz .LBB94_2187
	s_branch .LBB94_2142
.LBB94_642:                             ;   in Loop: Header=BB94_643 Depth=1
	s_or_b32 exec_lo, exec_lo, s0
	s_delay_alu instid0(VALU_DEP_1)
	v_mul_u64_e32 v[12:13], s[42:43], v[10:11]
	s_load_b64 s[42:43], s[40:41], 0x40
	s_add_co_i32 s31, s31, -1
	s_wait_xcnt 0x0
	s_add_nc_u64 s[40:41], s[40:41], -8
	s_cmp_eq_u32 s31, 0
	s_delay_alu instid0(VALU_DEP_1) | instskip(SKIP_1) | instid1(VALU_DEP_1)
	v_sub_nc_u64_e32 v[8:9], v[8:9], v[12:13]
	s_wait_kmcnt 0x0
	v_mad_nc_u64_u32 v[0:1], v8, s42, v[0:1]
	s_delay_alu instid0(VALU_DEP_1) | instskip(NEXT) | instid1(VALU_DEP_1)
	v_mad_u32 v1, v9, s42, v1
	v_mad_u32 v1, v8, s43, v1
	v_mov_b64_e32 v[8:9], v[10:11]
	s_cbranch_scc1 .LBB94_662
.LBB94_643:                             ; =>This Inner Loop Header: Depth=1
	s_load_b64 s[42:43], s[40:41], 0x0
                                        ; implicit-def: $vgpr10_vgpr11
	s_mov_b32 s0, exec_lo
	s_wait_kmcnt 0x0
	s_delay_alu instid0(VALU_DEP_1) | instskip(NEXT) | instid1(VALU_DEP_1)
	v_or_b32_e32 v3, s43, v9
	v_cmpx_ne_u64_e32 0, v[2:3]
	s_xor_b32 s61, exec_lo, s0
	s_cbranch_execz .LBB94_645
; %bb.644:                              ;   in Loop: Header=BB94_643 Depth=1
	s_ashr_i32 s44, s43, 31
	v_dual_mov_b32 v15, v2 :: v_dual_ashrrev_i32 v10, 31, v9
	s_mov_b32 s45, s44
	v_mov_b32_e32 v23, v2
	s_add_nc_u64 s[46:47], s[42:43], s[44:45]
	s_delay_alu instid0(VALU_DEP_2) | instskip(SKIP_1) | instid1(SALU_CYCLE_1)
	v_mov_b32_e32 v11, v10
	s_xor_b64 s[46:47], s[46:47], s[44:45]
	s_cvt_f32_u32 s0, s46
	s_cvt_f32_u32 s45, s47
	s_sub_nc_u64 s[72:73], 0, s[46:47]
	v_add_nc_u64_e32 v[12:13], v[8:9], v[10:11]
	v_mov_b32_e32 v19, v2
	s_fmamk_f32 s0, s45, 0x4f800000, s0
	s_delay_alu instid0(SALU_CYCLE_3) | instskip(NEXT) | instid1(VALU_DEP_2)
	v_s_rcp_f32 s0, s0
	v_xor_b32_e32 v14, v12, v10
	s_delay_alu instid0(VALU_DEP_3) | instskip(NEXT) | instid1(TRANS32_DEP_1)
	v_xor_b32_e32 v18, v13, v10
	s_mul_f32 s0, s0, 0x5f7ffffc
	s_delay_alu instid0(SALU_CYCLE_3) | instskip(NEXT) | instid1(SALU_CYCLE_3)
	s_mul_f32 s45, s0, 0x2f800000
	s_trunc_f32 s45, s45
	s_delay_alu instid0(SALU_CYCLE_3) | instskip(SKIP_1) | instid1(SALU_CYCLE_2)
	s_fmamk_f32 s0, s45, 0xcf800000, s0
	s_cvt_u32_f32 s71, s45
	s_cvt_u32_f32 s70, s0
	s_delay_alu instid0(SALU_CYCLE_3) | instskip(NEXT) | instid1(SALU_CYCLE_1)
	s_mul_u64 s[74:75], s[72:73], s[70:71]
	s_mul_hi_u32 s77, s70, s75
	s_mul_i32 s76, s70, s75
	s_mul_hi_u32 s0, s70, s74
	s_mul_i32 s62, s71, s74
	s_add_nc_u64 s[76:77], s[0:1], s[76:77]
	s_mul_hi_u32 s45, s71, s74
	s_mul_hi_u32 s78, s71, s75
	s_add_co_u32 s0, s76, s62
	s_add_co_ci_u32 s0, s77, s45
	s_mul_i32 s74, s71, s75
	s_add_co_ci_u32 s75, s78, 0
	s_delay_alu instid0(SALU_CYCLE_1) | instskip(NEXT) | instid1(SALU_CYCLE_1)
	s_add_nc_u64 s[74:75], s[0:1], s[74:75]
	s_add_co_u32 s70, s70, s74
	s_cselect_b32 s0, -1, 0
	s_delay_alu instid0(SALU_CYCLE_1) | instskip(SKIP_1) | instid1(SALU_CYCLE_1)
	s_cmp_lg_u32 s0, 0
	s_add_co_ci_u32 s71, s71, s75
	s_mul_u64 s[72:73], s[72:73], s[70:71]
	s_delay_alu instid0(SALU_CYCLE_1)
	s_mul_hi_u32 s75, s70, s73
	s_mul_i32 s74, s70, s73
	s_mul_hi_u32 s0, s70, s72
	s_mul_i32 s62, s71, s72
	s_add_nc_u64 s[74:75], s[0:1], s[74:75]
	s_mul_hi_u32 s45, s71, s72
	s_mul_hi_u32 s76, s71, s73
	s_add_co_u32 s0, s74, s62
	s_add_co_ci_u32 s0, s75, s45
	s_mul_i32 s72, s71, s73
	s_add_co_ci_u32 s73, s76, 0
	s_delay_alu instid0(SALU_CYCLE_1) | instskip(NEXT) | instid1(SALU_CYCLE_1)
	s_add_nc_u64 s[72:73], s[0:1], s[72:73]
	s_add_co_u32 s62, s70, s72
	s_cselect_b32 s0, -1, 0
	v_mul_hi_u32 v22, v14, s62
	s_cmp_lg_u32 s0, 0
	s_add_co_ci_u32 s0, s71, s73
	s_and_b64 s[70:71], s[62:63], s[38:39]
	v_mul_u64_e32 v[16:17], s[0:1], v[14:15]
	v_mul_u64_e32 v[12:13], s[70:71], v[18:19]
	;; [unrolled: 1-line block ×3, first 2 shown]
	s_delay_alu instid0(VALU_DEP_3) | instskip(NEXT) | instid1(VALU_DEP_1)
	v_add_nc_u64_e32 v[16:17], v[22:23], v[16:17]
	v_add_co_u32 v3, vcc_lo, v16, v12
	s_delay_alu instid0(VALU_DEP_2) | instskip(NEXT) | instid1(VALU_DEP_4)
	v_add_co_ci_u32_e32 v22, vcc_lo, v17, v13, vcc_lo
	v_add_co_ci_u32_e32 v21, vcc_lo, 0, v21, vcc_lo
	s_delay_alu instid0(VALU_DEP_1) | instskip(NEXT) | instid1(VALU_DEP_1)
	v_add_nc_u64_e32 v[12:13], v[22:23], v[20:21]
	v_mul_u64_e32 v[16:17], s[46:47], v[12:13]
	s_delay_alu instid0(VALU_DEP_1) | instskip(NEXT) | instid1(VALU_DEP_2)
	v_sub_nc_u32_e32 v3, v18, v17
	v_sub_co_u32 v11, vcc_lo, v14, v16
	s_delay_alu instid0(VALU_DEP_1) | instskip(NEXT) | instid1(VALU_DEP_3)
	v_sub_co_ci_u32_e64 v18, null, v18, v17, vcc_lo
	v_subrev_co_ci_u32_e64 v3, null, s47, v3, vcc_lo
	s_delay_alu instid0(VALU_DEP_3) | instskip(SKIP_1) | instid1(VALU_DEP_3)
	v_sub_co_u32 v14, s0, v11, s46
	v_add_nc_u64_e32 v[16:17], 1, v[12:13]
	v_subrev_co_ci_u32_e64 v3, null, 0, v3, s0
	s_delay_alu instid0(VALU_DEP_3) | instskip(SKIP_1) | instid1(VALU_DEP_3)
	v_cmp_le_u32_e32 vcc_lo, s46, v14
	v_cndmask_b32_e64 v14, 0, -1, vcc_lo
	v_cmp_le_u32_e32 vcc_lo, s47, v3
	v_cndmask_b32_e64 v15, 0, -1, vcc_lo
	;; [unrolled: 2-line block ×4, first 2 shown]
	v_cmp_eq_u32_e32 vcc_lo, s47, v3
	v_cndmask_b32_e32 v3, v15, v14, vcc_lo
	v_cmp_eq_u32_e32 vcc_lo, s47, v18
	v_add_nc_u64_e32 v[14:15], 2, v[12:13]
	v_cndmask_b32_e32 v11, v19, v11, vcc_lo
	s_delay_alu instid0(VALU_DEP_4) | instskip(NEXT) | instid1(VALU_DEP_2)
	v_cmp_ne_u32_e32 vcc_lo, 0, v3
	v_cmp_ne_u32_e64 s0, 0, v11
	s_delay_alu instid0(VALU_DEP_4) | instskip(NEXT) | instid1(VALU_DEP_1)
	v_dual_cndmask_b32 v3, v17, v15, vcc_lo :: v_dual_cndmask_b32 v11, v16, v14, vcc_lo
	v_dual_cndmask_b32 v3, v13, v3, s0 :: v_dual_bitop2_b32 v10, s44, v10 bitop3:0x14
	s_delay_alu instid0(VALU_DEP_1) | instskip(NEXT) | instid1(VALU_DEP_2)
	v_dual_cndmask_b32 v12, v12, v11, s0 :: v_dual_mov_b32 v11, v10
	v_xor_b32_e32 v13, v3, v10
	s_delay_alu instid0(VALU_DEP_2) | instskip(NEXT) | instid1(VALU_DEP_1)
	v_xor_b32_e32 v12, v12, v10
	v_sub_nc_u64_e32 v[10:11], v[12:13], v[10:11]
.LBB94_645:                             ;   in Loop: Header=BB94_643 Depth=1
	s_and_not1_saveexec_b32 s0, s61
	s_cbranch_execz .LBB94_642
; %bb.646:                              ;   in Loop: Header=BB94_643 Depth=1
	v_cvt_f32_u32_e32 v3, s42
	s_sub_co_i32 s44, 0, s42
	s_delay_alu instid0(VALU_DEP_1) | instskip(SKIP_1) | instid1(TRANS32_DEP_1)
	v_rcp_iflag_f32_e32 v3, v3
	v_nop
	v_mul_f32_e32 v3, 0x4f7ffffe, v3
	s_delay_alu instid0(VALU_DEP_1) | instskip(NEXT) | instid1(VALU_DEP_1)
	v_cvt_u32_f32_e32 v3, v3
	v_mul_lo_u32 v10, s44, v3
	s_delay_alu instid0(VALU_DEP_1) | instskip(NEXT) | instid1(VALU_DEP_1)
	v_mul_hi_u32 v10, v3, v10
	v_add_nc_u32_e32 v3, v3, v10
	s_delay_alu instid0(VALU_DEP_1) | instskip(NEXT) | instid1(VALU_DEP_1)
	v_mul_hi_u32 v3, v8, v3
	v_mul_lo_u32 v10, v3, s42
	s_delay_alu instid0(VALU_DEP_1) | instskip(NEXT) | instid1(VALU_DEP_1)
	v_dual_add_nc_u32 v11, 1, v3 :: v_dual_sub_nc_u32 v10, v8, v10
	v_subrev_nc_u32_e32 v12, s42, v10
	v_cmp_le_u32_e32 vcc_lo, s42, v10
	s_delay_alu instid0(VALU_DEP_2) | instskip(NEXT) | instid1(VALU_DEP_1)
	v_dual_cndmask_b32 v10, v10, v12 :: v_dual_cndmask_b32 v3, v3, v11
	v_cmp_le_u32_e32 vcc_lo, s42, v10
	s_delay_alu instid0(VALU_DEP_2) | instskip(NEXT) | instid1(VALU_DEP_1)
	v_add_nc_u32_e32 v11, 1, v3
	v_dual_cndmask_b32 v10, v3, v11 :: v_dual_mov_b32 v11, v2
	s_branch .LBB94_642
.LBB94_647:
	s_mov_b32 s69, s67
                                        ; implicit-def: $vgpr0_vgpr1
	s_cbranch_execnz .LBB94_742
.LBB94_648:
	s_and_not1_b32 vcc_lo, exec_lo, s31
	s_cbranch_vccnz .LBB94_790
.LBB94_649:
	s_wait_xcnt 0x0
	v_mul_lo_u32 v2, s25, v26
	s_and_b32 s0, s55, 0xff
	s_delay_alu instid0(SALU_CYCLE_1) | instskip(NEXT) | instid1(VALU_DEP_1)
	s_cmp_lt_i32 s0, 11
	v_ashrrev_i32_e32 v3, 31, v2
	s_delay_alu instid0(VALU_DEP_1)
	v_add_nc_u64_e32 v[4:5], s[14:15], v[2:3]
	s_cbranch_scc1 .LBB94_657
; %bb.650:
	s_and_b32 s1, 0xffff, s0
	s_delay_alu instid0(SALU_CYCLE_1)
	s_cmp_gt_i32 s1, 25
	s_cbranch_scc0 .LBB94_659
; %bb.651:
	s_cmp_gt_i32 s1, 28
	s_cbranch_scc0 .LBB94_661
; %bb.652:
	s_cmp_gt_i32 s1, 43
	s_cbranch_scc0 .LBB94_668
; %bb.653:
	s_cmp_gt_i32 s1, 45
	s_cbranch_scc0 .LBB94_683
; %bb.654:
	s_cmp_eq_u32 s1, 46
	s_mov_b32 s38, 0
	s_cbranch_scc0 .LBB94_792
; %bb.655:
	global_load_b32 v2, v[4:5], off
	s_mov_b32 s31, -1
	s_mov_b32 s71, 0
	s_wait_loadcnt 0x0
	v_lshlrev_b32_e32 v2, 16, v2
	s_delay_alu instid0(VALU_DEP_1) | instskip(NEXT) | instid1(VALU_DEP_1)
	v_trunc_f32_e32 v2, v2
	v_mul_f32_e64 v3, 0x2f800000, |v2|
	s_delay_alu instid0(VALU_DEP_1) | instskip(NEXT) | instid1(VALU_DEP_1)
	v_floor_f32_e32 v3, v3
	v_fma_f32 v6, 0xcf800000, v3, |v2|
	v_ashrrev_i32_e32 v2, 31, v2
	v_cvt_u32_f32_e32 v7, v3
	s_delay_alu instid0(VALU_DEP_3) | instskip(NEXT) | instid1(VALU_DEP_2)
	v_cvt_u32_f32_e32 v6, v6
	v_dual_mov_b32 v3, v2 :: v_dual_bitop2_b32 v7, v7, v2 bitop3:0x14
	s_delay_alu instid0(VALU_DEP_2) | instskip(NEXT) | instid1(VALU_DEP_1)
	v_xor_b32_e32 v6, v6, v2
	v_sub_nc_u64_e32 v[2:3], v[6:7], v[2:3]
	s_branch .LBB94_794
.LBB94_656:
	s_mov_b32 s38, -1
	s_mov_b32 s69, s67
                                        ; implicit-def: $vgpr0_vgpr1
	s_branch .LBB94_708
.LBB94_657:
	s_mov_b32 s1, -1
	s_mov_b32 s31, 0
	s_mov_b32 s71, s66
                                        ; implicit-def: $vgpr2_vgpr3
	s_branch .LBB94_855
.LBB94_658:
	s_mov_b32 s38, -1
	s_mov_b32 s69, s67
                                        ; implicit-def: $vgpr0_vgpr1
	s_branch .LBB94_691
.LBB94_659:
	s_mov_b32 s38, -1
	s_mov_b32 s31, 0
	s_mov_b32 s71, s66
                                        ; implicit-def: $vgpr2_vgpr3
	s_branch .LBB94_821
.LBB94_660:
	s_mov_b32 s38, -1
	s_mov_b32 s69, s67
                                        ; implicit-def: $vgpr0_vgpr1
	s_branch .LBB94_686
.LBB94_661:
	s_mov_b32 s38, -1
	s_mov_b32 s31, 0
	s_mov_b32 s71, s66
                                        ; implicit-def: $vgpr2_vgpr3
	s_branch .LBB94_804
.LBB94_662:
	s_mov_b32 s39, -1
	s_mov_b32 s31, 0
	s_mov_b32 s0, 0
	s_mov_b32 s1, exec_lo
	v_cmpx_gt_i64_e64 v[6:7], v[4:5]
	s_cbranch_execz .LBB94_670
; %bb.663:
	s_delay_alu instid0(VALU_DEP_2) | instskip(SKIP_1) | instid1(VALU_DEP_1)
	v_lshlrev_b64_e32 v[0:1], 3, v[0:1]
	s_xor_b32 s39, s11, -1
                                        ; implicit-def: $sgpr38
                                        ; implicit-def: $sgpr41
                                        ; implicit-def: $sgpr40
	v_lshl_add_u64 v[2:3], v[4:5], 3, v[0:1]
	v_add_nc_u64_e32 v[4:5], s[20:21], v[0:1]
	s_delay_alu instid0(VALU_DEP_2) | instskip(NEXT) | instid1(VALU_DEP_1)
	v_add_nc_u64_e32 v[2:3], s[20:21], v[2:3]
	v_add_nc_u64_e32 v[0:1], 8, v[2:3]
	s_delay_alu instid0(VALU_DEP_3)
	v_lshl_add_u64 v[2:3], v[6:7], 3, v[4:5]
	s_branch .LBB94_665
.LBB94_664:                             ;   in Loop: Header=BB94_665 Depth=1
	s_or_b32 exec_lo, exec_lo, s42
	s_delay_alu instid0(SALU_CYCLE_1) | instskip(NEXT) | instid1(SALU_CYCLE_1)
	s_and_b32 s42, exec_lo, s41
	s_or_b32 s0, s42, s0
	s_and_not1_b32 s38, s38, exec_lo
	s_and_b32 s42, s40, exec_lo
	s_delay_alu instid0(SALU_CYCLE_1)
	s_or_b32 s38, s38, s42
	s_and_not1_b32 exec_lo, exec_lo, s0
	s_cbranch_execz .LBB94_669
.LBB94_665:                             ; =>This Inner Loop Header: Depth=1
	s_or_b32 s40, s40, exec_lo
	s_or_b32 s41, s41, exec_lo
	s_mov_b32 s42, exec_lo
	s_delay_alu instid0(VALU_DEP_2)
	v_cmpx_lt_u64_e64 v[0:1], v[2:3]
	s_cbranch_execz .LBB94_664
; %bb.666:                              ;   in Loop: Header=BB94_665 Depth=1
	global_load_b128 v[4:7], v[0:1], off offset:-8
	s_wait_xcnt 0x0
	v_add_nc_u64_e32 v[0:1], 8, v[0:1]
	s_and_not1_b32 s41, s41, exec_lo
	s_and_not1_b32 s40, s40, exec_lo
	s_wait_loadcnt 0x0
	v_cmp_ge_i64_e32 vcc_lo, v[4:5], v[6:7]
	s_or_b32 s43, s39, vcc_lo
	s_delay_alu instid0(SALU_CYCLE_1) | instskip(NEXT) | instid1(SALU_CYCLE_1)
	s_and_b32 s43, s43, exec_lo
	s_or_b32 s41, s41, s43
	s_branch .LBB94_664
.LBB94_667:
	s_mov_b32 s38, -1
	s_mov_b32 s69, s67
	s_branch .LBB94_679
.LBB94_668:
	s_mov_b32 s38, -1
	s_mov_b32 s31, 0
	s_mov_b32 s71, s66
                                        ; implicit-def: $vgpr2_vgpr3
	s_branch .LBB94_799
.LBB94_669:
	s_or_b32 exec_lo, exec_lo, s0
	s_delay_alu instid0(SALU_CYCLE_1)
	s_mov_b32 s0, exec_lo
	s_or_not1_b32 s39, s38, exec_lo
.LBB94_670:
	s_or_b32 exec_lo, exec_lo, s1
	s_mov_b32 s38, 0
	s_and_saveexec_b32 s1, s39
	s_cbranch_execz .LBB94_1917
; %bb.671:
	v_mul_lo_u32 v0, s33, v26
	s_and_b32 s38, s22, 0xff
	s_delay_alu instid0(SALU_CYCLE_1) | instskip(NEXT) | instid1(VALU_DEP_1)
	s_cmp_lt_i32 s38, 11
	v_ashrrev_i32_e32 v1, 31, v0
	s_delay_alu instid0(VALU_DEP_1)
	v_add_nc_u64_e32 v[0:1], s[2:3], v[0:1]
	s_cbranch_scc1 .LBB94_791
; %bb.672:
	s_and_b32 s39, 0xffff, s38
	s_delay_alu instid0(SALU_CYCLE_1)
	s_cmp_gt_i32 s39, 25
	s_cbranch_scc0 .LBB94_918
; %bb.673:
	s_cmp_gt_i32 s39, 28
	s_cbranch_scc0 .LBB94_1045
; %bb.674:
	;; [unrolled: 3-line block ×4, first 2 shown]
	s_mov_b32 s41, 0
	s_mov_b32 s31, -1
	s_cmp_eq_u32 s39, 46
	s_mov_b32 s40, 0
	s_cbranch_scc0 .LBB94_1835
; %bb.677:
	v_mov_b32_e32 v2, 0
	s_mov_b32 s40, -1
	s_mov_b32 s31, 0
	global_store_b32 v[0:1], v2, off
	s_branch .LBB94_1835
.LBB94_678:
	s_mov_b32 s69, -1
.LBB94_679:
                                        ; implicit-def: $vgpr0_vgpr1
.LBB94_680:
	s_and_b32 vcc_lo, exec_lo, s38
	s_cbranch_vccz .LBB94_685
; %bb.681:
	s_cmp_eq_u32 s1, 44
	s_cbranch_scc0 .LBB94_684
; %bb.682:
	global_load_u8 v6, v[2:3], off
	s_mov_b32 s69, 0
	s_mov_b32 s31, -1
	s_wait_loadcnt 0x0
	v_cmp_ne_u32_e32 vcc_lo, 0, v6
	v_lshlrev_b32_e32 v0, 23, v6
	s_delay_alu instid0(VALU_DEP_1) | instskip(NEXT) | instid1(VALU_DEP_1)
	v_trunc_f32_e32 v0, v0
	v_mul_f32_e64 v1, 0x2f800000, |v0|
	s_delay_alu instid0(VALU_DEP_1) | instskip(NEXT) | instid1(VALU_DEP_1)
	v_floor_f32_e32 v1, v1
	v_fma_f32 v4, 0xcf800000, v1, |v0|
	v_ashrrev_i32_e32 v0, 31, v0
	v_cvt_u32_f32_e32 v5, v1
	s_delay_alu instid0(VALU_DEP_3) | instskip(NEXT) | instid1(VALU_DEP_2)
	v_cvt_u32_f32_e32 v4, v4
	v_dual_mov_b32 v1, v0 :: v_dual_bitop2_b32 v5, v5, v0 bitop3:0x14
	s_delay_alu instid0(VALU_DEP_2) | instskip(NEXT) | instid1(VALU_DEP_1)
	v_xor_b32_e32 v4, v4, v0
	v_sub_nc_u64_e32 v[0:1], v[4:5], v[0:1]
	s_delay_alu instid0(VALU_DEP_1)
	v_dual_cndmask_b32 v1, 0, v1 :: v_dual_cndmask_b32 v0, 0, v0
	s_branch .LBB94_685
.LBB94_683:
	s_mov_b32 s38, -1
	s_mov_b32 s31, 0
	s_mov_b32 s71, s66
	s_branch .LBB94_793
.LBB94_684:
	s_mov_b32 s69, -1
                                        ; implicit-def: $vgpr0_vgpr1
.LBB94_685:
	s_mov_b32 s38, 0
.LBB94_686:
	s_delay_alu instid0(SALU_CYCLE_1)
	s_and_b32 vcc_lo, exec_lo, s38
	s_cbranch_vccz .LBB94_690
; %bb.687:
	s_cmp_eq_u32 s1, 29
	s_cbranch_scc0 .LBB94_689
; %bb.688:
	global_load_b64 v[0:1], v[2:3], off
	s_mov_b32 s31, -1
	s_mov_b32 s69, 0
	s_branch .LBB94_690
.LBB94_689:
	s_mov_b32 s69, -1
                                        ; implicit-def: $vgpr0_vgpr1
.LBB94_690:
	s_mov_b32 s38, 0
.LBB94_691:
	s_delay_alu instid0(SALU_CYCLE_1)
	s_and_b32 vcc_lo, exec_lo, s38
	s_cbranch_vccz .LBB94_707
; %bb.692:
	s_cmp_lt_i32 s1, 27
	s_cbranch_scc1 .LBB94_695
; %bb.693:
	s_cmp_gt_i32 s1, 27
	s_cbranch_scc0 .LBB94_696
; %bb.694:
	s_wait_loadcnt 0x0
	global_load_b32 v0, v[2:3], off
	v_mov_b32_e32 v1, 0
	s_mov_b32 s31, 0
	s_branch .LBB94_697
.LBB94_695:
	s_mov_b32 s31, -1
                                        ; implicit-def: $vgpr0_vgpr1
	s_branch .LBB94_700
.LBB94_696:
	s_mov_b32 s31, -1
                                        ; implicit-def: $vgpr0_vgpr1
.LBB94_697:
	s_delay_alu instid0(SALU_CYCLE_1)
	s_and_not1_b32 vcc_lo, exec_lo, s31
	s_cbranch_vccnz .LBB94_699
; %bb.698:
	s_wait_loadcnt 0x0
	global_load_u16 v0, v[2:3], off
	s_mov_b32 s31, 0
	s_delay_alu instid0(SALU_CYCLE_1)
	v_mov_b32_e32 v1, s31
	s_wait_loadcnt 0x0
	v_and_b32_e32 v0, 0xffff, v0
.LBB94_699:
	s_mov_b32 s31, 0
.LBB94_700:
	s_delay_alu instid0(SALU_CYCLE_1)
	s_and_not1_b32 vcc_lo, exec_lo, s31
	s_cbranch_vccnz .LBB94_706
; %bb.701:
	global_load_u8 v4, v[2:3], off
	s_mov_b32 s38, 0
	s_mov_b32 s31, exec_lo
	s_wait_loadcnt 0x0
	v_cmpx_lt_i16_e32 0x7f, v4
	s_xor_b32 s31, exec_lo, s31
	s_cbranch_execz .LBB94_718
; %bb.702:
	v_cmp_ne_u16_e32 vcc_lo, 0x80, v4
	s_and_b32 s38, vcc_lo, exec_lo
	s_and_not1_saveexec_b32 s31, s31
	s_cbranch_execnz .LBB94_719
.LBB94_703:
	s_or_b32 exec_lo, exec_lo, s31
	v_mov_b64_e32 v[0:1], 0
	s_and_saveexec_b32 s31, s38
	s_cbranch_execz .LBB94_705
.LBB94_704:
	v_and_b32_e32 v0, 0xffff, v4
	s_delay_alu instid0(VALU_DEP_1) | instskip(SKIP_1) | instid1(VALU_DEP_2)
	v_and_b32_e32 v1, 7, v0
	v_bfe_u32 v7, v0, 3, 4
	v_clz_i32_u32_e32 v5, v1
	s_delay_alu instid0(VALU_DEP_2) | instskip(NEXT) | instid1(VALU_DEP_2)
	v_cmp_eq_u32_e32 vcc_lo, 0, v7
	v_min_u32_e32 v5, 32, v5
	s_delay_alu instid0(VALU_DEP_1) | instskip(NEXT) | instid1(VALU_DEP_1)
	v_subrev_nc_u32_e32 v6, 28, v5
	v_dual_lshlrev_b32 v0, v6, v0 :: v_dual_sub_nc_u32 v5, 29, v5
	s_delay_alu instid0(VALU_DEP_1) | instskip(NEXT) | instid1(VALU_DEP_2)
	v_and_b32_e32 v0, 7, v0
	v_dual_cndmask_b32 v5, v7, v5 :: v_dual_lshlrev_b32 v4, 24, v4
	s_delay_alu instid0(VALU_DEP_2) | instskip(NEXT) | instid1(VALU_DEP_2)
	v_cndmask_b32_e32 v0, v1, v0, vcc_lo
	v_and_b32_e32 v1, 0x80000000, v4
	s_delay_alu instid0(VALU_DEP_3) | instskip(NEXT) | instid1(VALU_DEP_3)
	v_lshl_add_u32 v4, v5, 23, 0x3b800000
	v_lshlrev_b32_e32 v0, 20, v0
	s_delay_alu instid0(VALU_DEP_1) | instskip(NEXT) | instid1(VALU_DEP_1)
	v_or3_b32 v0, v1, v4, v0
	v_trunc_f32_e32 v0, v0
	s_delay_alu instid0(VALU_DEP_1) | instskip(NEXT) | instid1(VALU_DEP_1)
	v_mul_f32_e64 v1, 0x2f800000, |v0|
	v_floor_f32_e32 v1, v1
	s_delay_alu instid0(VALU_DEP_1) | instskip(SKIP_2) | instid1(VALU_DEP_3)
	v_fma_f32 v4, 0xcf800000, v1, |v0|
	v_ashrrev_i32_e32 v0, 31, v0
	v_cvt_u32_f32_e32 v5, v1
	v_cvt_u32_f32_e32 v4, v4
	s_delay_alu instid0(VALU_DEP_2) | instskip(NEXT) | instid1(VALU_DEP_2)
	v_dual_mov_b32 v1, v0 :: v_dual_bitop2_b32 v5, v5, v0 bitop3:0x14
	v_xor_b32_e32 v4, v4, v0
	s_delay_alu instid0(VALU_DEP_1)
	v_sub_nc_u64_e32 v[0:1], v[4:5], v[0:1]
.LBB94_705:
	s_or_b32 exec_lo, exec_lo, s31
.LBB94_706:
	s_mov_b32 s31, -1
.LBB94_707:
	s_mov_b32 s38, 0
.LBB94_708:
	s_delay_alu instid0(SALU_CYCLE_1)
	s_and_b32 vcc_lo, exec_lo, s38
	s_cbranch_vccz .LBB94_741
; %bb.709:
	s_cmp_gt_i32 s1, 22
	s_cbranch_scc0 .LBB94_717
; %bb.710:
	s_cmp_lt_i32 s1, 24
	s_cbranch_scc1 .LBB94_720
; %bb.711:
	s_cmp_gt_i32 s1, 24
	s_cbranch_scc0 .LBB94_721
; %bb.712:
	global_load_u8 v4, v[2:3], off
	s_mov_b32 s38, 0
	s_mov_b32 s31, exec_lo
	s_wait_loadcnt 0x0
	v_cmpx_lt_i16_e32 0x7f, v4
	s_xor_b32 s31, exec_lo, s31
	s_cbranch_execz .LBB94_733
; %bb.713:
	v_cmp_ne_u16_e32 vcc_lo, 0x80, v4
	s_and_b32 s38, vcc_lo, exec_lo
	s_and_not1_saveexec_b32 s31, s31
	s_cbranch_execnz .LBB94_734
.LBB94_714:
	s_or_b32 exec_lo, exec_lo, s31
	v_mov_b64_e32 v[0:1], 0
	s_and_saveexec_b32 s31, s38
	s_cbranch_execz .LBB94_716
.LBB94_715:
	v_and_b32_e32 v0, 0xffff, v4
	s_delay_alu instid0(VALU_DEP_1) | instskip(SKIP_1) | instid1(VALU_DEP_2)
	v_and_b32_e32 v1, 3, v0
	v_bfe_u32 v7, v0, 2, 5
	v_clz_i32_u32_e32 v5, v1
	s_delay_alu instid0(VALU_DEP_2) | instskip(NEXT) | instid1(VALU_DEP_2)
	v_cmp_eq_u32_e32 vcc_lo, 0, v7
	v_min_u32_e32 v5, 32, v5
	s_delay_alu instid0(VALU_DEP_1) | instskip(NEXT) | instid1(VALU_DEP_1)
	v_subrev_nc_u32_e32 v6, 29, v5
	v_dual_lshlrev_b32 v0, v6, v0 :: v_dual_sub_nc_u32 v5, 30, v5
	s_delay_alu instid0(VALU_DEP_1) | instskip(NEXT) | instid1(VALU_DEP_2)
	v_and_b32_e32 v0, 3, v0
	v_dual_cndmask_b32 v5, v7, v5 :: v_dual_lshlrev_b32 v4, 24, v4
	s_delay_alu instid0(VALU_DEP_2) | instskip(NEXT) | instid1(VALU_DEP_2)
	v_cndmask_b32_e32 v0, v1, v0, vcc_lo
	v_and_b32_e32 v1, 0x80000000, v4
	s_delay_alu instid0(VALU_DEP_3) | instskip(NEXT) | instid1(VALU_DEP_3)
	v_lshl_add_u32 v4, v5, 23, 0x37800000
	v_lshlrev_b32_e32 v0, 21, v0
	s_delay_alu instid0(VALU_DEP_1) | instskip(NEXT) | instid1(VALU_DEP_1)
	v_or3_b32 v0, v1, v4, v0
	v_trunc_f32_e32 v0, v0
	s_delay_alu instid0(VALU_DEP_1) | instskip(NEXT) | instid1(VALU_DEP_1)
	v_mul_f32_e64 v1, 0x2f800000, |v0|
	v_floor_f32_e32 v1, v1
	s_delay_alu instid0(VALU_DEP_1) | instskip(SKIP_2) | instid1(VALU_DEP_3)
	v_fma_f32 v4, 0xcf800000, v1, |v0|
	v_ashrrev_i32_e32 v0, 31, v0
	v_cvt_u32_f32_e32 v5, v1
	v_cvt_u32_f32_e32 v4, v4
	s_delay_alu instid0(VALU_DEP_2) | instskip(NEXT) | instid1(VALU_DEP_2)
	v_dual_mov_b32 v1, v0 :: v_dual_bitop2_b32 v5, v5, v0 bitop3:0x14
	v_xor_b32_e32 v4, v4, v0
	s_delay_alu instid0(VALU_DEP_1)
	v_sub_nc_u64_e32 v[0:1], v[4:5], v[0:1]
.LBB94_716:
	s_or_b32 exec_lo, exec_lo, s31
	s_mov_b32 s31, 0
	s_branch .LBB94_722
.LBB94_717:
	s_mov_b32 s38, -1
                                        ; implicit-def: $vgpr0_vgpr1
	s_branch .LBB94_728
.LBB94_718:
	s_and_not1_saveexec_b32 s31, s31
	s_cbranch_execz .LBB94_703
.LBB94_719:
	v_cmp_ne_u16_e32 vcc_lo, 0, v4
	s_and_not1_b32 s38, s38, exec_lo
	s_and_b32 s39, vcc_lo, exec_lo
	s_delay_alu instid0(SALU_CYCLE_1)
	s_or_b32 s38, s38, s39
	s_or_b32 exec_lo, exec_lo, s31
	v_mov_b64_e32 v[0:1], 0
	s_and_saveexec_b32 s31, s38
	s_cbranch_execnz .LBB94_704
	s_branch .LBB94_705
.LBB94_720:
	s_mov_b32 s31, -1
                                        ; implicit-def: $vgpr0_vgpr1
	s_branch .LBB94_725
.LBB94_721:
	s_mov_b32 s31, -1
                                        ; implicit-def: $vgpr0_vgpr1
.LBB94_722:
	s_delay_alu instid0(SALU_CYCLE_1)
	s_and_b32 vcc_lo, exec_lo, s31
	s_cbranch_vccz .LBB94_724
; %bb.723:
	s_wait_loadcnt 0x0
	global_load_u8 v0, v[2:3], off
	s_wait_loadcnt 0x0
	v_lshlrev_b32_e32 v0, 24, v0
	s_delay_alu instid0(VALU_DEP_1) | instskip(NEXT) | instid1(VALU_DEP_1)
	v_and_b32_e32 v1, 0x7f000000, v0
	v_clz_i32_u32_e32 v4, v1
	v_cmp_ne_u32_e32 vcc_lo, 0, v1
	v_add_nc_u32_e32 v6, 0x1000000, v1
	s_delay_alu instid0(VALU_DEP_3) | instskip(NEXT) | instid1(VALU_DEP_1)
	v_min_u32_e32 v4, 32, v4
	v_sub_nc_u32_e64 v4, v4, 4 clamp
	s_delay_alu instid0(VALU_DEP_1) | instskip(NEXT) | instid1(VALU_DEP_1)
	v_dual_lshlrev_b32 v5, v4, v1 :: v_dual_lshlrev_b32 v4, 23, v4
	v_lshrrev_b32_e32 v5, 4, v5
	s_delay_alu instid0(VALU_DEP_1) | instskip(NEXT) | instid1(VALU_DEP_1)
	v_dual_sub_nc_u32 v4, v5, v4 :: v_dual_ashrrev_i32 v5, 8, v6
	v_add_nc_u32_e32 v4, 0x3c000000, v4
	s_delay_alu instid0(VALU_DEP_1) | instskip(NEXT) | instid1(VALU_DEP_1)
	v_and_or_b32 v4, 0x7f800000, v5, v4
	v_cndmask_b32_e32 v1, 0, v4, vcc_lo
	s_delay_alu instid0(VALU_DEP_1) | instskip(NEXT) | instid1(VALU_DEP_1)
	v_and_or_b32 v0, 0x80000000, v0, v1
	v_trunc_f32_e32 v0, v0
	s_delay_alu instid0(VALU_DEP_1) | instskip(NEXT) | instid1(VALU_DEP_1)
	v_mul_f32_e64 v1, 0x2f800000, |v0|
	v_floor_f32_e32 v1, v1
	s_delay_alu instid0(VALU_DEP_1) | instskip(SKIP_2) | instid1(VALU_DEP_3)
	v_fma_f32 v4, 0xcf800000, v1, |v0|
	v_ashrrev_i32_e32 v0, 31, v0
	v_cvt_u32_f32_e32 v5, v1
	v_cvt_u32_f32_e32 v4, v4
	s_delay_alu instid0(VALU_DEP_2) | instskip(NEXT) | instid1(VALU_DEP_2)
	v_dual_mov_b32 v1, v0 :: v_dual_bitop2_b32 v5, v5, v0 bitop3:0x14
	v_xor_b32_e32 v4, v4, v0
	s_delay_alu instid0(VALU_DEP_1)
	v_sub_nc_u64_e32 v[0:1], v[4:5], v[0:1]
.LBB94_724:
	s_mov_b32 s31, 0
.LBB94_725:
	s_delay_alu instid0(SALU_CYCLE_1)
	s_and_not1_b32 vcc_lo, exec_lo, s31
	s_cbranch_vccnz .LBB94_727
; %bb.726:
	s_wait_loadcnt 0x0
	global_load_u8 v0, v[2:3], off
	s_wait_loadcnt 0x0
	v_lshlrev_b32_e32 v1, 25, v0
	v_lshlrev_b16 v0, 8, v0
	s_delay_alu instid0(VALU_DEP_1) | instskip(SKIP_1) | instid1(VALU_DEP_2)
	v_and_or_b32 v5, 0x7f00, v0, 0.5
	v_bfe_i32 v0, v0, 0, 16
	v_add_f32_e32 v5, -0.5, v5
	v_lshrrev_b32_e32 v4, 4, v1
	v_cmp_gt_u32_e32 vcc_lo, 0x8000000, v1
	s_delay_alu instid0(VALU_DEP_2) | instskip(NEXT) | instid1(VALU_DEP_1)
	v_or_b32_e32 v4, 0x70000000, v4
	v_mul_f32_e32 v4, 0x7800000, v4
	s_delay_alu instid0(VALU_DEP_1) | instskip(NEXT) | instid1(VALU_DEP_1)
	v_cndmask_b32_e32 v1, v4, v5, vcc_lo
	v_and_or_b32 v0, 0x80000000, v0, v1
	s_delay_alu instid0(VALU_DEP_1) | instskip(NEXT) | instid1(VALU_DEP_1)
	v_trunc_f32_e32 v0, v0
	v_mul_f32_e64 v1, 0x2f800000, |v0|
	s_delay_alu instid0(VALU_DEP_1) | instskip(NEXT) | instid1(VALU_DEP_1)
	v_floor_f32_e32 v1, v1
	v_fma_f32 v4, 0xcf800000, v1, |v0|
	v_ashrrev_i32_e32 v0, 31, v0
	v_cvt_u32_f32_e32 v5, v1
	s_delay_alu instid0(VALU_DEP_3) | instskip(NEXT) | instid1(VALU_DEP_2)
	v_cvt_u32_f32_e32 v4, v4
	v_dual_mov_b32 v1, v0 :: v_dual_bitop2_b32 v5, v5, v0 bitop3:0x14
	s_delay_alu instid0(VALU_DEP_2) | instskip(NEXT) | instid1(VALU_DEP_1)
	v_xor_b32_e32 v4, v4, v0
	v_sub_nc_u64_e32 v[0:1], v[4:5], v[0:1]
.LBB94_727:
	s_mov_b32 s38, 0
	s_mov_b32 s31, -1
.LBB94_728:
	s_and_not1_b32 vcc_lo, exec_lo, s38
	s_cbranch_vccnz .LBB94_741
; %bb.729:
	s_cmp_gt_i32 s1, 14
	s_cbranch_scc0 .LBB94_732
; %bb.730:
	s_cmp_eq_u32 s1, 15
	s_cbranch_scc0 .LBB94_735
; %bb.731:
	s_wait_loadcnt 0x0
	global_load_u16 v0, v[2:3], off
	s_mov_b32 s31, -1
	s_mov_b32 s69, 0
	s_wait_loadcnt 0x0
	v_lshlrev_b32_e32 v0, 16, v0
	s_delay_alu instid0(VALU_DEP_1) | instskip(NEXT) | instid1(VALU_DEP_1)
	v_trunc_f32_e32 v0, v0
	v_mul_f32_e64 v1, 0x2f800000, |v0|
	s_delay_alu instid0(VALU_DEP_1) | instskip(NEXT) | instid1(VALU_DEP_1)
	v_floor_f32_e32 v1, v1
	v_fma_f32 v4, 0xcf800000, v1, |v0|
	v_ashrrev_i32_e32 v0, 31, v0
	v_cvt_u32_f32_e32 v5, v1
	s_delay_alu instid0(VALU_DEP_3) | instskip(NEXT) | instid1(VALU_DEP_2)
	v_cvt_u32_f32_e32 v4, v4
	v_dual_mov_b32 v1, v0 :: v_dual_bitop2_b32 v5, v5, v0 bitop3:0x14
	s_delay_alu instid0(VALU_DEP_2) | instskip(NEXT) | instid1(VALU_DEP_1)
	v_xor_b32_e32 v4, v4, v0
	v_sub_nc_u64_e32 v[0:1], v[4:5], v[0:1]
	s_branch .LBB94_736
.LBB94_732:
	s_mov_b32 s38, -1
                                        ; implicit-def: $vgpr0_vgpr1
	s_branch .LBB94_737
.LBB94_733:
	s_and_not1_saveexec_b32 s31, s31
	s_cbranch_execz .LBB94_714
.LBB94_734:
	v_cmp_ne_u16_e32 vcc_lo, 0, v4
	s_and_not1_b32 s38, s38, exec_lo
	s_and_b32 s39, vcc_lo, exec_lo
	s_delay_alu instid0(SALU_CYCLE_1)
	s_or_b32 s38, s38, s39
	s_or_b32 exec_lo, exec_lo, s31
	v_mov_b64_e32 v[0:1], 0
	s_and_saveexec_b32 s31, s38
	s_cbranch_execnz .LBB94_715
	s_branch .LBB94_716
.LBB94_735:
	s_mov_b32 s69, -1
                                        ; implicit-def: $vgpr0_vgpr1
.LBB94_736:
	s_mov_b32 s38, 0
.LBB94_737:
	s_delay_alu instid0(SALU_CYCLE_1)
	s_and_b32 vcc_lo, exec_lo, s38
	s_cbranch_vccz .LBB94_741
; %bb.738:
	s_cmp_eq_u32 s1, 11
	s_cbranch_scc0 .LBB94_740
; %bb.739:
	s_wait_loadcnt 0x0
	global_load_u8 v0, v[2:3], off
	s_mov_b32 s69, 0
	s_mov_b32 s31, -1
	v_mov_b32_e32 v1, s69
	s_wait_loadcnt 0x0
	v_cmp_ne_u16_e32 vcc_lo, 0, v0
	v_cndmask_b32_e64 v0, 0, 1, vcc_lo
	s_branch .LBB94_741
.LBB94_740:
	s_mov_b32 s69, -1
                                        ; implicit-def: $vgpr0_vgpr1
.LBB94_741:
	s_branch .LBB94_648
.LBB94_742:
	s_and_b32 s0, 0xffff, s0
	s_delay_alu instid0(SALU_CYCLE_1)
	s_cmp_lt_i32 s0, 5
	s_cbranch_scc1 .LBB94_747
; %bb.743:
	s_cmp_lt_i32 s0, 8
	s_cbranch_scc1 .LBB94_748
; %bb.744:
	;; [unrolled: 3-line block ×3, first 2 shown]
	s_cmp_gt_i32 s0, 9
	s_cbranch_scc0 .LBB94_750
; %bb.746:
	s_wait_loadcnt 0x0
	global_load_b64 v[0:1], v[2:3], off
	s_mov_b32 s1, 0
	s_wait_loadcnt 0x0
	v_trunc_f64_e32 v[0:1], v[0:1]
	s_delay_alu instid0(VALU_DEP_1) | instskip(NEXT) | instid1(VALU_DEP_1)
	v_ldexp_f64 v[4:5], v[0:1], 0xffffffe0
	v_floor_f64_e32 v[4:5], v[4:5]
	s_delay_alu instid0(VALU_DEP_1) | instskip(SKIP_1) | instid1(VALU_DEP_2)
	v_fmamk_f64 v[6:7], v[4:5], 0xc1f00000, v[0:1]
	v_cvt_i32_f64_e32 v1, v[4:5]
	v_cvt_u32_f64_e32 v0, v[6:7]
	s_branch .LBB94_751
.LBB94_747:
	s_mov_b32 s1, -1
                                        ; implicit-def: $vgpr0_vgpr1
	s_branch .LBB94_769
.LBB94_748:
	s_mov_b32 s1, -1
                                        ; implicit-def: $vgpr0_vgpr1
	s_branch .LBB94_757
.LBB94_749:
	s_mov_b32 s1, -1
                                        ; implicit-def: $vgpr0_vgpr1
	s_branch .LBB94_754
.LBB94_750:
	s_mov_b32 s1, -1
                                        ; implicit-def: $vgpr0_vgpr1
.LBB94_751:
	s_delay_alu instid0(SALU_CYCLE_1)
	s_and_not1_b32 vcc_lo, exec_lo, s1
	s_cbranch_vccnz .LBB94_753
; %bb.752:
	s_wait_loadcnt 0x0
	global_load_b32 v0, v[2:3], off
	s_wait_loadcnt 0x0
	v_trunc_f32_e32 v0, v0
	s_delay_alu instid0(VALU_DEP_1) | instskip(NEXT) | instid1(VALU_DEP_1)
	v_mul_f32_e64 v1, 0x2f800000, |v0|
	v_floor_f32_e32 v1, v1
	s_delay_alu instid0(VALU_DEP_1) | instskip(SKIP_2) | instid1(VALU_DEP_3)
	v_fma_f32 v4, 0xcf800000, v1, |v0|
	v_ashrrev_i32_e32 v0, 31, v0
	v_cvt_u32_f32_e32 v5, v1
	v_cvt_u32_f32_e32 v4, v4
	s_delay_alu instid0(VALU_DEP_2) | instskip(NEXT) | instid1(VALU_DEP_2)
	v_dual_mov_b32 v1, v0 :: v_dual_bitop2_b32 v5, v5, v0 bitop3:0x14
	v_xor_b32_e32 v4, v4, v0
	s_delay_alu instid0(VALU_DEP_1)
	v_sub_nc_u64_e32 v[0:1], v[4:5], v[0:1]
.LBB94_753:
	s_mov_b32 s1, 0
.LBB94_754:
	s_delay_alu instid0(SALU_CYCLE_1)
	s_and_not1_b32 vcc_lo, exec_lo, s1
	s_cbranch_vccnz .LBB94_756
; %bb.755:
	s_wait_loadcnt 0x0
	global_load_b32 v0, v[2:3], off
	s_wait_loadcnt 0x0
	v_cvt_f32_f16_e32 v0, v0
	s_delay_alu instid0(VALU_DEP_1) | instskip(NEXT) | instid1(VALU_DEP_1)
	v_cvt_i32_f32_e32 v0, v0
	v_ashrrev_i32_e32 v1, 31, v0
.LBB94_756:
	s_mov_b32 s1, 0
.LBB94_757:
	s_delay_alu instid0(SALU_CYCLE_1)
	s_and_not1_b32 vcc_lo, exec_lo, s1
	s_cbranch_vccnz .LBB94_768
; %bb.758:
	s_cmp_lt_i32 s0, 6
	s_cbranch_scc1 .LBB94_761
; %bb.759:
	s_cmp_gt_i32 s0, 6
	s_cbranch_scc0 .LBB94_762
; %bb.760:
	s_wait_loadcnt 0x0
	global_load_b64 v[0:1], v[2:3], off
	s_mov_b32 s1, 0
	s_wait_loadcnt 0x0
	v_trunc_f64_e32 v[0:1], v[0:1]
	s_delay_alu instid0(VALU_DEP_1) | instskip(NEXT) | instid1(VALU_DEP_1)
	v_ldexp_f64 v[4:5], v[0:1], 0xffffffe0
	v_floor_f64_e32 v[4:5], v[4:5]
	s_delay_alu instid0(VALU_DEP_1) | instskip(SKIP_1) | instid1(VALU_DEP_2)
	v_fmamk_f64 v[6:7], v[4:5], 0xc1f00000, v[0:1]
	v_cvt_i32_f64_e32 v1, v[4:5]
	v_cvt_u32_f64_e32 v0, v[6:7]
	s_branch .LBB94_763
.LBB94_761:
	s_mov_b32 s1, -1
                                        ; implicit-def: $vgpr0_vgpr1
	s_branch .LBB94_766
.LBB94_762:
	s_mov_b32 s1, -1
                                        ; implicit-def: $vgpr0_vgpr1
.LBB94_763:
	s_delay_alu instid0(SALU_CYCLE_1)
	s_and_not1_b32 vcc_lo, exec_lo, s1
	s_cbranch_vccnz .LBB94_765
; %bb.764:
	s_wait_loadcnt 0x0
	global_load_b32 v0, v[2:3], off
	s_wait_loadcnt 0x0
	v_trunc_f32_e32 v0, v0
	s_delay_alu instid0(VALU_DEP_1) | instskip(NEXT) | instid1(VALU_DEP_1)
	v_mul_f32_e64 v1, 0x2f800000, |v0|
	v_floor_f32_e32 v1, v1
	s_delay_alu instid0(VALU_DEP_1) | instskip(SKIP_2) | instid1(VALU_DEP_3)
	v_fma_f32 v4, 0xcf800000, v1, |v0|
	v_ashrrev_i32_e32 v0, 31, v0
	v_cvt_u32_f32_e32 v5, v1
	v_cvt_u32_f32_e32 v4, v4
	s_delay_alu instid0(VALU_DEP_2) | instskip(NEXT) | instid1(VALU_DEP_2)
	v_dual_mov_b32 v1, v0 :: v_dual_bitop2_b32 v5, v5, v0 bitop3:0x14
	v_xor_b32_e32 v4, v4, v0
	s_delay_alu instid0(VALU_DEP_1)
	v_sub_nc_u64_e32 v[0:1], v[4:5], v[0:1]
.LBB94_765:
	s_mov_b32 s1, 0
.LBB94_766:
	s_delay_alu instid0(SALU_CYCLE_1)
	s_and_not1_b32 vcc_lo, exec_lo, s1
	s_cbranch_vccnz .LBB94_768
; %bb.767:
	s_wait_loadcnt 0x0
	global_load_u16 v0, v[2:3], off
	s_wait_loadcnt 0x0
	v_cvt_f32_f16_e32 v0, v0
	s_delay_alu instid0(VALU_DEP_1) | instskip(NEXT) | instid1(VALU_DEP_1)
	v_cvt_i32_f32_e32 v0, v0
	v_ashrrev_i32_e32 v1, 31, v0
.LBB94_768:
	s_mov_b32 s1, 0
.LBB94_769:
	s_delay_alu instid0(SALU_CYCLE_1)
	s_and_not1_b32 vcc_lo, exec_lo, s1
	s_cbranch_vccnz .LBB94_789
; %bb.770:
	s_cmp_lt_i32 s0, 2
	s_cbranch_scc1 .LBB94_774
; %bb.771:
	s_cmp_lt_i32 s0, 3
	s_cbranch_scc1 .LBB94_775
; %bb.772:
	s_cmp_gt_i32 s0, 3
	s_cbranch_scc0 .LBB94_776
; %bb.773:
	s_wait_loadcnt 0x0
	global_load_b64 v[0:1], v[2:3], off
	s_mov_b32 s1, 0
	s_branch .LBB94_777
.LBB94_774:
	s_mov_b32 s1, -1
                                        ; implicit-def: $vgpr0_vgpr1
	s_branch .LBB94_783
.LBB94_775:
	s_mov_b32 s1, -1
                                        ; implicit-def: $vgpr0_vgpr1
	s_branch .LBB94_780
.LBB94_776:
	s_mov_b32 s1, -1
                                        ; implicit-def: $vgpr0_vgpr1
.LBB94_777:
	s_delay_alu instid0(SALU_CYCLE_1)
	s_and_not1_b32 vcc_lo, exec_lo, s1
	s_cbranch_vccnz .LBB94_779
; %bb.778:
	s_wait_loadcnt 0x0
	global_load_b32 v0, v[2:3], off
	s_wait_loadcnt 0x0
	v_ashrrev_i32_e32 v1, 31, v0
.LBB94_779:
	s_mov_b32 s1, 0
.LBB94_780:
	s_delay_alu instid0(SALU_CYCLE_1)
	s_and_not1_b32 vcc_lo, exec_lo, s1
	s_cbranch_vccnz .LBB94_782
; %bb.781:
	s_wait_loadcnt 0x0
	global_load_u16 v0, v[2:3], off
	s_wait_loadcnt 0x0
	v_bfe_i32 v0, v0, 0, 16
	s_delay_alu instid0(VALU_DEP_1)
	v_ashrrev_i32_e32 v1, 31, v0
.LBB94_782:
	s_mov_b32 s1, 0
.LBB94_783:
	s_delay_alu instid0(SALU_CYCLE_1)
	s_and_not1_b32 vcc_lo, exec_lo, s1
	s_cbranch_vccnz .LBB94_789
; %bb.784:
	s_cmp_gt_i32 s0, 0
	s_mov_b32 s0, 0
	s_cbranch_scc0 .LBB94_786
; %bb.785:
	s_wait_loadcnt 0x0
	global_load_i8 v0, v[2:3], off
	s_wait_loadcnt 0x0
	v_bfe_i32 v0, v0, 0, 16
	s_delay_alu instid0(VALU_DEP_1)
	v_ashrrev_i32_e32 v1, 31, v0
	s_branch .LBB94_787
.LBB94_786:
	s_mov_b32 s0, -1
                                        ; implicit-def: $vgpr0_vgpr1
.LBB94_787:
	s_delay_alu instid0(SALU_CYCLE_1)
	s_and_not1_b32 vcc_lo, exec_lo, s0
	s_cbranch_vccnz .LBB94_789
; %bb.788:
	s_wait_loadcnt 0x0
	global_load_u8 v0, v[2:3], off
	s_mov_b32 s0, 0
	s_delay_alu instid0(SALU_CYCLE_1)
	v_mov_b32_e32 v1, s0
	s_wait_loadcnt 0x0
	v_and_b32_e32 v0, 0xffff, v0
.LBB94_789:
	s_branch .LBB94_649
.LBB94_790:
	s_mov_b32 s0, 0
	s_mov_b32 s1, s56
	;; [unrolled: 1-line block ×10, first 2 shown]
	s_branch .LBB94_1297
.LBB94_791:
	s_mov_b32 s39, -1
	s_mov_b32 s31, 0
	s_mov_b32 s40, 0
	s_branch .LBB94_1874
.LBB94_792:
	s_mov_b32 s71, -1
	s_mov_b32 s31, 0
.LBB94_793:
                                        ; implicit-def: $vgpr2_vgpr3
.LBB94_794:
	s_and_b32 vcc_lo, exec_lo, s38
	s_cbranch_vccz .LBB94_798
; %bb.795:
	s_cmp_eq_u32 s1, 44
	s_cbranch_scc0 .LBB94_797
; %bb.796:
	global_load_u8 v8, v[4:5], off
	s_mov_b32 s71, 0
	s_mov_b32 s31, -1
	s_wait_loadcnt 0x0
	v_cmp_ne_u32_e32 vcc_lo, 0, v8
	v_lshlrev_b32_e32 v2, 23, v8
	s_delay_alu instid0(VALU_DEP_1) | instskip(NEXT) | instid1(VALU_DEP_1)
	v_trunc_f32_e32 v2, v2
	v_mul_f32_e64 v3, 0x2f800000, |v2|
	s_delay_alu instid0(VALU_DEP_1) | instskip(NEXT) | instid1(VALU_DEP_1)
	v_floor_f32_e32 v3, v3
	v_fma_f32 v6, 0xcf800000, v3, |v2|
	v_ashrrev_i32_e32 v2, 31, v2
	v_cvt_u32_f32_e32 v7, v3
	s_delay_alu instid0(VALU_DEP_3) | instskip(NEXT) | instid1(VALU_DEP_2)
	v_cvt_u32_f32_e32 v6, v6
	v_dual_mov_b32 v3, v2 :: v_dual_bitop2_b32 v7, v7, v2 bitop3:0x14
	s_delay_alu instid0(VALU_DEP_2) | instskip(NEXT) | instid1(VALU_DEP_1)
	v_xor_b32_e32 v6, v6, v2
	v_sub_nc_u64_e32 v[2:3], v[6:7], v[2:3]
	s_delay_alu instid0(VALU_DEP_1)
	v_dual_cndmask_b32 v3, 0, v3 :: v_dual_cndmask_b32 v2, 0, v2
	s_branch .LBB94_798
.LBB94_797:
	s_mov_b32 s71, -1
                                        ; implicit-def: $vgpr2_vgpr3
.LBB94_798:
	s_mov_b32 s38, 0
.LBB94_799:
	s_delay_alu instid0(SALU_CYCLE_1)
	s_and_b32 vcc_lo, exec_lo, s38
	s_cbranch_vccz .LBB94_803
; %bb.800:
	s_cmp_eq_u32 s1, 29
	s_cbranch_scc0 .LBB94_802
; %bb.801:
	global_load_b64 v[2:3], v[4:5], off
	s_mov_b32 s31, -1
	s_mov_b32 s71, 0
	s_branch .LBB94_803
.LBB94_802:
	s_mov_b32 s71, -1
                                        ; implicit-def: $vgpr2_vgpr3
.LBB94_803:
	s_mov_b32 s38, 0
.LBB94_804:
	s_delay_alu instid0(SALU_CYCLE_1)
	s_and_b32 vcc_lo, exec_lo, s38
	s_cbranch_vccz .LBB94_820
; %bb.805:
	s_cmp_lt_i32 s1, 27
	s_cbranch_scc1 .LBB94_808
; %bb.806:
	s_cmp_gt_i32 s1, 27
	s_cbranch_scc0 .LBB94_809
; %bb.807:
	s_wait_loadcnt 0x0
	global_load_b32 v2, v[4:5], off
	v_mov_b32_e32 v3, 0
	s_mov_b32 s31, 0
	s_branch .LBB94_810
.LBB94_808:
	s_mov_b32 s31, -1
                                        ; implicit-def: $vgpr2_vgpr3
	s_branch .LBB94_813
.LBB94_809:
	s_mov_b32 s31, -1
                                        ; implicit-def: $vgpr2_vgpr3
.LBB94_810:
	s_delay_alu instid0(SALU_CYCLE_1)
	s_and_not1_b32 vcc_lo, exec_lo, s31
	s_cbranch_vccnz .LBB94_812
; %bb.811:
	s_wait_loadcnt 0x0
	global_load_u16 v2, v[4:5], off
	s_mov_b32 s31, 0
	s_delay_alu instid0(SALU_CYCLE_1)
	v_mov_b32_e32 v3, s31
	s_wait_loadcnt 0x0
	v_and_b32_e32 v2, 0xffff, v2
.LBB94_812:
	s_mov_b32 s31, 0
.LBB94_813:
	s_delay_alu instid0(SALU_CYCLE_1)
	s_and_not1_b32 vcc_lo, exec_lo, s31
	s_cbranch_vccnz .LBB94_819
; %bb.814:
	global_load_u8 v6, v[4:5], off
	s_mov_b32 s38, 0
	s_mov_b32 s31, exec_lo
	s_wait_loadcnt 0x0
	v_cmpx_lt_i16_e32 0x7f, v6
	s_xor_b32 s31, exec_lo, s31
	s_cbranch_execz .LBB94_831
; %bb.815:
	v_cmp_ne_u16_e32 vcc_lo, 0x80, v6
	s_and_b32 s38, vcc_lo, exec_lo
	s_and_not1_saveexec_b32 s31, s31
	s_cbranch_execnz .LBB94_832
.LBB94_816:
	s_or_b32 exec_lo, exec_lo, s31
	v_mov_b64_e32 v[2:3], 0
	s_and_saveexec_b32 s31, s38
	s_cbranch_execz .LBB94_818
.LBB94_817:
	v_and_b32_e32 v2, 0xffff, v6
	s_delay_alu instid0(VALU_DEP_1) | instskip(SKIP_1) | instid1(VALU_DEP_2)
	v_and_b32_e32 v3, 7, v2
	v_bfe_u32 v9, v2, 3, 4
	v_clz_i32_u32_e32 v7, v3
	s_delay_alu instid0(VALU_DEP_2) | instskip(NEXT) | instid1(VALU_DEP_2)
	v_cmp_eq_u32_e32 vcc_lo, 0, v9
	v_min_u32_e32 v7, 32, v7
	s_delay_alu instid0(VALU_DEP_1) | instskip(NEXT) | instid1(VALU_DEP_1)
	v_subrev_nc_u32_e32 v8, 28, v7
	v_dual_lshlrev_b32 v2, v8, v2 :: v_dual_sub_nc_u32 v7, 29, v7
	s_delay_alu instid0(VALU_DEP_1) | instskip(NEXT) | instid1(VALU_DEP_2)
	v_and_b32_e32 v2, 7, v2
	v_dual_cndmask_b32 v7, v9, v7 :: v_dual_lshlrev_b32 v6, 24, v6
	s_delay_alu instid0(VALU_DEP_2) | instskip(NEXT) | instid1(VALU_DEP_2)
	v_cndmask_b32_e32 v2, v3, v2, vcc_lo
	v_and_b32_e32 v3, 0x80000000, v6
	s_delay_alu instid0(VALU_DEP_3) | instskip(NEXT) | instid1(VALU_DEP_3)
	v_lshl_add_u32 v6, v7, 23, 0x3b800000
	v_lshlrev_b32_e32 v2, 20, v2
	s_delay_alu instid0(VALU_DEP_1) | instskip(NEXT) | instid1(VALU_DEP_1)
	v_or3_b32 v2, v3, v6, v2
	v_trunc_f32_e32 v2, v2
	s_delay_alu instid0(VALU_DEP_1) | instskip(NEXT) | instid1(VALU_DEP_1)
	v_mul_f32_e64 v3, 0x2f800000, |v2|
	v_floor_f32_e32 v3, v3
	s_delay_alu instid0(VALU_DEP_1) | instskip(SKIP_2) | instid1(VALU_DEP_3)
	v_fma_f32 v6, 0xcf800000, v3, |v2|
	v_ashrrev_i32_e32 v2, 31, v2
	v_cvt_u32_f32_e32 v7, v3
	v_cvt_u32_f32_e32 v6, v6
	s_delay_alu instid0(VALU_DEP_2) | instskip(NEXT) | instid1(VALU_DEP_2)
	v_dual_mov_b32 v3, v2 :: v_dual_bitop2_b32 v7, v7, v2 bitop3:0x14
	v_xor_b32_e32 v6, v6, v2
	s_delay_alu instid0(VALU_DEP_1)
	v_sub_nc_u64_e32 v[2:3], v[6:7], v[2:3]
.LBB94_818:
	s_or_b32 exec_lo, exec_lo, s31
.LBB94_819:
	s_mov_b32 s31, -1
.LBB94_820:
	s_mov_b32 s38, 0
.LBB94_821:
	s_delay_alu instid0(SALU_CYCLE_1)
	s_and_b32 vcc_lo, exec_lo, s38
	s_cbranch_vccz .LBB94_854
; %bb.822:
	s_cmp_gt_i32 s1, 22
	s_cbranch_scc0 .LBB94_830
; %bb.823:
	s_cmp_lt_i32 s1, 24
	s_cbranch_scc1 .LBB94_833
; %bb.824:
	s_cmp_gt_i32 s1, 24
	s_cbranch_scc0 .LBB94_834
; %bb.825:
	global_load_u8 v6, v[4:5], off
	s_mov_b32 s38, 0
	s_mov_b32 s31, exec_lo
	s_wait_loadcnt 0x0
	v_cmpx_lt_i16_e32 0x7f, v6
	s_xor_b32 s31, exec_lo, s31
	s_cbranch_execz .LBB94_846
; %bb.826:
	v_cmp_ne_u16_e32 vcc_lo, 0x80, v6
	s_and_b32 s38, vcc_lo, exec_lo
	s_and_not1_saveexec_b32 s31, s31
	s_cbranch_execnz .LBB94_847
.LBB94_827:
	s_or_b32 exec_lo, exec_lo, s31
	v_mov_b64_e32 v[2:3], 0
	s_and_saveexec_b32 s31, s38
	s_cbranch_execz .LBB94_829
.LBB94_828:
	v_and_b32_e32 v2, 0xffff, v6
	s_delay_alu instid0(VALU_DEP_1) | instskip(SKIP_1) | instid1(VALU_DEP_2)
	v_and_b32_e32 v3, 3, v2
	v_bfe_u32 v9, v2, 2, 5
	v_clz_i32_u32_e32 v7, v3
	s_delay_alu instid0(VALU_DEP_2) | instskip(NEXT) | instid1(VALU_DEP_2)
	v_cmp_eq_u32_e32 vcc_lo, 0, v9
	v_min_u32_e32 v7, 32, v7
	s_delay_alu instid0(VALU_DEP_1) | instskip(NEXT) | instid1(VALU_DEP_1)
	v_subrev_nc_u32_e32 v8, 29, v7
	v_dual_lshlrev_b32 v2, v8, v2 :: v_dual_sub_nc_u32 v7, 30, v7
	s_delay_alu instid0(VALU_DEP_1) | instskip(NEXT) | instid1(VALU_DEP_2)
	v_and_b32_e32 v2, 3, v2
	v_dual_cndmask_b32 v7, v9, v7 :: v_dual_lshlrev_b32 v6, 24, v6
	s_delay_alu instid0(VALU_DEP_2) | instskip(NEXT) | instid1(VALU_DEP_2)
	v_cndmask_b32_e32 v2, v3, v2, vcc_lo
	v_and_b32_e32 v3, 0x80000000, v6
	s_delay_alu instid0(VALU_DEP_3) | instskip(NEXT) | instid1(VALU_DEP_3)
	v_lshl_add_u32 v6, v7, 23, 0x37800000
	v_lshlrev_b32_e32 v2, 21, v2
	s_delay_alu instid0(VALU_DEP_1) | instskip(NEXT) | instid1(VALU_DEP_1)
	v_or3_b32 v2, v3, v6, v2
	v_trunc_f32_e32 v2, v2
	s_delay_alu instid0(VALU_DEP_1) | instskip(NEXT) | instid1(VALU_DEP_1)
	v_mul_f32_e64 v3, 0x2f800000, |v2|
	v_floor_f32_e32 v3, v3
	s_delay_alu instid0(VALU_DEP_1) | instskip(SKIP_2) | instid1(VALU_DEP_3)
	v_fma_f32 v6, 0xcf800000, v3, |v2|
	v_ashrrev_i32_e32 v2, 31, v2
	v_cvt_u32_f32_e32 v7, v3
	v_cvt_u32_f32_e32 v6, v6
	s_delay_alu instid0(VALU_DEP_2) | instskip(NEXT) | instid1(VALU_DEP_2)
	v_dual_mov_b32 v3, v2 :: v_dual_bitop2_b32 v7, v7, v2 bitop3:0x14
	v_xor_b32_e32 v6, v6, v2
	s_delay_alu instid0(VALU_DEP_1)
	v_sub_nc_u64_e32 v[2:3], v[6:7], v[2:3]
.LBB94_829:
	s_or_b32 exec_lo, exec_lo, s31
	s_mov_b32 s31, 0
	s_branch .LBB94_835
.LBB94_830:
	s_mov_b32 s38, -1
                                        ; implicit-def: $vgpr2_vgpr3
	s_branch .LBB94_841
.LBB94_831:
	s_and_not1_saveexec_b32 s31, s31
	s_cbranch_execz .LBB94_816
.LBB94_832:
	v_cmp_ne_u16_e32 vcc_lo, 0, v6
	s_and_not1_b32 s38, s38, exec_lo
	s_and_b32 s39, vcc_lo, exec_lo
	s_delay_alu instid0(SALU_CYCLE_1)
	s_or_b32 s38, s38, s39
	s_or_b32 exec_lo, exec_lo, s31
	v_mov_b64_e32 v[2:3], 0
	s_and_saveexec_b32 s31, s38
	s_cbranch_execnz .LBB94_817
	s_branch .LBB94_818
.LBB94_833:
	s_mov_b32 s31, -1
                                        ; implicit-def: $vgpr2_vgpr3
	s_branch .LBB94_838
.LBB94_834:
	s_mov_b32 s31, -1
                                        ; implicit-def: $vgpr2_vgpr3
.LBB94_835:
	s_delay_alu instid0(SALU_CYCLE_1)
	s_and_b32 vcc_lo, exec_lo, s31
	s_cbranch_vccz .LBB94_837
; %bb.836:
	s_wait_loadcnt 0x0
	global_load_u8 v2, v[4:5], off
	s_wait_loadcnt 0x0
	v_lshlrev_b32_e32 v2, 24, v2
	s_delay_alu instid0(VALU_DEP_1) | instskip(NEXT) | instid1(VALU_DEP_1)
	v_and_b32_e32 v3, 0x7f000000, v2
	v_clz_i32_u32_e32 v6, v3
	v_cmp_ne_u32_e32 vcc_lo, 0, v3
	v_add_nc_u32_e32 v8, 0x1000000, v3
	s_delay_alu instid0(VALU_DEP_3) | instskip(NEXT) | instid1(VALU_DEP_1)
	v_min_u32_e32 v6, 32, v6
	v_sub_nc_u32_e64 v6, v6, 4 clamp
	s_delay_alu instid0(VALU_DEP_1) | instskip(NEXT) | instid1(VALU_DEP_1)
	v_dual_lshlrev_b32 v7, v6, v3 :: v_dual_lshlrev_b32 v6, 23, v6
	v_lshrrev_b32_e32 v7, 4, v7
	s_delay_alu instid0(VALU_DEP_1) | instskip(NEXT) | instid1(VALU_DEP_1)
	v_dual_sub_nc_u32 v6, v7, v6 :: v_dual_ashrrev_i32 v7, 8, v8
	v_add_nc_u32_e32 v6, 0x3c000000, v6
	s_delay_alu instid0(VALU_DEP_1) | instskip(NEXT) | instid1(VALU_DEP_1)
	v_and_or_b32 v6, 0x7f800000, v7, v6
	v_cndmask_b32_e32 v3, 0, v6, vcc_lo
	s_delay_alu instid0(VALU_DEP_1) | instskip(NEXT) | instid1(VALU_DEP_1)
	v_and_or_b32 v2, 0x80000000, v2, v3
	v_trunc_f32_e32 v2, v2
	s_delay_alu instid0(VALU_DEP_1) | instskip(NEXT) | instid1(VALU_DEP_1)
	v_mul_f32_e64 v3, 0x2f800000, |v2|
	v_floor_f32_e32 v3, v3
	s_delay_alu instid0(VALU_DEP_1) | instskip(SKIP_2) | instid1(VALU_DEP_3)
	v_fma_f32 v6, 0xcf800000, v3, |v2|
	v_ashrrev_i32_e32 v2, 31, v2
	v_cvt_u32_f32_e32 v7, v3
	v_cvt_u32_f32_e32 v6, v6
	s_delay_alu instid0(VALU_DEP_2) | instskip(NEXT) | instid1(VALU_DEP_2)
	v_dual_mov_b32 v3, v2 :: v_dual_bitop2_b32 v7, v7, v2 bitop3:0x14
	v_xor_b32_e32 v6, v6, v2
	s_delay_alu instid0(VALU_DEP_1)
	v_sub_nc_u64_e32 v[2:3], v[6:7], v[2:3]
.LBB94_837:
	s_mov_b32 s31, 0
.LBB94_838:
	s_delay_alu instid0(SALU_CYCLE_1)
	s_and_not1_b32 vcc_lo, exec_lo, s31
	s_cbranch_vccnz .LBB94_840
; %bb.839:
	s_wait_loadcnt 0x0
	global_load_u8 v2, v[4:5], off
	s_wait_loadcnt 0x0
	v_lshlrev_b32_e32 v3, 25, v2
	v_lshlrev_b16 v2, 8, v2
	s_delay_alu instid0(VALU_DEP_1) | instskip(SKIP_1) | instid1(VALU_DEP_2)
	v_and_or_b32 v7, 0x7f00, v2, 0.5
	v_bfe_i32 v2, v2, 0, 16
	v_add_f32_e32 v7, -0.5, v7
	v_lshrrev_b32_e32 v6, 4, v3
	v_cmp_gt_u32_e32 vcc_lo, 0x8000000, v3
	s_delay_alu instid0(VALU_DEP_2) | instskip(NEXT) | instid1(VALU_DEP_1)
	v_or_b32_e32 v6, 0x70000000, v6
	v_mul_f32_e32 v6, 0x7800000, v6
	s_delay_alu instid0(VALU_DEP_1) | instskip(NEXT) | instid1(VALU_DEP_1)
	v_cndmask_b32_e32 v3, v6, v7, vcc_lo
	v_and_or_b32 v2, 0x80000000, v2, v3
	s_delay_alu instid0(VALU_DEP_1) | instskip(NEXT) | instid1(VALU_DEP_1)
	v_trunc_f32_e32 v2, v2
	v_mul_f32_e64 v3, 0x2f800000, |v2|
	s_delay_alu instid0(VALU_DEP_1) | instskip(NEXT) | instid1(VALU_DEP_1)
	v_floor_f32_e32 v3, v3
	v_fma_f32 v6, 0xcf800000, v3, |v2|
	v_ashrrev_i32_e32 v2, 31, v2
	v_cvt_u32_f32_e32 v7, v3
	s_delay_alu instid0(VALU_DEP_3) | instskip(NEXT) | instid1(VALU_DEP_2)
	v_cvt_u32_f32_e32 v6, v6
	v_dual_mov_b32 v3, v2 :: v_dual_bitop2_b32 v7, v7, v2 bitop3:0x14
	s_delay_alu instid0(VALU_DEP_2) | instskip(NEXT) | instid1(VALU_DEP_1)
	v_xor_b32_e32 v6, v6, v2
	v_sub_nc_u64_e32 v[2:3], v[6:7], v[2:3]
.LBB94_840:
	s_mov_b32 s38, 0
	s_mov_b32 s31, -1
.LBB94_841:
	s_and_not1_b32 vcc_lo, exec_lo, s38
	s_cbranch_vccnz .LBB94_854
; %bb.842:
	s_cmp_gt_i32 s1, 14
	s_cbranch_scc0 .LBB94_845
; %bb.843:
	s_cmp_eq_u32 s1, 15
	s_cbranch_scc0 .LBB94_848
; %bb.844:
	s_wait_loadcnt 0x0
	global_load_u16 v2, v[4:5], off
	s_mov_b32 s31, -1
	s_mov_b32 s71, 0
	s_wait_loadcnt 0x0
	v_lshlrev_b32_e32 v2, 16, v2
	s_delay_alu instid0(VALU_DEP_1) | instskip(NEXT) | instid1(VALU_DEP_1)
	v_trunc_f32_e32 v2, v2
	v_mul_f32_e64 v3, 0x2f800000, |v2|
	s_delay_alu instid0(VALU_DEP_1) | instskip(NEXT) | instid1(VALU_DEP_1)
	v_floor_f32_e32 v3, v3
	v_fma_f32 v6, 0xcf800000, v3, |v2|
	v_ashrrev_i32_e32 v2, 31, v2
	v_cvt_u32_f32_e32 v7, v3
	s_delay_alu instid0(VALU_DEP_3) | instskip(NEXT) | instid1(VALU_DEP_2)
	v_cvt_u32_f32_e32 v6, v6
	v_dual_mov_b32 v3, v2 :: v_dual_bitop2_b32 v7, v7, v2 bitop3:0x14
	s_delay_alu instid0(VALU_DEP_2) | instskip(NEXT) | instid1(VALU_DEP_1)
	v_xor_b32_e32 v6, v6, v2
	v_sub_nc_u64_e32 v[2:3], v[6:7], v[2:3]
	s_branch .LBB94_849
.LBB94_845:
	s_mov_b32 s38, -1
                                        ; implicit-def: $vgpr2_vgpr3
	s_branch .LBB94_850
.LBB94_846:
	s_and_not1_saveexec_b32 s31, s31
	s_cbranch_execz .LBB94_827
.LBB94_847:
	v_cmp_ne_u16_e32 vcc_lo, 0, v6
	s_and_not1_b32 s38, s38, exec_lo
	s_and_b32 s39, vcc_lo, exec_lo
	s_delay_alu instid0(SALU_CYCLE_1)
	s_or_b32 s38, s38, s39
	s_or_b32 exec_lo, exec_lo, s31
	v_mov_b64_e32 v[2:3], 0
	s_and_saveexec_b32 s31, s38
	s_cbranch_execnz .LBB94_828
	s_branch .LBB94_829
.LBB94_848:
	s_mov_b32 s71, -1
                                        ; implicit-def: $vgpr2_vgpr3
.LBB94_849:
	s_mov_b32 s38, 0
.LBB94_850:
	s_delay_alu instid0(SALU_CYCLE_1)
	s_and_b32 vcc_lo, exec_lo, s38
	s_cbranch_vccz .LBB94_854
; %bb.851:
	s_cmp_eq_u32 s1, 11
	s_cbranch_scc0 .LBB94_853
; %bb.852:
	s_wait_loadcnt 0x0
	global_load_u8 v2, v[4:5], off
	s_mov_b32 s71, 0
	s_mov_b32 s31, -1
	v_mov_b32_e32 v3, s71
	s_wait_loadcnt 0x0
	v_cmp_ne_u16_e32 vcc_lo, 0, v2
	v_cndmask_b32_e64 v2, 0, 1, vcc_lo
	s_branch .LBB94_854
.LBB94_853:
	s_mov_b32 s71, -1
                                        ; implicit-def: $vgpr2_vgpr3
.LBB94_854:
	s_mov_b32 s1, 0
.LBB94_855:
	s_delay_alu instid0(SALU_CYCLE_1)
	s_and_b32 vcc_lo, exec_lo, s1
	s_cbranch_vccz .LBB94_904
; %bb.856:
	s_and_b32 s0, 0xffff, s0
	s_delay_alu instid0(SALU_CYCLE_1)
	s_cmp_lt_i32 s0, 5
	s_cbranch_scc1 .LBB94_861
; %bb.857:
	s_cmp_lt_i32 s0, 8
	s_cbranch_scc1 .LBB94_862
; %bb.858:
	;; [unrolled: 3-line block ×3, first 2 shown]
	s_cmp_gt_i32 s0, 9
	s_cbranch_scc0 .LBB94_864
; %bb.860:
	s_wait_loadcnt 0x0
	global_load_b64 v[2:3], v[4:5], off
	s_mov_b32 s1, 0
	s_wait_loadcnt 0x0
	v_trunc_f64_e32 v[2:3], v[2:3]
	s_delay_alu instid0(VALU_DEP_1) | instskip(NEXT) | instid1(VALU_DEP_1)
	v_ldexp_f64 v[6:7], v[2:3], 0xffffffe0
	v_floor_f64_e32 v[6:7], v[6:7]
	s_delay_alu instid0(VALU_DEP_1) | instskip(SKIP_1) | instid1(VALU_DEP_2)
	v_fmamk_f64 v[8:9], v[6:7], 0xc1f00000, v[2:3]
	v_cvt_i32_f64_e32 v3, v[6:7]
	v_cvt_u32_f64_e32 v2, v[8:9]
	s_branch .LBB94_865
.LBB94_861:
	s_mov_b32 s1, -1
                                        ; implicit-def: $vgpr2_vgpr3
	s_branch .LBB94_883
.LBB94_862:
	s_mov_b32 s1, -1
                                        ; implicit-def: $vgpr2_vgpr3
	s_branch .LBB94_871
.LBB94_863:
	s_mov_b32 s1, -1
                                        ; implicit-def: $vgpr2_vgpr3
	s_branch .LBB94_868
.LBB94_864:
	s_mov_b32 s1, -1
                                        ; implicit-def: $vgpr2_vgpr3
.LBB94_865:
	s_delay_alu instid0(SALU_CYCLE_1)
	s_and_not1_b32 vcc_lo, exec_lo, s1
	s_cbranch_vccnz .LBB94_867
; %bb.866:
	s_wait_loadcnt 0x0
	global_load_b32 v2, v[4:5], off
	s_wait_loadcnt 0x0
	v_trunc_f32_e32 v2, v2
	s_delay_alu instid0(VALU_DEP_1) | instskip(NEXT) | instid1(VALU_DEP_1)
	v_mul_f32_e64 v3, 0x2f800000, |v2|
	v_floor_f32_e32 v3, v3
	s_delay_alu instid0(VALU_DEP_1) | instskip(SKIP_2) | instid1(VALU_DEP_3)
	v_fma_f32 v6, 0xcf800000, v3, |v2|
	v_ashrrev_i32_e32 v2, 31, v2
	v_cvt_u32_f32_e32 v7, v3
	v_cvt_u32_f32_e32 v6, v6
	s_delay_alu instid0(VALU_DEP_2) | instskip(NEXT) | instid1(VALU_DEP_2)
	v_dual_mov_b32 v3, v2 :: v_dual_bitop2_b32 v7, v7, v2 bitop3:0x14
	v_xor_b32_e32 v6, v6, v2
	s_delay_alu instid0(VALU_DEP_1)
	v_sub_nc_u64_e32 v[2:3], v[6:7], v[2:3]
.LBB94_867:
	s_mov_b32 s1, 0
.LBB94_868:
	s_delay_alu instid0(SALU_CYCLE_1)
	s_and_not1_b32 vcc_lo, exec_lo, s1
	s_cbranch_vccnz .LBB94_870
; %bb.869:
	s_wait_loadcnt 0x0
	global_load_b32 v2, v[4:5], off
	s_wait_loadcnt 0x0
	v_cvt_f32_f16_e32 v2, v2
	s_delay_alu instid0(VALU_DEP_1) | instskip(NEXT) | instid1(VALU_DEP_1)
	v_cvt_i32_f32_e32 v2, v2
	v_ashrrev_i32_e32 v3, 31, v2
.LBB94_870:
	s_mov_b32 s1, 0
.LBB94_871:
	s_delay_alu instid0(SALU_CYCLE_1)
	s_and_not1_b32 vcc_lo, exec_lo, s1
	s_cbranch_vccnz .LBB94_882
; %bb.872:
	s_cmp_lt_i32 s0, 6
	s_cbranch_scc1 .LBB94_875
; %bb.873:
	s_cmp_gt_i32 s0, 6
	s_cbranch_scc0 .LBB94_876
; %bb.874:
	s_wait_loadcnt 0x0
	global_load_b64 v[2:3], v[4:5], off
	s_mov_b32 s1, 0
	s_wait_loadcnt 0x0
	v_trunc_f64_e32 v[2:3], v[2:3]
	s_delay_alu instid0(VALU_DEP_1) | instskip(NEXT) | instid1(VALU_DEP_1)
	v_ldexp_f64 v[6:7], v[2:3], 0xffffffe0
	v_floor_f64_e32 v[6:7], v[6:7]
	s_delay_alu instid0(VALU_DEP_1) | instskip(SKIP_1) | instid1(VALU_DEP_2)
	v_fmamk_f64 v[8:9], v[6:7], 0xc1f00000, v[2:3]
	v_cvt_i32_f64_e32 v3, v[6:7]
	v_cvt_u32_f64_e32 v2, v[8:9]
	s_branch .LBB94_877
.LBB94_875:
	s_mov_b32 s1, -1
                                        ; implicit-def: $vgpr2_vgpr3
	s_branch .LBB94_880
.LBB94_876:
	s_mov_b32 s1, -1
                                        ; implicit-def: $vgpr2_vgpr3
.LBB94_877:
	s_delay_alu instid0(SALU_CYCLE_1)
	s_and_not1_b32 vcc_lo, exec_lo, s1
	s_cbranch_vccnz .LBB94_879
; %bb.878:
	s_wait_loadcnt 0x0
	global_load_b32 v2, v[4:5], off
	s_wait_loadcnt 0x0
	v_trunc_f32_e32 v2, v2
	s_delay_alu instid0(VALU_DEP_1) | instskip(NEXT) | instid1(VALU_DEP_1)
	v_mul_f32_e64 v3, 0x2f800000, |v2|
	v_floor_f32_e32 v3, v3
	s_delay_alu instid0(VALU_DEP_1) | instskip(SKIP_2) | instid1(VALU_DEP_3)
	v_fma_f32 v6, 0xcf800000, v3, |v2|
	v_ashrrev_i32_e32 v2, 31, v2
	v_cvt_u32_f32_e32 v7, v3
	v_cvt_u32_f32_e32 v6, v6
	s_delay_alu instid0(VALU_DEP_2) | instskip(NEXT) | instid1(VALU_DEP_2)
	v_dual_mov_b32 v3, v2 :: v_dual_bitop2_b32 v7, v7, v2 bitop3:0x14
	v_xor_b32_e32 v6, v6, v2
	s_delay_alu instid0(VALU_DEP_1)
	v_sub_nc_u64_e32 v[2:3], v[6:7], v[2:3]
.LBB94_879:
	s_mov_b32 s1, 0
.LBB94_880:
	s_delay_alu instid0(SALU_CYCLE_1)
	s_and_not1_b32 vcc_lo, exec_lo, s1
	s_cbranch_vccnz .LBB94_882
; %bb.881:
	s_wait_loadcnt 0x0
	global_load_u16 v2, v[4:5], off
	s_wait_loadcnt 0x0
	v_cvt_f32_f16_e32 v2, v2
	s_delay_alu instid0(VALU_DEP_1) | instskip(NEXT) | instid1(VALU_DEP_1)
	v_cvt_i32_f32_e32 v2, v2
	v_ashrrev_i32_e32 v3, 31, v2
.LBB94_882:
	s_mov_b32 s1, 0
.LBB94_883:
	s_delay_alu instid0(SALU_CYCLE_1)
	s_and_not1_b32 vcc_lo, exec_lo, s1
	s_cbranch_vccnz .LBB94_903
; %bb.884:
	s_cmp_lt_i32 s0, 2
	s_cbranch_scc1 .LBB94_888
; %bb.885:
	s_cmp_lt_i32 s0, 3
	s_cbranch_scc1 .LBB94_889
; %bb.886:
	s_cmp_gt_i32 s0, 3
	s_cbranch_scc0 .LBB94_890
; %bb.887:
	s_wait_loadcnt 0x0
	global_load_b64 v[2:3], v[4:5], off
	s_mov_b32 s1, 0
	s_branch .LBB94_891
.LBB94_888:
	s_mov_b32 s1, -1
                                        ; implicit-def: $vgpr2_vgpr3
	s_branch .LBB94_897
.LBB94_889:
	s_mov_b32 s1, -1
                                        ; implicit-def: $vgpr2_vgpr3
	s_branch .LBB94_894
.LBB94_890:
	s_mov_b32 s1, -1
                                        ; implicit-def: $vgpr2_vgpr3
.LBB94_891:
	s_delay_alu instid0(SALU_CYCLE_1)
	s_and_not1_b32 vcc_lo, exec_lo, s1
	s_cbranch_vccnz .LBB94_893
; %bb.892:
	s_wait_loadcnt 0x0
	global_load_b32 v2, v[4:5], off
	s_wait_loadcnt 0x0
	v_ashrrev_i32_e32 v3, 31, v2
.LBB94_893:
	s_mov_b32 s1, 0
.LBB94_894:
	s_delay_alu instid0(SALU_CYCLE_1)
	s_and_not1_b32 vcc_lo, exec_lo, s1
	s_cbranch_vccnz .LBB94_896
; %bb.895:
	s_wait_loadcnt 0x0
	global_load_u16 v2, v[4:5], off
	s_wait_loadcnt 0x0
	v_bfe_i32 v2, v2, 0, 16
	s_delay_alu instid0(VALU_DEP_1)
	v_ashrrev_i32_e32 v3, 31, v2
.LBB94_896:
	s_mov_b32 s1, 0
.LBB94_897:
	s_delay_alu instid0(SALU_CYCLE_1)
	s_and_not1_b32 vcc_lo, exec_lo, s1
	s_cbranch_vccnz .LBB94_903
; %bb.898:
	s_cmp_gt_i32 s0, 0
	s_mov_b32 s0, 0
	s_cbranch_scc0 .LBB94_900
; %bb.899:
	s_wait_loadcnt 0x0
	global_load_i8 v2, v[4:5], off
	s_wait_loadcnt 0x0
	v_bfe_i32 v2, v2, 0, 16
	s_delay_alu instid0(VALU_DEP_1)
	v_ashrrev_i32_e32 v3, 31, v2
	s_branch .LBB94_901
.LBB94_900:
	s_mov_b32 s0, -1
                                        ; implicit-def: $vgpr2_vgpr3
.LBB94_901:
	s_delay_alu instid0(SALU_CYCLE_1)
	s_and_not1_b32 vcc_lo, exec_lo, s0
	s_cbranch_vccnz .LBB94_903
; %bb.902:
	s_wait_loadcnt 0x0
	global_load_u8 v2, v[4:5], off
	s_mov_b32 s0, 0
	s_delay_alu instid0(SALU_CYCLE_1)
	v_mov_b32_e32 v3, s0
	s_wait_loadcnt 0x0
	v_and_b32_e32 v2, 0xffff, v2
.LBB94_903:
	s_mov_b32 s31, -1
.LBB94_904:
	s_delay_alu instid0(SALU_CYCLE_1)
	s_and_not1_b32 vcc_lo, exec_lo, s31
	s_cbranch_vccnz .LBB94_912
; %bb.905:
	s_wait_xcnt 0x0
	v_mul_lo_u32 v4, s26, v26
	s_and_b32 s0, s36, 0xff
	s_delay_alu instid0(SALU_CYCLE_1) | instskip(NEXT) | instid1(VALU_DEP_1)
	s_cmp_lt_i32 s0, 11
	v_ashrrev_i32_e32 v5, 31, v4
	s_delay_alu instid0(VALU_DEP_1)
	v_add_nc_u64_e32 v[6:7], s[16:17], v[4:5]
	s_cbranch_scc1 .LBB94_913
; %bb.906:
	s_and_b32 s1, 0xffff, s0
	s_delay_alu instid0(SALU_CYCLE_1)
	s_cmp_gt_i32 s1, 25
	s_cbranch_scc0 .LBB94_914
; %bb.907:
	s_cmp_gt_i32 s1, 28
	s_cbranch_scc0 .LBB94_915
; %bb.908:
	;; [unrolled: 3-line block ×4, first 2 shown]
	s_cmp_eq_u32 s1, 46
	s_mov_b32 s38, 0
	s_cbranch_scc0 .LBB94_919
; %bb.911:
	global_load_b32 v4, v[6:7], off
	s_mov_b32 s31, -1
	s_mov_b32 s70, 0
	s_wait_loadcnt 0x0
	v_lshlrev_b32_e32 v4, 16, v4
	s_delay_alu instid0(VALU_DEP_1) | instskip(NEXT) | instid1(VALU_DEP_1)
	v_trunc_f32_e32 v4, v4
	v_mul_f32_e64 v5, 0x2f800000, |v4|
	s_delay_alu instid0(VALU_DEP_1) | instskip(NEXT) | instid1(VALU_DEP_1)
	v_floor_f32_e32 v5, v5
	v_fma_f32 v8, 0xcf800000, v5, |v4|
	v_ashrrev_i32_e32 v4, 31, v4
	v_cvt_u32_f32_e32 v9, v5
	s_delay_alu instid0(VALU_DEP_3) | instskip(NEXT) | instid1(VALU_DEP_2)
	v_cvt_u32_f32_e32 v8, v8
	v_dual_mov_b32 v5, v4 :: v_dual_bitop2_b32 v9, v9, v4 bitop3:0x14
	s_delay_alu instid0(VALU_DEP_2) | instskip(NEXT) | instid1(VALU_DEP_1)
	v_xor_b32_e32 v8, v8, v4
	v_sub_nc_u64_e32 v[4:5], v[8:9], v[4:5]
	s_branch .LBB94_921
.LBB94_912:
	s_mov_b32 s0, 0
	s_mov_b32 s1, s56
	;; [unrolled: 1-line block ×9, first 2 shown]
	s_branch .LBB94_1297
.LBB94_913:
	s_mov_b32 s1, -1
	s_mov_b32 s31, 0
	s_mov_b32 s70, s65
                                        ; implicit-def: $vgpr4_vgpr5
	s_branch .LBB94_982
.LBB94_914:
	s_mov_b32 s38, -1
	s_mov_b32 s31, 0
	s_mov_b32 s70, s65
                                        ; implicit-def: $vgpr4_vgpr5
	s_branch .LBB94_948
.LBB94_915:
	s_mov_b32 s38, -1
	s_mov_b32 s31, 0
	s_mov_b32 s70, s65
                                        ; implicit-def: $vgpr4_vgpr5
	s_branch .LBB94_931
.LBB94_916:
	s_mov_b32 s38, -1
	s_mov_b32 s31, 0
	s_mov_b32 s70, s65
                                        ; implicit-def: $vgpr4_vgpr5
	s_branch .LBB94_926
.LBB94_917:
	s_mov_b32 s38, -1
	s_mov_b32 s31, 0
	s_mov_b32 s70, s65
	s_branch .LBB94_920
.LBB94_918:
	s_mov_b32 s41, -1
	s_mov_b32 s31, 0
	s_mov_b32 s40, 0
	s_branch .LBB94_1854
.LBB94_919:
	s_mov_b32 s70, -1
	s_mov_b32 s31, 0
.LBB94_920:
                                        ; implicit-def: $vgpr4_vgpr5
.LBB94_921:
	s_and_b32 vcc_lo, exec_lo, s38
	s_cbranch_vccz .LBB94_925
; %bb.922:
	s_cmp_eq_u32 s1, 44
	s_cbranch_scc0 .LBB94_924
; %bb.923:
	global_load_u8 v10, v[6:7], off
	s_mov_b32 s70, 0
	s_mov_b32 s31, -1
	s_wait_loadcnt 0x0
	v_cmp_ne_u32_e32 vcc_lo, 0, v10
	v_lshlrev_b32_e32 v4, 23, v10
	s_delay_alu instid0(VALU_DEP_1) | instskip(NEXT) | instid1(VALU_DEP_1)
	v_trunc_f32_e32 v4, v4
	v_mul_f32_e64 v5, 0x2f800000, |v4|
	s_delay_alu instid0(VALU_DEP_1) | instskip(NEXT) | instid1(VALU_DEP_1)
	v_floor_f32_e32 v5, v5
	v_fma_f32 v8, 0xcf800000, v5, |v4|
	v_ashrrev_i32_e32 v4, 31, v4
	v_cvt_u32_f32_e32 v9, v5
	s_delay_alu instid0(VALU_DEP_3) | instskip(NEXT) | instid1(VALU_DEP_2)
	v_cvt_u32_f32_e32 v8, v8
	v_dual_mov_b32 v5, v4 :: v_dual_bitop2_b32 v9, v9, v4 bitop3:0x14
	s_delay_alu instid0(VALU_DEP_2) | instskip(NEXT) | instid1(VALU_DEP_1)
	v_xor_b32_e32 v8, v8, v4
	v_sub_nc_u64_e32 v[4:5], v[8:9], v[4:5]
	s_delay_alu instid0(VALU_DEP_1)
	v_dual_cndmask_b32 v5, 0, v5 :: v_dual_cndmask_b32 v4, 0, v4
	s_branch .LBB94_925
.LBB94_924:
	s_mov_b32 s70, -1
                                        ; implicit-def: $vgpr4_vgpr5
.LBB94_925:
	s_mov_b32 s38, 0
.LBB94_926:
	s_delay_alu instid0(SALU_CYCLE_1)
	s_and_b32 vcc_lo, exec_lo, s38
	s_cbranch_vccz .LBB94_930
; %bb.927:
	s_cmp_eq_u32 s1, 29
	s_cbranch_scc0 .LBB94_929
; %bb.928:
	global_load_b64 v[4:5], v[6:7], off
	s_mov_b32 s31, -1
	s_mov_b32 s70, 0
	s_branch .LBB94_930
.LBB94_929:
	s_mov_b32 s70, -1
                                        ; implicit-def: $vgpr4_vgpr5
.LBB94_930:
	s_mov_b32 s38, 0
.LBB94_931:
	s_delay_alu instid0(SALU_CYCLE_1)
	s_and_b32 vcc_lo, exec_lo, s38
	s_cbranch_vccz .LBB94_947
; %bb.932:
	s_cmp_lt_i32 s1, 27
	s_cbranch_scc1 .LBB94_935
; %bb.933:
	s_cmp_gt_i32 s1, 27
	s_cbranch_scc0 .LBB94_936
; %bb.934:
	s_wait_loadcnt 0x0
	global_load_b32 v4, v[6:7], off
	v_mov_b32_e32 v5, 0
	s_mov_b32 s31, 0
	s_branch .LBB94_937
.LBB94_935:
	s_mov_b32 s31, -1
                                        ; implicit-def: $vgpr4_vgpr5
	s_branch .LBB94_940
.LBB94_936:
	s_mov_b32 s31, -1
                                        ; implicit-def: $vgpr4_vgpr5
.LBB94_937:
	s_delay_alu instid0(SALU_CYCLE_1)
	s_and_not1_b32 vcc_lo, exec_lo, s31
	s_cbranch_vccnz .LBB94_939
; %bb.938:
	s_wait_loadcnt 0x0
	global_load_u16 v4, v[6:7], off
	s_mov_b32 s31, 0
	s_delay_alu instid0(SALU_CYCLE_1)
	v_mov_b32_e32 v5, s31
	s_wait_loadcnt 0x0
	v_and_b32_e32 v4, 0xffff, v4
.LBB94_939:
	s_mov_b32 s31, 0
.LBB94_940:
	s_delay_alu instid0(SALU_CYCLE_1)
	s_and_not1_b32 vcc_lo, exec_lo, s31
	s_cbranch_vccnz .LBB94_946
; %bb.941:
	global_load_u8 v8, v[6:7], off
	s_mov_b32 s38, 0
	s_mov_b32 s31, exec_lo
	s_wait_loadcnt 0x0
	v_cmpx_lt_i16_e32 0x7f, v8
	s_xor_b32 s31, exec_lo, s31
	s_cbranch_execz .LBB94_958
; %bb.942:
	v_cmp_ne_u16_e32 vcc_lo, 0x80, v8
	s_and_b32 s38, vcc_lo, exec_lo
	s_and_not1_saveexec_b32 s31, s31
	s_cbranch_execnz .LBB94_959
.LBB94_943:
	s_or_b32 exec_lo, exec_lo, s31
	v_mov_b64_e32 v[4:5], 0
	s_and_saveexec_b32 s31, s38
	s_cbranch_execz .LBB94_945
.LBB94_944:
	v_and_b32_e32 v4, 0xffff, v8
	s_delay_alu instid0(VALU_DEP_1) | instskip(SKIP_1) | instid1(VALU_DEP_2)
	v_and_b32_e32 v5, 7, v4
	v_bfe_u32 v11, v4, 3, 4
	v_clz_i32_u32_e32 v9, v5
	s_delay_alu instid0(VALU_DEP_2) | instskip(NEXT) | instid1(VALU_DEP_2)
	v_cmp_eq_u32_e32 vcc_lo, 0, v11
	v_min_u32_e32 v9, 32, v9
	s_delay_alu instid0(VALU_DEP_1) | instskip(NEXT) | instid1(VALU_DEP_1)
	v_subrev_nc_u32_e32 v10, 28, v9
	v_dual_lshlrev_b32 v4, v10, v4 :: v_dual_sub_nc_u32 v9, 29, v9
	s_delay_alu instid0(VALU_DEP_1) | instskip(NEXT) | instid1(VALU_DEP_2)
	v_and_b32_e32 v4, 7, v4
	v_dual_cndmask_b32 v9, v11, v9 :: v_dual_lshlrev_b32 v8, 24, v8
	s_delay_alu instid0(VALU_DEP_2) | instskip(NEXT) | instid1(VALU_DEP_2)
	v_cndmask_b32_e32 v4, v5, v4, vcc_lo
	v_and_b32_e32 v5, 0x80000000, v8
	s_delay_alu instid0(VALU_DEP_3) | instskip(NEXT) | instid1(VALU_DEP_3)
	v_lshl_add_u32 v8, v9, 23, 0x3b800000
	v_lshlrev_b32_e32 v4, 20, v4
	s_delay_alu instid0(VALU_DEP_1) | instskip(NEXT) | instid1(VALU_DEP_1)
	v_or3_b32 v4, v5, v8, v4
	v_trunc_f32_e32 v4, v4
	s_delay_alu instid0(VALU_DEP_1) | instskip(NEXT) | instid1(VALU_DEP_1)
	v_mul_f32_e64 v5, 0x2f800000, |v4|
	v_floor_f32_e32 v5, v5
	s_delay_alu instid0(VALU_DEP_1) | instskip(SKIP_2) | instid1(VALU_DEP_3)
	v_fma_f32 v8, 0xcf800000, v5, |v4|
	v_ashrrev_i32_e32 v4, 31, v4
	v_cvt_u32_f32_e32 v9, v5
	v_cvt_u32_f32_e32 v8, v8
	s_delay_alu instid0(VALU_DEP_2) | instskip(NEXT) | instid1(VALU_DEP_2)
	v_dual_mov_b32 v5, v4 :: v_dual_bitop2_b32 v9, v9, v4 bitop3:0x14
	v_xor_b32_e32 v8, v8, v4
	s_delay_alu instid0(VALU_DEP_1)
	v_sub_nc_u64_e32 v[4:5], v[8:9], v[4:5]
.LBB94_945:
	s_or_b32 exec_lo, exec_lo, s31
.LBB94_946:
	s_mov_b32 s31, -1
.LBB94_947:
	s_mov_b32 s38, 0
.LBB94_948:
	s_delay_alu instid0(SALU_CYCLE_1)
	s_and_b32 vcc_lo, exec_lo, s38
	s_cbranch_vccz .LBB94_981
; %bb.949:
	s_cmp_gt_i32 s1, 22
	s_cbranch_scc0 .LBB94_957
; %bb.950:
	s_cmp_lt_i32 s1, 24
	s_cbranch_scc1 .LBB94_960
; %bb.951:
	s_cmp_gt_i32 s1, 24
	s_cbranch_scc0 .LBB94_961
; %bb.952:
	global_load_u8 v8, v[6:7], off
	s_mov_b32 s38, 0
	s_mov_b32 s31, exec_lo
	s_wait_loadcnt 0x0
	v_cmpx_lt_i16_e32 0x7f, v8
	s_xor_b32 s31, exec_lo, s31
	s_cbranch_execz .LBB94_973
; %bb.953:
	v_cmp_ne_u16_e32 vcc_lo, 0x80, v8
	s_and_b32 s38, vcc_lo, exec_lo
	s_and_not1_saveexec_b32 s31, s31
	s_cbranch_execnz .LBB94_974
.LBB94_954:
	s_or_b32 exec_lo, exec_lo, s31
	v_mov_b64_e32 v[4:5], 0
	s_and_saveexec_b32 s31, s38
	s_cbranch_execz .LBB94_956
.LBB94_955:
	v_and_b32_e32 v4, 0xffff, v8
	s_delay_alu instid0(VALU_DEP_1) | instskip(SKIP_1) | instid1(VALU_DEP_2)
	v_and_b32_e32 v5, 3, v4
	v_bfe_u32 v11, v4, 2, 5
	v_clz_i32_u32_e32 v9, v5
	s_delay_alu instid0(VALU_DEP_2) | instskip(NEXT) | instid1(VALU_DEP_2)
	v_cmp_eq_u32_e32 vcc_lo, 0, v11
	v_min_u32_e32 v9, 32, v9
	s_delay_alu instid0(VALU_DEP_1) | instskip(NEXT) | instid1(VALU_DEP_1)
	v_subrev_nc_u32_e32 v10, 29, v9
	v_dual_lshlrev_b32 v4, v10, v4 :: v_dual_sub_nc_u32 v9, 30, v9
	s_delay_alu instid0(VALU_DEP_1) | instskip(NEXT) | instid1(VALU_DEP_2)
	v_and_b32_e32 v4, 3, v4
	v_dual_cndmask_b32 v9, v11, v9 :: v_dual_lshlrev_b32 v8, 24, v8
	s_delay_alu instid0(VALU_DEP_2) | instskip(NEXT) | instid1(VALU_DEP_2)
	v_cndmask_b32_e32 v4, v5, v4, vcc_lo
	v_and_b32_e32 v5, 0x80000000, v8
	s_delay_alu instid0(VALU_DEP_3) | instskip(NEXT) | instid1(VALU_DEP_3)
	v_lshl_add_u32 v8, v9, 23, 0x37800000
	v_lshlrev_b32_e32 v4, 21, v4
	s_delay_alu instid0(VALU_DEP_1) | instskip(NEXT) | instid1(VALU_DEP_1)
	v_or3_b32 v4, v5, v8, v4
	v_trunc_f32_e32 v4, v4
	s_delay_alu instid0(VALU_DEP_1) | instskip(NEXT) | instid1(VALU_DEP_1)
	v_mul_f32_e64 v5, 0x2f800000, |v4|
	v_floor_f32_e32 v5, v5
	s_delay_alu instid0(VALU_DEP_1) | instskip(SKIP_2) | instid1(VALU_DEP_3)
	v_fma_f32 v8, 0xcf800000, v5, |v4|
	v_ashrrev_i32_e32 v4, 31, v4
	v_cvt_u32_f32_e32 v9, v5
	v_cvt_u32_f32_e32 v8, v8
	s_delay_alu instid0(VALU_DEP_2) | instskip(NEXT) | instid1(VALU_DEP_2)
	v_dual_mov_b32 v5, v4 :: v_dual_bitop2_b32 v9, v9, v4 bitop3:0x14
	v_xor_b32_e32 v8, v8, v4
	s_delay_alu instid0(VALU_DEP_1)
	v_sub_nc_u64_e32 v[4:5], v[8:9], v[4:5]
.LBB94_956:
	s_or_b32 exec_lo, exec_lo, s31
	s_mov_b32 s31, 0
	s_branch .LBB94_962
.LBB94_957:
	s_mov_b32 s38, -1
                                        ; implicit-def: $vgpr4_vgpr5
	s_branch .LBB94_968
.LBB94_958:
	s_and_not1_saveexec_b32 s31, s31
	s_cbranch_execz .LBB94_943
.LBB94_959:
	v_cmp_ne_u16_e32 vcc_lo, 0, v8
	s_and_not1_b32 s38, s38, exec_lo
	s_and_b32 s39, vcc_lo, exec_lo
	s_delay_alu instid0(SALU_CYCLE_1)
	s_or_b32 s38, s38, s39
	s_or_b32 exec_lo, exec_lo, s31
	v_mov_b64_e32 v[4:5], 0
	s_and_saveexec_b32 s31, s38
	s_cbranch_execnz .LBB94_944
	s_branch .LBB94_945
.LBB94_960:
	s_mov_b32 s31, -1
                                        ; implicit-def: $vgpr4_vgpr5
	s_branch .LBB94_965
.LBB94_961:
	s_mov_b32 s31, -1
                                        ; implicit-def: $vgpr4_vgpr5
.LBB94_962:
	s_delay_alu instid0(SALU_CYCLE_1)
	s_and_b32 vcc_lo, exec_lo, s31
	s_cbranch_vccz .LBB94_964
; %bb.963:
	s_wait_loadcnt 0x0
	global_load_u8 v4, v[6:7], off
	s_wait_loadcnt 0x0
	v_lshlrev_b32_e32 v4, 24, v4
	s_delay_alu instid0(VALU_DEP_1) | instskip(NEXT) | instid1(VALU_DEP_1)
	v_and_b32_e32 v5, 0x7f000000, v4
	v_clz_i32_u32_e32 v8, v5
	v_cmp_ne_u32_e32 vcc_lo, 0, v5
	v_add_nc_u32_e32 v10, 0x1000000, v5
	s_delay_alu instid0(VALU_DEP_3) | instskip(NEXT) | instid1(VALU_DEP_1)
	v_min_u32_e32 v8, 32, v8
	v_sub_nc_u32_e64 v8, v8, 4 clamp
	s_delay_alu instid0(VALU_DEP_1) | instskip(NEXT) | instid1(VALU_DEP_1)
	v_dual_lshlrev_b32 v9, v8, v5 :: v_dual_lshlrev_b32 v8, 23, v8
	v_lshrrev_b32_e32 v9, 4, v9
	s_delay_alu instid0(VALU_DEP_1) | instskip(NEXT) | instid1(VALU_DEP_1)
	v_dual_sub_nc_u32 v8, v9, v8 :: v_dual_ashrrev_i32 v9, 8, v10
	v_add_nc_u32_e32 v8, 0x3c000000, v8
	s_delay_alu instid0(VALU_DEP_1) | instskip(NEXT) | instid1(VALU_DEP_1)
	v_and_or_b32 v8, 0x7f800000, v9, v8
	v_cndmask_b32_e32 v5, 0, v8, vcc_lo
	s_delay_alu instid0(VALU_DEP_1) | instskip(NEXT) | instid1(VALU_DEP_1)
	v_and_or_b32 v4, 0x80000000, v4, v5
	v_trunc_f32_e32 v4, v4
	s_delay_alu instid0(VALU_DEP_1) | instskip(NEXT) | instid1(VALU_DEP_1)
	v_mul_f32_e64 v5, 0x2f800000, |v4|
	v_floor_f32_e32 v5, v5
	s_delay_alu instid0(VALU_DEP_1) | instskip(SKIP_2) | instid1(VALU_DEP_3)
	v_fma_f32 v8, 0xcf800000, v5, |v4|
	v_ashrrev_i32_e32 v4, 31, v4
	v_cvt_u32_f32_e32 v9, v5
	v_cvt_u32_f32_e32 v8, v8
	s_delay_alu instid0(VALU_DEP_2) | instskip(NEXT) | instid1(VALU_DEP_2)
	v_dual_mov_b32 v5, v4 :: v_dual_bitop2_b32 v9, v9, v4 bitop3:0x14
	v_xor_b32_e32 v8, v8, v4
	s_delay_alu instid0(VALU_DEP_1)
	v_sub_nc_u64_e32 v[4:5], v[8:9], v[4:5]
.LBB94_964:
	s_mov_b32 s31, 0
.LBB94_965:
	s_delay_alu instid0(SALU_CYCLE_1)
	s_and_not1_b32 vcc_lo, exec_lo, s31
	s_cbranch_vccnz .LBB94_967
; %bb.966:
	s_wait_loadcnt 0x0
	global_load_u8 v4, v[6:7], off
	s_wait_loadcnt 0x0
	v_lshlrev_b32_e32 v5, 25, v4
	v_lshlrev_b16 v4, 8, v4
	s_delay_alu instid0(VALU_DEP_1) | instskip(SKIP_1) | instid1(VALU_DEP_2)
	v_and_or_b32 v9, 0x7f00, v4, 0.5
	v_bfe_i32 v4, v4, 0, 16
	v_add_f32_e32 v9, -0.5, v9
	v_lshrrev_b32_e32 v8, 4, v5
	v_cmp_gt_u32_e32 vcc_lo, 0x8000000, v5
	s_delay_alu instid0(VALU_DEP_2) | instskip(NEXT) | instid1(VALU_DEP_1)
	v_or_b32_e32 v8, 0x70000000, v8
	v_mul_f32_e32 v8, 0x7800000, v8
	s_delay_alu instid0(VALU_DEP_1) | instskip(NEXT) | instid1(VALU_DEP_1)
	v_cndmask_b32_e32 v5, v8, v9, vcc_lo
	v_and_or_b32 v4, 0x80000000, v4, v5
	s_delay_alu instid0(VALU_DEP_1) | instskip(NEXT) | instid1(VALU_DEP_1)
	v_trunc_f32_e32 v4, v4
	v_mul_f32_e64 v5, 0x2f800000, |v4|
	s_delay_alu instid0(VALU_DEP_1) | instskip(NEXT) | instid1(VALU_DEP_1)
	v_floor_f32_e32 v5, v5
	v_fma_f32 v8, 0xcf800000, v5, |v4|
	v_ashrrev_i32_e32 v4, 31, v4
	v_cvt_u32_f32_e32 v9, v5
	s_delay_alu instid0(VALU_DEP_3) | instskip(NEXT) | instid1(VALU_DEP_2)
	v_cvt_u32_f32_e32 v8, v8
	v_dual_mov_b32 v5, v4 :: v_dual_bitop2_b32 v9, v9, v4 bitop3:0x14
	s_delay_alu instid0(VALU_DEP_2) | instskip(NEXT) | instid1(VALU_DEP_1)
	v_xor_b32_e32 v8, v8, v4
	v_sub_nc_u64_e32 v[4:5], v[8:9], v[4:5]
.LBB94_967:
	s_mov_b32 s38, 0
	s_mov_b32 s31, -1
.LBB94_968:
	s_and_not1_b32 vcc_lo, exec_lo, s38
	s_cbranch_vccnz .LBB94_981
; %bb.969:
	s_cmp_gt_i32 s1, 14
	s_cbranch_scc0 .LBB94_972
; %bb.970:
	s_cmp_eq_u32 s1, 15
	s_cbranch_scc0 .LBB94_975
; %bb.971:
	s_wait_loadcnt 0x0
	global_load_u16 v4, v[6:7], off
	s_mov_b32 s31, -1
	s_mov_b32 s70, 0
	s_wait_loadcnt 0x0
	v_lshlrev_b32_e32 v4, 16, v4
	s_delay_alu instid0(VALU_DEP_1) | instskip(NEXT) | instid1(VALU_DEP_1)
	v_trunc_f32_e32 v4, v4
	v_mul_f32_e64 v5, 0x2f800000, |v4|
	s_delay_alu instid0(VALU_DEP_1) | instskip(NEXT) | instid1(VALU_DEP_1)
	v_floor_f32_e32 v5, v5
	v_fma_f32 v8, 0xcf800000, v5, |v4|
	v_ashrrev_i32_e32 v4, 31, v4
	v_cvt_u32_f32_e32 v9, v5
	s_delay_alu instid0(VALU_DEP_3) | instskip(NEXT) | instid1(VALU_DEP_2)
	v_cvt_u32_f32_e32 v8, v8
	v_dual_mov_b32 v5, v4 :: v_dual_bitop2_b32 v9, v9, v4 bitop3:0x14
	s_delay_alu instid0(VALU_DEP_2) | instskip(NEXT) | instid1(VALU_DEP_1)
	v_xor_b32_e32 v8, v8, v4
	v_sub_nc_u64_e32 v[4:5], v[8:9], v[4:5]
	s_branch .LBB94_976
.LBB94_972:
	s_mov_b32 s38, -1
                                        ; implicit-def: $vgpr4_vgpr5
	s_branch .LBB94_977
.LBB94_973:
	s_and_not1_saveexec_b32 s31, s31
	s_cbranch_execz .LBB94_954
.LBB94_974:
	v_cmp_ne_u16_e32 vcc_lo, 0, v8
	s_and_not1_b32 s38, s38, exec_lo
	s_and_b32 s39, vcc_lo, exec_lo
	s_delay_alu instid0(SALU_CYCLE_1)
	s_or_b32 s38, s38, s39
	s_or_b32 exec_lo, exec_lo, s31
	v_mov_b64_e32 v[4:5], 0
	s_and_saveexec_b32 s31, s38
	s_cbranch_execnz .LBB94_955
	s_branch .LBB94_956
.LBB94_975:
	s_mov_b32 s70, -1
                                        ; implicit-def: $vgpr4_vgpr5
.LBB94_976:
	s_mov_b32 s38, 0
.LBB94_977:
	s_delay_alu instid0(SALU_CYCLE_1)
	s_and_b32 vcc_lo, exec_lo, s38
	s_cbranch_vccz .LBB94_981
; %bb.978:
	s_cmp_eq_u32 s1, 11
	s_cbranch_scc0 .LBB94_980
; %bb.979:
	s_wait_loadcnt 0x0
	global_load_u8 v4, v[6:7], off
	s_mov_b32 s70, 0
	s_mov_b32 s31, -1
	v_mov_b32_e32 v5, s70
	s_wait_loadcnt 0x0
	v_cmp_ne_u16_e32 vcc_lo, 0, v4
	v_cndmask_b32_e64 v4, 0, 1, vcc_lo
	s_branch .LBB94_981
.LBB94_980:
	s_mov_b32 s70, -1
                                        ; implicit-def: $vgpr4_vgpr5
.LBB94_981:
	s_mov_b32 s1, 0
.LBB94_982:
	s_delay_alu instid0(SALU_CYCLE_1)
	s_and_b32 vcc_lo, exec_lo, s1
	s_cbranch_vccz .LBB94_1031
; %bb.983:
	s_and_b32 s0, 0xffff, s0
	s_delay_alu instid0(SALU_CYCLE_1)
	s_cmp_lt_i32 s0, 5
	s_cbranch_scc1 .LBB94_988
; %bb.984:
	s_cmp_lt_i32 s0, 8
	s_cbranch_scc1 .LBB94_989
; %bb.985:
	;; [unrolled: 3-line block ×3, first 2 shown]
	s_cmp_gt_i32 s0, 9
	s_cbranch_scc0 .LBB94_991
; %bb.987:
	s_wait_loadcnt 0x0
	global_load_b64 v[4:5], v[6:7], off
	s_mov_b32 s1, 0
	s_wait_loadcnt 0x0
	v_trunc_f64_e32 v[4:5], v[4:5]
	s_delay_alu instid0(VALU_DEP_1) | instskip(NEXT) | instid1(VALU_DEP_1)
	v_ldexp_f64 v[8:9], v[4:5], 0xffffffe0
	v_floor_f64_e32 v[8:9], v[8:9]
	s_delay_alu instid0(VALU_DEP_1) | instskip(SKIP_1) | instid1(VALU_DEP_2)
	v_fmamk_f64 v[10:11], v[8:9], 0xc1f00000, v[4:5]
	v_cvt_i32_f64_e32 v5, v[8:9]
	v_cvt_u32_f64_e32 v4, v[10:11]
	s_branch .LBB94_992
.LBB94_988:
	s_mov_b32 s1, -1
                                        ; implicit-def: $vgpr4_vgpr5
	s_branch .LBB94_1010
.LBB94_989:
	s_mov_b32 s1, -1
                                        ; implicit-def: $vgpr4_vgpr5
	s_branch .LBB94_998
.LBB94_990:
	s_mov_b32 s1, -1
                                        ; implicit-def: $vgpr4_vgpr5
	s_branch .LBB94_995
.LBB94_991:
	s_mov_b32 s1, -1
                                        ; implicit-def: $vgpr4_vgpr5
.LBB94_992:
	s_delay_alu instid0(SALU_CYCLE_1)
	s_and_not1_b32 vcc_lo, exec_lo, s1
	s_cbranch_vccnz .LBB94_994
; %bb.993:
	s_wait_loadcnt 0x0
	global_load_b32 v4, v[6:7], off
	s_wait_loadcnt 0x0
	v_trunc_f32_e32 v4, v4
	s_delay_alu instid0(VALU_DEP_1) | instskip(NEXT) | instid1(VALU_DEP_1)
	v_mul_f32_e64 v5, 0x2f800000, |v4|
	v_floor_f32_e32 v5, v5
	s_delay_alu instid0(VALU_DEP_1) | instskip(SKIP_2) | instid1(VALU_DEP_3)
	v_fma_f32 v8, 0xcf800000, v5, |v4|
	v_ashrrev_i32_e32 v4, 31, v4
	v_cvt_u32_f32_e32 v9, v5
	v_cvt_u32_f32_e32 v8, v8
	s_delay_alu instid0(VALU_DEP_2) | instskip(NEXT) | instid1(VALU_DEP_2)
	v_dual_mov_b32 v5, v4 :: v_dual_bitop2_b32 v9, v9, v4 bitop3:0x14
	v_xor_b32_e32 v8, v8, v4
	s_delay_alu instid0(VALU_DEP_1)
	v_sub_nc_u64_e32 v[4:5], v[8:9], v[4:5]
.LBB94_994:
	s_mov_b32 s1, 0
.LBB94_995:
	s_delay_alu instid0(SALU_CYCLE_1)
	s_and_not1_b32 vcc_lo, exec_lo, s1
	s_cbranch_vccnz .LBB94_997
; %bb.996:
	s_wait_loadcnt 0x0
	global_load_b32 v4, v[6:7], off
	s_wait_loadcnt 0x0
	v_cvt_f32_f16_e32 v4, v4
	s_delay_alu instid0(VALU_DEP_1) | instskip(NEXT) | instid1(VALU_DEP_1)
	v_cvt_i32_f32_e32 v4, v4
	v_ashrrev_i32_e32 v5, 31, v4
.LBB94_997:
	s_mov_b32 s1, 0
.LBB94_998:
	s_delay_alu instid0(SALU_CYCLE_1)
	s_and_not1_b32 vcc_lo, exec_lo, s1
	s_cbranch_vccnz .LBB94_1009
; %bb.999:
	s_cmp_lt_i32 s0, 6
	s_cbranch_scc1 .LBB94_1002
; %bb.1000:
	s_cmp_gt_i32 s0, 6
	s_cbranch_scc0 .LBB94_1003
; %bb.1001:
	s_wait_loadcnt 0x0
	global_load_b64 v[4:5], v[6:7], off
	s_mov_b32 s1, 0
	s_wait_loadcnt 0x0
	v_trunc_f64_e32 v[4:5], v[4:5]
	s_delay_alu instid0(VALU_DEP_1) | instskip(NEXT) | instid1(VALU_DEP_1)
	v_ldexp_f64 v[8:9], v[4:5], 0xffffffe0
	v_floor_f64_e32 v[8:9], v[8:9]
	s_delay_alu instid0(VALU_DEP_1) | instskip(SKIP_1) | instid1(VALU_DEP_2)
	v_fmamk_f64 v[10:11], v[8:9], 0xc1f00000, v[4:5]
	v_cvt_i32_f64_e32 v5, v[8:9]
	v_cvt_u32_f64_e32 v4, v[10:11]
	s_branch .LBB94_1004
.LBB94_1002:
	s_mov_b32 s1, -1
                                        ; implicit-def: $vgpr4_vgpr5
	s_branch .LBB94_1007
.LBB94_1003:
	s_mov_b32 s1, -1
                                        ; implicit-def: $vgpr4_vgpr5
.LBB94_1004:
	s_delay_alu instid0(SALU_CYCLE_1)
	s_and_not1_b32 vcc_lo, exec_lo, s1
	s_cbranch_vccnz .LBB94_1006
; %bb.1005:
	s_wait_loadcnt 0x0
	global_load_b32 v4, v[6:7], off
	s_wait_loadcnt 0x0
	v_trunc_f32_e32 v4, v4
	s_delay_alu instid0(VALU_DEP_1) | instskip(NEXT) | instid1(VALU_DEP_1)
	v_mul_f32_e64 v5, 0x2f800000, |v4|
	v_floor_f32_e32 v5, v5
	s_delay_alu instid0(VALU_DEP_1) | instskip(SKIP_2) | instid1(VALU_DEP_3)
	v_fma_f32 v8, 0xcf800000, v5, |v4|
	v_ashrrev_i32_e32 v4, 31, v4
	v_cvt_u32_f32_e32 v9, v5
	v_cvt_u32_f32_e32 v8, v8
	s_delay_alu instid0(VALU_DEP_2) | instskip(NEXT) | instid1(VALU_DEP_2)
	v_dual_mov_b32 v5, v4 :: v_dual_bitop2_b32 v9, v9, v4 bitop3:0x14
	v_xor_b32_e32 v8, v8, v4
	s_delay_alu instid0(VALU_DEP_1)
	v_sub_nc_u64_e32 v[4:5], v[8:9], v[4:5]
.LBB94_1006:
	s_mov_b32 s1, 0
.LBB94_1007:
	s_delay_alu instid0(SALU_CYCLE_1)
	s_and_not1_b32 vcc_lo, exec_lo, s1
	s_cbranch_vccnz .LBB94_1009
; %bb.1008:
	s_wait_loadcnt 0x0
	global_load_u16 v4, v[6:7], off
	s_wait_loadcnt 0x0
	v_cvt_f32_f16_e32 v4, v4
	s_delay_alu instid0(VALU_DEP_1) | instskip(NEXT) | instid1(VALU_DEP_1)
	v_cvt_i32_f32_e32 v4, v4
	v_ashrrev_i32_e32 v5, 31, v4
.LBB94_1009:
	s_mov_b32 s1, 0
.LBB94_1010:
	s_delay_alu instid0(SALU_CYCLE_1)
	s_and_not1_b32 vcc_lo, exec_lo, s1
	s_cbranch_vccnz .LBB94_1030
; %bb.1011:
	s_cmp_lt_i32 s0, 2
	s_cbranch_scc1 .LBB94_1015
; %bb.1012:
	s_cmp_lt_i32 s0, 3
	s_cbranch_scc1 .LBB94_1016
; %bb.1013:
	s_cmp_gt_i32 s0, 3
	s_cbranch_scc0 .LBB94_1017
; %bb.1014:
	s_wait_loadcnt 0x0
	global_load_b64 v[4:5], v[6:7], off
	s_mov_b32 s1, 0
	s_branch .LBB94_1018
.LBB94_1015:
	s_mov_b32 s1, -1
                                        ; implicit-def: $vgpr4_vgpr5
	s_branch .LBB94_1024
.LBB94_1016:
	s_mov_b32 s1, -1
                                        ; implicit-def: $vgpr4_vgpr5
	s_branch .LBB94_1021
.LBB94_1017:
	s_mov_b32 s1, -1
                                        ; implicit-def: $vgpr4_vgpr5
.LBB94_1018:
	s_delay_alu instid0(SALU_CYCLE_1)
	s_and_not1_b32 vcc_lo, exec_lo, s1
	s_cbranch_vccnz .LBB94_1020
; %bb.1019:
	s_wait_loadcnt 0x0
	global_load_b32 v4, v[6:7], off
	s_wait_loadcnt 0x0
	v_ashrrev_i32_e32 v5, 31, v4
.LBB94_1020:
	s_mov_b32 s1, 0
.LBB94_1021:
	s_delay_alu instid0(SALU_CYCLE_1)
	s_and_not1_b32 vcc_lo, exec_lo, s1
	s_cbranch_vccnz .LBB94_1023
; %bb.1022:
	s_wait_loadcnt 0x0
	global_load_u16 v4, v[6:7], off
	s_wait_loadcnt 0x0
	v_bfe_i32 v4, v4, 0, 16
	s_delay_alu instid0(VALU_DEP_1)
	v_ashrrev_i32_e32 v5, 31, v4
.LBB94_1023:
	s_mov_b32 s1, 0
.LBB94_1024:
	s_delay_alu instid0(SALU_CYCLE_1)
	s_and_not1_b32 vcc_lo, exec_lo, s1
	s_cbranch_vccnz .LBB94_1030
; %bb.1025:
	s_cmp_gt_i32 s0, 0
	s_mov_b32 s0, 0
	s_cbranch_scc0 .LBB94_1027
; %bb.1026:
	s_wait_loadcnt 0x0
	global_load_i8 v4, v[6:7], off
	s_wait_loadcnt 0x0
	v_bfe_i32 v4, v4, 0, 16
	s_delay_alu instid0(VALU_DEP_1)
	v_ashrrev_i32_e32 v5, 31, v4
	s_branch .LBB94_1028
.LBB94_1027:
	s_mov_b32 s0, -1
                                        ; implicit-def: $vgpr4_vgpr5
.LBB94_1028:
	s_delay_alu instid0(SALU_CYCLE_1)
	s_and_not1_b32 vcc_lo, exec_lo, s0
	s_cbranch_vccnz .LBB94_1030
; %bb.1029:
	s_wait_loadcnt 0x0
	global_load_u8 v4, v[6:7], off
	s_mov_b32 s0, 0
	s_delay_alu instid0(SALU_CYCLE_1)
	v_mov_b32_e32 v5, s0
	s_wait_loadcnt 0x0
	v_and_b32_e32 v4, 0xffff, v4
.LBB94_1030:
	s_mov_b32 s31, -1
.LBB94_1031:
	s_delay_alu instid0(SALU_CYCLE_1)
	s_and_not1_b32 vcc_lo, exec_lo, s31
	s_cbranch_vccnz .LBB94_1039
; %bb.1032:
	s_wait_xcnt 0x0
	v_mul_lo_u32 v6, s27, v26
	s_and_b32 s0, s23, 0xff
	s_delay_alu instid0(SALU_CYCLE_1) | instskip(NEXT) | instid1(VALU_DEP_1)
	s_cmp_lt_i32 s0, 11
	v_ashrrev_i32_e32 v7, 31, v6
	s_delay_alu instid0(VALU_DEP_1)
	v_add_nc_u64_e32 v[8:9], s[18:19], v[6:7]
	s_cbranch_scc1 .LBB94_1040
; %bb.1033:
	s_and_b32 s1, 0xffff, s0
	s_delay_alu instid0(SALU_CYCLE_1)
	s_cmp_gt_i32 s1, 25
	s_cbranch_scc0 .LBB94_1041
; %bb.1034:
	s_cmp_gt_i32 s1, 28
	s_cbranch_scc0 .LBB94_1042
; %bb.1035:
	;; [unrolled: 3-line block ×4, first 2 shown]
	s_cmp_eq_u32 s1, 46
	s_mov_b32 s38, 0
	s_cbranch_scc0 .LBB94_1046
; %bb.1038:
	global_load_b32 v6, v[8:9], off
	s_mov_b32 s31, -1
	s_mov_b32 s73, 0
	s_wait_loadcnt 0x0
	v_lshlrev_b32_e32 v6, 16, v6
	s_delay_alu instid0(VALU_DEP_1) | instskip(NEXT) | instid1(VALU_DEP_1)
	v_trunc_f32_e32 v6, v6
	v_mul_f32_e64 v7, 0x2f800000, |v6|
	s_delay_alu instid0(VALU_DEP_1) | instskip(NEXT) | instid1(VALU_DEP_1)
	v_floor_f32_e32 v7, v7
	v_fma_f32 v10, 0xcf800000, v7, |v6|
	v_ashrrev_i32_e32 v6, 31, v6
	v_cvt_u32_f32_e32 v11, v7
	s_delay_alu instid0(VALU_DEP_3) | instskip(NEXT) | instid1(VALU_DEP_2)
	v_cvt_u32_f32_e32 v10, v10
	v_dual_mov_b32 v7, v6 :: v_dual_bitop2_b32 v11, v11, v6 bitop3:0x14
	s_delay_alu instid0(VALU_DEP_2) | instskip(NEXT) | instid1(VALU_DEP_1)
	v_xor_b32_e32 v10, v10, v6
	v_sub_nc_u64_e32 v[6:7], v[10:11], v[6:7]
	s_branch .LBB94_1048
.LBB94_1039:
	s_mov_b32 s0, 0
	s_mov_b32 s1, s56
	;; [unrolled: 1-line block ×8, first 2 shown]
	s_branch .LBB94_1297
.LBB94_1040:
	s_mov_b32 s1, -1
	s_mov_b32 s31, 0
	s_mov_b32 s73, s64
                                        ; implicit-def: $vgpr6_vgpr7
	s_branch .LBB94_1109
.LBB94_1041:
	s_mov_b32 s38, -1
	s_mov_b32 s31, 0
	s_mov_b32 s73, s64
                                        ; implicit-def: $vgpr6_vgpr7
	s_branch .LBB94_1075
.LBB94_1042:
	s_mov_b32 s38, -1
	s_mov_b32 s31, 0
	s_mov_b32 s73, s64
                                        ; implicit-def: $vgpr6_vgpr7
	s_branch .LBB94_1058
.LBB94_1043:
	s_mov_b32 s38, -1
	s_mov_b32 s31, 0
	s_mov_b32 s73, s64
                                        ; implicit-def: $vgpr6_vgpr7
	s_branch .LBB94_1053
.LBB94_1044:
	s_mov_b32 s38, -1
	s_mov_b32 s31, 0
	s_mov_b32 s73, s64
	s_branch .LBB94_1047
.LBB94_1045:
	s_mov_b32 s41, -1
	s_mov_b32 s31, 0
	s_mov_b32 s40, 0
	s_branch .LBB94_1843
.LBB94_1046:
	s_mov_b32 s73, -1
	s_mov_b32 s31, 0
.LBB94_1047:
                                        ; implicit-def: $vgpr6_vgpr7
.LBB94_1048:
	s_and_b32 vcc_lo, exec_lo, s38
	s_cbranch_vccz .LBB94_1052
; %bb.1049:
	s_cmp_eq_u32 s1, 44
	s_cbranch_scc0 .LBB94_1051
; %bb.1050:
	global_load_u8 v12, v[8:9], off
	s_mov_b32 s73, 0
	s_mov_b32 s31, -1
	s_wait_loadcnt 0x0
	v_cmp_ne_u32_e32 vcc_lo, 0, v12
	v_lshlrev_b32_e32 v6, 23, v12
	s_delay_alu instid0(VALU_DEP_1) | instskip(NEXT) | instid1(VALU_DEP_1)
	v_trunc_f32_e32 v6, v6
	v_mul_f32_e64 v7, 0x2f800000, |v6|
	s_delay_alu instid0(VALU_DEP_1) | instskip(NEXT) | instid1(VALU_DEP_1)
	v_floor_f32_e32 v7, v7
	v_fma_f32 v10, 0xcf800000, v7, |v6|
	v_ashrrev_i32_e32 v6, 31, v6
	v_cvt_u32_f32_e32 v11, v7
	s_delay_alu instid0(VALU_DEP_3) | instskip(NEXT) | instid1(VALU_DEP_2)
	v_cvt_u32_f32_e32 v10, v10
	v_dual_mov_b32 v7, v6 :: v_dual_bitop2_b32 v11, v11, v6 bitop3:0x14
	s_delay_alu instid0(VALU_DEP_2) | instskip(NEXT) | instid1(VALU_DEP_1)
	v_xor_b32_e32 v10, v10, v6
	v_sub_nc_u64_e32 v[6:7], v[10:11], v[6:7]
	s_delay_alu instid0(VALU_DEP_1)
	v_dual_cndmask_b32 v7, 0, v7 :: v_dual_cndmask_b32 v6, 0, v6
	s_branch .LBB94_1052
.LBB94_1051:
	s_mov_b32 s73, -1
                                        ; implicit-def: $vgpr6_vgpr7
.LBB94_1052:
	s_mov_b32 s38, 0
.LBB94_1053:
	s_delay_alu instid0(SALU_CYCLE_1)
	s_and_b32 vcc_lo, exec_lo, s38
	s_cbranch_vccz .LBB94_1057
; %bb.1054:
	s_cmp_eq_u32 s1, 29
	s_cbranch_scc0 .LBB94_1056
; %bb.1055:
	global_load_b64 v[6:7], v[8:9], off
	s_mov_b32 s31, -1
	s_mov_b32 s73, 0
	s_branch .LBB94_1057
.LBB94_1056:
	s_mov_b32 s73, -1
                                        ; implicit-def: $vgpr6_vgpr7
.LBB94_1057:
	s_mov_b32 s38, 0
.LBB94_1058:
	s_delay_alu instid0(SALU_CYCLE_1)
	s_and_b32 vcc_lo, exec_lo, s38
	s_cbranch_vccz .LBB94_1074
; %bb.1059:
	s_cmp_lt_i32 s1, 27
	s_cbranch_scc1 .LBB94_1062
; %bb.1060:
	s_cmp_gt_i32 s1, 27
	s_cbranch_scc0 .LBB94_1063
; %bb.1061:
	s_wait_loadcnt 0x0
	global_load_b32 v6, v[8:9], off
	v_mov_b32_e32 v7, 0
	s_mov_b32 s31, 0
	s_branch .LBB94_1064
.LBB94_1062:
	s_mov_b32 s31, -1
                                        ; implicit-def: $vgpr6_vgpr7
	s_branch .LBB94_1067
.LBB94_1063:
	s_mov_b32 s31, -1
                                        ; implicit-def: $vgpr6_vgpr7
.LBB94_1064:
	s_delay_alu instid0(SALU_CYCLE_1)
	s_and_not1_b32 vcc_lo, exec_lo, s31
	s_cbranch_vccnz .LBB94_1066
; %bb.1065:
	s_wait_loadcnt 0x0
	global_load_u16 v6, v[8:9], off
	s_mov_b32 s31, 0
	s_delay_alu instid0(SALU_CYCLE_1)
	v_mov_b32_e32 v7, s31
	s_wait_loadcnt 0x0
	v_and_b32_e32 v6, 0xffff, v6
.LBB94_1066:
	s_mov_b32 s31, 0
.LBB94_1067:
	s_delay_alu instid0(SALU_CYCLE_1)
	s_and_not1_b32 vcc_lo, exec_lo, s31
	s_cbranch_vccnz .LBB94_1073
; %bb.1068:
	global_load_u8 v10, v[8:9], off
	s_mov_b32 s38, 0
	s_mov_b32 s31, exec_lo
	s_wait_loadcnt 0x0
	v_cmpx_lt_i16_e32 0x7f, v10
	s_xor_b32 s31, exec_lo, s31
	s_cbranch_execz .LBB94_1085
; %bb.1069:
	v_cmp_ne_u16_e32 vcc_lo, 0x80, v10
	s_and_b32 s38, vcc_lo, exec_lo
	s_and_not1_saveexec_b32 s31, s31
	s_cbranch_execnz .LBB94_1086
.LBB94_1070:
	s_or_b32 exec_lo, exec_lo, s31
	v_mov_b64_e32 v[6:7], 0
	s_and_saveexec_b32 s31, s38
	s_cbranch_execz .LBB94_1072
.LBB94_1071:
	v_and_b32_e32 v6, 0xffff, v10
	s_delay_alu instid0(VALU_DEP_1) | instskip(SKIP_1) | instid1(VALU_DEP_2)
	v_and_b32_e32 v7, 7, v6
	v_bfe_u32 v13, v6, 3, 4
	v_clz_i32_u32_e32 v11, v7
	s_delay_alu instid0(VALU_DEP_2) | instskip(NEXT) | instid1(VALU_DEP_2)
	v_cmp_eq_u32_e32 vcc_lo, 0, v13
	v_min_u32_e32 v11, 32, v11
	s_delay_alu instid0(VALU_DEP_1) | instskip(NEXT) | instid1(VALU_DEP_1)
	v_subrev_nc_u32_e32 v12, 28, v11
	v_dual_lshlrev_b32 v6, v12, v6 :: v_dual_sub_nc_u32 v11, 29, v11
	s_delay_alu instid0(VALU_DEP_1) | instskip(NEXT) | instid1(VALU_DEP_2)
	v_and_b32_e32 v6, 7, v6
	v_dual_cndmask_b32 v11, v13, v11 :: v_dual_lshlrev_b32 v10, 24, v10
	s_delay_alu instid0(VALU_DEP_2) | instskip(NEXT) | instid1(VALU_DEP_2)
	v_cndmask_b32_e32 v6, v7, v6, vcc_lo
	v_and_b32_e32 v7, 0x80000000, v10
	s_delay_alu instid0(VALU_DEP_3) | instskip(NEXT) | instid1(VALU_DEP_3)
	v_lshl_add_u32 v10, v11, 23, 0x3b800000
	v_lshlrev_b32_e32 v6, 20, v6
	s_delay_alu instid0(VALU_DEP_1) | instskip(NEXT) | instid1(VALU_DEP_1)
	v_or3_b32 v6, v7, v10, v6
	v_trunc_f32_e32 v6, v6
	s_delay_alu instid0(VALU_DEP_1) | instskip(NEXT) | instid1(VALU_DEP_1)
	v_mul_f32_e64 v7, 0x2f800000, |v6|
	v_floor_f32_e32 v7, v7
	s_delay_alu instid0(VALU_DEP_1) | instskip(SKIP_2) | instid1(VALU_DEP_3)
	v_fma_f32 v10, 0xcf800000, v7, |v6|
	v_ashrrev_i32_e32 v6, 31, v6
	v_cvt_u32_f32_e32 v11, v7
	v_cvt_u32_f32_e32 v10, v10
	s_delay_alu instid0(VALU_DEP_2) | instskip(NEXT) | instid1(VALU_DEP_2)
	v_dual_mov_b32 v7, v6 :: v_dual_bitop2_b32 v11, v11, v6 bitop3:0x14
	v_xor_b32_e32 v10, v10, v6
	s_delay_alu instid0(VALU_DEP_1)
	v_sub_nc_u64_e32 v[6:7], v[10:11], v[6:7]
.LBB94_1072:
	s_or_b32 exec_lo, exec_lo, s31
.LBB94_1073:
	s_mov_b32 s31, -1
.LBB94_1074:
	s_mov_b32 s38, 0
.LBB94_1075:
	s_delay_alu instid0(SALU_CYCLE_1)
	s_and_b32 vcc_lo, exec_lo, s38
	s_cbranch_vccz .LBB94_1108
; %bb.1076:
	s_cmp_gt_i32 s1, 22
	s_cbranch_scc0 .LBB94_1084
; %bb.1077:
	s_cmp_lt_i32 s1, 24
	s_cbranch_scc1 .LBB94_1087
; %bb.1078:
	s_cmp_gt_i32 s1, 24
	s_cbranch_scc0 .LBB94_1088
; %bb.1079:
	global_load_u8 v10, v[8:9], off
	s_mov_b32 s38, 0
	s_mov_b32 s31, exec_lo
	s_wait_loadcnt 0x0
	v_cmpx_lt_i16_e32 0x7f, v10
	s_xor_b32 s31, exec_lo, s31
	s_cbranch_execz .LBB94_1100
; %bb.1080:
	v_cmp_ne_u16_e32 vcc_lo, 0x80, v10
	s_and_b32 s38, vcc_lo, exec_lo
	s_and_not1_saveexec_b32 s31, s31
	s_cbranch_execnz .LBB94_1101
.LBB94_1081:
	s_or_b32 exec_lo, exec_lo, s31
	v_mov_b64_e32 v[6:7], 0
	s_and_saveexec_b32 s31, s38
	s_cbranch_execz .LBB94_1083
.LBB94_1082:
	v_and_b32_e32 v6, 0xffff, v10
	s_delay_alu instid0(VALU_DEP_1) | instskip(SKIP_1) | instid1(VALU_DEP_2)
	v_and_b32_e32 v7, 3, v6
	v_bfe_u32 v13, v6, 2, 5
	v_clz_i32_u32_e32 v11, v7
	s_delay_alu instid0(VALU_DEP_2) | instskip(NEXT) | instid1(VALU_DEP_2)
	v_cmp_eq_u32_e32 vcc_lo, 0, v13
	v_min_u32_e32 v11, 32, v11
	s_delay_alu instid0(VALU_DEP_1) | instskip(NEXT) | instid1(VALU_DEP_1)
	v_subrev_nc_u32_e32 v12, 29, v11
	v_dual_lshlrev_b32 v6, v12, v6 :: v_dual_sub_nc_u32 v11, 30, v11
	s_delay_alu instid0(VALU_DEP_1) | instskip(NEXT) | instid1(VALU_DEP_2)
	v_and_b32_e32 v6, 3, v6
	v_dual_cndmask_b32 v11, v13, v11 :: v_dual_lshlrev_b32 v10, 24, v10
	s_delay_alu instid0(VALU_DEP_2) | instskip(NEXT) | instid1(VALU_DEP_2)
	v_cndmask_b32_e32 v6, v7, v6, vcc_lo
	v_and_b32_e32 v7, 0x80000000, v10
	s_delay_alu instid0(VALU_DEP_3) | instskip(NEXT) | instid1(VALU_DEP_3)
	v_lshl_add_u32 v10, v11, 23, 0x37800000
	v_lshlrev_b32_e32 v6, 21, v6
	s_delay_alu instid0(VALU_DEP_1) | instskip(NEXT) | instid1(VALU_DEP_1)
	v_or3_b32 v6, v7, v10, v6
	v_trunc_f32_e32 v6, v6
	s_delay_alu instid0(VALU_DEP_1) | instskip(NEXT) | instid1(VALU_DEP_1)
	v_mul_f32_e64 v7, 0x2f800000, |v6|
	v_floor_f32_e32 v7, v7
	s_delay_alu instid0(VALU_DEP_1) | instskip(SKIP_2) | instid1(VALU_DEP_3)
	v_fma_f32 v10, 0xcf800000, v7, |v6|
	v_ashrrev_i32_e32 v6, 31, v6
	v_cvt_u32_f32_e32 v11, v7
	v_cvt_u32_f32_e32 v10, v10
	s_delay_alu instid0(VALU_DEP_2) | instskip(NEXT) | instid1(VALU_DEP_2)
	v_dual_mov_b32 v7, v6 :: v_dual_bitop2_b32 v11, v11, v6 bitop3:0x14
	v_xor_b32_e32 v10, v10, v6
	s_delay_alu instid0(VALU_DEP_1)
	v_sub_nc_u64_e32 v[6:7], v[10:11], v[6:7]
.LBB94_1083:
	s_or_b32 exec_lo, exec_lo, s31
	s_mov_b32 s31, 0
	s_branch .LBB94_1089
.LBB94_1084:
	s_mov_b32 s38, -1
                                        ; implicit-def: $vgpr6_vgpr7
	s_branch .LBB94_1095
.LBB94_1085:
	s_and_not1_saveexec_b32 s31, s31
	s_cbranch_execz .LBB94_1070
.LBB94_1086:
	v_cmp_ne_u16_e32 vcc_lo, 0, v10
	s_and_not1_b32 s38, s38, exec_lo
	s_and_b32 s39, vcc_lo, exec_lo
	s_delay_alu instid0(SALU_CYCLE_1)
	s_or_b32 s38, s38, s39
	s_or_b32 exec_lo, exec_lo, s31
	v_mov_b64_e32 v[6:7], 0
	s_and_saveexec_b32 s31, s38
	s_cbranch_execnz .LBB94_1071
	s_branch .LBB94_1072
.LBB94_1087:
	s_mov_b32 s31, -1
                                        ; implicit-def: $vgpr6_vgpr7
	s_branch .LBB94_1092
.LBB94_1088:
	s_mov_b32 s31, -1
                                        ; implicit-def: $vgpr6_vgpr7
.LBB94_1089:
	s_delay_alu instid0(SALU_CYCLE_1)
	s_and_b32 vcc_lo, exec_lo, s31
	s_cbranch_vccz .LBB94_1091
; %bb.1090:
	s_wait_loadcnt 0x0
	global_load_u8 v6, v[8:9], off
	s_wait_loadcnt 0x0
	v_lshlrev_b32_e32 v6, 24, v6
	s_delay_alu instid0(VALU_DEP_1) | instskip(NEXT) | instid1(VALU_DEP_1)
	v_and_b32_e32 v7, 0x7f000000, v6
	v_clz_i32_u32_e32 v10, v7
	v_cmp_ne_u32_e32 vcc_lo, 0, v7
	v_add_nc_u32_e32 v12, 0x1000000, v7
	s_delay_alu instid0(VALU_DEP_3) | instskip(NEXT) | instid1(VALU_DEP_1)
	v_min_u32_e32 v10, 32, v10
	v_sub_nc_u32_e64 v10, v10, 4 clamp
	s_delay_alu instid0(VALU_DEP_1) | instskip(NEXT) | instid1(VALU_DEP_1)
	v_dual_lshlrev_b32 v11, v10, v7 :: v_dual_lshlrev_b32 v10, 23, v10
	v_lshrrev_b32_e32 v11, 4, v11
	s_delay_alu instid0(VALU_DEP_1) | instskip(NEXT) | instid1(VALU_DEP_1)
	v_dual_sub_nc_u32 v10, v11, v10 :: v_dual_ashrrev_i32 v11, 8, v12
	v_add_nc_u32_e32 v10, 0x3c000000, v10
	s_delay_alu instid0(VALU_DEP_1) | instskip(NEXT) | instid1(VALU_DEP_1)
	v_and_or_b32 v10, 0x7f800000, v11, v10
	v_cndmask_b32_e32 v7, 0, v10, vcc_lo
	s_delay_alu instid0(VALU_DEP_1) | instskip(NEXT) | instid1(VALU_DEP_1)
	v_and_or_b32 v6, 0x80000000, v6, v7
	v_trunc_f32_e32 v6, v6
	s_delay_alu instid0(VALU_DEP_1) | instskip(NEXT) | instid1(VALU_DEP_1)
	v_mul_f32_e64 v7, 0x2f800000, |v6|
	v_floor_f32_e32 v7, v7
	s_delay_alu instid0(VALU_DEP_1) | instskip(SKIP_2) | instid1(VALU_DEP_3)
	v_fma_f32 v10, 0xcf800000, v7, |v6|
	v_ashrrev_i32_e32 v6, 31, v6
	v_cvt_u32_f32_e32 v11, v7
	v_cvt_u32_f32_e32 v10, v10
	s_delay_alu instid0(VALU_DEP_2) | instskip(NEXT) | instid1(VALU_DEP_2)
	v_dual_mov_b32 v7, v6 :: v_dual_bitop2_b32 v11, v11, v6 bitop3:0x14
	v_xor_b32_e32 v10, v10, v6
	s_delay_alu instid0(VALU_DEP_1)
	v_sub_nc_u64_e32 v[6:7], v[10:11], v[6:7]
.LBB94_1091:
	s_mov_b32 s31, 0
.LBB94_1092:
	s_delay_alu instid0(SALU_CYCLE_1)
	s_and_not1_b32 vcc_lo, exec_lo, s31
	s_cbranch_vccnz .LBB94_1094
; %bb.1093:
	s_wait_loadcnt 0x0
	global_load_u8 v6, v[8:9], off
	s_wait_loadcnt 0x0
	v_lshlrev_b32_e32 v7, 25, v6
	v_lshlrev_b16 v6, 8, v6
	s_delay_alu instid0(VALU_DEP_1) | instskip(SKIP_1) | instid1(VALU_DEP_2)
	v_and_or_b32 v11, 0x7f00, v6, 0.5
	v_bfe_i32 v6, v6, 0, 16
	v_add_f32_e32 v11, -0.5, v11
	v_lshrrev_b32_e32 v10, 4, v7
	v_cmp_gt_u32_e32 vcc_lo, 0x8000000, v7
	s_delay_alu instid0(VALU_DEP_2) | instskip(NEXT) | instid1(VALU_DEP_1)
	v_or_b32_e32 v10, 0x70000000, v10
	v_mul_f32_e32 v10, 0x7800000, v10
	s_delay_alu instid0(VALU_DEP_1) | instskip(NEXT) | instid1(VALU_DEP_1)
	v_cndmask_b32_e32 v7, v10, v11, vcc_lo
	v_and_or_b32 v6, 0x80000000, v6, v7
	s_delay_alu instid0(VALU_DEP_1) | instskip(NEXT) | instid1(VALU_DEP_1)
	v_trunc_f32_e32 v6, v6
	v_mul_f32_e64 v7, 0x2f800000, |v6|
	s_delay_alu instid0(VALU_DEP_1) | instskip(NEXT) | instid1(VALU_DEP_1)
	v_floor_f32_e32 v7, v7
	v_fma_f32 v10, 0xcf800000, v7, |v6|
	v_ashrrev_i32_e32 v6, 31, v6
	v_cvt_u32_f32_e32 v11, v7
	s_delay_alu instid0(VALU_DEP_3) | instskip(NEXT) | instid1(VALU_DEP_2)
	v_cvt_u32_f32_e32 v10, v10
	v_dual_mov_b32 v7, v6 :: v_dual_bitop2_b32 v11, v11, v6 bitop3:0x14
	s_delay_alu instid0(VALU_DEP_2) | instskip(NEXT) | instid1(VALU_DEP_1)
	v_xor_b32_e32 v10, v10, v6
	v_sub_nc_u64_e32 v[6:7], v[10:11], v[6:7]
.LBB94_1094:
	s_mov_b32 s38, 0
	s_mov_b32 s31, -1
.LBB94_1095:
	s_and_not1_b32 vcc_lo, exec_lo, s38
	s_cbranch_vccnz .LBB94_1108
; %bb.1096:
	s_cmp_gt_i32 s1, 14
	s_cbranch_scc0 .LBB94_1099
; %bb.1097:
	s_cmp_eq_u32 s1, 15
	s_cbranch_scc0 .LBB94_1102
; %bb.1098:
	s_wait_loadcnt 0x0
	global_load_u16 v6, v[8:9], off
	s_mov_b32 s31, -1
	s_mov_b32 s73, 0
	s_wait_loadcnt 0x0
	v_lshlrev_b32_e32 v6, 16, v6
	s_delay_alu instid0(VALU_DEP_1) | instskip(NEXT) | instid1(VALU_DEP_1)
	v_trunc_f32_e32 v6, v6
	v_mul_f32_e64 v7, 0x2f800000, |v6|
	s_delay_alu instid0(VALU_DEP_1) | instskip(NEXT) | instid1(VALU_DEP_1)
	v_floor_f32_e32 v7, v7
	v_fma_f32 v10, 0xcf800000, v7, |v6|
	v_ashrrev_i32_e32 v6, 31, v6
	v_cvt_u32_f32_e32 v11, v7
	s_delay_alu instid0(VALU_DEP_3) | instskip(NEXT) | instid1(VALU_DEP_2)
	v_cvt_u32_f32_e32 v10, v10
	v_dual_mov_b32 v7, v6 :: v_dual_bitop2_b32 v11, v11, v6 bitop3:0x14
	s_delay_alu instid0(VALU_DEP_2) | instskip(NEXT) | instid1(VALU_DEP_1)
	v_xor_b32_e32 v10, v10, v6
	v_sub_nc_u64_e32 v[6:7], v[10:11], v[6:7]
	s_branch .LBB94_1103
.LBB94_1099:
	s_mov_b32 s38, -1
                                        ; implicit-def: $vgpr6_vgpr7
	s_branch .LBB94_1104
.LBB94_1100:
	s_and_not1_saveexec_b32 s31, s31
	s_cbranch_execz .LBB94_1081
.LBB94_1101:
	v_cmp_ne_u16_e32 vcc_lo, 0, v10
	s_and_not1_b32 s38, s38, exec_lo
	s_and_b32 s39, vcc_lo, exec_lo
	s_delay_alu instid0(SALU_CYCLE_1)
	s_or_b32 s38, s38, s39
	s_or_b32 exec_lo, exec_lo, s31
	v_mov_b64_e32 v[6:7], 0
	s_and_saveexec_b32 s31, s38
	s_cbranch_execnz .LBB94_1082
	s_branch .LBB94_1083
.LBB94_1102:
	s_mov_b32 s73, -1
                                        ; implicit-def: $vgpr6_vgpr7
.LBB94_1103:
	s_mov_b32 s38, 0
.LBB94_1104:
	s_delay_alu instid0(SALU_CYCLE_1)
	s_and_b32 vcc_lo, exec_lo, s38
	s_cbranch_vccz .LBB94_1108
; %bb.1105:
	s_cmp_eq_u32 s1, 11
	s_cbranch_scc0 .LBB94_1107
; %bb.1106:
	s_wait_loadcnt 0x0
	global_load_u8 v6, v[8:9], off
	s_mov_b32 s73, 0
	s_mov_b32 s31, -1
	v_mov_b32_e32 v7, s73
	s_wait_loadcnt 0x0
	v_cmp_ne_u16_e32 vcc_lo, 0, v6
	v_cndmask_b32_e64 v6, 0, 1, vcc_lo
	s_branch .LBB94_1108
.LBB94_1107:
	s_mov_b32 s73, -1
                                        ; implicit-def: $vgpr6_vgpr7
.LBB94_1108:
	s_mov_b32 s1, 0
.LBB94_1109:
	s_delay_alu instid0(SALU_CYCLE_1)
	s_and_b32 vcc_lo, exec_lo, s1
	s_cbranch_vccz .LBB94_1158
; %bb.1110:
	s_and_b32 s0, 0xffff, s0
	s_delay_alu instid0(SALU_CYCLE_1)
	s_cmp_lt_i32 s0, 5
	s_cbranch_scc1 .LBB94_1115
; %bb.1111:
	s_cmp_lt_i32 s0, 8
	s_cbranch_scc1 .LBB94_1116
; %bb.1112:
	;; [unrolled: 3-line block ×3, first 2 shown]
	s_cmp_gt_i32 s0, 9
	s_cbranch_scc0 .LBB94_1118
; %bb.1114:
	s_wait_loadcnt 0x0
	global_load_b64 v[6:7], v[8:9], off
	s_mov_b32 s1, 0
	s_wait_loadcnt 0x0
	v_trunc_f64_e32 v[6:7], v[6:7]
	s_delay_alu instid0(VALU_DEP_1) | instskip(NEXT) | instid1(VALU_DEP_1)
	v_ldexp_f64 v[10:11], v[6:7], 0xffffffe0
	v_floor_f64_e32 v[10:11], v[10:11]
	s_delay_alu instid0(VALU_DEP_1) | instskip(SKIP_1) | instid1(VALU_DEP_2)
	v_fmamk_f64 v[12:13], v[10:11], 0xc1f00000, v[6:7]
	v_cvt_i32_f64_e32 v7, v[10:11]
	v_cvt_u32_f64_e32 v6, v[12:13]
	s_branch .LBB94_1119
.LBB94_1115:
	s_mov_b32 s1, -1
                                        ; implicit-def: $vgpr6_vgpr7
	s_branch .LBB94_1137
.LBB94_1116:
	s_mov_b32 s1, -1
                                        ; implicit-def: $vgpr6_vgpr7
	s_branch .LBB94_1125
.LBB94_1117:
	s_mov_b32 s1, -1
                                        ; implicit-def: $vgpr6_vgpr7
	s_branch .LBB94_1122
.LBB94_1118:
	s_mov_b32 s1, -1
                                        ; implicit-def: $vgpr6_vgpr7
.LBB94_1119:
	s_delay_alu instid0(SALU_CYCLE_1)
	s_and_not1_b32 vcc_lo, exec_lo, s1
	s_cbranch_vccnz .LBB94_1121
; %bb.1120:
	s_wait_loadcnt 0x0
	global_load_b32 v6, v[8:9], off
	s_wait_loadcnt 0x0
	v_trunc_f32_e32 v6, v6
	s_delay_alu instid0(VALU_DEP_1) | instskip(NEXT) | instid1(VALU_DEP_1)
	v_mul_f32_e64 v7, 0x2f800000, |v6|
	v_floor_f32_e32 v7, v7
	s_delay_alu instid0(VALU_DEP_1) | instskip(SKIP_2) | instid1(VALU_DEP_3)
	v_fma_f32 v10, 0xcf800000, v7, |v6|
	v_ashrrev_i32_e32 v6, 31, v6
	v_cvt_u32_f32_e32 v11, v7
	v_cvt_u32_f32_e32 v10, v10
	s_delay_alu instid0(VALU_DEP_2) | instskip(NEXT) | instid1(VALU_DEP_2)
	v_dual_mov_b32 v7, v6 :: v_dual_bitop2_b32 v11, v11, v6 bitop3:0x14
	v_xor_b32_e32 v10, v10, v6
	s_delay_alu instid0(VALU_DEP_1)
	v_sub_nc_u64_e32 v[6:7], v[10:11], v[6:7]
.LBB94_1121:
	s_mov_b32 s1, 0
.LBB94_1122:
	s_delay_alu instid0(SALU_CYCLE_1)
	s_and_not1_b32 vcc_lo, exec_lo, s1
	s_cbranch_vccnz .LBB94_1124
; %bb.1123:
	s_wait_loadcnt 0x0
	global_load_b32 v6, v[8:9], off
	s_wait_loadcnt 0x0
	v_cvt_f32_f16_e32 v6, v6
	s_delay_alu instid0(VALU_DEP_1) | instskip(NEXT) | instid1(VALU_DEP_1)
	v_cvt_i32_f32_e32 v6, v6
	v_ashrrev_i32_e32 v7, 31, v6
.LBB94_1124:
	s_mov_b32 s1, 0
.LBB94_1125:
	s_delay_alu instid0(SALU_CYCLE_1)
	s_and_not1_b32 vcc_lo, exec_lo, s1
	s_cbranch_vccnz .LBB94_1136
; %bb.1126:
	s_cmp_lt_i32 s0, 6
	s_cbranch_scc1 .LBB94_1129
; %bb.1127:
	s_cmp_gt_i32 s0, 6
	s_cbranch_scc0 .LBB94_1130
; %bb.1128:
	s_wait_loadcnt 0x0
	global_load_b64 v[6:7], v[8:9], off
	s_mov_b32 s1, 0
	s_wait_loadcnt 0x0
	v_trunc_f64_e32 v[6:7], v[6:7]
	s_delay_alu instid0(VALU_DEP_1) | instskip(NEXT) | instid1(VALU_DEP_1)
	v_ldexp_f64 v[10:11], v[6:7], 0xffffffe0
	v_floor_f64_e32 v[10:11], v[10:11]
	s_delay_alu instid0(VALU_DEP_1) | instskip(SKIP_1) | instid1(VALU_DEP_2)
	v_fmamk_f64 v[12:13], v[10:11], 0xc1f00000, v[6:7]
	v_cvt_i32_f64_e32 v7, v[10:11]
	v_cvt_u32_f64_e32 v6, v[12:13]
	s_branch .LBB94_1131
.LBB94_1129:
	s_mov_b32 s1, -1
                                        ; implicit-def: $vgpr6_vgpr7
	s_branch .LBB94_1134
.LBB94_1130:
	s_mov_b32 s1, -1
                                        ; implicit-def: $vgpr6_vgpr7
.LBB94_1131:
	s_delay_alu instid0(SALU_CYCLE_1)
	s_and_not1_b32 vcc_lo, exec_lo, s1
	s_cbranch_vccnz .LBB94_1133
; %bb.1132:
	s_wait_loadcnt 0x0
	global_load_b32 v6, v[8:9], off
	s_wait_loadcnt 0x0
	v_trunc_f32_e32 v6, v6
	s_delay_alu instid0(VALU_DEP_1) | instskip(NEXT) | instid1(VALU_DEP_1)
	v_mul_f32_e64 v7, 0x2f800000, |v6|
	v_floor_f32_e32 v7, v7
	s_delay_alu instid0(VALU_DEP_1) | instskip(SKIP_2) | instid1(VALU_DEP_3)
	v_fma_f32 v10, 0xcf800000, v7, |v6|
	v_ashrrev_i32_e32 v6, 31, v6
	v_cvt_u32_f32_e32 v11, v7
	v_cvt_u32_f32_e32 v10, v10
	s_delay_alu instid0(VALU_DEP_2) | instskip(NEXT) | instid1(VALU_DEP_2)
	v_dual_mov_b32 v7, v6 :: v_dual_bitop2_b32 v11, v11, v6 bitop3:0x14
	v_xor_b32_e32 v10, v10, v6
	s_delay_alu instid0(VALU_DEP_1)
	v_sub_nc_u64_e32 v[6:7], v[10:11], v[6:7]
.LBB94_1133:
	s_mov_b32 s1, 0
.LBB94_1134:
	s_delay_alu instid0(SALU_CYCLE_1)
	s_and_not1_b32 vcc_lo, exec_lo, s1
	s_cbranch_vccnz .LBB94_1136
; %bb.1135:
	s_wait_loadcnt 0x0
	global_load_u16 v6, v[8:9], off
	s_wait_loadcnt 0x0
	v_cvt_f32_f16_e32 v6, v6
	s_delay_alu instid0(VALU_DEP_1) | instskip(NEXT) | instid1(VALU_DEP_1)
	v_cvt_i32_f32_e32 v6, v6
	v_ashrrev_i32_e32 v7, 31, v6
.LBB94_1136:
	s_mov_b32 s1, 0
.LBB94_1137:
	s_delay_alu instid0(SALU_CYCLE_1)
	s_and_not1_b32 vcc_lo, exec_lo, s1
	s_cbranch_vccnz .LBB94_1157
; %bb.1138:
	s_cmp_lt_i32 s0, 2
	s_cbranch_scc1 .LBB94_1142
; %bb.1139:
	s_cmp_lt_i32 s0, 3
	s_cbranch_scc1 .LBB94_1143
; %bb.1140:
	s_cmp_gt_i32 s0, 3
	s_cbranch_scc0 .LBB94_1144
; %bb.1141:
	s_wait_loadcnt 0x0
	global_load_b64 v[6:7], v[8:9], off
	s_mov_b32 s1, 0
	s_branch .LBB94_1145
.LBB94_1142:
	s_mov_b32 s1, -1
                                        ; implicit-def: $vgpr6_vgpr7
	s_branch .LBB94_1151
.LBB94_1143:
	s_mov_b32 s1, -1
                                        ; implicit-def: $vgpr6_vgpr7
	s_branch .LBB94_1148
.LBB94_1144:
	s_mov_b32 s1, -1
                                        ; implicit-def: $vgpr6_vgpr7
.LBB94_1145:
	s_delay_alu instid0(SALU_CYCLE_1)
	s_and_not1_b32 vcc_lo, exec_lo, s1
	s_cbranch_vccnz .LBB94_1147
; %bb.1146:
	s_wait_loadcnt 0x0
	global_load_b32 v6, v[8:9], off
	s_wait_loadcnt 0x0
	v_ashrrev_i32_e32 v7, 31, v6
.LBB94_1147:
	s_mov_b32 s1, 0
.LBB94_1148:
	s_delay_alu instid0(SALU_CYCLE_1)
	s_and_not1_b32 vcc_lo, exec_lo, s1
	s_cbranch_vccnz .LBB94_1150
; %bb.1149:
	s_wait_loadcnt 0x0
	global_load_u16 v6, v[8:9], off
	s_wait_loadcnt 0x0
	v_bfe_i32 v6, v6, 0, 16
	s_delay_alu instid0(VALU_DEP_1)
	v_ashrrev_i32_e32 v7, 31, v6
.LBB94_1150:
	s_mov_b32 s1, 0
.LBB94_1151:
	s_delay_alu instid0(SALU_CYCLE_1)
	s_and_not1_b32 vcc_lo, exec_lo, s1
	s_cbranch_vccnz .LBB94_1157
; %bb.1152:
	s_cmp_gt_i32 s0, 0
	s_mov_b32 s0, 0
	s_cbranch_scc0 .LBB94_1154
; %bb.1153:
	s_wait_loadcnt 0x0
	global_load_i8 v6, v[8:9], off
	s_wait_loadcnt 0x0
	v_bfe_i32 v6, v6, 0, 16
	s_delay_alu instid0(VALU_DEP_1)
	v_ashrrev_i32_e32 v7, 31, v6
	s_branch .LBB94_1155
.LBB94_1154:
	s_mov_b32 s0, -1
                                        ; implicit-def: $vgpr6_vgpr7
.LBB94_1155:
	s_delay_alu instid0(SALU_CYCLE_1)
	s_and_not1_b32 vcc_lo, exec_lo, s0
	s_cbranch_vccnz .LBB94_1157
; %bb.1156:
	s_wait_loadcnt 0x0
	global_load_u8 v6, v[8:9], off
	s_mov_b32 s0, 0
	s_delay_alu instid0(SALU_CYCLE_1)
	v_mov_b32_e32 v7, s0
	s_wait_loadcnt 0x0
	v_and_b32_e32 v6, 0xffff, v6
.LBB94_1157:
	s_mov_b32 s31, -1
.LBB94_1158:
	s_delay_alu instid0(SALU_CYCLE_1)
	s_and_not1_b32 vcc_lo, exec_lo, s31
	s_cbranch_vccnz .LBB94_1166
; %bb.1159:
	s_wait_xcnt 0x0
	v_mul_lo_u32 v8, s53, v26
	s_and_b32 s0, s54, 0xff
	s_delay_alu instid0(SALU_CYCLE_1) | instskip(NEXT) | instid1(VALU_DEP_1)
	s_cmp_lt_i32 s0, 11
	v_ashrrev_i32_e32 v9, 31, v8
	s_delay_alu instid0(VALU_DEP_1)
	v_add_nc_u64_e32 v[8:9], s[34:35], v[8:9]
	s_cbranch_scc1 .LBB94_1167
; %bb.1160:
	s_and_b32 s1, 0xffff, s0
	s_delay_alu instid0(SALU_CYCLE_1)
	s_cmp_gt_i32 s1, 25
	s_cbranch_scc0 .LBB94_1168
; %bb.1161:
	s_cmp_gt_i32 s1, 28
	s_cbranch_scc0 .LBB94_1169
; %bb.1162:
	;; [unrolled: 3-line block ×4, first 2 shown]
	s_cmp_eq_u32 s1, 46
	s_mov_b32 s38, 0
	s_cbranch_scc0 .LBB94_1173
; %bb.1165:
	global_load_b32 v10, v[8:9], off
	s_mov_b32 s31, -1
	s_mov_b32 s72, 0
	s_wait_loadcnt 0x0
	v_lshlrev_b32_e32 v10, 16, v10
	s_delay_alu instid0(VALU_DEP_1) | instskip(NEXT) | instid1(VALU_DEP_1)
	v_trunc_f32_e32 v10, v10
	v_mul_f32_e64 v11, 0x2f800000, |v10|
	s_delay_alu instid0(VALU_DEP_1) | instskip(NEXT) | instid1(VALU_DEP_1)
	v_floor_f32_e32 v11, v11
	v_fma_f32 v12, 0xcf800000, v11, |v10|
	v_ashrrev_i32_e32 v10, 31, v10
	v_cvt_u32_f32_e32 v13, v11
	s_delay_alu instid0(VALU_DEP_3) | instskip(NEXT) | instid1(VALU_DEP_2)
	v_cvt_u32_f32_e32 v12, v12
	v_dual_mov_b32 v11, v10 :: v_dual_bitop2_b32 v13, v13, v10 bitop3:0x14
	s_delay_alu instid0(VALU_DEP_2) | instskip(NEXT) | instid1(VALU_DEP_1)
	v_xor_b32_e32 v12, v12, v10
	v_sub_nc_u64_e32 v[10:11], v[12:13], v[10:11]
	s_branch .LBB94_1175
.LBB94_1166:
	s_mov_b32 s0, 0
	s_mov_b32 s1, s56
	;; [unrolled: 1-line block ×7, first 2 shown]
	s_branch .LBB94_1297
.LBB94_1167:
	s_mov_b32 s1, -1
	s_mov_b32 s31, 0
	s_mov_b32 s72, s63
                                        ; implicit-def: $vgpr10_vgpr11
	s_branch .LBB94_1236
.LBB94_1168:
	s_mov_b32 s38, -1
	s_mov_b32 s31, 0
	s_mov_b32 s72, s63
                                        ; implicit-def: $vgpr10_vgpr11
	s_branch .LBB94_1202
.LBB94_1169:
	s_mov_b32 s38, -1
	s_mov_b32 s31, 0
	s_mov_b32 s72, s63
                                        ; implicit-def: $vgpr10_vgpr11
	s_branch .LBB94_1185
.LBB94_1170:
	s_mov_b32 s38, -1
	s_mov_b32 s31, 0
	s_mov_b32 s72, s63
                                        ; implicit-def: $vgpr10_vgpr11
	s_branch .LBB94_1180
.LBB94_1171:
	s_mov_b32 s38, -1
	s_mov_b32 s31, 0
	s_mov_b32 s72, s63
	s_branch .LBB94_1174
.LBB94_1172:
	s_mov_b32 s41, -1
	s_mov_b32 s31, 0
	s_mov_b32 s40, 0
	s_branch .LBB94_1839
.LBB94_1173:
	s_mov_b32 s72, -1
	s_mov_b32 s31, 0
.LBB94_1174:
                                        ; implicit-def: $vgpr10_vgpr11
.LBB94_1175:
	s_and_b32 vcc_lo, exec_lo, s38
	s_cbranch_vccz .LBB94_1179
; %bb.1176:
	s_cmp_eq_u32 s1, 44
	s_cbranch_scc0 .LBB94_1178
; %bb.1177:
	global_load_u8 v14, v[8:9], off
	s_mov_b32 s72, 0
	s_mov_b32 s31, -1
	s_wait_loadcnt 0x0
	v_cmp_ne_u32_e32 vcc_lo, 0, v14
	v_lshlrev_b32_e32 v10, 23, v14
	s_delay_alu instid0(VALU_DEP_1) | instskip(NEXT) | instid1(VALU_DEP_1)
	v_trunc_f32_e32 v10, v10
	v_mul_f32_e64 v11, 0x2f800000, |v10|
	s_delay_alu instid0(VALU_DEP_1) | instskip(NEXT) | instid1(VALU_DEP_1)
	v_floor_f32_e32 v11, v11
	v_fma_f32 v12, 0xcf800000, v11, |v10|
	v_ashrrev_i32_e32 v10, 31, v10
	v_cvt_u32_f32_e32 v13, v11
	s_delay_alu instid0(VALU_DEP_3) | instskip(NEXT) | instid1(VALU_DEP_2)
	v_cvt_u32_f32_e32 v12, v12
	v_dual_mov_b32 v11, v10 :: v_dual_bitop2_b32 v13, v13, v10 bitop3:0x14
	s_delay_alu instid0(VALU_DEP_2) | instskip(NEXT) | instid1(VALU_DEP_1)
	v_xor_b32_e32 v12, v12, v10
	v_sub_nc_u64_e32 v[10:11], v[12:13], v[10:11]
	s_delay_alu instid0(VALU_DEP_1)
	v_dual_cndmask_b32 v11, 0, v11 :: v_dual_cndmask_b32 v10, 0, v10
	s_branch .LBB94_1179
.LBB94_1178:
	s_mov_b32 s72, -1
                                        ; implicit-def: $vgpr10_vgpr11
.LBB94_1179:
	s_mov_b32 s38, 0
.LBB94_1180:
	s_delay_alu instid0(SALU_CYCLE_1)
	s_and_b32 vcc_lo, exec_lo, s38
	s_cbranch_vccz .LBB94_1184
; %bb.1181:
	s_cmp_eq_u32 s1, 29
	s_cbranch_scc0 .LBB94_1183
; %bb.1182:
	global_load_b64 v[10:11], v[8:9], off
	s_mov_b32 s31, -1
	s_mov_b32 s72, 0
	s_branch .LBB94_1184
.LBB94_1183:
	s_mov_b32 s72, -1
                                        ; implicit-def: $vgpr10_vgpr11
.LBB94_1184:
	s_mov_b32 s38, 0
.LBB94_1185:
	s_delay_alu instid0(SALU_CYCLE_1)
	s_and_b32 vcc_lo, exec_lo, s38
	s_cbranch_vccz .LBB94_1201
; %bb.1186:
	s_cmp_lt_i32 s1, 27
	s_cbranch_scc1 .LBB94_1189
; %bb.1187:
	s_cmp_gt_i32 s1, 27
	s_cbranch_scc0 .LBB94_1190
; %bb.1188:
	s_wait_loadcnt 0x0
	global_load_b32 v10, v[8:9], off
	v_mov_b32_e32 v11, 0
	s_mov_b32 s31, 0
	s_branch .LBB94_1191
.LBB94_1189:
	s_mov_b32 s31, -1
                                        ; implicit-def: $vgpr10_vgpr11
	s_branch .LBB94_1194
.LBB94_1190:
	s_mov_b32 s31, -1
                                        ; implicit-def: $vgpr10_vgpr11
.LBB94_1191:
	s_delay_alu instid0(SALU_CYCLE_1)
	s_and_not1_b32 vcc_lo, exec_lo, s31
	s_cbranch_vccnz .LBB94_1193
; %bb.1192:
	s_wait_loadcnt 0x0
	global_load_u16 v10, v[8:9], off
	s_mov_b32 s31, 0
	s_delay_alu instid0(SALU_CYCLE_1)
	v_mov_b32_e32 v11, s31
	s_wait_loadcnt 0x0
	v_and_b32_e32 v10, 0xffff, v10
.LBB94_1193:
	s_mov_b32 s31, 0
.LBB94_1194:
	s_delay_alu instid0(SALU_CYCLE_1)
	s_and_not1_b32 vcc_lo, exec_lo, s31
	s_cbranch_vccnz .LBB94_1200
; %bb.1195:
	global_load_u8 v12, v[8:9], off
	s_mov_b32 s38, 0
	s_mov_b32 s31, exec_lo
	s_wait_loadcnt 0x0
	v_cmpx_lt_i16_e32 0x7f, v12
	s_xor_b32 s31, exec_lo, s31
	s_cbranch_execz .LBB94_1212
; %bb.1196:
	v_cmp_ne_u16_e32 vcc_lo, 0x80, v12
	s_and_b32 s38, vcc_lo, exec_lo
	s_and_not1_saveexec_b32 s31, s31
	s_cbranch_execnz .LBB94_1213
.LBB94_1197:
	s_or_b32 exec_lo, exec_lo, s31
	v_mov_b64_e32 v[10:11], 0
	s_and_saveexec_b32 s31, s38
	s_cbranch_execz .LBB94_1199
.LBB94_1198:
	v_and_b32_e32 v10, 0xffff, v12
	s_delay_alu instid0(VALU_DEP_1) | instskip(SKIP_1) | instid1(VALU_DEP_2)
	v_and_b32_e32 v11, 7, v10
	v_bfe_u32 v15, v10, 3, 4
	v_clz_i32_u32_e32 v13, v11
	s_delay_alu instid0(VALU_DEP_2) | instskip(NEXT) | instid1(VALU_DEP_2)
	v_cmp_eq_u32_e32 vcc_lo, 0, v15
	v_min_u32_e32 v13, 32, v13
	s_delay_alu instid0(VALU_DEP_1) | instskip(NEXT) | instid1(VALU_DEP_1)
	v_subrev_nc_u32_e32 v14, 28, v13
	v_dual_lshlrev_b32 v10, v14, v10 :: v_dual_sub_nc_u32 v13, 29, v13
	s_delay_alu instid0(VALU_DEP_1) | instskip(NEXT) | instid1(VALU_DEP_2)
	v_dual_lshlrev_b32 v12, 24, v12 :: v_dual_bitop2_b32 v10, 7, v10 bitop3:0x40
	v_cndmask_b32_e32 v13, v15, v13, vcc_lo
	s_delay_alu instid0(VALU_DEP_2) | instskip(NEXT) | instid1(VALU_DEP_3)
	v_cndmask_b32_e32 v10, v11, v10, vcc_lo
	v_and_b32_e32 v11, 0x80000000, v12
	s_delay_alu instid0(VALU_DEP_3) | instskip(NEXT) | instid1(VALU_DEP_3)
	v_lshl_add_u32 v12, v13, 23, 0x3b800000
	v_lshlrev_b32_e32 v10, 20, v10
	s_delay_alu instid0(VALU_DEP_1) | instskip(NEXT) | instid1(VALU_DEP_1)
	v_or3_b32 v10, v11, v12, v10
	v_trunc_f32_e32 v10, v10
	s_delay_alu instid0(VALU_DEP_1) | instskip(NEXT) | instid1(VALU_DEP_1)
	v_mul_f32_e64 v11, 0x2f800000, |v10|
	v_floor_f32_e32 v11, v11
	s_delay_alu instid0(VALU_DEP_1) | instskip(SKIP_2) | instid1(VALU_DEP_3)
	v_fma_f32 v12, 0xcf800000, v11, |v10|
	v_ashrrev_i32_e32 v10, 31, v10
	v_cvt_u32_f32_e32 v13, v11
	v_cvt_u32_f32_e32 v12, v12
	s_delay_alu instid0(VALU_DEP_2) | instskip(NEXT) | instid1(VALU_DEP_2)
	v_dual_mov_b32 v11, v10 :: v_dual_bitop2_b32 v13, v13, v10 bitop3:0x14
	v_xor_b32_e32 v12, v12, v10
	s_delay_alu instid0(VALU_DEP_1)
	v_sub_nc_u64_e32 v[10:11], v[12:13], v[10:11]
.LBB94_1199:
	s_or_b32 exec_lo, exec_lo, s31
.LBB94_1200:
	s_mov_b32 s31, -1
.LBB94_1201:
	s_mov_b32 s38, 0
.LBB94_1202:
	s_delay_alu instid0(SALU_CYCLE_1)
	s_and_b32 vcc_lo, exec_lo, s38
	s_cbranch_vccz .LBB94_1235
; %bb.1203:
	s_cmp_gt_i32 s1, 22
	s_cbranch_scc0 .LBB94_1211
; %bb.1204:
	s_cmp_lt_i32 s1, 24
	s_cbranch_scc1 .LBB94_1214
; %bb.1205:
	s_cmp_gt_i32 s1, 24
	s_cbranch_scc0 .LBB94_1215
; %bb.1206:
	global_load_u8 v12, v[8:9], off
	s_mov_b32 s38, 0
	s_mov_b32 s31, exec_lo
	s_wait_loadcnt 0x0
	v_cmpx_lt_i16_e32 0x7f, v12
	s_xor_b32 s31, exec_lo, s31
	s_cbranch_execz .LBB94_1227
; %bb.1207:
	v_cmp_ne_u16_e32 vcc_lo, 0x80, v12
	s_and_b32 s38, vcc_lo, exec_lo
	s_and_not1_saveexec_b32 s31, s31
	s_cbranch_execnz .LBB94_1228
.LBB94_1208:
	s_or_b32 exec_lo, exec_lo, s31
	v_mov_b64_e32 v[10:11], 0
	s_and_saveexec_b32 s31, s38
	s_cbranch_execz .LBB94_1210
.LBB94_1209:
	v_and_b32_e32 v10, 0xffff, v12
	s_delay_alu instid0(VALU_DEP_1) | instskip(SKIP_1) | instid1(VALU_DEP_2)
	v_and_b32_e32 v11, 3, v10
	v_bfe_u32 v15, v10, 2, 5
	v_clz_i32_u32_e32 v13, v11
	s_delay_alu instid0(VALU_DEP_2) | instskip(NEXT) | instid1(VALU_DEP_2)
	v_cmp_eq_u32_e32 vcc_lo, 0, v15
	v_min_u32_e32 v13, 32, v13
	s_delay_alu instid0(VALU_DEP_1) | instskip(NEXT) | instid1(VALU_DEP_1)
	v_subrev_nc_u32_e32 v14, 29, v13
	v_dual_lshlrev_b32 v10, v14, v10 :: v_dual_sub_nc_u32 v13, 30, v13
	s_delay_alu instid0(VALU_DEP_1) | instskip(NEXT) | instid1(VALU_DEP_2)
	v_dual_lshlrev_b32 v12, 24, v12 :: v_dual_bitop2_b32 v10, 3, v10 bitop3:0x40
	v_cndmask_b32_e32 v13, v15, v13, vcc_lo
	s_delay_alu instid0(VALU_DEP_2) | instskip(NEXT) | instid1(VALU_DEP_3)
	v_cndmask_b32_e32 v10, v11, v10, vcc_lo
	v_and_b32_e32 v11, 0x80000000, v12
	s_delay_alu instid0(VALU_DEP_3) | instskip(NEXT) | instid1(VALU_DEP_3)
	v_lshl_add_u32 v12, v13, 23, 0x37800000
	v_lshlrev_b32_e32 v10, 21, v10
	s_delay_alu instid0(VALU_DEP_1) | instskip(NEXT) | instid1(VALU_DEP_1)
	v_or3_b32 v10, v11, v12, v10
	v_trunc_f32_e32 v10, v10
	s_delay_alu instid0(VALU_DEP_1) | instskip(NEXT) | instid1(VALU_DEP_1)
	v_mul_f32_e64 v11, 0x2f800000, |v10|
	v_floor_f32_e32 v11, v11
	s_delay_alu instid0(VALU_DEP_1) | instskip(SKIP_2) | instid1(VALU_DEP_3)
	v_fma_f32 v12, 0xcf800000, v11, |v10|
	v_ashrrev_i32_e32 v10, 31, v10
	v_cvt_u32_f32_e32 v13, v11
	v_cvt_u32_f32_e32 v12, v12
	s_delay_alu instid0(VALU_DEP_2) | instskip(NEXT) | instid1(VALU_DEP_2)
	v_dual_mov_b32 v11, v10 :: v_dual_bitop2_b32 v13, v13, v10 bitop3:0x14
	v_xor_b32_e32 v12, v12, v10
	s_delay_alu instid0(VALU_DEP_1)
	v_sub_nc_u64_e32 v[10:11], v[12:13], v[10:11]
.LBB94_1210:
	s_or_b32 exec_lo, exec_lo, s31
	s_mov_b32 s31, 0
	s_branch .LBB94_1216
.LBB94_1211:
	s_mov_b32 s38, -1
                                        ; implicit-def: $vgpr10_vgpr11
	s_branch .LBB94_1222
.LBB94_1212:
	s_and_not1_saveexec_b32 s31, s31
	s_cbranch_execz .LBB94_1197
.LBB94_1213:
	v_cmp_ne_u16_e32 vcc_lo, 0, v12
	s_and_not1_b32 s38, s38, exec_lo
	s_and_b32 s39, vcc_lo, exec_lo
	s_delay_alu instid0(SALU_CYCLE_1)
	s_or_b32 s38, s38, s39
	s_or_b32 exec_lo, exec_lo, s31
	v_mov_b64_e32 v[10:11], 0
	s_and_saveexec_b32 s31, s38
	s_cbranch_execnz .LBB94_1198
	s_branch .LBB94_1199
.LBB94_1214:
	s_mov_b32 s31, -1
                                        ; implicit-def: $vgpr10_vgpr11
	s_branch .LBB94_1219
.LBB94_1215:
	s_mov_b32 s31, -1
                                        ; implicit-def: $vgpr10_vgpr11
.LBB94_1216:
	s_delay_alu instid0(SALU_CYCLE_1)
	s_and_b32 vcc_lo, exec_lo, s31
	s_cbranch_vccz .LBB94_1218
; %bb.1217:
	s_wait_loadcnt 0x0
	global_load_u8 v10, v[8:9], off
	s_wait_loadcnt 0x0
	v_lshlrev_b32_e32 v10, 24, v10
	s_delay_alu instid0(VALU_DEP_1) | instskip(NEXT) | instid1(VALU_DEP_1)
	v_and_b32_e32 v11, 0x7f000000, v10
	v_clz_i32_u32_e32 v12, v11
	v_cmp_ne_u32_e32 vcc_lo, 0, v11
	v_add_nc_u32_e32 v14, 0x1000000, v11
	s_delay_alu instid0(VALU_DEP_3) | instskip(NEXT) | instid1(VALU_DEP_1)
	v_min_u32_e32 v12, 32, v12
	v_sub_nc_u32_e64 v12, v12, 4 clamp
	s_delay_alu instid0(VALU_DEP_1) | instskip(NEXT) | instid1(VALU_DEP_1)
	v_dual_lshlrev_b32 v13, v12, v11 :: v_dual_lshlrev_b32 v12, 23, v12
	v_lshrrev_b32_e32 v13, 4, v13
	s_delay_alu instid0(VALU_DEP_1) | instskip(NEXT) | instid1(VALU_DEP_1)
	v_dual_sub_nc_u32 v12, v13, v12 :: v_dual_ashrrev_i32 v13, 8, v14
	v_add_nc_u32_e32 v12, 0x3c000000, v12
	s_delay_alu instid0(VALU_DEP_1) | instskip(NEXT) | instid1(VALU_DEP_1)
	v_and_or_b32 v12, 0x7f800000, v13, v12
	v_cndmask_b32_e32 v11, 0, v12, vcc_lo
	s_delay_alu instid0(VALU_DEP_1) | instskip(NEXT) | instid1(VALU_DEP_1)
	v_and_or_b32 v10, 0x80000000, v10, v11
	v_trunc_f32_e32 v10, v10
	s_delay_alu instid0(VALU_DEP_1) | instskip(NEXT) | instid1(VALU_DEP_1)
	v_mul_f32_e64 v11, 0x2f800000, |v10|
	v_floor_f32_e32 v11, v11
	s_delay_alu instid0(VALU_DEP_1) | instskip(SKIP_2) | instid1(VALU_DEP_3)
	v_fma_f32 v12, 0xcf800000, v11, |v10|
	v_ashrrev_i32_e32 v10, 31, v10
	v_cvt_u32_f32_e32 v13, v11
	v_cvt_u32_f32_e32 v12, v12
	s_delay_alu instid0(VALU_DEP_2) | instskip(NEXT) | instid1(VALU_DEP_2)
	v_dual_mov_b32 v11, v10 :: v_dual_bitop2_b32 v13, v13, v10 bitop3:0x14
	v_xor_b32_e32 v12, v12, v10
	s_delay_alu instid0(VALU_DEP_1)
	v_sub_nc_u64_e32 v[10:11], v[12:13], v[10:11]
.LBB94_1218:
	s_mov_b32 s31, 0
.LBB94_1219:
	s_delay_alu instid0(SALU_CYCLE_1)
	s_and_not1_b32 vcc_lo, exec_lo, s31
	s_cbranch_vccnz .LBB94_1221
; %bb.1220:
	s_wait_loadcnt 0x0
	global_load_u8 v10, v[8:9], off
	s_wait_loadcnt 0x0
	v_lshlrev_b32_e32 v11, 25, v10
	v_lshlrev_b16 v10, 8, v10
	s_delay_alu instid0(VALU_DEP_1) | instskip(SKIP_1) | instid1(VALU_DEP_2)
	v_and_or_b32 v13, 0x7f00, v10, 0.5
	v_bfe_i32 v10, v10, 0, 16
	v_dual_add_f32 v13, -0.5, v13 :: v_dual_lshrrev_b32 v12, 4, v11
	v_cmp_gt_u32_e32 vcc_lo, 0x8000000, v11
	s_delay_alu instid0(VALU_DEP_2) | instskip(NEXT) | instid1(VALU_DEP_1)
	v_or_b32_e32 v12, 0x70000000, v12
	v_mul_f32_e32 v12, 0x7800000, v12
	s_delay_alu instid0(VALU_DEP_1) | instskip(NEXT) | instid1(VALU_DEP_1)
	v_cndmask_b32_e32 v11, v12, v13, vcc_lo
	v_and_or_b32 v10, 0x80000000, v10, v11
	s_delay_alu instid0(VALU_DEP_1) | instskip(NEXT) | instid1(VALU_DEP_1)
	v_trunc_f32_e32 v10, v10
	v_mul_f32_e64 v11, 0x2f800000, |v10|
	s_delay_alu instid0(VALU_DEP_1) | instskip(NEXT) | instid1(VALU_DEP_1)
	v_floor_f32_e32 v11, v11
	v_fma_f32 v12, 0xcf800000, v11, |v10|
	v_ashrrev_i32_e32 v10, 31, v10
	v_cvt_u32_f32_e32 v13, v11
	s_delay_alu instid0(VALU_DEP_3) | instskip(NEXT) | instid1(VALU_DEP_2)
	v_cvt_u32_f32_e32 v12, v12
	v_dual_mov_b32 v11, v10 :: v_dual_bitop2_b32 v13, v13, v10 bitop3:0x14
	s_delay_alu instid0(VALU_DEP_2) | instskip(NEXT) | instid1(VALU_DEP_1)
	v_xor_b32_e32 v12, v12, v10
	v_sub_nc_u64_e32 v[10:11], v[12:13], v[10:11]
.LBB94_1221:
	s_mov_b32 s38, 0
	s_mov_b32 s31, -1
.LBB94_1222:
	s_and_not1_b32 vcc_lo, exec_lo, s38
	s_cbranch_vccnz .LBB94_1235
; %bb.1223:
	s_cmp_gt_i32 s1, 14
	s_cbranch_scc0 .LBB94_1226
; %bb.1224:
	s_cmp_eq_u32 s1, 15
	s_cbranch_scc0 .LBB94_1229
; %bb.1225:
	s_wait_loadcnt 0x0
	global_load_u16 v10, v[8:9], off
	s_mov_b32 s31, -1
	s_mov_b32 s72, 0
	s_wait_loadcnt 0x0
	v_lshlrev_b32_e32 v10, 16, v10
	s_delay_alu instid0(VALU_DEP_1) | instskip(NEXT) | instid1(VALU_DEP_1)
	v_trunc_f32_e32 v10, v10
	v_mul_f32_e64 v11, 0x2f800000, |v10|
	s_delay_alu instid0(VALU_DEP_1) | instskip(NEXT) | instid1(VALU_DEP_1)
	v_floor_f32_e32 v11, v11
	v_fma_f32 v12, 0xcf800000, v11, |v10|
	v_ashrrev_i32_e32 v10, 31, v10
	v_cvt_u32_f32_e32 v13, v11
	s_delay_alu instid0(VALU_DEP_3) | instskip(NEXT) | instid1(VALU_DEP_2)
	v_cvt_u32_f32_e32 v12, v12
	v_dual_mov_b32 v11, v10 :: v_dual_bitop2_b32 v13, v13, v10 bitop3:0x14
	s_delay_alu instid0(VALU_DEP_2) | instskip(NEXT) | instid1(VALU_DEP_1)
	v_xor_b32_e32 v12, v12, v10
	v_sub_nc_u64_e32 v[10:11], v[12:13], v[10:11]
	s_branch .LBB94_1230
.LBB94_1226:
	s_mov_b32 s38, -1
                                        ; implicit-def: $vgpr10_vgpr11
	s_branch .LBB94_1231
.LBB94_1227:
	s_and_not1_saveexec_b32 s31, s31
	s_cbranch_execz .LBB94_1208
.LBB94_1228:
	v_cmp_ne_u16_e32 vcc_lo, 0, v12
	s_and_not1_b32 s38, s38, exec_lo
	s_and_b32 s39, vcc_lo, exec_lo
	s_delay_alu instid0(SALU_CYCLE_1)
	s_or_b32 s38, s38, s39
	s_or_b32 exec_lo, exec_lo, s31
	v_mov_b64_e32 v[10:11], 0
	s_and_saveexec_b32 s31, s38
	s_cbranch_execnz .LBB94_1209
	s_branch .LBB94_1210
.LBB94_1229:
	s_mov_b32 s72, -1
                                        ; implicit-def: $vgpr10_vgpr11
.LBB94_1230:
	s_mov_b32 s38, 0
.LBB94_1231:
	s_delay_alu instid0(SALU_CYCLE_1)
	s_and_b32 vcc_lo, exec_lo, s38
	s_cbranch_vccz .LBB94_1235
; %bb.1232:
	s_cmp_eq_u32 s1, 11
	s_cbranch_scc0 .LBB94_1234
; %bb.1233:
	s_wait_loadcnt 0x0
	global_load_u8 v10, v[8:9], off
	s_mov_b32 s72, 0
	s_mov_b32 s31, -1
	v_mov_b32_e32 v11, s72
	s_wait_loadcnt 0x0
	v_cmp_ne_u16_e32 vcc_lo, 0, v10
	v_cndmask_b32_e64 v10, 0, 1, vcc_lo
	s_branch .LBB94_1235
.LBB94_1234:
	s_mov_b32 s72, -1
                                        ; implicit-def: $vgpr10_vgpr11
.LBB94_1235:
	s_mov_b32 s1, 0
.LBB94_1236:
	s_delay_alu instid0(SALU_CYCLE_1)
	s_and_b32 vcc_lo, exec_lo, s1
	s_cbranch_vccz .LBB94_1285
; %bb.1237:
	s_and_b32 s0, 0xffff, s0
	s_delay_alu instid0(SALU_CYCLE_1)
	s_cmp_lt_i32 s0, 5
	s_cbranch_scc1 .LBB94_1242
; %bb.1238:
	s_cmp_lt_i32 s0, 8
	s_cbranch_scc1 .LBB94_1243
; %bb.1239:
	s_cmp_lt_i32 s0, 9
	s_cbranch_scc1 .LBB94_1244
; %bb.1240:
	s_cmp_gt_i32 s0, 9
	s_cbranch_scc0 .LBB94_1245
; %bb.1241:
	s_wait_loadcnt 0x0
	global_load_b64 v[10:11], v[8:9], off
	s_mov_b32 s1, 0
	s_wait_loadcnt 0x0
	v_trunc_f64_e32 v[10:11], v[10:11]
	s_delay_alu instid0(VALU_DEP_1) | instskip(NEXT) | instid1(VALU_DEP_1)
	v_ldexp_f64 v[12:13], v[10:11], 0xffffffe0
	v_floor_f64_e32 v[12:13], v[12:13]
	s_delay_alu instid0(VALU_DEP_1) | instskip(SKIP_1) | instid1(VALU_DEP_2)
	v_fmamk_f64 v[14:15], v[12:13], 0xc1f00000, v[10:11]
	v_cvt_i32_f64_e32 v11, v[12:13]
	v_cvt_u32_f64_e32 v10, v[14:15]
	s_branch .LBB94_1246
.LBB94_1242:
	s_mov_b32 s1, -1
                                        ; implicit-def: $vgpr10_vgpr11
	s_branch .LBB94_1264
.LBB94_1243:
	s_mov_b32 s1, -1
                                        ; implicit-def: $vgpr10_vgpr11
	s_branch .LBB94_1252
.LBB94_1244:
	s_mov_b32 s1, -1
                                        ; implicit-def: $vgpr10_vgpr11
	s_branch .LBB94_1249
.LBB94_1245:
	s_mov_b32 s1, -1
                                        ; implicit-def: $vgpr10_vgpr11
.LBB94_1246:
	s_delay_alu instid0(SALU_CYCLE_1)
	s_and_not1_b32 vcc_lo, exec_lo, s1
	s_cbranch_vccnz .LBB94_1248
; %bb.1247:
	s_wait_loadcnt 0x0
	global_load_b32 v10, v[8:9], off
	s_wait_loadcnt 0x0
	v_trunc_f32_e32 v10, v10
	s_delay_alu instid0(VALU_DEP_1) | instskip(NEXT) | instid1(VALU_DEP_1)
	v_mul_f32_e64 v11, 0x2f800000, |v10|
	v_floor_f32_e32 v11, v11
	s_delay_alu instid0(VALU_DEP_1) | instskip(SKIP_2) | instid1(VALU_DEP_3)
	v_fma_f32 v12, 0xcf800000, v11, |v10|
	v_ashrrev_i32_e32 v10, 31, v10
	v_cvt_u32_f32_e32 v13, v11
	v_cvt_u32_f32_e32 v12, v12
	s_delay_alu instid0(VALU_DEP_2) | instskip(NEXT) | instid1(VALU_DEP_2)
	v_dual_mov_b32 v11, v10 :: v_dual_bitop2_b32 v13, v13, v10 bitop3:0x14
	v_xor_b32_e32 v12, v12, v10
	s_delay_alu instid0(VALU_DEP_1)
	v_sub_nc_u64_e32 v[10:11], v[12:13], v[10:11]
.LBB94_1248:
	s_mov_b32 s1, 0
.LBB94_1249:
	s_delay_alu instid0(SALU_CYCLE_1)
	s_and_not1_b32 vcc_lo, exec_lo, s1
	s_cbranch_vccnz .LBB94_1251
; %bb.1250:
	s_wait_loadcnt 0x0
	global_load_b32 v10, v[8:9], off
	s_wait_loadcnt 0x0
	v_cvt_f32_f16_e32 v10, v10
	s_delay_alu instid0(VALU_DEP_1) | instskip(NEXT) | instid1(VALU_DEP_1)
	v_cvt_i32_f32_e32 v10, v10
	v_ashrrev_i32_e32 v11, 31, v10
.LBB94_1251:
	s_mov_b32 s1, 0
.LBB94_1252:
	s_delay_alu instid0(SALU_CYCLE_1)
	s_and_not1_b32 vcc_lo, exec_lo, s1
	s_cbranch_vccnz .LBB94_1263
; %bb.1253:
	s_cmp_lt_i32 s0, 6
	s_cbranch_scc1 .LBB94_1256
; %bb.1254:
	s_cmp_gt_i32 s0, 6
	s_cbranch_scc0 .LBB94_1257
; %bb.1255:
	s_wait_loadcnt 0x0
	global_load_b64 v[10:11], v[8:9], off
	s_mov_b32 s1, 0
	s_wait_loadcnt 0x0
	v_trunc_f64_e32 v[10:11], v[10:11]
	s_delay_alu instid0(VALU_DEP_1) | instskip(NEXT) | instid1(VALU_DEP_1)
	v_ldexp_f64 v[12:13], v[10:11], 0xffffffe0
	v_floor_f64_e32 v[12:13], v[12:13]
	s_delay_alu instid0(VALU_DEP_1) | instskip(SKIP_1) | instid1(VALU_DEP_2)
	v_fmamk_f64 v[14:15], v[12:13], 0xc1f00000, v[10:11]
	v_cvt_i32_f64_e32 v11, v[12:13]
	v_cvt_u32_f64_e32 v10, v[14:15]
	s_branch .LBB94_1258
.LBB94_1256:
	s_mov_b32 s1, -1
                                        ; implicit-def: $vgpr10_vgpr11
	s_branch .LBB94_1261
.LBB94_1257:
	s_mov_b32 s1, -1
                                        ; implicit-def: $vgpr10_vgpr11
.LBB94_1258:
	s_delay_alu instid0(SALU_CYCLE_1)
	s_and_not1_b32 vcc_lo, exec_lo, s1
	s_cbranch_vccnz .LBB94_1260
; %bb.1259:
	s_wait_loadcnt 0x0
	global_load_b32 v10, v[8:9], off
	s_wait_loadcnt 0x0
	v_trunc_f32_e32 v10, v10
	s_delay_alu instid0(VALU_DEP_1) | instskip(NEXT) | instid1(VALU_DEP_1)
	v_mul_f32_e64 v11, 0x2f800000, |v10|
	v_floor_f32_e32 v11, v11
	s_delay_alu instid0(VALU_DEP_1) | instskip(SKIP_2) | instid1(VALU_DEP_3)
	v_fma_f32 v12, 0xcf800000, v11, |v10|
	v_ashrrev_i32_e32 v10, 31, v10
	v_cvt_u32_f32_e32 v13, v11
	v_cvt_u32_f32_e32 v12, v12
	s_delay_alu instid0(VALU_DEP_2) | instskip(NEXT) | instid1(VALU_DEP_2)
	v_dual_mov_b32 v11, v10 :: v_dual_bitop2_b32 v13, v13, v10 bitop3:0x14
	v_xor_b32_e32 v12, v12, v10
	s_delay_alu instid0(VALU_DEP_1)
	v_sub_nc_u64_e32 v[10:11], v[12:13], v[10:11]
.LBB94_1260:
	s_mov_b32 s1, 0
.LBB94_1261:
	s_delay_alu instid0(SALU_CYCLE_1)
	s_and_not1_b32 vcc_lo, exec_lo, s1
	s_cbranch_vccnz .LBB94_1263
; %bb.1262:
	s_wait_loadcnt 0x0
	global_load_u16 v10, v[8:9], off
	s_wait_loadcnt 0x0
	v_cvt_f32_f16_e32 v10, v10
	s_delay_alu instid0(VALU_DEP_1) | instskip(NEXT) | instid1(VALU_DEP_1)
	v_cvt_i32_f32_e32 v10, v10
	v_ashrrev_i32_e32 v11, 31, v10
.LBB94_1263:
	s_mov_b32 s1, 0
.LBB94_1264:
	s_delay_alu instid0(SALU_CYCLE_1)
	s_and_not1_b32 vcc_lo, exec_lo, s1
	s_cbranch_vccnz .LBB94_1284
; %bb.1265:
	s_cmp_lt_i32 s0, 2
	s_cbranch_scc1 .LBB94_1269
; %bb.1266:
	s_cmp_lt_i32 s0, 3
	s_cbranch_scc1 .LBB94_1270
; %bb.1267:
	s_cmp_gt_i32 s0, 3
	s_cbranch_scc0 .LBB94_1271
; %bb.1268:
	s_wait_loadcnt 0x0
	global_load_b64 v[10:11], v[8:9], off
	s_mov_b32 s1, 0
	s_branch .LBB94_1272
.LBB94_1269:
	s_mov_b32 s1, -1
                                        ; implicit-def: $vgpr10_vgpr11
	s_branch .LBB94_1278
.LBB94_1270:
	s_mov_b32 s1, -1
                                        ; implicit-def: $vgpr10_vgpr11
	s_branch .LBB94_1275
.LBB94_1271:
	s_mov_b32 s1, -1
                                        ; implicit-def: $vgpr10_vgpr11
.LBB94_1272:
	s_delay_alu instid0(SALU_CYCLE_1)
	s_and_not1_b32 vcc_lo, exec_lo, s1
	s_cbranch_vccnz .LBB94_1274
; %bb.1273:
	s_wait_loadcnt 0x0
	global_load_b32 v10, v[8:9], off
	s_wait_loadcnt 0x0
	v_ashrrev_i32_e32 v11, 31, v10
.LBB94_1274:
	s_mov_b32 s1, 0
.LBB94_1275:
	s_delay_alu instid0(SALU_CYCLE_1)
	s_and_not1_b32 vcc_lo, exec_lo, s1
	s_cbranch_vccnz .LBB94_1277
; %bb.1276:
	s_wait_loadcnt 0x0
	global_load_u16 v10, v[8:9], off
	s_wait_loadcnt 0x0
	v_bfe_i32 v10, v10, 0, 16
	s_delay_alu instid0(VALU_DEP_1)
	v_ashrrev_i32_e32 v11, 31, v10
.LBB94_1277:
	s_mov_b32 s1, 0
.LBB94_1278:
	s_delay_alu instid0(SALU_CYCLE_1)
	s_and_not1_b32 vcc_lo, exec_lo, s1
	s_cbranch_vccnz .LBB94_1284
; %bb.1279:
	s_cmp_gt_i32 s0, 0
	s_mov_b32 s0, 0
	s_cbranch_scc0 .LBB94_1281
; %bb.1280:
	s_wait_loadcnt 0x0
	global_load_i8 v10, v[8:9], off
	s_wait_loadcnt 0x0
	v_bfe_i32 v10, v10, 0, 16
	s_delay_alu instid0(VALU_DEP_1)
	v_ashrrev_i32_e32 v11, 31, v10
	s_branch .LBB94_1282
.LBB94_1281:
	s_mov_b32 s0, -1
                                        ; implicit-def: $vgpr10_vgpr11
.LBB94_1282:
	s_delay_alu instid0(SALU_CYCLE_1)
	s_and_not1_b32 vcc_lo, exec_lo, s0
	s_cbranch_vccnz .LBB94_1284
; %bb.1283:
	global_load_u8 v8, v[8:9], off
	s_mov_b32 s0, 0
	s_wait_loadcnt 0x1
	v_mov_b32_e32 v11, s0
	s_wait_loadcnt 0x0
	v_and_b32_e32 v10, 0xffff, v8
.LBB94_1284:
	s_mov_b32 s31, -1
.LBB94_1285:
	s_delay_alu instid0(SALU_CYCLE_1)
	s_and_not1_b32 vcc_lo, exec_lo, s31
	s_cbranch_vccnz .LBB94_1296
; %bb.1286:
	s_wait_loadcnt 0x0
	v_cmp_eq_u64_e32 vcc_lo, s[4:5], v[0:1]
	s_mov_b32 s0, 0
	s_mov_b32 s39, -1
	s_mov_b32 s40, s61
	s_mov_b32 s38, s60
	;; [unrolled: 1-line block ×4, first 2 shown]
	s_and_b32 s41, s52, vcc_lo
	s_wait_xcnt 0x0
	s_and_saveexec_b32 s74, s41
	s_cbranch_execz .LBB94_4066
; %bb.1287:
	v_cmp_eq_u64_e32 vcc_lo, s[8:9], v[2:3]
	s_mov_b32 s38, -1
	s_mov_b32 s39, s60
	s_mov_b32 s31, s59
	;; [unrolled: 1-line block ×3, first 2 shown]
	s_and_b32 s1, s51, vcc_lo
	s_delay_alu instid0(SALU_CYCLE_1)
	s_and_saveexec_b32 s75, s1
	s_cbranch_execz .LBB94_3592
; %bb.1288:
	v_sub_nc_u64_e32 v[0:1], v[6:7], v[4:5]
	s_mov_b32 s1, 0
	s_mov_b32 s31, -1
	s_mov_b32 s39, s56
	s_delay_alu instid0(VALU_DEP_1) | instskip(SKIP_4) | instid1(SALU_CYCLE_1)
	v_cmp_le_i64_e32 vcc_lo, s[4:5], v[0:1]
	v_cmp_ge_i64_e64 s0, s[6:7], v[0:1]
	s_and_b32 s38, vcc_lo, s0
	s_mov_b32 s0, s59
	s_and_b32 s38, s50, s38
	s_and_saveexec_b32 s76, s38
	s_cbranch_execz .LBB94_3591
; %bb.1289:
	v_cmp_lt_i64_e64 s0, s[8:9], 1
	v_mov_b64_e32 v[0:1], 0
	s_xor_b32 s1, s37, -1
	s_delay_alu instid0(SALU_CYCLE_1) | instskip(NEXT) | instid1(SALU_CYCLE_1)
	s_or_b32 s0, s0, s1
	s_and_b32 vcc_lo, exec_lo, s0
	s_cbranch_vccnz .LBB94_1312
; %bb.1290:
	v_mul_u64_e32 v[8:9], s[8:9], v[10:11]
	s_mov_b32 s1, 0
	v_mov_b64_e32 v[0:1], 0
	s_mov_b32 s31, s1
	v_mov_b32_e32 v2, 0
	s_lshl_b64 s[40:41], s[30:31], 3
	s_mov_b64 s[38:39], 0xffffffff
	s_add_nc_u64 s[40:41], s[28:29], s[40:41]
	s_mov_b32 s31, s10
	s_add_nc_u64 s[40:41], s[40:41], 0x68
	s_branch .LBB94_1292
.LBB94_1291:                            ;   in Loop: Header=BB94_1292 Depth=1
	s_or_b32 exec_lo, exec_lo, s0
	s_delay_alu instid0(VALU_DEP_1)
	v_mul_u64_e32 v[12:13], s[42:43], v[10:11]
	s_load_b64 s[42:43], s[40:41], 0x40
	s_add_co_i32 s31, s31, -1
	s_wait_xcnt 0x0
	s_add_nc_u64 s[40:41], s[40:41], -8
	s_cmp_lg_u32 s31, 0
	s_delay_alu instid0(VALU_DEP_1) | instskip(SKIP_1) | instid1(VALU_DEP_1)
	v_sub_nc_u64_e32 v[8:9], v[8:9], v[12:13]
	s_wait_kmcnt 0x0
	v_mad_nc_u64_u32 v[0:1], v8, s42, v[0:1]
	s_delay_alu instid0(VALU_DEP_1) | instskip(NEXT) | instid1(VALU_DEP_1)
	v_mad_u32 v1, v9, s42, v1
	v_mad_u32 v1, v8, s43, v1
	v_mov_b64_e32 v[8:9], v[10:11]
	s_cbranch_scc0 .LBB94_1312
.LBB94_1292:                            ; =>This Inner Loop Header: Depth=1
	s_load_b64 s[42:43], s[40:41], 0x0
                                        ; implicit-def: $vgpr10_vgpr11
	s_mov_b32 s0, exec_lo
	s_wait_kmcnt 0x0
	s_delay_alu instid0(VALU_DEP_1) | instskip(NEXT) | instid1(VALU_DEP_1)
	v_or_b32_e32 v3, s43, v9
	v_cmpx_ne_u64_e32 0, v[2:3]
	s_xor_b32 s77, exec_lo, s0
	s_cbranch_execz .LBB94_1294
; %bb.1293:                             ;   in Loop: Header=BB94_1292 Depth=1
	s_ashr_i32 s44, s43, 31
	v_dual_mov_b32 v15, v2 :: v_dual_ashrrev_i32 v10, 31, v9
	s_mov_b32 s45, s44
	v_mov_b32_e32 v23, v2
	s_add_nc_u64 s[46:47], s[42:43], s[44:45]
	s_delay_alu instid0(VALU_DEP_2) | instskip(SKIP_1) | instid1(SALU_CYCLE_1)
	v_mov_b32_e32 v11, v10
	s_xor_b64 s[46:47], s[46:47], s[44:45]
	s_cvt_f32_u32 s0, s46
	s_cvt_f32_u32 s45, s47
	s_sub_nc_u64 s[82:83], 0, s[46:47]
	v_add_nc_u64_e32 v[12:13], v[8:9], v[10:11]
	v_mov_b32_e32 v19, v2
	s_fmamk_f32 s0, s45, 0x4f800000, s0
	s_delay_alu instid0(SALU_CYCLE_3) | instskip(NEXT) | instid1(VALU_DEP_2)
	v_s_rcp_f32 s0, s0
	v_xor_b32_e32 v14, v12, v10
	s_delay_alu instid0(VALU_DEP_3) | instskip(NEXT) | instid1(TRANS32_DEP_1)
	v_xor_b32_e32 v18, v13, v10
	s_mul_f32 s0, s0, 0x5f7ffffc
	s_delay_alu instid0(SALU_CYCLE_3) | instskip(NEXT) | instid1(SALU_CYCLE_3)
	s_mul_f32 s45, s0, 0x2f800000
	s_trunc_f32 s45, s45
	s_delay_alu instid0(SALU_CYCLE_3) | instskip(SKIP_1) | instid1(SALU_CYCLE_2)
	s_fmamk_f32 s0, s45, 0xcf800000, s0
	s_cvt_u32_f32 s81, s45
	s_cvt_u32_f32 s80, s0
	s_delay_alu instid0(SALU_CYCLE_3) | instskip(NEXT) | instid1(SALU_CYCLE_1)
	s_mul_u64 s[84:85], s[82:83], s[80:81]
	s_mul_hi_u32 s87, s80, s85
	s_mul_i32 s86, s80, s85
	s_mul_hi_u32 s0, s80, s84
	s_mul_i32 s78, s81, s84
	s_add_nc_u64 s[86:87], s[0:1], s[86:87]
	s_mul_hi_u32 s45, s81, s84
	s_mul_hi_u32 s88, s81, s85
	s_add_co_u32 s0, s86, s78
	s_add_co_ci_u32 s0, s87, s45
	s_mul_i32 s84, s81, s85
	s_add_co_ci_u32 s85, s88, 0
	s_delay_alu instid0(SALU_CYCLE_1) | instskip(NEXT) | instid1(SALU_CYCLE_1)
	s_add_nc_u64 s[84:85], s[0:1], s[84:85]
	s_add_co_u32 s80, s80, s84
	s_cselect_b32 s0, -1, 0
	s_delay_alu instid0(SALU_CYCLE_1) | instskip(SKIP_1) | instid1(SALU_CYCLE_1)
	s_cmp_lg_u32 s0, 0
	s_add_co_ci_u32 s81, s81, s85
	s_mul_u64 s[82:83], s[82:83], s[80:81]
	s_delay_alu instid0(SALU_CYCLE_1)
	s_mul_hi_u32 s85, s80, s83
	s_mul_i32 s84, s80, s83
	s_mul_hi_u32 s0, s80, s82
	s_mul_i32 s78, s81, s82
	s_add_nc_u64 s[84:85], s[0:1], s[84:85]
	s_mul_hi_u32 s45, s81, s82
	s_mul_hi_u32 s86, s81, s83
	s_add_co_u32 s0, s84, s78
	s_add_co_ci_u32 s0, s85, s45
	s_mul_i32 s82, s81, s83
	s_add_co_ci_u32 s83, s86, 0
	s_delay_alu instid0(SALU_CYCLE_1) | instskip(NEXT) | instid1(SALU_CYCLE_1)
	s_add_nc_u64 s[82:83], s[0:1], s[82:83]
	s_add_co_u32 s78, s80, s82
	s_cselect_b32 s0, -1, 0
	v_mul_hi_u32 v22, v14, s78
	s_cmp_lg_u32 s0, 0
	s_add_co_ci_u32 s0, s81, s83
	s_and_b64 s[80:81], s[78:79], s[38:39]
	v_mul_u64_e32 v[16:17], s[0:1], v[14:15]
	v_mul_u64_e32 v[12:13], s[80:81], v[18:19]
	;; [unrolled: 1-line block ×3, first 2 shown]
	s_delay_alu instid0(VALU_DEP_3) | instskip(NEXT) | instid1(VALU_DEP_1)
	v_add_nc_u64_e32 v[16:17], v[22:23], v[16:17]
	v_add_co_u32 v3, vcc_lo, v16, v12
	s_delay_alu instid0(VALU_DEP_2) | instskip(NEXT) | instid1(VALU_DEP_4)
	v_add_co_ci_u32_e32 v22, vcc_lo, v17, v13, vcc_lo
	v_add_co_ci_u32_e32 v21, vcc_lo, 0, v21, vcc_lo
	s_delay_alu instid0(VALU_DEP_1) | instskip(NEXT) | instid1(VALU_DEP_1)
	v_add_nc_u64_e32 v[12:13], v[22:23], v[20:21]
	v_mul_u64_e32 v[16:17], s[46:47], v[12:13]
	s_delay_alu instid0(VALU_DEP_1) | instskip(NEXT) | instid1(VALU_DEP_2)
	v_sub_nc_u32_e32 v3, v18, v17
	v_sub_co_u32 v11, vcc_lo, v14, v16
	s_delay_alu instid0(VALU_DEP_1) | instskip(NEXT) | instid1(VALU_DEP_3)
	v_sub_co_ci_u32_e64 v18, null, v18, v17, vcc_lo
	v_subrev_co_ci_u32_e64 v3, null, s47, v3, vcc_lo
	s_delay_alu instid0(VALU_DEP_3) | instskip(SKIP_1) | instid1(VALU_DEP_3)
	v_sub_co_u32 v14, s0, v11, s46
	v_add_nc_u64_e32 v[16:17], 1, v[12:13]
	v_subrev_co_ci_u32_e64 v3, null, 0, v3, s0
	s_delay_alu instid0(VALU_DEP_3) | instskip(SKIP_1) | instid1(VALU_DEP_3)
	v_cmp_le_u32_e32 vcc_lo, s46, v14
	v_cndmask_b32_e64 v14, 0, -1, vcc_lo
	v_cmp_le_u32_e32 vcc_lo, s47, v3
	v_cndmask_b32_e64 v15, 0, -1, vcc_lo
	;; [unrolled: 2-line block ×4, first 2 shown]
	v_cmp_eq_u32_e32 vcc_lo, s47, v3
	v_cndmask_b32_e32 v3, v15, v14, vcc_lo
	v_cmp_eq_u32_e32 vcc_lo, s47, v18
	v_add_nc_u64_e32 v[14:15], 2, v[12:13]
	v_cndmask_b32_e32 v11, v19, v11, vcc_lo
	s_delay_alu instid0(VALU_DEP_4) | instskip(NEXT) | instid1(VALU_DEP_2)
	v_cmp_ne_u32_e32 vcc_lo, 0, v3
	v_cmp_ne_u32_e64 s0, 0, v11
	s_delay_alu instid0(VALU_DEP_4) | instskip(NEXT) | instid1(VALU_DEP_1)
	v_dual_cndmask_b32 v3, v17, v15, vcc_lo :: v_dual_cndmask_b32 v11, v16, v14, vcc_lo
	v_dual_cndmask_b32 v3, v13, v3, s0 :: v_dual_bitop2_b32 v10, s44, v10 bitop3:0x14
	s_delay_alu instid0(VALU_DEP_1) | instskip(NEXT) | instid1(VALU_DEP_2)
	v_dual_cndmask_b32 v12, v12, v11, s0 :: v_dual_mov_b32 v11, v10
	v_xor_b32_e32 v13, v3, v10
	s_delay_alu instid0(VALU_DEP_2) | instskip(NEXT) | instid1(VALU_DEP_1)
	v_xor_b32_e32 v12, v12, v10
	v_sub_nc_u64_e32 v[10:11], v[12:13], v[10:11]
.LBB94_1294:                            ;   in Loop: Header=BB94_1292 Depth=1
	s_and_not1_saveexec_b32 s0, s77
	s_cbranch_execz .LBB94_1291
; %bb.1295:                             ;   in Loop: Header=BB94_1292 Depth=1
	v_cvt_f32_u32_e32 v3, s42
	s_sub_co_i32 s44, 0, s42
	s_delay_alu instid0(VALU_DEP_1) | instskip(SKIP_1) | instid1(TRANS32_DEP_1)
	v_rcp_iflag_f32_e32 v3, v3
	v_nop
	v_mul_f32_e32 v3, 0x4f7ffffe, v3
	s_delay_alu instid0(VALU_DEP_1) | instskip(NEXT) | instid1(VALU_DEP_1)
	v_cvt_u32_f32_e32 v3, v3
	v_mul_lo_u32 v10, s44, v3
	s_delay_alu instid0(VALU_DEP_1) | instskip(NEXT) | instid1(VALU_DEP_1)
	v_mul_hi_u32 v10, v3, v10
	v_add_nc_u32_e32 v3, v3, v10
	s_delay_alu instid0(VALU_DEP_1) | instskip(NEXT) | instid1(VALU_DEP_1)
	v_mul_hi_u32 v3, v8, v3
	v_mul_lo_u32 v10, v3, s42
	s_delay_alu instid0(VALU_DEP_1) | instskip(NEXT) | instid1(VALU_DEP_1)
	v_dual_add_nc_u32 v11, 1, v3 :: v_dual_sub_nc_u32 v10, v8, v10
	v_subrev_nc_u32_e32 v12, s42, v10
	v_cmp_le_u32_e32 vcc_lo, s42, v10
	s_delay_alu instid0(VALU_DEP_2) | instskip(NEXT) | instid1(VALU_DEP_1)
	v_dual_cndmask_b32 v10, v10, v12 :: v_dual_cndmask_b32 v3, v3, v11
	v_cmp_le_u32_e32 vcc_lo, s42, v10
	s_delay_alu instid0(VALU_DEP_2) | instskip(NEXT) | instid1(VALU_DEP_1)
	v_add_nc_u32_e32 v11, 1, v3
	v_dual_cndmask_b32 v10, v3, v11 :: v_dual_mov_b32 v11, v2
	s_branch .LBB94_1291
.LBB94_1296:
	s_mov_b32 s0, 0
	s_mov_b32 s1, s56
	;; [unrolled: 1-line block ×6, first 2 shown]
.LBB94_1297:
                                        ; implicit-def: $vgpr26
.LBB94_1298:
	s_and_not1_b32 s41, s56, exec_lo
	s_and_b32 s1, s1, exec_lo
	s_and_not1_b32 s42, s59, exec_lo
	s_and_b32 s31, s31, exec_lo
	s_or_b32 s76, s41, s1
	s_or_b32 s77, s42, s31
	s_and_not1_b32 s1, s60, exec_lo
	s_and_b32 s31, s38, exec_lo
	s_and_not1_b32 s38, s61, exec_lo
	s_and_b32 s40, s40, exec_lo
	s_or_b32 s78, s1, s31
	s_or_b32 s74, s38, s40
	;; [unrolled: 6-line block ×5, first 2 shown]
	s_or_not1_b32 s39, s0, exec_lo
.LBB94_1299:
	s_wait_xcnt 0x0
	s_or_b32 exec_lo, exec_lo, s79
	s_mov_b32 s1, 0
	s_mov_b32 s38, 0
	;; [unrolled: 1-line block ×3, first 2 shown]
                                        ; implicit-def: $sgpr0
                                        ; implicit-def: $vgpr2_vgpr3
                                        ; implicit-def: $vgpr0_vgpr1
	s_and_saveexec_b32 s79, s39
	s_cbranch_execz .LBB94_2139
; %bb.1300:
	s_mov_b32 s82, -1
	s_mov_b32 s1, s69
	s_mov_b32 s39, s71
	;; [unrolled: 1-line block ×10, first 2 shown]
	s_mov_b32 s80, exec_lo
	v_cmpx_gt_i32_e64 s57, v26
	s_cbranch_execz .LBB94_2047
; %bb.1301:
	s_wait_loadcnt 0x0
	v_mul_lo_u32 v0, s24, v26
	s_and_b32 s0, s58, 0xff
	s_delay_alu instid0(SALU_CYCLE_1) | instskip(NEXT) | instid1(VALU_DEP_1)
	s_cmp_lt_i32 s0, 11
	v_ashrrev_i32_e32 v1, 31, v0
	s_delay_alu instid0(VALU_DEP_1)
	v_add_nc_u64_e32 v[2:3], s[12:13], v[0:1]
	s_cbranch_scc1 .LBB94_1308
; %bb.1302:
	s_and_b32 s1, 0xffff, s0
	s_delay_alu instid0(SALU_CYCLE_1)
	s_cmp_gt_i32 s1, 25
	s_cbranch_scc0 .LBB94_1309
; %bb.1303:
	s_cmp_gt_i32 s1, 28
	s_cbranch_scc0 .LBB94_1310
; %bb.1304:
	;; [unrolled: 3-line block ×4, first 2 shown]
	s_cmp_eq_u32 s1, 46
	s_mov_b32 s38, 0
	s_cbranch_scc0 .LBB94_1327
; %bb.1307:
	global_load_b32 v0, v[2:3], off
	s_mov_b32 s31, -1
	s_mov_b32 s81, 0
	s_wait_loadcnt 0x0
	v_lshlrev_b32_e32 v0, 16, v0
	s_delay_alu instid0(VALU_DEP_1) | instskip(NEXT) | instid1(VALU_DEP_1)
	v_trunc_f32_e32 v0, v0
	v_mul_f32_e64 v1, 0x2f800000, |v0|
	s_delay_alu instid0(VALU_DEP_1) | instskip(NEXT) | instid1(VALU_DEP_1)
	v_floor_f32_e32 v1, v1
	v_fma_f32 v4, 0xcf800000, v1, |v0|
	v_ashrrev_i32_e32 v0, 31, v0
	v_cvt_u32_f32_e32 v5, v1
	s_delay_alu instid0(VALU_DEP_3) | instskip(NEXT) | instid1(VALU_DEP_2)
	v_cvt_u32_f32_e32 v4, v4
	v_dual_mov_b32 v1, v0 :: v_dual_bitop2_b32 v5, v5, v0 bitop3:0x14
	s_delay_alu instid0(VALU_DEP_2) | instskip(NEXT) | instid1(VALU_DEP_1)
	v_xor_b32_e32 v4, v4, v0
	v_sub_nc_u64_e32 v[0:1], v[4:5], v[0:1]
	s_branch .LBB94_1329
.LBB94_1308:
	s_mov_b32 s1, -1
	s_mov_b32 s31, 0
	s_mov_b32 s81, s69
                                        ; implicit-def: $vgpr0_vgpr1
	s_branch .LBB94_1390
.LBB94_1309:
	s_mov_b32 s38, -1
	s_mov_b32 s31, 0
	s_mov_b32 s81, s69
                                        ; implicit-def: $vgpr0_vgpr1
	s_branch .LBB94_1356
.LBB94_1310:
	s_mov_b32 s38, -1
	s_mov_b32 s31, 0
	s_mov_b32 s81, s69
                                        ; implicit-def: $vgpr0_vgpr1
	s_branch .LBB94_1339
.LBB94_1311:
	s_mov_b32 s38, -1
	s_mov_b32 s31, 0
	s_mov_b32 s81, s69
                                        ; implicit-def: $vgpr0_vgpr1
	s_branch .LBB94_1334
.LBB94_1312:
	s_mov_b32 s39, -1
	s_mov_b32 s0, s59
	s_mov_b32 s1, exec_lo
	v_cmpx_gt_i64_e64 v[6:7], v[4:5]
	s_cbranch_execz .LBB94_1319
; %bb.1313:
	s_delay_alu instid0(VALU_DEP_2) | instskip(SKIP_2) | instid1(VALU_DEP_1)
	v_lshlrev_b64_e32 v[0:1], 3, v[0:1]
	s_mov_b32 s0, 0
	s_xor_b32 s38, s11, -1
                                        ; implicit-def: $sgpr31
                                        ; implicit-def: $sgpr40
                                        ; implicit-def: $sgpr39
	v_lshl_add_u64 v[2:3], v[4:5], 3, v[0:1]
	v_add_nc_u64_e32 v[4:5], s[20:21], v[0:1]
	s_delay_alu instid0(VALU_DEP_2) | instskip(NEXT) | instid1(VALU_DEP_1)
	v_add_nc_u64_e32 v[2:3], s[20:21], v[2:3]
	v_add_nc_u64_e32 v[0:1], 8, v[2:3]
	s_delay_alu instid0(VALU_DEP_3)
	v_lshl_add_u64 v[2:3], v[6:7], 3, v[4:5]
	s_branch .LBB94_1315
.LBB94_1314:                            ;   in Loop: Header=BB94_1315 Depth=1
	s_or_b32 exec_lo, exec_lo, s41
	s_delay_alu instid0(SALU_CYCLE_1) | instskip(NEXT) | instid1(SALU_CYCLE_1)
	s_and_b32 s41, exec_lo, s40
	s_or_b32 s0, s41, s0
	s_and_not1_b32 s31, s31, exec_lo
	s_and_b32 s41, s39, exec_lo
	s_delay_alu instid0(SALU_CYCLE_1)
	s_or_b32 s31, s31, s41
	s_and_not1_b32 exec_lo, exec_lo, s0
	s_cbranch_execz .LBB94_1318
.LBB94_1315:                            ; =>This Inner Loop Header: Depth=1
	s_or_b32 s39, s39, exec_lo
	s_or_b32 s40, s40, exec_lo
	s_mov_b32 s41, exec_lo
	s_delay_alu instid0(VALU_DEP_2)
	v_cmpx_lt_u64_e64 v[0:1], v[2:3]
	s_cbranch_execz .LBB94_1314
; %bb.1316:                             ;   in Loop: Header=BB94_1315 Depth=1
	global_load_b128 v[4:7], v[0:1], off offset:-8
	s_wait_xcnt 0x0
	v_add_nc_u64_e32 v[0:1], 8, v[0:1]
	s_and_not1_b32 s40, s40, exec_lo
	s_and_not1_b32 s39, s39, exec_lo
	s_wait_loadcnt 0x0
	v_cmp_ge_i64_e32 vcc_lo, v[4:5], v[6:7]
	s_or_b32 s42, s38, vcc_lo
	s_delay_alu instid0(SALU_CYCLE_1) | instskip(NEXT) | instid1(SALU_CYCLE_1)
	s_and_b32 s42, s42, exec_lo
	s_or_b32 s40, s40, s42
	s_branch .LBB94_1314
.LBB94_1317:
	s_mov_b32 s38, -1
	s_mov_b32 s31, 0
	s_mov_b32 s81, s69
	s_branch .LBB94_1328
.LBB94_1318:
	s_or_b32 exec_lo, exec_lo, s0
	s_delay_alu instid0(SALU_CYCLE_1)
	s_or_b32 s0, s59, exec_lo
	s_or_not1_b32 s39, s31, exec_lo
.LBB94_1319:
	s_or_b32 exec_lo, exec_lo, s1
	s_mov_b32 s38, 0
	s_mov_b32 s31, s56
	s_and_saveexec_b32 s1, s39
	s_cbranch_execz .LBB94_3590
; %bb.1320:
	v_mul_lo_u32 v0, s33, v26
	s_and_b32 s38, s22, 0xff
	s_delay_alu instid0(SALU_CYCLE_1) | instskip(NEXT) | instid1(VALU_DEP_1)
	s_cmp_lt_i32 s38, 11
	v_ashrrev_i32_e32 v1, 31, v0
	s_delay_alu instid0(VALU_DEP_1)
	v_add_nc_u64_e32 v[0:1], s[2:3], v[0:1]
	s_cbranch_scc1 .LBB94_1453
; %bb.1321:
	s_and_b32 s39, 0xffff, s38
	s_delay_alu instid0(SALU_CYCLE_1)
	s_cmp_gt_i32 s39, 25
	s_cbranch_scc0 .LBB94_1580
; %bb.1322:
	s_cmp_gt_i32 s39, 28
	s_cbranch_scc0 .LBB94_1707
; %bb.1323:
	;; [unrolled: 3-line block ×4, first 2 shown]
	s_mov_b32 s41, 0
	s_mov_b32 s31, -1
	s_cmp_eq_u32 s39, 46
	s_mov_b32 s40, 0
	s_cbranch_scc0 .LBB94_3508
; %bb.1326:
	v_mov_b32_e32 v2, 0
	s_mov_b32 s40, -1
	s_mov_b32 s31, 0
	global_store_b32 v[0:1], v2, off
	s_branch .LBB94_3508
.LBB94_1327:
	s_mov_b32 s81, -1
	s_mov_b32 s31, 0
.LBB94_1328:
                                        ; implicit-def: $vgpr0_vgpr1
.LBB94_1329:
	s_and_b32 vcc_lo, exec_lo, s38
	s_cbranch_vccz .LBB94_1333
; %bb.1330:
	s_cmp_eq_u32 s1, 44
	s_cbranch_scc0 .LBB94_1332
; %bb.1331:
	global_load_u8 v6, v[2:3], off
	s_mov_b32 s81, 0
	s_mov_b32 s31, -1
	s_wait_loadcnt 0x0
	v_cmp_ne_u32_e32 vcc_lo, 0, v6
	v_lshlrev_b32_e32 v0, 23, v6
	s_delay_alu instid0(VALU_DEP_1) | instskip(NEXT) | instid1(VALU_DEP_1)
	v_trunc_f32_e32 v0, v0
	v_mul_f32_e64 v1, 0x2f800000, |v0|
	s_delay_alu instid0(VALU_DEP_1) | instskip(NEXT) | instid1(VALU_DEP_1)
	v_floor_f32_e32 v1, v1
	v_fma_f32 v4, 0xcf800000, v1, |v0|
	v_ashrrev_i32_e32 v0, 31, v0
	v_cvt_u32_f32_e32 v5, v1
	s_delay_alu instid0(VALU_DEP_3) | instskip(NEXT) | instid1(VALU_DEP_2)
	v_cvt_u32_f32_e32 v4, v4
	v_dual_mov_b32 v1, v0 :: v_dual_bitop2_b32 v5, v5, v0 bitop3:0x14
	s_delay_alu instid0(VALU_DEP_2) | instskip(NEXT) | instid1(VALU_DEP_1)
	v_xor_b32_e32 v4, v4, v0
	v_sub_nc_u64_e32 v[0:1], v[4:5], v[0:1]
	s_delay_alu instid0(VALU_DEP_1)
	v_dual_cndmask_b32 v1, 0, v1 :: v_dual_cndmask_b32 v0, 0, v0
	s_branch .LBB94_1333
.LBB94_1332:
	s_mov_b32 s81, -1
                                        ; implicit-def: $vgpr0_vgpr1
.LBB94_1333:
	s_mov_b32 s38, 0
.LBB94_1334:
	s_delay_alu instid0(SALU_CYCLE_1)
	s_and_b32 vcc_lo, exec_lo, s38
	s_cbranch_vccz .LBB94_1338
; %bb.1335:
	s_cmp_eq_u32 s1, 29
	s_cbranch_scc0 .LBB94_1337
; %bb.1336:
	global_load_b64 v[0:1], v[2:3], off
	s_mov_b32 s31, -1
	s_mov_b32 s81, 0
	s_branch .LBB94_1338
.LBB94_1337:
	s_mov_b32 s81, -1
                                        ; implicit-def: $vgpr0_vgpr1
.LBB94_1338:
	s_mov_b32 s38, 0
.LBB94_1339:
	s_delay_alu instid0(SALU_CYCLE_1)
	s_and_b32 vcc_lo, exec_lo, s38
	s_cbranch_vccz .LBB94_1355
; %bb.1340:
	s_cmp_lt_i32 s1, 27
	s_cbranch_scc1 .LBB94_1343
; %bb.1341:
	s_cmp_gt_i32 s1, 27
	s_cbranch_scc0 .LBB94_1344
; %bb.1342:
	s_wait_loadcnt 0x0
	global_load_b32 v0, v[2:3], off
	v_mov_b32_e32 v1, 0
	s_mov_b32 s31, 0
	s_branch .LBB94_1345
.LBB94_1343:
	s_mov_b32 s31, -1
                                        ; implicit-def: $vgpr0_vgpr1
	s_branch .LBB94_1348
.LBB94_1344:
	s_mov_b32 s31, -1
                                        ; implicit-def: $vgpr0_vgpr1
.LBB94_1345:
	s_delay_alu instid0(SALU_CYCLE_1)
	s_and_not1_b32 vcc_lo, exec_lo, s31
	s_cbranch_vccnz .LBB94_1347
; %bb.1346:
	s_wait_loadcnt 0x0
	global_load_u16 v0, v[2:3], off
	s_mov_b32 s31, 0
	s_delay_alu instid0(SALU_CYCLE_1)
	v_mov_b32_e32 v1, s31
	s_wait_loadcnt 0x0
	v_and_b32_e32 v0, 0xffff, v0
.LBB94_1347:
	s_mov_b32 s31, 0
.LBB94_1348:
	s_delay_alu instid0(SALU_CYCLE_1)
	s_and_not1_b32 vcc_lo, exec_lo, s31
	s_cbranch_vccnz .LBB94_1354
; %bb.1349:
	global_load_u8 v4, v[2:3], off
	s_mov_b32 s38, 0
	s_mov_b32 s31, exec_lo
	s_wait_loadcnt 0x0
	v_cmpx_lt_i16_e32 0x7f, v4
	s_xor_b32 s31, exec_lo, s31
	s_cbranch_execz .LBB94_1366
; %bb.1350:
	v_cmp_ne_u16_e32 vcc_lo, 0x80, v4
	s_and_b32 s38, vcc_lo, exec_lo
	s_and_not1_saveexec_b32 s31, s31
	s_cbranch_execnz .LBB94_1367
.LBB94_1351:
	s_or_b32 exec_lo, exec_lo, s31
	v_mov_b64_e32 v[0:1], 0
	s_and_saveexec_b32 s31, s38
	s_cbranch_execz .LBB94_1353
.LBB94_1352:
	v_and_b32_e32 v0, 0xffff, v4
	s_delay_alu instid0(VALU_DEP_1) | instskip(SKIP_1) | instid1(VALU_DEP_2)
	v_and_b32_e32 v1, 7, v0
	v_bfe_u32 v7, v0, 3, 4
	v_clz_i32_u32_e32 v5, v1
	s_delay_alu instid0(VALU_DEP_2) | instskip(NEXT) | instid1(VALU_DEP_2)
	v_cmp_eq_u32_e32 vcc_lo, 0, v7
	v_min_u32_e32 v5, 32, v5
	s_delay_alu instid0(VALU_DEP_1) | instskip(NEXT) | instid1(VALU_DEP_1)
	v_subrev_nc_u32_e32 v6, 28, v5
	v_dual_lshlrev_b32 v0, v6, v0 :: v_dual_sub_nc_u32 v5, 29, v5
	s_delay_alu instid0(VALU_DEP_1) | instskip(NEXT) | instid1(VALU_DEP_2)
	v_and_b32_e32 v0, 7, v0
	v_dual_cndmask_b32 v5, v7, v5 :: v_dual_lshlrev_b32 v4, 24, v4
	s_delay_alu instid0(VALU_DEP_2) | instskip(NEXT) | instid1(VALU_DEP_2)
	v_cndmask_b32_e32 v0, v1, v0, vcc_lo
	v_and_b32_e32 v1, 0x80000000, v4
	s_delay_alu instid0(VALU_DEP_3) | instskip(NEXT) | instid1(VALU_DEP_3)
	v_lshl_add_u32 v4, v5, 23, 0x3b800000
	v_lshlrev_b32_e32 v0, 20, v0
	s_delay_alu instid0(VALU_DEP_1) | instskip(NEXT) | instid1(VALU_DEP_1)
	v_or3_b32 v0, v1, v4, v0
	v_trunc_f32_e32 v0, v0
	s_delay_alu instid0(VALU_DEP_1) | instskip(NEXT) | instid1(VALU_DEP_1)
	v_mul_f32_e64 v1, 0x2f800000, |v0|
	v_floor_f32_e32 v1, v1
	s_delay_alu instid0(VALU_DEP_1) | instskip(SKIP_2) | instid1(VALU_DEP_3)
	v_fma_f32 v4, 0xcf800000, v1, |v0|
	v_ashrrev_i32_e32 v0, 31, v0
	v_cvt_u32_f32_e32 v5, v1
	v_cvt_u32_f32_e32 v4, v4
	s_delay_alu instid0(VALU_DEP_2) | instskip(NEXT) | instid1(VALU_DEP_2)
	v_dual_mov_b32 v1, v0 :: v_dual_bitop2_b32 v5, v5, v0 bitop3:0x14
	v_xor_b32_e32 v4, v4, v0
	s_delay_alu instid0(VALU_DEP_1)
	v_sub_nc_u64_e32 v[0:1], v[4:5], v[0:1]
.LBB94_1353:
	s_or_b32 exec_lo, exec_lo, s31
.LBB94_1354:
	s_mov_b32 s31, -1
.LBB94_1355:
	s_mov_b32 s38, 0
.LBB94_1356:
	s_delay_alu instid0(SALU_CYCLE_1)
	s_and_b32 vcc_lo, exec_lo, s38
	s_cbranch_vccz .LBB94_1389
; %bb.1357:
	s_cmp_gt_i32 s1, 22
	s_cbranch_scc0 .LBB94_1365
; %bb.1358:
	s_cmp_lt_i32 s1, 24
	s_cbranch_scc1 .LBB94_1368
; %bb.1359:
	s_cmp_gt_i32 s1, 24
	s_cbranch_scc0 .LBB94_1369
; %bb.1360:
	global_load_u8 v4, v[2:3], off
	s_mov_b32 s38, 0
	s_mov_b32 s31, exec_lo
	s_wait_loadcnt 0x0
	v_cmpx_lt_i16_e32 0x7f, v4
	s_xor_b32 s31, exec_lo, s31
	s_cbranch_execz .LBB94_1381
; %bb.1361:
	v_cmp_ne_u16_e32 vcc_lo, 0x80, v4
	s_and_b32 s38, vcc_lo, exec_lo
	s_and_not1_saveexec_b32 s31, s31
	s_cbranch_execnz .LBB94_1382
.LBB94_1362:
	s_or_b32 exec_lo, exec_lo, s31
	v_mov_b64_e32 v[0:1], 0
	s_and_saveexec_b32 s31, s38
	s_cbranch_execz .LBB94_1364
.LBB94_1363:
	v_and_b32_e32 v0, 0xffff, v4
	s_delay_alu instid0(VALU_DEP_1) | instskip(SKIP_1) | instid1(VALU_DEP_2)
	v_and_b32_e32 v1, 3, v0
	v_bfe_u32 v7, v0, 2, 5
	v_clz_i32_u32_e32 v5, v1
	s_delay_alu instid0(VALU_DEP_2) | instskip(NEXT) | instid1(VALU_DEP_2)
	v_cmp_eq_u32_e32 vcc_lo, 0, v7
	v_min_u32_e32 v5, 32, v5
	s_delay_alu instid0(VALU_DEP_1) | instskip(NEXT) | instid1(VALU_DEP_1)
	v_subrev_nc_u32_e32 v6, 29, v5
	v_dual_lshlrev_b32 v0, v6, v0 :: v_dual_sub_nc_u32 v5, 30, v5
	s_delay_alu instid0(VALU_DEP_1) | instskip(NEXT) | instid1(VALU_DEP_2)
	v_and_b32_e32 v0, 3, v0
	v_dual_cndmask_b32 v5, v7, v5 :: v_dual_lshlrev_b32 v4, 24, v4
	s_delay_alu instid0(VALU_DEP_2) | instskip(NEXT) | instid1(VALU_DEP_2)
	v_cndmask_b32_e32 v0, v1, v0, vcc_lo
	v_and_b32_e32 v1, 0x80000000, v4
	s_delay_alu instid0(VALU_DEP_3) | instskip(NEXT) | instid1(VALU_DEP_3)
	v_lshl_add_u32 v4, v5, 23, 0x37800000
	v_lshlrev_b32_e32 v0, 21, v0
	s_delay_alu instid0(VALU_DEP_1) | instskip(NEXT) | instid1(VALU_DEP_1)
	v_or3_b32 v0, v1, v4, v0
	v_trunc_f32_e32 v0, v0
	s_delay_alu instid0(VALU_DEP_1) | instskip(NEXT) | instid1(VALU_DEP_1)
	v_mul_f32_e64 v1, 0x2f800000, |v0|
	v_floor_f32_e32 v1, v1
	s_delay_alu instid0(VALU_DEP_1) | instskip(SKIP_2) | instid1(VALU_DEP_3)
	v_fma_f32 v4, 0xcf800000, v1, |v0|
	v_ashrrev_i32_e32 v0, 31, v0
	v_cvt_u32_f32_e32 v5, v1
	v_cvt_u32_f32_e32 v4, v4
	s_delay_alu instid0(VALU_DEP_2) | instskip(NEXT) | instid1(VALU_DEP_2)
	v_dual_mov_b32 v1, v0 :: v_dual_bitop2_b32 v5, v5, v0 bitop3:0x14
	v_xor_b32_e32 v4, v4, v0
	s_delay_alu instid0(VALU_DEP_1)
	v_sub_nc_u64_e32 v[0:1], v[4:5], v[0:1]
.LBB94_1364:
	s_or_b32 exec_lo, exec_lo, s31
	s_mov_b32 s31, 0
	s_branch .LBB94_1370
.LBB94_1365:
	s_mov_b32 s38, -1
                                        ; implicit-def: $vgpr0_vgpr1
	s_branch .LBB94_1376
.LBB94_1366:
	s_and_not1_saveexec_b32 s31, s31
	s_cbranch_execz .LBB94_1351
.LBB94_1367:
	v_cmp_ne_u16_e32 vcc_lo, 0, v4
	s_and_not1_b32 s38, s38, exec_lo
	s_and_b32 s39, vcc_lo, exec_lo
	s_delay_alu instid0(SALU_CYCLE_1)
	s_or_b32 s38, s38, s39
	s_or_b32 exec_lo, exec_lo, s31
	v_mov_b64_e32 v[0:1], 0
	s_and_saveexec_b32 s31, s38
	s_cbranch_execnz .LBB94_1352
	s_branch .LBB94_1353
.LBB94_1368:
	s_mov_b32 s31, -1
                                        ; implicit-def: $vgpr0_vgpr1
	s_branch .LBB94_1373
.LBB94_1369:
	s_mov_b32 s31, -1
                                        ; implicit-def: $vgpr0_vgpr1
.LBB94_1370:
	s_delay_alu instid0(SALU_CYCLE_1)
	s_and_b32 vcc_lo, exec_lo, s31
	s_cbranch_vccz .LBB94_1372
; %bb.1371:
	s_wait_loadcnt 0x0
	global_load_u8 v0, v[2:3], off
	s_wait_loadcnt 0x0
	v_lshlrev_b32_e32 v0, 24, v0
	s_delay_alu instid0(VALU_DEP_1) | instskip(NEXT) | instid1(VALU_DEP_1)
	v_and_b32_e32 v1, 0x7f000000, v0
	v_clz_i32_u32_e32 v4, v1
	v_cmp_ne_u32_e32 vcc_lo, 0, v1
	v_add_nc_u32_e32 v6, 0x1000000, v1
	s_delay_alu instid0(VALU_DEP_3) | instskip(NEXT) | instid1(VALU_DEP_1)
	v_min_u32_e32 v4, 32, v4
	v_sub_nc_u32_e64 v4, v4, 4 clamp
	s_delay_alu instid0(VALU_DEP_1) | instskip(NEXT) | instid1(VALU_DEP_1)
	v_dual_lshlrev_b32 v5, v4, v1 :: v_dual_lshlrev_b32 v4, 23, v4
	v_lshrrev_b32_e32 v5, 4, v5
	s_delay_alu instid0(VALU_DEP_1) | instskip(NEXT) | instid1(VALU_DEP_1)
	v_dual_sub_nc_u32 v4, v5, v4 :: v_dual_ashrrev_i32 v5, 8, v6
	v_add_nc_u32_e32 v4, 0x3c000000, v4
	s_delay_alu instid0(VALU_DEP_1) | instskip(NEXT) | instid1(VALU_DEP_1)
	v_and_or_b32 v4, 0x7f800000, v5, v4
	v_cndmask_b32_e32 v1, 0, v4, vcc_lo
	s_delay_alu instid0(VALU_DEP_1) | instskip(NEXT) | instid1(VALU_DEP_1)
	v_and_or_b32 v0, 0x80000000, v0, v1
	v_trunc_f32_e32 v0, v0
	s_delay_alu instid0(VALU_DEP_1) | instskip(NEXT) | instid1(VALU_DEP_1)
	v_mul_f32_e64 v1, 0x2f800000, |v0|
	v_floor_f32_e32 v1, v1
	s_delay_alu instid0(VALU_DEP_1) | instskip(SKIP_2) | instid1(VALU_DEP_3)
	v_fma_f32 v4, 0xcf800000, v1, |v0|
	v_ashrrev_i32_e32 v0, 31, v0
	v_cvt_u32_f32_e32 v5, v1
	v_cvt_u32_f32_e32 v4, v4
	s_delay_alu instid0(VALU_DEP_2) | instskip(NEXT) | instid1(VALU_DEP_2)
	v_dual_mov_b32 v1, v0 :: v_dual_bitop2_b32 v5, v5, v0 bitop3:0x14
	v_xor_b32_e32 v4, v4, v0
	s_delay_alu instid0(VALU_DEP_1)
	v_sub_nc_u64_e32 v[0:1], v[4:5], v[0:1]
.LBB94_1372:
	s_mov_b32 s31, 0
.LBB94_1373:
	s_delay_alu instid0(SALU_CYCLE_1)
	s_and_not1_b32 vcc_lo, exec_lo, s31
	s_cbranch_vccnz .LBB94_1375
; %bb.1374:
	s_wait_loadcnt 0x0
	global_load_u8 v0, v[2:3], off
	s_wait_loadcnt 0x0
	v_lshlrev_b32_e32 v1, 25, v0
	v_lshlrev_b16 v0, 8, v0
	s_delay_alu instid0(VALU_DEP_1) | instskip(SKIP_1) | instid1(VALU_DEP_2)
	v_and_or_b32 v5, 0x7f00, v0, 0.5
	v_bfe_i32 v0, v0, 0, 16
	v_add_f32_e32 v5, -0.5, v5
	v_lshrrev_b32_e32 v4, 4, v1
	v_cmp_gt_u32_e32 vcc_lo, 0x8000000, v1
	s_delay_alu instid0(VALU_DEP_2) | instskip(NEXT) | instid1(VALU_DEP_1)
	v_or_b32_e32 v4, 0x70000000, v4
	v_mul_f32_e32 v4, 0x7800000, v4
	s_delay_alu instid0(VALU_DEP_1) | instskip(NEXT) | instid1(VALU_DEP_1)
	v_cndmask_b32_e32 v1, v4, v5, vcc_lo
	v_and_or_b32 v0, 0x80000000, v0, v1
	s_delay_alu instid0(VALU_DEP_1) | instskip(NEXT) | instid1(VALU_DEP_1)
	v_trunc_f32_e32 v0, v0
	v_mul_f32_e64 v1, 0x2f800000, |v0|
	s_delay_alu instid0(VALU_DEP_1) | instskip(NEXT) | instid1(VALU_DEP_1)
	v_floor_f32_e32 v1, v1
	v_fma_f32 v4, 0xcf800000, v1, |v0|
	v_ashrrev_i32_e32 v0, 31, v0
	v_cvt_u32_f32_e32 v5, v1
	s_delay_alu instid0(VALU_DEP_3) | instskip(NEXT) | instid1(VALU_DEP_2)
	v_cvt_u32_f32_e32 v4, v4
	v_dual_mov_b32 v1, v0 :: v_dual_bitop2_b32 v5, v5, v0 bitop3:0x14
	s_delay_alu instid0(VALU_DEP_2) | instskip(NEXT) | instid1(VALU_DEP_1)
	v_xor_b32_e32 v4, v4, v0
	v_sub_nc_u64_e32 v[0:1], v[4:5], v[0:1]
.LBB94_1375:
	s_mov_b32 s38, 0
	s_mov_b32 s31, -1
.LBB94_1376:
	s_and_not1_b32 vcc_lo, exec_lo, s38
	s_cbranch_vccnz .LBB94_1389
; %bb.1377:
	s_cmp_gt_i32 s1, 14
	s_cbranch_scc0 .LBB94_1380
; %bb.1378:
	s_cmp_eq_u32 s1, 15
	s_cbranch_scc0 .LBB94_1383
; %bb.1379:
	s_wait_loadcnt 0x0
	global_load_u16 v0, v[2:3], off
	s_mov_b32 s31, -1
	s_mov_b32 s81, 0
	s_wait_loadcnt 0x0
	v_lshlrev_b32_e32 v0, 16, v0
	s_delay_alu instid0(VALU_DEP_1) | instskip(NEXT) | instid1(VALU_DEP_1)
	v_trunc_f32_e32 v0, v0
	v_mul_f32_e64 v1, 0x2f800000, |v0|
	s_delay_alu instid0(VALU_DEP_1) | instskip(NEXT) | instid1(VALU_DEP_1)
	v_floor_f32_e32 v1, v1
	v_fma_f32 v4, 0xcf800000, v1, |v0|
	v_ashrrev_i32_e32 v0, 31, v0
	v_cvt_u32_f32_e32 v5, v1
	s_delay_alu instid0(VALU_DEP_3) | instskip(NEXT) | instid1(VALU_DEP_2)
	v_cvt_u32_f32_e32 v4, v4
	v_dual_mov_b32 v1, v0 :: v_dual_bitop2_b32 v5, v5, v0 bitop3:0x14
	s_delay_alu instid0(VALU_DEP_2) | instskip(NEXT) | instid1(VALU_DEP_1)
	v_xor_b32_e32 v4, v4, v0
	v_sub_nc_u64_e32 v[0:1], v[4:5], v[0:1]
	s_branch .LBB94_1384
.LBB94_1380:
	s_mov_b32 s38, -1
                                        ; implicit-def: $vgpr0_vgpr1
	s_branch .LBB94_1385
.LBB94_1381:
	s_and_not1_saveexec_b32 s31, s31
	s_cbranch_execz .LBB94_1362
.LBB94_1382:
	v_cmp_ne_u16_e32 vcc_lo, 0, v4
	s_and_not1_b32 s38, s38, exec_lo
	s_and_b32 s39, vcc_lo, exec_lo
	s_delay_alu instid0(SALU_CYCLE_1)
	s_or_b32 s38, s38, s39
	s_or_b32 exec_lo, exec_lo, s31
	v_mov_b64_e32 v[0:1], 0
	s_and_saveexec_b32 s31, s38
	s_cbranch_execnz .LBB94_1363
	s_branch .LBB94_1364
.LBB94_1383:
	s_mov_b32 s81, -1
                                        ; implicit-def: $vgpr0_vgpr1
.LBB94_1384:
	s_mov_b32 s38, 0
.LBB94_1385:
	s_delay_alu instid0(SALU_CYCLE_1)
	s_and_b32 vcc_lo, exec_lo, s38
	s_cbranch_vccz .LBB94_1389
; %bb.1386:
	s_cmp_eq_u32 s1, 11
	s_cbranch_scc0 .LBB94_1388
; %bb.1387:
	s_wait_loadcnt 0x0
	global_load_u8 v0, v[2:3], off
	s_mov_b32 s81, 0
	s_mov_b32 s31, -1
	v_mov_b32_e32 v1, s81
	s_wait_loadcnt 0x0
	v_cmp_ne_u16_e32 vcc_lo, 0, v0
	v_cndmask_b32_e64 v0, 0, 1, vcc_lo
	s_branch .LBB94_1389
.LBB94_1388:
	s_mov_b32 s81, -1
                                        ; implicit-def: $vgpr0_vgpr1
.LBB94_1389:
	s_mov_b32 s1, 0
.LBB94_1390:
	s_delay_alu instid0(SALU_CYCLE_1)
	s_and_b32 vcc_lo, exec_lo, s1
	s_cbranch_vccz .LBB94_1439
; %bb.1391:
	s_and_b32 s0, 0xffff, s0
	s_delay_alu instid0(SALU_CYCLE_1)
	s_cmp_lt_i32 s0, 5
	s_cbranch_scc1 .LBB94_1396
; %bb.1392:
	s_cmp_lt_i32 s0, 8
	s_cbranch_scc1 .LBB94_1397
; %bb.1393:
	;; [unrolled: 3-line block ×3, first 2 shown]
	s_cmp_gt_i32 s0, 9
	s_cbranch_scc0 .LBB94_1399
; %bb.1395:
	s_wait_loadcnt 0x0
	global_load_b64 v[0:1], v[2:3], off
	s_mov_b32 s1, 0
	s_wait_loadcnt 0x0
	v_trunc_f64_e32 v[0:1], v[0:1]
	s_delay_alu instid0(VALU_DEP_1) | instskip(NEXT) | instid1(VALU_DEP_1)
	v_ldexp_f64 v[4:5], v[0:1], 0xffffffe0
	v_floor_f64_e32 v[4:5], v[4:5]
	s_delay_alu instid0(VALU_DEP_1) | instskip(SKIP_1) | instid1(VALU_DEP_2)
	v_fmamk_f64 v[6:7], v[4:5], 0xc1f00000, v[0:1]
	v_cvt_i32_f64_e32 v1, v[4:5]
	v_cvt_u32_f64_e32 v0, v[6:7]
	s_branch .LBB94_1400
.LBB94_1396:
	s_mov_b32 s1, -1
                                        ; implicit-def: $vgpr0_vgpr1
	s_branch .LBB94_1418
.LBB94_1397:
	s_mov_b32 s1, -1
                                        ; implicit-def: $vgpr0_vgpr1
	s_branch .LBB94_1406
.LBB94_1398:
	s_mov_b32 s1, -1
                                        ; implicit-def: $vgpr0_vgpr1
	s_branch .LBB94_1403
.LBB94_1399:
	s_mov_b32 s1, -1
                                        ; implicit-def: $vgpr0_vgpr1
.LBB94_1400:
	s_delay_alu instid0(SALU_CYCLE_1)
	s_and_not1_b32 vcc_lo, exec_lo, s1
	s_cbranch_vccnz .LBB94_1402
; %bb.1401:
	s_wait_loadcnt 0x0
	global_load_b32 v0, v[2:3], off
	s_wait_loadcnt 0x0
	v_trunc_f32_e32 v0, v0
	s_delay_alu instid0(VALU_DEP_1) | instskip(NEXT) | instid1(VALU_DEP_1)
	v_mul_f32_e64 v1, 0x2f800000, |v0|
	v_floor_f32_e32 v1, v1
	s_delay_alu instid0(VALU_DEP_1) | instskip(SKIP_2) | instid1(VALU_DEP_3)
	v_fma_f32 v4, 0xcf800000, v1, |v0|
	v_ashrrev_i32_e32 v0, 31, v0
	v_cvt_u32_f32_e32 v5, v1
	v_cvt_u32_f32_e32 v4, v4
	s_delay_alu instid0(VALU_DEP_2) | instskip(NEXT) | instid1(VALU_DEP_2)
	v_dual_mov_b32 v1, v0 :: v_dual_bitop2_b32 v5, v5, v0 bitop3:0x14
	v_xor_b32_e32 v4, v4, v0
	s_delay_alu instid0(VALU_DEP_1)
	v_sub_nc_u64_e32 v[0:1], v[4:5], v[0:1]
.LBB94_1402:
	s_mov_b32 s1, 0
.LBB94_1403:
	s_delay_alu instid0(SALU_CYCLE_1)
	s_and_not1_b32 vcc_lo, exec_lo, s1
	s_cbranch_vccnz .LBB94_1405
; %bb.1404:
	s_wait_loadcnt 0x0
	global_load_b32 v0, v[2:3], off
	s_wait_loadcnt 0x0
	v_cvt_f32_f16_e32 v0, v0
	s_delay_alu instid0(VALU_DEP_1) | instskip(NEXT) | instid1(VALU_DEP_1)
	v_cvt_i32_f32_e32 v0, v0
	v_ashrrev_i32_e32 v1, 31, v0
.LBB94_1405:
	s_mov_b32 s1, 0
.LBB94_1406:
	s_delay_alu instid0(SALU_CYCLE_1)
	s_and_not1_b32 vcc_lo, exec_lo, s1
	s_cbranch_vccnz .LBB94_1417
; %bb.1407:
	s_cmp_lt_i32 s0, 6
	s_cbranch_scc1 .LBB94_1410
; %bb.1408:
	s_cmp_gt_i32 s0, 6
	s_cbranch_scc0 .LBB94_1411
; %bb.1409:
	s_wait_loadcnt 0x0
	global_load_b64 v[0:1], v[2:3], off
	s_mov_b32 s1, 0
	s_wait_loadcnt 0x0
	v_trunc_f64_e32 v[0:1], v[0:1]
	s_delay_alu instid0(VALU_DEP_1) | instskip(NEXT) | instid1(VALU_DEP_1)
	v_ldexp_f64 v[4:5], v[0:1], 0xffffffe0
	v_floor_f64_e32 v[4:5], v[4:5]
	s_delay_alu instid0(VALU_DEP_1) | instskip(SKIP_1) | instid1(VALU_DEP_2)
	v_fmamk_f64 v[6:7], v[4:5], 0xc1f00000, v[0:1]
	v_cvt_i32_f64_e32 v1, v[4:5]
	v_cvt_u32_f64_e32 v0, v[6:7]
	s_branch .LBB94_1412
.LBB94_1410:
	s_mov_b32 s1, -1
                                        ; implicit-def: $vgpr0_vgpr1
	s_branch .LBB94_1415
.LBB94_1411:
	s_mov_b32 s1, -1
                                        ; implicit-def: $vgpr0_vgpr1
.LBB94_1412:
	s_delay_alu instid0(SALU_CYCLE_1)
	s_and_not1_b32 vcc_lo, exec_lo, s1
	s_cbranch_vccnz .LBB94_1414
; %bb.1413:
	s_wait_loadcnt 0x0
	global_load_b32 v0, v[2:3], off
	s_wait_loadcnt 0x0
	v_trunc_f32_e32 v0, v0
	s_delay_alu instid0(VALU_DEP_1) | instskip(NEXT) | instid1(VALU_DEP_1)
	v_mul_f32_e64 v1, 0x2f800000, |v0|
	v_floor_f32_e32 v1, v1
	s_delay_alu instid0(VALU_DEP_1) | instskip(SKIP_2) | instid1(VALU_DEP_3)
	v_fma_f32 v4, 0xcf800000, v1, |v0|
	v_ashrrev_i32_e32 v0, 31, v0
	v_cvt_u32_f32_e32 v5, v1
	v_cvt_u32_f32_e32 v4, v4
	s_delay_alu instid0(VALU_DEP_2) | instskip(NEXT) | instid1(VALU_DEP_2)
	v_dual_mov_b32 v1, v0 :: v_dual_bitop2_b32 v5, v5, v0 bitop3:0x14
	v_xor_b32_e32 v4, v4, v0
	s_delay_alu instid0(VALU_DEP_1)
	v_sub_nc_u64_e32 v[0:1], v[4:5], v[0:1]
.LBB94_1414:
	s_mov_b32 s1, 0
.LBB94_1415:
	s_delay_alu instid0(SALU_CYCLE_1)
	s_and_not1_b32 vcc_lo, exec_lo, s1
	s_cbranch_vccnz .LBB94_1417
; %bb.1416:
	s_wait_loadcnt 0x0
	global_load_u16 v0, v[2:3], off
	s_wait_loadcnt 0x0
	v_cvt_f32_f16_e32 v0, v0
	s_delay_alu instid0(VALU_DEP_1) | instskip(NEXT) | instid1(VALU_DEP_1)
	v_cvt_i32_f32_e32 v0, v0
	v_ashrrev_i32_e32 v1, 31, v0
.LBB94_1417:
	s_mov_b32 s1, 0
.LBB94_1418:
	s_delay_alu instid0(SALU_CYCLE_1)
	s_and_not1_b32 vcc_lo, exec_lo, s1
	s_cbranch_vccnz .LBB94_1438
; %bb.1419:
	s_cmp_lt_i32 s0, 2
	s_cbranch_scc1 .LBB94_1423
; %bb.1420:
	s_cmp_lt_i32 s0, 3
	s_cbranch_scc1 .LBB94_1424
; %bb.1421:
	s_cmp_gt_i32 s0, 3
	s_cbranch_scc0 .LBB94_1425
; %bb.1422:
	s_wait_loadcnt 0x0
	global_load_b64 v[0:1], v[2:3], off
	s_mov_b32 s1, 0
	s_branch .LBB94_1426
.LBB94_1423:
	s_mov_b32 s1, -1
                                        ; implicit-def: $vgpr0_vgpr1
	s_branch .LBB94_1432
.LBB94_1424:
	s_mov_b32 s1, -1
                                        ; implicit-def: $vgpr0_vgpr1
	s_branch .LBB94_1429
.LBB94_1425:
	s_mov_b32 s1, -1
                                        ; implicit-def: $vgpr0_vgpr1
.LBB94_1426:
	s_delay_alu instid0(SALU_CYCLE_1)
	s_and_not1_b32 vcc_lo, exec_lo, s1
	s_cbranch_vccnz .LBB94_1428
; %bb.1427:
	s_wait_loadcnt 0x0
	global_load_b32 v0, v[2:3], off
	s_wait_loadcnt 0x0
	v_ashrrev_i32_e32 v1, 31, v0
.LBB94_1428:
	s_mov_b32 s1, 0
.LBB94_1429:
	s_delay_alu instid0(SALU_CYCLE_1)
	s_and_not1_b32 vcc_lo, exec_lo, s1
	s_cbranch_vccnz .LBB94_1431
; %bb.1430:
	s_wait_loadcnt 0x0
	global_load_u16 v0, v[2:3], off
	s_wait_loadcnt 0x0
	v_bfe_i32 v0, v0, 0, 16
	s_delay_alu instid0(VALU_DEP_1)
	v_ashrrev_i32_e32 v1, 31, v0
.LBB94_1431:
	s_mov_b32 s1, 0
.LBB94_1432:
	s_delay_alu instid0(SALU_CYCLE_1)
	s_and_not1_b32 vcc_lo, exec_lo, s1
	s_cbranch_vccnz .LBB94_1438
; %bb.1433:
	s_cmp_gt_i32 s0, 0
	s_mov_b32 s0, 0
	s_cbranch_scc0 .LBB94_1435
; %bb.1434:
	s_wait_loadcnt 0x0
	global_load_i8 v0, v[2:3], off
	s_wait_loadcnt 0x0
	v_bfe_i32 v0, v0, 0, 16
	s_delay_alu instid0(VALU_DEP_1)
	v_ashrrev_i32_e32 v1, 31, v0
	s_branch .LBB94_1436
.LBB94_1435:
	s_mov_b32 s0, -1
                                        ; implicit-def: $vgpr0_vgpr1
.LBB94_1436:
	s_delay_alu instid0(SALU_CYCLE_1)
	s_and_not1_b32 vcc_lo, exec_lo, s0
	s_cbranch_vccnz .LBB94_1438
; %bb.1437:
	s_wait_loadcnt 0x0
	global_load_u8 v0, v[2:3], off
	s_mov_b32 s0, 0
	s_delay_alu instid0(SALU_CYCLE_1)
	v_mov_b32_e32 v1, s0
	s_wait_loadcnt 0x0
	v_and_b32_e32 v0, 0xffff, v0
.LBB94_1438:
	s_mov_b32 s31, -1
.LBB94_1439:
	s_delay_alu instid0(SALU_CYCLE_1)
	s_and_not1_b32 vcc_lo, exec_lo, s31
	s_cbranch_vccnz .LBB94_1447
; %bb.1440:
	s_wait_xcnt 0x0
	v_mul_lo_u32 v2, s25, v26
	s_and_b32 s0, s55, 0xff
	s_delay_alu instid0(SALU_CYCLE_1) | instskip(NEXT) | instid1(VALU_DEP_1)
	s_cmp_lt_i32 s0, 11
	v_ashrrev_i32_e32 v3, 31, v2
	s_delay_alu instid0(VALU_DEP_1)
	v_add_nc_u64_e32 v[4:5], s[14:15], v[2:3]
	s_cbranch_scc1 .LBB94_1448
; %bb.1441:
	s_and_b32 s1, 0xffff, s0
	s_delay_alu instid0(SALU_CYCLE_1)
	s_cmp_gt_i32 s1, 25
	s_cbranch_scc0 .LBB94_1449
; %bb.1442:
	s_cmp_gt_i32 s1, 28
	s_cbranch_scc0 .LBB94_1450
; %bb.1443:
	s_cmp_gt_i32 s1, 43
	s_cbranch_scc0 .LBB94_1451
; %bb.1444:
	s_cmp_gt_i32 s1, 45
	s_cbranch_scc0 .LBB94_1452
; %bb.1445:
	s_cmp_eq_u32 s1, 46
	s_mov_b32 s38, 0
	s_cbranch_scc0 .LBB94_1454
; %bb.1446:
	global_load_b32 v2, v[4:5], off
	s_mov_b32 s31, -1
	s_mov_b32 s82, 0
	s_wait_loadcnt 0x0
	v_lshlrev_b32_e32 v2, 16, v2
	s_delay_alu instid0(VALU_DEP_1) | instskip(NEXT) | instid1(VALU_DEP_1)
	v_trunc_f32_e32 v2, v2
	v_mul_f32_e64 v3, 0x2f800000, |v2|
	s_delay_alu instid0(VALU_DEP_1) | instskip(NEXT) | instid1(VALU_DEP_1)
	v_floor_f32_e32 v3, v3
	v_fma_f32 v6, 0xcf800000, v3, |v2|
	v_ashrrev_i32_e32 v2, 31, v2
	v_cvt_u32_f32_e32 v7, v3
	s_delay_alu instid0(VALU_DEP_3) | instskip(NEXT) | instid1(VALU_DEP_2)
	v_cvt_u32_f32_e32 v6, v6
	v_dual_mov_b32 v3, v2 :: v_dual_bitop2_b32 v7, v7, v2 bitop3:0x14
	s_delay_alu instid0(VALU_DEP_2) | instskip(NEXT) | instid1(VALU_DEP_1)
	v_xor_b32_e32 v6, v6, v2
	v_sub_nc_u64_e32 v[2:3], v[6:7], v[2:3]
	s_branch .LBB94_1456
.LBB94_1447:
	s_mov_b32 s0, 0
	s_mov_b32 s1, s76
	;; [unrolled: 1-line block ×10, first 2 shown]
	s_branch .LBB94_2045
.LBB94_1448:
	s_mov_b32 s1, -1
	s_mov_b32 s31, 0
	s_mov_b32 s82, s71
                                        ; implicit-def: $vgpr2_vgpr3
	s_branch .LBB94_1517
.LBB94_1449:
	s_mov_b32 s38, -1
	s_mov_b32 s31, 0
	s_mov_b32 s82, s71
                                        ; implicit-def: $vgpr2_vgpr3
	s_branch .LBB94_1483
.LBB94_1450:
	s_mov_b32 s38, -1
	s_mov_b32 s31, 0
	s_mov_b32 s82, s71
                                        ; implicit-def: $vgpr2_vgpr3
	s_branch .LBB94_1466
.LBB94_1451:
	s_mov_b32 s38, -1
	s_mov_b32 s31, 0
	s_mov_b32 s82, s71
                                        ; implicit-def: $vgpr2_vgpr3
	s_branch .LBB94_1461
.LBB94_1452:
	s_mov_b32 s38, -1
	s_mov_b32 s31, 0
	s_mov_b32 s82, s71
	s_branch .LBB94_1455
.LBB94_1453:
	s_mov_b32 s39, -1
	s_mov_b32 s40, 0
	s_mov_b32 s31, s56
	s_branch .LBB94_3547
.LBB94_1454:
	s_mov_b32 s31, 0
.LBB94_1455:
                                        ; implicit-def: $vgpr2_vgpr3
.LBB94_1456:
	s_and_b32 vcc_lo, exec_lo, s38
	s_cbranch_vccz .LBB94_1460
; %bb.1457:
	s_cmp_eq_u32 s1, 44
	s_cbranch_scc0 .LBB94_1459
; %bb.1458:
	global_load_u8 v8, v[4:5], off
	s_mov_b32 s82, 0
	s_mov_b32 s31, -1
	s_wait_loadcnt 0x0
	v_cmp_ne_u32_e32 vcc_lo, 0, v8
	v_lshlrev_b32_e32 v2, 23, v8
	s_delay_alu instid0(VALU_DEP_1) | instskip(NEXT) | instid1(VALU_DEP_1)
	v_trunc_f32_e32 v2, v2
	v_mul_f32_e64 v3, 0x2f800000, |v2|
	s_delay_alu instid0(VALU_DEP_1) | instskip(NEXT) | instid1(VALU_DEP_1)
	v_floor_f32_e32 v3, v3
	v_fma_f32 v6, 0xcf800000, v3, |v2|
	v_ashrrev_i32_e32 v2, 31, v2
	v_cvt_u32_f32_e32 v7, v3
	s_delay_alu instid0(VALU_DEP_3) | instskip(NEXT) | instid1(VALU_DEP_2)
	v_cvt_u32_f32_e32 v6, v6
	v_dual_mov_b32 v3, v2 :: v_dual_bitop2_b32 v7, v7, v2 bitop3:0x14
	s_delay_alu instid0(VALU_DEP_2) | instskip(NEXT) | instid1(VALU_DEP_1)
	v_xor_b32_e32 v6, v6, v2
	v_sub_nc_u64_e32 v[2:3], v[6:7], v[2:3]
	s_delay_alu instid0(VALU_DEP_1)
	v_dual_cndmask_b32 v3, 0, v3 :: v_dual_cndmask_b32 v2, 0, v2
	s_branch .LBB94_1460
.LBB94_1459:
	s_mov_b32 s82, -1
                                        ; implicit-def: $vgpr2_vgpr3
.LBB94_1460:
	s_mov_b32 s38, 0
.LBB94_1461:
	s_delay_alu instid0(SALU_CYCLE_1)
	s_and_b32 vcc_lo, exec_lo, s38
	s_cbranch_vccz .LBB94_1465
; %bb.1462:
	s_cmp_eq_u32 s1, 29
	s_cbranch_scc0 .LBB94_1464
; %bb.1463:
	global_load_b64 v[2:3], v[4:5], off
	s_mov_b32 s31, -1
	s_mov_b32 s82, 0
	s_branch .LBB94_1465
.LBB94_1464:
	s_mov_b32 s82, -1
                                        ; implicit-def: $vgpr2_vgpr3
.LBB94_1465:
	s_mov_b32 s38, 0
.LBB94_1466:
	s_delay_alu instid0(SALU_CYCLE_1)
	s_and_b32 vcc_lo, exec_lo, s38
	s_cbranch_vccz .LBB94_1482
; %bb.1467:
	s_cmp_lt_i32 s1, 27
	s_cbranch_scc1 .LBB94_1470
; %bb.1468:
	s_cmp_gt_i32 s1, 27
	s_cbranch_scc0 .LBB94_1471
; %bb.1469:
	s_wait_loadcnt 0x0
	global_load_b32 v2, v[4:5], off
	v_mov_b32_e32 v3, 0
	s_mov_b32 s31, 0
	s_branch .LBB94_1472
.LBB94_1470:
	s_mov_b32 s31, -1
                                        ; implicit-def: $vgpr2_vgpr3
	s_branch .LBB94_1475
.LBB94_1471:
	s_mov_b32 s31, -1
                                        ; implicit-def: $vgpr2_vgpr3
.LBB94_1472:
	s_delay_alu instid0(SALU_CYCLE_1)
	s_and_not1_b32 vcc_lo, exec_lo, s31
	s_cbranch_vccnz .LBB94_1474
; %bb.1473:
	s_wait_loadcnt 0x0
	global_load_u16 v2, v[4:5], off
	s_mov_b32 s31, 0
	s_delay_alu instid0(SALU_CYCLE_1)
	v_mov_b32_e32 v3, s31
	s_wait_loadcnt 0x0
	v_and_b32_e32 v2, 0xffff, v2
.LBB94_1474:
	s_mov_b32 s31, 0
.LBB94_1475:
	s_delay_alu instid0(SALU_CYCLE_1)
	s_and_not1_b32 vcc_lo, exec_lo, s31
	s_cbranch_vccnz .LBB94_1481
; %bb.1476:
	global_load_u8 v6, v[4:5], off
	s_mov_b32 s38, 0
	s_mov_b32 s31, exec_lo
	s_wait_loadcnt 0x0
	v_cmpx_lt_i16_e32 0x7f, v6
	s_xor_b32 s31, exec_lo, s31
	s_cbranch_execz .LBB94_1493
; %bb.1477:
	v_cmp_ne_u16_e32 vcc_lo, 0x80, v6
	s_and_b32 s38, vcc_lo, exec_lo
	s_and_not1_saveexec_b32 s31, s31
	s_cbranch_execnz .LBB94_1494
.LBB94_1478:
	s_or_b32 exec_lo, exec_lo, s31
	v_mov_b64_e32 v[2:3], 0
	s_and_saveexec_b32 s31, s38
	s_cbranch_execz .LBB94_1480
.LBB94_1479:
	v_and_b32_e32 v2, 0xffff, v6
	s_delay_alu instid0(VALU_DEP_1) | instskip(SKIP_1) | instid1(VALU_DEP_2)
	v_and_b32_e32 v3, 7, v2
	v_bfe_u32 v9, v2, 3, 4
	v_clz_i32_u32_e32 v7, v3
	s_delay_alu instid0(VALU_DEP_2) | instskip(NEXT) | instid1(VALU_DEP_2)
	v_cmp_eq_u32_e32 vcc_lo, 0, v9
	v_min_u32_e32 v7, 32, v7
	s_delay_alu instid0(VALU_DEP_1) | instskip(NEXT) | instid1(VALU_DEP_1)
	v_subrev_nc_u32_e32 v8, 28, v7
	v_dual_lshlrev_b32 v2, v8, v2 :: v_dual_sub_nc_u32 v7, 29, v7
	s_delay_alu instid0(VALU_DEP_1) | instskip(NEXT) | instid1(VALU_DEP_2)
	v_and_b32_e32 v2, 7, v2
	v_dual_cndmask_b32 v7, v9, v7 :: v_dual_lshlrev_b32 v6, 24, v6
	s_delay_alu instid0(VALU_DEP_2) | instskip(NEXT) | instid1(VALU_DEP_2)
	v_cndmask_b32_e32 v2, v3, v2, vcc_lo
	v_and_b32_e32 v3, 0x80000000, v6
	s_delay_alu instid0(VALU_DEP_3) | instskip(NEXT) | instid1(VALU_DEP_3)
	v_lshl_add_u32 v6, v7, 23, 0x3b800000
	v_lshlrev_b32_e32 v2, 20, v2
	s_delay_alu instid0(VALU_DEP_1) | instskip(NEXT) | instid1(VALU_DEP_1)
	v_or3_b32 v2, v3, v6, v2
	v_trunc_f32_e32 v2, v2
	s_delay_alu instid0(VALU_DEP_1) | instskip(NEXT) | instid1(VALU_DEP_1)
	v_mul_f32_e64 v3, 0x2f800000, |v2|
	v_floor_f32_e32 v3, v3
	s_delay_alu instid0(VALU_DEP_1) | instskip(SKIP_2) | instid1(VALU_DEP_3)
	v_fma_f32 v6, 0xcf800000, v3, |v2|
	v_ashrrev_i32_e32 v2, 31, v2
	v_cvt_u32_f32_e32 v7, v3
	v_cvt_u32_f32_e32 v6, v6
	s_delay_alu instid0(VALU_DEP_2) | instskip(NEXT) | instid1(VALU_DEP_2)
	v_dual_mov_b32 v3, v2 :: v_dual_bitop2_b32 v7, v7, v2 bitop3:0x14
	v_xor_b32_e32 v6, v6, v2
	s_delay_alu instid0(VALU_DEP_1)
	v_sub_nc_u64_e32 v[2:3], v[6:7], v[2:3]
.LBB94_1480:
	s_or_b32 exec_lo, exec_lo, s31
.LBB94_1481:
	s_mov_b32 s31, -1
.LBB94_1482:
	s_mov_b32 s38, 0
.LBB94_1483:
	s_delay_alu instid0(SALU_CYCLE_1)
	s_and_b32 vcc_lo, exec_lo, s38
	s_cbranch_vccz .LBB94_1516
; %bb.1484:
	s_cmp_gt_i32 s1, 22
	s_cbranch_scc0 .LBB94_1492
; %bb.1485:
	s_cmp_lt_i32 s1, 24
	s_cbranch_scc1 .LBB94_1495
; %bb.1486:
	s_cmp_gt_i32 s1, 24
	s_cbranch_scc0 .LBB94_1496
; %bb.1487:
	global_load_u8 v6, v[4:5], off
	s_mov_b32 s38, 0
	s_mov_b32 s31, exec_lo
	s_wait_loadcnt 0x0
	v_cmpx_lt_i16_e32 0x7f, v6
	s_xor_b32 s31, exec_lo, s31
	s_cbranch_execz .LBB94_1508
; %bb.1488:
	v_cmp_ne_u16_e32 vcc_lo, 0x80, v6
	s_and_b32 s38, vcc_lo, exec_lo
	s_and_not1_saveexec_b32 s31, s31
	s_cbranch_execnz .LBB94_1509
.LBB94_1489:
	s_or_b32 exec_lo, exec_lo, s31
	v_mov_b64_e32 v[2:3], 0
	s_and_saveexec_b32 s31, s38
	s_cbranch_execz .LBB94_1491
.LBB94_1490:
	v_and_b32_e32 v2, 0xffff, v6
	s_delay_alu instid0(VALU_DEP_1) | instskip(SKIP_1) | instid1(VALU_DEP_2)
	v_and_b32_e32 v3, 3, v2
	v_bfe_u32 v9, v2, 2, 5
	v_clz_i32_u32_e32 v7, v3
	s_delay_alu instid0(VALU_DEP_2) | instskip(NEXT) | instid1(VALU_DEP_2)
	v_cmp_eq_u32_e32 vcc_lo, 0, v9
	v_min_u32_e32 v7, 32, v7
	s_delay_alu instid0(VALU_DEP_1) | instskip(NEXT) | instid1(VALU_DEP_1)
	v_subrev_nc_u32_e32 v8, 29, v7
	v_dual_lshlrev_b32 v2, v8, v2 :: v_dual_sub_nc_u32 v7, 30, v7
	s_delay_alu instid0(VALU_DEP_1) | instskip(NEXT) | instid1(VALU_DEP_2)
	v_and_b32_e32 v2, 3, v2
	v_dual_cndmask_b32 v7, v9, v7 :: v_dual_lshlrev_b32 v6, 24, v6
	s_delay_alu instid0(VALU_DEP_2) | instskip(NEXT) | instid1(VALU_DEP_2)
	v_cndmask_b32_e32 v2, v3, v2, vcc_lo
	v_and_b32_e32 v3, 0x80000000, v6
	s_delay_alu instid0(VALU_DEP_3) | instskip(NEXT) | instid1(VALU_DEP_3)
	v_lshl_add_u32 v6, v7, 23, 0x37800000
	v_lshlrev_b32_e32 v2, 21, v2
	s_delay_alu instid0(VALU_DEP_1) | instskip(NEXT) | instid1(VALU_DEP_1)
	v_or3_b32 v2, v3, v6, v2
	v_trunc_f32_e32 v2, v2
	s_delay_alu instid0(VALU_DEP_1) | instskip(NEXT) | instid1(VALU_DEP_1)
	v_mul_f32_e64 v3, 0x2f800000, |v2|
	v_floor_f32_e32 v3, v3
	s_delay_alu instid0(VALU_DEP_1) | instskip(SKIP_2) | instid1(VALU_DEP_3)
	v_fma_f32 v6, 0xcf800000, v3, |v2|
	v_ashrrev_i32_e32 v2, 31, v2
	v_cvt_u32_f32_e32 v7, v3
	v_cvt_u32_f32_e32 v6, v6
	s_delay_alu instid0(VALU_DEP_2) | instskip(NEXT) | instid1(VALU_DEP_2)
	v_dual_mov_b32 v3, v2 :: v_dual_bitop2_b32 v7, v7, v2 bitop3:0x14
	v_xor_b32_e32 v6, v6, v2
	s_delay_alu instid0(VALU_DEP_1)
	v_sub_nc_u64_e32 v[2:3], v[6:7], v[2:3]
.LBB94_1491:
	s_or_b32 exec_lo, exec_lo, s31
	s_mov_b32 s31, 0
	s_branch .LBB94_1497
.LBB94_1492:
	s_mov_b32 s38, -1
                                        ; implicit-def: $vgpr2_vgpr3
	s_branch .LBB94_1503
.LBB94_1493:
	s_and_not1_saveexec_b32 s31, s31
	s_cbranch_execz .LBB94_1478
.LBB94_1494:
	v_cmp_ne_u16_e32 vcc_lo, 0, v6
	s_and_not1_b32 s38, s38, exec_lo
	s_and_b32 s39, vcc_lo, exec_lo
	s_delay_alu instid0(SALU_CYCLE_1)
	s_or_b32 s38, s38, s39
	s_or_b32 exec_lo, exec_lo, s31
	v_mov_b64_e32 v[2:3], 0
	s_and_saveexec_b32 s31, s38
	s_cbranch_execnz .LBB94_1479
	s_branch .LBB94_1480
.LBB94_1495:
	s_mov_b32 s31, -1
                                        ; implicit-def: $vgpr2_vgpr3
	s_branch .LBB94_1500
.LBB94_1496:
	s_mov_b32 s31, -1
                                        ; implicit-def: $vgpr2_vgpr3
.LBB94_1497:
	s_delay_alu instid0(SALU_CYCLE_1)
	s_and_b32 vcc_lo, exec_lo, s31
	s_cbranch_vccz .LBB94_1499
; %bb.1498:
	s_wait_loadcnt 0x0
	global_load_u8 v2, v[4:5], off
	s_wait_loadcnt 0x0
	v_lshlrev_b32_e32 v2, 24, v2
	s_delay_alu instid0(VALU_DEP_1) | instskip(NEXT) | instid1(VALU_DEP_1)
	v_and_b32_e32 v3, 0x7f000000, v2
	v_clz_i32_u32_e32 v6, v3
	v_cmp_ne_u32_e32 vcc_lo, 0, v3
	v_add_nc_u32_e32 v8, 0x1000000, v3
	s_delay_alu instid0(VALU_DEP_3) | instskip(NEXT) | instid1(VALU_DEP_1)
	v_min_u32_e32 v6, 32, v6
	v_sub_nc_u32_e64 v6, v6, 4 clamp
	s_delay_alu instid0(VALU_DEP_1) | instskip(NEXT) | instid1(VALU_DEP_1)
	v_dual_lshlrev_b32 v7, v6, v3 :: v_dual_lshlrev_b32 v6, 23, v6
	v_lshrrev_b32_e32 v7, 4, v7
	s_delay_alu instid0(VALU_DEP_1) | instskip(NEXT) | instid1(VALU_DEP_1)
	v_dual_sub_nc_u32 v6, v7, v6 :: v_dual_ashrrev_i32 v7, 8, v8
	v_add_nc_u32_e32 v6, 0x3c000000, v6
	s_delay_alu instid0(VALU_DEP_1) | instskip(NEXT) | instid1(VALU_DEP_1)
	v_and_or_b32 v6, 0x7f800000, v7, v6
	v_cndmask_b32_e32 v3, 0, v6, vcc_lo
	s_delay_alu instid0(VALU_DEP_1) | instskip(NEXT) | instid1(VALU_DEP_1)
	v_and_or_b32 v2, 0x80000000, v2, v3
	v_trunc_f32_e32 v2, v2
	s_delay_alu instid0(VALU_DEP_1) | instskip(NEXT) | instid1(VALU_DEP_1)
	v_mul_f32_e64 v3, 0x2f800000, |v2|
	v_floor_f32_e32 v3, v3
	s_delay_alu instid0(VALU_DEP_1) | instskip(SKIP_2) | instid1(VALU_DEP_3)
	v_fma_f32 v6, 0xcf800000, v3, |v2|
	v_ashrrev_i32_e32 v2, 31, v2
	v_cvt_u32_f32_e32 v7, v3
	v_cvt_u32_f32_e32 v6, v6
	s_delay_alu instid0(VALU_DEP_2) | instskip(NEXT) | instid1(VALU_DEP_2)
	v_dual_mov_b32 v3, v2 :: v_dual_bitop2_b32 v7, v7, v2 bitop3:0x14
	v_xor_b32_e32 v6, v6, v2
	s_delay_alu instid0(VALU_DEP_1)
	v_sub_nc_u64_e32 v[2:3], v[6:7], v[2:3]
.LBB94_1499:
	s_mov_b32 s31, 0
.LBB94_1500:
	s_delay_alu instid0(SALU_CYCLE_1)
	s_and_not1_b32 vcc_lo, exec_lo, s31
	s_cbranch_vccnz .LBB94_1502
; %bb.1501:
	s_wait_loadcnt 0x0
	global_load_u8 v2, v[4:5], off
	s_wait_loadcnt 0x0
	v_lshlrev_b32_e32 v3, 25, v2
	v_lshlrev_b16 v2, 8, v2
	s_delay_alu instid0(VALU_DEP_1) | instskip(SKIP_1) | instid1(VALU_DEP_2)
	v_and_or_b32 v7, 0x7f00, v2, 0.5
	v_bfe_i32 v2, v2, 0, 16
	v_add_f32_e32 v7, -0.5, v7
	v_lshrrev_b32_e32 v6, 4, v3
	v_cmp_gt_u32_e32 vcc_lo, 0x8000000, v3
	s_delay_alu instid0(VALU_DEP_2) | instskip(NEXT) | instid1(VALU_DEP_1)
	v_or_b32_e32 v6, 0x70000000, v6
	v_mul_f32_e32 v6, 0x7800000, v6
	s_delay_alu instid0(VALU_DEP_1) | instskip(NEXT) | instid1(VALU_DEP_1)
	v_cndmask_b32_e32 v3, v6, v7, vcc_lo
	v_and_or_b32 v2, 0x80000000, v2, v3
	s_delay_alu instid0(VALU_DEP_1) | instskip(NEXT) | instid1(VALU_DEP_1)
	v_trunc_f32_e32 v2, v2
	v_mul_f32_e64 v3, 0x2f800000, |v2|
	s_delay_alu instid0(VALU_DEP_1) | instskip(NEXT) | instid1(VALU_DEP_1)
	v_floor_f32_e32 v3, v3
	v_fma_f32 v6, 0xcf800000, v3, |v2|
	v_ashrrev_i32_e32 v2, 31, v2
	v_cvt_u32_f32_e32 v7, v3
	s_delay_alu instid0(VALU_DEP_3) | instskip(NEXT) | instid1(VALU_DEP_2)
	v_cvt_u32_f32_e32 v6, v6
	v_dual_mov_b32 v3, v2 :: v_dual_bitop2_b32 v7, v7, v2 bitop3:0x14
	s_delay_alu instid0(VALU_DEP_2) | instskip(NEXT) | instid1(VALU_DEP_1)
	v_xor_b32_e32 v6, v6, v2
	v_sub_nc_u64_e32 v[2:3], v[6:7], v[2:3]
.LBB94_1502:
	s_mov_b32 s38, 0
	s_mov_b32 s31, -1
.LBB94_1503:
	s_and_not1_b32 vcc_lo, exec_lo, s38
	s_cbranch_vccnz .LBB94_1516
; %bb.1504:
	s_cmp_gt_i32 s1, 14
	s_cbranch_scc0 .LBB94_1507
; %bb.1505:
	s_cmp_eq_u32 s1, 15
	s_cbranch_scc0 .LBB94_1510
; %bb.1506:
	s_wait_loadcnt 0x0
	global_load_u16 v2, v[4:5], off
	s_mov_b32 s31, -1
	s_mov_b32 s82, 0
	s_wait_loadcnt 0x0
	v_lshlrev_b32_e32 v2, 16, v2
	s_delay_alu instid0(VALU_DEP_1) | instskip(NEXT) | instid1(VALU_DEP_1)
	v_trunc_f32_e32 v2, v2
	v_mul_f32_e64 v3, 0x2f800000, |v2|
	s_delay_alu instid0(VALU_DEP_1) | instskip(NEXT) | instid1(VALU_DEP_1)
	v_floor_f32_e32 v3, v3
	v_fma_f32 v6, 0xcf800000, v3, |v2|
	v_ashrrev_i32_e32 v2, 31, v2
	v_cvt_u32_f32_e32 v7, v3
	s_delay_alu instid0(VALU_DEP_3) | instskip(NEXT) | instid1(VALU_DEP_2)
	v_cvt_u32_f32_e32 v6, v6
	v_dual_mov_b32 v3, v2 :: v_dual_bitop2_b32 v7, v7, v2 bitop3:0x14
	s_delay_alu instid0(VALU_DEP_2) | instskip(NEXT) | instid1(VALU_DEP_1)
	v_xor_b32_e32 v6, v6, v2
	v_sub_nc_u64_e32 v[2:3], v[6:7], v[2:3]
	s_branch .LBB94_1511
.LBB94_1507:
	s_mov_b32 s38, -1
                                        ; implicit-def: $vgpr2_vgpr3
	s_branch .LBB94_1512
.LBB94_1508:
	s_and_not1_saveexec_b32 s31, s31
	s_cbranch_execz .LBB94_1489
.LBB94_1509:
	v_cmp_ne_u16_e32 vcc_lo, 0, v6
	s_and_not1_b32 s38, s38, exec_lo
	s_and_b32 s39, vcc_lo, exec_lo
	s_delay_alu instid0(SALU_CYCLE_1)
	s_or_b32 s38, s38, s39
	s_or_b32 exec_lo, exec_lo, s31
	v_mov_b64_e32 v[2:3], 0
	s_and_saveexec_b32 s31, s38
	s_cbranch_execnz .LBB94_1490
	s_branch .LBB94_1491
.LBB94_1510:
	s_mov_b32 s82, -1
                                        ; implicit-def: $vgpr2_vgpr3
.LBB94_1511:
	s_mov_b32 s38, 0
.LBB94_1512:
	s_delay_alu instid0(SALU_CYCLE_1)
	s_and_b32 vcc_lo, exec_lo, s38
	s_cbranch_vccz .LBB94_1516
; %bb.1513:
	s_cmp_eq_u32 s1, 11
	s_cbranch_scc0 .LBB94_1515
; %bb.1514:
	s_wait_loadcnt 0x0
	global_load_u8 v2, v[4:5], off
	s_mov_b32 s82, 0
	s_mov_b32 s31, -1
	v_mov_b32_e32 v3, s82
	s_wait_loadcnt 0x0
	v_cmp_ne_u16_e32 vcc_lo, 0, v2
	v_cndmask_b32_e64 v2, 0, 1, vcc_lo
	s_branch .LBB94_1516
.LBB94_1515:
	s_mov_b32 s82, -1
                                        ; implicit-def: $vgpr2_vgpr3
.LBB94_1516:
	s_mov_b32 s1, 0
.LBB94_1517:
	s_delay_alu instid0(SALU_CYCLE_1)
	s_and_b32 vcc_lo, exec_lo, s1
	s_cbranch_vccz .LBB94_1566
; %bb.1518:
	s_and_b32 s0, 0xffff, s0
	s_delay_alu instid0(SALU_CYCLE_1)
	s_cmp_lt_i32 s0, 5
	s_cbranch_scc1 .LBB94_1523
; %bb.1519:
	s_cmp_lt_i32 s0, 8
	s_cbranch_scc1 .LBB94_1524
; %bb.1520:
	;; [unrolled: 3-line block ×3, first 2 shown]
	s_cmp_gt_i32 s0, 9
	s_cbranch_scc0 .LBB94_1526
; %bb.1522:
	s_wait_loadcnt 0x0
	global_load_b64 v[2:3], v[4:5], off
	s_mov_b32 s1, 0
	s_wait_loadcnt 0x0
	v_trunc_f64_e32 v[2:3], v[2:3]
	s_delay_alu instid0(VALU_DEP_1) | instskip(NEXT) | instid1(VALU_DEP_1)
	v_ldexp_f64 v[6:7], v[2:3], 0xffffffe0
	v_floor_f64_e32 v[6:7], v[6:7]
	s_delay_alu instid0(VALU_DEP_1) | instskip(SKIP_1) | instid1(VALU_DEP_2)
	v_fmamk_f64 v[8:9], v[6:7], 0xc1f00000, v[2:3]
	v_cvt_i32_f64_e32 v3, v[6:7]
	v_cvt_u32_f64_e32 v2, v[8:9]
	s_branch .LBB94_1527
.LBB94_1523:
	s_mov_b32 s1, -1
                                        ; implicit-def: $vgpr2_vgpr3
	s_branch .LBB94_1545
.LBB94_1524:
	s_mov_b32 s1, -1
                                        ; implicit-def: $vgpr2_vgpr3
	s_branch .LBB94_1533
.LBB94_1525:
	s_mov_b32 s1, -1
                                        ; implicit-def: $vgpr2_vgpr3
	s_branch .LBB94_1530
.LBB94_1526:
	s_mov_b32 s1, -1
                                        ; implicit-def: $vgpr2_vgpr3
.LBB94_1527:
	s_delay_alu instid0(SALU_CYCLE_1)
	s_and_not1_b32 vcc_lo, exec_lo, s1
	s_cbranch_vccnz .LBB94_1529
; %bb.1528:
	s_wait_loadcnt 0x0
	global_load_b32 v2, v[4:5], off
	s_wait_loadcnt 0x0
	v_trunc_f32_e32 v2, v2
	s_delay_alu instid0(VALU_DEP_1) | instskip(NEXT) | instid1(VALU_DEP_1)
	v_mul_f32_e64 v3, 0x2f800000, |v2|
	v_floor_f32_e32 v3, v3
	s_delay_alu instid0(VALU_DEP_1) | instskip(SKIP_2) | instid1(VALU_DEP_3)
	v_fma_f32 v6, 0xcf800000, v3, |v2|
	v_ashrrev_i32_e32 v2, 31, v2
	v_cvt_u32_f32_e32 v7, v3
	v_cvt_u32_f32_e32 v6, v6
	s_delay_alu instid0(VALU_DEP_2) | instskip(NEXT) | instid1(VALU_DEP_2)
	v_dual_mov_b32 v3, v2 :: v_dual_bitop2_b32 v7, v7, v2 bitop3:0x14
	v_xor_b32_e32 v6, v6, v2
	s_delay_alu instid0(VALU_DEP_1)
	v_sub_nc_u64_e32 v[2:3], v[6:7], v[2:3]
.LBB94_1529:
	s_mov_b32 s1, 0
.LBB94_1530:
	s_delay_alu instid0(SALU_CYCLE_1)
	s_and_not1_b32 vcc_lo, exec_lo, s1
	s_cbranch_vccnz .LBB94_1532
; %bb.1531:
	s_wait_loadcnt 0x0
	global_load_b32 v2, v[4:5], off
	s_wait_loadcnt 0x0
	v_cvt_f32_f16_e32 v2, v2
	s_delay_alu instid0(VALU_DEP_1) | instskip(NEXT) | instid1(VALU_DEP_1)
	v_cvt_i32_f32_e32 v2, v2
	v_ashrrev_i32_e32 v3, 31, v2
.LBB94_1532:
	s_mov_b32 s1, 0
.LBB94_1533:
	s_delay_alu instid0(SALU_CYCLE_1)
	s_and_not1_b32 vcc_lo, exec_lo, s1
	s_cbranch_vccnz .LBB94_1544
; %bb.1534:
	s_cmp_lt_i32 s0, 6
	s_cbranch_scc1 .LBB94_1537
; %bb.1535:
	s_cmp_gt_i32 s0, 6
	s_cbranch_scc0 .LBB94_1538
; %bb.1536:
	s_wait_loadcnt 0x0
	global_load_b64 v[2:3], v[4:5], off
	s_mov_b32 s1, 0
	s_wait_loadcnt 0x0
	v_trunc_f64_e32 v[2:3], v[2:3]
	s_delay_alu instid0(VALU_DEP_1) | instskip(NEXT) | instid1(VALU_DEP_1)
	v_ldexp_f64 v[6:7], v[2:3], 0xffffffe0
	v_floor_f64_e32 v[6:7], v[6:7]
	s_delay_alu instid0(VALU_DEP_1) | instskip(SKIP_1) | instid1(VALU_DEP_2)
	v_fmamk_f64 v[8:9], v[6:7], 0xc1f00000, v[2:3]
	v_cvt_i32_f64_e32 v3, v[6:7]
	v_cvt_u32_f64_e32 v2, v[8:9]
	s_branch .LBB94_1539
.LBB94_1537:
	s_mov_b32 s1, -1
                                        ; implicit-def: $vgpr2_vgpr3
	s_branch .LBB94_1542
.LBB94_1538:
	s_mov_b32 s1, -1
                                        ; implicit-def: $vgpr2_vgpr3
.LBB94_1539:
	s_delay_alu instid0(SALU_CYCLE_1)
	s_and_not1_b32 vcc_lo, exec_lo, s1
	s_cbranch_vccnz .LBB94_1541
; %bb.1540:
	s_wait_loadcnt 0x0
	global_load_b32 v2, v[4:5], off
	s_wait_loadcnt 0x0
	v_trunc_f32_e32 v2, v2
	s_delay_alu instid0(VALU_DEP_1) | instskip(NEXT) | instid1(VALU_DEP_1)
	v_mul_f32_e64 v3, 0x2f800000, |v2|
	v_floor_f32_e32 v3, v3
	s_delay_alu instid0(VALU_DEP_1) | instskip(SKIP_2) | instid1(VALU_DEP_3)
	v_fma_f32 v6, 0xcf800000, v3, |v2|
	v_ashrrev_i32_e32 v2, 31, v2
	v_cvt_u32_f32_e32 v7, v3
	v_cvt_u32_f32_e32 v6, v6
	s_delay_alu instid0(VALU_DEP_2) | instskip(NEXT) | instid1(VALU_DEP_2)
	v_dual_mov_b32 v3, v2 :: v_dual_bitop2_b32 v7, v7, v2 bitop3:0x14
	v_xor_b32_e32 v6, v6, v2
	s_delay_alu instid0(VALU_DEP_1)
	v_sub_nc_u64_e32 v[2:3], v[6:7], v[2:3]
.LBB94_1541:
	s_mov_b32 s1, 0
.LBB94_1542:
	s_delay_alu instid0(SALU_CYCLE_1)
	s_and_not1_b32 vcc_lo, exec_lo, s1
	s_cbranch_vccnz .LBB94_1544
; %bb.1543:
	s_wait_loadcnt 0x0
	global_load_u16 v2, v[4:5], off
	s_wait_loadcnt 0x0
	v_cvt_f32_f16_e32 v2, v2
	s_delay_alu instid0(VALU_DEP_1) | instskip(NEXT) | instid1(VALU_DEP_1)
	v_cvt_i32_f32_e32 v2, v2
	v_ashrrev_i32_e32 v3, 31, v2
.LBB94_1544:
	s_mov_b32 s1, 0
.LBB94_1545:
	s_delay_alu instid0(SALU_CYCLE_1)
	s_and_not1_b32 vcc_lo, exec_lo, s1
	s_cbranch_vccnz .LBB94_1565
; %bb.1546:
	s_cmp_lt_i32 s0, 2
	s_cbranch_scc1 .LBB94_1550
; %bb.1547:
	s_cmp_lt_i32 s0, 3
	s_cbranch_scc1 .LBB94_1551
; %bb.1548:
	s_cmp_gt_i32 s0, 3
	s_cbranch_scc0 .LBB94_1552
; %bb.1549:
	s_wait_loadcnt 0x0
	global_load_b64 v[2:3], v[4:5], off
	s_mov_b32 s1, 0
	s_branch .LBB94_1553
.LBB94_1550:
	s_mov_b32 s1, -1
                                        ; implicit-def: $vgpr2_vgpr3
	s_branch .LBB94_1559
.LBB94_1551:
	s_mov_b32 s1, -1
                                        ; implicit-def: $vgpr2_vgpr3
	s_branch .LBB94_1556
.LBB94_1552:
	s_mov_b32 s1, -1
                                        ; implicit-def: $vgpr2_vgpr3
.LBB94_1553:
	s_delay_alu instid0(SALU_CYCLE_1)
	s_and_not1_b32 vcc_lo, exec_lo, s1
	s_cbranch_vccnz .LBB94_1555
; %bb.1554:
	s_wait_loadcnt 0x0
	global_load_b32 v2, v[4:5], off
	s_wait_loadcnt 0x0
	v_ashrrev_i32_e32 v3, 31, v2
.LBB94_1555:
	s_mov_b32 s1, 0
.LBB94_1556:
	s_delay_alu instid0(SALU_CYCLE_1)
	s_and_not1_b32 vcc_lo, exec_lo, s1
	s_cbranch_vccnz .LBB94_1558
; %bb.1557:
	s_wait_loadcnt 0x0
	global_load_u16 v2, v[4:5], off
	s_wait_loadcnt 0x0
	v_bfe_i32 v2, v2, 0, 16
	s_delay_alu instid0(VALU_DEP_1)
	v_ashrrev_i32_e32 v3, 31, v2
.LBB94_1558:
	s_mov_b32 s1, 0
.LBB94_1559:
	s_delay_alu instid0(SALU_CYCLE_1)
	s_and_not1_b32 vcc_lo, exec_lo, s1
	s_cbranch_vccnz .LBB94_1565
; %bb.1560:
	s_cmp_gt_i32 s0, 0
	s_mov_b32 s0, 0
	s_cbranch_scc0 .LBB94_1562
; %bb.1561:
	s_wait_loadcnt 0x0
	global_load_i8 v2, v[4:5], off
	s_wait_loadcnt 0x0
	v_bfe_i32 v2, v2, 0, 16
	s_delay_alu instid0(VALU_DEP_1)
	v_ashrrev_i32_e32 v3, 31, v2
	s_branch .LBB94_1563
.LBB94_1562:
	s_mov_b32 s0, -1
                                        ; implicit-def: $vgpr2_vgpr3
.LBB94_1563:
	s_delay_alu instid0(SALU_CYCLE_1)
	s_and_not1_b32 vcc_lo, exec_lo, s0
	s_cbranch_vccnz .LBB94_1565
; %bb.1564:
	s_wait_loadcnt 0x0
	global_load_u8 v2, v[4:5], off
	s_mov_b32 s0, 0
	s_delay_alu instid0(SALU_CYCLE_1)
	v_mov_b32_e32 v3, s0
	s_wait_loadcnt 0x0
	v_and_b32_e32 v2, 0xffff, v2
.LBB94_1565:
	s_mov_b32 s31, -1
.LBB94_1566:
	s_delay_alu instid0(SALU_CYCLE_1)
	s_and_not1_b32 vcc_lo, exec_lo, s31
	s_cbranch_vccnz .LBB94_1574
; %bb.1567:
	s_wait_xcnt 0x0
	v_mul_lo_u32 v4, s26, v26
	s_and_b32 s0, s36, 0xff
	s_delay_alu instid0(SALU_CYCLE_1) | instskip(NEXT) | instid1(VALU_DEP_1)
	s_cmp_lt_i32 s0, 11
	v_ashrrev_i32_e32 v5, 31, v4
	s_delay_alu instid0(VALU_DEP_1)
	v_add_nc_u64_e32 v[6:7], s[16:17], v[4:5]
	s_cbranch_scc1 .LBB94_1575
; %bb.1568:
	s_and_b32 s1, 0xffff, s0
	s_delay_alu instid0(SALU_CYCLE_1)
	s_cmp_gt_i32 s1, 25
	s_cbranch_scc0 .LBB94_1576
; %bb.1569:
	s_cmp_gt_i32 s1, 28
	s_cbranch_scc0 .LBB94_1577
; %bb.1570:
	;; [unrolled: 3-line block ×4, first 2 shown]
	s_cmp_eq_u32 s1, 46
	s_mov_b32 s38, 0
	s_cbranch_scc0 .LBB94_1581
; %bb.1573:
	global_load_b32 v4, v[6:7], off
	s_mov_b32 s31, -1
	s_mov_b32 s83, 0
	s_wait_loadcnt 0x0
	v_lshlrev_b32_e32 v4, 16, v4
	s_delay_alu instid0(VALU_DEP_1) | instskip(NEXT) | instid1(VALU_DEP_1)
	v_trunc_f32_e32 v4, v4
	v_mul_f32_e64 v5, 0x2f800000, |v4|
	s_delay_alu instid0(VALU_DEP_1) | instskip(NEXT) | instid1(VALU_DEP_1)
	v_floor_f32_e32 v5, v5
	v_fma_f32 v8, 0xcf800000, v5, |v4|
	v_ashrrev_i32_e32 v4, 31, v4
	v_cvt_u32_f32_e32 v9, v5
	s_delay_alu instid0(VALU_DEP_3) | instskip(NEXT) | instid1(VALU_DEP_2)
	v_cvt_u32_f32_e32 v8, v8
	v_dual_mov_b32 v5, v4 :: v_dual_bitop2_b32 v9, v9, v4 bitop3:0x14
	s_delay_alu instid0(VALU_DEP_2) | instskip(NEXT) | instid1(VALU_DEP_1)
	v_xor_b32_e32 v8, v8, v4
	v_sub_nc_u64_e32 v[4:5], v[8:9], v[4:5]
	s_branch .LBB94_1583
.LBB94_1574:
	s_mov_b32 s0, 0
	s_mov_b32 s1, s76
	;; [unrolled: 1-line block ×9, first 2 shown]
	s_branch .LBB94_2045
.LBB94_1575:
	s_mov_b32 s1, -1
	s_mov_b32 s31, 0
	s_mov_b32 s83, s70
                                        ; implicit-def: $vgpr4_vgpr5
	s_branch .LBB94_1644
.LBB94_1576:
	s_mov_b32 s38, -1
	s_mov_b32 s31, 0
	s_mov_b32 s83, s70
                                        ; implicit-def: $vgpr4_vgpr5
	s_branch .LBB94_1610
.LBB94_1577:
	s_mov_b32 s38, -1
	s_mov_b32 s31, 0
	s_mov_b32 s83, s70
                                        ; implicit-def: $vgpr4_vgpr5
	s_branch .LBB94_1593
.LBB94_1578:
	s_mov_b32 s38, -1
	s_mov_b32 s31, 0
	s_mov_b32 s83, s70
                                        ; implicit-def: $vgpr4_vgpr5
	s_branch .LBB94_1588
.LBB94_1579:
	s_mov_b32 s38, -1
	s_mov_b32 s31, 0
	s_mov_b32 s83, s70
	s_branch .LBB94_1582
.LBB94_1580:
	s_mov_b32 s41, -1
	s_mov_b32 s40, 0
	s_mov_b32 s31, s56
	s_branch .LBB94_3527
.LBB94_1581:
	s_mov_b32 s83, -1
	s_mov_b32 s31, 0
.LBB94_1582:
                                        ; implicit-def: $vgpr4_vgpr5
.LBB94_1583:
	s_and_b32 vcc_lo, exec_lo, s38
	s_cbranch_vccz .LBB94_1587
; %bb.1584:
	s_cmp_eq_u32 s1, 44
	s_cbranch_scc0 .LBB94_1586
; %bb.1585:
	global_load_u8 v10, v[6:7], off
	s_mov_b32 s83, 0
	s_mov_b32 s31, -1
	s_wait_loadcnt 0x0
	v_cmp_ne_u32_e32 vcc_lo, 0, v10
	v_lshlrev_b32_e32 v4, 23, v10
	s_delay_alu instid0(VALU_DEP_1) | instskip(NEXT) | instid1(VALU_DEP_1)
	v_trunc_f32_e32 v4, v4
	v_mul_f32_e64 v5, 0x2f800000, |v4|
	s_delay_alu instid0(VALU_DEP_1) | instskip(NEXT) | instid1(VALU_DEP_1)
	v_floor_f32_e32 v5, v5
	v_fma_f32 v8, 0xcf800000, v5, |v4|
	v_ashrrev_i32_e32 v4, 31, v4
	v_cvt_u32_f32_e32 v9, v5
	s_delay_alu instid0(VALU_DEP_3) | instskip(NEXT) | instid1(VALU_DEP_2)
	v_cvt_u32_f32_e32 v8, v8
	v_dual_mov_b32 v5, v4 :: v_dual_bitop2_b32 v9, v9, v4 bitop3:0x14
	s_delay_alu instid0(VALU_DEP_2) | instskip(NEXT) | instid1(VALU_DEP_1)
	v_xor_b32_e32 v8, v8, v4
	v_sub_nc_u64_e32 v[4:5], v[8:9], v[4:5]
	s_delay_alu instid0(VALU_DEP_1)
	v_dual_cndmask_b32 v5, 0, v5 :: v_dual_cndmask_b32 v4, 0, v4
	s_branch .LBB94_1587
.LBB94_1586:
	s_mov_b32 s83, -1
                                        ; implicit-def: $vgpr4_vgpr5
.LBB94_1587:
	s_mov_b32 s38, 0
.LBB94_1588:
	s_delay_alu instid0(SALU_CYCLE_1)
	s_and_b32 vcc_lo, exec_lo, s38
	s_cbranch_vccz .LBB94_1592
; %bb.1589:
	s_cmp_eq_u32 s1, 29
	s_cbranch_scc0 .LBB94_1591
; %bb.1590:
	global_load_b64 v[4:5], v[6:7], off
	s_mov_b32 s31, -1
	s_mov_b32 s83, 0
	s_branch .LBB94_1592
.LBB94_1591:
	s_mov_b32 s83, -1
                                        ; implicit-def: $vgpr4_vgpr5
.LBB94_1592:
	s_mov_b32 s38, 0
.LBB94_1593:
	s_delay_alu instid0(SALU_CYCLE_1)
	s_and_b32 vcc_lo, exec_lo, s38
	s_cbranch_vccz .LBB94_1609
; %bb.1594:
	s_cmp_lt_i32 s1, 27
	s_cbranch_scc1 .LBB94_1597
; %bb.1595:
	s_cmp_gt_i32 s1, 27
	s_cbranch_scc0 .LBB94_1598
; %bb.1596:
	s_wait_loadcnt 0x0
	global_load_b32 v4, v[6:7], off
	v_mov_b32_e32 v5, 0
	s_mov_b32 s31, 0
	s_branch .LBB94_1599
.LBB94_1597:
	s_mov_b32 s31, -1
                                        ; implicit-def: $vgpr4_vgpr5
	s_branch .LBB94_1602
.LBB94_1598:
	s_mov_b32 s31, -1
                                        ; implicit-def: $vgpr4_vgpr5
.LBB94_1599:
	s_delay_alu instid0(SALU_CYCLE_1)
	s_and_not1_b32 vcc_lo, exec_lo, s31
	s_cbranch_vccnz .LBB94_1601
; %bb.1600:
	s_wait_loadcnt 0x0
	global_load_u16 v4, v[6:7], off
	s_mov_b32 s31, 0
	s_delay_alu instid0(SALU_CYCLE_1)
	v_mov_b32_e32 v5, s31
	s_wait_loadcnt 0x0
	v_and_b32_e32 v4, 0xffff, v4
.LBB94_1601:
	s_mov_b32 s31, 0
.LBB94_1602:
	s_delay_alu instid0(SALU_CYCLE_1)
	s_and_not1_b32 vcc_lo, exec_lo, s31
	s_cbranch_vccnz .LBB94_1608
; %bb.1603:
	global_load_u8 v8, v[6:7], off
	s_mov_b32 s38, 0
	s_mov_b32 s31, exec_lo
	s_wait_loadcnt 0x0
	v_cmpx_lt_i16_e32 0x7f, v8
	s_xor_b32 s31, exec_lo, s31
	s_cbranch_execz .LBB94_1620
; %bb.1604:
	v_cmp_ne_u16_e32 vcc_lo, 0x80, v8
	s_and_b32 s38, vcc_lo, exec_lo
	s_and_not1_saveexec_b32 s31, s31
	s_cbranch_execnz .LBB94_1621
.LBB94_1605:
	s_or_b32 exec_lo, exec_lo, s31
	v_mov_b64_e32 v[4:5], 0
	s_and_saveexec_b32 s31, s38
	s_cbranch_execz .LBB94_1607
.LBB94_1606:
	v_and_b32_e32 v4, 0xffff, v8
	s_delay_alu instid0(VALU_DEP_1) | instskip(SKIP_1) | instid1(VALU_DEP_2)
	v_and_b32_e32 v5, 7, v4
	v_bfe_u32 v11, v4, 3, 4
	v_clz_i32_u32_e32 v9, v5
	s_delay_alu instid0(VALU_DEP_2) | instskip(NEXT) | instid1(VALU_DEP_2)
	v_cmp_eq_u32_e32 vcc_lo, 0, v11
	v_min_u32_e32 v9, 32, v9
	s_delay_alu instid0(VALU_DEP_1) | instskip(NEXT) | instid1(VALU_DEP_1)
	v_subrev_nc_u32_e32 v10, 28, v9
	v_dual_lshlrev_b32 v4, v10, v4 :: v_dual_sub_nc_u32 v9, 29, v9
	s_delay_alu instid0(VALU_DEP_1) | instskip(NEXT) | instid1(VALU_DEP_2)
	v_and_b32_e32 v4, 7, v4
	v_dual_cndmask_b32 v9, v11, v9 :: v_dual_lshlrev_b32 v8, 24, v8
	s_delay_alu instid0(VALU_DEP_2) | instskip(NEXT) | instid1(VALU_DEP_2)
	v_cndmask_b32_e32 v4, v5, v4, vcc_lo
	v_and_b32_e32 v5, 0x80000000, v8
	s_delay_alu instid0(VALU_DEP_3) | instskip(NEXT) | instid1(VALU_DEP_3)
	v_lshl_add_u32 v8, v9, 23, 0x3b800000
	v_lshlrev_b32_e32 v4, 20, v4
	s_delay_alu instid0(VALU_DEP_1) | instskip(NEXT) | instid1(VALU_DEP_1)
	v_or3_b32 v4, v5, v8, v4
	v_trunc_f32_e32 v4, v4
	s_delay_alu instid0(VALU_DEP_1) | instskip(NEXT) | instid1(VALU_DEP_1)
	v_mul_f32_e64 v5, 0x2f800000, |v4|
	v_floor_f32_e32 v5, v5
	s_delay_alu instid0(VALU_DEP_1) | instskip(SKIP_2) | instid1(VALU_DEP_3)
	v_fma_f32 v8, 0xcf800000, v5, |v4|
	v_ashrrev_i32_e32 v4, 31, v4
	v_cvt_u32_f32_e32 v9, v5
	v_cvt_u32_f32_e32 v8, v8
	s_delay_alu instid0(VALU_DEP_2) | instskip(NEXT) | instid1(VALU_DEP_2)
	v_dual_mov_b32 v5, v4 :: v_dual_bitop2_b32 v9, v9, v4 bitop3:0x14
	v_xor_b32_e32 v8, v8, v4
	s_delay_alu instid0(VALU_DEP_1)
	v_sub_nc_u64_e32 v[4:5], v[8:9], v[4:5]
.LBB94_1607:
	s_or_b32 exec_lo, exec_lo, s31
.LBB94_1608:
	s_mov_b32 s31, -1
.LBB94_1609:
	s_mov_b32 s38, 0
.LBB94_1610:
	s_delay_alu instid0(SALU_CYCLE_1)
	s_and_b32 vcc_lo, exec_lo, s38
	s_cbranch_vccz .LBB94_1643
; %bb.1611:
	s_cmp_gt_i32 s1, 22
	s_cbranch_scc0 .LBB94_1619
; %bb.1612:
	s_cmp_lt_i32 s1, 24
	s_cbranch_scc1 .LBB94_1622
; %bb.1613:
	s_cmp_gt_i32 s1, 24
	s_cbranch_scc0 .LBB94_1623
; %bb.1614:
	global_load_u8 v8, v[6:7], off
	s_mov_b32 s38, 0
	s_mov_b32 s31, exec_lo
	s_wait_loadcnt 0x0
	v_cmpx_lt_i16_e32 0x7f, v8
	s_xor_b32 s31, exec_lo, s31
	s_cbranch_execz .LBB94_1635
; %bb.1615:
	v_cmp_ne_u16_e32 vcc_lo, 0x80, v8
	s_and_b32 s38, vcc_lo, exec_lo
	s_and_not1_saveexec_b32 s31, s31
	s_cbranch_execnz .LBB94_1636
.LBB94_1616:
	s_or_b32 exec_lo, exec_lo, s31
	v_mov_b64_e32 v[4:5], 0
	s_and_saveexec_b32 s31, s38
	s_cbranch_execz .LBB94_1618
.LBB94_1617:
	v_and_b32_e32 v4, 0xffff, v8
	s_delay_alu instid0(VALU_DEP_1) | instskip(SKIP_1) | instid1(VALU_DEP_2)
	v_and_b32_e32 v5, 3, v4
	v_bfe_u32 v11, v4, 2, 5
	v_clz_i32_u32_e32 v9, v5
	s_delay_alu instid0(VALU_DEP_2) | instskip(NEXT) | instid1(VALU_DEP_2)
	v_cmp_eq_u32_e32 vcc_lo, 0, v11
	v_min_u32_e32 v9, 32, v9
	s_delay_alu instid0(VALU_DEP_1) | instskip(NEXT) | instid1(VALU_DEP_1)
	v_subrev_nc_u32_e32 v10, 29, v9
	v_dual_lshlrev_b32 v4, v10, v4 :: v_dual_sub_nc_u32 v9, 30, v9
	s_delay_alu instid0(VALU_DEP_1) | instskip(NEXT) | instid1(VALU_DEP_2)
	v_and_b32_e32 v4, 3, v4
	v_dual_cndmask_b32 v9, v11, v9 :: v_dual_lshlrev_b32 v8, 24, v8
	s_delay_alu instid0(VALU_DEP_2) | instskip(NEXT) | instid1(VALU_DEP_2)
	v_cndmask_b32_e32 v4, v5, v4, vcc_lo
	v_and_b32_e32 v5, 0x80000000, v8
	s_delay_alu instid0(VALU_DEP_3) | instskip(NEXT) | instid1(VALU_DEP_3)
	v_lshl_add_u32 v8, v9, 23, 0x37800000
	v_lshlrev_b32_e32 v4, 21, v4
	s_delay_alu instid0(VALU_DEP_1) | instskip(NEXT) | instid1(VALU_DEP_1)
	v_or3_b32 v4, v5, v8, v4
	v_trunc_f32_e32 v4, v4
	s_delay_alu instid0(VALU_DEP_1) | instskip(NEXT) | instid1(VALU_DEP_1)
	v_mul_f32_e64 v5, 0x2f800000, |v4|
	v_floor_f32_e32 v5, v5
	s_delay_alu instid0(VALU_DEP_1) | instskip(SKIP_2) | instid1(VALU_DEP_3)
	v_fma_f32 v8, 0xcf800000, v5, |v4|
	v_ashrrev_i32_e32 v4, 31, v4
	v_cvt_u32_f32_e32 v9, v5
	v_cvt_u32_f32_e32 v8, v8
	s_delay_alu instid0(VALU_DEP_2) | instskip(NEXT) | instid1(VALU_DEP_2)
	v_dual_mov_b32 v5, v4 :: v_dual_bitop2_b32 v9, v9, v4 bitop3:0x14
	v_xor_b32_e32 v8, v8, v4
	s_delay_alu instid0(VALU_DEP_1)
	v_sub_nc_u64_e32 v[4:5], v[8:9], v[4:5]
.LBB94_1618:
	s_or_b32 exec_lo, exec_lo, s31
	s_mov_b32 s31, 0
	s_branch .LBB94_1624
.LBB94_1619:
	s_mov_b32 s38, -1
                                        ; implicit-def: $vgpr4_vgpr5
	s_branch .LBB94_1630
.LBB94_1620:
	s_and_not1_saveexec_b32 s31, s31
	s_cbranch_execz .LBB94_1605
.LBB94_1621:
	v_cmp_ne_u16_e32 vcc_lo, 0, v8
	s_and_not1_b32 s38, s38, exec_lo
	s_and_b32 s39, vcc_lo, exec_lo
	s_delay_alu instid0(SALU_CYCLE_1)
	s_or_b32 s38, s38, s39
	s_or_b32 exec_lo, exec_lo, s31
	v_mov_b64_e32 v[4:5], 0
	s_and_saveexec_b32 s31, s38
	s_cbranch_execnz .LBB94_1606
	s_branch .LBB94_1607
.LBB94_1622:
	s_mov_b32 s31, -1
                                        ; implicit-def: $vgpr4_vgpr5
	s_branch .LBB94_1627
.LBB94_1623:
	s_mov_b32 s31, -1
                                        ; implicit-def: $vgpr4_vgpr5
.LBB94_1624:
	s_delay_alu instid0(SALU_CYCLE_1)
	s_and_b32 vcc_lo, exec_lo, s31
	s_cbranch_vccz .LBB94_1626
; %bb.1625:
	s_wait_loadcnt 0x0
	global_load_u8 v4, v[6:7], off
	s_wait_loadcnt 0x0
	v_lshlrev_b32_e32 v4, 24, v4
	s_delay_alu instid0(VALU_DEP_1) | instskip(NEXT) | instid1(VALU_DEP_1)
	v_and_b32_e32 v5, 0x7f000000, v4
	v_clz_i32_u32_e32 v8, v5
	v_cmp_ne_u32_e32 vcc_lo, 0, v5
	v_add_nc_u32_e32 v10, 0x1000000, v5
	s_delay_alu instid0(VALU_DEP_3) | instskip(NEXT) | instid1(VALU_DEP_1)
	v_min_u32_e32 v8, 32, v8
	v_sub_nc_u32_e64 v8, v8, 4 clamp
	s_delay_alu instid0(VALU_DEP_1) | instskip(NEXT) | instid1(VALU_DEP_1)
	v_dual_lshlrev_b32 v9, v8, v5 :: v_dual_lshlrev_b32 v8, 23, v8
	v_lshrrev_b32_e32 v9, 4, v9
	s_delay_alu instid0(VALU_DEP_1) | instskip(NEXT) | instid1(VALU_DEP_1)
	v_dual_sub_nc_u32 v8, v9, v8 :: v_dual_ashrrev_i32 v9, 8, v10
	v_add_nc_u32_e32 v8, 0x3c000000, v8
	s_delay_alu instid0(VALU_DEP_1) | instskip(NEXT) | instid1(VALU_DEP_1)
	v_and_or_b32 v8, 0x7f800000, v9, v8
	v_cndmask_b32_e32 v5, 0, v8, vcc_lo
	s_delay_alu instid0(VALU_DEP_1) | instskip(NEXT) | instid1(VALU_DEP_1)
	v_and_or_b32 v4, 0x80000000, v4, v5
	v_trunc_f32_e32 v4, v4
	s_delay_alu instid0(VALU_DEP_1) | instskip(NEXT) | instid1(VALU_DEP_1)
	v_mul_f32_e64 v5, 0x2f800000, |v4|
	v_floor_f32_e32 v5, v5
	s_delay_alu instid0(VALU_DEP_1) | instskip(SKIP_2) | instid1(VALU_DEP_3)
	v_fma_f32 v8, 0xcf800000, v5, |v4|
	v_ashrrev_i32_e32 v4, 31, v4
	v_cvt_u32_f32_e32 v9, v5
	v_cvt_u32_f32_e32 v8, v8
	s_delay_alu instid0(VALU_DEP_2) | instskip(NEXT) | instid1(VALU_DEP_2)
	v_dual_mov_b32 v5, v4 :: v_dual_bitop2_b32 v9, v9, v4 bitop3:0x14
	v_xor_b32_e32 v8, v8, v4
	s_delay_alu instid0(VALU_DEP_1)
	v_sub_nc_u64_e32 v[4:5], v[8:9], v[4:5]
.LBB94_1626:
	s_mov_b32 s31, 0
.LBB94_1627:
	s_delay_alu instid0(SALU_CYCLE_1)
	s_and_not1_b32 vcc_lo, exec_lo, s31
	s_cbranch_vccnz .LBB94_1629
; %bb.1628:
	s_wait_loadcnt 0x0
	global_load_u8 v4, v[6:7], off
	s_wait_loadcnt 0x0
	v_lshlrev_b32_e32 v5, 25, v4
	v_lshlrev_b16 v4, 8, v4
	s_delay_alu instid0(VALU_DEP_1) | instskip(SKIP_1) | instid1(VALU_DEP_2)
	v_and_or_b32 v9, 0x7f00, v4, 0.5
	v_bfe_i32 v4, v4, 0, 16
	v_add_f32_e32 v9, -0.5, v9
	v_lshrrev_b32_e32 v8, 4, v5
	v_cmp_gt_u32_e32 vcc_lo, 0x8000000, v5
	s_delay_alu instid0(VALU_DEP_2) | instskip(NEXT) | instid1(VALU_DEP_1)
	v_or_b32_e32 v8, 0x70000000, v8
	v_mul_f32_e32 v8, 0x7800000, v8
	s_delay_alu instid0(VALU_DEP_1) | instskip(NEXT) | instid1(VALU_DEP_1)
	v_cndmask_b32_e32 v5, v8, v9, vcc_lo
	v_and_or_b32 v4, 0x80000000, v4, v5
	s_delay_alu instid0(VALU_DEP_1) | instskip(NEXT) | instid1(VALU_DEP_1)
	v_trunc_f32_e32 v4, v4
	v_mul_f32_e64 v5, 0x2f800000, |v4|
	s_delay_alu instid0(VALU_DEP_1) | instskip(NEXT) | instid1(VALU_DEP_1)
	v_floor_f32_e32 v5, v5
	v_fma_f32 v8, 0xcf800000, v5, |v4|
	v_ashrrev_i32_e32 v4, 31, v4
	v_cvt_u32_f32_e32 v9, v5
	s_delay_alu instid0(VALU_DEP_3) | instskip(NEXT) | instid1(VALU_DEP_2)
	v_cvt_u32_f32_e32 v8, v8
	v_dual_mov_b32 v5, v4 :: v_dual_bitop2_b32 v9, v9, v4 bitop3:0x14
	s_delay_alu instid0(VALU_DEP_2) | instskip(NEXT) | instid1(VALU_DEP_1)
	v_xor_b32_e32 v8, v8, v4
	v_sub_nc_u64_e32 v[4:5], v[8:9], v[4:5]
.LBB94_1629:
	s_mov_b32 s38, 0
	s_mov_b32 s31, -1
.LBB94_1630:
	s_and_not1_b32 vcc_lo, exec_lo, s38
	s_cbranch_vccnz .LBB94_1643
; %bb.1631:
	s_cmp_gt_i32 s1, 14
	s_cbranch_scc0 .LBB94_1634
; %bb.1632:
	s_cmp_eq_u32 s1, 15
	s_cbranch_scc0 .LBB94_1637
; %bb.1633:
	s_wait_loadcnt 0x0
	global_load_u16 v4, v[6:7], off
	s_mov_b32 s31, -1
	s_mov_b32 s83, 0
	s_wait_loadcnt 0x0
	v_lshlrev_b32_e32 v4, 16, v4
	s_delay_alu instid0(VALU_DEP_1) | instskip(NEXT) | instid1(VALU_DEP_1)
	v_trunc_f32_e32 v4, v4
	v_mul_f32_e64 v5, 0x2f800000, |v4|
	s_delay_alu instid0(VALU_DEP_1) | instskip(NEXT) | instid1(VALU_DEP_1)
	v_floor_f32_e32 v5, v5
	v_fma_f32 v8, 0xcf800000, v5, |v4|
	v_ashrrev_i32_e32 v4, 31, v4
	v_cvt_u32_f32_e32 v9, v5
	s_delay_alu instid0(VALU_DEP_3) | instskip(NEXT) | instid1(VALU_DEP_2)
	v_cvt_u32_f32_e32 v8, v8
	v_dual_mov_b32 v5, v4 :: v_dual_bitop2_b32 v9, v9, v4 bitop3:0x14
	s_delay_alu instid0(VALU_DEP_2) | instskip(NEXT) | instid1(VALU_DEP_1)
	v_xor_b32_e32 v8, v8, v4
	v_sub_nc_u64_e32 v[4:5], v[8:9], v[4:5]
	s_branch .LBB94_1638
.LBB94_1634:
	s_mov_b32 s38, -1
                                        ; implicit-def: $vgpr4_vgpr5
	s_branch .LBB94_1639
.LBB94_1635:
	s_and_not1_saveexec_b32 s31, s31
	s_cbranch_execz .LBB94_1616
.LBB94_1636:
	v_cmp_ne_u16_e32 vcc_lo, 0, v8
	s_and_not1_b32 s38, s38, exec_lo
	s_and_b32 s39, vcc_lo, exec_lo
	s_delay_alu instid0(SALU_CYCLE_1)
	s_or_b32 s38, s38, s39
	s_or_b32 exec_lo, exec_lo, s31
	v_mov_b64_e32 v[4:5], 0
	s_and_saveexec_b32 s31, s38
	s_cbranch_execnz .LBB94_1617
	s_branch .LBB94_1618
.LBB94_1637:
	s_mov_b32 s83, -1
                                        ; implicit-def: $vgpr4_vgpr5
.LBB94_1638:
	s_mov_b32 s38, 0
.LBB94_1639:
	s_delay_alu instid0(SALU_CYCLE_1)
	s_and_b32 vcc_lo, exec_lo, s38
	s_cbranch_vccz .LBB94_1643
; %bb.1640:
	s_cmp_eq_u32 s1, 11
	s_cbranch_scc0 .LBB94_1642
; %bb.1641:
	s_wait_loadcnt 0x0
	global_load_u8 v4, v[6:7], off
	s_mov_b32 s83, 0
	s_mov_b32 s31, -1
	v_mov_b32_e32 v5, s83
	s_wait_loadcnt 0x0
	v_cmp_ne_u16_e32 vcc_lo, 0, v4
	v_cndmask_b32_e64 v4, 0, 1, vcc_lo
	s_branch .LBB94_1643
.LBB94_1642:
	s_mov_b32 s83, -1
                                        ; implicit-def: $vgpr4_vgpr5
.LBB94_1643:
	s_mov_b32 s1, 0
.LBB94_1644:
	s_delay_alu instid0(SALU_CYCLE_1)
	s_and_b32 vcc_lo, exec_lo, s1
	s_cbranch_vccz .LBB94_1693
; %bb.1645:
	s_and_b32 s0, 0xffff, s0
	s_delay_alu instid0(SALU_CYCLE_1)
	s_cmp_lt_i32 s0, 5
	s_cbranch_scc1 .LBB94_1650
; %bb.1646:
	s_cmp_lt_i32 s0, 8
	s_cbranch_scc1 .LBB94_1651
; %bb.1647:
	;; [unrolled: 3-line block ×3, first 2 shown]
	s_cmp_gt_i32 s0, 9
	s_cbranch_scc0 .LBB94_1653
; %bb.1649:
	s_wait_loadcnt 0x0
	global_load_b64 v[4:5], v[6:7], off
	s_mov_b32 s1, 0
	s_wait_loadcnt 0x0
	v_trunc_f64_e32 v[4:5], v[4:5]
	s_delay_alu instid0(VALU_DEP_1) | instskip(NEXT) | instid1(VALU_DEP_1)
	v_ldexp_f64 v[8:9], v[4:5], 0xffffffe0
	v_floor_f64_e32 v[8:9], v[8:9]
	s_delay_alu instid0(VALU_DEP_1) | instskip(SKIP_1) | instid1(VALU_DEP_2)
	v_fmamk_f64 v[10:11], v[8:9], 0xc1f00000, v[4:5]
	v_cvt_i32_f64_e32 v5, v[8:9]
	v_cvt_u32_f64_e32 v4, v[10:11]
	s_branch .LBB94_1654
.LBB94_1650:
	s_mov_b32 s1, -1
                                        ; implicit-def: $vgpr4_vgpr5
	s_branch .LBB94_1672
.LBB94_1651:
	s_mov_b32 s1, -1
                                        ; implicit-def: $vgpr4_vgpr5
	s_branch .LBB94_1660
.LBB94_1652:
	s_mov_b32 s1, -1
                                        ; implicit-def: $vgpr4_vgpr5
	s_branch .LBB94_1657
.LBB94_1653:
	s_mov_b32 s1, -1
                                        ; implicit-def: $vgpr4_vgpr5
.LBB94_1654:
	s_delay_alu instid0(SALU_CYCLE_1)
	s_and_not1_b32 vcc_lo, exec_lo, s1
	s_cbranch_vccnz .LBB94_1656
; %bb.1655:
	s_wait_loadcnt 0x0
	global_load_b32 v4, v[6:7], off
	s_wait_loadcnt 0x0
	v_trunc_f32_e32 v4, v4
	s_delay_alu instid0(VALU_DEP_1) | instskip(NEXT) | instid1(VALU_DEP_1)
	v_mul_f32_e64 v5, 0x2f800000, |v4|
	v_floor_f32_e32 v5, v5
	s_delay_alu instid0(VALU_DEP_1) | instskip(SKIP_2) | instid1(VALU_DEP_3)
	v_fma_f32 v8, 0xcf800000, v5, |v4|
	v_ashrrev_i32_e32 v4, 31, v4
	v_cvt_u32_f32_e32 v9, v5
	v_cvt_u32_f32_e32 v8, v8
	s_delay_alu instid0(VALU_DEP_2) | instskip(NEXT) | instid1(VALU_DEP_2)
	v_dual_mov_b32 v5, v4 :: v_dual_bitop2_b32 v9, v9, v4 bitop3:0x14
	v_xor_b32_e32 v8, v8, v4
	s_delay_alu instid0(VALU_DEP_1)
	v_sub_nc_u64_e32 v[4:5], v[8:9], v[4:5]
.LBB94_1656:
	s_mov_b32 s1, 0
.LBB94_1657:
	s_delay_alu instid0(SALU_CYCLE_1)
	s_and_not1_b32 vcc_lo, exec_lo, s1
	s_cbranch_vccnz .LBB94_1659
; %bb.1658:
	s_wait_loadcnt 0x0
	global_load_b32 v4, v[6:7], off
	s_wait_loadcnt 0x0
	v_cvt_f32_f16_e32 v4, v4
	s_delay_alu instid0(VALU_DEP_1) | instskip(NEXT) | instid1(VALU_DEP_1)
	v_cvt_i32_f32_e32 v4, v4
	v_ashrrev_i32_e32 v5, 31, v4
.LBB94_1659:
	s_mov_b32 s1, 0
.LBB94_1660:
	s_delay_alu instid0(SALU_CYCLE_1)
	s_and_not1_b32 vcc_lo, exec_lo, s1
	s_cbranch_vccnz .LBB94_1671
; %bb.1661:
	s_cmp_lt_i32 s0, 6
	s_cbranch_scc1 .LBB94_1664
; %bb.1662:
	s_cmp_gt_i32 s0, 6
	s_cbranch_scc0 .LBB94_1665
; %bb.1663:
	s_wait_loadcnt 0x0
	global_load_b64 v[4:5], v[6:7], off
	s_mov_b32 s1, 0
	s_wait_loadcnt 0x0
	v_trunc_f64_e32 v[4:5], v[4:5]
	s_delay_alu instid0(VALU_DEP_1) | instskip(NEXT) | instid1(VALU_DEP_1)
	v_ldexp_f64 v[8:9], v[4:5], 0xffffffe0
	v_floor_f64_e32 v[8:9], v[8:9]
	s_delay_alu instid0(VALU_DEP_1) | instskip(SKIP_1) | instid1(VALU_DEP_2)
	v_fmamk_f64 v[10:11], v[8:9], 0xc1f00000, v[4:5]
	v_cvt_i32_f64_e32 v5, v[8:9]
	v_cvt_u32_f64_e32 v4, v[10:11]
	s_branch .LBB94_1666
.LBB94_1664:
	s_mov_b32 s1, -1
                                        ; implicit-def: $vgpr4_vgpr5
	s_branch .LBB94_1669
.LBB94_1665:
	s_mov_b32 s1, -1
                                        ; implicit-def: $vgpr4_vgpr5
.LBB94_1666:
	s_delay_alu instid0(SALU_CYCLE_1)
	s_and_not1_b32 vcc_lo, exec_lo, s1
	s_cbranch_vccnz .LBB94_1668
; %bb.1667:
	s_wait_loadcnt 0x0
	global_load_b32 v4, v[6:7], off
	s_wait_loadcnt 0x0
	v_trunc_f32_e32 v4, v4
	s_delay_alu instid0(VALU_DEP_1) | instskip(NEXT) | instid1(VALU_DEP_1)
	v_mul_f32_e64 v5, 0x2f800000, |v4|
	v_floor_f32_e32 v5, v5
	s_delay_alu instid0(VALU_DEP_1) | instskip(SKIP_2) | instid1(VALU_DEP_3)
	v_fma_f32 v8, 0xcf800000, v5, |v4|
	v_ashrrev_i32_e32 v4, 31, v4
	v_cvt_u32_f32_e32 v9, v5
	v_cvt_u32_f32_e32 v8, v8
	s_delay_alu instid0(VALU_DEP_2) | instskip(NEXT) | instid1(VALU_DEP_2)
	v_dual_mov_b32 v5, v4 :: v_dual_bitop2_b32 v9, v9, v4 bitop3:0x14
	v_xor_b32_e32 v8, v8, v4
	s_delay_alu instid0(VALU_DEP_1)
	v_sub_nc_u64_e32 v[4:5], v[8:9], v[4:5]
.LBB94_1668:
	s_mov_b32 s1, 0
.LBB94_1669:
	s_delay_alu instid0(SALU_CYCLE_1)
	s_and_not1_b32 vcc_lo, exec_lo, s1
	s_cbranch_vccnz .LBB94_1671
; %bb.1670:
	s_wait_loadcnt 0x0
	global_load_u16 v4, v[6:7], off
	s_wait_loadcnt 0x0
	v_cvt_f32_f16_e32 v4, v4
	s_delay_alu instid0(VALU_DEP_1) | instskip(NEXT) | instid1(VALU_DEP_1)
	v_cvt_i32_f32_e32 v4, v4
	v_ashrrev_i32_e32 v5, 31, v4
.LBB94_1671:
	s_mov_b32 s1, 0
.LBB94_1672:
	s_delay_alu instid0(SALU_CYCLE_1)
	s_and_not1_b32 vcc_lo, exec_lo, s1
	s_cbranch_vccnz .LBB94_1692
; %bb.1673:
	s_cmp_lt_i32 s0, 2
	s_cbranch_scc1 .LBB94_1677
; %bb.1674:
	s_cmp_lt_i32 s0, 3
	s_cbranch_scc1 .LBB94_1678
; %bb.1675:
	s_cmp_gt_i32 s0, 3
	s_cbranch_scc0 .LBB94_1679
; %bb.1676:
	s_wait_loadcnt 0x0
	global_load_b64 v[4:5], v[6:7], off
	s_mov_b32 s1, 0
	s_branch .LBB94_1680
.LBB94_1677:
	s_mov_b32 s1, -1
                                        ; implicit-def: $vgpr4_vgpr5
	s_branch .LBB94_1686
.LBB94_1678:
	s_mov_b32 s1, -1
                                        ; implicit-def: $vgpr4_vgpr5
	s_branch .LBB94_1683
.LBB94_1679:
	s_mov_b32 s1, -1
                                        ; implicit-def: $vgpr4_vgpr5
.LBB94_1680:
	s_delay_alu instid0(SALU_CYCLE_1)
	s_and_not1_b32 vcc_lo, exec_lo, s1
	s_cbranch_vccnz .LBB94_1682
; %bb.1681:
	s_wait_loadcnt 0x0
	global_load_b32 v4, v[6:7], off
	s_wait_loadcnt 0x0
	v_ashrrev_i32_e32 v5, 31, v4
.LBB94_1682:
	s_mov_b32 s1, 0
.LBB94_1683:
	s_delay_alu instid0(SALU_CYCLE_1)
	s_and_not1_b32 vcc_lo, exec_lo, s1
	s_cbranch_vccnz .LBB94_1685
; %bb.1684:
	s_wait_loadcnt 0x0
	global_load_u16 v4, v[6:7], off
	s_wait_loadcnt 0x0
	v_bfe_i32 v4, v4, 0, 16
	s_delay_alu instid0(VALU_DEP_1)
	v_ashrrev_i32_e32 v5, 31, v4
.LBB94_1685:
	s_mov_b32 s1, 0
.LBB94_1686:
	s_delay_alu instid0(SALU_CYCLE_1)
	s_and_not1_b32 vcc_lo, exec_lo, s1
	s_cbranch_vccnz .LBB94_1692
; %bb.1687:
	s_cmp_gt_i32 s0, 0
	s_mov_b32 s0, 0
	s_cbranch_scc0 .LBB94_1689
; %bb.1688:
	s_wait_loadcnt 0x0
	global_load_i8 v4, v[6:7], off
	s_wait_loadcnt 0x0
	v_bfe_i32 v4, v4, 0, 16
	s_delay_alu instid0(VALU_DEP_1)
	v_ashrrev_i32_e32 v5, 31, v4
	s_branch .LBB94_1690
.LBB94_1689:
	s_mov_b32 s0, -1
                                        ; implicit-def: $vgpr4_vgpr5
.LBB94_1690:
	s_delay_alu instid0(SALU_CYCLE_1)
	s_and_not1_b32 vcc_lo, exec_lo, s0
	s_cbranch_vccnz .LBB94_1692
; %bb.1691:
	s_wait_loadcnt 0x0
	global_load_u8 v4, v[6:7], off
	s_mov_b32 s0, 0
	s_delay_alu instid0(SALU_CYCLE_1)
	v_mov_b32_e32 v5, s0
	s_wait_loadcnt 0x0
	v_and_b32_e32 v4, 0xffff, v4
.LBB94_1692:
	s_mov_b32 s31, -1
.LBB94_1693:
	s_delay_alu instid0(SALU_CYCLE_1)
	s_and_not1_b32 vcc_lo, exec_lo, s31
	s_cbranch_vccnz .LBB94_1701
; %bb.1694:
	s_wait_xcnt 0x0
	v_mul_lo_u32 v6, s27, v26
	s_and_b32 s0, s23, 0xff
	s_delay_alu instid0(SALU_CYCLE_1) | instskip(NEXT) | instid1(VALU_DEP_1)
	s_cmp_lt_i32 s0, 11
	v_ashrrev_i32_e32 v7, 31, v6
	s_delay_alu instid0(VALU_DEP_1)
	v_add_nc_u64_e32 v[8:9], s[18:19], v[6:7]
	s_cbranch_scc1 .LBB94_1702
; %bb.1695:
	s_and_b32 s1, 0xffff, s0
	s_delay_alu instid0(SALU_CYCLE_1)
	s_cmp_gt_i32 s1, 25
	s_cbranch_scc0 .LBB94_1703
; %bb.1696:
	s_cmp_gt_i32 s1, 28
	s_cbranch_scc0 .LBB94_1704
; %bb.1697:
	;; [unrolled: 3-line block ×4, first 2 shown]
	s_cmp_eq_u32 s1, 46
	s_mov_b32 s38, 0
	s_cbranch_scc0 .LBB94_1708
; %bb.1700:
	global_load_b32 v6, v[8:9], off
	s_mov_b32 s31, -1
	s_mov_b32 s84, 0
	s_wait_loadcnt 0x0
	v_lshlrev_b32_e32 v6, 16, v6
	s_delay_alu instid0(VALU_DEP_1) | instskip(NEXT) | instid1(VALU_DEP_1)
	v_trunc_f32_e32 v6, v6
	v_mul_f32_e64 v7, 0x2f800000, |v6|
	s_delay_alu instid0(VALU_DEP_1) | instskip(NEXT) | instid1(VALU_DEP_1)
	v_floor_f32_e32 v7, v7
	v_fma_f32 v10, 0xcf800000, v7, |v6|
	v_ashrrev_i32_e32 v6, 31, v6
	v_cvt_u32_f32_e32 v11, v7
	s_delay_alu instid0(VALU_DEP_3) | instskip(NEXT) | instid1(VALU_DEP_2)
	v_cvt_u32_f32_e32 v10, v10
	v_dual_mov_b32 v7, v6 :: v_dual_bitop2_b32 v11, v11, v6 bitop3:0x14
	s_delay_alu instid0(VALU_DEP_2) | instskip(NEXT) | instid1(VALU_DEP_1)
	v_xor_b32_e32 v10, v10, v6
	v_sub_nc_u64_e32 v[6:7], v[10:11], v[6:7]
	s_branch .LBB94_1710
.LBB94_1701:
	s_mov_b32 s0, 0
	s_mov_b32 s1, s76
	;; [unrolled: 1-line block ×8, first 2 shown]
	s_branch .LBB94_2045
.LBB94_1702:
	s_mov_b32 s1, -1
	s_mov_b32 s31, 0
	s_mov_b32 s84, s73
                                        ; implicit-def: $vgpr6_vgpr7
	s_branch .LBB94_1771
.LBB94_1703:
	s_mov_b32 s38, -1
	s_mov_b32 s31, 0
	s_mov_b32 s84, s73
                                        ; implicit-def: $vgpr6_vgpr7
	s_branch .LBB94_1737
.LBB94_1704:
	s_mov_b32 s38, -1
	s_mov_b32 s31, 0
	s_mov_b32 s84, s73
                                        ; implicit-def: $vgpr6_vgpr7
	s_branch .LBB94_1720
.LBB94_1705:
	s_mov_b32 s38, -1
	s_mov_b32 s31, 0
	s_mov_b32 s84, s73
                                        ; implicit-def: $vgpr6_vgpr7
	s_branch .LBB94_1715
.LBB94_1706:
	s_mov_b32 s38, -1
	s_mov_b32 s31, 0
	s_mov_b32 s84, s73
	s_branch .LBB94_1709
.LBB94_1707:
	s_mov_b32 s41, -1
	s_mov_b32 s40, 0
	s_mov_b32 s31, s56
	s_branch .LBB94_3516
.LBB94_1708:
	s_mov_b32 s84, -1
	s_mov_b32 s31, 0
.LBB94_1709:
                                        ; implicit-def: $vgpr6_vgpr7
.LBB94_1710:
	s_and_b32 vcc_lo, exec_lo, s38
	s_cbranch_vccz .LBB94_1714
; %bb.1711:
	s_cmp_eq_u32 s1, 44
	s_cbranch_scc0 .LBB94_1713
; %bb.1712:
	global_load_u8 v12, v[8:9], off
	s_mov_b32 s84, 0
	s_mov_b32 s31, -1
	s_wait_loadcnt 0x0
	v_cmp_ne_u32_e32 vcc_lo, 0, v12
	v_lshlrev_b32_e32 v6, 23, v12
	s_delay_alu instid0(VALU_DEP_1) | instskip(NEXT) | instid1(VALU_DEP_1)
	v_trunc_f32_e32 v6, v6
	v_mul_f32_e64 v7, 0x2f800000, |v6|
	s_delay_alu instid0(VALU_DEP_1) | instskip(NEXT) | instid1(VALU_DEP_1)
	v_floor_f32_e32 v7, v7
	v_fma_f32 v10, 0xcf800000, v7, |v6|
	v_ashrrev_i32_e32 v6, 31, v6
	v_cvt_u32_f32_e32 v11, v7
	s_delay_alu instid0(VALU_DEP_3) | instskip(NEXT) | instid1(VALU_DEP_2)
	v_cvt_u32_f32_e32 v10, v10
	v_dual_mov_b32 v7, v6 :: v_dual_bitop2_b32 v11, v11, v6 bitop3:0x14
	s_delay_alu instid0(VALU_DEP_2) | instskip(NEXT) | instid1(VALU_DEP_1)
	v_xor_b32_e32 v10, v10, v6
	v_sub_nc_u64_e32 v[6:7], v[10:11], v[6:7]
	s_delay_alu instid0(VALU_DEP_1)
	v_dual_cndmask_b32 v7, 0, v7 :: v_dual_cndmask_b32 v6, 0, v6
	s_branch .LBB94_1714
.LBB94_1713:
	s_mov_b32 s84, -1
                                        ; implicit-def: $vgpr6_vgpr7
.LBB94_1714:
	s_mov_b32 s38, 0
.LBB94_1715:
	s_delay_alu instid0(SALU_CYCLE_1)
	s_and_b32 vcc_lo, exec_lo, s38
	s_cbranch_vccz .LBB94_1719
; %bb.1716:
	s_cmp_eq_u32 s1, 29
	s_cbranch_scc0 .LBB94_1718
; %bb.1717:
	global_load_b64 v[6:7], v[8:9], off
	s_mov_b32 s31, -1
	s_mov_b32 s84, 0
	s_branch .LBB94_1719
.LBB94_1718:
	s_mov_b32 s84, -1
                                        ; implicit-def: $vgpr6_vgpr7
.LBB94_1719:
	s_mov_b32 s38, 0
.LBB94_1720:
	s_delay_alu instid0(SALU_CYCLE_1)
	s_and_b32 vcc_lo, exec_lo, s38
	s_cbranch_vccz .LBB94_1736
; %bb.1721:
	s_cmp_lt_i32 s1, 27
	s_cbranch_scc1 .LBB94_1724
; %bb.1722:
	s_cmp_gt_i32 s1, 27
	s_cbranch_scc0 .LBB94_1725
; %bb.1723:
	s_wait_loadcnt 0x0
	global_load_b32 v6, v[8:9], off
	v_mov_b32_e32 v7, 0
	s_mov_b32 s31, 0
	s_branch .LBB94_1726
.LBB94_1724:
	s_mov_b32 s31, -1
                                        ; implicit-def: $vgpr6_vgpr7
	s_branch .LBB94_1729
.LBB94_1725:
	s_mov_b32 s31, -1
                                        ; implicit-def: $vgpr6_vgpr7
.LBB94_1726:
	s_delay_alu instid0(SALU_CYCLE_1)
	s_and_not1_b32 vcc_lo, exec_lo, s31
	s_cbranch_vccnz .LBB94_1728
; %bb.1727:
	s_wait_loadcnt 0x0
	global_load_u16 v6, v[8:9], off
	s_mov_b32 s31, 0
	s_delay_alu instid0(SALU_CYCLE_1)
	v_mov_b32_e32 v7, s31
	s_wait_loadcnt 0x0
	v_and_b32_e32 v6, 0xffff, v6
.LBB94_1728:
	s_mov_b32 s31, 0
.LBB94_1729:
	s_delay_alu instid0(SALU_CYCLE_1)
	s_and_not1_b32 vcc_lo, exec_lo, s31
	s_cbranch_vccnz .LBB94_1735
; %bb.1730:
	global_load_u8 v10, v[8:9], off
	s_mov_b32 s38, 0
	s_mov_b32 s31, exec_lo
	s_wait_loadcnt 0x0
	v_cmpx_lt_i16_e32 0x7f, v10
	s_xor_b32 s31, exec_lo, s31
	s_cbranch_execz .LBB94_1747
; %bb.1731:
	v_cmp_ne_u16_e32 vcc_lo, 0x80, v10
	s_and_b32 s38, vcc_lo, exec_lo
	s_and_not1_saveexec_b32 s31, s31
	s_cbranch_execnz .LBB94_1748
.LBB94_1732:
	s_or_b32 exec_lo, exec_lo, s31
	v_mov_b64_e32 v[6:7], 0
	s_and_saveexec_b32 s31, s38
	s_cbranch_execz .LBB94_1734
.LBB94_1733:
	v_and_b32_e32 v6, 0xffff, v10
	s_delay_alu instid0(VALU_DEP_1) | instskip(SKIP_1) | instid1(VALU_DEP_2)
	v_and_b32_e32 v7, 7, v6
	v_bfe_u32 v13, v6, 3, 4
	v_clz_i32_u32_e32 v11, v7
	s_delay_alu instid0(VALU_DEP_2) | instskip(NEXT) | instid1(VALU_DEP_2)
	v_cmp_eq_u32_e32 vcc_lo, 0, v13
	v_min_u32_e32 v11, 32, v11
	s_delay_alu instid0(VALU_DEP_1) | instskip(NEXT) | instid1(VALU_DEP_1)
	v_subrev_nc_u32_e32 v12, 28, v11
	v_dual_lshlrev_b32 v6, v12, v6 :: v_dual_sub_nc_u32 v11, 29, v11
	s_delay_alu instid0(VALU_DEP_1) | instskip(NEXT) | instid1(VALU_DEP_2)
	v_and_b32_e32 v6, 7, v6
	v_dual_cndmask_b32 v11, v13, v11 :: v_dual_lshlrev_b32 v10, 24, v10
	s_delay_alu instid0(VALU_DEP_2) | instskip(NEXT) | instid1(VALU_DEP_2)
	v_cndmask_b32_e32 v6, v7, v6, vcc_lo
	v_and_b32_e32 v7, 0x80000000, v10
	s_delay_alu instid0(VALU_DEP_3) | instskip(NEXT) | instid1(VALU_DEP_3)
	v_lshl_add_u32 v10, v11, 23, 0x3b800000
	v_lshlrev_b32_e32 v6, 20, v6
	s_delay_alu instid0(VALU_DEP_1) | instskip(NEXT) | instid1(VALU_DEP_1)
	v_or3_b32 v6, v7, v10, v6
	v_trunc_f32_e32 v6, v6
	s_delay_alu instid0(VALU_DEP_1) | instskip(NEXT) | instid1(VALU_DEP_1)
	v_mul_f32_e64 v7, 0x2f800000, |v6|
	v_floor_f32_e32 v7, v7
	s_delay_alu instid0(VALU_DEP_1) | instskip(SKIP_2) | instid1(VALU_DEP_3)
	v_fma_f32 v10, 0xcf800000, v7, |v6|
	v_ashrrev_i32_e32 v6, 31, v6
	v_cvt_u32_f32_e32 v11, v7
	v_cvt_u32_f32_e32 v10, v10
	s_delay_alu instid0(VALU_DEP_2) | instskip(NEXT) | instid1(VALU_DEP_2)
	v_dual_mov_b32 v7, v6 :: v_dual_bitop2_b32 v11, v11, v6 bitop3:0x14
	v_xor_b32_e32 v10, v10, v6
	s_delay_alu instid0(VALU_DEP_1)
	v_sub_nc_u64_e32 v[6:7], v[10:11], v[6:7]
.LBB94_1734:
	s_or_b32 exec_lo, exec_lo, s31
.LBB94_1735:
	s_mov_b32 s31, -1
.LBB94_1736:
	s_mov_b32 s38, 0
.LBB94_1737:
	s_delay_alu instid0(SALU_CYCLE_1)
	s_and_b32 vcc_lo, exec_lo, s38
	s_cbranch_vccz .LBB94_1770
; %bb.1738:
	s_cmp_gt_i32 s1, 22
	s_cbranch_scc0 .LBB94_1746
; %bb.1739:
	s_cmp_lt_i32 s1, 24
	s_cbranch_scc1 .LBB94_1749
; %bb.1740:
	s_cmp_gt_i32 s1, 24
	s_cbranch_scc0 .LBB94_1750
; %bb.1741:
	global_load_u8 v10, v[8:9], off
	s_mov_b32 s38, 0
	s_mov_b32 s31, exec_lo
	s_wait_loadcnt 0x0
	v_cmpx_lt_i16_e32 0x7f, v10
	s_xor_b32 s31, exec_lo, s31
	s_cbranch_execz .LBB94_1762
; %bb.1742:
	v_cmp_ne_u16_e32 vcc_lo, 0x80, v10
	s_and_b32 s38, vcc_lo, exec_lo
	s_and_not1_saveexec_b32 s31, s31
	s_cbranch_execnz .LBB94_1763
.LBB94_1743:
	s_or_b32 exec_lo, exec_lo, s31
	v_mov_b64_e32 v[6:7], 0
	s_and_saveexec_b32 s31, s38
	s_cbranch_execz .LBB94_1745
.LBB94_1744:
	v_and_b32_e32 v6, 0xffff, v10
	s_delay_alu instid0(VALU_DEP_1) | instskip(SKIP_1) | instid1(VALU_DEP_2)
	v_and_b32_e32 v7, 3, v6
	v_bfe_u32 v13, v6, 2, 5
	v_clz_i32_u32_e32 v11, v7
	s_delay_alu instid0(VALU_DEP_2) | instskip(NEXT) | instid1(VALU_DEP_2)
	v_cmp_eq_u32_e32 vcc_lo, 0, v13
	v_min_u32_e32 v11, 32, v11
	s_delay_alu instid0(VALU_DEP_1) | instskip(NEXT) | instid1(VALU_DEP_1)
	v_subrev_nc_u32_e32 v12, 29, v11
	v_dual_lshlrev_b32 v6, v12, v6 :: v_dual_sub_nc_u32 v11, 30, v11
	s_delay_alu instid0(VALU_DEP_1) | instskip(NEXT) | instid1(VALU_DEP_2)
	v_and_b32_e32 v6, 3, v6
	v_dual_cndmask_b32 v11, v13, v11 :: v_dual_lshlrev_b32 v10, 24, v10
	s_delay_alu instid0(VALU_DEP_2) | instskip(NEXT) | instid1(VALU_DEP_2)
	v_cndmask_b32_e32 v6, v7, v6, vcc_lo
	v_and_b32_e32 v7, 0x80000000, v10
	s_delay_alu instid0(VALU_DEP_3) | instskip(NEXT) | instid1(VALU_DEP_3)
	v_lshl_add_u32 v10, v11, 23, 0x37800000
	v_lshlrev_b32_e32 v6, 21, v6
	s_delay_alu instid0(VALU_DEP_1) | instskip(NEXT) | instid1(VALU_DEP_1)
	v_or3_b32 v6, v7, v10, v6
	v_trunc_f32_e32 v6, v6
	s_delay_alu instid0(VALU_DEP_1) | instskip(NEXT) | instid1(VALU_DEP_1)
	v_mul_f32_e64 v7, 0x2f800000, |v6|
	v_floor_f32_e32 v7, v7
	s_delay_alu instid0(VALU_DEP_1) | instskip(SKIP_2) | instid1(VALU_DEP_3)
	v_fma_f32 v10, 0xcf800000, v7, |v6|
	v_ashrrev_i32_e32 v6, 31, v6
	v_cvt_u32_f32_e32 v11, v7
	v_cvt_u32_f32_e32 v10, v10
	s_delay_alu instid0(VALU_DEP_2) | instskip(NEXT) | instid1(VALU_DEP_2)
	v_dual_mov_b32 v7, v6 :: v_dual_bitop2_b32 v11, v11, v6 bitop3:0x14
	v_xor_b32_e32 v10, v10, v6
	s_delay_alu instid0(VALU_DEP_1)
	v_sub_nc_u64_e32 v[6:7], v[10:11], v[6:7]
.LBB94_1745:
	s_or_b32 exec_lo, exec_lo, s31
	s_mov_b32 s31, 0
	s_branch .LBB94_1751
.LBB94_1746:
	s_mov_b32 s38, -1
                                        ; implicit-def: $vgpr6_vgpr7
	s_branch .LBB94_1757
.LBB94_1747:
	s_and_not1_saveexec_b32 s31, s31
	s_cbranch_execz .LBB94_1732
.LBB94_1748:
	v_cmp_ne_u16_e32 vcc_lo, 0, v10
	s_and_not1_b32 s38, s38, exec_lo
	s_and_b32 s39, vcc_lo, exec_lo
	s_delay_alu instid0(SALU_CYCLE_1)
	s_or_b32 s38, s38, s39
	s_or_b32 exec_lo, exec_lo, s31
	v_mov_b64_e32 v[6:7], 0
	s_and_saveexec_b32 s31, s38
	s_cbranch_execnz .LBB94_1733
	s_branch .LBB94_1734
.LBB94_1749:
	s_mov_b32 s31, -1
                                        ; implicit-def: $vgpr6_vgpr7
	s_branch .LBB94_1754
.LBB94_1750:
	s_mov_b32 s31, -1
                                        ; implicit-def: $vgpr6_vgpr7
.LBB94_1751:
	s_delay_alu instid0(SALU_CYCLE_1)
	s_and_b32 vcc_lo, exec_lo, s31
	s_cbranch_vccz .LBB94_1753
; %bb.1752:
	s_wait_loadcnt 0x0
	global_load_u8 v6, v[8:9], off
	s_wait_loadcnt 0x0
	v_lshlrev_b32_e32 v6, 24, v6
	s_delay_alu instid0(VALU_DEP_1) | instskip(NEXT) | instid1(VALU_DEP_1)
	v_and_b32_e32 v7, 0x7f000000, v6
	v_clz_i32_u32_e32 v10, v7
	v_cmp_ne_u32_e32 vcc_lo, 0, v7
	v_add_nc_u32_e32 v12, 0x1000000, v7
	s_delay_alu instid0(VALU_DEP_3) | instskip(NEXT) | instid1(VALU_DEP_1)
	v_min_u32_e32 v10, 32, v10
	v_sub_nc_u32_e64 v10, v10, 4 clamp
	s_delay_alu instid0(VALU_DEP_1) | instskip(NEXT) | instid1(VALU_DEP_1)
	v_dual_lshlrev_b32 v11, v10, v7 :: v_dual_lshlrev_b32 v10, 23, v10
	v_lshrrev_b32_e32 v11, 4, v11
	s_delay_alu instid0(VALU_DEP_1) | instskip(NEXT) | instid1(VALU_DEP_1)
	v_dual_sub_nc_u32 v10, v11, v10 :: v_dual_ashrrev_i32 v11, 8, v12
	v_add_nc_u32_e32 v10, 0x3c000000, v10
	s_delay_alu instid0(VALU_DEP_1) | instskip(NEXT) | instid1(VALU_DEP_1)
	v_and_or_b32 v10, 0x7f800000, v11, v10
	v_cndmask_b32_e32 v7, 0, v10, vcc_lo
	s_delay_alu instid0(VALU_DEP_1) | instskip(NEXT) | instid1(VALU_DEP_1)
	v_and_or_b32 v6, 0x80000000, v6, v7
	v_trunc_f32_e32 v6, v6
	s_delay_alu instid0(VALU_DEP_1) | instskip(NEXT) | instid1(VALU_DEP_1)
	v_mul_f32_e64 v7, 0x2f800000, |v6|
	v_floor_f32_e32 v7, v7
	s_delay_alu instid0(VALU_DEP_1) | instskip(SKIP_2) | instid1(VALU_DEP_3)
	v_fma_f32 v10, 0xcf800000, v7, |v6|
	v_ashrrev_i32_e32 v6, 31, v6
	v_cvt_u32_f32_e32 v11, v7
	v_cvt_u32_f32_e32 v10, v10
	s_delay_alu instid0(VALU_DEP_2) | instskip(NEXT) | instid1(VALU_DEP_2)
	v_dual_mov_b32 v7, v6 :: v_dual_bitop2_b32 v11, v11, v6 bitop3:0x14
	v_xor_b32_e32 v10, v10, v6
	s_delay_alu instid0(VALU_DEP_1)
	v_sub_nc_u64_e32 v[6:7], v[10:11], v[6:7]
.LBB94_1753:
	s_mov_b32 s31, 0
.LBB94_1754:
	s_delay_alu instid0(SALU_CYCLE_1)
	s_and_not1_b32 vcc_lo, exec_lo, s31
	s_cbranch_vccnz .LBB94_1756
; %bb.1755:
	s_wait_loadcnt 0x0
	global_load_u8 v6, v[8:9], off
	s_wait_loadcnt 0x0
	v_lshlrev_b32_e32 v7, 25, v6
	v_lshlrev_b16 v6, 8, v6
	s_delay_alu instid0(VALU_DEP_1) | instskip(SKIP_1) | instid1(VALU_DEP_2)
	v_and_or_b32 v11, 0x7f00, v6, 0.5
	v_bfe_i32 v6, v6, 0, 16
	v_add_f32_e32 v11, -0.5, v11
	v_lshrrev_b32_e32 v10, 4, v7
	v_cmp_gt_u32_e32 vcc_lo, 0x8000000, v7
	s_delay_alu instid0(VALU_DEP_2) | instskip(NEXT) | instid1(VALU_DEP_1)
	v_or_b32_e32 v10, 0x70000000, v10
	v_mul_f32_e32 v10, 0x7800000, v10
	s_delay_alu instid0(VALU_DEP_1) | instskip(NEXT) | instid1(VALU_DEP_1)
	v_cndmask_b32_e32 v7, v10, v11, vcc_lo
	v_and_or_b32 v6, 0x80000000, v6, v7
	s_delay_alu instid0(VALU_DEP_1) | instskip(NEXT) | instid1(VALU_DEP_1)
	v_trunc_f32_e32 v6, v6
	v_mul_f32_e64 v7, 0x2f800000, |v6|
	s_delay_alu instid0(VALU_DEP_1) | instskip(NEXT) | instid1(VALU_DEP_1)
	v_floor_f32_e32 v7, v7
	v_fma_f32 v10, 0xcf800000, v7, |v6|
	v_ashrrev_i32_e32 v6, 31, v6
	v_cvt_u32_f32_e32 v11, v7
	s_delay_alu instid0(VALU_DEP_3) | instskip(NEXT) | instid1(VALU_DEP_2)
	v_cvt_u32_f32_e32 v10, v10
	v_dual_mov_b32 v7, v6 :: v_dual_bitop2_b32 v11, v11, v6 bitop3:0x14
	s_delay_alu instid0(VALU_DEP_2) | instskip(NEXT) | instid1(VALU_DEP_1)
	v_xor_b32_e32 v10, v10, v6
	v_sub_nc_u64_e32 v[6:7], v[10:11], v[6:7]
.LBB94_1756:
	s_mov_b32 s38, 0
	s_mov_b32 s31, -1
.LBB94_1757:
	s_and_not1_b32 vcc_lo, exec_lo, s38
	s_cbranch_vccnz .LBB94_1770
; %bb.1758:
	s_cmp_gt_i32 s1, 14
	s_cbranch_scc0 .LBB94_1761
; %bb.1759:
	s_cmp_eq_u32 s1, 15
	s_cbranch_scc0 .LBB94_1764
; %bb.1760:
	s_wait_loadcnt 0x0
	global_load_u16 v6, v[8:9], off
	s_mov_b32 s31, -1
	s_mov_b32 s84, 0
	s_wait_loadcnt 0x0
	v_lshlrev_b32_e32 v6, 16, v6
	s_delay_alu instid0(VALU_DEP_1) | instskip(NEXT) | instid1(VALU_DEP_1)
	v_trunc_f32_e32 v6, v6
	v_mul_f32_e64 v7, 0x2f800000, |v6|
	s_delay_alu instid0(VALU_DEP_1) | instskip(NEXT) | instid1(VALU_DEP_1)
	v_floor_f32_e32 v7, v7
	v_fma_f32 v10, 0xcf800000, v7, |v6|
	v_ashrrev_i32_e32 v6, 31, v6
	v_cvt_u32_f32_e32 v11, v7
	s_delay_alu instid0(VALU_DEP_3) | instskip(NEXT) | instid1(VALU_DEP_2)
	v_cvt_u32_f32_e32 v10, v10
	v_dual_mov_b32 v7, v6 :: v_dual_bitop2_b32 v11, v11, v6 bitop3:0x14
	s_delay_alu instid0(VALU_DEP_2) | instskip(NEXT) | instid1(VALU_DEP_1)
	v_xor_b32_e32 v10, v10, v6
	v_sub_nc_u64_e32 v[6:7], v[10:11], v[6:7]
	s_branch .LBB94_1765
.LBB94_1761:
	s_mov_b32 s38, -1
                                        ; implicit-def: $vgpr6_vgpr7
	s_branch .LBB94_1766
.LBB94_1762:
	s_and_not1_saveexec_b32 s31, s31
	s_cbranch_execz .LBB94_1743
.LBB94_1763:
	v_cmp_ne_u16_e32 vcc_lo, 0, v10
	s_and_not1_b32 s38, s38, exec_lo
	s_and_b32 s39, vcc_lo, exec_lo
	s_delay_alu instid0(SALU_CYCLE_1)
	s_or_b32 s38, s38, s39
	s_or_b32 exec_lo, exec_lo, s31
	v_mov_b64_e32 v[6:7], 0
	s_and_saveexec_b32 s31, s38
	s_cbranch_execnz .LBB94_1744
	s_branch .LBB94_1745
.LBB94_1764:
	s_mov_b32 s84, -1
                                        ; implicit-def: $vgpr6_vgpr7
.LBB94_1765:
	s_mov_b32 s38, 0
.LBB94_1766:
	s_delay_alu instid0(SALU_CYCLE_1)
	s_and_b32 vcc_lo, exec_lo, s38
	s_cbranch_vccz .LBB94_1770
; %bb.1767:
	s_cmp_eq_u32 s1, 11
	s_cbranch_scc0 .LBB94_1769
; %bb.1768:
	s_wait_loadcnt 0x0
	global_load_u8 v6, v[8:9], off
	s_mov_b32 s84, 0
	s_mov_b32 s31, -1
	v_mov_b32_e32 v7, s84
	s_wait_loadcnt 0x0
	v_cmp_ne_u16_e32 vcc_lo, 0, v6
	v_cndmask_b32_e64 v6, 0, 1, vcc_lo
	s_branch .LBB94_1770
.LBB94_1769:
	s_mov_b32 s84, -1
                                        ; implicit-def: $vgpr6_vgpr7
.LBB94_1770:
	s_mov_b32 s1, 0
.LBB94_1771:
	s_delay_alu instid0(SALU_CYCLE_1)
	s_and_b32 vcc_lo, exec_lo, s1
	s_cbranch_vccz .LBB94_1820
; %bb.1772:
	s_and_b32 s0, 0xffff, s0
	s_delay_alu instid0(SALU_CYCLE_1)
	s_cmp_lt_i32 s0, 5
	s_cbranch_scc1 .LBB94_1777
; %bb.1773:
	s_cmp_lt_i32 s0, 8
	s_cbranch_scc1 .LBB94_1778
; %bb.1774:
	;; [unrolled: 3-line block ×3, first 2 shown]
	s_cmp_gt_i32 s0, 9
	s_cbranch_scc0 .LBB94_1780
; %bb.1776:
	s_wait_loadcnt 0x0
	global_load_b64 v[6:7], v[8:9], off
	s_mov_b32 s1, 0
	s_wait_loadcnt 0x0
	v_trunc_f64_e32 v[6:7], v[6:7]
	s_delay_alu instid0(VALU_DEP_1) | instskip(NEXT) | instid1(VALU_DEP_1)
	v_ldexp_f64 v[10:11], v[6:7], 0xffffffe0
	v_floor_f64_e32 v[10:11], v[10:11]
	s_delay_alu instid0(VALU_DEP_1) | instskip(SKIP_1) | instid1(VALU_DEP_2)
	v_fmamk_f64 v[12:13], v[10:11], 0xc1f00000, v[6:7]
	v_cvt_i32_f64_e32 v7, v[10:11]
	v_cvt_u32_f64_e32 v6, v[12:13]
	s_branch .LBB94_1781
.LBB94_1777:
	s_mov_b32 s1, -1
                                        ; implicit-def: $vgpr6_vgpr7
	s_branch .LBB94_1799
.LBB94_1778:
	s_mov_b32 s1, -1
                                        ; implicit-def: $vgpr6_vgpr7
	s_branch .LBB94_1787
.LBB94_1779:
	s_mov_b32 s1, -1
                                        ; implicit-def: $vgpr6_vgpr7
	s_branch .LBB94_1784
.LBB94_1780:
	s_mov_b32 s1, -1
                                        ; implicit-def: $vgpr6_vgpr7
.LBB94_1781:
	s_delay_alu instid0(SALU_CYCLE_1)
	s_and_not1_b32 vcc_lo, exec_lo, s1
	s_cbranch_vccnz .LBB94_1783
; %bb.1782:
	s_wait_loadcnt 0x0
	global_load_b32 v6, v[8:9], off
	s_wait_loadcnt 0x0
	v_trunc_f32_e32 v6, v6
	s_delay_alu instid0(VALU_DEP_1) | instskip(NEXT) | instid1(VALU_DEP_1)
	v_mul_f32_e64 v7, 0x2f800000, |v6|
	v_floor_f32_e32 v7, v7
	s_delay_alu instid0(VALU_DEP_1) | instskip(SKIP_2) | instid1(VALU_DEP_3)
	v_fma_f32 v10, 0xcf800000, v7, |v6|
	v_ashrrev_i32_e32 v6, 31, v6
	v_cvt_u32_f32_e32 v11, v7
	v_cvt_u32_f32_e32 v10, v10
	s_delay_alu instid0(VALU_DEP_2) | instskip(NEXT) | instid1(VALU_DEP_2)
	v_dual_mov_b32 v7, v6 :: v_dual_bitop2_b32 v11, v11, v6 bitop3:0x14
	v_xor_b32_e32 v10, v10, v6
	s_delay_alu instid0(VALU_DEP_1)
	v_sub_nc_u64_e32 v[6:7], v[10:11], v[6:7]
.LBB94_1783:
	s_mov_b32 s1, 0
.LBB94_1784:
	s_delay_alu instid0(SALU_CYCLE_1)
	s_and_not1_b32 vcc_lo, exec_lo, s1
	s_cbranch_vccnz .LBB94_1786
; %bb.1785:
	s_wait_loadcnt 0x0
	global_load_b32 v6, v[8:9], off
	s_wait_loadcnt 0x0
	v_cvt_f32_f16_e32 v6, v6
	s_delay_alu instid0(VALU_DEP_1) | instskip(NEXT) | instid1(VALU_DEP_1)
	v_cvt_i32_f32_e32 v6, v6
	v_ashrrev_i32_e32 v7, 31, v6
.LBB94_1786:
	s_mov_b32 s1, 0
.LBB94_1787:
	s_delay_alu instid0(SALU_CYCLE_1)
	s_and_not1_b32 vcc_lo, exec_lo, s1
	s_cbranch_vccnz .LBB94_1798
; %bb.1788:
	s_cmp_lt_i32 s0, 6
	s_cbranch_scc1 .LBB94_1791
; %bb.1789:
	s_cmp_gt_i32 s0, 6
	s_cbranch_scc0 .LBB94_1792
; %bb.1790:
	s_wait_loadcnt 0x0
	global_load_b64 v[6:7], v[8:9], off
	s_mov_b32 s1, 0
	s_wait_loadcnt 0x0
	v_trunc_f64_e32 v[6:7], v[6:7]
	s_delay_alu instid0(VALU_DEP_1) | instskip(NEXT) | instid1(VALU_DEP_1)
	v_ldexp_f64 v[10:11], v[6:7], 0xffffffe0
	v_floor_f64_e32 v[10:11], v[10:11]
	s_delay_alu instid0(VALU_DEP_1) | instskip(SKIP_1) | instid1(VALU_DEP_2)
	v_fmamk_f64 v[12:13], v[10:11], 0xc1f00000, v[6:7]
	v_cvt_i32_f64_e32 v7, v[10:11]
	v_cvt_u32_f64_e32 v6, v[12:13]
	s_branch .LBB94_1793
.LBB94_1791:
	s_mov_b32 s1, -1
                                        ; implicit-def: $vgpr6_vgpr7
	s_branch .LBB94_1796
.LBB94_1792:
	s_mov_b32 s1, -1
                                        ; implicit-def: $vgpr6_vgpr7
.LBB94_1793:
	s_delay_alu instid0(SALU_CYCLE_1)
	s_and_not1_b32 vcc_lo, exec_lo, s1
	s_cbranch_vccnz .LBB94_1795
; %bb.1794:
	s_wait_loadcnt 0x0
	global_load_b32 v6, v[8:9], off
	s_wait_loadcnt 0x0
	v_trunc_f32_e32 v6, v6
	s_delay_alu instid0(VALU_DEP_1) | instskip(NEXT) | instid1(VALU_DEP_1)
	v_mul_f32_e64 v7, 0x2f800000, |v6|
	v_floor_f32_e32 v7, v7
	s_delay_alu instid0(VALU_DEP_1) | instskip(SKIP_2) | instid1(VALU_DEP_3)
	v_fma_f32 v10, 0xcf800000, v7, |v6|
	v_ashrrev_i32_e32 v6, 31, v6
	v_cvt_u32_f32_e32 v11, v7
	v_cvt_u32_f32_e32 v10, v10
	s_delay_alu instid0(VALU_DEP_2) | instskip(NEXT) | instid1(VALU_DEP_2)
	v_dual_mov_b32 v7, v6 :: v_dual_bitop2_b32 v11, v11, v6 bitop3:0x14
	v_xor_b32_e32 v10, v10, v6
	s_delay_alu instid0(VALU_DEP_1)
	v_sub_nc_u64_e32 v[6:7], v[10:11], v[6:7]
.LBB94_1795:
	s_mov_b32 s1, 0
.LBB94_1796:
	s_delay_alu instid0(SALU_CYCLE_1)
	s_and_not1_b32 vcc_lo, exec_lo, s1
	s_cbranch_vccnz .LBB94_1798
; %bb.1797:
	s_wait_loadcnt 0x0
	global_load_u16 v6, v[8:9], off
	s_wait_loadcnt 0x0
	v_cvt_f32_f16_e32 v6, v6
	s_delay_alu instid0(VALU_DEP_1) | instskip(NEXT) | instid1(VALU_DEP_1)
	v_cvt_i32_f32_e32 v6, v6
	v_ashrrev_i32_e32 v7, 31, v6
.LBB94_1798:
	s_mov_b32 s1, 0
.LBB94_1799:
	s_delay_alu instid0(SALU_CYCLE_1)
	s_and_not1_b32 vcc_lo, exec_lo, s1
	s_cbranch_vccnz .LBB94_1819
; %bb.1800:
	s_cmp_lt_i32 s0, 2
	s_cbranch_scc1 .LBB94_1804
; %bb.1801:
	s_cmp_lt_i32 s0, 3
	s_cbranch_scc1 .LBB94_1805
; %bb.1802:
	s_cmp_gt_i32 s0, 3
	s_cbranch_scc0 .LBB94_1806
; %bb.1803:
	s_wait_loadcnt 0x0
	global_load_b64 v[6:7], v[8:9], off
	s_mov_b32 s1, 0
	s_branch .LBB94_1807
.LBB94_1804:
	s_mov_b32 s1, -1
                                        ; implicit-def: $vgpr6_vgpr7
	s_branch .LBB94_1813
.LBB94_1805:
	s_mov_b32 s1, -1
                                        ; implicit-def: $vgpr6_vgpr7
	s_branch .LBB94_1810
.LBB94_1806:
	s_mov_b32 s1, -1
                                        ; implicit-def: $vgpr6_vgpr7
.LBB94_1807:
	s_delay_alu instid0(SALU_CYCLE_1)
	s_and_not1_b32 vcc_lo, exec_lo, s1
	s_cbranch_vccnz .LBB94_1809
; %bb.1808:
	s_wait_loadcnt 0x0
	global_load_b32 v6, v[8:9], off
	s_wait_loadcnt 0x0
	v_ashrrev_i32_e32 v7, 31, v6
.LBB94_1809:
	s_mov_b32 s1, 0
.LBB94_1810:
	s_delay_alu instid0(SALU_CYCLE_1)
	s_and_not1_b32 vcc_lo, exec_lo, s1
	s_cbranch_vccnz .LBB94_1812
; %bb.1811:
	s_wait_loadcnt 0x0
	global_load_u16 v6, v[8:9], off
	s_wait_loadcnt 0x0
	v_bfe_i32 v6, v6, 0, 16
	s_delay_alu instid0(VALU_DEP_1)
	v_ashrrev_i32_e32 v7, 31, v6
.LBB94_1812:
	s_mov_b32 s1, 0
.LBB94_1813:
	s_delay_alu instid0(SALU_CYCLE_1)
	s_and_not1_b32 vcc_lo, exec_lo, s1
	s_cbranch_vccnz .LBB94_1819
; %bb.1814:
	s_cmp_gt_i32 s0, 0
	s_mov_b32 s0, 0
	s_cbranch_scc0 .LBB94_1816
; %bb.1815:
	s_wait_loadcnt 0x0
	global_load_i8 v6, v[8:9], off
	s_wait_loadcnt 0x0
	v_bfe_i32 v6, v6, 0, 16
	s_delay_alu instid0(VALU_DEP_1)
	v_ashrrev_i32_e32 v7, 31, v6
	s_branch .LBB94_1817
.LBB94_1816:
	s_mov_b32 s0, -1
                                        ; implicit-def: $vgpr6_vgpr7
.LBB94_1817:
	s_delay_alu instid0(SALU_CYCLE_1)
	s_and_not1_b32 vcc_lo, exec_lo, s0
	s_cbranch_vccnz .LBB94_1819
; %bb.1818:
	s_wait_loadcnt 0x0
	global_load_u8 v6, v[8:9], off
	s_mov_b32 s0, 0
	s_delay_alu instid0(SALU_CYCLE_1)
	v_mov_b32_e32 v7, s0
	s_wait_loadcnt 0x0
	v_and_b32_e32 v6, 0xffff, v6
.LBB94_1819:
	s_mov_b32 s31, -1
.LBB94_1820:
	s_delay_alu instid0(SALU_CYCLE_1)
	s_and_not1_b32 vcc_lo, exec_lo, s31
	s_cbranch_vccnz .LBB94_1828
; %bb.1821:
	s_wait_xcnt 0x0
	v_mul_lo_u32 v8, s53, v26
	s_and_b32 s0, s54, 0xff
	s_delay_alu instid0(SALU_CYCLE_1) | instskip(NEXT) | instid1(VALU_DEP_1)
	s_cmp_lt_i32 s0, 11
	v_ashrrev_i32_e32 v9, 31, v8
	s_delay_alu instid0(VALU_DEP_1)
	v_add_nc_u64_e32 v[8:9], s[34:35], v[8:9]
	s_cbranch_scc1 .LBB94_1829
; %bb.1822:
	s_and_b32 s1, 0xffff, s0
	s_delay_alu instid0(SALU_CYCLE_1)
	s_cmp_gt_i32 s1, 25
	s_cbranch_scc0 .LBB94_1830
; %bb.1823:
	s_cmp_gt_i32 s1, 28
	s_cbranch_scc0 .LBB94_1831
; %bb.1824:
	;; [unrolled: 3-line block ×4, first 2 shown]
	s_cmp_eq_u32 s1, 46
	s_mov_b32 s38, 0
	s_cbranch_scc0 .LBB94_1921
; %bb.1827:
	global_load_b32 v10, v[8:9], off
	s_mov_b32 s31, -1
	s_mov_b32 s85, 0
	s_wait_loadcnt 0x0
	v_lshlrev_b32_e32 v10, 16, v10
	s_delay_alu instid0(VALU_DEP_1) | instskip(NEXT) | instid1(VALU_DEP_1)
	v_trunc_f32_e32 v10, v10
	v_mul_f32_e64 v11, 0x2f800000, |v10|
	s_delay_alu instid0(VALU_DEP_1) | instskip(NEXT) | instid1(VALU_DEP_1)
	v_floor_f32_e32 v11, v11
	v_fma_f32 v12, 0xcf800000, v11, |v10|
	v_ashrrev_i32_e32 v10, 31, v10
	v_cvt_u32_f32_e32 v13, v11
	s_delay_alu instid0(VALU_DEP_3) | instskip(NEXT) | instid1(VALU_DEP_2)
	v_cvt_u32_f32_e32 v12, v12
	v_dual_mov_b32 v11, v10 :: v_dual_bitop2_b32 v13, v13, v10 bitop3:0x14
	s_delay_alu instid0(VALU_DEP_2) | instskip(NEXT) | instid1(VALU_DEP_1)
	v_xor_b32_e32 v12, v12, v10
	v_sub_nc_u64_e32 v[10:11], v[12:13], v[10:11]
	s_branch .LBB94_1923
.LBB94_1828:
	s_mov_b32 s0, 0
	s_mov_b32 s1, s76
	;; [unrolled: 1-line block ×7, first 2 shown]
	s_branch .LBB94_2045
.LBB94_1829:
	s_mov_b32 s1, -1
	s_mov_b32 s31, 0
	s_mov_b32 s85, s72
                                        ; implicit-def: $vgpr10_vgpr11
	s_branch .LBB94_1984
.LBB94_1830:
	s_mov_b32 s38, -1
	s_mov_b32 s31, 0
	s_mov_b32 s85, s72
                                        ; implicit-def: $vgpr10_vgpr11
	s_branch .LBB94_1950
.LBB94_1831:
	s_mov_b32 s38, -1
	s_mov_b32 s31, 0
	s_mov_b32 s85, s72
                                        ; implicit-def: $vgpr10_vgpr11
	s_branch .LBB94_1933
.LBB94_1832:
	s_mov_b32 s38, -1
	s_mov_b32 s31, 0
	s_mov_b32 s85, s72
                                        ; implicit-def: $vgpr10_vgpr11
	s_branch .LBB94_1928
.LBB94_1833:
	s_mov_b32 s38, -1
	s_mov_b32 s31, 0
	s_mov_b32 s85, s72
	s_branch .LBB94_1922
.LBB94_1834:
	s_mov_b32 s41, -1
	s_mov_b32 s31, 0
	s_mov_b32 s40, 0
.LBB94_1835:
	s_and_b32 vcc_lo, exec_lo, s41
	s_cbranch_vccz .LBB94_1838
; %bb.1836:
	s_cmp_eq_u32 s39, 44
	s_mov_b32 s31, -1
	s_cbranch_scc0 .LBB94_1838
; %bb.1837:
	s_wait_xcnt 0x0
	v_mov_b32_e32 v2, 0
	s_mov_b32 s40, -1
	s_mov_b32 s31, 0
	s_mov_b32 s41, 0
	global_store_b8 v[0:1], v2, off
	s_branch .LBB94_1839
.LBB94_1838:
	s_mov_b32 s41, 0
.LBB94_1839:
	s_delay_alu instid0(SALU_CYCLE_1)
	s_and_b32 vcc_lo, exec_lo, s41
	s_cbranch_vccz .LBB94_1842
; %bb.1840:
	s_cmp_eq_u32 s39, 29
	s_mov_b32 s31, -1
	s_cbranch_scc0 .LBB94_1842
; %bb.1841:
	s_wait_xcnt 0x0
	v_mov_b64_e32 v[2:3], 0
	s_mov_b32 s40, -1
	s_mov_b32 s31, 0
	s_mov_b32 s41, 0
	global_store_b64 v[0:1], v[2:3], off
	s_branch .LBB94_1843
.LBB94_1842:
	s_mov_b32 s41, 0
.LBB94_1843:
	s_delay_alu instid0(SALU_CYCLE_1)
	s_and_b32 vcc_lo, exec_lo, s41
	s_cbranch_vccz .LBB94_1853
; %bb.1844:
	s_cmp_lt_i32 s39, 27
	s_mov_b32 s40, -1
	s_cbranch_scc1 .LBB94_1850
; %bb.1845:
	s_cmp_gt_i32 s39, 27
	s_cbranch_scc0 .LBB94_1847
; %bb.1846:
	s_wait_xcnt 0x0
	v_mov_b32_e32 v2, 0
	s_mov_b32 s40, 0
	global_store_b32 v[0:1], v2, off
.LBB94_1847:
	s_and_not1_b32 vcc_lo, exec_lo, s40
	s_cbranch_vccnz .LBB94_1849
; %bb.1848:
	s_wait_xcnt 0x0
	v_mov_b32_e32 v2, 0
	global_store_b16 v[0:1], v2, off
.LBB94_1849:
	s_mov_b32 s40, 0
.LBB94_1850:
	s_delay_alu instid0(SALU_CYCLE_1)
	s_and_not1_b32 vcc_lo, exec_lo, s40
	s_cbranch_vccnz .LBB94_1852
; %bb.1851:
	s_wait_xcnt 0x0
	v_mov_b32_e32 v2, 0
	global_store_b8 v[0:1], v2, off
.LBB94_1852:
	s_mov_b32 s40, -1
.LBB94_1853:
	s_mov_b32 s41, 0
.LBB94_1854:
	s_delay_alu instid0(SALU_CYCLE_1)
	s_and_b32 vcc_lo, exec_lo, s41
	s_cbranch_vccz .LBB94_1873
; %bb.1855:
	s_cmp_gt_i32 s39, 22
	s_mov_b32 s41, -1
	s_cbranch_scc0 .LBB94_1865
; %bb.1856:
	s_cmp_lt_i32 s39, 24
	s_mov_b32 s40, -1
	s_cbranch_scc1 .LBB94_1862
; %bb.1857:
	s_cmp_gt_i32 s39, 24
	s_cbranch_scc0 .LBB94_1859
; %bb.1858:
	s_wait_xcnt 0x0
	v_mov_b32_e32 v2, 0
	s_mov_b32 s40, 0
	global_store_b8 v[0:1], v2, off
.LBB94_1859:
	s_and_not1_b32 vcc_lo, exec_lo, s40
	s_cbranch_vccnz .LBB94_1861
; %bb.1860:
	s_wait_xcnt 0x0
	v_mov_b32_e32 v2, 0
	global_store_b8 v[0:1], v2, off
.LBB94_1861:
	s_mov_b32 s40, 0
.LBB94_1862:
	s_delay_alu instid0(SALU_CYCLE_1)
	s_and_not1_b32 vcc_lo, exec_lo, s40
	s_cbranch_vccnz .LBB94_1864
; %bb.1863:
	s_wait_xcnt 0x0
	v_mov_b32_e32 v2, 0
	global_store_b8 v[0:1], v2, off
.LBB94_1864:
	s_mov_b32 s41, 0
	s_mov_b32 s40, -1
.LBB94_1865:
	s_and_not1_b32 vcc_lo, exec_lo, s41
	s_cbranch_vccnz .LBB94_1873
; %bb.1866:
	s_cmp_gt_i32 s39, 14
	s_mov_b32 s41, -1
	s_cbranch_scc0 .LBB94_1870
; %bb.1867:
	s_cmp_eq_u32 s39, 15
	s_mov_b32 s31, -1
	s_cbranch_scc0 .LBB94_1869
; %bb.1868:
	s_wait_xcnt 0x0
	v_mov_b32_e32 v2, 0
	s_mov_b32 s40, -1
	s_mov_b32 s31, 0
	global_store_b16 v[0:1], v2, off
.LBB94_1869:
	s_mov_b32 s41, 0
.LBB94_1870:
	s_delay_alu instid0(SALU_CYCLE_1)
	s_and_b32 vcc_lo, exec_lo, s41
	s_cbranch_vccz .LBB94_1873
; %bb.1871:
	s_cmp_eq_u32 s39, 11
	s_mov_b32 s31, -1
	s_cbranch_scc0 .LBB94_1873
; %bb.1872:
	s_wait_xcnt 0x0
	v_mov_b32_e32 v2, 0
	s_mov_b32 s40, -1
	s_mov_b32 s31, 0
	global_store_b8 v[0:1], v2, off
.LBB94_1873:
	s_mov_b32 s39, 0
.LBB94_1874:
	s_delay_alu instid0(SALU_CYCLE_1)
	s_and_b32 vcc_lo, exec_lo, s39
	s_cbranch_vccz .LBB94_1913
; %bb.1875:
	s_and_b32 s38, 0xffff, s38
	s_mov_b32 s39, -1
	s_cmp_lt_i32 s38, 5
	s_cbranch_scc1 .LBB94_1896
; %bb.1876:
	s_cmp_lt_i32 s38, 8
	s_cbranch_scc1 .LBB94_1886
; %bb.1877:
	;; [unrolled: 3-line block ×3, first 2 shown]
	s_cmp_gt_i32 s38, 9
	s_cbranch_scc0 .LBB94_1880
; %bb.1879:
	s_wait_xcnt 0x0
	v_mov_b32_e32 v2, 0
	s_mov_b32 s39, 0
	s_delay_alu instid0(VALU_DEP_1)
	v_dual_mov_b32 v3, v2 :: v_dual_mov_b32 v4, v2
	v_mov_b32_e32 v5, v2
	global_store_b128 v[0:1], v[2:5], off
.LBB94_1880:
	s_and_not1_b32 vcc_lo, exec_lo, s39
	s_cbranch_vccnz .LBB94_1882
; %bb.1881:
	s_wait_xcnt 0x0
	v_mov_b64_e32 v[2:3], 0
	global_store_b64 v[0:1], v[2:3], off
.LBB94_1882:
	s_mov_b32 s39, 0
.LBB94_1883:
	s_delay_alu instid0(SALU_CYCLE_1)
	s_and_not1_b32 vcc_lo, exec_lo, s39
	s_cbranch_vccnz .LBB94_1885
; %bb.1884:
	s_wait_xcnt 0x0
	v_mov_b32_e32 v2, 0
	global_store_b32 v[0:1], v2, off
.LBB94_1885:
	s_mov_b32 s39, 0
.LBB94_1886:
	s_delay_alu instid0(SALU_CYCLE_1)
	s_and_not1_b32 vcc_lo, exec_lo, s39
	s_cbranch_vccnz .LBB94_1895
; %bb.1887:
	s_cmp_lt_i32 s38, 6
	s_mov_b32 s39, -1
	s_cbranch_scc1 .LBB94_1893
; %bb.1888:
	s_cmp_gt_i32 s38, 6
	s_cbranch_scc0 .LBB94_1890
; %bb.1889:
	s_wait_xcnt 0x0
	v_mov_b64_e32 v[2:3], 0
	s_mov_b32 s39, 0
	global_store_b64 v[0:1], v[2:3], off
.LBB94_1890:
	s_and_not1_b32 vcc_lo, exec_lo, s39
	s_cbranch_vccnz .LBB94_1892
; %bb.1891:
	s_wait_xcnt 0x0
	v_mov_b32_e32 v2, 0
	global_store_b32 v[0:1], v2, off
.LBB94_1892:
	s_mov_b32 s39, 0
.LBB94_1893:
	s_delay_alu instid0(SALU_CYCLE_1)
	s_and_not1_b32 vcc_lo, exec_lo, s39
	s_cbranch_vccnz .LBB94_1895
; %bb.1894:
	s_wait_xcnt 0x0
	v_mov_b32_e32 v2, 0
	global_store_b16 v[0:1], v2, off
.LBB94_1895:
	s_mov_b32 s39, 0
.LBB94_1896:
	s_delay_alu instid0(SALU_CYCLE_1)
	s_and_not1_b32 vcc_lo, exec_lo, s39
	s_cbranch_vccnz .LBB94_1912
; %bb.1897:
	s_cmp_lt_i32 s38, 2
	s_mov_b32 s39, -1
	s_cbranch_scc1 .LBB94_1907
; %bb.1898:
	s_cmp_lt_i32 s38, 3
	s_cbranch_scc1 .LBB94_1904
; %bb.1899:
	s_cmp_gt_i32 s38, 3
	s_cbranch_scc0 .LBB94_1901
; %bb.1900:
	s_wait_xcnt 0x0
	v_mov_b64_e32 v[2:3], 0
	s_mov_b32 s39, 0
	global_store_b64 v[0:1], v[2:3], off
.LBB94_1901:
	s_and_not1_b32 vcc_lo, exec_lo, s39
	s_cbranch_vccnz .LBB94_1903
; %bb.1902:
	s_wait_xcnt 0x0
	v_mov_b32_e32 v2, 0
	global_store_b32 v[0:1], v2, off
.LBB94_1903:
	s_mov_b32 s39, 0
.LBB94_1904:
	s_delay_alu instid0(SALU_CYCLE_1)
	s_and_not1_b32 vcc_lo, exec_lo, s39
	s_cbranch_vccnz .LBB94_1906
; %bb.1905:
	s_wait_xcnt 0x0
	v_mov_b32_e32 v2, 0
	global_store_b16 v[0:1], v2, off
.LBB94_1906:
	s_mov_b32 s39, 0
.LBB94_1907:
	s_delay_alu instid0(SALU_CYCLE_1)
	s_and_not1_b32 vcc_lo, exec_lo, s39
	s_cbranch_vccnz .LBB94_1912
; %bb.1908:
	s_cmp_gt_i32 s38, 0
	s_mov_b32 s38, -1
	s_cbranch_scc0 .LBB94_1910
; %bb.1909:
	s_wait_xcnt 0x0
	v_mov_b32_e32 v2, 0
	s_mov_b32 s38, 0
	global_store_b8 v[0:1], v2, off
.LBB94_1910:
	s_and_not1_b32 vcc_lo, exec_lo, s38
	s_cbranch_vccnz .LBB94_1912
; %bb.1911:
	s_wait_xcnt 0x0
	v_mov_b32_e32 v2, 0
	global_store_b8 v[0:1], v2, off
.LBB94_1912:
	s_mov_b32 s40, -1
.LBB94_1913:
	s_delay_alu instid0(SALU_CYCLE_1)
	s_and_not1_b32 vcc_lo, exec_lo, s40
	s_cbranch_vccnz .LBB94_1915
; %bb.1914:
	v_add_nc_u32_e32 v26, 0x80, v26
	s_mov_b32 s39, -1
	s_branch .LBB94_1916
.LBB94_1915:
	s_mov_b32 s39, 0
                                        ; implicit-def: $vgpr26
.LBB94_1916:
	s_and_b32 s38, s31, exec_lo
	s_and_not1_b32 s0, s0, exec_lo
	s_and_b32 s31, s39, exec_lo
.LBB94_1917:
	s_wait_xcnt 0x0
	s_or_b32 exec_lo, exec_lo, s1
	s_delay_alu instid0(SALU_CYCLE_1)
	s_and_b32 s38, s38, exec_lo
	s_and_b32 s0, s0, exec_lo
	s_xor_b32 s1, exec_lo, -1
	s_and_b32 s31, s31, exec_lo
.LBB94_1918:
	s_or_b32 exec_lo, exec_lo, s60
	s_delay_alu instid0(SALU_CYCLE_1)
	s_and_b32 s40, s38, exec_lo
	s_and_b32 s39, s0, exec_lo
	;; [unrolled: 1-line block ×3, first 2 shown]
	s_xor_b32 s1, exec_lo, -1
	s_and_b32 s0, s31, exec_lo
.LBB94_1919:
	s_or_b32 exec_lo, exec_lo, s59
	s_delay_alu instid0(SALU_CYCLE_1)
	s_and_b32 s40, s40, exec_lo
	s_and_b32 s39, s39, exec_lo
	;; [unrolled: 1-line block ×4, first 2 shown]
	s_xor_b32 s1, exec_lo, -1
	s_and_b32 s0, s0, exec_lo
	s_or_b32 exec_lo, exec_lo, s56
	s_branch .LBB94_629
.LBB94_1920:
	s_mov_b32 s41, -1
	s_mov_b32 s40, 0
	s_mov_b32 s31, s56
	s_branch .LBB94_3512
.LBB94_1921:
	s_mov_b32 s85, -1
	s_mov_b32 s31, 0
.LBB94_1922:
                                        ; implicit-def: $vgpr10_vgpr11
.LBB94_1923:
	s_and_b32 vcc_lo, exec_lo, s38
	s_cbranch_vccz .LBB94_1927
; %bb.1924:
	s_cmp_eq_u32 s1, 44
	s_cbranch_scc0 .LBB94_1926
; %bb.1925:
	global_load_u8 v14, v[8:9], off
	s_mov_b32 s85, 0
	s_mov_b32 s31, -1
	s_wait_loadcnt 0x0
	v_cmp_ne_u32_e32 vcc_lo, 0, v14
	v_lshlrev_b32_e32 v10, 23, v14
	s_delay_alu instid0(VALU_DEP_1) | instskip(NEXT) | instid1(VALU_DEP_1)
	v_trunc_f32_e32 v10, v10
	v_mul_f32_e64 v11, 0x2f800000, |v10|
	s_delay_alu instid0(VALU_DEP_1) | instskip(NEXT) | instid1(VALU_DEP_1)
	v_floor_f32_e32 v11, v11
	v_fma_f32 v12, 0xcf800000, v11, |v10|
	v_ashrrev_i32_e32 v10, 31, v10
	v_cvt_u32_f32_e32 v13, v11
	s_delay_alu instid0(VALU_DEP_3) | instskip(NEXT) | instid1(VALU_DEP_2)
	v_cvt_u32_f32_e32 v12, v12
	v_dual_mov_b32 v11, v10 :: v_dual_bitop2_b32 v13, v13, v10 bitop3:0x14
	s_delay_alu instid0(VALU_DEP_2) | instskip(NEXT) | instid1(VALU_DEP_1)
	v_xor_b32_e32 v12, v12, v10
	v_sub_nc_u64_e32 v[10:11], v[12:13], v[10:11]
	s_delay_alu instid0(VALU_DEP_1)
	v_dual_cndmask_b32 v11, 0, v11 :: v_dual_cndmask_b32 v10, 0, v10
	s_branch .LBB94_1927
.LBB94_1926:
	s_mov_b32 s85, -1
                                        ; implicit-def: $vgpr10_vgpr11
.LBB94_1927:
	s_mov_b32 s38, 0
.LBB94_1928:
	s_delay_alu instid0(SALU_CYCLE_1)
	s_and_b32 vcc_lo, exec_lo, s38
	s_cbranch_vccz .LBB94_1932
; %bb.1929:
	s_cmp_eq_u32 s1, 29
	s_cbranch_scc0 .LBB94_1931
; %bb.1930:
	global_load_b64 v[10:11], v[8:9], off
	s_mov_b32 s31, -1
	s_mov_b32 s85, 0
	s_branch .LBB94_1932
.LBB94_1931:
	s_mov_b32 s85, -1
                                        ; implicit-def: $vgpr10_vgpr11
.LBB94_1932:
	s_mov_b32 s38, 0
.LBB94_1933:
	s_delay_alu instid0(SALU_CYCLE_1)
	s_and_b32 vcc_lo, exec_lo, s38
	s_cbranch_vccz .LBB94_1949
; %bb.1934:
	s_cmp_lt_i32 s1, 27
	s_cbranch_scc1 .LBB94_1937
; %bb.1935:
	s_cmp_gt_i32 s1, 27
	s_cbranch_scc0 .LBB94_1938
; %bb.1936:
	s_wait_loadcnt 0x0
	global_load_b32 v10, v[8:9], off
	v_mov_b32_e32 v11, 0
	s_mov_b32 s31, 0
	s_branch .LBB94_1939
.LBB94_1937:
	s_mov_b32 s31, -1
                                        ; implicit-def: $vgpr10_vgpr11
	s_branch .LBB94_1942
.LBB94_1938:
	s_mov_b32 s31, -1
                                        ; implicit-def: $vgpr10_vgpr11
.LBB94_1939:
	s_delay_alu instid0(SALU_CYCLE_1)
	s_and_not1_b32 vcc_lo, exec_lo, s31
	s_cbranch_vccnz .LBB94_1941
; %bb.1940:
	s_wait_loadcnt 0x0
	global_load_u16 v10, v[8:9], off
	s_mov_b32 s31, 0
	s_delay_alu instid0(SALU_CYCLE_1)
	v_mov_b32_e32 v11, s31
	s_wait_loadcnt 0x0
	v_and_b32_e32 v10, 0xffff, v10
.LBB94_1941:
	s_mov_b32 s31, 0
.LBB94_1942:
	s_delay_alu instid0(SALU_CYCLE_1)
	s_and_not1_b32 vcc_lo, exec_lo, s31
	s_cbranch_vccnz .LBB94_1948
; %bb.1943:
	global_load_u8 v12, v[8:9], off
	s_mov_b32 s38, 0
	s_mov_b32 s31, exec_lo
	s_wait_loadcnt 0x0
	v_cmpx_lt_i16_e32 0x7f, v12
	s_xor_b32 s31, exec_lo, s31
	s_cbranch_execz .LBB94_1960
; %bb.1944:
	v_cmp_ne_u16_e32 vcc_lo, 0x80, v12
	s_and_b32 s38, vcc_lo, exec_lo
	s_and_not1_saveexec_b32 s31, s31
	s_cbranch_execnz .LBB94_1961
.LBB94_1945:
	s_or_b32 exec_lo, exec_lo, s31
	v_mov_b64_e32 v[10:11], 0
	s_and_saveexec_b32 s31, s38
	s_cbranch_execz .LBB94_1947
.LBB94_1946:
	v_and_b32_e32 v10, 0xffff, v12
	s_delay_alu instid0(VALU_DEP_1) | instskip(SKIP_1) | instid1(VALU_DEP_2)
	v_and_b32_e32 v11, 7, v10
	v_bfe_u32 v15, v10, 3, 4
	v_clz_i32_u32_e32 v13, v11
	s_delay_alu instid0(VALU_DEP_2) | instskip(NEXT) | instid1(VALU_DEP_2)
	v_cmp_eq_u32_e32 vcc_lo, 0, v15
	v_min_u32_e32 v13, 32, v13
	s_delay_alu instid0(VALU_DEP_1) | instskip(NEXT) | instid1(VALU_DEP_1)
	v_subrev_nc_u32_e32 v14, 28, v13
	v_dual_lshlrev_b32 v10, v14, v10 :: v_dual_sub_nc_u32 v13, 29, v13
	s_delay_alu instid0(VALU_DEP_1) | instskip(NEXT) | instid1(VALU_DEP_2)
	v_dual_lshlrev_b32 v12, 24, v12 :: v_dual_bitop2_b32 v10, 7, v10 bitop3:0x40
	v_cndmask_b32_e32 v13, v15, v13, vcc_lo
	s_delay_alu instid0(VALU_DEP_2) | instskip(NEXT) | instid1(VALU_DEP_3)
	v_cndmask_b32_e32 v10, v11, v10, vcc_lo
	v_and_b32_e32 v11, 0x80000000, v12
	s_delay_alu instid0(VALU_DEP_3) | instskip(NEXT) | instid1(VALU_DEP_3)
	v_lshl_add_u32 v12, v13, 23, 0x3b800000
	v_lshlrev_b32_e32 v10, 20, v10
	s_delay_alu instid0(VALU_DEP_1) | instskip(NEXT) | instid1(VALU_DEP_1)
	v_or3_b32 v10, v11, v12, v10
	v_trunc_f32_e32 v10, v10
	s_delay_alu instid0(VALU_DEP_1) | instskip(NEXT) | instid1(VALU_DEP_1)
	v_mul_f32_e64 v11, 0x2f800000, |v10|
	v_floor_f32_e32 v11, v11
	s_delay_alu instid0(VALU_DEP_1) | instskip(SKIP_2) | instid1(VALU_DEP_3)
	v_fma_f32 v12, 0xcf800000, v11, |v10|
	v_ashrrev_i32_e32 v10, 31, v10
	v_cvt_u32_f32_e32 v13, v11
	v_cvt_u32_f32_e32 v12, v12
	s_delay_alu instid0(VALU_DEP_2) | instskip(NEXT) | instid1(VALU_DEP_2)
	v_dual_mov_b32 v11, v10 :: v_dual_bitop2_b32 v13, v13, v10 bitop3:0x14
	v_xor_b32_e32 v12, v12, v10
	s_delay_alu instid0(VALU_DEP_1)
	v_sub_nc_u64_e32 v[10:11], v[12:13], v[10:11]
.LBB94_1947:
	s_or_b32 exec_lo, exec_lo, s31
.LBB94_1948:
	s_mov_b32 s31, -1
.LBB94_1949:
	s_mov_b32 s38, 0
.LBB94_1950:
	s_delay_alu instid0(SALU_CYCLE_1)
	s_and_b32 vcc_lo, exec_lo, s38
	s_cbranch_vccz .LBB94_1983
; %bb.1951:
	s_cmp_gt_i32 s1, 22
	s_cbranch_scc0 .LBB94_1959
; %bb.1952:
	s_cmp_lt_i32 s1, 24
	s_cbranch_scc1 .LBB94_1962
; %bb.1953:
	s_cmp_gt_i32 s1, 24
	s_cbranch_scc0 .LBB94_1963
; %bb.1954:
	global_load_u8 v12, v[8:9], off
	s_mov_b32 s38, 0
	s_mov_b32 s31, exec_lo
	s_wait_loadcnt 0x0
	v_cmpx_lt_i16_e32 0x7f, v12
	s_xor_b32 s31, exec_lo, s31
	s_cbranch_execz .LBB94_1975
; %bb.1955:
	v_cmp_ne_u16_e32 vcc_lo, 0x80, v12
	s_and_b32 s38, vcc_lo, exec_lo
	s_and_not1_saveexec_b32 s31, s31
	s_cbranch_execnz .LBB94_1976
.LBB94_1956:
	s_or_b32 exec_lo, exec_lo, s31
	v_mov_b64_e32 v[10:11], 0
	s_and_saveexec_b32 s31, s38
	s_cbranch_execz .LBB94_1958
.LBB94_1957:
	v_and_b32_e32 v10, 0xffff, v12
	s_delay_alu instid0(VALU_DEP_1) | instskip(SKIP_1) | instid1(VALU_DEP_2)
	v_and_b32_e32 v11, 3, v10
	v_bfe_u32 v15, v10, 2, 5
	v_clz_i32_u32_e32 v13, v11
	s_delay_alu instid0(VALU_DEP_2) | instskip(NEXT) | instid1(VALU_DEP_2)
	v_cmp_eq_u32_e32 vcc_lo, 0, v15
	v_min_u32_e32 v13, 32, v13
	s_delay_alu instid0(VALU_DEP_1) | instskip(NEXT) | instid1(VALU_DEP_1)
	v_subrev_nc_u32_e32 v14, 29, v13
	v_dual_lshlrev_b32 v10, v14, v10 :: v_dual_sub_nc_u32 v13, 30, v13
	s_delay_alu instid0(VALU_DEP_1) | instskip(NEXT) | instid1(VALU_DEP_2)
	v_dual_lshlrev_b32 v12, 24, v12 :: v_dual_bitop2_b32 v10, 3, v10 bitop3:0x40
	v_cndmask_b32_e32 v13, v15, v13, vcc_lo
	s_delay_alu instid0(VALU_DEP_2) | instskip(NEXT) | instid1(VALU_DEP_3)
	v_cndmask_b32_e32 v10, v11, v10, vcc_lo
	v_and_b32_e32 v11, 0x80000000, v12
	s_delay_alu instid0(VALU_DEP_3) | instskip(NEXT) | instid1(VALU_DEP_3)
	v_lshl_add_u32 v12, v13, 23, 0x37800000
	v_lshlrev_b32_e32 v10, 21, v10
	s_delay_alu instid0(VALU_DEP_1) | instskip(NEXT) | instid1(VALU_DEP_1)
	v_or3_b32 v10, v11, v12, v10
	v_trunc_f32_e32 v10, v10
	s_delay_alu instid0(VALU_DEP_1) | instskip(NEXT) | instid1(VALU_DEP_1)
	v_mul_f32_e64 v11, 0x2f800000, |v10|
	v_floor_f32_e32 v11, v11
	s_delay_alu instid0(VALU_DEP_1) | instskip(SKIP_2) | instid1(VALU_DEP_3)
	v_fma_f32 v12, 0xcf800000, v11, |v10|
	v_ashrrev_i32_e32 v10, 31, v10
	v_cvt_u32_f32_e32 v13, v11
	v_cvt_u32_f32_e32 v12, v12
	s_delay_alu instid0(VALU_DEP_2) | instskip(NEXT) | instid1(VALU_DEP_2)
	v_dual_mov_b32 v11, v10 :: v_dual_bitop2_b32 v13, v13, v10 bitop3:0x14
	v_xor_b32_e32 v12, v12, v10
	s_delay_alu instid0(VALU_DEP_1)
	v_sub_nc_u64_e32 v[10:11], v[12:13], v[10:11]
.LBB94_1958:
	s_or_b32 exec_lo, exec_lo, s31
	s_mov_b32 s31, 0
	s_branch .LBB94_1964
.LBB94_1959:
	s_mov_b32 s38, -1
                                        ; implicit-def: $vgpr10_vgpr11
	s_branch .LBB94_1970
.LBB94_1960:
	s_and_not1_saveexec_b32 s31, s31
	s_cbranch_execz .LBB94_1945
.LBB94_1961:
	v_cmp_ne_u16_e32 vcc_lo, 0, v12
	s_and_not1_b32 s38, s38, exec_lo
	s_and_b32 s39, vcc_lo, exec_lo
	s_delay_alu instid0(SALU_CYCLE_1)
	s_or_b32 s38, s38, s39
	s_or_b32 exec_lo, exec_lo, s31
	v_mov_b64_e32 v[10:11], 0
	s_and_saveexec_b32 s31, s38
	s_cbranch_execnz .LBB94_1946
	s_branch .LBB94_1947
.LBB94_1962:
	s_mov_b32 s31, -1
                                        ; implicit-def: $vgpr10_vgpr11
	s_branch .LBB94_1967
.LBB94_1963:
	s_mov_b32 s31, -1
                                        ; implicit-def: $vgpr10_vgpr11
.LBB94_1964:
	s_delay_alu instid0(SALU_CYCLE_1)
	s_and_b32 vcc_lo, exec_lo, s31
	s_cbranch_vccz .LBB94_1966
; %bb.1965:
	s_wait_loadcnt 0x0
	global_load_u8 v10, v[8:9], off
	s_wait_loadcnt 0x0
	v_lshlrev_b32_e32 v10, 24, v10
	s_delay_alu instid0(VALU_DEP_1) | instskip(NEXT) | instid1(VALU_DEP_1)
	v_and_b32_e32 v11, 0x7f000000, v10
	v_clz_i32_u32_e32 v12, v11
	v_cmp_ne_u32_e32 vcc_lo, 0, v11
	v_add_nc_u32_e32 v14, 0x1000000, v11
	s_delay_alu instid0(VALU_DEP_3) | instskip(NEXT) | instid1(VALU_DEP_1)
	v_min_u32_e32 v12, 32, v12
	v_sub_nc_u32_e64 v12, v12, 4 clamp
	s_delay_alu instid0(VALU_DEP_1) | instskip(NEXT) | instid1(VALU_DEP_1)
	v_dual_lshlrev_b32 v13, v12, v11 :: v_dual_lshlrev_b32 v12, 23, v12
	v_lshrrev_b32_e32 v13, 4, v13
	s_delay_alu instid0(VALU_DEP_1) | instskip(NEXT) | instid1(VALU_DEP_1)
	v_dual_sub_nc_u32 v12, v13, v12 :: v_dual_ashrrev_i32 v13, 8, v14
	v_add_nc_u32_e32 v12, 0x3c000000, v12
	s_delay_alu instid0(VALU_DEP_1) | instskip(NEXT) | instid1(VALU_DEP_1)
	v_and_or_b32 v12, 0x7f800000, v13, v12
	v_cndmask_b32_e32 v11, 0, v12, vcc_lo
	s_delay_alu instid0(VALU_DEP_1) | instskip(NEXT) | instid1(VALU_DEP_1)
	v_and_or_b32 v10, 0x80000000, v10, v11
	v_trunc_f32_e32 v10, v10
	s_delay_alu instid0(VALU_DEP_1) | instskip(NEXT) | instid1(VALU_DEP_1)
	v_mul_f32_e64 v11, 0x2f800000, |v10|
	v_floor_f32_e32 v11, v11
	s_delay_alu instid0(VALU_DEP_1) | instskip(SKIP_2) | instid1(VALU_DEP_3)
	v_fma_f32 v12, 0xcf800000, v11, |v10|
	v_ashrrev_i32_e32 v10, 31, v10
	v_cvt_u32_f32_e32 v13, v11
	v_cvt_u32_f32_e32 v12, v12
	s_delay_alu instid0(VALU_DEP_2) | instskip(NEXT) | instid1(VALU_DEP_2)
	v_dual_mov_b32 v11, v10 :: v_dual_bitop2_b32 v13, v13, v10 bitop3:0x14
	v_xor_b32_e32 v12, v12, v10
	s_delay_alu instid0(VALU_DEP_1)
	v_sub_nc_u64_e32 v[10:11], v[12:13], v[10:11]
.LBB94_1966:
	s_mov_b32 s31, 0
.LBB94_1967:
	s_delay_alu instid0(SALU_CYCLE_1)
	s_and_not1_b32 vcc_lo, exec_lo, s31
	s_cbranch_vccnz .LBB94_1969
; %bb.1968:
	s_wait_loadcnt 0x0
	global_load_u8 v10, v[8:9], off
	s_wait_loadcnt 0x0
	v_lshlrev_b32_e32 v11, 25, v10
	v_lshlrev_b16 v10, 8, v10
	s_delay_alu instid0(VALU_DEP_1) | instskip(SKIP_1) | instid1(VALU_DEP_2)
	v_and_or_b32 v13, 0x7f00, v10, 0.5
	v_bfe_i32 v10, v10, 0, 16
	v_dual_add_f32 v13, -0.5, v13 :: v_dual_lshrrev_b32 v12, 4, v11
	v_cmp_gt_u32_e32 vcc_lo, 0x8000000, v11
	s_delay_alu instid0(VALU_DEP_2) | instskip(NEXT) | instid1(VALU_DEP_1)
	v_or_b32_e32 v12, 0x70000000, v12
	v_mul_f32_e32 v12, 0x7800000, v12
	s_delay_alu instid0(VALU_DEP_1) | instskip(NEXT) | instid1(VALU_DEP_1)
	v_cndmask_b32_e32 v11, v12, v13, vcc_lo
	v_and_or_b32 v10, 0x80000000, v10, v11
	s_delay_alu instid0(VALU_DEP_1) | instskip(NEXT) | instid1(VALU_DEP_1)
	v_trunc_f32_e32 v10, v10
	v_mul_f32_e64 v11, 0x2f800000, |v10|
	s_delay_alu instid0(VALU_DEP_1) | instskip(NEXT) | instid1(VALU_DEP_1)
	v_floor_f32_e32 v11, v11
	v_fma_f32 v12, 0xcf800000, v11, |v10|
	v_ashrrev_i32_e32 v10, 31, v10
	v_cvt_u32_f32_e32 v13, v11
	s_delay_alu instid0(VALU_DEP_3) | instskip(NEXT) | instid1(VALU_DEP_2)
	v_cvt_u32_f32_e32 v12, v12
	v_dual_mov_b32 v11, v10 :: v_dual_bitop2_b32 v13, v13, v10 bitop3:0x14
	s_delay_alu instid0(VALU_DEP_2) | instskip(NEXT) | instid1(VALU_DEP_1)
	v_xor_b32_e32 v12, v12, v10
	v_sub_nc_u64_e32 v[10:11], v[12:13], v[10:11]
.LBB94_1969:
	s_mov_b32 s38, 0
	s_mov_b32 s31, -1
.LBB94_1970:
	s_and_not1_b32 vcc_lo, exec_lo, s38
	s_cbranch_vccnz .LBB94_1983
; %bb.1971:
	s_cmp_gt_i32 s1, 14
	s_cbranch_scc0 .LBB94_1974
; %bb.1972:
	s_cmp_eq_u32 s1, 15
	s_cbranch_scc0 .LBB94_1977
; %bb.1973:
	s_wait_loadcnt 0x0
	global_load_u16 v10, v[8:9], off
	s_mov_b32 s31, -1
	s_mov_b32 s85, 0
	s_wait_loadcnt 0x0
	v_lshlrev_b32_e32 v10, 16, v10
	s_delay_alu instid0(VALU_DEP_1) | instskip(NEXT) | instid1(VALU_DEP_1)
	v_trunc_f32_e32 v10, v10
	v_mul_f32_e64 v11, 0x2f800000, |v10|
	s_delay_alu instid0(VALU_DEP_1) | instskip(NEXT) | instid1(VALU_DEP_1)
	v_floor_f32_e32 v11, v11
	v_fma_f32 v12, 0xcf800000, v11, |v10|
	v_ashrrev_i32_e32 v10, 31, v10
	v_cvt_u32_f32_e32 v13, v11
	s_delay_alu instid0(VALU_DEP_3) | instskip(NEXT) | instid1(VALU_DEP_2)
	v_cvt_u32_f32_e32 v12, v12
	v_dual_mov_b32 v11, v10 :: v_dual_bitop2_b32 v13, v13, v10 bitop3:0x14
	s_delay_alu instid0(VALU_DEP_2) | instskip(NEXT) | instid1(VALU_DEP_1)
	v_xor_b32_e32 v12, v12, v10
	v_sub_nc_u64_e32 v[10:11], v[12:13], v[10:11]
	s_branch .LBB94_1978
.LBB94_1974:
	s_mov_b32 s38, -1
                                        ; implicit-def: $vgpr10_vgpr11
	s_branch .LBB94_1979
.LBB94_1975:
	s_and_not1_saveexec_b32 s31, s31
	s_cbranch_execz .LBB94_1956
.LBB94_1976:
	v_cmp_ne_u16_e32 vcc_lo, 0, v12
	s_and_not1_b32 s38, s38, exec_lo
	s_and_b32 s39, vcc_lo, exec_lo
	s_delay_alu instid0(SALU_CYCLE_1)
	s_or_b32 s38, s38, s39
	s_or_b32 exec_lo, exec_lo, s31
	v_mov_b64_e32 v[10:11], 0
	s_and_saveexec_b32 s31, s38
	s_cbranch_execnz .LBB94_1957
	s_branch .LBB94_1958
.LBB94_1977:
	s_mov_b32 s85, -1
                                        ; implicit-def: $vgpr10_vgpr11
.LBB94_1978:
	s_mov_b32 s38, 0
.LBB94_1979:
	s_delay_alu instid0(SALU_CYCLE_1)
	s_and_b32 vcc_lo, exec_lo, s38
	s_cbranch_vccz .LBB94_1983
; %bb.1980:
	s_cmp_eq_u32 s1, 11
	s_cbranch_scc0 .LBB94_1982
; %bb.1981:
	s_wait_loadcnt 0x0
	global_load_u8 v10, v[8:9], off
	s_mov_b32 s85, 0
	s_mov_b32 s31, -1
	v_mov_b32_e32 v11, s85
	s_wait_loadcnt 0x0
	v_cmp_ne_u16_e32 vcc_lo, 0, v10
	v_cndmask_b32_e64 v10, 0, 1, vcc_lo
	s_branch .LBB94_1983
.LBB94_1982:
	s_mov_b32 s85, -1
                                        ; implicit-def: $vgpr10_vgpr11
.LBB94_1983:
	s_mov_b32 s1, 0
.LBB94_1984:
	s_delay_alu instid0(SALU_CYCLE_1)
	s_and_b32 vcc_lo, exec_lo, s1
	s_cbranch_vccz .LBB94_2033
; %bb.1985:
	s_and_b32 s0, 0xffff, s0
	s_delay_alu instid0(SALU_CYCLE_1)
	s_cmp_lt_i32 s0, 5
	s_cbranch_scc1 .LBB94_1990
; %bb.1986:
	s_cmp_lt_i32 s0, 8
	s_cbranch_scc1 .LBB94_1991
; %bb.1987:
	;; [unrolled: 3-line block ×3, first 2 shown]
	s_cmp_gt_i32 s0, 9
	s_cbranch_scc0 .LBB94_1993
; %bb.1989:
	s_wait_loadcnt 0x0
	global_load_b64 v[10:11], v[8:9], off
	s_mov_b32 s1, 0
	s_wait_loadcnt 0x0
	v_trunc_f64_e32 v[10:11], v[10:11]
	s_delay_alu instid0(VALU_DEP_1) | instskip(NEXT) | instid1(VALU_DEP_1)
	v_ldexp_f64 v[12:13], v[10:11], 0xffffffe0
	v_floor_f64_e32 v[12:13], v[12:13]
	s_delay_alu instid0(VALU_DEP_1) | instskip(SKIP_1) | instid1(VALU_DEP_2)
	v_fmamk_f64 v[14:15], v[12:13], 0xc1f00000, v[10:11]
	v_cvt_i32_f64_e32 v11, v[12:13]
	v_cvt_u32_f64_e32 v10, v[14:15]
	s_branch .LBB94_1994
.LBB94_1990:
	s_mov_b32 s1, -1
                                        ; implicit-def: $vgpr10_vgpr11
	s_branch .LBB94_2012
.LBB94_1991:
	s_mov_b32 s1, -1
                                        ; implicit-def: $vgpr10_vgpr11
	s_branch .LBB94_2000
.LBB94_1992:
	s_mov_b32 s1, -1
                                        ; implicit-def: $vgpr10_vgpr11
	s_branch .LBB94_1997
.LBB94_1993:
	s_mov_b32 s1, -1
                                        ; implicit-def: $vgpr10_vgpr11
.LBB94_1994:
	s_delay_alu instid0(SALU_CYCLE_1)
	s_and_not1_b32 vcc_lo, exec_lo, s1
	s_cbranch_vccnz .LBB94_1996
; %bb.1995:
	s_wait_loadcnt 0x0
	global_load_b32 v10, v[8:9], off
	s_wait_loadcnt 0x0
	v_trunc_f32_e32 v10, v10
	s_delay_alu instid0(VALU_DEP_1) | instskip(NEXT) | instid1(VALU_DEP_1)
	v_mul_f32_e64 v11, 0x2f800000, |v10|
	v_floor_f32_e32 v11, v11
	s_delay_alu instid0(VALU_DEP_1) | instskip(SKIP_2) | instid1(VALU_DEP_3)
	v_fma_f32 v12, 0xcf800000, v11, |v10|
	v_ashrrev_i32_e32 v10, 31, v10
	v_cvt_u32_f32_e32 v13, v11
	v_cvt_u32_f32_e32 v12, v12
	s_delay_alu instid0(VALU_DEP_2) | instskip(NEXT) | instid1(VALU_DEP_2)
	v_dual_mov_b32 v11, v10 :: v_dual_bitop2_b32 v13, v13, v10 bitop3:0x14
	v_xor_b32_e32 v12, v12, v10
	s_delay_alu instid0(VALU_DEP_1)
	v_sub_nc_u64_e32 v[10:11], v[12:13], v[10:11]
.LBB94_1996:
	s_mov_b32 s1, 0
.LBB94_1997:
	s_delay_alu instid0(SALU_CYCLE_1)
	s_and_not1_b32 vcc_lo, exec_lo, s1
	s_cbranch_vccnz .LBB94_1999
; %bb.1998:
	s_wait_loadcnt 0x0
	global_load_b32 v10, v[8:9], off
	s_wait_loadcnt 0x0
	v_cvt_f32_f16_e32 v10, v10
	s_delay_alu instid0(VALU_DEP_1) | instskip(NEXT) | instid1(VALU_DEP_1)
	v_cvt_i32_f32_e32 v10, v10
	v_ashrrev_i32_e32 v11, 31, v10
.LBB94_1999:
	s_mov_b32 s1, 0
.LBB94_2000:
	s_delay_alu instid0(SALU_CYCLE_1)
	s_and_not1_b32 vcc_lo, exec_lo, s1
	s_cbranch_vccnz .LBB94_2011
; %bb.2001:
	s_cmp_lt_i32 s0, 6
	s_cbranch_scc1 .LBB94_2004
; %bb.2002:
	s_cmp_gt_i32 s0, 6
	s_cbranch_scc0 .LBB94_2005
; %bb.2003:
	s_wait_loadcnt 0x0
	global_load_b64 v[10:11], v[8:9], off
	s_mov_b32 s1, 0
	s_wait_loadcnt 0x0
	v_trunc_f64_e32 v[10:11], v[10:11]
	s_delay_alu instid0(VALU_DEP_1) | instskip(NEXT) | instid1(VALU_DEP_1)
	v_ldexp_f64 v[12:13], v[10:11], 0xffffffe0
	v_floor_f64_e32 v[12:13], v[12:13]
	s_delay_alu instid0(VALU_DEP_1) | instskip(SKIP_1) | instid1(VALU_DEP_2)
	v_fmamk_f64 v[14:15], v[12:13], 0xc1f00000, v[10:11]
	v_cvt_i32_f64_e32 v11, v[12:13]
	v_cvt_u32_f64_e32 v10, v[14:15]
	s_branch .LBB94_2006
.LBB94_2004:
	s_mov_b32 s1, -1
                                        ; implicit-def: $vgpr10_vgpr11
	s_branch .LBB94_2009
.LBB94_2005:
	s_mov_b32 s1, -1
                                        ; implicit-def: $vgpr10_vgpr11
.LBB94_2006:
	s_delay_alu instid0(SALU_CYCLE_1)
	s_and_not1_b32 vcc_lo, exec_lo, s1
	s_cbranch_vccnz .LBB94_2008
; %bb.2007:
	s_wait_loadcnt 0x0
	global_load_b32 v10, v[8:9], off
	s_wait_loadcnt 0x0
	v_trunc_f32_e32 v10, v10
	s_delay_alu instid0(VALU_DEP_1) | instskip(NEXT) | instid1(VALU_DEP_1)
	v_mul_f32_e64 v11, 0x2f800000, |v10|
	v_floor_f32_e32 v11, v11
	s_delay_alu instid0(VALU_DEP_1) | instskip(SKIP_2) | instid1(VALU_DEP_3)
	v_fma_f32 v12, 0xcf800000, v11, |v10|
	v_ashrrev_i32_e32 v10, 31, v10
	v_cvt_u32_f32_e32 v13, v11
	v_cvt_u32_f32_e32 v12, v12
	s_delay_alu instid0(VALU_DEP_2) | instskip(NEXT) | instid1(VALU_DEP_2)
	v_dual_mov_b32 v11, v10 :: v_dual_bitop2_b32 v13, v13, v10 bitop3:0x14
	v_xor_b32_e32 v12, v12, v10
	s_delay_alu instid0(VALU_DEP_1)
	v_sub_nc_u64_e32 v[10:11], v[12:13], v[10:11]
.LBB94_2008:
	s_mov_b32 s1, 0
.LBB94_2009:
	s_delay_alu instid0(SALU_CYCLE_1)
	s_and_not1_b32 vcc_lo, exec_lo, s1
	s_cbranch_vccnz .LBB94_2011
; %bb.2010:
	s_wait_loadcnt 0x0
	global_load_u16 v10, v[8:9], off
	s_wait_loadcnt 0x0
	v_cvt_f32_f16_e32 v10, v10
	s_delay_alu instid0(VALU_DEP_1) | instskip(NEXT) | instid1(VALU_DEP_1)
	v_cvt_i32_f32_e32 v10, v10
	v_ashrrev_i32_e32 v11, 31, v10
.LBB94_2011:
	s_mov_b32 s1, 0
.LBB94_2012:
	s_delay_alu instid0(SALU_CYCLE_1)
	s_and_not1_b32 vcc_lo, exec_lo, s1
	s_cbranch_vccnz .LBB94_2032
; %bb.2013:
	s_cmp_lt_i32 s0, 2
	s_cbranch_scc1 .LBB94_2017
; %bb.2014:
	s_cmp_lt_i32 s0, 3
	s_cbranch_scc1 .LBB94_2018
; %bb.2015:
	s_cmp_gt_i32 s0, 3
	s_cbranch_scc0 .LBB94_2019
; %bb.2016:
	s_wait_loadcnt 0x0
	global_load_b64 v[10:11], v[8:9], off
	s_mov_b32 s1, 0
	s_branch .LBB94_2020
.LBB94_2017:
	s_mov_b32 s1, -1
                                        ; implicit-def: $vgpr10_vgpr11
	s_branch .LBB94_2026
.LBB94_2018:
	s_mov_b32 s1, -1
                                        ; implicit-def: $vgpr10_vgpr11
	s_branch .LBB94_2023
.LBB94_2019:
	s_mov_b32 s1, -1
                                        ; implicit-def: $vgpr10_vgpr11
.LBB94_2020:
	s_delay_alu instid0(SALU_CYCLE_1)
	s_and_not1_b32 vcc_lo, exec_lo, s1
	s_cbranch_vccnz .LBB94_2022
; %bb.2021:
	s_wait_loadcnt 0x0
	global_load_b32 v10, v[8:9], off
	s_wait_loadcnt 0x0
	v_ashrrev_i32_e32 v11, 31, v10
.LBB94_2022:
	s_mov_b32 s1, 0
.LBB94_2023:
	s_delay_alu instid0(SALU_CYCLE_1)
	s_and_not1_b32 vcc_lo, exec_lo, s1
	s_cbranch_vccnz .LBB94_2025
; %bb.2024:
	s_wait_loadcnt 0x0
	global_load_u16 v10, v[8:9], off
	s_wait_loadcnt 0x0
	v_bfe_i32 v10, v10, 0, 16
	s_delay_alu instid0(VALU_DEP_1)
	v_ashrrev_i32_e32 v11, 31, v10
.LBB94_2025:
	s_mov_b32 s1, 0
.LBB94_2026:
	s_delay_alu instid0(SALU_CYCLE_1)
	s_and_not1_b32 vcc_lo, exec_lo, s1
	s_cbranch_vccnz .LBB94_2032
; %bb.2027:
	s_cmp_gt_i32 s0, 0
	s_mov_b32 s0, 0
	s_cbranch_scc0 .LBB94_2029
; %bb.2028:
	s_wait_loadcnt 0x0
	global_load_i8 v10, v[8:9], off
	s_wait_loadcnt 0x0
	v_bfe_i32 v10, v10, 0, 16
	s_delay_alu instid0(VALU_DEP_1)
	v_ashrrev_i32_e32 v11, 31, v10
	s_branch .LBB94_2030
.LBB94_2029:
	s_mov_b32 s0, -1
                                        ; implicit-def: $vgpr10_vgpr11
.LBB94_2030:
	s_delay_alu instid0(SALU_CYCLE_1)
	s_and_not1_b32 vcc_lo, exec_lo, s0
	s_cbranch_vccnz .LBB94_2032
; %bb.2031:
	global_load_u8 v8, v[8:9], off
	s_mov_b32 s0, 0
	s_wait_loadcnt 0x1
	v_mov_b32_e32 v11, s0
	s_wait_loadcnt 0x0
	v_and_b32_e32 v10, 0xffff, v8
.LBB94_2032:
	s_mov_b32 s31, -1
.LBB94_2033:
	s_delay_alu instid0(SALU_CYCLE_1)
	s_and_not1_b32 vcc_lo, exec_lo, s31
	s_cbranch_vccnz .LBB94_2044
; %bb.2034:
	s_wait_loadcnt 0x0
	v_cmp_eq_u64_e32 vcc_lo, s[4:5], v[0:1]
	s_mov_b32 s0, 0
	s_mov_b32 s39, -1
	s_mov_b32 s40, s74
	s_mov_b32 s38, s78
	;; [unrolled: 1-line block ×4, first 2 shown]
	s_and_b32 s41, s52, vcc_lo
	s_wait_xcnt 0x0
	s_and_saveexec_b32 s86, s41
	s_cbranch_execz .LBB94_4195
; %bb.2035:
	v_cmp_eq_u64_e32 vcc_lo, s[8:9], v[2:3]
	s_mov_b32 s38, -1
	s_mov_b32 s39, s78
	s_mov_b32 s31, s77
	;; [unrolled: 1-line block ×3, first 2 shown]
	s_and_b32 s1, s51, vcc_lo
	s_delay_alu instid0(SALU_CYCLE_1)
	s_and_saveexec_b32 s87, s1
	s_cbranch_execz .LBB94_3681
; %bb.2036:
	v_sub_nc_u64_e32 v[0:1], v[6:7], v[4:5]
	s_mov_b32 s1, 0
	s_mov_b32 s31, -1
	s_mov_b32 s39, s76
	s_delay_alu instid0(VALU_DEP_1) | instskip(SKIP_4) | instid1(SALU_CYCLE_1)
	v_cmp_le_i64_e32 vcc_lo, s[4:5], v[0:1]
	v_cmp_ge_i64_e64 s0, s[6:7], v[0:1]
	s_and_b32 s38, vcc_lo, s0
	s_mov_b32 s0, s77
	s_and_b32 s38, s50, s38
	s_and_saveexec_b32 s88, s38
	s_cbranch_execz .LBB94_3680
; %bb.2037:
	v_cmp_lt_i64_e64 s0, s[8:9], 1
	v_mov_b64_e32 v[0:1], 0
	s_xor_b32 s1, s37, -1
	s_delay_alu instid0(SALU_CYCLE_1) | instskip(NEXT) | instid1(SALU_CYCLE_1)
	s_or_b32 s0, s0, s1
	s_and_b32 vcc_lo, exec_lo, s0
	s_cbranch_vccnz .LBB94_2060
; %bb.2038:
	v_mul_u64_e32 v[8:9], s[8:9], v[10:11]
	s_mov_b32 s1, 0
	v_mov_b64_e32 v[0:1], 0
	s_mov_b32 s31, s1
	v_mov_b32_e32 v2, 0
	s_lshl_b64 s[40:41], s[30:31], 3
	s_mov_b64 s[38:39], 0xffffffff
	s_add_nc_u64 s[40:41], s[28:29], s[40:41]
	s_mov_b32 s31, s10
	s_add_nc_u64 s[40:41], s[40:41], 0x68
	s_branch .LBB94_2040
.LBB94_2039:                            ;   in Loop: Header=BB94_2040 Depth=1
	s_or_b32 exec_lo, exec_lo, s0
	s_delay_alu instid0(VALU_DEP_1)
	v_mul_u64_e32 v[12:13], s[42:43], v[10:11]
	s_load_b64 s[42:43], s[40:41], 0x40
	s_add_co_i32 s31, s31, -1
	s_wait_xcnt 0x0
	s_add_nc_u64 s[40:41], s[40:41], -8
	s_cmp_lg_u32 s31, 0
	s_delay_alu instid0(VALU_DEP_1) | instskip(SKIP_1) | instid1(VALU_DEP_1)
	v_sub_nc_u64_e32 v[8:9], v[8:9], v[12:13]
	s_wait_kmcnt 0x0
	v_mad_nc_u64_u32 v[0:1], v8, s42, v[0:1]
	s_delay_alu instid0(VALU_DEP_1) | instskip(NEXT) | instid1(VALU_DEP_1)
	v_mad_u32 v1, v9, s42, v1
	v_mad_u32 v1, v8, s43, v1
	v_mov_b64_e32 v[8:9], v[10:11]
	s_cbranch_scc0 .LBB94_2060
.LBB94_2040:                            ; =>This Inner Loop Header: Depth=1
	s_load_b64 s[42:43], s[40:41], 0x0
                                        ; implicit-def: $vgpr10_vgpr11
	s_mov_b32 s0, exec_lo
	s_wait_kmcnt 0x0
	s_delay_alu instid0(VALU_DEP_1) | instskip(NEXT) | instid1(VALU_DEP_1)
	v_or_b32_e32 v3, s43, v9
	v_cmpx_ne_u64_e32 0, v[2:3]
	s_xor_b32 s89, exec_lo, s0
	s_cbranch_execz .LBB94_2042
; %bb.2041:                             ;   in Loop: Header=BB94_2040 Depth=1
	s_ashr_i32 s44, s43, 31
	v_dual_mov_b32 v15, v2 :: v_dual_ashrrev_i32 v10, 31, v9
	s_mov_b32 s45, s44
	v_mov_b32_e32 v23, v2
	s_add_nc_u64 s[46:47], s[42:43], s[44:45]
	s_delay_alu instid0(VALU_DEP_2) | instskip(SKIP_1) | instid1(SALU_CYCLE_1)
	v_mov_b32_e32 v11, v10
	s_xor_b64 s[46:47], s[46:47], s[44:45]
	s_cvt_f32_u32 s0, s46
	s_cvt_f32_u32 s45, s47
	s_sub_nc_u64 s[92:93], 0, s[46:47]
	v_add_nc_u64_e32 v[12:13], v[8:9], v[10:11]
	v_mov_b32_e32 v19, v2
	s_fmamk_f32 s0, s45, 0x4f800000, s0
	s_delay_alu instid0(SALU_CYCLE_3) | instskip(NEXT) | instid1(VALU_DEP_2)
	v_s_rcp_f32 s0, s0
	v_xor_b32_e32 v14, v12, v10
	s_delay_alu instid0(VALU_DEP_3) | instskip(NEXT) | instid1(TRANS32_DEP_1)
	v_xor_b32_e32 v18, v13, v10
	s_mul_f32 s0, s0, 0x5f7ffffc
	s_delay_alu instid0(SALU_CYCLE_3) | instskip(NEXT) | instid1(SALU_CYCLE_3)
	s_mul_f32 s45, s0, 0x2f800000
	s_trunc_f32 s45, s45
	s_delay_alu instid0(SALU_CYCLE_3) | instskip(SKIP_1) | instid1(SALU_CYCLE_2)
	s_fmamk_f32 s0, s45, 0xcf800000, s0
	s_cvt_u32_f32 s91, s45
	s_cvt_u32_f32 s90, s0
	s_delay_alu instid0(SALU_CYCLE_3) | instskip(NEXT) | instid1(SALU_CYCLE_1)
	s_mul_u64 s[94:95], s[92:93], s[90:91]
	s_mul_hi_u32 s97, s90, s95
	s_mul_i32 s96, s90, s95
	s_mul_hi_u32 s0, s90, s94
	s_mul_i32 s98, s91, s94
	s_add_nc_u64 s[96:97], s[0:1], s[96:97]
	s_mul_hi_u32 s45, s91, s94
	s_mul_hi_u32 s99, s91, s95
	s_add_co_u32 s0, s96, s98
	s_add_co_ci_u32 s0, s97, s45
	s_mul_i32 s94, s91, s95
	s_add_co_ci_u32 s95, s99, 0
	s_delay_alu instid0(SALU_CYCLE_1) | instskip(NEXT) | instid1(SALU_CYCLE_1)
	s_add_nc_u64 s[94:95], s[0:1], s[94:95]
	s_add_co_u32 s90, s90, s94
	s_cselect_b32 s0, -1, 0
	s_delay_alu instid0(SALU_CYCLE_1) | instskip(SKIP_1) | instid1(SALU_CYCLE_1)
	s_cmp_lg_u32 s0, 0
	s_add_co_ci_u32 s91, s91, s95
	s_mul_u64 s[92:93], s[92:93], s[90:91]
	s_delay_alu instid0(SALU_CYCLE_1)
	s_mul_hi_u32 s95, s90, s93
	s_mul_i32 s94, s90, s93
	s_mul_hi_u32 s0, s90, s92
	s_mul_i32 s96, s91, s92
	s_add_nc_u64 s[94:95], s[0:1], s[94:95]
	s_mul_hi_u32 s45, s91, s92
	s_mul_hi_u32 s97, s91, s93
	s_add_co_u32 s0, s94, s96
	s_add_co_ci_u32 s0, s95, s45
	s_mul_i32 s92, s91, s93
	s_add_co_ci_u32 s93, s97, 0
	s_delay_alu instid0(SALU_CYCLE_1) | instskip(NEXT) | instid1(SALU_CYCLE_1)
	s_add_nc_u64 s[92:93], s[0:1], s[92:93]
	s_add_co_u32 s90, s90, s92
	s_cselect_b32 s0, -1, 0
	v_mul_hi_u32 v22, v14, s90
	s_cmp_lg_u32 s0, 0
	s_add_co_ci_u32 s0, s91, s93
	s_and_b64 s[92:93], s[90:91], s[38:39]
	v_mul_u64_e32 v[16:17], s[0:1], v[14:15]
	v_mul_u64_e32 v[12:13], s[92:93], v[18:19]
	;; [unrolled: 1-line block ×3, first 2 shown]
	s_delay_alu instid0(VALU_DEP_3) | instskip(NEXT) | instid1(VALU_DEP_1)
	v_add_nc_u64_e32 v[16:17], v[22:23], v[16:17]
	v_add_co_u32 v3, vcc_lo, v16, v12
	s_delay_alu instid0(VALU_DEP_2) | instskip(NEXT) | instid1(VALU_DEP_4)
	v_add_co_ci_u32_e32 v22, vcc_lo, v17, v13, vcc_lo
	v_add_co_ci_u32_e32 v21, vcc_lo, 0, v21, vcc_lo
	s_delay_alu instid0(VALU_DEP_1) | instskip(NEXT) | instid1(VALU_DEP_1)
	v_add_nc_u64_e32 v[12:13], v[22:23], v[20:21]
	v_mul_u64_e32 v[16:17], s[46:47], v[12:13]
	s_delay_alu instid0(VALU_DEP_1) | instskip(NEXT) | instid1(VALU_DEP_2)
	v_sub_nc_u32_e32 v3, v18, v17
	v_sub_co_u32 v11, vcc_lo, v14, v16
	s_delay_alu instid0(VALU_DEP_1) | instskip(NEXT) | instid1(VALU_DEP_3)
	v_sub_co_ci_u32_e64 v18, null, v18, v17, vcc_lo
	v_subrev_co_ci_u32_e64 v3, null, s47, v3, vcc_lo
	s_delay_alu instid0(VALU_DEP_3) | instskip(SKIP_1) | instid1(VALU_DEP_3)
	v_sub_co_u32 v14, s0, v11, s46
	v_add_nc_u64_e32 v[16:17], 1, v[12:13]
	v_subrev_co_ci_u32_e64 v3, null, 0, v3, s0
	s_delay_alu instid0(VALU_DEP_3) | instskip(SKIP_1) | instid1(VALU_DEP_3)
	v_cmp_le_u32_e32 vcc_lo, s46, v14
	v_cndmask_b32_e64 v14, 0, -1, vcc_lo
	v_cmp_le_u32_e32 vcc_lo, s47, v3
	v_cndmask_b32_e64 v15, 0, -1, vcc_lo
	;; [unrolled: 2-line block ×4, first 2 shown]
	v_cmp_eq_u32_e32 vcc_lo, s47, v3
	v_cndmask_b32_e32 v3, v15, v14, vcc_lo
	v_cmp_eq_u32_e32 vcc_lo, s47, v18
	v_add_nc_u64_e32 v[14:15], 2, v[12:13]
	v_cndmask_b32_e32 v11, v19, v11, vcc_lo
	s_delay_alu instid0(VALU_DEP_4) | instskip(NEXT) | instid1(VALU_DEP_2)
	v_cmp_ne_u32_e32 vcc_lo, 0, v3
	v_cmp_ne_u32_e64 s0, 0, v11
	s_delay_alu instid0(VALU_DEP_4) | instskip(NEXT) | instid1(VALU_DEP_1)
	v_dual_cndmask_b32 v3, v17, v15, vcc_lo :: v_dual_cndmask_b32 v11, v16, v14, vcc_lo
	v_dual_cndmask_b32 v3, v13, v3, s0 :: v_dual_bitop2_b32 v10, s44, v10 bitop3:0x14
	s_delay_alu instid0(VALU_DEP_1) | instskip(NEXT) | instid1(VALU_DEP_2)
	v_dual_cndmask_b32 v12, v12, v11, s0 :: v_dual_mov_b32 v11, v10
	v_xor_b32_e32 v13, v3, v10
	s_delay_alu instid0(VALU_DEP_2) | instskip(NEXT) | instid1(VALU_DEP_1)
	v_xor_b32_e32 v12, v12, v10
	v_sub_nc_u64_e32 v[10:11], v[12:13], v[10:11]
.LBB94_2042:                            ;   in Loop: Header=BB94_2040 Depth=1
	s_and_not1_saveexec_b32 s0, s89
	s_cbranch_execz .LBB94_2039
; %bb.2043:                             ;   in Loop: Header=BB94_2040 Depth=1
	v_cvt_f32_u32_e32 v3, s42
	s_sub_co_i32 s44, 0, s42
	s_delay_alu instid0(VALU_DEP_1) | instskip(SKIP_1) | instid1(TRANS32_DEP_1)
	v_rcp_iflag_f32_e32 v3, v3
	v_nop
	v_mul_f32_e32 v3, 0x4f7ffffe, v3
	s_delay_alu instid0(VALU_DEP_1) | instskip(NEXT) | instid1(VALU_DEP_1)
	v_cvt_u32_f32_e32 v3, v3
	v_mul_lo_u32 v10, s44, v3
	s_delay_alu instid0(VALU_DEP_1) | instskip(NEXT) | instid1(VALU_DEP_1)
	v_mul_hi_u32 v10, v3, v10
	v_add_nc_u32_e32 v3, v3, v10
	s_delay_alu instid0(VALU_DEP_1) | instskip(NEXT) | instid1(VALU_DEP_1)
	v_mul_hi_u32 v3, v8, v3
	v_mul_lo_u32 v10, v3, s42
	s_delay_alu instid0(VALU_DEP_1) | instskip(NEXT) | instid1(VALU_DEP_1)
	v_dual_add_nc_u32 v11, 1, v3 :: v_dual_sub_nc_u32 v10, v8, v10
	v_subrev_nc_u32_e32 v12, s42, v10
	v_cmp_le_u32_e32 vcc_lo, s42, v10
	s_delay_alu instid0(VALU_DEP_2) | instskip(NEXT) | instid1(VALU_DEP_1)
	v_dual_cndmask_b32 v10, v10, v12 :: v_dual_cndmask_b32 v3, v3, v11
	v_cmp_le_u32_e32 vcc_lo, s42, v10
	s_delay_alu instid0(VALU_DEP_2) | instskip(NEXT) | instid1(VALU_DEP_1)
	v_add_nc_u32_e32 v11, 1, v3
	v_dual_cndmask_b32 v10, v3, v11 :: v_dual_mov_b32 v11, v2
	s_branch .LBB94_2039
.LBB94_2044:
	s_mov_b32 s0, 0
	s_mov_b32 s1, s76
	;; [unrolled: 1-line block ×6, first 2 shown]
.LBB94_2045:
                                        ; implicit-def: $vgpr26
.LBB94_2046:
	s_and_not1_b32 s41, s76, exec_lo
	s_and_b32 s1, s1, exec_lo
	s_and_not1_b32 s42, s77, exec_lo
	s_and_b32 s31, s31, exec_lo
	s_or_b32 s45, s41, s1
	s_or_b32 s42, s42, s31
	s_and_not1_b32 s1, s78, exec_lo
	s_and_b32 s31, s38, exec_lo
	s_and_not1_b32 s38, s74, exec_lo
	s_and_b32 s40, s40, exec_lo
	s_or_b32 s44, s1, s31
	s_or_b32 s40, s38, s40
	;; [unrolled: 6-line block ×5, first 2 shown]
	s_or_not1_b32 s82, s0, exec_lo
.LBB94_2047:
	s_wait_xcnt 0x0
	s_or_b32 exec_lo, exec_lo, s80
	s_mov_b32 s47, 0
	s_mov_b32 s80, 0
	;; [unrolled: 1-line block ×3, first 2 shown]
                                        ; implicit-def: $sgpr0
                                        ; implicit-def: $vgpr2_vgpr3
                                        ; implicit-def: $vgpr0_vgpr1
	s_and_saveexec_b32 s46, s82
	s_cbranch_execz .LBB94_2138
; %bb.2048:
	v_cmp_gt_i32_e32 vcc_lo, s57, v26
	s_mov_b32 s57, 0
	s_mov_b32 s82, s1
                                        ; implicit-def: $sgpr0
                                        ; implicit-def: $vgpr2_vgpr3
                                        ; implicit-def: $vgpr0_vgpr1
	s_and_saveexec_b32 s47, vcc_lo
	s_cbranch_execz .LBB94_2137
; %bb.2049:
	s_wait_loadcnt 0x0
	v_mul_lo_u32 v0, s24, v26
	s_and_b32 s0, s58, 0xff
	s_delay_alu instid0(SALU_CYCLE_1) | instskip(NEXT) | instid1(VALU_DEP_1)
	s_cmp_lt_i32 s0, 11
	v_ashrrev_i32_e32 v1, 31, v0
	s_delay_alu instid0(VALU_DEP_1)
	v_add_nc_u64_e32 v[2:3], s[12:13], v[0:1]
	s_cbranch_scc1 .LBB94_2056
; %bb.2050:
	s_and_b32 s12, 0xffff, s0
	s_mov_b32 s24, 0
	s_cmp_gt_i32 s12, 25
	s_cbranch_scc0 .LBB94_2057
; %bb.2051:
	s_cmp_gt_i32 s12, 28
	s_cbranch_scc0 .LBB94_2058
; %bb.2052:
	;; [unrolled: 3-line block ×4, first 2 shown]
	s_cmp_eq_u32 s12, 46
	s_mov_b32 s58, 0
	s_cbranch_scc0 .LBB94_2075
; %bb.2055:
	global_load_b32 v0, v[2:3], off
	s_mov_b32 s13, 0
	s_mov_b32 s57, -1
	s_wait_loadcnt 0x0
	v_lshlrev_b32_e32 v0, 16, v0
	s_delay_alu instid0(VALU_DEP_1) | instskip(NEXT) | instid1(VALU_DEP_1)
	v_trunc_f32_e32 v0, v0
	v_mul_f32_e64 v1, 0x2f800000, |v0|
	s_delay_alu instid0(VALU_DEP_1) | instskip(NEXT) | instid1(VALU_DEP_1)
	v_floor_f32_e32 v1, v1
	v_fma_f32 v4, 0xcf800000, v1, |v0|
	v_ashrrev_i32_e32 v0, 31, v0
	v_cvt_u32_f32_e32 v5, v1
	s_delay_alu instid0(VALU_DEP_3) | instskip(NEXT) | instid1(VALU_DEP_2)
	v_cvt_u32_f32_e32 v4, v4
	v_dual_mov_b32 v1, v0 :: v_dual_bitop2_b32 v5, v5, v0 bitop3:0x14
	s_delay_alu instid0(VALU_DEP_2) | instskip(NEXT) | instid1(VALU_DEP_1)
	v_xor_b32_e32 v4, v4, v0
	v_sub_nc_u64_e32 v[0:1], v[4:5], v[0:1]
	s_branch .LBB94_2077
.LBB94_2056:
	s_mov_b32 s12, -1
	s_mov_b32 s24, 0
	s_mov_b32 s13, s1
                                        ; implicit-def: $vgpr0_vgpr1
	s_branch .LBB94_2136
.LBB94_2057:
	s_mov_b32 s58, -1
	s_mov_b32 s13, s1
                                        ; implicit-def: $vgpr0_vgpr1
	s_branch .LBB94_2104
.LBB94_2058:
	s_mov_b32 s58, -1
	s_mov_b32 s13, s1
                                        ; implicit-def: $vgpr0_vgpr1
	s_branch .LBB94_2087
.LBB94_2059:
	s_mov_b32 s58, -1
	s_mov_b32 s13, s1
                                        ; implicit-def: $vgpr0_vgpr1
	s_branch .LBB94_2082
.LBB94_2060:
	s_mov_b32 s39, -1
	s_mov_b32 s0, s77
	s_mov_b32 s1, exec_lo
	v_cmpx_gt_i64_e64 v[6:7], v[4:5]
	s_cbranch_execz .LBB94_2067
; %bb.2061:
	s_delay_alu instid0(VALU_DEP_2) | instskip(SKIP_2) | instid1(VALU_DEP_1)
	v_lshlrev_b64_e32 v[0:1], 3, v[0:1]
	s_mov_b32 s0, 0
	s_xor_b32 s38, s11, -1
                                        ; implicit-def: $sgpr31
                                        ; implicit-def: $sgpr40
                                        ; implicit-def: $sgpr39
	v_lshl_add_u64 v[2:3], v[4:5], 3, v[0:1]
	v_add_nc_u64_e32 v[4:5], s[20:21], v[0:1]
	s_delay_alu instid0(VALU_DEP_2) | instskip(NEXT) | instid1(VALU_DEP_1)
	v_add_nc_u64_e32 v[2:3], s[20:21], v[2:3]
	v_add_nc_u64_e32 v[0:1], 8, v[2:3]
	s_delay_alu instid0(VALU_DEP_3)
	v_lshl_add_u64 v[2:3], v[6:7], 3, v[4:5]
	s_branch .LBB94_2063
.LBB94_2062:                            ;   in Loop: Header=BB94_2063 Depth=1
	s_or_b32 exec_lo, exec_lo, s41
	s_delay_alu instid0(SALU_CYCLE_1) | instskip(NEXT) | instid1(SALU_CYCLE_1)
	s_and_b32 s41, exec_lo, s40
	s_or_b32 s0, s41, s0
	s_and_not1_b32 s31, s31, exec_lo
	s_and_b32 s41, s39, exec_lo
	s_delay_alu instid0(SALU_CYCLE_1)
	s_or_b32 s31, s31, s41
	s_and_not1_b32 exec_lo, exec_lo, s0
	s_cbranch_execz .LBB94_2066
.LBB94_2063:                            ; =>This Inner Loop Header: Depth=1
	s_or_b32 s39, s39, exec_lo
	s_or_b32 s40, s40, exec_lo
	s_mov_b32 s41, exec_lo
	s_delay_alu instid0(VALU_DEP_2)
	v_cmpx_lt_u64_e64 v[0:1], v[2:3]
	s_cbranch_execz .LBB94_2062
; %bb.2064:                             ;   in Loop: Header=BB94_2063 Depth=1
	global_load_b128 v[4:7], v[0:1], off offset:-8
	s_wait_xcnt 0x0
	v_add_nc_u64_e32 v[0:1], 8, v[0:1]
	s_and_not1_b32 s40, s40, exec_lo
	s_and_not1_b32 s39, s39, exec_lo
	s_wait_loadcnt 0x0
	v_cmp_ge_i64_e32 vcc_lo, v[4:5], v[6:7]
	s_or_b32 s42, s38, vcc_lo
	s_delay_alu instid0(SALU_CYCLE_1) | instskip(NEXT) | instid1(SALU_CYCLE_1)
	s_and_b32 s42, s42, exec_lo
	s_or_b32 s40, s40, s42
	s_branch .LBB94_2062
.LBB94_2065:
	s_mov_b32 s58, -1
	s_mov_b32 s13, s1
	s_branch .LBB94_2076
.LBB94_2066:
	s_or_b32 exec_lo, exec_lo, s0
	s_delay_alu instid0(SALU_CYCLE_1)
	s_or_b32 s0, s77, exec_lo
	s_or_not1_b32 s39, s31, exec_lo
.LBB94_2067:
	s_or_b32 exec_lo, exec_lo, s1
	s_mov_b32 s38, 0
	s_mov_b32 s31, s76
	s_and_saveexec_b32 s1, s39
	s_cbranch_execz .LBB94_3679
; %bb.2068:
	v_mul_lo_u32 v0, s33, v26
	s_and_b32 s38, s22, 0xff
	s_delay_alu instid0(SALU_CYCLE_1) | instskip(NEXT) | instid1(VALU_DEP_1)
	s_cmp_lt_i32 s38, 11
	v_ashrrev_i32_e32 v1, 31, v0
	s_delay_alu instid0(VALU_DEP_1)
	v_add_nc_u64_e32 v[0:1], s[2:3], v[0:1]
	s_cbranch_scc1 .LBB94_3501
; %bb.2069:
	s_and_b32 s39, 0xffff, s38
	s_delay_alu instid0(SALU_CYCLE_1)
	s_cmp_gt_i32 s39, 25
	s_cbranch_scc0 .LBB94_3503
; %bb.2070:
	s_cmp_gt_i32 s39, 28
	s_cbranch_scc0 .LBB94_3505
; %bb.2071:
	;; [unrolled: 3-line block ×4, first 2 shown]
	s_mov_b32 s41, 0
	s_mov_b32 s31, -1
	s_cmp_eq_u32 s39, 46
	s_mov_b32 s40, 0
	s_cbranch_scc0 .LBB94_3597
; %bb.2074:
	v_mov_b32_e32 v2, 0
	s_mov_b32 s40, -1
	s_mov_b32 s31, 0
	global_store_b32 v[0:1], v2, off
	s_branch .LBB94_3597
.LBB94_2075:
	s_mov_b32 s13, -1
.LBB94_2076:
                                        ; implicit-def: $vgpr0_vgpr1
.LBB94_2077:
	s_and_b32 vcc_lo, exec_lo, s58
	s_cbranch_vccz .LBB94_2081
; %bb.2078:
	s_cmp_eq_u32 s12, 44
	s_cbranch_scc0 .LBB94_2080
; %bb.2079:
	global_load_u8 v6, v[2:3], off
	s_mov_b32 s13, 0
	s_mov_b32 s57, -1
	s_wait_loadcnt 0x0
	v_cmp_ne_u32_e32 vcc_lo, 0, v6
	v_lshlrev_b32_e32 v0, 23, v6
	s_delay_alu instid0(VALU_DEP_1) | instskip(NEXT) | instid1(VALU_DEP_1)
	v_trunc_f32_e32 v0, v0
	v_mul_f32_e64 v1, 0x2f800000, |v0|
	s_delay_alu instid0(VALU_DEP_1) | instskip(NEXT) | instid1(VALU_DEP_1)
	v_floor_f32_e32 v1, v1
	v_fma_f32 v4, 0xcf800000, v1, |v0|
	v_ashrrev_i32_e32 v0, 31, v0
	v_cvt_u32_f32_e32 v5, v1
	s_delay_alu instid0(VALU_DEP_3) | instskip(NEXT) | instid1(VALU_DEP_2)
	v_cvt_u32_f32_e32 v4, v4
	v_dual_mov_b32 v1, v0 :: v_dual_bitop2_b32 v5, v5, v0 bitop3:0x14
	s_delay_alu instid0(VALU_DEP_2) | instskip(NEXT) | instid1(VALU_DEP_1)
	v_xor_b32_e32 v4, v4, v0
	v_sub_nc_u64_e32 v[0:1], v[4:5], v[0:1]
	s_delay_alu instid0(VALU_DEP_1)
	v_dual_cndmask_b32 v1, 0, v1 :: v_dual_cndmask_b32 v0, 0, v0
	s_branch .LBB94_2081
.LBB94_2080:
	s_mov_b32 s13, -1
                                        ; implicit-def: $vgpr0_vgpr1
.LBB94_2081:
	s_mov_b32 s58, 0
.LBB94_2082:
	s_delay_alu instid0(SALU_CYCLE_1)
	s_and_b32 vcc_lo, exec_lo, s58
	s_cbranch_vccz .LBB94_2086
; %bb.2083:
	s_cmp_eq_u32 s12, 29
	s_cbranch_scc0 .LBB94_2085
; %bb.2084:
	global_load_b64 v[0:1], v[2:3], off
	s_mov_b32 s13, 0
	s_mov_b32 s57, -1
	s_branch .LBB94_2086
.LBB94_2085:
	s_mov_b32 s13, -1
                                        ; implicit-def: $vgpr0_vgpr1
.LBB94_2086:
	s_mov_b32 s58, 0
.LBB94_2087:
	s_delay_alu instid0(SALU_CYCLE_1)
	s_and_b32 vcc_lo, exec_lo, s58
	s_cbranch_vccz .LBB94_2103
; %bb.2088:
	s_cmp_lt_i32 s12, 27
	s_cbranch_scc1 .LBB94_2091
; %bb.2089:
	s_cmp_gt_i32 s12, 27
	s_cbranch_scc0 .LBB94_2092
; %bb.2090:
	s_wait_loadcnt 0x0
	global_load_b32 v0, v[2:3], off
	v_mov_b32_e32 v1, 0
	s_mov_b32 s57, 0
	s_branch .LBB94_2093
.LBB94_2091:
	s_mov_b32 s57, -1
                                        ; implicit-def: $vgpr0_vgpr1
	s_branch .LBB94_2096
.LBB94_2092:
	s_mov_b32 s57, -1
                                        ; implicit-def: $vgpr0_vgpr1
.LBB94_2093:
	s_delay_alu instid0(SALU_CYCLE_1)
	s_and_not1_b32 vcc_lo, exec_lo, s57
	s_cbranch_vccnz .LBB94_2095
; %bb.2094:
	s_wait_loadcnt 0x0
	global_load_u16 v0, v[2:3], off
	s_mov_b32 s57, 0
	s_delay_alu instid0(SALU_CYCLE_1)
	v_mov_b32_e32 v1, s57
	s_wait_loadcnt 0x0
	v_and_b32_e32 v0, 0xffff, v0
.LBB94_2095:
	s_mov_b32 s57, 0
.LBB94_2096:
	s_delay_alu instid0(SALU_CYCLE_1)
	s_and_not1_b32 vcc_lo, exec_lo, s57
	s_cbranch_vccnz .LBB94_2102
; %bb.2097:
	global_load_u8 v4, v[2:3], off
	s_mov_b32 s58, 0
	s_mov_b32 s57, exec_lo
	s_wait_loadcnt 0x0
	v_cmpx_lt_i16_e32 0x7f, v4
	s_xor_b32 s57, exec_lo, s57
	s_cbranch_execz .LBB94_2114
; %bb.2098:
	v_cmp_ne_u16_e32 vcc_lo, 0x80, v4
	s_and_b32 s58, vcc_lo, exec_lo
	s_and_not1_saveexec_b32 s57, s57
	s_cbranch_execnz .LBB94_2115
.LBB94_2099:
	s_or_b32 exec_lo, exec_lo, s57
	v_mov_b64_e32 v[0:1], 0
	s_and_saveexec_b32 s57, s58
	s_cbranch_execz .LBB94_2101
.LBB94_2100:
	v_and_b32_e32 v0, 0xffff, v4
	s_delay_alu instid0(VALU_DEP_1) | instskip(SKIP_1) | instid1(VALU_DEP_2)
	v_and_b32_e32 v1, 7, v0
	v_bfe_u32 v7, v0, 3, 4
	v_clz_i32_u32_e32 v5, v1
	s_delay_alu instid0(VALU_DEP_2) | instskip(NEXT) | instid1(VALU_DEP_2)
	v_cmp_eq_u32_e32 vcc_lo, 0, v7
	v_min_u32_e32 v5, 32, v5
	s_delay_alu instid0(VALU_DEP_1) | instskip(NEXT) | instid1(VALU_DEP_1)
	v_subrev_nc_u32_e32 v6, 28, v5
	v_dual_lshlrev_b32 v0, v6, v0 :: v_dual_sub_nc_u32 v5, 29, v5
	s_delay_alu instid0(VALU_DEP_1) | instskip(NEXT) | instid1(VALU_DEP_2)
	v_and_b32_e32 v0, 7, v0
	v_dual_cndmask_b32 v5, v7, v5 :: v_dual_lshlrev_b32 v4, 24, v4
	s_delay_alu instid0(VALU_DEP_2) | instskip(NEXT) | instid1(VALU_DEP_2)
	v_cndmask_b32_e32 v0, v1, v0, vcc_lo
	v_and_b32_e32 v1, 0x80000000, v4
	s_delay_alu instid0(VALU_DEP_3) | instskip(NEXT) | instid1(VALU_DEP_3)
	v_lshl_add_u32 v4, v5, 23, 0x3b800000
	v_lshlrev_b32_e32 v0, 20, v0
	s_delay_alu instid0(VALU_DEP_1) | instskip(NEXT) | instid1(VALU_DEP_1)
	v_or3_b32 v0, v1, v4, v0
	v_trunc_f32_e32 v0, v0
	s_delay_alu instid0(VALU_DEP_1) | instskip(NEXT) | instid1(VALU_DEP_1)
	v_mul_f32_e64 v1, 0x2f800000, |v0|
	v_floor_f32_e32 v1, v1
	s_delay_alu instid0(VALU_DEP_1) | instskip(SKIP_2) | instid1(VALU_DEP_3)
	v_fma_f32 v4, 0xcf800000, v1, |v0|
	v_ashrrev_i32_e32 v0, 31, v0
	v_cvt_u32_f32_e32 v5, v1
	v_cvt_u32_f32_e32 v4, v4
	s_delay_alu instid0(VALU_DEP_2) | instskip(NEXT) | instid1(VALU_DEP_2)
	v_dual_mov_b32 v1, v0 :: v_dual_bitop2_b32 v5, v5, v0 bitop3:0x14
	v_xor_b32_e32 v4, v4, v0
	s_delay_alu instid0(VALU_DEP_1)
	v_sub_nc_u64_e32 v[0:1], v[4:5], v[0:1]
.LBB94_2101:
	s_or_b32 exec_lo, exec_lo, s57
.LBB94_2102:
	s_mov_b32 s57, -1
.LBB94_2103:
	s_mov_b32 s58, 0
.LBB94_2104:
	s_delay_alu instid0(SALU_CYCLE_1)
	s_and_b32 vcc_lo, exec_lo, s58
	s_cbranch_vccz .LBB94_2135
; %bb.2105:
	s_cmp_gt_i32 s12, 22
	s_cbranch_scc0 .LBB94_2113
; %bb.2106:
	s_cmp_lt_i32 s12, 24
	s_cbranch_scc1 .LBB94_2116
; %bb.2107:
	s_cmp_gt_i32 s12, 24
	s_cbranch_scc0 .LBB94_2117
; %bb.2108:
	global_load_u8 v4, v[2:3], off
	s_mov_b32 s57, 0
	s_mov_b32 s24, exec_lo
	s_wait_loadcnt 0x0
	v_cmpx_lt_i16_e32 0x7f, v4
	s_xor_b32 s24, exec_lo, s24
	s_cbranch_execz .LBB94_2129
; %bb.2109:
	v_cmp_ne_u16_e32 vcc_lo, 0x80, v4
	s_and_b32 s57, vcc_lo, exec_lo
	s_and_not1_saveexec_b32 s24, s24
	s_cbranch_execnz .LBB94_2130
.LBB94_2110:
	s_or_b32 exec_lo, exec_lo, s24
	v_mov_b64_e32 v[0:1], 0
	s_and_saveexec_b32 s24, s57
	s_cbranch_execz .LBB94_2112
.LBB94_2111:
	v_and_b32_e32 v0, 0xffff, v4
	s_delay_alu instid0(VALU_DEP_1) | instskip(SKIP_1) | instid1(VALU_DEP_2)
	v_and_b32_e32 v1, 3, v0
	v_bfe_u32 v7, v0, 2, 5
	v_clz_i32_u32_e32 v5, v1
	s_delay_alu instid0(VALU_DEP_2) | instskip(NEXT) | instid1(VALU_DEP_2)
	v_cmp_eq_u32_e32 vcc_lo, 0, v7
	v_min_u32_e32 v5, 32, v5
	s_delay_alu instid0(VALU_DEP_1) | instskip(NEXT) | instid1(VALU_DEP_1)
	v_subrev_nc_u32_e32 v6, 29, v5
	v_dual_lshlrev_b32 v0, v6, v0 :: v_dual_sub_nc_u32 v5, 30, v5
	s_delay_alu instid0(VALU_DEP_1) | instskip(NEXT) | instid1(VALU_DEP_2)
	v_and_b32_e32 v0, 3, v0
	v_dual_cndmask_b32 v5, v7, v5 :: v_dual_lshlrev_b32 v4, 24, v4
	s_delay_alu instid0(VALU_DEP_2) | instskip(NEXT) | instid1(VALU_DEP_2)
	v_cndmask_b32_e32 v0, v1, v0, vcc_lo
	v_and_b32_e32 v1, 0x80000000, v4
	s_delay_alu instid0(VALU_DEP_3) | instskip(NEXT) | instid1(VALU_DEP_3)
	v_lshl_add_u32 v4, v5, 23, 0x37800000
	v_lshlrev_b32_e32 v0, 21, v0
	s_delay_alu instid0(VALU_DEP_1) | instskip(NEXT) | instid1(VALU_DEP_1)
	v_or3_b32 v0, v1, v4, v0
	v_trunc_f32_e32 v0, v0
	s_delay_alu instid0(VALU_DEP_1) | instskip(NEXT) | instid1(VALU_DEP_1)
	v_mul_f32_e64 v1, 0x2f800000, |v0|
	v_floor_f32_e32 v1, v1
	s_delay_alu instid0(VALU_DEP_1) | instskip(SKIP_2) | instid1(VALU_DEP_3)
	v_fma_f32 v4, 0xcf800000, v1, |v0|
	v_ashrrev_i32_e32 v0, 31, v0
	v_cvt_u32_f32_e32 v5, v1
	v_cvt_u32_f32_e32 v4, v4
	s_delay_alu instid0(VALU_DEP_2) | instskip(NEXT) | instid1(VALU_DEP_2)
	v_dual_mov_b32 v1, v0 :: v_dual_bitop2_b32 v5, v5, v0 bitop3:0x14
	v_xor_b32_e32 v4, v4, v0
	s_delay_alu instid0(VALU_DEP_1)
	v_sub_nc_u64_e32 v[0:1], v[4:5], v[0:1]
.LBB94_2112:
	s_or_b32 exec_lo, exec_lo, s24
	s_mov_b32 s24, 0
	s_branch .LBB94_2118
.LBB94_2113:
	s_mov_b32 s24, -1
                                        ; implicit-def: $vgpr0_vgpr1
	s_branch .LBB94_2124
.LBB94_2114:
	s_and_not1_saveexec_b32 s57, s57
	s_cbranch_execz .LBB94_2099
.LBB94_2115:
	v_cmp_ne_u16_e32 vcc_lo, 0, v4
	s_and_not1_b32 s58, s58, exec_lo
	s_and_b32 s80, vcc_lo, exec_lo
	s_delay_alu instid0(SALU_CYCLE_1)
	s_or_b32 s58, s58, s80
	s_or_b32 exec_lo, exec_lo, s57
	v_mov_b64_e32 v[0:1], 0
	s_and_saveexec_b32 s57, s58
	s_cbranch_execnz .LBB94_2100
	s_branch .LBB94_2101
.LBB94_2116:
	s_mov_b32 s24, -1
                                        ; implicit-def: $vgpr0_vgpr1
	s_branch .LBB94_2121
.LBB94_2117:
	s_mov_b32 s24, -1
                                        ; implicit-def: $vgpr0_vgpr1
.LBB94_2118:
	s_delay_alu instid0(SALU_CYCLE_1)
	s_and_b32 vcc_lo, exec_lo, s24
	s_cbranch_vccz .LBB94_2120
; %bb.2119:
	s_wait_loadcnt 0x0
	global_load_u8 v0, v[2:3], off
	s_wait_loadcnt 0x0
	v_lshlrev_b32_e32 v0, 24, v0
	s_delay_alu instid0(VALU_DEP_1) | instskip(NEXT) | instid1(VALU_DEP_1)
	v_and_b32_e32 v1, 0x7f000000, v0
	v_clz_i32_u32_e32 v4, v1
	v_cmp_ne_u32_e32 vcc_lo, 0, v1
	v_add_nc_u32_e32 v6, 0x1000000, v1
	s_delay_alu instid0(VALU_DEP_3) | instskip(NEXT) | instid1(VALU_DEP_1)
	v_min_u32_e32 v4, 32, v4
	v_sub_nc_u32_e64 v4, v4, 4 clamp
	s_delay_alu instid0(VALU_DEP_1) | instskip(NEXT) | instid1(VALU_DEP_1)
	v_dual_lshlrev_b32 v5, v4, v1 :: v_dual_lshlrev_b32 v4, 23, v4
	v_lshrrev_b32_e32 v5, 4, v5
	s_delay_alu instid0(VALU_DEP_1) | instskip(NEXT) | instid1(VALU_DEP_1)
	v_dual_sub_nc_u32 v4, v5, v4 :: v_dual_ashrrev_i32 v5, 8, v6
	v_add_nc_u32_e32 v4, 0x3c000000, v4
	s_delay_alu instid0(VALU_DEP_1) | instskip(NEXT) | instid1(VALU_DEP_1)
	v_and_or_b32 v4, 0x7f800000, v5, v4
	v_cndmask_b32_e32 v1, 0, v4, vcc_lo
	s_delay_alu instid0(VALU_DEP_1) | instskip(NEXT) | instid1(VALU_DEP_1)
	v_and_or_b32 v0, 0x80000000, v0, v1
	v_trunc_f32_e32 v0, v0
	s_delay_alu instid0(VALU_DEP_1) | instskip(NEXT) | instid1(VALU_DEP_1)
	v_mul_f32_e64 v1, 0x2f800000, |v0|
	v_floor_f32_e32 v1, v1
	s_delay_alu instid0(VALU_DEP_1) | instskip(SKIP_2) | instid1(VALU_DEP_3)
	v_fma_f32 v4, 0xcf800000, v1, |v0|
	v_ashrrev_i32_e32 v0, 31, v0
	v_cvt_u32_f32_e32 v5, v1
	v_cvt_u32_f32_e32 v4, v4
	s_delay_alu instid0(VALU_DEP_2) | instskip(NEXT) | instid1(VALU_DEP_2)
	v_dual_mov_b32 v1, v0 :: v_dual_bitop2_b32 v5, v5, v0 bitop3:0x14
	v_xor_b32_e32 v4, v4, v0
	s_delay_alu instid0(VALU_DEP_1)
	v_sub_nc_u64_e32 v[0:1], v[4:5], v[0:1]
.LBB94_2120:
	s_mov_b32 s24, 0
.LBB94_2121:
	s_delay_alu instid0(SALU_CYCLE_1)
	s_and_not1_b32 vcc_lo, exec_lo, s24
	s_cbranch_vccnz .LBB94_2123
; %bb.2122:
	s_wait_loadcnt 0x0
	global_load_u8 v0, v[2:3], off
	s_wait_loadcnt 0x0
	v_lshlrev_b32_e32 v1, 25, v0
	v_lshlrev_b16 v0, 8, v0
	s_delay_alu instid0(VALU_DEP_1) | instskip(SKIP_1) | instid1(VALU_DEP_2)
	v_and_or_b32 v5, 0x7f00, v0, 0.5
	v_bfe_i32 v0, v0, 0, 16
	v_add_f32_e32 v5, -0.5, v5
	v_lshrrev_b32_e32 v4, 4, v1
	v_cmp_gt_u32_e32 vcc_lo, 0x8000000, v1
	s_delay_alu instid0(VALU_DEP_2) | instskip(NEXT) | instid1(VALU_DEP_1)
	v_or_b32_e32 v4, 0x70000000, v4
	v_mul_f32_e32 v4, 0x7800000, v4
	s_delay_alu instid0(VALU_DEP_1) | instskip(NEXT) | instid1(VALU_DEP_1)
	v_cndmask_b32_e32 v1, v4, v5, vcc_lo
	v_and_or_b32 v0, 0x80000000, v0, v1
	s_delay_alu instid0(VALU_DEP_1) | instskip(NEXT) | instid1(VALU_DEP_1)
	v_trunc_f32_e32 v0, v0
	v_mul_f32_e64 v1, 0x2f800000, |v0|
	s_delay_alu instid0(VALU_DEP_1) | instskip(NEXT) | instid1(VALU_DEP_1)
	v_floor_f32_e32 v1, v1
	v_fma_f32 v4, 0xcf800000, v1, |v0|
	v_ashrrev_i32_e32 v0, 31, v0
	v_cvt_u32_f32_e32 v5, v1
	s_delay_alu instid0(VALU_DEP_3) | instskip(NEXT) | instid1(VALU_DEP_2)
	v_cvt_u32_f32_e32 v4, v4
	v_dual_mov_b32 v1, v0 :: v_dual_bitop2_b32 v5, v5, v0 bitop3:0x14
	s_delay_alu instid0(VALU_DEP_2) | instskip(NEXT) | instid1(VALU_DEP_1)
	v_xor_b32_e32 v4, v4, v0
	v_sub_nc_u64_e32 v[0:1], v[4:5], v[0:1]
.LBB94_2123:
	s_mov_b32 s24, 0
	s_mov_b32 s57, -1
.LBB94_2124:
	s_and_not1_b32 vcc_lo, exec_lo, s24
	s_mov_b32 s24, 0
	s_cbranch_vccnz .LBB94_2135
; %bb.2125:
	s_cmp_gt_i32 s12, 14
	s_cbranch_scc0 .LBB94_2128
; %bb.2126:
	s_cmp_eq_u32 s12, 15
	s_cbranch_scc0 .LBB94_2131
; %bb.2127:
	s_wait_loadcnt 0x0
	global_load_u16 v0, v[2:3], off
	s_mov_b32 s13, 0
	s_mov_b32 s57, -1
	s_wait_loadcnt 0x0
	v_lshlrev_b32_e32 v0, 16, v0
	s_delay_alu instid0(VALU_DEP_1) | instskip(NEXT) | instid1(VALU_DEP_1)
	v_trunc_f32_e32 v0, v0
	v_mul_f32_e64 v1, 0x2f800000, |v0|
	s_delay_alu instid0(VALU_DEP_1) | instskip(NEXT) | instid1(VALU_DEP_1)
	v_floor_f32_e32 v1, v1
	v_fma_f32 v4, 0xcf800000, v1, |v0|
	v_ashrrev_i32_e32 v0, 31, v0
	v_cvt_u32_f32_e32 v5, v1
	s_delay_alu instid0(VALU_DEP_3) | instskip(NEXT) | instid1(VALU_DEP_2)
	v_cvt_u32_f32_e32 v4, v4
	v_dual_mov_b32 v1, v0 :: v_dual_bitop2_b32 v5, v5, v0 bitop3:0x14
	s_delay_alu instid0(VALU_DEP_2) | instskip(NEXT) | instid1(VALU_DEP_1)
	v_xor_b32_e32 v4, v4, v0
	v_sub_nc_u64_e32 v[0:1], v[4:5], v[0:1]
	s_branch .LBB94_2133
.LBB94_2128:
	s_mov_b32 s24, -1
	s_branch .LBB94_2132
.LBB94_2129:
	s_and_not1_saveexec_b32 s24, s24
	s_cbranch_execz .LBB94_2110
.LBB94_2130:
	v_cmp_ne_u16_e32 vcc_lo, 0, v4
	s_and_not1_b32 s57, s57, exec_lo
	s_and_b32 s58, vcc_lo, exec_lo
	s_delay_alu instid0(SALU_CYCLE_1)
	s_or_b32 s57, s57, s58
	s_or_b32 exec_lo, exec_lo, s24
	v_mov_b64_e32 v[0:1], 0
	s_and_saveexec_b32 s24, s57
	s_cbranch_execnz .LBB94_2111
	s_branch .LBB94_2112
.LBB94_2131:
	s_mov_b32 s13, -1
.LBB94_2132:
                                        ; implicit-def: $vgpr0_vgpr1
.LBB94_2133:
	s_and_b32 vcc_lo, exec_lo, s24
	s_mov_b32 s24, 0
	s_cbranch_vccz .LBB94_2135
; %bb.2134:
	s_cmp_lg_u32 s12, 11
	s_mov_b32 s24, -1
	s_cselect_b32 s12, -1, 0
	s_and_not1_b32 s13, s13, exec_lo
	s_and_b32 s12, s12, exec_lo
	s_delay_alu instid0(SALU_CYCLE_1)
	s_or_b32 s13, s13, s12
.LBB94_2135:
	s_mov_b32 s12, 0
.LBB94_2136:
	s_delay_alu instid0(SALU_CYCLE_1)
	s_and_b32 s80, s12, exec_lo
	s_and_not1_b32 s12, s1, exec_lo
	s_and_b32 s13, s13, exec_lo
	s_and_b32 s81, s57, exec_lo
	s_and_b32 s57, s24, exec_lo
	s_or_b32 s82, s12, s13
.LBB94_2137:
	s_wait_xcnt 0x0
	s_or_b32 exec_lo, exec_lo, s47
	s_delay_alu instid0(SALU_CYCLE_1)
	s_and_not1_b32 s1, s1, exec_lo
	s_and_b32 s12, s82, exec_lo
	s_and_b32 s81, s81, exec_lo
	;; [unrolled: 1-line block ×4, first 2 shown]
	s_or_b32 s1, s1, s12
.LBB94_2138:
	s_or_b32 exec_lo, exec_lo, s46
	s_delay_alu instid0(SALU_CYCLE_1)
	s_and_not1_b32 s12, s76, exec_lo
	s_and_b32 s13, s45, exec_lo
	s_and_not1_b32 s24, s78, exec_lo
	s_or_b32 s76, s12, s13
	s_and_not1_b32 s12, s77, exec_lo
	s_and_b32 s13, s42, exec_lo
	s_and_b32 s42, s44, exec_lo
	s_or_b32 s77, s12, s13
	s_and_not1_b32 s12, s74, exec_lo
	s_and_b32 s13, s40, exec_lo
	s_or_b32 s78, s24, s42
	s_and_not1_b32 s24, s75, exec_lo
	;; [unrolled: 3-line block ×7, first 2 shown]
	s_and_b32 s13, s1, exec_lo
	s_or_b32 s71, s24, s31
	s_and_b32 s31, s81, exec_lo
	s_and_b32 s38, s80, exec_lo
	;; [unrolled: 1-line block ×3, first 2 shown]
	s_or_b32 s69, s12, s13
.LBB94_2139:
	s_or_b32 exec_lo, exec_lo, s79
	s_delay_alu instid0(SALU_CYCLE_1)
	s_and_not1_b32 s12, s56, exec_lo
	s_and_b32 s13, s76, exec_lo
	s_and_not1_b32 s24, s60, exec_lo
	s_or_b32 s56, s12, s13
	s_and_not1_b32 s12, s59, exec_lo
	s_and_b32 s13, s77, exec_lo
	s_and_b32 s39, s78, exec_lo
	s_or_b32 s59, s12, s13
	s_and_not1_b32 s12, s61, exec_lo
	s_and_b32 s13, s74, exec_lo
	s_or_b32 s60, s24, s39
	s_and_not1_b32 s24, s62, exec_lo
	;; [unrolled: 3-line block ×7, first 2 shown]
	s_and_b32 s13, s69, exec_lo
	s_or_b32 s66, s24, s39
	s_and_b32 s31, s31, exec_lo
	s_and_b32 s38, s38, exec_lo
	;; [unrolled: 1-line block ×3, first 2 shown]
	s_or_b32 s67, s12, s13
	s_or_b32 exec_lo, exec_lo, s68
	s_mov_b32 s1, 0
	s_and_saveexec_b32 s12, s67
	s_cbranch_execz .LBB94_640
.LBB94_2140:
	s_mov_b32 s1, exec_lo
	s_and_not1_b32 s69, s69, exec_lo
	s_trap 2
	s_or_b32 exec_lo, exec_lo, s12
	s_and_saveexec_b32 s12, s69
	s_delay_alu instid0(SALU_CYCLE_1)
	s_xor_b32 s12, exec_lo, s12
	s_cbranch_execnz .LBB94_641
.LBB94_2141:
	s_or_b32 exec_lo, exec_lo, s12
	s_and_saveexec_b32 s12, s38
	s_cbranch_execz .LBB94_2187
.LBB94_2142:
	s_sext_i32_i16 s13, s0
	s_delay_alu instid0(SALU_CYCLE_1)
	s_cmp_lt_i32 s13, 5
	s_cbranch_scc1 .LBB94_2147
; %bb.2143:
	s_cmp_lt_i32 s13, 8
	s_cbranch_scc1 .LBB94_2148
; %bb.2144:
	s_cmp_lt_i32 s13, 9
	s_cbranch_scc1 .LBB94_2149
; %bb.2145:
	s_cmp_gt_i32 s13, 9
	s_cbranch_scc0 .LBB94_2150
; %bb.2146:
	s_wait_loadcnt 0x0
	global_load_b64 v[0:1], v[2:3], off
	s_mov_b32 s13, 0
	s_wait_loadcnt 0x0
	v_trunc_f64_e32 v[0:1], v[0:1]
	s_delay_alu instid0(VALU_DEP_1) | instskip(NEXT) | instid1(VALU_DEP_1)
	v_ldexp_f64 v[4:5], v[0:1], 0xffffffe0
	v_floor_f64_e32 v[4:5], v[4:5]
	s_delay_alu instid0(VALU_DEP_1) | instskip(SKIP_1) | instid1(VALU_DEP_2)
	v_fmamk_f64 v[6:7], v[4:5], 0xc1f00000, v[0:1]
	v_cvt_i32_f64_e32 v1, v[4:5]
	v_cvt_u32_f64_e32 v0, v[6:7]
	s_branch .LBB94_2151
.LBB94_2147:
                                        ; implicit-def: $vgpr0_vgpr1
	s_branch .LBB94_2168
.LBB94_2148:
                                        ; implicit-def: $vgpr0_vgpr1
	s_branch .LBB94_2157
.LBB94_2149:
	s_mov_b32 s13, -1
                                        ; implicit-def: $vgpr0_vgpr1
	s_branch .LBB94_2154
.LBB94_2150:
	s_mov_b32 s13, -1
                                        ; implicit-def: $vgpr0_vgpr1
.LBB94_2151:
	s_delay_alu instid0(SALU_CYCLE_1)
	s_and_not1_b32 vcc_lo, exec_lo, s13
	s_cbranch_vccnz .LBB94_2153
; %bb.2152:
	s_wait_loadcnt 0x0
	global_load_b32 v0, v[2:3], off
	s_wait_loadcnt 0x0
	v_trunc_f32_e32 v0, v0
	s_delay_alu instid0(VALU_DEP_1) | instskip(NEXT) | instid1(VALU_DEP_1)
	v_mul_f32_e64 v1, 0x2f800000, |v0|
	v_floor_f32_e32 v1, v1
	s_delay_alu instid0(VALU_DEP_1) | instskip(SKIP_2) | instid1(VALU_DEP_3)
	v_fma_f32 v4, 0xcf800000, v1, |v0|
	v_ashrrev_i32_e32 v0, 31, v0
	v_cvt_u32_f32_e32 v5, v1
	v_cvt_u32_f32_e32 v4, v4
	s_delay_alu instid0(VALU_DEP_2) | instskip(NEXT) | instid1(VALU_DEP_2)
	v_dual_mov_b32 v1, v0 :: v_dual_bitop2_b32 v5, v5, v0 bitop3:0x14
	v_xor_b32_e32 v4, v4, v0
	s_delay_alu instid0(VALU_DEP_1)
	v_sub_nc_u64_e32 v[0:1], v[4:5], v[0:1]
.LBB94_2153:
	s_mov_b32 s13, 0
.LBB94_2154:
	s_delay_alu instid0(SALU_CYCLE_1)
	s_and_not1_b32 vcc_lo, exec_lo, s13
	s_cbranch_vccnz .LBB94_2156
; %bb.2155:
	s_wait_loadcnt 0x0
	global_load_b32 v0, v[2:3], off
	s_wait_loadcnt 0x0
	v_cvt_f32_f16_e32 v0, v0
	s_delay_alu instid0(VALU_DEP_1) | instskip(NEXT) | instid1(VALU_DEP_1)
	v_cvt_i32_f32_e32 v0, v0
	v_ashrrev_i32_e32 v1, 31, v0
.LBB94_2156:
	s_cbranch_execnz .LBB94_2167
.LBB94_2157:
	s_sext_i32_i16 s13, s0
	s_delay_alu instid0(SALU_CYCLE_1)
	s_cmp_lt_i32 s13, 6
	s_cbranch_scc1 .LBB94_2160
; %bb.2158:
	s_cmp_gt_i32 s13, 6
	s_cbranch_scc0 .LBB94_2161
; %bb.2159:
	s_wait_loadcnt 0x0
	global_load_b64 v[0:1], v[2:3], off
	s_mov_b32 s13, 0
	s_wait_loadcnt 0x0
	v_trunc_f64_e32 v[0:1], v[0:1]
	s_delay_alu instid0(VALU_DEP_1) | instskip(NEXT) | instid1(VALU_DEP_1)
	v_ldexp_f64 v[4:5], v[0:1], 0xffffffe0
	v_floor_f64_e32 v[4:5], v[4:5]
	s_delay_alu instid0(VALU_DEP_1) | instskip(SKIP_1) | instid1(VALU_DEP_2)
	v_fmamk_f64 v[6:7], v[4:5], 0xc1f00000, v[0:1]
	v_cvt_i32_f64_e32 v1, v[4:5]
	v_cvt_u32_f64_e32 v0, v[6:7]
	s_branch .LBB94_2162
.LBB94_2160:
	s_mov_b32 s13, -1
                                        ; implicit-def: $vgpr0_vgpr1
	s_branch .LBB94_2165
.LBB94_2161:
	s_mov_b32 s13, -1
                                        ; implicit-def: $vgpr0_vgpr1
.LBB94_2162:
	s_delay_alu instid0(SALU_CYCLE_1)
	s_and_not1_b32 vcc_lo, exec_lo, s13
	s_cbranch_vccnz .LBB94_2164
; %bb.2163:
	s_wait_loadcnt 0x0
	global_load_b32 v0, v[2:3], off
	s_wait_loadcnt 0x0
	v_trunc_f32_e32 v0, v0
	s_delay_alu instid0(VALU_DEP_1) | instskip(NEXT) | instid1(VALU_DEP_1)
	v_mul_f32_e64 v1, 0x2f800000, |v0|
	v_floor_f32_e32 v1, v1
	s_delay_alu instid0(VALU_DEP_1) | instskip(SKIP_2) | instid1(VALU_DEP_3)
	v_fma_f32 v4, 0xcf800000, v1, |v0|
	v_ashrrev_i32_e32 v0, 31, v0
	v_cvt_u32_f32_e32 v5, v1
	v_cvt_u32_f32_e32 v4, v4
	s_delay_alu instid0(VALU_DEP_2) | instskip(NEXT) | instid1(VALU_DEP_2)
	v_dual_mov_b32 v1, v0 :: v_dual_bitop2_b32 v5, v5, v0 bitop3:0x14
	v_xor_b32_e32 v4, v4, v0
	s_delay_alu instid0(VALU_DEP_1)
	v_sub_nc_u64_e32 v[0:1], v[4:5], v[0:1]
.LBB94_2164:
	s_mov_b32 s13, 0
.LBB94_2165:
	s_delay_alu instid0(SALU_CYCLE_1)
	s_and_not1_b32 vcc_lo, exec_lo, s13
	s_cbranch_vccnz .LBB94_2167
; %bb.2166:
	s_wait_loadcnt 0x0
	global_load_u16 v0, v[2:3], off
	s_wait_loadcnt 0x0
	v_cvt_f32_f16_e32 v0, v0
	s_delay_alu instid0(VALU_DEP_1) | instskip(NEXT) | instid1(VALU_DEP_1)
	v_cvt_i32_f32_e32 v0, v0
	v_ashrrev_i32_e32 v1, 31, v0
.LBB94_2167:
	s_cbranch_execnz .LBB94_2186
.LBB94_2168:
	s_sext_i32_i16 s13, s0
	s_delay_alu instid0(SALU_CYCLE_1)
	s_cmp_lt_i32 s13, 2
	s_cbranch_scc1 .LBB94_2172
; %bb.2169:
	s_cmp_lt_i32 s13, 3
	s_cbranch_scc1 .LBB94_2173
; %bb.2170:
	s_cmp_gt_i32 s13, 3
	s_cbranch_scc0 .LBB94_2174
; %bb.2171:
	s_wait_loadcnt 0x0
	global_load_b64 v[0:1], v[2:3], off
	s_mov_b32 s13, 0
	s_branch .LBB94_2175
.LBB94_2172:
                                        ; implicit-def: $vgpr0_vgpr1
	s_branch .LBB94_2181
.LBB94_2173:
	s_mov_b32 s13, -1
                                        ; implicit-def: $vgpr0_vgpr1
	s_branch .LBB94_2178
.LBB94_2174:
	s_mov_b32 s13, -1
                                        ; implicit-def: $vgpr0_vgpr1
.LBB94_2175:
	s_delay_alu instid0(SALU_CYCLE_1)
	s_and_not1_b32 vcc_lo, exec_lo, s13
	s_cbranch_vccnz .LBB94_2177
; %bb.2176:
	s_wait_loadcnt 0x0
	global_load_b32 v0, v[2:3], off
	s_wait_loadcnt 0x0
	v_ashrrev_i32_e32 v1, 31, v0
.LBB94_2177:
	s_mov_b32 s13, 0
.LBB94_2178:
	s_delay_alu instid0(SALU_CYCLE_1)
	s_and_not1_b32 vcc_lo, exec_lo, s13
	s_cbranch_vccnz .LBB94_2180
; %bb.2179:
	s_wait_loadcnt 0x0
	global_load_u16 v0, v[2:3], off
	s_wait_loadcnt 0x0
	v_bfe_i32 v0, v0, 0, 16
	s_delay_alu instid0(VALU_DEP_1)
	v_ashrrev_i32_e32 v1, 31, v0
.LBB94_2180:
	s_cbranch_execnz .LBB94_2186
.LBB94_2181:
	s_sext_i32_i16 s0, s0
	s_delay_alu instid0(SALU_CYCLE_1)
	s_cmp_gt_i32 s0, 0
	s_mov_b32 s0, 0
	s_cbranch_scc0 .LBB94_2183
; %bb.2182:
	s_wait_loadcnt 0x0
	global_load_i8 v0, v[2:3], off
	s_wait_loadcnt 0x0
	v_bfe_i32 v0, v0, 0, 16
	s_delay_alu instid0(VALU_DEP_1)
	v_ashrrev_i32_e32 v1, 31, v0
	s_branch .LBB94_2184
.LBB94_2183:
	s_mov_b32 s0, -1
                                        ; implicit-def: $vgpr0_vgpr1
.LBB94_2184:
	s_delay_alu instid0(SALU_CYCLE_1)
	s_and_not1_b32 vcc_lo, exec_lo, s0
	s_cbranch_vccnz .LBB94_2186
; %bb.2185:
	s_wait_loadcnt 0x0
	global_load_u8 v0, v[2:3], off
	s_mov_b32 s0, 0
	s_delay_alu instid0(SALU_CYCLE_1)
	v_mov_b32_e32 v1, s0
	s_wait_loadcnt 0x0
	v_and_b32_e32 v0, 0xffff, v0
.LBB94_2186:
	s_or_b32 s31, s31, exec_lo
.LBB94_2187:
	s_wait_xcnt 0x0
	s_or_b32 exec_lo, exec_lo, s12
	s_mov_b32 s38, 0
	s_mov_b32 s24, 0
	;; [unrolled: 1-line block ×3, first 2 shown]
                                        ; implicit-def: $sgpr0
                                        ; implicit-def: $vgpr4_vgpr5
                                        ; implicit-def: $vgpr2_vgpr3
	s_and_saveexec_b32 s12, s31
	s_cbranch_execz .LBB94_2195
; %bb.2188:
	s_wait_loadcnt 0x0
	v_mul_lo_u32 v2, s25, v26
	s_and_b32 s0, s55, 0xff
	s_delay_alu instid0(SALU_CYCLE_1) | instskip(NEXT) | instid1(VALU_DEP_1)
	s_cmp_lt_i32 s0, 11
	v_ashrrev_i32_e32 v3, 31, v2
	s_delay_alu instid0(VALU_DEP_1)
	v_add_nc_u64_e32 v[4:5], s[14:15], v[2:3]
	s_cbranch_scc1 .LBB94_2198
; %bb.2189:
	s_and_b32 s13, 0xffff, s0
	s_mov_b32 s15, 0
	s_cmp_gt_i32 s13, 25
	s_cbranch_scc0 .LBB94_2199
; %bb.2190:
	s_cmp_gt_i32 s13, 28
	s_cbranch_scc0 .LBB94_2200
; %bb.2191:
	s_cmp_gt_i32 s13, 43
	s_cbranch_scc0 .LBB94_2201
; %bb.2192:
	s_cmp_gt_i32 s13, 45
	s_cbranch_scc0 .LBB94_2202
; %bb.2193:
	s_cmp_eq_u32 s13, 46
	s_mov_b32 s25, 0
	s_cbranch_scc0 .LBB94_2203
; %bb.2194:
	global_load_b32 v2, v[4:5], off
	s_mov_b32 s14, 0
	s_mov_b32 s24, -1
	s_wait_loadcnt 0x0
	v_lshlrev_b32_e32 v2, 16, v2
	s_delay_alu instid0(VALU_DEP_1) | instskip(NEXT) | instid1(VALU_DEP_1)
	v_trunc_f32_e32 v2, v2
	v_mul_f32_e64 v3, 0x2f800000, |v2|
	s_delay_alu instid0(VALU_DEP_1) | instskip(NEXT) | instid1(VALU_DEP_1)
	v_floor_f32_e32 v3, v3
	v_fma_f32 v6, 0xcf800000, v3, |v2|
	v_ashrrev_i32_e32 v2, 31, v2
	v_cvt_u32_f32_e32 v7, v3
	s_delay_alu instid0(VALU_DEP_3) | instskip(NEXT) | instid1(VALU_DEP_2)
	v_cvt_u32_f32_e32 v6, v6
	v_dual_mov_b32 v3, v2 :: v_dual_bitop2_b32 v7, v7, v2 bitop3:0x14
	s_delay_alu instid0(VALU_DEP_2) | instskip(NEXT) | instid1(VALU_DEP_1)
	v_xor_b32_e32 v6, v6, v2
	v_sub_nc_u64_e32 v[2:3], v[6:7], v[2:3]
	s_branch .LBB94_2205
.LBB94_2195:
	s_or_b32 exec_lo, exec_lo, s12
	s_and_saveexec_b32 s12, s66
	s_cbranch_execnz .LBB94_2264
.LBB94_2196:
	s_or_b32 exec_lo, exec_lo, s12
	s_and_saveexec_b32 s12, s38
	s_delay_alu instid0(SALU_CYCLE_1)
	s_xor_b32 s12, exec_lo, s12
	s_cbranch_execz .LBB94_2265
.LBB94_2197:
	s_wait_loadcnt 0x0
	global_load_u8 v2, v[4:5], off
	s_mov_b32 s14, 0
	s_or_b32 s13, s13, exec_lo
	v_mov_b32_e32 v3, s14
	s_wait_loadcnt 0x0
	v_cmp_ne_u16_e32 vcc_lo, 0, v2
	v_cndmask_b32_e64 v2, 0, 1, vcc_lo
	s_wait_xcnt 0x0
	s_or_b32 exec_lo, exec_lo, s12
	s_and_saveexec_b32 s12, s24
	s_cbranch_execz .LBB94_2311
	s_branch .LBB94_2266
.LBB94_2198:
	s_mov_b32 s25, -1
	s_mov_b32 s15, 0
	s_mov_b32 s14, s66
                                        ; implicit-def: $vgpr2_vgpr3
	s_branch .LBB94_2263
.LBB94_2199:
	s_mov_b32 s14, s66
                                        ; implicit-def: $vgpr2_vgpr3
	s_cbranch_execnz .LBB94_2232
	s_branch .LBB94_2262
.LBB94_2200:
	s_mov_b32 s25, -1
	s_mov_b32 s14, s66
                                        ; implicit-def: $vgpr2_vgpr3
	s_branch .LBB94_2215
.LBB94_2201:
	s_mov_b32 s25, -1
	s_mov_b32 s14, s66
                                        ; implicit-def: $vgpr2_vgpr3
	s_branch .LBB94_2210
.LBB94_2202:
	s_mov_b32 s25, -1
	s_mov_b32 s14, s66
	s_branch .LBB94_2204
.LBB94_2203:
	s_mov_b32 s14, -1
.LBB94_2204:
                                        ; implicit-def: $vgpr2_vgpr3
.LBB94_2205:
	s_and_b32 vcc_lo, exec_lo, s25
	s_cbranch_vccz .LBB94_2209
; %bb.2206:
	s_cmp_eq_u32 s13, 44
	s_cbranch_scc0 .LBB94_2208
; %bb.2207:
	global_load_u8 v8, v[4:5], off
	s_mov_b32 s14, 0
	s_mov_b32 s24, -1
	s_wait_loadcnt 0x0
	v_cmp_ne_u32_e32 vcc_lo, 0, v8
	v_lshlrev_b32_e32 v2, 23, v8
	s_delay_alu instid0(VALU_DEP_1) | instskip(NEXT) | instid1(VALU_DEP_1)
	v_trunc_f32_e32 v2, v2
	v_mul_f32_e64 v3, 0x2f800000, |v2|
	s_delay_alu instid0(VALU_DEP_1) | instskip(NEXT) | instid1(VALU_DEP_1)
	v_floor_f32_e32 v3, v3
	v_fma_f32 v6, 0xcf800000, v3, |v2|
	v_ashrrev_i32_e32 v2, 31, v2
	v_cvt_u32_f32_e32 v7, v3
	s_delay_alu instid0(VALU_DEP_3) | instskip(NEXT) | instid1(VALU_DEP_2)
	v_cvt_u32_f32_e32 v6, v6
	v_dual_mov_b32 v3, v2 :: v_dual_bitop2_b32 v7, v7, v2 bitop3:0x14
	s_delay_alu instid0(VALU_DEP_2) | instskip(NEXT) | instid1(VALU_DEP_1)
	v_xor_b32_e32 v6, v6, v2
	v_sub_nc_u64_e32 v[2:3], v[6:7], v[2:3]
	s_delay_alu instid0(VALU_DEP_1)
	v_dual_cndmask_b32 v3, 0, v3 :: v_dual_cndmask_b32 v2, 0, v2
	s_branch .LBB94_2209
.LBB94_2208:
	s_mov_b32 s14, -1
                                        ; implicit-def: $vgpr2_vgpr3
.LBB94_2209:
	s_mov_b32 s25, 0
.LBB94_2210:
	s_delay_alu instid0(SALU_CYCLE_1)
	s_and_b32 vcc_lo, exec_lo, s25
	s_cbranch_vccz .LBB94_2214
; %bb.2211:
	s_cmp_eq_u32 s13, 29
	s_cbranch_scc0 .LBB94_2213
; %bb.2212:
	global_load_b64 v[2:3], v[4:5], off
	s_mov_b32 s14, 0
	s_mov_b32 s24, -1
	s_branch .LBB94_2214
.LBB94_2213:
	s_mov_b32 s14, -1
                                        ; implicit-def: $vgpr2_vgpr3
.LBB94_2214:
	s_mov_b32 s25, 0
.LBB94_2215:
	s_delay_alu instid0(SALU_CYCLE_1)
	s_and_b32 vcc_lo, exec_lo, s25
	s_cbranch_vccz .LBB94_2231
; %bb.2216:
	s_cmp_lt_i32 s13, 27
	s_cbranch_scc1 .LBB94_2219
; %bb.2217:
	s_cmp_gt_i32 s13, 27
	s_cbranch_scc0 .LBB94_2220
; %bb.2218:
	s_wait_loadcnt 0x0
	global_load_b32 v2, v[4:5], off
	v_mov_b32_e32 v3, 0
	s_mov_b32 s24, 0
	s_branch .LBB94_2221
.LBB94_2219:
	s_mov_b32 s24, -1
                                        ; implicit-def: $vgpr2_vgpr3
	s_branch .LBB94_2224
.LBB94_2220:
	s_mov_b32 s24, -1
                                        ; implicit-def: $vgpr2_vgpr3
.LBB94_2221:
	s_delay_alu instid0(SALU_CYCLE_1)
	s_and_not1_b32 vcc_lo, exec_lo, s24
	s_cbranch_vccnz .LBB94_2223
; %bb.2222:
	s_wait_loadcnt 0x0
	global_load_u16 v2, v[4:5], off
	s_mov_b32 s24, 0
	s_delay_alu instid0(SALU_CYCLE_1)
	v_mov_b32_e32 v3, s24
	s_wait_loadcnt 0x0
	v_and_b32_e32 v2, 0xffff, v2
.LBB94_2223:
	s_mov_b32 s24, 0
.LBB94_2224:
	s_delay_alu instid0(SALU_CYCLE_1)
	s_and_not1_b32 vcc_lo, exec_lo, s24
	s_cbranch_vccnz .LBB94_2230
; %bb.2225:
	global_load_u8 v6, v[4:5], off
	s_mov_b32 s25, 0
	s_mov_b32 s24, exec_lo
	s_wait_loadcnt 0x0
	v_cmpx_lt_i16_e32 0x7f, v6
	s_xor_b32 s24, exec_lo, s24
	s_cbranch_execz .LBB94_2241
; %bb.2226:
	v_cmp_ne_u16_e32 vcc_lo, 0x80, v6
	s_and_b32 s25, vcc_lo, exec_lo
	s_and_not1_saveexec_b32 s24, s24
	s_cbranch_execnz .LBB94_2242
.LBB94_2227:
	s_or_b32 exec_lo, exec_lo, s24
	v_mov_b64_e32 v[2:3], 0
	s_and_saveexec_b32 s24, s25
	s_cbranch_execz .LBB94_2229
.LBB94_2228:
	v_and_b32_e32 v2, 0xffff, v6
	s_delay_alu instid0(VALU_DEP_1) | instskip(SKIP_1) | instid1(VALU_DEP_2)
	v_and_b32_e32 v3, 7, v2
	v_bfe_u32 v9, v2, 3, 4
	v_clz_i32_u32_e32 v7, v3
	s_delay_alu instid0(VALU_DEP_2) | instskip(NEXT) | instid1(VALU_DEP_2)
	v_cmp_eq_u32_e32 vcc_lo, 0, v9
	v_min_u32_e32 v7, 32, v7
	s_delay_alu instid0(VALU_DEP_1) | instskip(NEXT) | instid1(VALU_DEP_1)
	v_subrev_nc_u32_e32 v8, 28, v7
	v_dual_lshlrev_b32 v2, v8, v2 :: v_dual_sub_nc_u32 v7, 29, v7
	s_delay_alu instid0(VALU_DEP_1) | instskip(NEXT) | instid1(VALU_DEP_2)
	v_and_b32_e32 v2, 7, v2
	v_dual_cndmask_b32 v7, v9, v7 :: v_dual_lshlrev_b32 v6, 24, v6
	s_delay_alu instid0(VALU_DEP_2) | instskip(NEXT) | instid1(VALU_DEP_2)
	v_cndmask_b32_e32 v2, v3, v2, vcc_lo
	v_and_b32_e32 v3, 0x80000000, v6
	s_delay_alu instid0(VALU_DEP_3) | instskip(NEXT) | instid1(VALU_DEP_3)
	v_lshl_add_u32 v6, v7, 23, 0x3b800000
	v_lshlrev_b32_e32 v2, 20, v2
	s_delay_alu instid0(VALU_DEP_1) | instskip(NEXT) | instid1(VALU_DEP_1)
	v_or3_b32 v2, v3, v6, v2
	v_trunc_f32_e32 v2, v2
	s_delay_alu instid0(VALU_DEP_1) | instskip(NEXT) | instid1(VALU_DEP_1)
	v_mul_f32_e64 v3, 0x2f800000, |v2|
	v_floor_f32_e32 v3, v3
	s_delay_alu instid0(VALU_DEP_1) | instskip(SKIP_2) | instid1(VALU_DEP_3)
	v_fma_f32 v6, 0xcf800000, v3, |v2|
	v_ashrrev_i32_e32 v2, 31, v2
	v_cvt_u32_f32_e32 v7, v3
	v_cvt_u32_f32_e32 v6, v6
	s_delay_alu instid0(VALU_DEP_2) | instskip(NEXT) | instid1(VALU_DEP_2)
	v_dual_mov_b32 v3, v2 :: v_dual_bitop2_b32 v7, v7, v2 bitop3:0x14
	v_xor_b32_e32 v6, v6, v2
	s_delay_alu instid0(VALU_DEP_1)
	v_sub_nc_u64_e32 v[2:3], v[6:7], v[2:3]
.LBB94_2229:
	s_or_b32 exec_lo, exec_lo, s24
.LBB94_2230:
	s_mov_b32 s24, -1
.LBB94_2231:
	s_branch .LBB94_2262
.LBB94_2232:
	s_cmp_gt_i32 s13, 22
	s_cbranch_scc0 .LBB94_2240
; %bb.2233:
	s_cmp_lt_i32 s13, 24
	s_cbranch_scc1 .LBB94_2243
; %bb.2234:
	s_cmp_gt_i32 s13, 24
	s_cbranch_scc0 .LBB94_2244
; %bb.2235:
	global_load_u8 v6, v[4:5], off
	s_mov_b32 s24, 0
	s_mov_b32 s15, exec_lo
	s_wait_loadcnt 0x0
	v_cmpx_lt_i16_e32 0x7f, v6
	s_xor_b32 s15, exec_lo, s15
	s_cbranch_execz .LBB94_2256
; %bb.2236:
	v_cmp_ne_u16_e32 vcc_lo, 0x80, v6
	s_and_b32 s24, vcc_lo, exec_lo
	s_and_not1_saveexec_b32 s15, s15
	s_cbranch_execnz .LBB94_2257
.LBB94_2237:
	s_or_b32 exec_lo, exec_lo, s15
	v_mov_b64_e32 v[2:3], 0
	s_and_saveexec_b32 s15, s24
	s_cbranch_execz .LBB94_2239
.LBB94_2238:
	v_and_b32_e32 v2, 0xffff, v6
	s_delay_alu instid0(VALU_DEP_1) | instskip(SKIP_1) | instid1(VALU_DEP_2)
	v_and_b32_e32 v3, 3, v2
	v_bfe_u32 v9, v2, 2, 5
	v_clz_i32_u32_e32 v7, v3
	s_delay_alu instid0(VALU_DEP_2) | instskip(NEXT) | instid1(VALU_DEP_2)
	v_cmp_eq_u32_e32 vcc_lo, 0, v9
	v_min_u32_e32 v7, 32, v7
	s_delay_alu instid0(VALU_DEP_1) | instskip(NEXT) | instid1(VALU_DEP_1)
	v_subrev_nc_u32_e32 v8, 29, v7
	v_dual_lshlrev_b32 v2, v8, v2 :: v_dual_sub_nc_u32 v7, 30, v7
	s_delay_alu instid0(VALU_DEP_1) | instskip(NEXT) | instid1(VALU_DEP_2)
	v_and_b32_e32 v2, 3, v2
	v_dual_cndmask_b32 v7, v9, v7 :: v_dual_lshlrev_b32 v6, 24, v6
	s_delay_alu instid0(VALU_DEP_2) | instskip(NEXT) | instid1(VALU_DEP_2)
	v_cndmask_b32_e32 v2, v3, v2, vcc_lo
	v_and_b32_e32 v3, 0x80000000, v6
	s_delay_alu instid0(VALU_DEP_3) | instskip(NEXT) | instid1(VALU_DEP_3)
	v_lshl_add_u32 v6, v7, 23, 0x37800000
	v_lshlrev_b32_e32 v2, 21, v2
	s_delay_alu instid0(VALU_DEP_1) | instskip(NEXT) | instid1(VALU_DEP_1)
	v_or3_b32 v2, v3, v6, v2
	v_trunc_f32_e32 v2, v2
	s_delay_alu instid0(VALU_DEP_1) | instskip(NEXT) | instid1(VALU_DEP_1)
	v_mul_f32_e64 v3, 0x2f800000, |v2|
	v_floor_f32_e32 v3, v3
	s_delay_alu instid0(VALU_DEP_1) | instskip(SKIP_2) | instid1(VALU_DEP_3)
	v_fma_f32 v6, 0xcf800000, v3, |v2|
	v_ashrrev_i32_e32 v2, 31, v2
	v_cvt_u32_f32_e32 v7, v3
	v_cvt_u32_f32_e32 v6, v6
	s_delay_alu instid0(VALU_DEP_2) | instskip(NEXT) | instid1(VALU_DEP_2)
	v_dual_mov_b32 v3, v2 :: v_dual_bitop2_b32 v7, v7, v2 bitop3:0x14
	v_xor_b32_e32 v6, v6, v2
	s_delay_alu instid0(VALU_DEP_1)
	v_sub_nc_u64_e32 v[2:3], v[6:7], v[2:3]
.LBB94_2239:
	s_or_b32 exec_lo, exec_lo, s15
	s_mov_b32 s15, 0
	s_branch .LBB94_2245
.LBB94_2240:
	s_mov_b32 s15, -1
                                        ; implicit-def: $vgpr2_vgpr3
	s_branch .LBB94_2251
.LBB94_2241:
	s_and_not1_saveexec_b32 s24, s24
	s_cbranch_execz .LBB94_2227
.LBB94_2242:
	v_cmp_ne_u16_e32 vcc_lo, 0, v6
	s_and_not1_b32 s25, s25, exec_lo
	s_and_b32 s31, vcc_lo, exec_lo
	s_delay_alu instid0(SALU_CYCLE_1)
	s_or_b32 s25, s25, s31
	s_or_b32 exec_lo, exec_lo, s24
	v_mov_b64_e32 v[2:3], 0
	s_and_saveexec_b32 s24, s25
	s_cbranch_execnz .LBB94_2228
	s_branch .LBB94_2229
.LBB94_2243:
	s_mov_b32 s15, -1
                                        ; implicit-def: $vgpr2_vgpr3
	s_branch .LBB94_2248
.LBB94_2244:
	s_mov_b32 s15, -1
                                        ; implicit-def: $vgpr2_vgpr3
.LBB94_2245:
	s_delay_alu instid0(SALU_CYCLE_1)
	s_and_b32 vcc_lo, exec_lo, s15
	s_cbranch_vccz .LBB94_2247
; %bb.2246:
	s_wait_loadcnt 0x0
	global_load_u8 v2, v[4:5], off
	s_wait_loadcnt 0x0
	v_lshlrev_b32_e32 v2, 24, v2
	s_delay_alu instid0(VALU_DEP_1) | instskip(NEXT) | instid1(VALU_DEP_1)
	v_and_b32_e32 v3, 0x7f000000, v2
	v_clz_i32_u32_e32 v6, v3
	v_cmp_ne_u32_e32 vcc_lo, 0, v3
	v_add_nc_u32_e32 v8, 0x1000000, v3
	s_delay_alu instid0(VALU_DEP_3) | instskip(NEXT) | instid1(VALU_DEP_1)
	v_min_u32_e32 v6, 32, v6
	v_sub_nc_u32_e64 v6, v6, 4 clamp
	s_delay_alu instid0(VALU_DEP_1) | instskip(NEXT) | instid1(VALU_DEP_1)
	v_dual_lshlrev_b32 v7, v6, v3 :: v_dual_lshlrev_b32 v6, 23, v6
	v_lshrrev_b32_e32 v7, 4, v7
	s_delay_alu instid0(VALU_DEP_1) | instskip(NEXT) | instid1(VALU_DEP_1)
	v_dual_sub_nc_u32 v6, v7, v6 :: v_dual_ashrrev_i32 v7, 8, v8
	v_add_nc_u32_e32 v6, 0x3c000000, v6
	s_delay_alu instid0(VALU_DEP_1) | instskip(NEXT) | instid1(VALU_DEP_1)
	v_and_or_b32 v6, 0x7f800000, v7, v6
	v_cndmask_b32_e32 v3, 0, v6, vcc_lo
	s_delay_alu instid0(VALU_DEP_1) | instskip(NEXT) | instid1(VALU_DEP_1)
	v_and_or_b32 v2, 0x80000000, v2, v3
	v_trunc_f32_e32 v2, v2
	s_delay_alu instid0(VALU_DEP_1) | instskip(NEXT) | instid1(VALU_DEP_1)
	v_mul_f32_e64 v3, 0x2f800000, |v2|
	v_floor_f32_e32 v3, v3
	s_delay_alu instid0(VALU_DEP_1) | instskip(SKIP_2) | instid1(VALU_DEP_3)
	v_fma_f32 v6, 0xcf800000, v3, |v2|
	v_ashrrev_i32_e32 v2, 31, v2
	v_cvt_u32_f32_e32 v7, v3
	v_cvt_u32_f32_e32 v6, v6
	s_delay_alu instid0(VALU_DEP_2) | instskip(NEXT) | instid1(VALU_DEP_2)
	v_dual_mov_b32 v3, v2 :: v_dual_bitop2_b32 v7, v7, v2 bitop3:0x14
	v_xor_b32_e32 v6, v6, v2
	s_delay_alu instid0(VALU_DEP_1)
	v_sub_nc_u64_e32 v[2:3], v[6:7], v[2:3]
.LBB94_2247:
	s_mov_b32 s15, 0
.LBB94_2248:
	s_delay_alu instid0(SALU_CYCLE_1)
	s_and_not1_b32 vcc_lo, exec_lo, s15
	s_cbranch_vccnz .LBB94_2250
; %bb.2249:
	s_wait_loadcnt 0x0
	global_load_u8 v2, v[4:5], off
	s_wait_loadcnt 0x0
	v_lshlrev_b32_e32 v3, 25, v2
	v_lshlrev_b16 v2, 8, v2
	s_delay_alu instid0(VALU_DEP_1) | instskip(SKIP_1) | instid1(VALU_DEP_2)
	v_and_or_b32 v7, 0x7f00, v2, 0.5
	v_bfe_i32 v2, v2, 0, 16
	v_add_f32_e32 v7, -0.5, v7
	v_lshrrev_b32_e32 v6, 4, v3
	v_cmp_gt_u32_e32 vcc_lo, 0x8000000, v3
	s_delay_alu instid0(VALU_DEP_2) | instskip(NEXT) | instid1(VALU_DEP_1)
	v_or_b32_e32 v6, 0x70000000, v6
	v_mul_f32_e32 v6, 0x7800000, v6
	s_delay_alu instid0(VALU_DEP_1) | instskip(NEXT) | instid1(VALU_DEP_1)
	v_cndmask_b32_e32 v3, v6, v7, vcc_lo
	v_and_or_b32 v2, 0x80000000, v2, v3
	s_delay_alu instid0(VALU_DEP_1) | instskip(NEXT) | instid1(VALU_DEP_1)
	v_trunc_f32_e32 v2, v2
	v_mul_f32_e64 v3, 0x2f800000, |v2|
	s_delay_alu instid0(VALU_DEP_1) | instskip(NEXT) | instid1(VALU_DEP_1)
	v_floor_f32_e32 v3, v3
	v_fma_f32 v6, 0xcf800000, v3, |v2|
	v_ashrrev_i32_e32 v2, 31, v2
	v_cvt_u32_f32_e32 v7, v3
	s_delay_alu instid0(VALU_DEP_3) | instskip(NEXT) | instid1(VALU_DEP_2)
	v_cvt_u32_f32_e32 v6, v6
	v_dual_mov_b32 v3, v2 :: v_dual_bitop2_b32 v7, v7, v2 bitop3:0x14
	s_delay_alu instid0(VALU_DEP_2) | instskip(NEXT) | instid1(VALU_DEP_1)
	v_xor_b32_e32 v6, v6, v2
	v_sub_nc_u64_e32 v[2:3], v[6:7], v[2:3]
.LBB94_2250:
	s_mov_b32 s15, 0
	s_mov_b32 s24, -1
.LBB94_2251:
	s_and_not1_b32 vcc_lo, exec_lo, s15
	s_mov_b32 s15, 0
	s_cbranch_vccnz .LBB94_2262
; %bb.2252:
	s_cmp_gt_i32 s13, 14
	s_cbranch_scc0 .LBB94_2255
; %bb.2253:
	s_cmp_eq_u32 s13, 15
	s_cbranch_scc0 .LBB94_2258
; %bb.2254:
	s_wait_loadcnt 0x0
	global_load_u16 v2, v[4:5], off
	s_mov_b32 s14, 0
	s_mov_b32 s24, -1
	s_wait_loadcnt 0x0
	v_lshlrev_b32_e32 v2, 16, v2
	s_delay_alu instid0(VALU_DEP_1) | instskip(NEXT) | instid1(VALU_DEP_1)
	v_trunc_f32_e32 v2, v2
	v_mul_f32_e64 v3, 0x2f800000, |v2|
	s_delay_alu instid0(VALU_DEP_1) | instskip(NEXT) | instid1(VALU_DEP_1)
	v_floor_f32_e32 v3, v3
	v_fma_f32 v6, 0xcf800000, v3, |v2|
	v_ashrrev_i32_e32 v2, 31, v2
	v_cvt_u32_f32_e32 v7, v3
	s_delay_alu instid0(VALU_DEP_3) | instskip(NEXT) | instid1(VALU_DEP_2)
	v_cvt_u32_f32_e32 v6, v6
	v_dual_mov_b32 v3, v2 :: v_dual_bitop2_b32 v7, v7, v2 bitop3:0x14
	s_delay_alu instid0(VALU_DEP_2) | instskip(NEXT) | instid1(VALU_DEP_1)
	v_xor_b32_e32 v6, v6, v2
	v_sub_nc_u64_e32 v[2:3], v[6:7], v[2:3]
	s_branch .LBB94_2260
.LBB94_2255:
	s_mov_b32 s15, -1
	s_branch .LBB94_2259
.LBB94_2256:
	s_and_not1_saveexec_b32 s15, s15
	s_cbranch_execz .LBB94_2237
.LBB94_2257:
	v_cmp_ne_u16_e32 vcc_lo, 0, v6
	s_and_not1_b32 s24, s24, exec_lo
	s_and_b32 s25, vcc_lo, exec_lo
	s_delay_alu instid0(SALU_CYCLE_1)
	s_or_b32 s24, s24, s25
	s_or_b32 exec_lo, exec_lo, s15
	v_mov_b64_e32 v[2:3], 0
	s_and_saveexec_b32 s15, s24
	s_cbranch_execnz .LBB94_2238
	s_branch .LBB94_2239
.LBB94_2258:
	s_mov_b32 s14, -1
.LBB94_2259:
                                        ; implicit-def: $vgpr2_vgpr3
.LBB94_2260:
	s_and_b32 vcc_lo, exec_lo, s15
	s_mov_b32 s15, 0
	s_cbranch_vccz .LBB94_2262
; %bb.2261:
	s_cmp_lg_u32 s13, 11
	s_mov_b32 s15, -1
	s_cselect_b32 s13, -1, 0
	s_and_not1_b32 s14, s14, exec_lo
	s_and_b32 s13, s13, exec_lo
	s_delay_alu instid0(SALU_CYCLE_1)
	s_or_b32 s14, s14, s13
.LBB94_2262:
	s_mov_b32 s25, 0
.LBB94_2263:
	s_and_b32 s13, s24, exec_lo
	s_and_b32 s24, s25, exec_lo
	s_and_not1_b32 s25, s66, exec_lo
	s_and_b32 s14, s14, exec_lo
	s_and_b32 s38, s15, exec_lo
	s_or_b32 s66, s25, s14
	s_wait_xcnt 0x0
	s_or_b32 exec_lo, exec_lo, s12
	s_and_saveexec_b32 s12, s66
	s_cbranch_execz .LBB94_2196
.LBB94_2264:
	s_or_b32 s1, s1, exec_lo
	s_and_not1_b32 s38, s38, exec_lo
	s_trap 2
	s_or_b32 exec_lo, exec_lo, s12
	s_and_saveexec_b32 s12, s38
	s_delay_alu instid0(SALU_CYCLE_1)
	s_xor_b32 s12, exec_lo, s12
	s_cbranch_execnz .LBB94_2197
.LBB94_2265:
	s_or_b32 exec_lo, exec_lo, s12
	s_and_saveexec_b32 s12, s24
	s_cbranch_execz .LBB94_2311
.LBB94_2266:
	s_sext_i32_i16 s14, s0
	s_delay_alu instid0(SALU_CYCLE_1)
	s_cmp_lt_i32 s14, 5
	s_cbranch_scc1 .LBB94_2271
; %bb.2267:
	s_cmp_lt_i32 s14, 8
	s_cbranch_scc1 .LBB94_2272
; %bb.2268:
	;; [unrolled: 3-line block ×3, first 2 shown]
	s_cmp_gt_i32 s14, 9
	s_cbranch_scc0 .LBB94_2274
; %bb.2270:
	s_wait_loadcnt 0x0
	global_load_b64 v[2:3], v[4:5], off
	s_mov_b32 s14, 0
	s_wait_loadcnt 0x0
	v_trunc_f64_e32 v[2:3], v[2:3]
	s_delay_alu instid0(VALU_DEP_1) | instskip(NEXT) | instid1(VALU_DEP_1)
	v_ldexp_f64 v[6:7], v[2:3], 0xffffffe0
	v_floor_f64_e32 v[6:7], v[6:7]
	s_delay_alu instid0(VALU_DEP_1) | instskip(SKIP_1) | instid1(VALU_DEP_2)
	v_fmamk_f64 v[8:9], v[6:7], 0xc1f00000, v[2:3]
	v_cvt_i32_f64_e32 v3, v[6:7]
	v_cvt_u32_f64_e32 v2, v[8:9]
	s_branch .LBB94_2275
.LBB94_2271:
                                        ; implicit-def: $vgpr2_vgpr3
	s_branch .LBB94_2292
.LBB94_2272:
                                        ; implicit-def: $vgpr2_vgpr3
	s_branch .LBB94_2281
.LBB94_2273:
	s_mov_b32 s14, -1
                                        ; implicit-def: $vgpr2_vgpr3
	s_branch .LBB94_2278
.LBB94_2274:
	s_mov_b32 s14, -1
                                        ; implicit-def: $vgpr2_vgpr3
.LBB94_2275:
	s_delay_alu instid0(SALU_CYCLE_1)
	s_and_not1_b32 vcc_lo, exec_lo, s14
	s_cbranch_vccnz .LBB94_2277
; %bb.2276:
	s_wait_loadcnt 0x0
	global_load_b32 v2, v[4:5], off
	s_wait_loadcnt 0x0
	v_trunc_f32_e32 v2, v2
	s_delay_alu instid0(VALU_DEP_1) | instskip(NEXT) | instid1(VALU_DEP_1)
	v_mul_f32_e64 v3, 0x2f800000, |v2|
	v_floor_f32_e32 v3, v3
	s_delay_alu instid0(VALU_DEP_1) | instskip(SKIP_2) | instid1(VALU_DEP_3)
	v_fma_f32 v6, 0xcf800000, v3, |v2|
	v_ashrrev_i32_e32 v2, 31, v2
	v_cvt_u32_f32_e32 v7, v3
	v_cvt_u32_f32_e32 v6, v6
	s_delay_alu instid0(VALU_DEP_2) | instskip(NEXT) | instid1(VALU_DEP_2)
	v_dual_mov_b32 v3, v2 :: v_dual_bitop2_b32 v7, v7, v2 bitop3:0x14
	v_xor_b32_e32 v6, v6, v2
	s_delay_alu instid0(VALU_DEP_1)
	v_sub_nc_u64_e32 v[2:3], v[6:7], v[2:3]
.LBB94_2277:
	s_mov_b32 s14, 0
.LBB94_2278:
	s_delay_alu instid0(SALU_CYCLE_1)
	s_and_not1_b32 vcc_lo, exec_lo, s14
	s_cbranch_vccnz .LBB94_2280
; %bb.2279:
	s_wait_loadcnt 0x0
	global_load_b32 v2, v[4:5], off
	s_wait_loadcnt 0x0
	v_cvt_f32_f16_e32 v2, v2
	s_delay_alu instid0(VALU_DEP_1) | instskip(NEXT) | instid1(VALU_DEP_1)
	v_cvt_i32_f32_e32 v2, v2
	v_ashrrev_i32_e32 v3, 31, v2
.LBB94_2280:
	s_cbranch_execnz .LBB94_2291
.LBB94_2281:
	s_sext_i32_i16 s14, s0
	s_delay_alu instid0(SALU_CYCLE_1)
	s_cmp_lt_i32 s14, 6
	s_cbranch_scc1 .LBB94_2284
; %bb.2282:
	s_cmp_gt_i32 s14, 6
	s_cbranch_scc0 .LBB94_2285
; %bb.2283:
	s_wait_loadcnt 0x0
	global_load_b64 v[2:3], v[4:5], off
	s_mov_b32 s14, 0
	s_wait_loadcnt 0x0
	v_trunc_f64_e32 v[2:3], v[2:3]
	s_delay_alu instid0(VALU_DEP_1) | instskip(NEXT) | instid1(VALU_DEP_1)
	v_ldexp_f64 v[6:7], v[2:3], 0xffffffe0
	v_floor_f64_e32 v[6:7], v[6:7]
	s_delay_alu instid0(VALU_DEP_1) | instskip(SKIP_1) | instid1(VALU_DEP_2)
	v_fmamk_f64 v[8:9], v[6:7], 0xc1f00000, v[2:3]
	v_cvt_i32_f64_e32 v3, v[6:7]
	v_cvt_u32_f64_e32 v2, v[8:9]
	s_branch .LBB94_2286
.LBB94_2284:
	s_mov_b32 s14, -1
                                        ; implicit-def: $vgpr2_vgpr3
	s_branch .LBB94_2289
.LBB94_2285:
	s_mov_b32 s14, -1
                                        ; implicit-def: $vgpr2_vgpr3
.LBB94_2286:
	s_delay_alu instid0(SALU_CYCLE_1)
	s_and_not1_b32 vcc_lo, exec_lo, s14
	s_cbranch_vccnz .LBB94_2288
; %bb.2287:
	s_wait_loadcnt 0x0
	global_load_b32 v2, v[4:5], off
	s_wait_loadcnt 0x0
	v_trunc_f32_e32 v2, v2
	s_delay_alu instid0(VALU_DEP_1) | instskip(NEXT) | instid1(VALU_DEP_1)
	v_mul_f32_e64 v3, 0x2f800000, |v2|
	v_floor_f32_e32 v3, v3
	s_delay_alu instid0(VALU_DEP_1) | instskip(SKIP_2) | instid1(VALU_DEP_3)
	v_fma_f32 v6, 0xcf800000, v3, |v2|
	v_ashrrev_i32_e32 v2, 31, v2
	v_cvt_u32_f32_e32 v7, v3
	v_cvt_u32_f32_e32 v6, v6
	s_delay_alu instid0(VALU_DEP_2) | instskip(NEXT) | instid1(VALU_DEP_2)
	v_dual_mov_b32 v3, v2 :: v_dual_bitop2_b32 v7, v7, v2 bitop3:0x14
	v_xor_b32_e32 v6, v6, v2
	s_delay_alu instid0(VALU_DEP_1)
	v_sub_nc_u64_e32 v[2:3], v[6:7], v[2:3]
.LBB94_2288:
	s_mov_b32 s14, 0
.LBB94_2289:
	s_delay_alu instid0(SALU_CYCLE_1)
	s_and_not1_b32 vcc_lo, exec_lo, s14
	s_cbranch_vccnz .LBB94_2291
; %bb.2290:
	s_wait_loadcnt 0x0
	global_load_u16 v2, v[4:5], off
	s_wait_loadcnt 0x0
	v_cvt_f32_f16_e32 v2, v2
	s_delay_alu instid0(VALU_DEP_1) | instskip(NEXT) | instid1(VALU_DEP_1)
	v_cvt_i32_f32_e32 v2, v2
	v_ashrrev_i32_e32 v3, 31, v2
.LBB94_2291:
	s_cbranch_execnz .LBB94_2310
.LBB94_2292:
	s_sext_i32_i16 s14, s0
	s_delay_alu instid0(SALU_CYCLE_1)
	s_cmp_lt_i32 s14, 2
	s_cbranch_scc1 .LBB94_2296
; %bb.2293:
	s_cmp_lt_i32 s14, 3
	s_cbranch_scc1 .LBB94_2297
; %bb.2294:
	s_cmp_gt_i32 s14, 3
	s_cbranch_scc0 .LBB94_2298
; %bb.2295:
	s_wait_loadcnt 0x0
	global_load_b64 v[2:3], v[4:5], off
	s_mov_b32 s14, 0
	s_branch .LBB94_2299
.LBB94_2296:
                                        ; implicit-def: $vgpr2_vgpr3
	s_branch .LBB94_2305
.LBB94_2297:
	s_mov_b32 s14, -1
                                        ; implicit-def: $vgpr2_vgpr3
	s_branch .LBB94_2302
.LBB94_2298:
	s_mov_b32 s14, -1
                                        ; implicit-def: $vgpr2_vgpr3
.LBB94_2299:
	s_delay_alu instid0(SALU_CYCLE_1)
	s_and_not1_b32 vcc_lo, exec_lo, s14
	s_cbranch_vccnz .LBB94_2301
; %bb.2300:
	s_wait_loadcnt 0x0
	global_load_b32 v2, v[4:5], off
	s_wait_loadcnt 0x0
	v_ashrrev_i32_e32 v3, 31, v2
.LBB94_2301:
	s_mov_b32 s14, 0
.LBB94_2302:
	s_delay_alu instid0(SALU_CYCLE_1)
	s_and_not1_b32 vcc_lo, exec_lo, s14
	s_cbranch_vccnz .LBB94_2304
; %bb.2303:
	s_wait_loadcnt 0x0
	global_load_u16 v2, v[4:5], off
	s_wait_loadcnt 0x0
	v_bfe_i32 v2, v2, 0, 16
	s_delay_alu instid0(VALU_DEP_1)
	v_ashrrev_i32_e32 v3, 31, v2
.LBB94_2304:
	s_cbranch_execnz .LBB94_2310
.LBB94_2305:
	s_sext_i32_i16 s0, s0
	s_delay_alu instid0(SALU_CYCLE_1)
	s_cmp_gt_i32 s0, 0
	s_mov_b32 s0, 0
	s_cbranch_scc0 .LBB94_2307
; %bb.2306:
	s_wait_loadcnt 0x0
	global_load_i8 v2, v[4:5], off
	s_wait_loadcnt 0x0
	v_bfe_i32 v2, v2, 0, 16
	s_delay_alu instid0(VALU_DEP_1)
	v_ashrrev_i32_e32 v3, 31, v2
	s_branch .LBB94_2308
.LBB94_2307:
	s_mov_b32 s0, -1
                                        ; implicit-def: $vgpr2_vgpr3
.LBB94_2308:
	s_delay_alu instid0(SALU_CYCLE_1)
	s_and_not1_b32 vcc_lo, exec_lo, s0
	s_cbranch_vccnz .LBB94_2310
; %bb.2309:
	s_wait_loadcnt 0x0
	global_load_u8 v2, v[4:5], off
	s_mov_b32 s0, 0
	s_delay_alu instid0(SALU_CYCLE_1)
	v_mov_b32_e32 v3, s0
	s_wait_loadcnt 0x0
	v_and_b32_e32 v2, 0xffff, v2
.LBB94_2310:
	s_or_b32 s13, s13, exec_lo
.LBB94_2311:
	s_wait_xcnt 0x0
	s_or_b32 exec_lo, exec_lo, s12
	s_mov_b32 s14, 0
	s_mov_b32 s24, 0
	;; [unrolled: 1-line block ×3, first 2 shown]
                                        ; implicit-def: $sgpr0
                                        ; implicit-def: $vgpr6_vgpr7
                                        ; implicit-def: $vgpr4_vgpr5
	s_and_saveexec_b32 s12, s13
	s_cbranch_execz .LBB94_2319
; %bb.2312:
	s_wait_loadcnt 0x0
	v_mul_lo_u32 v4, s26, v26
	s_and_b32 s0, s36, 0xff
	s_delay_alu instid0(SALU_CYCLE_1) | instskip(NEXT) | instid1(VALU_DEP_1)
	s_cmp_lt_i32 s0, 11
	v_ashrrev_i32_e32 v5, 31, v4
	s_delay_alu instid0(VALU_DEP_1)
	v_add_nc_u64_e32 v[6:7], s[16:17], v[4:5]
	s_cbranch_scc1 .LBB94_2322
; %bb.2313:
	s_and_b32 s13, 0xffff, s0
	s_mov_b32 s16, 0
	s_cmp_gt_i32 s13, 25
	s_cbranch_scc0 .LBB94_2323
; %bb.2314:
	s_cmp_gt_i32 s13, 28
	s_cbranch_scc0 .LBB94_2324
; %bb.2315:
	;; [unrolled: 3-line block ×4, first 2 shown]
	s_cmp_eq_u32 s13, 46
	s_mov_b32 s17, 0
	s_cbranch_scc0 .LBB94_2327
; %bb.2318:
	global_load_b32 v4, v[6:7], off
	s_mov_b32 s15, -1
	s_wait_loadcnt 0x0
	v_lshlrev_b32_e32 v4, 16, v4
	s_delay_alu instid0(VALU_DEP_1) | instskip(NEXT) | instid1(VALU_DEP_1)
	v_trunc_f32_e32 v4, v4
	v_mul_f32_e64 v5, 0x2f800000, |v4|
	s_delay_alu instid0(VALU_DEP_1) | instskip(NEXT) | instid1(VALU_DEP_1)
	v_floor_f32_e32 v5, v5
	v_fma_f32 v8, 0xcf800000, v5, |v4|
	v_ashrrev_i32_e32 v4, 31, v4
	v_cvt_u32_f32_e32 v9, v5
	s_delay_alu instid0(VALU_DEP_3) | instskip(NEXT) | instid1(VALU_DEP_2)
	v_cvt_u32_f32_e32 v8, v8
	v_dual_mov_b32 v5, v4 :: v_dual_bitop2_b32 v9, v9, v4 bitop3:0x14
	s_delay_alu instid0(VALU_DEP_2) | instskip(NEXT) | instid1(VALU_DEP_1)
	v_xor_b32_e32 v8, v8, v4
	v_sub_nc_u64_e32 v[4:5], v[8:9], v[4:5]
	s_branch .LBB94_2329
.LBB94_2319:
	s_or_b32 exec_lo, exec_lo, s12
	s_and_saveexec_b32 s12, s65
	s_cbranch_execnz .LBB94_2388
.LBB94_2320:
	s_or_b32 exec_lo, exec_lo, s12
	s_and_saveexec_b32 s12, s14
	s_delay_alu instid0(SALU_CYCLE_1)
	s_xor_b32 s12, exec_lo, s12
	s_cbranch_execz .LBB94_2389
.LBB94_2321:
	s_wait_loadcnt 0x0
	global_load_u8 v4, v[6:7], off
	s_mov_b32 s13, 0
	s_or_b32 s15, s15, exec_lo
	v_mov_b32_e32 v5, s13
	s_wait_loadcnt 0x0
	v_cmp_ne_u16_e32 vcc_lo, 0, v4
	v_cndmask_b32_e64 v4, 0, 1, vcc_lo
	s_wait_xcnt 0x0
	s_or_b32 exec_lo, exec_lo, s12
	s_and_saveexec_b32 s12, s24
	s_cbranch_execz .LBB94_2435
	s_branch .LBB94_2390
.LBB94_2322:
	s_mov_b32 s13, -1
	s_mov_b32 s16, 0
	s_mov_b32 s14, s65
                                        ; implicit-def: $vgpr4_vgpr5
	s_branch .LBB94_2387
.LBB94_2323:
	s_mov_b32 s14, s65
                                        ; implicit-def: $vgpr4_vgpr5
	s_cbranch_execnz .LBB94_2356
	s_branch .LBB94_2386
.LBB94_2324:
	s_mov_b32 s17, -1
	s_mov_b32 s14, s65
                                        ; implicit-def: $vgpr4_vgpr5
	s_branch .LBB94_2339
.LBB94_2325:
	s_mov_b32 s17, -1
	s_mov_b32 s14, s65
                                        ; implicit-def: $vgpr4_vgpr5
	s_branch .LBB94_2334
.LBB94_2326:
	s_mov_b32 s17, -1
	s_mov_b32 s14, s65
	s_branch .LBB94_2328
.LBB94_2327:
	s_mov_b32 s14, -1
.LBB94_2328:
                                        ; implicit-def: $vgpr4_vgpr5
.LBB94_2329:
	s_and_b32 vcc_lo, exec_lo, s17
	s_cbranch_vccz .LBB94_2333
; %bb.2330:
	s_cmp_eq_u32 s13, 44
	s_cbranch_scc0 .LBB94_2332
; %bb.2331:
	global_load_u8 v10, v[6:7], off
	s_mov_b32 s14, 0
	s_mov_b32 s15, -1
	s_wait_loadcnt 0x0
	v_cmp_ne_u32_e32 vcc_lo, 0, v10
	v_lshlrev_b32_e32 v4, 23, v10
	s_delay_alu instid0(VALU_DEP_1) | instskip(NEXT) | instid1(VALU_DEP_1)
	v_trunc_f32_e32 v4, v4
	v_mul_f32_e64 v5, 0x2f800000, |v4|
	s_delay_alu instid0(VALU_DEP_1) | instskip(NEXT) | instid1(VALU_DEP_1)
	v_floor_f32_e32 v5, v5
	v_fma_f32 v8, 0xcf800000, v5, |v4|
	v_ashrrev_i32_e32 v4, 31, v4
	v_cvt_u32_f32_e32 v9, v5
	s_delay_alu instid0(VALU_DEP_3) | instskip(NEXT) | instid1(VALU_DEP_2)
	v_cvt_u32_f32_e32 v8, v8
	v_dual_mov_b32 v5, v4 :: v_dual_bitop2_b32 v9, v9, v4 bitop3:0x14
	s_delay_alu instid0(VALU_DEP_2) | instskip(NEXT) | instid1(VALU_DEP_1)
	v_xor_b32_e32 v8, v8, v4
	v_sub_nc_u64_e32 v[4:5], v[8:9], v[4:5]
	s_delay_alu instid0(VALU_DEP_1)
	v_dual_cndmask_b32 v5, 0, v5 :: v_dual_cndmask_b32 v4, 0, v4
	s_branch .LBB94_2333
.LBB94_2332:
	s_mov_b32 s14, -1
                                        ; implicit-def: $vgpr4_vgpr5
.LBB94_2333:
	s_mov_b32 s17, 0
.LBB94_2334:
	s_delay_alu instid0(SALU_CYCLE_1)
	s_and_b32 vcc_lo, exec_lo, s17
	s_cbranch_vccz .LBB94_2338
; %bb.2335:
	s_cmp_eq_u32 s13, 29
	s_cbranch_scc0 .LBB94_2337
; %bb.2336:
	global_load_b64 v[4:5], v[6:7], off
	s_mov_b32 s14, 0
	s_mov_b32 s15, -1
	s_branch .LBB94_2338
.LBB94_2337:
	s_mov_b32 s14, -1
                                        ; implicit-def: $vgpr4_vgpr5
.LBB94_2338:
	s_mov_b32 s17, 0
.LBB94_2339:
	s_delay_alu instid0(SALU_CYCLE_1)
	s_and_b32 vcc_lo, exec_lo, s17
	s_cbranch_vccz .LBB94_2355
; %bb.2340:
	s_cmp_lt_i32 s13, 27
	s_cbranch_scc1 .LBB94_2343
; %bb.2341:
	s_cmp_gt_i32 s13, 27
	s_cbranch_scc0 .LBB94_2344
; %bb.2342:
	s_wait_loadcnt 0x0
	global_load_b32 v4, v[6:7], off
	v_mov_b32_e32 v5, 0
	s_mov_b32 s15, 0
	s_branch .LBB94_2345
.LBB94_2343:
	s_mov_b32 s15, -1
                                        ; implicit-def: $vgpr4_vgpr5
	s_branch .LBB94_2348
.LBB94_2344:
	s_mov_b32 s15, -1
                                        ; implicit-def: $vgpr4_vgpr5
.LBB94_2345:
	s_delay_alu instid0(SALU_CYCLE_1)
	s_and_not1_b32 vcc_lo, exec_lo, s15
	s_cbranch_vccnz .LBB94_2347
; %bb.2346:
	s_wait_loadcnt 0x0
	global_load_u16 v4, v[6:7], off
	s_mov_b32 s15, 0
	s_delay_alu instid0(SALU_CYCLE_1)
	v_mov_b32_e32 v5, s15
	s_wait_loadcnt 0x0
	v_and_b32_e32 v4, 0xffff, v4
.LBB94_2347:
	s_mov_b32 s15, 0
.LBB94_2348:
	s_delay_alu instid0(SALU_CYCLE_1)
	s_and_not1_b32 vcc_lo, exec_lo, s15
	s_cbranch_vccnz .LBB94_2354
; %bb.2349:
	global_load_u8 v8, v[6:7], off
	s_mov_b32 s17, 0
	s_mov_b32 s15, exec_lo
	s_wait_loadcnt 0x0
	v_cmpx_lt_i16_e32 0x7f, v8
	s_xor_b32 s15, exec_lo, s15
	s_cbranch_execz .LBB94_2365
; %bb.2350:
	v_cmp_ne_u16_e32 vcc_lo, 0x80, v8
	s_and_b32 s17, vcc_lo, exec_lo
	s_and_not1_saveexec_b32 s15, s15
	s_cbranch_execnz .LBB94_2366
.LBB94_2351:
	s_or_b32 exec_lo, exec_lo, s15
	v_mov_b64_e32 v[4:5], 0
	s_and_saveexec_b32 s15, s17
	s_cbranch_execz .LBB94_2353
.LBB94_2352:
	v_and_b32_e32 v4, 0xffff, v8
	s_delay_alu instid0(VALU_DEP_1) | instskip(SKIP_1) | instid1(VALU_DEP_2)
	v_and_b32_e32 v5, 7, v4
	v_bfe_u32 v11, v4, 3, 4
	v_clz_i32_u32_e32 v9, v5
	s_delay_alu instid0(VALU_DEP_2) | instskip(NEXT) | instid1(VALU_DEP_2)
	v_cmp_eq_u32_e32 vcc_lo, 0, v11
	v_min_u32_e32 v9, 32, v9
	s_delay_alu instid0(VALU_DEP_1) | instskip(NEXT) | instid1(VALU_DEP_1)
	v_subrev_nc_u32_e32 v10, 28, v9
	v_dual_lshlrev_b32 v4, v10, v4 :: v_dual_sub_nc_u32 v9, 29, v9
	s_delay_alu instid0(VALU_DEP_1) | instskip(NEXT) | instid1(VALU_DEP_2)
	v_and_b32_e32 v4, 7, v4
	v_dual_cndmask_b32 v9, v11, v9 :: v_dual_lshlrev_b32 v8, 24, v8
	s_delay_alu instid0(VALU_DEP_2) | instskip(NEXT) | instid1(VALU_DEP_2)
	v_cndmask_b32_e32 v4, v5, v4, vcc_lo
	v_and_b32_e32 v5, 0x80000000, v8
	s_delay_alu instid0(VALU_DEP_3) | instskip(NEXT) | instid1(VALU_DEP_3)
	v_lshl_add_u32 v8, v9, 23, 0x3b800000
	v_lshlrev_b32_e32 v4, 20, v4
	s_delay_alu instid0(VALU_DEP_1) | instskip(NEXT) | instid1(VALU_DEP_1)
	v_or3_b32 v4, v5, v8, v4
	v_trunc_f32_e32 v4, v4
	s_delay_alu instid0(VALU_DEP_1) | instskip(NEXT) | instid1(VALU_DEP_1)
	v_mul_f32_e64 v5, 0x2f800000, |v4|
	v_floor_f32_e32 v5, v5
	s_delay_alu instid0(VALU_DEP_1) | instskip(SKIP_2) | instid1(VALU_DEP_3)
	v_fma_f32 v8, 0xcf800000, v5, |v4|
	v_ashrrev_i32_e32 v4, 31, v4
	v_cvt_u32_f32_e32 v9, v5
	v_cvt_u32_f32_e32 v8, v8
	s_delay_alu instid0(VALU_DEP_2) | instskip(NEXT) | instid1(VALU_DEP_2)
	v_dual_mov_b32 v5, v4 :: v_dual_bitop2_b32 v9, v9, v4 bitop3:0x14
	v_xor_b32_e32 v8, v8, v4
	s_delay_alu instid0(VALU_DEP_1)
	v_sub_nc_u64_e32 v[4:5], v[8:9], v[4:5]
.LBB94_2353:
	s_or_b32 exec_lo, exec_lo, s15
.LBB94_2354:
	s_mov_b32 s15, -1
.LBB94_2355:
	s_branch .LBB94_2386
.LBB94_2356:
	s_cmp_gt_i32 s13, 22
	s_cbranch_scc0 .LBB94_2364
; %bb.2357:
	s_cmp_lt_i32 s13, 24
	s_cbranch_scc1 .LBB94_2367
; %bb.2358:
	s_cmp_gt_i32 s13, 24
	s_cbranch_scc0 .LBB94_2368
; %bb.2359:
	global_load_u8 v8, v[6:7], off
	s_mov_b32 s15, exec_lo
	s_wait_loadcnt 0x0
	v_cmpx_lt_i16_e32 0x7f, v8
	s_xor_b32 s15, exec_lo, s15
	s_cbranch_execz .LBB94_2380
; %bb.2360:
	v_cmp_ne_u16_e32 vcc_lo, 0x80, v8
	s_and_b32 s16, vcc_lo, exec_lo
	s_and_not1_saveexec_b32 s15, s15
	s_cbranch_execnz .LBB94_2381
.LBB94_2361:
	s_or_b32 exec_lo, exec_lo, s15
	v_mov_b64_e32 v[4:5], 0
	s_and_saveexec_b32 s15, s16
	s_cbranch_execz .LBB94_2363
.LBB94_2362:
	v_and_b32_e32 v4, 0xffff, v8
	s_delay_alu instid0(VALU_DEP_1) | instskip(SKIP_1) | instid1(VALU_DEP_2)
	v_and_b32_e32 v5, 3, v4
	v_bfe_u32 v11, v4, 2, 5
	v_clz_i32_u32_e32 v9, v5
	s_delay_alu instid0(VALU_DEP_2) | instskip(NEXT) | instid1(VALU_DEP_2)
	v_cmp_eq_u32_e32 vcc_lo, 0, v11
	v_min_u32_e32 v9, 32, v9
	s_delay_alu instid0(VALU_DEP_1) | instskip(NEXT) | instid1(VALU_DEP_1)
	v_subrev_nc_u32_e32 v10, 29, v9
	v_dual_lshlrev_b32 v4, v10, v4 :: v_dual_sub_nc_u32 v9, 30, v9
	s_delay_alu instid0(VALU_DEP_1) | instskip(NEXT) | instid1(VALU_DEP_2)
	v_and_b32_e32 v4, 3, v4
	v_dual_cndmask_b32 v9, v11, v9 :: v_dual_lshlrev_b32 v8, 24, v8
	s_delay_alu instid0(VALU_DEP_2) | instskip(NEXT) | instid1(VALU_DEP_2)
	v_cndmask_b32_e32 v4, v5, v4, vcc_lo
	v_and_b32_e32 v5, 0x80000000, v8
	s_delay_alu instid0(VALU_DEP_3) | instskip(NEXT) | instid1(VALU_DEP_3)
	v_lshl_add_u32 v8, v9, 23, 0x37800000
	v_lshlrev_b32_e32 v4, 21, v4
	s_delay_alu instid0(VALU_DEP_1) | instskip(NEXT) | instid1(VALU_DEP_1)
	v_or3_b32 v4, v5, v8, v4
	v_trunc_f32_e32 v4, v4
	s_delay_alu instid0(VALU_DEP_1) | instskip(NEXT) | instid1(VALU_DEP_1)
	v_mul_f32_e64 v5, 0x2f800000, |v4|
	v_floor_f32_e32 v5, v5
	s_delay_alu instid0(VALU_DEP_1) | instskip(SKIP_2) | instid1(VALU_DEP_3)
	v_fma_f32 v8, 0xcf800000, v5, |v4|
	v_ashrrev_i32_e32 v4, 31, v4
	v_cvt_u32_f32_e32 v9, v5
	v_cvt_u32_f32_e32 v8, v8
	s_delay_alu instid0(VALU_DEP_2) | instskip(NEXT) | instid1(VALU_DEP_2)
	v_dual_mov_b32 v5, v4 :: v_dual_bitop2_b32 v9, v9, v4 bitop3:0x14
	v_xor_b32_e32 v8, v8, v4
	s_delay_alu instid0(VALU_DEP_1)
	v_sub_nc_u64_e32 v[4:5], v[8:9], v[4:5]
.LBB94_2363:
	s_or_b32 exec_lo, exec_lo, s15
	s_mov_b32 s15, 0
	s_branch .LBB94_2369
.LBB94_2364:
	s_mov_b32 s16, -1
                                        ; implicit-def: $vgpr4_vgpr5
	s_branch .LBB94_2375
.LBB94_2365:
	s_and_not1_saveexec_b32 s15, s15
	s_cbranch_execz .LBB94_2351
.LBB94_2366:
	v_cmp_ne_u16_e32 vcc_lo, 0, v8
	s_and_not1_b32 s17, s17, exec_lo
	s_and_b32 s24, vcc_lo, exec_lo
	s_delay_alu instid0(SALU_CYCLE_1)
	s_or_b32 s17, s17, s24
	s_or_b32 exec_lo, exec_lo, s15
	v_mov_b64_e32 v[4:5], 0
	s_and_saveexec_b32 s15, s17
	s_cbranch_execnz .LBB94_2352
	s_branch .LBB94_2353
.LBB94_2367:
	s_mov_b32 s15, -1
                                        ; implicit-def: $vgpr4_vgpr5
	s_branch .LBB94_2372
.LBB94_2368:
	s_mov_b32 s15, -1
                                        ; implicit-def: $vgpr4_vgpr5
.LBB94_2369:
	s_delay_alu instid0(SALU_CYCLE_1)
	s_and_b32 vcc_lo, exec_lo, s15
	s_cbranch_vccz .LBB94_2371
; %bb.2370:
	s_wait_loadcnt 0x0
	global_load_u8 v4, v[6:7], off
	s_wait_loadcnt 0x0
	v_lshlrev_b32_e32 v4, 24, v4
	s_delay_alu instid0(VALU_DEP_1) | instskip(NEXT) | instid1(VALU_DEP_1)
	v_and_b32_e32 v5, 0x7f000000, v4
	v_clz_i32_u32_e32 v8, v5
	v_cmp_ne_u32_e32 vcc_lo, 0, v5
	v_add_nc_u32_e32 v10, 0x1000000, v5
	s_delay_alu instid0(VALU_DEP_3) | instskip(NEXT) | instid1(VALU_DEP_1)
	v_min_u32_e32 v8, 32, v8
	v_sub_nc_u32_e64 v8, v8, 4 clamp
	s_delay_alu instid0(VALU_DEP_1) | instskip(NEXT) | instid1(VALU_DEP_1)
	v_dual_lshlrev_b32 v9, v8, v5 :: v_dual_lshlrev_b32 v8, 23, v8
	v_lshrrev_b32_e32 v9, 4, v9
	s_delay_alu instid0(VALU_DEP_1) | instskip(NEXT) | instid1(VALU_DEP_1)
	v_dual_sub_nc_u32 v8, v9, v8 :: v_dual_ashrrev_i32 v9, 8, v10
	v_add_nc_u32_e32 v8, 0x3c000000, v8
	s_delay_alu instid0(VALU_DEP_1) | instskip(NEXT) | instid1(VALU_DEP_1)
	v_and_or_b32 v8, 0x7f800000, v9, v8
	v_cndmask_b32_e32 v5, 0, v8, vcc_lo
	s_delay_alu instid0(VALU_DEP_1) | instskip(NEXT) | instid1(VALU_DEP_1)
	v_and_or_b32 v4, 0x80000000, v4, v5
	v_trunc_f32_e32 v4, v4
	s_delay_alu instid0(VALU_DEP_1) | instskip(NEXT) | instid1(VALU_DEP_1)
	v_mul_f32_e64 v5, 0x2f800000, |v4|
	v_floor_f32_e32 v5, v5
	s_delay_alu instid0(VALU_DEP_1) | instskip(SKIP_2) | instid1(VALU_DEP_3)
	v_fma_f32 v8, 0xcf800000, v5, |v4|
	v_ashrrev_i32_e32 v4, 31, v4
	v_cvt_u32_f32_e32 v9, v5
	v_cvt_u32_f32_e32 v8, v8
	s_delay_alu instid0(VALU_DEP_2) | instskip(NEXT) | instid1(VALU_DEP_2)
	v_dual_mov_b32 v5, v4 :: v_dual_bitop2_b32 v9, v9, v4 bitop3:0x14
	v_xor_b32_e32 v8, v8, v4
	s_delay_alu instid0(VALU_DEP_1)
	v_sub_nc_u64_e32 v[4:5], v[8:9], v[4:5]
.LBB94_2371:
	s_mov_b32 s15, 0
.LBB94_2372:
	s_delay_alu instid0(SALU_CYCLE_1)
	s_and_not1_b32 vcc_lo, exec_lo, s15
	s_cbranch_vccnz .LBB94_2374
; %bb.2373:
	s_wait_loadcnt 0x0
	global_load_u8 v4, v[6:7], off
	s_wait_loadcnt 0x0
	v_lshlrev_b32_e32 v5, 25, v4
	v_lshlrev_b16 v4, 8, v4
	s_delay_alu instid0(VALU_DEP_1) | instskip(SKIP_1) | instid1(VALU_DEP_2)
	v_and_or_b32 v9, 0x7f00, v4, 0.5
	v_bfe_i32 v4, v4, 0, 16
	v_add_f32_e32 v9, -0.5, v9
	v_lshrrev_b32_e32 v8, 4, v5
	v_cmp_gt_u32_e32 vcc_lo, 0x8000000, v5
	s_delay_alu instid0(VALU_DEP_2) | instskip(NEXT) | instid1(VALU_DEP_1)
	v_or_b32_e32 v8, 0x70000000, v8
	v_mul_f32_e32 v8, 0x7800000, v8
	s_delay_alu instid0(VALU_DEP_1) | instskip(NEXT) | instid1(VALU_DEP_1)
	v_cndmask_b32_e32 v5, v8, v9, vcc_lo
	v_and_or_b32 v4, 0x80000000, v4, v5
	s_delay_alu instid0(VALU_DEP_1) | instskip(NEXT) | instid1(VALU_DEP_1)
	v_trunc_f32_e32 v4, v4
	v_mul_f32_e64 v5, 0x2f800000, |v4|
	s_delay_alu instid0(VALU_DEP_1) | instskip(NEXT) | instid1(VALU_DEP_1)
	v_floor_f32_e32 v5, v5
	v_fma_f32 v8, 0xcf800000, v5, |v4|
	v_ashrrev_i32_e32 v4, 31, v4
	v_cvt_u32_f32_e32 v9, v5
	s_delay_alu instid0(VALU_DEP_3) | instskip(NEXT) | instid1(VALU_DEP_2)
	v_cvt_u32_f32_e32 v8, v8
	v_dual_mov_b32 v5, v4 :: v_dual_bitop2_b32 v9, v9, v4 bitop3:0x14
	s_delay_alu instid0(VALU_DEP_2) | instskip(NEXT) | instid1(VALU_DEP_1)
	v_xor_b32_e32 v8, v8, v4
	v_sub_nc_u64_e32 v[4:5], v[8:9], v[4:5]
.LBB94_2374:
	s_mov_b32 s16, 0
	s_mov_b32 s15, -1
.LBB94_2375:
	s_and_not1_b32 vcc_lo, exec_lo, s16
	s_mov_b32 s16, 0
	s_cbranch_vccnz .LBB94_2386
; %bb.2376:
	s_cmp_gt_i32 s13, 14
	s_cbranch_scc0 .LBB94_2379
; %bb.2377:
	s_cmp_eq_u32 s13, 15
	s_cbranch_scc0 .LBB94_2382
; %bb.2378:
	s_wait_loadcnt 0x0
	global_load_u16 v4, v[6:7], off
	s_mov_b32 s14, 0
	s_mov_b32 s15, -1
	s_wait_loadcnt 0x0
	v_lshlrev_b32_e32 v4, 16, v4
	s_delay_alu instid0(VALU_DEP_1) | instskip(NEXT) | instid1(VALU_DEP_1)
	v_trunc_f32_e32 v4, v4
	v_mul_f32_e64 v5, 0x2f800000, |v4|
	s_delay_alu instid0(VALU_DEP_1) | instskip(NEXT) | instid1(VALU_DEP_1)
	v_floor_f32_e32 v5, v5
	v_fma_f32 v8, 0xcf800000, v5, |v4|
	v_ashrrev_i32_e32 v4, 31, v4
	v_cvt_u32_f32_e32 v9, v5
	s_delay_alu instid0(VALU_DEP_3) | instskip(NEXT) | instid1(VALU_DEP_2)
	v_cvt_u32_f32_e32 v8, v8
	v_dual_mov_b32 v5, v4 :: v_dual_bitop2_b32 v9, v9, v4 bitop3:0x14
	s_delay_alu instid0(VALU_DEP_2) | instskip(NEXT) | instid1(VALU_DEP_1)
	v_xor_b32_e32 v8, v8, v4
	v_sub_nc_u64_e32 v[4:5], v[8:9], v[4:5]
	s_branch .LBB94_2384
.LBB94_2379:
	s_mov_b32 s16, -1
	s_branch .LBB94_2383
.LBB94_2380:
	s_and_not1_saveexec_b32 s15, s15
	s_cbranch_execz .LBB94_2361
.LBB94_2381:
	v_cmp_ne_u16_e32 vcc_lo, 0, v8
	s_and_not1_b32 s16, s16, exec_lo
	s_and_b32 s17, vcc_lo, exec_lo
	s_delay_alu instid0(SALU_CYCLE_1)
	s_or_b32 s16, s16, s17
	s_or_b32 exec_lo, exec_lo, s15
	v_mov_b64_e32 v[4:5], 0
	s_and_saveexec_b32 s15, s16
	s_cbranch_execnz .LBB94_2362
	s_branch .LBB94_2363
.LBB94_2382:
	s_mov_b32 s14, -1
.LBB94_2383:
                                        ; implicit-def: $vgpr4_vgpr5
.LBB94_2384:
	s_and_b32 vcc_lo, exec_lo, s16
	s_mov_b32 s16, 0
	s_cbranch_vccz .LBB94_2386
; %bb.2385:
	s_cmp_lg_u32 s13, 11
	s_mov_b32 s16, -1
	s_cselect_b32 s13, -1, 0
	s_and_not1_b32 s14, s14, exec_lo
	s_and_b32 s13, s13, exec_lo
	s_delay_alu instid0(SALU_CYCLE_1)
	s_or_b32 s14, s14, s13
.LBB94_2386:
	s_mov_b32 s13, 0
.LBB94_2387:
	s_delay_alu instid0(SALU_CYCLE_1)
	s_and_b32 s24, s13, exec_lo
	s_and_not1_b32 s13, s65, exec_lo
	s_and_b32 s17, s14, exec_lo
	s_and_b32 s15, s15, exec_lo
	;; [unrolled: 1-line block ×3, first 2 shown]
	s_or_b32 s65, s13, s17
	s_wait_xcnt 0x0
	s_or_b32 exec_lo, exec_lo, s12
	s_and_saveexec_b32 s12, s65
	s_cbranch_execz .LBB94_2320
.LBB94_2388:
	s_or_b32 s1, s1, exec_lo
	s_and_not1_b32 s14, s14, exec_lo
	s_trap 2
	s_or_b32 exec_lo, exec_lo, s12
	s_and_saveexec_b32 s12, s14
	s_delay_alu instid0(SALU_CYCLE_1)
	s_xor_b32 s12, exec_lo, s12
	s_cbranch_execnz .LBB94_2321
.LBB94_2389:
	s_or_b32 exec_lo, exec_lo, s12
	s_and_saveexec_b32 s12, s24
	s_cbranch_execz .LBB94_2435
.LBB94_2390:
	s_sext_i32_i16 s13, s0
	s_delay_alu instid0(SALU_CYCLE_1)
	s_cmp_lt_i32 s13, 5
	s_cbranch_scc1 .LBB94_2395
; %bb.2391:
	s_cmp_lt_i32 s13, 8
	s_cbranch_scc1 .LBB94_2396
; %bb.2392:
	;; [unrolled: 3-line block ×3, first 2 shown]
	s_cmp_gt_i32 s13, 9
	s_cbranch_scc0 .LBB94_2398
; %bb.2394:
	s_wait_loadcnt 0x0
	global_load_b64 v[4:5], v[6:7], off
	s_mov_b32 s13, 0
	s_wait_loadcnt 0x0
	v_trunc_f64_e32 v[4:5], v[4:5]
	s_delay_alu instid0(VALU_DEP_1) | instskip(NEXT) | instid1(VALU_DEP_1)
	v_ldexp_f64 v[8:9], v[4:5], 0xffffffe0
	v_floor_f64_e32 v[8:9], v[8:9]
	s_delay_alu instid0(VALU_DEP_1) | instskip(SKIP_1) | instid1(VALU_DEP_2)
	v_fmamk_f64 v[10:11], v[8:9], 0xc1f00000, v[4:5]
	v_cvt_i32_f64_e32 v5, v[8:9]
	v_cvt_u32_f64_e32 v4, v[10:11]
	s_branch .LBB94_2399
.LBB94_2395:
                                        ; implicit-def: $vgpr4_vgpr5
	s_branch .LBB94_2416
.LBB94_2396:
                                        ; implicit-def: $vgpr4_vgpr5
	s_branch .LBB94_2405
.LBB94_2397:
	s_mov_b32 s13, -1
                                        ; implicit-def: $vgpr4_vgpr5
	s_branch .LBB94_2402
.LBB94_2398:
	s_mov_b32 s13, -1
                                        ; implicit-def: $vgpr4_vgpr5
.LBB94_2399:
	s_delay_alu instid0(SALU_CYCLE_1)
	s_and_not1_b32 vcc_lo, exec_lo, s13
	s_cbranch_vccnz .LBB94_2401
; %bb.2400:
	s_wait_loadcnt 0x0
	global_load_b32 v4, v[6:7], off
	s_wait_loadcnt 0x0
	v_trunc_f32_e32 v4, v4
	s_delay_alu instid0(VALU_DEP_1) | instskip(NEXT) | instid1(VALU_DEP_1)
	v_mul_f32_e64 v5, 0x2f800000, |v4|
	v_floor_f32_e32 v5, v5
	s_delay_alu instid0(VALU_DEP_1) | instskip(SKIP_2) | instid1(VALU_DEP_3)
	v_fma_f32 v8, 0xcf800000, v5, |v4|
	v_ashrrev_i32_e32 v4, 31, v4
	v_cvt_u32_f32_e32 v9, v5
	v_cvt_u32_f32_e32 v8, v8
	s_delay_alu instid0(VALU_DEP_2) | instskip(NEXT) | instid1(VALU_DEP_2)
	v_dual_mov_b32 v5, v4 :: v_dual_bitop2_b32 v9, v9, v4 bitop3:0x14
	v_xor_b32_e32 v8, v8, v4
	s_delay_alu instid0(VALU_DEP_1)
	v_sub_nc_u64_e32 v[4:5], v[8:9], v[4:5]
.LBB94_2401:
	s_mov_b32 s13, 0
.LBB94_2402:
	s_delay_alu instid0(SALU_CYCLE_1)
	s_and_not1_b32 vcc_lo, exec_lo, s13
	s_cbranch_vccnz .LBB94_2404
; %bb.2403:
	s_wait_loadcnt 0x0
	global_load_b32 v4, v[6:7], off
	s_wait_loadcnt 0x0
	v_cvt_f32_f16_e32 v4, v4
	s_delay_alu instid0(VALU_DEP_1) | instskip(NEXT) | instid1(VALU_DEP_1)
	v_cvt_i32_f32_e32 v4, v4
	v_ashrrev_i32_e32 v5, 31, v4
.LBB94_2404:
	s_cbranch_execnz .LBB94_2415
.LBB94_2405:
	s_sext_i32_i16 s13, s0
	s_delay_alu instid0(SALU_CYCLE_1)
	s_cmp_lt_i32 s13, 6
	s_cbranch_scc1 .LBB94_2408
; %bb.2406:
	s_cmp_gt_i32 s13, 6
	s_cbranch_scc0 .LBB94_2409
; %bb.2407:
	s_wait_loadcnt 0x0
	global_load_b64 v[4:5], v[6:7], off
	s_mov_b32 s13, 0
	s_wait_loadcnt 0x0
	v_trunc_f64_e32 v[4:5], v[4:5]
	s_delay_alu instid0(VALU_DEP_1) | instskip(NEXT) | instid1(VALU_DEP_1)
	v_ldexp_f64 v[8:9], v[4:5], 0xffffffe0
	v_floor_f64_e32 v[8:9], v[8:9]
	s_delay_alu instid0(VALU_DEP_1) | instskip(SKIP_1) | instid1(VALU_DEP_2)
	v_fmamk_f64 v[10:11], v[8:9], 0xc1f00000, v[4:5]
	v_cvt_i32_f64_e32 v5, v[8:9]
	v_cvt_u32_f64_e32 v4, v[10:11]
	s_branch .LBB94_2410
.LBB94_2408:
	s_mov_b32 s13, -1
                                        ; implicit-def: $vgpr4_vgpr5
	s_branch .LBB94_2413
.LBB94_2409:
	s_mov_b32 s13, -1
                                        ; implicit-def: $vgpr4_vgpr5
.LBB94_2410:
	s_delay_alu instid0(SALU_CYCLE_1)
	s_and_not1_b32 vcc_lo, exec_lo, s13
	s_cbranch_vccnz .LBB94_2412
; %bb.2411:
	s_wait_loadcnt 0x0
	global_load_b32 v4, v[6:7], off
	s_wait_loadcnt 0x0
	v_trunc_f32_e32 v4, v4
	s_delay_alu instid0(VALU_DEP_1) | instskip(NEXT) | instid1(VALU_DEP_1)
	v_mul_f32_e64 v5, 0x2f800000, |v4|
	v_floor_f32_e32 v5, v5
	s_delay_alu instid0(VALU_DEP_1) | instskip(SKIP_2) | instid1(VALU_DEP_3)
	v_fma_f32 v8, 0xcf800000, v5, |v4|
	v_ashrrev_i32_e32 v4, 31, v4
	v_cvt_u32_f32_e32 v9, v5
	v_cvt_u32_f32_e32 v8, v8
	s_delay_alu instid0(VALU_DEP_2) | instskip(NEXT) | instid1(VALU_DEP_2)
	v_dual_mov_b32 v5, v4 :: v_dual_bitop2_b32 v9, v9, v4 bitop3:0x14
	v_xor_b32_e32 v8, v8, v4
	s_delay_alu instid0(VALU_DEP_1)
	v_sub_nc_u64_e32 v[4:5], v[8:9], v[4:5]
.LBB94_2412:
	s_mov_b32 s13, 0
.LBB94_2413:
	s_delay_alu instid0(SALU_CYCLE_1)
	s_and_not1_b32 vcc_lo, exec_lo, s13
	s_cbranch_vccnz .LBB94_2415
; %bb.2414:
	s_wait_loadcnt 0x0
	global_load_u16 v4, v[6:7], off
	s_wait_loadcnt 0x0
	v_cvt_f32_f16_e32 v4, v4
	s_delay_alu instid0(VALU_DEP_1) | instskip(NEXT) | instid1(VALU_DEP_1)
	v_cvt_i32_f32_e32 v4, v4
	v_ashrrev_i32_e32 v5, 31, v4
.LBB94_2415:
	s_cbranch_execnz .LBB94_2434
.LBB94_2416:
	s_sext_i32_i16 s13, s0
	s_delay_alu instid0(SALU_CYCLE_1)
	s_cmp_lt_i32 s13, 2
	s_cbranch_scc1 .LBB94_2420
; %bb.2417:
	s_cmp_lt_i32 s13, 3
	s_cbranch_scc1 .LBB94_2421
; %bb.2418:
	s_cmp_gt_i32 s13, 3
	s_cbranch_scc0 .LBB94_2422
; %bb.2419:
	s_wait_loadcnt 0x0
	global_load_b64 v[4:5], v[6:7], off
	s_mov_b32 s13, 0
	s_branch .LBB94_2423
.LBB94_2420:
                                        ; implicit-def: $vgpr4_vgpr5
	s_branch .LBB94_2429
.LBB94_2421:
	s_mov_b32 s13, -1
                                        ; implicit-def: $vgpr4_vgpr5
	s_branch .LBB94_2426
.LBB94_2422:
	s_mov_b32 s13, -1
                                        ; implicit-def: $vgpr4_vgpr5
.LBB94_2423:
	s_delay_alu instid0(SALU_CYCLE_1)
	s_and_not1_b32 vcc_lo, exec_lo, s13
	s_cbranch_vccnz .LBB94_2425
; %bb.2424:
	s_wait_loadcnt 0x0
	global_load_b32 v4, v[6:7], off
	s_wait_loadcnt 0x0
	v_ashrrev_i32_e32 v5, 31, v4
.LBB94_2425:
	s_mov_b32 s13, 0
.LBB94_2426:
	s_delay_alu instid0(SALU_CYCLE_1)
	s_and_not1_b32 vcc_lo, exec_lo, s13
	s_cbranch_vccnz .LBB94_2428
; %bb.2427:
	s_wait_loadcnt 0x0
	global_load_u16 v4, v[6:7], off
	s_wait_loadcnt 0x0
	v_bfe_i32 v4, v4, 0, 16
	s_delay_alu instid0(VALU_DEP_1)
	v_ashrrev_i32_e32 v5, 31, v4
.LBB94_2428:
	s_cbranch_execnz .LBB94_2434
.LBB94_2429:
	s_sext_i32_i16 s0, s0
	s_delay_alu instid0(SALU_CYCLE_1)
	s_cmp_gt_i32 s0, 0
	s_mov_b32 s0, 0
	s_cbranch_scc0 .LBB94_2431
; %bb.2430:
	s_wait_loadcnt 0x0
	global_load_i8 v4, v[6:7], off
	s_wait_loadcnt 0x0
	v_bfe_i32 v4, v4, 0, 16
	s_delay_alu instid0(VALU_DEP_1)
	v_ashrrev_i32_e32 v5, 31, v4
	s_branch .LBB94_2432
.LBB94_2431:
	s_mov_b32 s0, -1
                                        ; implicit-def: $vgpr4_vgpr5
.LBB94_2432:
	s_delay_alu instid0(SALU_CYCLE_1)
	s_and_not1_b32 vcc_lo, exec_lo, s0
	s_cbranch_vccnz .LBB94_2434
; %bb.2433:
	s_wait_loadcnt 0x0
	global_load_u8 v4, v[6:7], off
	s_mov_b32 s0, 0
	s_delay_alu instid0(SALU_CYCLE_1)
	v_mov_b32_e32 v5, s0
	s_wait_loadcnt 0x0
	v_and_b32_e32 v4, 0xffff, v4
.LBB94_2434:
	s_or_b32 s15, s15, exec_lo
.LBB94_2435:
	s_wait_xcnt 0x0
	s_or_b32 exec_lo, exec_lo, s12
	s_mov_b32 s14, 0
	s_mov_b32 s16, 0
	;; [unrolled: 1-line block ×3, first 2 shown]
                                        ; implicit-def: $sgpr0
                                        ; implicit-def: $vgpr8_vgpr9
                                        ; implicit-def: $vgpr6_vgpr7
	s_and_saveexec_b32 s12, s15
	s_cbranch_execz .LBB94_2443
; %bb.2436:
	s_wait_loadcnt 0x0
	v_mul_lo_u32 v6, s27, v26
	s_and_b32 s0, s23, 0xff
	s_delay_alu instid0(SALU_CYCLE_1) | instskip(NEXT) | instid1(VALU_DEP_1)
	s_cmp_lt_i32 s0, 11
	v_ashrrev_i32_e32 v7, 31, v6
	s_delay_alu instid0(VALU_DEP_1)
	v_add_nc_u64_e32 v[8:9], s[18:19], v[6:7]
	s_cbranch_scc1 .LBB94_2446
; %bb.2437:
	s_and_b32 s13, 0xffff, s0
	s_mov_b32 s15, 0
	s_cmp_gt_i32 s13, 25
	s_cbranch_scc0 .LBB94_2447
; %bb.2438:
	s_cmp_gt_i32 s13, 28
	s_cbranch_scc0 .LBB94_2448
; %bb.2439:
	;; [unrolled: 3-line block ×4, first 2 shown]
	s_cmp_eq_u32 s13, 46
	s_mov_b32 s17, 0
	s_cbranch_scc0 .LBB94_2451
; %bb.2442:
	global_load_b32 v6, v[8:9], off
	s_mov_b32 s16, -1
	s_wait_loadcnt 0x0
	v_lshlrev_b32_e32 v6, 16, v6
	s_delay_alu instid0(VALU_DEP_1) | instskip(NEXT) | instid1(VALU_DEP_1)
	v_trunc_f32_e32 v6, v6
	v_mul_f32_e64 v7, 0x2f800000, |v6|
	s_delay_alu instid0(VALU_DEP_1) | instskip(NEXT) | instid1(VALU_DEP_1)
	v_floor_f32_e32 v7, v7
	v_fma_f32 v10, 0xcf800000, v7, |v6|
	v_ashrrev_i32_e32 v6, 31, v6
	v_cvt_u32_f32_e32 v11, v7
	s_delay_alu instid0(VALU_DEP_3) | instskip(NEXT) | instid1(VALU_DEP_2)
	v_cvt_u32_f32_e32 v10, v10
	v_dual_mov_b32 v7, v6 :: v_dual_bitop2_b32 v11, v11, v6 bitop3:0x14
	s_delay_alu instid0(VALU_DEP_2) | instskip(NEXT) | instid1(VALU_DEP_1)
	v_xor_b32_e32 v10, v10, v6
	v_sub_nc_u64_e32 v[6:7], v[10:11], v[6:7]
	s_branch .LBB94_2453
.LBB94_2443:
	s_or_b32 exec_lo, exec_lo, s12
	s_and_saveexec_b32 s12, s64
	s_cbranch_execnz .LBB94_2512
.LBB94_2444:
	s_or_b32 exec_lo, exec_lo, s12
	s_and_saveexec_b32 s12, s14
	s_delay_alu instid0(SALU_CYCLE_1)
	s_xor_b32 s12, exec_lo, s12
	s_cbranch_execz .LBB94_2513
.LBB94_2445:
	s_wait_loadcnt 0x0
	global_load_u8 v6, v[8:9], off
	s_mov_b32 s14, 0
	s_or_b32 s13, s13, exec_lo
	v_mov_b32_e32 v7, s14
	s_wait_loadcnt 0x0
	v_cmp_ne_u16_e32 vcc_lo, 0, v6
	v_cndmask_b32_e64 v6, 0, 1, vcc_lo
	s_wait_xcnt 0x0
	s_or_b32 exec_lo, exec_lo, s12
	s_and_saveexec_b32 s12, s16
	s_cbranch_execz .LBB94_2559
	s_branch .LBB94_2514
.LBB94_2446:
	s_mov_b32 s17, -1
	s_mov_b32 s15, 0
	s_mov_b32 s14, s64
                                        ; implicit-def: $vgpr6_vgpr7
	s_branch .LBB94_2511
.LBB94_2447:
	s_mov_b32 s14, s64
                                        ; implicit-def: $vgpr6_vgpr7
	s_cbranch_execnz .LBB94_2480
	s_branch .LBB94_2510
.LBB94_2448:
	s_mov_b32 s17, -1
	s_mov_b32 s14, s64
                                        ; implicit-def: $vgpr6_vgpr7
	s_branch .LBB94_2463
.LBB94_2449:
	s_mov_b32 s17, -1
	s_mov_b32 s14, s64
                                        ; implicit-def: $vgpr6_vgpr7
	s_branch .LBB94_2458
.LBB94_2450:
	s_mov_b32 s17, -1
	s_mov_b32 s14, s64
	s_branch .LBB94_2452
.LBB94_2451:
	s_mov_b32 s14, -1
.LBB94_2452:
                                        ; implicit-def: $vgpr6_vgpr7
.LBB94_2453:
	s_and_b32 vcc_lo, exec_lo, s17
	s_cbranch_vccz .LBB94_2457
; %bb.2454:
	s_cmp_eq_u32 s13, 44
	s_cbranch_scc0 .LBB94_2456
; %bb.2455:
	global_load_u8 v12, v[8:9], off
	s_mov_b32 s14, 0
	s_mov_b32 s16, -1
	s_wait_loadcnt 0x0
	v_cmp_ne_u32_e32 vcc_lo, 0, v12
	v_lshlrev_b32_e32 v6, 23, v12
	s_delay_alu instid0(VALU_DEP_1) | instskip(NEXT) | instid1(VALU_DEP_1)
	v_trunc_f32_e32 v6, v6
	v_mul_f32_e64 v7, 0x2f800000, |v6|
	s_delay_alu instid0(VALU_DEP_1) | instskip(NEXT) | instid1(VALU_DEP_1)
	v_floor_f32_e32 v7, v7
	v_fma_f32 v10, 0xcf800000, v7, |v6|
	v_ashrrev_i32_e32 v6, 31, v6
	v_cvt_u32_f32_e32 v11, v7
	s_delay_alu instid0(VALU_DEP_3) | instskip(NEXT) | instid1(VALU_DEP_2)
	v_cvt_u32_f32_e32 v10, v10
	v_dual_mov_b32 v7, v6 :: v_dual_bitop2_b32 v11, v11, v6 bitop3:0x14
	s_delay_alu instid0(VALU_DEP_2) | instskip(NEXT) | instid1(VALU_DEP_1)
	v_xor_b32_e32 v10, v10, v6
	v_sub_nc_u64_e32 v[6:7], v[10:11], v[6:7]
	s_delay_alu instid0(VALU_DEP_1)
	v_dual_cndmask_b32 v7, 0, v7 :: v_dual_cndmask_b32 v6, 0, v6
	s_branch .LBB94_2457
.LBB94_2456:
	s_mov_b32 s14, -1
                                        ; implicit-def: $vgpr6_vgpr7
.LBB94_2457:
	s_mov_b32 s17, 0
.LBB94_2458:
	s_delay_alu instid0(SALU_CYCLE_1)
	s_and_b32 vcc_lo, exec_lo, s17
	s_cbranch_vccz .LBB94_2462
; %bb.2459:
	s_cmp_eq_u32 s13, 29
	s_cbranch_scc0 .LBB94_2461
; %bb.2460:
	global_load_b64 v[6:7], v[8:9], off
	s_mov_b32 s14, 0
	s_mov_b32 s16, -1
	s_branch .LBB94_2462
.LBB94_2461:
	s_mov_b32 s14, -1
                                        ; implicit-def: $vgpr6_vgpr7
.LBB94_2462:
	s_mov_b32 s17, 0
.LBB94_2463:
	s_delay_alu instid0(SALU_CYCLE_1)
	s_and_b32 vcc_lo, exec_lo, s17
	s_cbranch_vccz .LBB94_2479
; %bb.2464:
	s_cmp_lt_i32 s13, 27
	s_cbranch_scc1 .LBB94_2467
; %bb.2465:
	s_cmp_gt_i32 s13, 27
	s_cbranch_scc0 .LBB94_2468
; %bb.2466:
	s_wait_loadcnt 0x0
	global_load_b32 v6, v[8:9], off
	v_mov_b32_e32 v7, 0
	s_mov_b32 s16, 0
	s_branch .LBB94_2469
.LBB94_2467:
	s_mov_b32 s16, -1
                                        ; implicit-def: $vgpr6_vgpr7
	s_branch .LBB94_2472
.LBB94_2468:
	s_mov_b32 s16, -1
                                        ; implicit-def: $vgpr6_vgpr7
.LBB94_2469:
	s_delay_alu instid0(SALU_CYCLE_1)
	s_and_not1_b32 vcc_lo, exec_lo, s16
	s_cbranch_vccnz .LBB94_2471
; %bb.2470:
	s_wait_loadcnt 0x0
	global_load_u16 v6, v[8:9], off
	s_mov_b32 s16, 0
	s_delay_alu instid0(SALU_CYCLE_1)
	v_mov_b32_e32 v7, s16
	s_wait_loadcnt 0x0
	v_and_b32_e32 v6, 0xffff, v6
.LBB94_2471:
	s_mov_b32 s16, 0
.LBB94_2472:
	s_delay_alu instid0(SALU_CYCLE_1)
	s_and_not1_b32 vcc_lo, exec_lo, s16
	s_cbranch_vccnz .LBB94_2478
; %bb.2473:
	global_load_u8 v10, v[8:9], off
	s_mov_b32 s17, 0
	s_mov_b32 s16, exec_lo
	s_wait_loadcnt 0x0
	v_cmpx_lt_i16_e32 0x7f, v10
	s_xor_b32 s16, exec_lo, s16
	s_cbranch_execz .LBB94_2489
; %bb.2474:
	v_cmp_ne_u16_e32 vcc_lo, 0x80, v10
	s_and_b32 s17, vcc_lo, exec_lo
	s_and_not1_saveexec_b32 s16, s16
	s_cbranch_execnz .LBB94_2490
.LBB94_2475:
	s_or_b32 exec_lo, exec_lo, s16
	v_mov_b64_e32 v[6:7], 0
	s_and_saveexec_b32 s16, s17
	s_cbranch_execz .LBB94_2477
.LBB94_2476:
	v_and_b32_e32 v6, 0xffff, v10
	s_delay_alu instid0(VALU_DEP_1) | instskip(SKIP_1) | instid1(VALU_DEP_2)
	v_and_b32_e32 v7, 7, v6
	v_bfe_u32 v13, v6, 3, 4
	v_clz_i32_u32_e32 v11, v7
	s_delay_alu instid0(VALU_DEP_2) | instskip(NEXT) | instid1(VALU_DEP_2)
	v_cmp_eq_u32_e32 vcc_lo, 0, v13
	v_min_u32_e32 v11, 32, v11
	s_delay_alu instid0(VALU_DEP_1) | instskip(NEXT) | instid1(VALU_DEP_1)
	v_subrev_nc_u32_e32 v12, 28, v11
	v_dual_lshlrev_b32 v6, v12, v6 :: v_dual_sub_nc_u32 v11, 29, v11
	s_delay_alu instid0(VALU_DEP_1) | instskip(NEXT) | instid1(VALU_DEP_2)
	v_and_b32_e32 v6, 7, v6
	v_dual_cndmask_b32 v11, v13, v11 :: v_dual_lshlrev_b32 v10, 24, v10
	s_delay_alu instid0(VALU_DEP_2) | instskip(NEXT) | instid1(VALU_DEP_2)
	v_cndmask_b32_e32 v6, v7, v6, vcc_lo
	v_and_b32_e32 v7, 0x80000000, v10
	s_delay_alu instid0(VALU_DEP_3) | instskip(NEXT) | instid1(VALU_DEP_3)
	v_lshl_add_u32 v10, v11, 23, 0x3b800000
	v_lshlrev_b32_e32 v6, 20, v6
	s_delay_alu instid0(VALU_DEP_1) | instskip(NEXT) | instid1(VALU_DEP_1)
	v_or3_b32 v6, v7, v10, v6
	v_trunc_f32_e32 v6, v6
	s_delay_alu instid0(VALU_DEP_1) | instskip(NEXT) | instid1(VALU_DEP_1)
	v_mul_f32_e64 v7, 0x2f800000, |v6|
	v_floor_f32_e32 v7, v7
	s_delay_alu instid0(VALU_DEP_1) | instskip(SKIP_2) | instid1(VALU_DEP_3)
	v_fma_f32 v10, 0xcf800000, v7, |v6|
	v_ashrrev_i32_e32 v6, 31, v6
	v_cvt_u32_f32_e32 v11, v7
	v_cvt_u32_f32_e32 v10, v10
	s_delay_alu instid0(VALU_DEP_2) | instskip(NEXT) | instid1(VALU_DEP_2)
	v_dual_mov_b32 v7, v6 :: v_dual_bitop2_b32 v11, v11, v6 bitop3:0x14
	v_xor_b32_e32 v10, v10, v6
	s_delay_alu instid0(VALU_DEP_1)
	v_sub_nc_u64_e32 v[6:7], v[10:11], v[6:7]
.LBB94_2477:
	s_or_b32 exec_lo, exec_lo, s16
.LBB94_2478:
	s_mov_b32 s16, -1
.LBB94_2479:
	s_branch .LBB94_2510
.LBB94_2480:
	s_cmp_gt_i32 s13, 22
	s_cbranch_scc0 .LBB94_2488
; %bb.2481:
	s_cmp_lt_i32 s13, 24
	s_cbranch_scc1 .LBB94_2491
; %bb.2482:
	s_cmp_gt_i32 s13, 24
	s_cbranch_scc0 .LBB94_2492
; %bb.2483:
	global_load_u8 v10, v[8:9], off
	s_mov_b32 s16, 0
	s_mov_b32 s15, exec_lo
	s_wait_loadcnt 0x0
	v_cmpx_lt_i16_e32 0x7f, v10
	s_xor_b32 s15, exec_lo, s15
	s_cbranch_execz .LBB94_2504
; %bb.2484:
	v_cmp_ne_u16_e32 vcc_lo, 0x80, v10
	s_and_b32 s16, vcc_lo, exec_lo
	s_and_not1_saveexec_b32 s15, s15
	s_cbranch_execnz .LBB94_2505
.LBB94_2485:
	s_or_b32 exec_lo, exec_lo, s15
	v_mov_b64_e32 v[6:7], 0
	s_and_saveexec_b32 s15, s16
	s_cbranch_execz .LBB94_2487
.LBB94_2486:
	v_and_b32_e32 v6, 0xffff, v10
	s_delay_alu instid0(VALU_DEP_1) | instskip(SKIP_1) | instid1(VALU_DEP_2)
	v_and_b32_e32 v7, 3, v6
	v_bfe_u32 v13, v6, 2, 5
	v_clz_i32_u32_e32 v11, v7
	s_delay_alu instid0(VALU_DEP_2) | instskip(NEXT) | instid1(VALU_DEP_2)
	v_cmp_eq_u32_e32 vcc_lo, 0, v13
	v_min_u32_e32 v11, 32, v11
	s_delay_alu instid0(VALU_DEP_1) | instskip(NEXT) | instid1(VALU_DEP_1)
	v_subrev_nc_u32_e32 v12, 29, v11
	v_dual_lshlrev_b32 v6, v12, v6 :: v_dual_sub_nc_u32 v11, 30, v11
	s_delay_alu instid0(VALU_DEP_1) | instskip(NEXT) | instid1(VALU_DEP_2)
	v_and_b32_e32 v6, 3, v6
	v_dual_cndmask_b32 v11, v13, v11 :: v_dual_lshlrev_b32 v10, 24, v10
	s_delay_alu instid0(VALU_DEP_2) | instskip(NEXT) | instid1(VALU_DEP_2)
	v_cndmask_b32_e32 v6, v7, v6, vcc_lo
	v_and_b32_e32 v7, 0x80000000, v10
	s_delay_alu instid0(VALU_DEP_3) | instskip(NEXT) | instid1(VALU_DEP_3)
	v_lshl_add_u32 v10, v11, 23, 0x37800000
	v_lshlrev_b32_e32 v6, 21, v6
	s_delay_alu instid0(VALU_DEP_1) | instskip(NEXT) | instid1(VALU_DEP_1)
	v_or3_b32 v6, v7, v10, v6
	v_trunc_f32_e32 v6, v6
	s_delay_alu instid0(VALU_DEP_1) | instskip(NEXT) | instid1(VALU_DEP_1)
	v_mul_f32_e64 v7, 0x2f800000, |v6|
	v_floor_f32_e32 v7, v7
	s_delay_alu instid0(VALU_DEP_1) | instskip(SKIP_2) | instid1(VALU_DEP_3)
	v_fma_f32 v10, 0xcf800000, v7, |v6|
	v_ashrrev_i32_e32 v6, 31, v6
	v_cvt_u32_f32_e32 v11, v7
	v_cvt_u32_f32_e32 v10, v10
	s_delay_alu instid0(VALU_DEP_2) | instskip(NEXT) | instid1(VALU_DEP_2)
	v_dual_mov_b32 v7, v6 :: v_dual_bitop2_b32 v11, v11, v6 bitop3:0x14
	v_xor_b32_e32 v10, v10, v6
	s_delay_alu instid0(VALU_DEP_1)
	v_sub_nc_u64_e32 v[6:7], v[10:11], v[6:7]
.LBB94_2487:
	s_or_b32 exec_lo, exec_lo, s15
	s_mov_b32 s15, 0
	s_branch .LBB94_2493
.LBB94_2488:
	s_mov_b32 s15, -1
                                        ; implicit-def: $vgpr6_vgpr7
	s_branch .LBB94_2499
.LBB94_2489:
	s_and_not1_saveexec_b32 s16, s16
	s_cbranch_execz .LBB94_2475
.LBB94_2490:
	v_cmp_ne_u16_e32 vcc_lo, 0, v10
	s_and_not1_b32 s17, s17, exec_lo
	s_and_b32 s18, vcc_lo, exec_lo
	s_delay_alu instid0(SALU_CYCLE_1)
	s_or_b32 s17, s17, s18
	s_or_b32 exec_lo, exec_lo, s16
	v_mov_b64_e32 v[6:7], 0
	s_and_saveexec_b32 s16, s17
	s_cbranch_execnz .LBB94_2476
	s_branch .LBB94_2477
.LBB94_2491:
	s_mov_b32 s15, -1
                                        ; implicit-def: $vgpr6_vgpr7
	s_branch .LBB94_2496
.LBB94_2492:
	s_mov_b32 s15, -1
                                        ; implicit-def: $vgpr6_vgpr7
.LBB94_2493:
	s_delay_alu instid0(SALU_CYCLE_1)
	s_and_b32 vcc_lo, exec_lo, s15
	s_cbranch_vccz .LBB94_2495
; %bb.2494:
	s_wait_loadcnt 0x0
	global_load_u8 v6, v[8:9], off
	s_wait_loadcnt 0x0
	v_lshlrev_b32_e32 v6, 24, v6
	s_delay_alu instid0(VALU_DEP_1) | instskip(NEXT) | instid1(VALU_DEP_1)
	v_and_b32_e32 v7, 0x7f000000, v6
	v_clz_i32_u32_e32 v10, v7
	v_cmp_ne_u32_e32 vcc_lo, 0, v7
	v_add_nc_u32_e32 v12, 0x1000000, v7
	s_delay_alu instid0(VALU_DEP_3) | instskip(NEXT) | instid1(VALU_DEP_1)
	v_min_u32_e32 v10, 32, v10
	v_sub_nc_u32_e64 v10, v10, 4 clamp
	s_delay_alu instid0(VALU_DEP_1) | instskip(NEXT) | instid1(VALU_DEP_1)
	v_dual_lshlrev_b32 v11, v10, v7 :: v_dual_lshlrev_b32 v10, 23, v10
	v_lshrrev_b32_e32 v11, 4, v11
	s_delay_alu instid0(VALU_DEP_1) | instskip(NEXT) | instid1(VALU_DEP_1)
	v_dual_sub_nc_u32 v10, v11, v10 :: v_dual_ashrrev_i32 v11, 8, v12
	v_add_nc_u32_e32 v10, 0x3c000000, v10
	s_delay_alu instid0(VALU_DEP_1) | instskip(NEXT) | instid1(VALU_DEP_1)
	v_and_or_b32 v10, 0x7f800000, v11, v10
	v_cndmask_b32_e32 v7, 0, v10, vcc_lo
	s_delay_alu instid0(VALU_DEP_1) | instskip(NEXT) | instid1(VALU_DEP_1)
	v_and_or_b32 v6, 0x80000000, v6, v7
	v_trunc_f32_e32 v6, v6
	s_delay_alu instid0(VALU_DEP_1) | instskip(NEXT) | instid1(VALU_DEP_1)
	v_mul_f32_e64 v7, 0x2f800000, |v6|
	v_floor_f32_e32 v7, v7
	s_delay_alu instid0(VALU_DEP_1) | instskip(SKIP_2) | instid1(VALU_DEP_3)
	v_fma_f32 v10, 0xcf800000, v7, |v6|
	v_ashrrev_i32_e32 v6, 31, v6
	v_cvt_u32_f32_e32 v11, v7
	v_cvt_u32_f32_e32 v10, v10
	s_delay_alu instid0(VALU_DEP_2) | instskip(NEXT) | instid1(VALU_DEP_2)
	v_dual_mov_b32 v7, v6 :: v_dual_bitop2_b32 v11, v11, v6 bitop3:0x14
	v_xor_b32_e32 v10, v10, v6
	s_delay_alu instid0(VALU_DEP_1)
	v_sub_nc_u64_e32 v[6:7], v[10:11], v[6:7]
.LBB94_2495:
	s_mov_b32 s15, 0
.LBB94_2496:
	s_delay_alu instid0(SALU_CYCLE_1)
	s_and_not1_b32 vcc_lo, exec_lo, s15
	s_cbranch_vccnz .LBB94_2498
; %bb.2497:
	s_wait_loadcnt 0x0
	global_load_u8 v6, v[8:9], off
	s_wait_loadcnt 0x0
	v_lshlrev_b32_e32 v7, 25, v6
	v_lshlrev_b16 v6, 8, v6
	s_delay_alu instid0(VALU_DEP_1) | instskip(SKIP_1) | instid1(VALU_DEP_2)
	v_and_or_b32 v11, 0x7f00, v6, 0.5
	v_bfe_i32 v6, v6, 0, 16
	v_add_f32_e32 v11, -0.5, v11
	v_lshrrev_b32_e32 v10, 4, v7
	v_cmp_gt_u32_e32 vcc_lo, 0x8000000, v7
	s_delay_alu instid0(VALU_DEP_2) | instskip(NEXT) | instid1(VALU_DEP_1)
	v_or_b32_e32 v10, 0x70000000, v10
	v_mul_f32_e32 v10, 0x7800000, v10
	s_delay_alu instid0(VALU_DEP_1) | instskip(NEXT) | instid1(VALU_DEP_1)
	v_cndmask_b32_e32 v7, v10, v11, vcc_lo
	v_and_or_b32 v6, 0x80000000, v6, v7
	s_delay_alu instid0(VALU_DEP_1) | instskip(NEXT) | instid1(VALU_DEP_1)
	v_trunc_f32_e32 v6, v6
	v_mul_f32_e64 v7, 0x2f800000, |v6|
	s_delay_alu instid0(VALU_DEP_1) | instskip(NEXT) | instid1(VALU_DEP_1)
	v_floor_f32_e32 v7, v7
	v_fma_f32 v10, 0xcf800000, v7, |v6|
	v_ashrrev_i32_e32 v6, 31, v6
	v_cvt_u32_f32_e32 v11, v7
	s_delay_alu instid0(VALU_DEP_3) | instskip(NEXT) | instid1(VALU_DEP_2)
	v_cvt_u32_f32_e32 v10, v10
	v_dual_mov_b32 v7, v6 :: v_dual_bitop2_b32 v11, v11, v6 bitop3:0x14
	s_delay_alu instid0(VALU_DEP_2) | instskip(NEXT) | instid1(VALU_DEP_1)
	v_xor_b32_e32 v10, v10, v6
	v_sub_nc_u64_e32 v[6:7], v[10:11], v[6:7]
.LBB94_2498:
	s_mov_b32 s15, 0
	s_mov_b32 s16, -1
.LBB94_2499:
	s_and_not1_b32 vcc_lo, exec_lo, s15
	s_mov_b32 s15, 0
	s_cbranch_vccnz .LBB94_2510
; %bb.2500:
	s_cmp_gt_i32 s13, 14
	s_cbranch_scc0 .LBB94_2503
; %bb.2501:
	s_cmp_eq_u32 s13, 15
	s_cbranch_scc0 .LBB94_2506
; %bb.2502:
	s_wait_loadcnt 0x0
	global_load_u16 v6, v[8:9], off
	s_mov_b32 s14, 0
	s_mov_b32 s16, -1
	s_wait_loadcnt 0x0
	v_lshlrev_b32_e32 v6, 16, v6
	s_delay_alu instid0(VALU_DEP_1) | instskip(NEXT) | instid1(VALU_DEP_1)
	v_trunc_f32_e32 v6, v6
	v_mul_f32_e64 v7, 0x2f800000, |v6|
	s_delay_alu instid0(VALU_DEP_1) | instskip(NEXT) | instid1(VALU_DEP_1)
	v_floor_f32_e32 v7, v7
	v_fma_f32 v10, 0xcf800000, v7, |v6|
	v_ashrrev_i32_e32 v6, 31, v6
	v_cvt_u32_f32_e32 v11, v7
	s_delay_alu instid0(VALU_DEP_3) | instskip(NEXT) | instid1(VALU_DEP_2)
	v_cvt_u32_f32_e32 v10, v10
	v_dual_mov_b32 v7, v6 :: v_dual_bitop2_b32 v11, v11, v6 bitop3:0x14
	s_delay_alu instid0(VALU_DEP_2) | instskip(NEXT) | instid1(VALU_DEP_1)
	v_xor_b32_e32 v10, v10, v6
	v_sub_nc_u64_e32 v[6:7], v[10:11], v[6:7]
	s_branch .LBB94_2508
.LBB94_2503:
	s_mov_b32 s15, -1
	s_branch .LBB94_2507
.LBB94_2504:
	s_and_not1_saveexec_b32 s15, s15
	s_cbranch_execz .LBB94_2485
.LBB94_2505:
	v_cmp_ne_u16_e32 vcc_lo, 0, v10
	s_and_not1_b32 s16, s16, exec_lo
	s_and_b32 s17, vcc_lo, exec_lo
	s_delay_alu instid0(SALU_CYCLE_1)
	s_or_b32 s16, s16, s17
	s_or_b32 exec_lo, exec_lo, s15
	v_mov_b64_e32 v[6:7], 0
	s_and_saveexec_b32 s15, s16
	s_cbranch_execnz .LBB94_2486
	s_branch .LBB94_2487
.LBB94_2506:
	s_mov_b32 s14, -1
.LBB94_2507:
                                        ; implicit-def: $vgpr6_vgpr7
.LBB94_2508:
	s_and_b32 vcc_lo, exec_lo, s15
	s_mov_b32 s15, 0
	s_cbranch_vccz .LBB94_2510
; %bb.2509:
	s_cmp_lg_u32 s13, 11
	s_mov_b32 s15, -1
	s_cselect_b32 s13, -1, 0
	s_and_not1_b32 s14, s14, exec_lo
	s_and_b32 s13, s13, exec_lo
	s_delay_alu instid0(SALU_CYCLE_1)
	s_or_b32 s14, s14, s13
.LBB94_2510:
	s_mov_b32 s17, 0
.LBB94_2511:
	s_and_b32 s13, s16, exec_lo
	s_and_b32 s16, s17, exec_lo
	s_and_not1_b32 s17, s64, exec_lo
	s_and_b32 s18, s14, exec_lo
	s_and_b32 s14, s15, exec_lo
	s_or_b32 s64, s17, s18
	s_wait_xcnt 0x0
	s_or_b32 exec_lo, exec_lo, s12
	s_and_saveexec_b32 s12, s64
	s_cbranch_execz .LBB94_2444
.LBB94_2512:
	s_or_b32 s1, s1, exec_lo
	s_and_not1_b32 s14, s14, exec_lo
	s_trap 2
	s_or_b32 exec_lo, exec_lo, s12
	s_and_saveexec_b32 s12, s14
	s_delay_alu instid0(SALU_CYCLE_1)
	s_xor_b32 s12, exec_lo, s12
	s_cbranch_execnz .LBB94_2445
.LBB94_2513:
	s_or_b32 exec_lo, exec_lo, s12
	s_and_saveexec_b32 s12, s16
	s_cbranch_execz .LBB94_2559
.LBB94_2514:
	s_sext_i32_i16 s14, s0
	s_delay_alu instid0(SALU_CYCLE_1)
	s_cmp_lt_i32 s14, 5
	s_cbranch_scc1 .LBB94_2519
; %bb.2515:
	s_cmp_lt_i32 s14, 8
	s_cbranch_scc1 .LBB94_2520
; %bb.2516:
	;; [unrolled: 3-line block ×3, first 2 shown]
	s_cmp_gt_i32 s14, 9
	s_cbranch_scc0 .LBB94_2522
; %bb.2518:
	s_wait_loadcnt 0x0
	global_load_b64 v[6:7], v[8:9], off
	s_mov_b32 s14, 0
	s_wait_loadcnt 0x0
	v_trunc_f64_e32 v[6:7], v[6:7]
	s_delay_alu instid0(VALU_DEP_1) | instskip(NEXT) | instid1(VALU_DEP_1)
	v_ldexp_f64 v[10:11], v[6:7], 0xffffffe0
	v_floor_f64_e32 v[10:11], v[10:11]
	s_delay_alu instid0(VALU_DEP_1) | instskip(SKIP_1) | instid1(VALU_DEP_2)
	v_fmamk_f64 v[12:13], v[10:11], 0xc1f00000, v[6:7]
	v_cvt_i32_f64_e32 v7, v[10:11]
	v_cvt_u32_f64_e32 v6, v[12:13]
	s_branch .LBB94_2523
.LBB94_2519:
                                        ; implicit-def: $vgpr6_vgpr7
	s_branch .LBB94_2540
.LBB94_2520:
                                        ; implicit-def: $vgpr6_vgpr7
	s_branch .LBB94_2529
.LBB94_2521:
	s_mov_b32 s14, -1
                                        ; implicit-def: $vgpr6_vgpr7
	s_branch .LBB94_2526
.LBB94_2522:
	s_mov_b32 s14, -1
                                        ; implicit-def: $vgpr6_vgpr7
.LBB94_2523:
	s_delay_alu instid0(SALU_CYCLE_1)
	s_and_not1_b32 vcc_lo, exec_lo, s14
	s_cbranch_vccnz .LBB94_2525
; %bb.2524:
	s_wait_loadcnt 0x0
	global_load_b32 v6, v[8:9], off
	s_wait_loadcnt 0x0
	v_trunc_f32_e32 v6, v6
	s_delay_alu instid0(VALU_DEP_1) | instskip(NEXT) | instid1(VALU_DEP_1)
	v_mul_f32_e64 v7, 0x2f800000, |v6|
	v_floor_f32_e32 v7, v7
	s_delay_alu instid0(VALU_DEP_1) | instskip(SKIP_2) | instid1(VALU_DEP_3)
	v_fma_f32 v10, 0xcf800000, v7, |v6|
	v_ashrrev_i32_e32 v6, 31, v6
	v_cvt_u32_f32_e32 v11, v7
	v_cvt_u32_f32_e32 v10, v10
	s_delay_alu instid0(VALU_DEP_2) | instskip(NEXT) | instid1(VALU_DEP_2)
	v_dual_mov_b32 v7, v6 :: v_dual_bitop2_b32 v11, v11, v6 bitop3:0x14
	v_xor_b32_e32 v10, v10, v6
	s_delay_alu instid0(VALU_DEP_1)
	v_sub_nc_u64_e32 v[6:7], v[10:11], v[6:7]
.LBB94_2525:
	s_mov_b32 s14, 0
.LBB94_2526:
	s_delay_alu instid0(SALU_CYCLE_1)
	s_and_not1_b32 vcc_lo, exec_lo, s14
	s_cbranch_vccnz .LBB94_2528
; %bb.2527:
	s_wait_loadcnt 0x0
	global_load_b32 v6, v[8:9], off
	s_wait_loadcnt 0x0
	v_cvt_f32_f16_e32 v6, v6
	s_delay_alu instid0(VALU_DEP_1) | instskip(NEXT) | instid1(VALU_DEP_1)
	v_cvt_i32_f32_e32 v6, v6
	v_ashrrev_i32_e32 v7, 31, v6
.LBB94_2528:
	s_cbranch_execnz .LBB94_2539
.LBB94_2529:
	s_sext_i32_i16 s14, s0
	s_delay_alu instid0(SALU_CYCLE_1)
	s_cmp_lt_i32 s14, 6
	s_cbranch_scc1 .LBB94_2532
; %bb.2530:
	s_cmp_gt_i32 s14, 6
	s_cbranch_scc0 .LBB94_2533
; %bb.2531:
	s_wait_loadcnt 0x0
	global_load_b64 v[6:7], v[8:9], off
	s_mov_b32 s14, 0
	s_wait_loadcnt 0x0
	v_trunc_f64_e32 v[6:7], v[6:7]
	s_delay_alu instid0(VALU_DEP_1) | instskip(NEXT) | instid1(VALU_DEP_1)
	v_ldexp_f64 v[10:11], v[6:7], 0xffffffe0
	v_floor_f64_e32 v[10:11], v[10:11]
	s_delay_alu instid0(VALU_DEP_1) | instskip(SKIP_1) | instid1(VALU_DEP_2)
	v_fmamk_f64 v[12:13], v[10:11], 0xc1f00000, v[6:7]
	v_cvt_i32_f64_e32 v7, v[10:11]
	v_cvt_u32_f64_e32 v6, v[12:13]
	s_branch .LBB94_2534
.LBB94_2532:
	s_mov_b32 s14, -1
                                        ; implicit-def: $vgpr6_vgpr7
	s_branch .LBB94_2537
.LBB94_2533:
	s_mov_b32 s14, -1
                                        ; implicit-def: $vgpr6_vgpr7
.LBB94_2534:
	s_delay_alu instid0(SALU_CYCLE_1)
	s_and_not1_b32 vcc_lo, exec_lo, s14
	s_cbranch_vccnz .LBB94_2536
; %bb.2535:
	s_wait_loadcnt 0x0
	global_load_b32 v6, v[8:9], off
	s_wait_loadcnt 0x0
	v_trunc_f32_e32 v6, v6
	s_delay_alu instid0(VALU_DEP_1) | instskip(NEXT) | instid1(VALU_DEP_1)
	v_mul_f32_e64 v7, 0x2f800000, |v6|
	v_floor_f32_e32 v7, v7
	s_delay_alu instid0(VALU_DEP_1) | instskip(SKIP_2) | instid1(VALU_DEP_3)
	v_fma_f32 v10, 0xcf800000, v7, |v6|
	v_ashrrev_i32_e32 v6, 31, v6
	v_cvt_u32_f32_e32 v11, v7
	v_cvt_u32_f32_e32 v10, v10
	s_delay_alu instid0(VALU_DEP_2) | instskip(NEXT) | instid1(VALU_DEP_2)
	v_dual_mov_b32 v7, v6 :: v_dual_bitop2_b32 v11, v11, v6 bitop3:0x14
	v_xor_b32_e32 v10, v10, v6
	s_delay_alu instid0(VALU_DEP_1)
	v_sub_nc_u64_e32 v[6:7], v[10:11], v[6:7]
.LBB94_2536:
	s_mov_b32 s14, 0
.LBB94_2537:
	s_delay_alu instid0(SALU_CYCLE_1)
	s_and_not1_b32 vcc_lo, exec_lo, s14
	s_cbranch_vccnz .LBB94_2539
; %bb.2538:
	s_wait_loadcnt 0x0
	global_load_u16 v6, v[8:9], off
	s_wait_loadcnt 0x0
	v_cvt_f32_f16_e32 v6, v6
	s_delay_alu instid0(VALU_DEP_1) | instskip(NEXT) | instid1(VALU_DEP_1)
	v_cvt_i32_f32_e32 v6, v6
	v_ashrrev_i32_e32 v7, 31, v6
.LBB94_2539:
	s_cbranch_execnz .LBB94_2558
.LBB94_2540:
	s_sext_i32_i16 s14, s0
	s_delay_alu instid0(SALU_CYCLE_1)
	s_cmp_lt_i32 s14, 2
	s_cbranch_scc1 .LBB94_2544
; %bb.2541:
	s_cmp_lt_i32 s14, 3
	s_cbranch_scc1 .LBB94_2545
; %bb.2542:
	s_cmp_gt_i32 s14, 3
	s_cbranch_scc0 .LBB94_2546
; %bb.2543:
	s_wait_loadcnt 0x0
	global_load_b64 v[6:7], v[8:9], off
	s_mov_b32 s14, 0
	s_branch .LBB94_2547
.LBB94_2544:
                                        ; implicit-def: $vgpr6_vgpr7
	s_branch .LBB94_2553
.LBB94_2545:
	s_mov_b32 s14, -1
                                        ; implicit-def: $vgpr6_vgpr7
	s_branch .LBB94_2550
.LBB94_2546:
	s_mov_b32 s14, -1
                                        ; implicit-def: $vgpr6_vgpr7
.LBB94_2547:
	s_delay_alu instid0(SALU_CYCLE_1)
	s_and_not1_b32 vcc_lo, exec_lo, s14
	s_cbranch_vccnz .LBB94_2549
; %bb.2548:
	s_wait_loadcnt 0x0
	global_load_b32 v6, v[8:9], off
	s_wait_loadcnt 0x0
	v_ashrrev_i32_e32 v7, 31, v6
.LBB94_2549:
	s_mov_b32 s14, 0
.LBB94_2550:
	s_delay_alu instid0(SALU_CYCLE_1)
	s_and_not1_b32 vcc_lo, exec_lo, s14
	s_cbranch_vccnz .LBB94_2552
; %bb.2551:
	s_wait_loadcnt 0x0
	global_load_u16 v6, v[8:9], off
	s_wait_loadcnt 0x0
	v_bfe_i32 v6, v6, 0, 16
	s_delay_alu instid0(VALU_DEP_1)
	v_ashrrev_i32_e32 v7, 31, v6
.LBB94_2552:
	s_cbranch_execnz .LBB94_2558
.LBB94_2553:
	s_sext_i32_i16 s0, s0
	s_delay_alu instid0(SALU_CYCLE_1)
	s_cmp_gt_i32 s0, 0
	s_mov_b32 s0, 0
	s_cbranch_scc0 .LBB94_2555
; %bb.2554:
	s_wait_loadcnt 0x0
	global_load_i8 v6, v[8:9], off
	s_wait_loadcnt 0x0
	v_bfe_i32 v6, v6, 0, 16
	s_delay_alu instid0(VALU_DEP_1)
	v_ashrrev_i32_e32 v7, 31, v6
	s_branch .LBB94_2556
.LBB94_2555:
	s_mov_b32 s0, -1
                                        ; implicit-def: $vgpr6_vgpr7
.LBB94_2556:
	s_delay_alu instid0(SALU_CYCLE_1)
	s_and_not1_b32 vcc_lo, exec_lo, s0
	s_cbranch_vccnz .LBB94_2558
; %bb.2557:
	s_wait_loadcnt 0x0
	global_load_u8 v6, v[8:9], off
	s_mov_b32 s0, 0
	s_delay_alu instid0(SALU_CYCLE_1)
	v_mov_b32_e32 v7, s0
	s_wait_loadcnt 0x0
	v_and_b32_e32 v6, 0xffff, v6
.LBB94_2558:
	s_or_b32 s13, s13, exec_lo
.LBB94_2559:
	s_wait_xcnt 0x0
	s_or_b32 exec_lo, exec_lo, s12
	s_mov_b32 s14, 0
	s_mov_b32 s17, 0
	;; [unrolled: 1-line block ×3, first 2 shown]
                                        ; implicit-def: $sgpr0
                                        ; implicit-def: $vgpr8_vgpr9
                                        ; implicit-def: $vgpr10_vgpr11
	s_and_saveexec_b32 s12, s13
	s_cbranch_execz .LBB94_2567
; %bb.2560:
	v_mul_lo_u32 v8, s53, v26
	s_and_b32 s0, s54, 0xff
	s_delay_alu instid0(SALU_CYCLE_1) | instskip(NEXT) | instid1(VALU_DEP_1)
	s_cmp_lt_i32 s0, 11
	v_ashrrev_i32_e32 v9, 31, v8
	s_delay_alu instid0(VALU_DEP_1)
	v_add_nc_u64_e32 v[8:9], s[34:35], v[8:9]
	s_cbranch_scc1 .LBB94_2570
; %bb.2561:
	s_and_b32 s13, 0xffff, s0
	s_mov_b32 s16, 0
	s_cmp_gt_i32 s13, 25
	s_cbranch_scc0 .LBB94_2571
; %bb.2562:
	s_cmp_gt_i32 s13, 28
	s_cbranch_scc0 .LBB94_2572
; %bb.2563:
	;; [unrolled: 3-line block ×4, first 2 shown]
	s_cmp_eq_u32 s13, 46
	s_cbranch_scc0 .LBB94_2575
; %bb.2566:
	s_wait_loadcnt 0x0
	global_load_b32 v10, v[8:9], off
	s_mov_b32 s15, -1
	s_wait_loadcnt 0x0
	v_lshlrev_b32_e32 v10, 16, v10
	s_delay_alu instid0(VALU_DEP_1) | instskip(NEXT) | instid1(VALU_DEP_1)
	v_trunc_f32_e32 v10, v10
	v_mul_f32_e64 v11, 0x2f800000, |v10|
	s_delay_alu instid0(VALU_DEP_1) | instskip(NEXT) | instid1(VALU_DEP_1)
	v_floor_f32_e32 v11, v11
	v_fma_f32 v12, 0xcf800000, v11, |v10|
	v_ashrrev_i32_e32 v10, 31, v10
	v_cvt_u32_f32_e32 v13, v11
	s_delay_alu instid0(VALU_DEP_3) | instskip(NEXT) | instid1(VALU_DEP_2)
	v_cvt_u32_f32_e32 v12, v12
	v_dual_mov_b32 v11, v10 :: v_dual_bitop2_b32 v13, v13, v10 bitop3:0x14
	s_delay_alu instid0(VALU_DEP_2) | instskip(NEXT) | instid1(VALU_DEP_1)
	v_xor_b32_e32 v12, v12, v10
	v_sub_nc_u64_e32 v[10:11], v[12:13], v[10:11]
	s_branch .LBB94_2577
.LBB94_2567:
	s_or_b32 exec_lo, exec_lo, s12
	s_and_saveexec_b32 s12, s63
	s_cbranch_execnz .LBB94_2636
.LBB94_2568:
	s_or_b32 exec_lo, exec_lo, s12
	s_and_saveexec_b32 s12, s14
	s_delay_alu instid0(SALU_CYCLE_1)
	s_xor_b32 s12, exec_lo, s12
	s_cbranch_execz .LBB94_2637
.LBB94_2569:
	s_wait_loadcnt 0x0
	global_load_u8 v10, v[8:9], off
	s_mov_b32 s13, 0
	s_or_b32 s15, s15, exec_lo
	v_mov_b32_e32 v11, s13
	s_wait_loadcnt 0x0
	v_cmp_ne_u16_e32 vcc_lo, 0, v10
	v_cndmask_b32_e64 v10, 0, 1, vcc_lo
	s_wait_xcnt 0x0
	s_or_b32 exec_lo, exec_lo, s12
	s_and_saveexec_b32 s12, s17
	s_cbranch_execz .LBB94_2683
	s_branch .LBB94_2638
.LBB94_2570:
	s_mov_b32 s13, -1
	s_mov_b32 s16, 0
	s_mov_b32 s14, s63
                                        ; implicit-def: $vgpr10_vgpr11
	s_branch .LBB94_2635
.LBB94_2571:
	s_mov_b32 s14, s63
                                        ; implicit-def: $vgpr10_vgpr11
	s_cbranch_execnz .LBB94_2604
	s_branch .LBB94_2634
.LBB94_2572:
	s_mov_b32 s17, -1
	s_mov_b32 s14, s63
                                        ; implicit-def: $vgpr10_vgpr11
	s_branch .LBB94_2587
.LBB94_2573:
	s_mov_b32 s17, -1
	s_mov_b32 s14, s63
                                        ; implicit-def: $vgpr10_vgpr11
	s_branch .LBB94_2582
.LBB94_2574:
	s_mov_b32 s17, -1
	s_mov_b32 s14, s63
	s_branch .LBB94_2576
.LBB94_2575:
	s_mov_b32 s14, -1
.LBB94_2576:
                                        ; implicit-def: $vgpr10_vgpr11
.LBB94_2577:
	s_and_b32 vcc_lo, exec_lo, s17
	s_cbranch_vccz .LBB94_2581
; %bb.2578:
	s_cmp_eq_u32 s13, 44
	s_cbranch_scc0 .LBB94_2580
; %bb.2579:
	global_load_u8 v14, v[8:9], off
	s_mov_b32 s14, 0
	s_mov_b32 s15, -1
	s_wait_loadcnt 0x0
	v_cmp_ne_u32_e32 vcc_lo, 0, v14
	v_lshlrev_b32_e32 v10, 23, v14
	s_delay_alu instid0(VALU_DEP_1) | instskip(NEXT) | instid1(VALU_DEP_1)
	v_trunc_f32_e32 v10, v10
	v_mul_f32_e64 v11, 0x2f800000, |v10|
	s_delay_alu instid0(VALU_DEP_1) | instskip(NEXT) | instid1(VALU_DEP_1)
	v_floor_f32_e32 v11, v11
	v_fma_f32 v12, 0xcf800000, v11, |v10|
	v_ashrrev_i32_e32 v10, 31, v10
	v_cvt_u32_f32_e32 v13, v11
	s_delay_alu instid0(VALU_DEP_3) | instskip(NEXT) | instid1(VALU_DEP_2)
	v_cvt_u32_f32_e32 v12, v12
	v_dual_mov_b32 v11, v10 :: v_dual_bitop2_b32 v13, v13, v10 bitop3:0x14
	s_delay_alu instid0(VALU_DEP_2) | instskip(NEXT) | instid1(VALU_DEP_1)
	v_xor_b32_e32 v12, v12, v10
	v_sub_nc_u64_e32 v[10:11], v[12:13], v[10:11]
	s_delay_alu instid0(VALU_DEP_1)
	v_dual_cndmask_b32 v11, 0, v11 :: v_dual_cndmask_b32 v10, 0, v10
	s_branch .LBB94_2581
.LBB94_2580:
	s_mov_b32 s14, -1
                                        ; implicit-def: $vgpr10_vgpr11
.LBB94_2581:
	s_mov_b32 s17, 0
.LBB94_2582:
	s_delay_alu instid0(SALU_CYCLE_1)
	s_and_b32 vcc_lo, exec_lo, s17
	s_cbranch_vccz .LBB94_2586
; %bb.2583:
	s_cmp_eq_u32 s13, 29
	s_cbranch_scc0 .LBB94_2585
; %bb.2584:
	s_wait_loadcnt 0x0
	global_load_b64 v[10:11], v[8:9], off
	s_mov_b32 s14, 0
	s_mov_b32 s15, -1
	s_branch .LBB94_2586
.LBB94_2585:
	s_mov_b32 s14, -1
                                        ; implicit-def: $vgpr10_vgpr11
.LBB94_2586:
	s_mov_b32 s17, 0
.LBB94_2587:
	s_delay_alu instid0(SALU_CYCLE_1)
	s_and_b32 vcc_lo, exec_lo, s17
	s_cbranch_vccz .LBB94_2603
; %bb.2588:
	s_cmp_lt_i32 s13, 27
	s_cbranch_scc1 .LBB94_2591
; %bb.2589:
	s_cmp_gt_i32 s13, 27
	s_cbranch_scc0 .LBB94_2592
; %bb.2590:
	s_wait_loadcnt 0x0
	global_load_b32 v10, v[8:9], off
	v_mov_b32_e32 v11, 0
	s_mov_b32 s15, 0
	s_branch .LBB94_2593
.LBB94_2591:
	s_mov_b32 s15, -1
                                        ; implicit-def: $vgpr10_vgpr11
	s_branch .LBB94_2596
.LBB94_2592:
	s_mov_b32 s15, -1
                                        ; implicit-def: $vgpr10_vgpr11
.LBB94_2593:
	s_delay_alu instid0(SALU_CYCLE_1)
	s_and_not1_b32 vcc_lo, exec_lo, s15
	s_cbranch_vccnz .LBB94_2595
; %bb.2594:
	s_wait_loadcnt 0x0
	global_load_u16 v10, v[8:9], off
	s_mov_b32 s15, 0
	s_delay_alu instid0(SALU_CYCLE_1)
	v_mov_b32_e32 v11, s15
	s_wait_loadcnt 0x0
	v_and_b32_e32 v10, 0xffff, v10
.LBB94_2595:
	s_mov_b32 s15, 0
.LBB94_2596:
	s_delay_alu instid0(SALU_CYCLE_1)
	s_and_not1_b32 vcc_lo, exec_lo, s15
	s_cbranch_vccnz .LBB94_2602
; %bb.2597:
	global_load_u8 v12, v[8:9], off
	s_mov_b32 s17, 0
	s_mov_b32 s15, exec_lo
	s_wait_loadcnt 0x0
	v_cmpx_lt_i16_e32 0x7f, v12
	s_xor_b32 s15, exec_lo, s15
	s_cbranch_execz .LBB94_2613
; %bb.2598:
	v_cmp_ne_u16_e32 vcc_lo, 0x80, v12
	s_and_b32 s17, vcc_lo, exec_lo
	s_and_not1_saveexec_b32 s15, s15
	s_cbranch_execnz .LBB94_2614
.LBB94_2599:
	s_or_b32 exec_lo, exec_lo, s15
	v_mov_b64_e32 v[10:11], 0
	s_and_saveexec_b32 s15, s17
	s_cbranch_execz .LBB94_2601
.LBB94_2600:
	v_and_b32_e32 v10, 0xffff, v12
	s_delay_alu instid0(VALU_DEP_1) | instskip(SKIP_1) | instid1(VALU_DEP_2)
	v_and_b32_e32 v11, 7, v10
	v_bfe_u32 v15, v10, 3, 4
	v_clz_i32_u32_e32 v13, v11
	s_delay_alu instid0(VALU_DEP_2) | instskip(NEXT) | instid1(VALU_DEP_2)
	v_cmp_eq_u32_e32 vcc_lo, 0, v15
	v_min_u32_e32 v13, 32, v13
	s_delay_alu instid0(VALU_DEP_1) | instskip(NEXT) | instid1(VALU_DEP_1)
	v_subrev_nc_u32_e32 v14, 28, v13
	v_dual_lshlrev_b32 v10, v14, v10 :: v_dual_sub_nc_u32 v13, 29, v13
	s_delay_alu instid0(VALU_DEP_1) | instskip(NEXT) | instid1(VALU_DEP_2)
	v_dual_lshlrev_b32 v12, 24, v12 :: v_dual_bitop2_b32 v10, 7, v10 bitop3:0x40
	v_cndmask_b32_e32 v13, v15, v13, vcc_lo
	s_delay_alu instid0(VALU_DEP_2) | instskip(NEXT) | instid1(VALU_DEP_3)
	v_cndmask_b32_e32 v10, v11, v10, vcc_lo
	v_and_b32_e32 v11, 0x80000000, v12
	s_delay_alu instid0(VALU_DEP_3) | instskip(NEXT) | instid1(VALU_DEP_3)
	v_lshl_add_u32 v12, v13, 23, 0x3b800000
	v_lshlrev_b32_e32 v10, 20, v10
	s_delay_alu instid0(VALU_DEP_1) | instskip(NEXT) | instid1(VALU_DEP_1)
	v_or3_b32 v10, v11, v12, v10
	v_trunc_f32_e32 v10, v10
	s_delay_alu instid0(VALU_DEP_1) | instskip(NEXT) | instid1(VALU_DEP_1)
	v_mul_f32_e64 v11, 0x2f800000, |v10|
	v_floor_f32_e32 v11, v11
	s_delay_alu instid0(VALU_DEP_1) | instskip(SKIP_2) | instid1(VALU_DEP_3)
	v_fma_f32 v12, 0xcf800000, v11, |v10|
	v_ashrrev_i32_e32 v10, 31, v10
	v_cvt_u32_f32_e32 v13, v11
	v_cvt_u32_f32_e32 v12, v12
	s_delay_alu instid0(VALU_DEP_2) | instskip(NEXT) | instid1(VALU_DEP_2)
	v_dual_mov_b32 v11, v10 :: v_dual_bitop2_b32 v13, v13, v10 bitop3:0x14
	v_xor_b32_e32 v12, v12, v10
	s_delay_alu instid0(VALU_DEP_1)
	v_sub_nc_u64_e32 v[10:11], v[12:13], v[10:11]
.LBB94_2601:
	s_or_b32 exec_lo, exec_lo, s15
.LBB94_2602:
	s_mov_b32 s15, -1
.LBB94_2603:
	s_branch .LBB94_2634
.LBB94_2604:
	s_cmp_gt_i32 s13, 22
	s_cbranch_scc0 .LBB94_2612
; %bb.2605:
	s_cmp_lt_i32 s13, 24
	s_cbranch_scc1 .LBB94_2615
; %bb.2606:
	s_cmp_gt_i32 s13, 24
	s_cbranch_scc0 .LBB94_2616
; %bb.2607:
	global_load_u8 v12, v[8:9], off
	s_mov_b32 s15, exec_lo
	s_wait_loadcnt 0x0
	v_cmpx_lt_i16_e32 0x7f, v12
	s_xor_b32 s15, exec_lo, s15
	s_cbranch_execz .LBB94_2628
; %bb.2608:
	v_cmp_ne_u16_e32 vcc_lo, 0x80, v12
	s_and_b32 s16, vcc_lo, exec_lo
	s_and_not1_saveexec_b32 s15, s15
	s_cbranch_execnz .LBB94_2629
.LBB94_2609:
	s_or_b32 exec_lo, exec_lo, s15
	v_mov_b64_e32 v[10:11], 0
	s_and_saveexec_b32 s15, s16
	s_cbranch_execz .LBB94_2611
.LBB94_2610:
	v_and_b32_e32 v10, 0xffff, v12
	s_delay_alu instid0(VALU_DEP_1) | instskip(SKIP_1) | instid1(VALU_DEP_2)
	v_and_b32_e32 v11, 3, v10
	v_bfe_u32 v15, v10, 2, 5
	v_clz_i32_u32_e32 v13, v11
	s_delay_alu instid0(VALU_DEP_2) | instskip(NEXT) | instid1(VALU_DEP_2)
	v_cmp_eq_u32_e32 vcc_lo, 0, v15
	v_min_u32_e32 v13, 32, v13
	s_delay_alu instid0(VALU_DEP_1) | instskip(NEXT) | instid1(VALU_DEP_1)
	v_subrev_nc_u32_e32 v14, 29, v13
	v_dual_lshlrev_b32 v10, v14, v10 :: v_dual_sub_nc_u32 v13, 30, v13
	s_delay_alu instid0(VALU_DEP_1) | instskip(NEXT) | instid1(VALU_DEP_2)
	v_dual_lshlrev_b32 v12, 24, v12 :: v_dual_bitop2_b32 v10, 3, v10 bitop3:0x40
	v_cndmask_b32_e32 v13, v15, v13, vcc_lo
	s_delay_alu instid0(VALU_DEP_2) | instskip(NEXT) | instid1(VALU_DEP_3)
	v_cndmask_b32_e32 v10, v11, v10, vcc_lo
	v_and_b32_e32 v11, 0x80000000, v12
	s_delay_alu instid0(VALU_DEP_3) | instskip(NEXT) | instid1(VALU_DEP_3)
	v_lshl_add_u32 v12, v13, 23, 0x37800000
	v_lshlrev_b32_e32 v10, 21, v10
	s_delay_alu instid0(VALU_DEP_1) | instskip(NEXT) | instid1(VALU_DEP_1)
	v_or3_b32 v10, v11, v12, v10
	v_trunc_f32_e32 v10, v10
	s_delay_alu instid0(VALU_DEP_1) | instskip(NEXT) | instid1(VALU_DEP_1)
	v_mul_f32_e64 v11, 0x2f800000, |v10|
	v_floor_f32_e32 v11, v11
	s_delay_alu instid0(VALU_DEP_1) | instskip(SKIP_2) | instid1(VALU_DEP_3)
	v_fma_f32 v12, 0xcf800000, v11, |v10|
	v_ashrrev_i32_e32 v10, 31, v10
	v_cvt_u32_f32_e32 v13, v11
	v_cvt_u32_f32_e32 v12, v12
	s_delay_alu instid0(VALU_DEP_2) | instskip(NEXT) | instid1(VALU_DEP_2)
	v_dual_mov_b32 v11, v10 :: v_dual_bitop2_b32 v13, v13, v10 bitop3:0x14
	v_xor_b32_e32 v12, v12, v10
	s_delay_alu instid0(VALU_DEP_1)
	v_sub_nc_u64_e32 v[10:11], v[12:13], v[10:11]
.LBB94_2611:
	s_or_b32 exec_lo, exec_lo, s15
	s_mov_b32 s15, 0
	s_branch .LBB94_2617
.LBB94_2612:
	s_mov_b32 s16, -1
                                        ; implicit-def: $vgpr10_vgpr11
	s_branch .LBB94_2623
.LBB94_2613:
	s_and_not1_saveexec_b32 s15, s15
	s_cbranch_execz .LBB94_2599
.LBB94_2614:
	v_cmp_ne_u16_e32 vcc_lo, 0, v12
	s_and_not1_b32 s17, s17, exec_lo
	s_and_b32 s18, vcc_lo, exec_lo
	s_delay_alu instid0(SALU_CYCLE_1)
	s_or_b32 s17, s17, s18
	s_or_b32 exec_lo, exec_lo, s15
	v_mov_b64_e32 v[10:11], 0
	s_and_saveexec_b32 s15, s17
	s_cbranch_execnz .LBB94_2600
	s_branch .LBB94_2601
.LBB94_2615:
	s_mov_b32 s15, -1
                                        ; implicit-def: $vgpr10_vgpr11
	s_branch .LBB94_2620
.LBB94_2616:
	s_mov_b32 s15, -1
                                        ; implicit-def: $vgpr10_vgpr11
.LBB94_2617:
	s_delay_alu instid0(SALU_CYCLE_1)
	s_and_b32 vcc_lo, exec_lo, s15
	s_cbranch_vccz .LBB94_2619
; %bb.2618:
	s_wait_loadcnt 0x0
	global_load_u8 v10, v[8:9], off
	s_wait_loadcnt 0x0
	v_lshlrev_b32_e32 v10, 24, v10
	s_delay_alu instid0(VALU_DEP_1) | instskip(NEXT) | instid1(VALU_DEP_1)
	v_and_b32_e32 v11, 0x7f000000, v10
	v_clz_i32_u32_e32 v12, v11
	v_cmp_ne_u32_e32 vcc_lo, 0, v11
	v_add_nc_u32_e32 v14, 0x1000000, v11
	s_delay_alu instid0(VALU_DEP_3) | instskip(NEXT) | instid1(VALU_DEP_1)
	v_min_u32_e32 v12, 32, v12
	v_sub_nc_u32_e64 v12, v12, 4 clamp
	s_delay_alu instid0(VALU_DEP_1) | instskip(NEXT) | instid1(VALU_DEP_1)
	v_dual_lshlrev_b32 v13, v12, v11 :: v_dual_lshlrev_b32 v12, 23, v12
	v_lshrrev_b32_e32 v13, 4, v13
	s_delay_alu instid0(VALU_DEP_1) | instskip(NEXT) | instid1(VALU_DEP_1)
	v_dual_sub_nc_u32 v12, v13, v12 :: v_dual_ashrrev_i32 v13, 8, v14
	v_add_nc_u32_e32 v12, 0x3c000000, v12
	s_delay_alu instid0(VALU_DEP_1) | instskip(NEXT) | instid1(VALU_DEP_1)
	v_and_or_b32 v12, 0x7f800000, v13, v12
	v_cndmask_b32_e32 v11, 0, v12, vcc_lo
	s_delay_alu instid0(VALU_DEP_1) | instskip(NEXT) | instid1(VALU_DEP_1)
	v_and_or_b32 v10, 0x80000000, v10, v11
	v_trunc_f32_e32 v10, v10
	s_delay_alu instid0(VALU_DEP_1) | instskip(NEXT) | instid1(VALU_DEP_1)
	v_mul_f32_e64 v11, 0x2f800000, |v10|
	v_floor_f32_e32 v11, v11
	s_delay_alu instid0(VALU_DEP_1) | instskip(SKIP_2) | instid1(VALU_DEP_3)
	v_fma_f32 v12, 0xcf800000, v11, |v10|
	v_ashrrev_i32_e32 v10, 31, v10
	v_cvt_u32_f32_e32 v13, v11
	v_cvt_u32_f32_e32 v12, v12
	s_delay_alu instid0(VALU_DEP_2) | instskip(NEXT) | instid1(VALU_DEP_2)
	v_dual_mov_b32 v11, v10 :: v_dual_bitop2_b32 v13, v13, v10 bitop3:0x14
	v_xor_b32_e32 v12, v12, v10
	s_delay_alu instid0(VALU_DEP_1)
	v_sub_nc_u64_e32 v[10:11], v[12:13], v[10:11]
.LBB94_2619:
	s_mov_b32 s15, 0
.LBB94_2620:
	s_delay_alu instid0(SALU_CYCLE_1)
	s_and_not1_b32 vcc_lo, exec_lo, s15
	s_cbranch_vccnz .LBB94_2622
; %bb.2621:
	s_wait_loadcnt 0x0
	global_load_u8 v10, v[8:9], off
	s_wait_loadcnt 0x0
	v_lshlrev_b32_e32 v11, 25, v10
	v_lshlrev_b16 v10, 8, v10
	s_delay_alu instid0(VALU_DEP_1) | instskip(SKIP_1) | instid1(VALU_DEP_2)
	v_and_or_b32 v13, 0x7f00, v10, 0.5
	v_bfe_i32 v10, v10, 0, 16
	v_dual_add_f32 v13, -0.5, v13 :: v_dual_lshrrev_b32 v12, 4, v11
	v_cmp_gt_u32_e32 vcc_lo, 0x8000000, v11
	s_delay_alu instid0(VALU_DEP_2) | instskip(NEXT) | instid1(VALU_DEP_1)
	v_or_b32_e32 v12, 0x70000000, v12
	v_mul_f32_e32 v12, 0x7800000, v12
	s_delay_alu instid0(VALU_DEP_1) | instskip(NEXT) | instid1(VALU_DEP_1)
	v_cndmask_b32_e32 v11, v12, v13, vcc_lo
	v_and_or_b32 v10, 0x80000000, v10, v11
	s_delay_alu instid0(VALU_DEP_1) | instskip(NEXT) | instid1(VALU_DEP_1)
	v_trunc_f32_e32 v10, v10
	v_mul_f32_e64 v11, 0x2f800000, |v10|
	s_delay_alu instid0(VALU_DEP_1) | instskip(NEXT) | instid1(VALU_DEP_1)
	v_floor_f32_e32 v11, v11
	v_fma_f32 v12, 0xcf800000, v11, |v10|
	v_ashrrev_i32_e32 v10, 31, v10
	v_cvt_u32_f32_e32 v13, v11
	s_delay_alu instid0(VALU_DEP_3) | instskip(NEXT) | instid1(VALU_DEP_2)
	v_cvt_u32_f32_e32 v12, v12
	v_dual_mov_b32 v11, v10 :: v_dual_bitop2_b32 v13, v13, v10 bitop3:0x14
	s_delay_alu instid0(VALU_DEP_2) | instskip(NEXT) | instid1(VALU_DEP_1)
	v_xor_b32_e32 v12, v12, v10
	v_sub_nc_u64_e32 v[10:11], v[12:13], v[10:11]
.LBB94_2622:
	s_mov_b32 s16, 0
	s_mov_b32 s15, -1
.LBB94_2623:
	s_and_not1_b32 vcc_lo, exec_lo, s16
	s_mov_b32 s16, 0
	s_cbranch_vccnz .LBB94_2634
; %bb.2624:
	s_cmp_gt_i32 s13, 14
	s_cbranch_scc0 .LBB94_2627
; %bb.2625:
	s_cmp_eq_u32 s13, 15
	s_cbranch_scc0 .LBB94_2630
; %bb.2626:
	s_wait_loadcnt 0x0
	global_load_u16 v10, v[8:9], off
	s_mov_b32 s14, 0
	s_mov_b32 s15, -1
	s_wait_loadcnt 0x0
	v_lshlrev_b32_e32 v10, 16, v10
	s_delay_alu instid0(VALU_DEP_1) | instskip(NEXT) | instid1(VALU_DEP_1)
	v_trunc_f32_e32 v10, v10
	v_mul_f32_e64 v11, 0x2f800000, |v10|
	s_delay_alu instid0(VALU_DEP_1) | instskip(NEXT) | instid1(VALU_DEP_1)
	v_floor_f32_e32 v11, v11
	v_fma_f32 v12, 0xcf800000, v11, |v10|
	v_ashrrev_i32_e32 v10, 31, v10
	v_cvt_u32_f32_e32 v13, v11
	s_delay_alu instid0(VALU_DEP_3) | instskip(NEXT) | instid1(VALU_DEP_2)
	v_cvt_u32_f32_e32 v12, v12
	v_dual_mov_b32 v11, v10 :: v_dual_bitop2_b32 v13, v13, v10 bitop3:0x14
	s_delay_alu instid0(VALU_DEP_2) | instskip(NEXT) | instid1(VALU_DEP_1)
	v_xor_b32_e32 v12, v12, v10
	v_sub_nc_u64_e32 v[10:11], v[12:13], v[10:11]
	s_branch .LBB94_2632
.LBB94_2627:
	s_mov_b32 s16, -1
	s_branch .LBB94_2631
.LBB94_2628:
	s_and_not1_saveexec_b32 s15, s15
	s_cbranch_execz .LBB94_2609
.LBB94_2629:
	v_cmp_ne_u16_e32 vcc_lo, 0, v12
	s_and_not1_b32 s16, s16, exec_lo
	s_and_b32 s17, vcc_lo, exec_lo
	s_delay_alu instid0(SALU_CYCLE_1)
	s_or_b32 s16, s16, s17
	s_or_b32 exec_lo, exec_lo, s15
	v_mov_b64_e32 v[10:11], 0
	s_and_saveexec_b32 s15, s16
	s_cbranch_execnz .LBB94_2610
	s_branch .LBB94_2611
.LBB94_2630:
	s_mov_b32 s14, -1
.LBB94_2631:
                                        ; implicit-def: $vgpr10_vgpr11
.LBB94_2632:
	s_and_b32 vcc_lo, exec_lo, s16
	s_mov_b32 s16, 0
	s_cbranch_vccz .LBB94_2634
; %bb.2633:
	s_cmp_lg_u32 s13, 11
	s_mov_b32 s16, -1
	s_cselect_b32 s13, -1, 0
	s_and_not1_b32 s14, s14, exec_lo
	s_and_b32 s13, s13, exec_lo
	s_delay_alu instid0(SALU_CYCLE_1)
	s_or_b32 s14, s14, s13
.LBB94_2634:
	s_mov_b32 s13, 0
.LBB94_2635:
	s_delay_alu instid0(SALU_CYCLE_1)
	s_and_b32 s17, s13, exec_lo
	s_and_not1_b32 s13, s63, exec_lo
	s_and_b32 s18, s14, exec_lo
	s_and_b32 s15, s15, exec_lo
	;; [unrolled: 1-line block ×3, first 2 shown]
	s_or_b32 s63, s13, s18
	s_wait_xcnt 0x0
	s_or_b32 exec_lo, exec_lo, s12
	s_and_saveexec_b32 s12, s63
	s_cbranch_execz .LBB94_2568
.LBB94_2636:
	s_or_b32 s1, s1, exec_lo
	s_and_not1_b32 s14, s14, exec_lo
	s_trap 2
	s_or_b32 exec_lo, exec_lo, s12
	s_and_saveexec_b32 s12, s14
	s_delay_alu instid0(SALU_CYCLE_1)
	s_xor_b32 s12, exec_lo, s12
	s_cbranch_execnz .LBB94_2569
.LBB94_2637:
	s_or_b32 exec_lo, exec_lo, s12
	s_and_saveexec_b32 s12, s17
	s_cbranch_execz .LBB94_2683
.LBB94_2638:
	s_sext_i32_i16 s13, s0
	s_delay_alu instid0(SALU_CYCLE_1)
	s_cmp_lt_i32 s13, 5
	s_cbranch_scc1 .LBB94_2643
; %bb.2639:
	s_cmp_lt_i32 s13, 8
	s_cbranch_scc1 .LBB94_2644
; %bb.2640:
	;; [unrolled: 3-line block ×3, first 2 shown]
	s_cmp_gt_i32 s13, 9
	s_cbranch_scc0 .LBB94_2646
; %bb.2642:
	s_wait_loadcnt 0x0
	global_load_b64 v[10:11], v[8:9], off
	s_mov_b32 s13, 0
	s_wait_loadcnt 0x0
	v_trunc_f64_e32 v[10:11], v[10:11]
	s_delay_alu instid0(VALU_DEP_1) | instskip(NEXT) | instid1(VALU_DEP_1)
	v_ldexp_f64 v[12:13], v[10:11], 0xffffffe0
	v_floor_f64_e32 v[12:13], v[12:13]
	s_delay_alu instid0(VALU_DEP_1) | instskip(SKIP_1) | instid1(VALU_DEP_2)
	v_fmamk_f64 v[14:15], v[12:13], 0xc1f00000, v[10:11]
	v_cvt_i32_f64_e32 v11, v[12:13]
	v_cvt_u32_f64_e32 v10, v[14:15]
	s_branch .LBB94_2647
.LBB94_2643:
                                        ; implicit-def: $vgpr10_vgpr11
	s_branch .LBB94_2664
.LBB94_2644:
                                        ; implicit-def: $vgpr10_vgpr11
	s_branch .LBB94_2653
.LBB94_2645:
	s_mov_b32 s13, -1
                                        ; implicit-def: $vgpr10_vgpr11
	s_branch .LBB94_2650
.LBB94_2646:
	s_mov_b32 s13, -1
                                        ; implicit-def: $vgpr10_vgpr11
.LBB94_2647:
	s_delay_alu instid0(SALU_CYCLE_1)
	s_and_not1_b32 vcc_lo, exec_lo, s13
	s_cbranch_vccnz .LBB94_2649
; %bb.2648:
	s_wait_loadcnt 0x0
	global_load_b32 v10, v[8:9], off
	s_wait_loadcnt 0x0
	v_trunc_f32_e32 v10, v10
	s_delay_alu instid0(VALU_DEP_1) | instskip(NEXT) | instid1(VALU_DEP_1)
	v_mul_f32_e64 v11, 0x2f800000, |v10|
	v_floor_f32_e32 v11, v11
	s_delay_alu instid0(VALU_DEP_1) | instskip(SKIP_2) | instid1(VALU_DEP_3)
	v_fma_f32 v12, 0xcf800000, v11, |v10|
	v_ashrrev_i32_e32 v10, 31, v10
	v_cvt_u32_f32_e32 v13, v11
	v_cvt_u32_f32_e32 v12, v12
	s_delay_alu instid0(VALU_DEP_2) | instskip(NEXT) | instid1(VALU_DEP_2)
	v_dual_mov_b32 v11, v10 :: v_dual_bitop2_b32 v13, v13, v10 bitop3:0x14
	v_xor_b32_e32 v12, v12, v10
	s_delay_alu instid0(VALU_DEP_1)
	v_sub_nc_u64_e32 v[10:11], v[12:13], v[10:11]
.LBB94_2649:
	s_mov_b32 s13, 0
.LBB94_2650:
	s_delay_alu instid0(SALU_CYCLE_1)
	s_and_not1_b32 vcc_lo, exec_lo, s13
	s_cbranch_vccnz .LBB94_2652
; %bb.2651:
	s_wait_loadcnt 0x0
	global_load_b32 v10, v[8:9], off
	s_wait_loadcnt 0x0
	v_cvt_f32_f16_e32 v10, v10
	s_delay_alu instid0(VALU_DEP_1) | instskip(NEXT) | instid1(VALU_DEP_1)
	v_cvt_i32_f32_e32 v10, v10
	v_ashrrev_i32_e32 v11, 31, v10
.LBB94_2652:
	s_cbranch_execnz .LBB94_2663
.LBB94_2653:
	s_sext_i32_i16 s13, s0
	s_delay_alu instid0(SALU_CYCLE_1)
	s_cmp_lt_i32 s13, 6
	s_cbranch_scc1 .LBB94_2656
; %bb.2654:
	s_cmp_gt_i32 s13, 6
	s_cbranch_scc0 .LBB94_2657
; %bb.2655:
	s_wait_loadcnt 0x0
	global_load_b64 v[10:11], v[8:9], off
	s_mov_b32 s13, 0
	s_wait_loadcnt 0x0
	v_trunc_f64_e32 v[10:11], v[10:11]
	s_delay_alu instid0(VALU_DEP_1) | instskip(NEXT) | instid1(VALU_DEP_1)
	v_ldexp_f64 v[12:13], v[10:11], 0xffffffe0
	v_floor_f64_e32 v[12:13], v[12:13]
	s_delay_alu instid0(VALU_DEP_1) | instskip(SKIP_1) | instid1(VALU_DEP_2)
	v_fmamk_f64 v[14:15], v[12:13], 0xc1f00000, v[10:11]
	v_cvt_i32_f64_e32 v11, v[12:13]
	v_cvt_u32_f64_e32 v10, v[14:15]
	s_branch .LBB94_2658
.LBB94_2656:
	s_mov_b32 s13, -1
                                        ; implicit-def: $vgpr10_vgpr11
	s_branch .LBB94_2661
.LBB94_2657:
	s_mov_b32 s13, -1
                                        ; implicit-def: $vgpr10_vgpr11
.LBB94_2658:
	s_delay_alu instid0(SALU_CYCLE_1)
	s_and_not1_b32 vcc_lo, exec_lo, s13
	s_cbranch_vccnz .LBB94_2660
; %bb.2659:
	s_wait_loadcnt 0x0
	global_load_b32 v10, v[8:9], off
	s_wait_loadcnt 0x0
	v_trunc_f32_e32 v10, v10
	s_delay_alu instid0(VALU_DEP_1) | instskip(NEXT) | instid1(VALU_DEP_1)
	v_mul_f32_e64 v11, 0x2f800000, |v10|
	v_floor_f32_e32 v11, v11
	s_delay_alu instid0(VALU_DEP_1) | instskip(SKIP_2) | instid1(VALU_DEP_3)
	v_fma_f32 v12, 0xcf800000, v11, |v10|
	v_ashrrev_i32_e32 v10, 31, v10
	v_cvt_u32_f32_e32 v13, v11
	v_cvt_u32_f32_e32 v12, v12
	s_delay_alu instid0(VALU_DEP_2) | instskip(NEXT) | instid1(VALU_DEP_2)
	v_dual_mov_b32 v11, v10 :: v_dual_bitop2_b32 v13, v13, v10 bitop3:0x14
	v_xor_b32_e32 v12, v12, v10
	s_delay_alu instid0(VALU_DEP_1)
	v_sub_nc_u64_e32 v[10:11], v[12:13], v[10:11]
.LBB94_2660:
	s_mov_b32 s13, 0
.LBB94_2661:
	s_delay_alu instid0(SALU_CYCLE_1)
	s_and_not1_b32 vcc_lo, exec_lo, s13
	s_cbranch_vccnz .LBB94_2663
; %bb.2662:
	s_wait_loadcnt 0x0
	global_load_u16 v10, v[8:9], off
	s_wait_loadcnt 0x0
	v_cvt_f32_f16_e32 v10, v10
	s_delay_alu instid0(VALU_DEP_1) | instskip(NEXT) | instid1(VALU_DEP_1)
	v_cvt_i32_f32_e32 v10, v10
	v_ashrrev_i32_e32 v11, 31, v10
.LBB94_2663:
	s_cbranch_execnz .LBB94_2682
.LBB94_2664:
	s_sext_i32_i16 s13, s0
	s_delay_alu instid0(SALU_CYCLE_1)
	s_cmp_lt_i32 s13, 2
	s_cbranch_scc1 .LBB94_2668
; %bb.2665:
	s_cmp_lt_i32 s13, 3
	s_cbranch_scc1 .LBB94_2669
; %bb.2666:
	s_cmp_gt_i32 s13, 3
	s_cbranch_scc0 .LBB94_2670
; %bb.2667:
	s_wait_loadcnt 0x0
	global_load_b64 v[10:11], v[8:9], off
	s_mov_b32 s13, 0
	s_branch .LBB94_2671
.LBB94_2668:
                                        ; implicit-def: $vgpr10_vgpr11
	s_branch .LBB94_2677
.LBB94_2669:
	s_mov_b32 s13, -1
                                        ; implicit-def: $vgpr10_vgpr11
	s_branch .LBB94_2674
.LBB94_2670:
	s_mov_b32 s13, -1
                                        ; implicit-def: $vgpr10_vgpr11
.LBB94_2671:
	s_delay_alu instid0(SALU_CYCLE_1)
	s_and_not1_b32 vcc_lo, exec_lo, s13
	s_cbranch_vccnz .LBB94_2673
; %bb.2672:
	s_wait_loadcnt 0x0
	global_load_b32 v10, v[8:9], off
	s_wait_loadcnt 0x0
	v_ashrrev_i32_e32 v11, 31, v10
.LBB94_2673:
	s_mov_b32 s13, 0
.LBB94_2674:
	s_delay_alu instid0(SALU_CYCLE_1)
	s_and_not1_b32 vcc_lo, exec_lo, s13
	s_cbranch_vccnz .LBB94_2676
; %bb.2675:
	s_wait_loadcnt 0x0
	global_load_u16 v10, v[8:9], off
	s_wait_loadcnt 0x0
	v_bfe_i32 v10, v10, 0, 16
	s_delay_alu instid0(VALU_DEP_1)
	v_ashrrev_i32_e32 v11, 31, v10
.LBB94_2676:
	s_cbranch_execnz .LBB94_2682
.LBB94_2677:
	s_sext_i32_i16 s0, s0
	s_delay_alu instid0(SALU_CYCLE_1)
	s_cmp_gt_i32 s0, 0
	s_mov_b32 s0, 0
	s_cbranch_scc0 .LBB94_2679
; %bb.2678:
	s_wait_loadcnt 0x0
	global_load_i8 v10, v[8:9], off
	s_wait_loadcnt 0x0
	v_bfe_i32 v10, v10, 0, 16
	s_delay_alu instid0(VALU_DEP_1)
	v_ashrrev_i32_e32 v11, 31, v10
	s_branch .LBB94_2680
.LBB94_2679:
	s_mov_b32 s0, -1
                                        ; implicit-def: $vgpr10_vgpr11
.LBB94_2680:
	s_delay_alu instid0(SALU_CYCLE_1)
	s_and_not1_b32 vcc_lo, exec_lo, s0
	s_cbranch_vccnz .LBB94_2682
; %bb.2681:
	global_load_u8 v8, v[8:9], off
	s_mov_b32 s0, 0
	s_wait_loadcnt 0x1
	v_mov_b32_e32 v11, s0
	s_wait_loadcnt 0x0
	v_and_b32_e32 v10, 0xffff, v8
.LBB94_2682:
	s_or_b32 s15, s15, exec_lo
.LBB94_2683:
	s_wait_xcnt 0x0
	s_or_b32 exec_lo, exec_lo, s12
	s_mov_b32 s0, 0
	s_and_saveexec_b32 s12, s15
	s_delay_alu instid0(SALU_CYCLE_1)
	s_xor_b32 s12, exec_lo, s12
	s_cbranch_execz .LBB94_2685
; %bb.2684:
	s_wait_loadcnt 0x0
	v_cmp_ne_u64_e32 vcc_lo, s[4:5], v[0:1]
	s_xor_b32 s13, s52, -1
	s_and_not1_b32 s14, s62, exec_lo
	s_mov_b32 s0, exec_lo
	s_or_b32 s13, s13, vcc_lo
	s_delay_alu instid0(SALU_CYCLE_1) | instskip(NEXT) | instid1(SALU_CYCLE_1)
	s_and_b32 s13, s13, exec_lo
	s_or_b32 s62, s14, s13
.LBB94_2685:
	s_or_b32 exec_lo, exec_lo, s12
	s_and_saveexec_b32 s12, s62
	s_cbranch_execnz .LBB94_2722
.LBB94_2686:
	s_or_b32 exec_lo, exec_lo, s12
	s_mov_b32 s13, 0
	s_and_saveexec_b32 s12, s0
	s_delay_alu instid0(SALU_CYCLE_1)
	s_xor_b32 s0, exec_lo, s12
	s_cbranch_execz .LBB94_2688
; %bb.2687:
	s_wait_loadcnt 0x0
	v_cmp_ne_u64_e32 vcc_lo, s[8:9], v[2:3]
	s_xor_b32 s12, s51, -1
	s_and_not1_b32 s14, s61, exec_lo
	s_mov_b32 s13, exec_lo
	s_or_b32 s12, s12, vcc_lo
	s_delay_alu instid0(SALU_CYCLE_1) | instskip(NEXT) | instid1(SALU_CYCLE_1)
	s_and_b32 s12, s12, exec_lo
	s_or_b32 s61, s14, s12
.LBB94_2688:
	s_or_b32 exec_lo, exec_lo, s0
	s_and_saveexec_b32 s0, s61
	s_cbranch_execnz .LBB94_2723
.LBB94_2689:
	s_or_b32 exec_lo, exec_lo, s0
	s_mov_b32 s12, 0
	s_and_saveexec_b32 s0, s13
	s_delay_alu instid0(SALU_CYCLE_1)
	s_xor_b32 s13, exec_lo, s0
	s_cbranch_execz .LBB94_2701
; %bb.2690:
	s_wait_loadcnt 0x0
	v_sub_nc_u64_e32 v[0:1], v[6:7], v[4:5]
	s_mov_b32 s12, exec_lo
	s_delay_alu instid0(VALU_DEP_1) | instskip(SKIP_3) | instid1(SALU_CYCLE_1)
	v_cmp_le_i64_e32 vcc_lo, s[4:5], v[0:1]
	v_cmp_ge_i64_e64 s0, s[6:7], v[0:1]
	s_and_not1_b32 s4, s60, exec_lo
	s_and_b32 s0, vcc_lo, s0
	s_and_b32 s0, s50, s0
	s_delay_alu instid0(SALU_CYCLE_1) | instskip(NEXT) | instid1(SALU_CYCLE_1)
	s_xor_b32 s0, s0, -1
	s_and_b32 s0, s0, exec_lo
	s_delay_alu instid0(SALU_CYCLE_1)
	s_or_b32 s60, s4, s0
	s_or_b32 exec_lo, exec_lo, s13
	s_and_saveexec_b32 s0, s60
	s_cbranch_execz .LBB94_2702
.LBB94_2691:
	s_or_b32 s1, s1, exec_lo
	s_and_not1_b32 s12, s12, exec_lo
	s_trap 2
	s_or_b32 exec_lo, exec_lo, s0
	s_mov_b32 s5, 0
	s_and_saveexec_b32 s16, s12
	s_cbranch_execnz .LBB94_2703
.LBB94_2692:
	s_or_b32 exec_lo, exec_lo, s16
	s_and_saveexec_b32 s0, s59
	s_cbranch_execnz .LBB94_2721
.LBB94_2693:
	s_or_b32 exec_lo, exec_lo, s0
	s_mov_b32 s7, 0
	s_mov_b32 s6, 0
                                        ; implicit-def: $sgpr0
                                        ; implicit-def: $vgpr0_vgpr1
	s_and_saveexec_b32 s4, s5
	s_cbranch_execz .LBB94_2710
; %bb.2694:
	s_wait_loadcnt 0x0
	v_mul_lo_u32 v0, s33, v26
	s_and_b32 s0, s22, 0xff
	s_delay_alu instid0(SALU_CYCLE_1) | instskip(NEXT) | instid1(VALU_DEP_1)
	s_cmp_lt_i32 s0, 11
	v_ashrrev_i32_e32 v1, 31, v0
	s_delay_alu instid0(VALU_DEP_1)
	v_add_nc_u64_e32 v[0:1], s[2:3], v[0:1]
	s_cbranch_scc1 .LBB94_2718
; %bb.2695:
	s_and_b32 s6, 0xffff, s0
	s_mov_b32 s7, -1
	s_cmp_gt_i32 s6, 25
	s_mov_b32 s5, s56
	s_cbranch_scc0 .LBB94_2743
; %bb.2696:
	s_cmp_gt_i32 s6, 28
	s_mov_b32 s5, s56
	s_cbranch_scc0 .LBB94_2733
; %bb.2697:
	;; [unrolled: 4-line block ×4, first 2 shown]
	s_cmp_eq_u32 s6, 46
	s_mov_b32 s5, -1
	s_cbranch_scc0 .LBB94_2724
; %bb.2700:
	v_mov_b32_e32 v2, 0
	s_mov_b32 s5, 0
	s_mov_b32 s7, 0
	global_store_b32 v[0:1], v2, off
	s_branch .LBB94_2725
.LBB94_2701:
	s_or_b32 exec_lo, exec_lo, s13
	s_and_saveexec_b32 s0, s60
	s_cbranch_execnz .LBB94_2691
.LBB94_2702:
	s_or_b32 exec_lo, exec_lo, s0
	s_mov_b32 s5, 0
	s_and_saveexec_b32 s16, s12
	s_cbranch_execz .LBB94_2692
.LBB94_2703:
	v_cmp_lt_i64_e64 s0, s[8:9], 1
	s_wait_loadcnt 0x0
	v_mov_b64_e32 v[0:1], 0
	s_xor_b32 s4, s37, -1
	s_delay_alu instid0(SALU_CYCLE_1) | instskip(NEXT) | instid1(SALU_CYCLE_1)
	s_or_b32 s0, s0, s4
	s_and_b32 vcc_lo, exec_lo, s0
	s_cbranch_vccnz .LBB94_2713
; %bb.2704:
	v_mul_u64_e32 v[8:9], s[8:9], v[10:11]
	s_mov_b32 s31, 0
	v_mov_b64_e32 v[0:1], 0
	s_lshl_b64 s[6:7], s[30:31], 3
	v_mov_b32_e32 v2, 0
	s_add_nc_u64 s[6:7], s[28:29], s[6:7]
	s_mov_b64 s[4:5], 0xffffffff
	s_add_nc_u64 s[6:7], s[6:7], 0x68
	s_branch .LBB94_2706
.LBB94_2705:                            ;   in Loop: Header=BB94_2706 Depth=1
	s_or_b32 exec_lo, exec_lo, s0
	s_delay_alu instid0(VALU_DEP_1)
	v_mul_u64_e32 v[12:13], s[8:9], v[10:11]
	s_load_b64 s[8:9], s[6:7], 0x40
	s_add_co_i32 s10, s10, -1
	s_wait_xcnt 0x0
	s_add_nc_u64 s[6:7], s[6:7], -8
	s_cmp_lg_u32 s10, 0
	s_delay_alu instid0(VALU_DEP_1) | instskip(SKIP_1) | instid1(VALU_DEP_1)
	v_sub_nc_u64_e32 v[8:9], v[8:9], v[12:13]
	s_wait_kmcnt 0x0
	v_mad_nc_u64_u32 v[0:1], v8, s8, v[0:1]
	s_delay_alu instid0(VALU_DEP_1) | instskip(NEXT) | instid1(VALU_DEP_1)
	v_mad_u32 v1, v9, s8, v1
	v_mad_u32 v1, v8, s9, v1
	v_mov_b64_e32 v[8:9], v[10:11]
	s_cbranch_scc0 .LBB94_2713
.LBB94_2706:                            ; =>This Inner Loop Header: Depth=1
	s_load_b64 s[8:9], s[6:7], 0x0
                                        ; implicit-def: $vgpr10_vgpr11
	s_mov_b32 s0, exec_lo
	s_wait_kmcnt 0x0
	s_delay_alu instid0(VALU_DEP_1) | instskip(NEXT) | instid1(VALU_DEP_1)
	v_or_b32_e32 v3, s9, v9
	v_cmpx_ne_u64_e32 0, v[2:3]
	s_xor_b32 s17, exec_lo, s0
	s_cbranch_execz .LBB94_2708
; %bb.2707:                             ;   in Loop: Header=BB94_2706 Depth=1
	s_ashr_i32 s12, s9, 31
	v_dual_mov_b32 v15, v2 :: v_dual_ashrrev_i32 v10, 31, v9
	s_mov_b32 s13, s12
	v_mov_b32_e32 v23, v2
	s_add_nc_u64 s[14:15], s[8:9], s[12:13]
	s_delay_alu instid0(VALU_DEP_2) | instskip(SKIP_1) | instid1(SALU_CYCLE_1)
	v_mov_b32_e32 v11, v10
	s_xor_b64 s[14:15], s[14:15], s[12:13]
	s_cvt_f32_u32 s0, s14
	s_cvt_f32_u32 s13, s15
	s_sub_nc_u64 s[24:25], 0, s[14:15]
	v_add_nc_u64_e32 v[12:13], v[8:9], v[10:11]
	v_mov_b32_e32 v19, v2
	s_fmamk_f32 s0, s13, 0x4f800000, s0
	s_delay_alu instid0(SALU_CYCLE_3) | instskip(NEXT) | instid1(VALU_DEP_2)
	v_s_rcp_f32 s0, s0
	v_xor_b32_e32 v14, v12, v10
	s_delay_alu instid0(VALU_DEP_3) | instskip(NEXT) | instid1(TRANS32_DEP_1)
	v_xor_b32_e32 v18, v13, v10
	s_mul_f32 s0, s0, 0x5f7ffffc
	s_delay_alu instid0(SALU_CYCLE_3) | instskip(NEXT) | instid1(SALU_CYCLE_3)
	s_mul_f32 s13, s0, 0x2f800000
	s_trunc_f32 s13, s13
	s_delay_alu instid0(SALU_CYCLE_3) | instskip(SKIP_1) | instid1(SALU_CYCLE_2)
	s_fmamk_f32 s0, s13, 0xcf800000, s0
	s_cvt_u32_f32 s19, s13
	s_cvt_u32_f32 s18, s0
	s_delay_alu instid0(SALU_CYCLE_3) | instskip(NEXT) | instid1(SALU_CYCLE_1)
	s_mul_u64 s[26:27], s[24:25], s[18:19]
	s_mul_hi_u32 s35, s18, s27
	s_mul_i32 s34, s18, s27
	s_mul_hi_u32 s30, s18, s26
	s_mul_i32 s13, s19, s26
	s_add_nc_u64 s[34:35], s[30:31], s[34:35]
	s_mul_hi_u32 s0, s19, s26
	s_mul_hi_u32 s23, s19, s27
	s_add_co_u32 s13, s34, s13
	s_add_co_ci_u32 s30, s35, s0
	s_mul_i32 s26, s19, s27
	s_add_co_ci_u32 s27, s23, 0
	s_delay_alu instid0(SALU_CYCLE_1) | instskip(NEXT) | instid1(SALU_CYCLE_1)
	s_add_nc_u64 s[26:27], s[30:31], s[26:27]
	s_add_co_u32 s18, s18, s26
	s_cselect_b32 s0, -1, 0
	s_delay_alu instid0(SALU_CYCLE_1) | instskip(SKIP_1) | instid1(SALU_CYCLE_1)
	s_cmp_lg_u32 s0, 0
	s_add_co_ci_u32 s19, s19, s27
	s_mul_u64 s[24:25], s[24:25], s[18:19]
	s_delay_alu instid0(SALU_CYCLE_1)
	s_mul_hi_u32 s27, s18, s25
	s_mul_i32 s26, s18, s25
	s_mul_hi_u32 s30, s18, s24
	s_mul_i32 s13, s19, s24
	s_add_nc_u64 s[26:27], s[30:31], s[26:27]
	s_mul_hi_u32 s0, s19, s24
	s_mul_hi_u32 s23, s19, s25
	s_add_co_u32 s13, s26, s13
	s_add_co_ci_u32 s30, s27, s0
	s_mul_i32 s24, s19, s25
	s_add_co_ci_u32 s25, s23, 0
	s_delay_alu instid0(SALU_CYCLE_1) | instskip(NEXT) | instid1(SALU_CYCLE_1)
	s_add_nc_u64 s[24:25], s[30:31], s[24:25]
	s_add_co_u32 s0, s18, s24
	s_cselect_b32 s13, -1, 0
	v_mul_hi_u32 v22, v14, s0
	s_cmp_lg_u32 s13, 0
	s_add_co_ci_u32 s30, s19, s25
	s_and_b64 s[18:19], s[0:1], s[4:5]
	v_mul_u64_e32 v[16:17], s[30:31], v[14:15]
	v_mul_u64_e32 v[12:13], s[18:19], v[18:19]
	;; [unrolled: 1-line block ×3, first 2 shown]
	s_delay_alu instid0(VALU_DEP_3) | instskip(NEXT) | instid1(VALU_DEP_1)
	v_add_nc_u64_e32 v[16:17], v[22:23], v[16:17]
	v_add_co_u32 v3, vcc_lo, v16, v12
	s_delay_alu instid0(VALU_DEP_2) | instskip(NEXT) | instid1(VALU_DEP_4)
	v_add_co_ci_u32_e32 v22, vcc_lo, v17, v13, vcc_lo
	v_add_co_ci_u32_e32 v21, vcc_lo, 0, v21, vcc_lo
	s_delay_alu instid0(VALU_DEP_1) | instskip(NEXT) | instid1(VALU_DEP_1)
	v_add_nc_u64_e32 v[12:13], v[22:23], v[20:21]
	v_mul_u64_e32 v[16:17], s[14:15], v[12:13]
	s_delay_alu instid0(VALU_DEP_1) | instskip(NEXT) | instid1(VALU_DEP_2)
	v_sub_nc_u32_e32 v3, v18, v17
	v_sub_co_u32 v11, vcc_lo, v14, v16
	s_delay_alu instid0(VALU_DEP_1) | instskip(NEXT) | instid1(VALU_DEP_3)
	v_sub_co_ci_u32_e64 v18, null, v18, v17, vcc_lo
	v_subrev_co_ci_u32_e64 v3, null, s15, v3, vcc_lo
	s_delay_alu instid0(VALU_DEP_3) | instskip(SKIP_1) | instid1(VALU_DEP_3)
	v_sub_co_u32 v14, s0, v11, s14
	v_add_nc_u64_e32 v[16:17], 1, v[12:13]
	v_subrev_co_ci_u32_e64 v3, null, 0, v3, s0
	s_delay_alu instid0(VALU_DEP_3) | instskip(SKIP_1) | instid1(VALU_DEP_3)
	v_cmp_le_u32_e32 vcc_lo, s14, v14
	v_cndmask_b32_e64 v14, 0, -1, vcc_lo
	v_cmp_le_u32_e32 vcc_lo, s15, v3
	v_cndmask_b32_e64 v15, 0, -1, vcc_lo
	;; [unrolled: 2-line block ×4, first 2 shown]
	v_cmp_eq_u32_e32 vcc_lo, s15, v3
	v_cndmask_b32_e32 v3, v15, v14, vcc_lo
	v_cmp_eq_u32_e32 vcc_lo, s15, v18
	v_add_nc_u64_e32 v[14:15], 2, v[12:13]
	v_cndmask_b32_e32 v11, v19, v11, vcc_lo
	s_delay_alu instid0(VALU_DEP_4) | instskip(NEXT) | instid1(VALU_DEP_2)
	v_cmp_ne_u32_e32 vcc_lo, 0, v3
	v_cmp_ne_u32_e64 s0, 0, v11
	s_delay_alu instid0(VALU_DEP_4) | instskip(NEXT) | instid1(VALU_DEP_1)
	v_dual_cndmask_b32 v3, v17, v15, vcc_lo :: v_dual_cndmask_b32 v11, v16, v14, vcc_lo
	v_dual_cndmask_b32 v3, v13, v3, s0 :: v_dual_bitop2_b32 v10, s12, v10 bitop3:0x14
	s_delay_alu instid0(VALU_DEP_1) | instskip(NEXT) | instid1(VALU_DEP_2)
	v_dual_cndmask_b32 v12, v12, v11, s0 :: v_dual_mov_b32 v11, v10
	v_xor_b32_e32 v13, v3, v10
	s_delay_alu instid0(VALU_DEP_2) | instskip(NEXT) | instid1(VALU_DEP_1)
	v_xor_b32_e32 v12, v12, v10
	v_sub_nc_u64_e32 v[10:11], v[12:13], v[10:11]
.LBB94_2708:                            ;   in Loop: Header=BB94_2706 Depth=1
	s_and_not1_saveexec_b32 s0, s17
	s_cbranch_execz .LBB94_2705
; %bb.2709:                             ;   in Loop: Header=BB94_2706 Depth=1
	v_cvt_f32_u32_e32 v3, s8
	s_sub_co_i32 s12, 0, s8
	s_delay_alu instid0(VALU_DEP_1) | instskip(SKIP_1) | instid1(TRANS32_DEP_1)
	v_rcp_iflag_f32_e32 v3, v3
	v_nop
	v_mul_f32_e32 v3, 0x4f7ffffe, v3
	s_delay_alu instid0(VALU_DEP_1) | instskip(NEXT) | instid1(VALU_DEP_1)
	v_cvt_u32_f32_e32 v3, v3
	v_mul_lo_u32 v10, s12, v3
	s_delay_alu instid0(VALU_DEP_1) | instskip(NEXT) | instid1(VALU_DEP_1)
	v_mul_hi_u32 v10, v3, v10
	v_add_nc_u32_e32 v3, v3, v10
	s_delay_alu instid0(VALU_DEP_1) | instskip(NEXT) | instid1(VALU_DEP_1)
	v_mul_hi_u32 v3, v8, v3
	v_mul_lo_u32 v10, v3, s8
	s_delay_alu instid0(VALU_DEP_1) | instskip(NEXT) | instid1(VALU_DEP_1)
	v_dual_add_nc_u32 v11, 1, v3 :: v_dual_sub_nc_u32 v10, v8, v10
	v_subrev_nc_u32_e32 v12, s8, v10
	v_cmp_le_u32_e32 vcc_lo, s8, v10
	s_delay_alu instid0(VALU_DEP_2) | instskip(NEXT) | instid1(VALU_DEP_1)
	v_dual_cndmask_b32 v10, v10, v12 :: v_dual_cndmask_b32 v3, v3, v11
	v_cmp_le_u32_e32 vcc_lo, s8, v10
	s_delay_alu instid0(VALU_DEP_2) | instskip(NEXT) | instid1(VALU_DEP_1)
	v_add_nc_u32_e32 v11, 1, v3
	v_dual_cndmask_b32 v10, v3, v11 :: v_dual_mov_b32 v11, v2
	s_branch .LBB94_2705
.LBB94_2710:
	s_or_b32 exec_lo, exec_lo, s4
	s_and_saveexec_b32 s4, s56
	s_cbranch_execnz .LBB94_2763
.LBB94_2711:
	s_or_b32 exec_lo, exec_lo, s4
	s_and_saveexec_b32 s4, s7
	s_delay_alu instid0(SALU_CYCLE_1)
	s_xor_b32 s4, exec_lo, s4
	s_cbranch_execz .LBB94_2764
.LBB94_2712:
	s_wait_loadcnt 0x0
	v_mov_b32_e32 v2, 0
	global_store_b8 v[0:1], v2, off
	s_wait_xcnt 0x0
	s_or_b32 exec_lo, exec_lo, s4
	s_and_saveexec_b32 s4, s6
	s_delay_alu instid0(SALU_CYCLE_1)
	s_xor_b32 s4, exec_lo, s4
	s_cbranch_execz .LBB94_2802
	s_branch .LBB94_2765
.LBB94_2713:
	s_mov_b32 s4, s59
	s_mov_b32 s0, exec_lo
	v_cmpx_gt_i64_e64 v[6:7], v[4:5]
	s_cbranch_execz .LBB94_2720
; %bb.2714:
	s_delay_alu instid0(VALU_DEP_2) | instskip(SKIP_2) | instid1(VALU_DEP_1)
	v_lshlrev_b64_e32 v[0:1], 3, v[0:1]
	s_mov_b32 s4, 0
	s_xor_b32 s6, s11, -1
                                        ; implicit-def: $sgpr5
                                        ; implicit-def: $sgpr8
                                        ; implicit-def: $sgpr7
	v_lshl_add_u64 v[2:3], v[4:5], 3, v[0:1]
	v_add_nc_u64_e32 v[4:5], s[20:21], v[0:1]
	s_delay_alu instid0(VALU_DEP_2) | instskip(NEXT) | instid1(VALU_DEP_1)
	v_add_nc_u64_e32 v[2:3], s[20:21], v[2:3]
	v_add_nc_u64_e32 v[0:1], 8, v[2:3]
	s_delay_alu instid0(VALU_DEP_3)
	v_lshl_add_u64 v[2:3], v[6:7], 3, v[4:5]
	s_branch .LBB94_2716
.LBB94_2715:                            ;   in Loop: Header=BB94_2716 Depth=1
	s_or_b32 exec_lo, exec_lo, s9
	s_xor_b32 s9, s7, -1
	s_and_b32 s10, exec_lo, s8
	s_delay_alu instid0(SALU_CYCLE_1) | instskip(SKIP_2) | instid1(SALU_CYCLE_1)
	s_or_b32 s4, s10, s4
	s_and_not1_b32 s5, s5, exec_lo
	s_and_b32 s9, s9, exec_lo
	s_or_b32 s5, s5, s9
	s_and_not1_b32 exec_lo, exec_lo, s4
	s_cbranch_execz .LBB94_2719
.LBB94_2716:                            ; =>This Inner Loop Header: Depth=1
	s_or_b32 s7, s7, exec_lo
	s_or_b32 s8, s8, exec_lo
	s_mov_b32 s9, exec_lo
	s_delay_alu instid0(VALU_DEP_2)
	v_cmpx_lt_u64_e64 v[0:1], v[2:3]
	s_cbranch_execz .LBB94_2715
; %bb.2717:                             ;   in Loop: Header=BB94_2716 Depth=1
	global_load_b128 v[4:7], v[0:1], off offset:-8
	s_wait_xcnt 0x0
	v_add_nc_u64_e32 v[0:1], 8, v[0:1]
	s_and_not1_b32 s8, s8, exec_lo
	s_and_not1_b32 s7, s7, exec_lo
	s_wait_loadcnt 0x0
	v_cmp_ge_i64_e32 vcc_lo, v[4:5], v[6:7]
	s_or_b32 s10, s6, vcc_lo
	s_delay_alu instid0(SALU_CYCLE_1) | instskip(NEXT) | instid1(SALU_CYCLE_1)
	s_and_b32 s10, s10, exec_lo
	s_or_b32 s8, s8, s10
	s_branch .LBB94_2715
.LBB94_2718:
	s_mov_b32 s8, 0
	s_mov_b32 s7, -1
	s_mov_b32 s5, s56
	s_branch .LBB94_2762
.LBB94_2719:
	s_or_b32 exec_lo, exec_lo, s4
	s_delay_alu instid0(SALU_CYCLE_1) | instskip(SKIP_1) | instid1(SALU_CYCLE_1)
	s_and_not1_b32 s4, s59, exec_lo
	s_and_b32 s5, s5, exec_lo
	s_or_b32 s4, s4, s5
.LBB94_2720:
	s_or_b32 exec_lo, exec_lo, s0
	s_delay_alu instid0(SALU_CYCLE_1)
	s_and_not1_b32 s0, s59, exec_lo
	s_and_b32 s4, s4, exec_lo
	s_mov_b32 s5, exec_lo
	s_or_b32 s59, s0, s4
	s_or_b32 exec_lo, exec_lo, s16
	s_and_saveexec_b32 s0, s59
	s_cbranch_execz .LBB94_2693
.LBB94_2721:
	s_or_b32 s1, s1, exec_lo
	s_and_not1_b32 s5, s5, exec_lo
	s_trap 2
	s_branch .LBB94_2693
.LBB94_2722:
	s_or_b32 s1, s1, exec_lo
	s_and_not1_b32 s0, s0, exec_lo
	s_trap 2
	s_branch .LBB94_2686
.LBB94_2723:
	s_or_b32 s1, s1, exec_lo
	s_and_not1_b32 s13, s13, exec_lo
	s_trap 2
	s_branch .LBB94_2689
.LBB94_2724:
	s_mov_b32 s7, 0
.LBB94_2725:
	s_delay_alu instid0(SALU_CYCLE_1)
	s_and_b32 vcc_lo, exec_lo, s7
	s_cbranch_vccz .LBB94_2728
; %bb.2726:
	s_cmp_eq_u32 s6, 44
	s_mov_b32 s5, -1
	s_cbranch_scc0 .LBB94_2728
; %bb.2727:
	s_wait_xcnt 0x0
	v_mov_b32_e32 v2, 0
	s_mov_b32 s5, 0
	s_mov_b32 s7, 0
	global_store_b8 v[0:1], v2, off
	s_branch .LBB94_2729
.LBB94_2728:
	s_mov_b32 s7, 0
.LBB94_2729:
	s_delay_alu instid0(SALU_CYCLE_1)
	s_and_b32 vcc_lo, exec_lo, s7
	s_cbranch_vccz .LBB94_2732
; %bb.2730:
	s_cmp_eq_u32 s6, 29
	s_mov_b32 s5, -1
	s_cbranch_scc0 .LBB94_2732
; %bb.2731:
	s_wait_xcnt 0x0
	v_mov_b64_e32 v[2:3], 0
	s_mov_b32 s5, 0
	s_mov_b32 s7, 0
	global_store_b64 v[0:1], v[2:3], off
	s_branch .LBB94_2733
.LBB94_2732:
	s_mov_b32 s7, 0
.LBB94_2733:
	s_delay_alu instid0(SALU_CYCLE_1)
	s_and_b32 vcc_lo, exec_lo, s7
	s_cbranch_vccz .LBB94_2742
; %bb.2734:
	s_cmp_lt_i32 s6, 27
	s_mov_b32 s7, -1
	s_cbranch_scc1 .LBB94_2740
; %bb.2735:
	s_cmp_gt_i32 s6, 27
	s_cbranch_scc0 .LBB94_2737
; %bb.2736:
	s_wait_xcnt 0x0
	v_mov_b32_e32 v2, 0
	s_mov_b32 s7, 0
	global_store_b32 v[0:1], v2, off
.LBB94_2737:
	s_and_not1_b32 vcc_lo, exec_lo, s7
	s_cbranch_vccnz .LBB94_2739
; %bb.2738:
	s_wait_xcnt 0x0
	v_mov_b32_e32 v2, 0
	global_store_b16 v[0:1], v2, off
.LBB94_2739:
	s_mov_b32 s7, 0
.LBB94_2740:
	s_delay_alu instid0(SALU_CYCLE_1)
	s_and_not1_b32 vcc_lo, exec_lo, s7
	s_cbranch_vccnz .LBB94_2742
; %bb.2741:
	s_wait_xcnt 0x0
	v_mov_b32_e32 v2, 0
	global_store_b8 v[0:1], v2, off
.LBB94_2742:
	s_mov_b32 s7, 0
.LBB94_2743:
	s_delay_alu instid0(SALU_CYCLE_1)
	s_and_b32 vcc_lo, exec_lo, s7
	s_mov_b32 s7, 0
	s_cbranch_vccz .LBB94_2761
; %bb.2744:
	s_cmp_gt_i32 s6, 22
	s_mov_b32 s8, -1
	s_cbranch_scc0 .LBB94_2754
; %bb.2745:
	s_cmp_lt_i32 s6, 24
	s_cbranch_scc1 .LBB94_2751
; %bb.2746:
	s_cmp_gt_i32 s6, 24
	s_cbranch_scc0 .LBB94_2748
; %bb.2747:
	s_wait_xcnt 0x0
	v_mov_b32_e32 v2, 0
	s_mov_b32 s8, 0
	global_store_b8 v[0:1], v2, off
.LBB94_2748:
	s_and_not1_b32 vcc_lo, exec_lo, s8
	s_cbranch_vccnz .LBB94_2750
; %bb.2749:
	s_wait_xcnt 0x0
	v_mov_b32_e32 v2, 0
	global_store_b8 v[0:1], v2, off
.LBB94_2750:
	s_mov_b32 s8, 0
.LBB94_2751:
	s_delay_alu instid0(SALU_CYCLE_1)
	s_and_not1_b32 vcc_lo, exec_lo, s8
	s_cbranch_vccnz .LBB94_2753
; %bb.2752:
	s_wait_xcnt 0x0
	v_mov_b32_e32 v2, 0
	global_store_b8 v[0:1], v2, off
.LBB94_2753:
	s_mov_b32 s8, 0
.LBB94_2754:
	s_delay_alu instid0(SALU_CYCLE_1)
	s_and_not1_b32 vcc_lo, exec_lo, s8
	s_mov_b32 s8, 0
	s_cbranch_vccnz .LBB94_2762
; %bb.2755:
	s_cmp_gt_i32 s6, 14
	s_mov_b32 s8, -1
	s_cbranch_scc0 .LBB94_2759
; %bb.2756:
	s_cmp_eq_u32 s6, 15
	s_mov_b32 s5, -1
	s_cbranch_scc0 .LBB94_2758
; %bb.2757:
	s_wait_xcnt 0x0
	v_mov_b32_e32 v2, 0
	s_mov_b32 s5, 0
	global_store_b16 v[0:1], v2, off
.LBB94_2758:
	s_mov_b32 s8, 0
.LBB94_2759:
	s_delay_alu instid0(SALU_CYCLE_1)
	s_and_b32 vcc_lo, exec_lo, s8
	s_mov_b32 s8, 0
	s_cbranch_vccz .LBB94_2762
; %bb.2760:
	s_cmp_lg_u32 s6, 11
	s_mov_b32 s8, -1
	s_cselect_b32 s6, -1, 0
	s_and_not1_b32 s5, s5, exec_lo
	s_and_b32 s6, s6, exec_lo
	s_delay_alu instid0(SALU_CYCLE_1)
	s_or_b32 s5, s5, s6
	s_branch .LBB94_2762
.LBB94_2761:
	s_mov_b32 s8, 0
.LBB94_2762:
	s_and_not1_b32 s9, s56, exec_lo
	s_and_b32 s5, s5, exec_lo
	s_and_b32 s6, s7, exec_lo
	;; [unrolled: 1-line block ×3, first 2 shown]
	s_or_b32 s56, s9, s5
	s_wait_xcnt 0x0
	s_or_b32 exec_lo, exec_lo, s4
	s_and_saveexec_b32 s4, s56
	s_cbranch_execz .LBB94_2711
.LBB94_2763:
	s_or_b32 s1, s1, exec_lo
	s_and_not1_b32 s7, s7, exec_lo
	s_trap 2
	s_or_b32 exec_lo, exec_lo, s4
	s_and_saveexec_b32 s4, s7
	s_delay_alu instid0(SALU_CYCLE_1)
	s_xor_b32 s4, exec_lo, s4
	s_cbranch_execnz .LBB94_2712
.LBB94_2764:
	s_or_b32 exec_lo, exec_lo, s4
	s_and_saveexec_b32 s4, s6
	s_delay_alu instid0(SALU_CYCLE_1)
	s_xor_b32 s4, exec_lo, s4
	s_cbranch_execz .LBB94_2802
.LBB94_2765:
	s_sext_i32_i16 s6, s0
	s_mov_b32 s5, -1
	s_cmp_lt_i32 s6, 5
	s_cbranch_scc1 .LBB94_2786
; %bb.2766:
	s_cmp_lt_i32 s6, 8
	s_cbranch_scc1 .LBB94_2776
; %bb.2767:
	;; [unrolled: 3-line block ×3, first 2 shown]
	s_cmp_gt_i32 s6, 9
	s_cbranch_scc0 .LBB94_2770
; %bb.2769:
	s_wait_loadcnt 0x0
	v_mov_b32_e32 v2, 0
	s_mov_b32 s5, 0
	s_delay_alu instid0(VALU_DEP_1)
	v_dual_mov_b32 v3, v2 :: v_dual_mov_b32 v4, v2
	v_mov_b32_e32 v5, v2
	global_store_b128 v[0:1], v[2:5], off
.LBB94_2770:
	s_and_not1_b32 vcc_lo, exec_lo, s5
	s_cbranch_vccnz .LBB94_2772
; %bb.2771:
	s_wait_loadcnt 0x0
	v_mov_b64_e32 v[2:3], 0
	global_store_b64 v[0:1], v[2:3], off
.LBB94_2772:
	s_mov_b32 s5, 0
.LBB94_2773:
	s_delay_alu instid0(SALU_CYCLE_1)
	s_and_not1_b32 vcc_lo, exec_lo, s5
	s_cbranch_vccnz .LBB94_2775
; %bb.2774:
	s_wait_loadcnt 0x0
	v_mov_b32_e32 v2, 0
	global_store_b32 v[0:1], v2, off
.LBB94_2775:
	s_mov_b32 s5, 0
.LBB94_2776:
	s_delay_alu instid0(SALU_CYCLE_1)
	s_and_not1_b32 vcc_lo, exec_lo, s5
	s_cbranch_vccnz .LBB94_2785
; %bb.2777:
	s_sext_i32_i16 s6, s0
	s_mov_b32 s5, -1
	s_cmp_lt_i32 s6, 6
	s_cbranch_scc1 .LBB94_2783
; %bb.2778:
	s_cmp_gt_i32 s6, 6
	s_cbranch_scc0 .LBB94_2780
; %bb.2779:
	s_wait_loadcnt 0x0
	v_mov_b64_e32 v[2:3], 0
	s_mov_b32 s5, 0
	global_store_b64 v[0:1], v[2:3], off
.LBB94_2780:
	s_and_not1_b32 vcc_lo, exec_lo, s5
	s_cbranch_vccnz .LBB94_2782
; %bb.2781:
	s_wait_loadcnt 0x0
	v_mov_b32_e32 v2, 0
	global_store_b32 v[0:1], v2, off
.LBB94_2782:
	s_mov_b32 s5, 0
.LBB94_2783:
	s_delay_alu instid0(SALU_CYCLE_1)
	s_and_not1_b32 vcc_lo, exec_lo, s5
	s_cbranch_vccnz .LBB94_2785
; %bb.2784:
	s_wait_loadcnt 0x0
	v_mov_b32_e32 v2, 0
	global_store_b16 v[0:1], v2, off
.LBB94_2785:
	s_mov_b32 s5, 0
.LBB94_2786:
	s_delay_alu instid0(SALU_CYCLE_1)
	s_and_not1_b32 vcc_lo, exec_lo, s5
	s_cbranch_vccnz .LBB94_2802
; %bb.2787:
	s_sext_i32_i16 s6, s0
	s_mov_b32 s5, -1
	s_cmp_lt_i32 s6, 2
	s_cbranch_scc1 .LBB94_2797
; %bb.2788:
	s_cmp_lt_i32 s6, 3
	s_cbranch_scc1 .LBB94_2794
; %bb.2789:
	s_cmp_gt_i32 s6, 3
	s_cbranch_scc0 .LBB94_2791
; %bb.2790:
	s_wait_loadcnt 0x0
	v_mov_b64_e32 v[2:3], 0
	s_mov_b32 s5, 0
	global_store_b64 v[0:1], v[2:3], off
.LBB94_2791:
	s_and_not1_b32 vcc_lo, exec_lo, s5
	s_cbranch_vccnz .LBB94_2793
; %bb.2792:
	s_wait_loadcnt 0x0
	v_mov_b32_e32 v2, 0
	global_store_b32 v[0:1], v2, off
.LBB94_2793:
	s_mov_b32 s5, 0
.LBB94_2794:
	s_delay_alu instid0(SALU_CYCLE_1)
	s_and_not1_b32 vcc_lo, exec_lo, s5
	s_cbranch_vccnz .LBB94_2796
; %bb.2795:
	s_wait_loadcnt 0x0
	v_mov_b32_e32 v2, 0
	global_store_b16 v[0:1], v2, off
.LBB94_2796:
	s_mov_b32 s5, 0
.LBB94_2797:
	s_delay_alu instid0(SALU_CYCLE_1)
	s_and_not1_b32 vcc_lo, exec_lo, s5
	s_cbranch_vccnz .LBB94_2802
; %bb.2798:
	s_sext_i32_i16 s0, s0
	s_delay_alu instid0(SALU_CYCLE_1)
	s_cmp_gt_i32 s0, 0
	s_mov_b32 s0, -1
	s_cbranch_scc0 .LBB94_2800
; %bb.2799:
	s_wait_loadcnt 0x0
	v_mov_b32_e32 v2, 0
	s_mov_b32 s0, 0
	global_store_b8 v[0:1], v2, off
.LBB94_2800:
	s_and_not1_b32 vcc_lo, exec_lo, s0
	s_cbranch_vccnz .LBB94_2802
; %bb.2801:
	s_wait_loadcnt 0x0
	v_mov_b32_e32 v2, 0
	global_store_b8 v[0:1], v2, off
.LBB94_2802:
	s_wait_xcnt 0x0
	s_or_b32 exec_lo, exec_lo, s4
	s_delay_alu instid0(SALU_CYCLE_1)
	s_and_b32 s34, s1, exec_lo
                                        ; implicit-def: $vgpr26
.LBB94_2803:
	s_or_saveexec_b32 s35, s49
	s_mov_b32 s4, 0
                                        ; implicit-def: $vgpr20_vgpr21
                                        ; implicit-def: $sgpr0
	s_xor_b32 exec_lo, exec_lo, s35
	s_cbranch_execz .LBB94_3436
; %bb.2804:
	s_wait_loadcnt 0x0
	v_mov_b32_e32 v0, 0
	s_clause 0x1
	s_load_b32 s55, s[28:29], 0x34
	s_load_b64 s[6:7], s[28:29], 0x8
	global_load_u8 v4, v0, s[28:29] offset:241
	s_wait_kmcnt 0x0
	v_mul_lo_u32 v0, s55, v26
	s_delay_alu instid0(VALU_DEP_1) | instskip(SKIP_3) | instid1(VALU_DEP_2)
	v_ashrrev_i32_e32 v1, 31, v0
	s_wait_loadcnt 0x0
	v_and_b32_e32 v2, 0xffff, v4
	v_readfirstlane_b32 s30, v4
	v_cmp_gt_i32_e32 vcc_lo, 11, v2
	v_add_nc_u64_e32 v[2:3], s[6:7], v[0:1]
	s_cbranch_vccnz .LBB94_2811
; %bb.2805:
	s_and_b32 s0, 0xffff, s30
	s_delay_alu instid0(SALU_CYCLE_1)
	s_cmp_gt_i32 s0, 25
	s_cbranch_scc0 .LBB94_2813
; %bb.2806:
	s_cmp_gt_i32 s0, 28
	s_cbranch_scc0 .LBB94_2814
; %bb.2807:
	s_cmp_gt_i32 s0, 43
	s_cbranch_scc0 .LBB94_2815
; %bb.2808:
	s_cmp_gt_i32 s0, 45
	s_cbranch_scc0 .LBB94_2816
; %bb.2809:
	s_cmp_eq_u32 s0, 46
	s_mov_b32 s8, 0
	s_cbranch_scc0 .LBB94_2817
; %bb.2810:
	global_load_b32 v0, v[2:3], off
	s_mov_b32 s1, 0
	s_mov_b32 s5, -1
	s_wait_loadcnt 0x0
	v_lshlrev_b32_e32 v0, 16, v0
	s_delay_alu instid0(VALU_DEP_1) | instskip(NEXT) | instid1(VALU_DEP_1)
	v_trunc_f32_e32 v0, v0
	v_mul_f32_e64 v1, 0x2f800000, |v0|
	s_delay_alu instid0(VALU_DEP_1) | instskip(NEXT) | instid1(VALU_DEP_1)
	v_floor_f32_e32 v1, v1
	v_fma_f32 v4, 0xcf800000, v1, |v0|
	v_ashrrev_i32_e32 v0, 31, v0
	v_cvt_u32_f32_e32 v5, v1
	s_delay_alu instid0(VALU_DEP_3) | instskip(NEXT) | instid1(VALU_DEP_2)
	v_cvt_u32_f32_e32 v4, v4
	v_dual_mov_b32 v1, v0 :: v_dual_bitop2_b32 v5, v5, v0 bitop3:0x14
	s_delay_alu instid0(VALU_DEP_2) | instskip(NEXT) | instid1(VALU_DEP_1)
	v_xor_b32_e32 v4, v4, v0
	v_sub_nc_u64_e32 v[0:1], v[4:5], v[0:1]
	s_branch .LBB94_2819
.LBB94_2811:
	s_mov_b32 s5, 0
	s_mov_b32 s36, s34
                                        ; implicit-def: $vgpr0_vgpr1
	s_cbranch_execnz .LBB94_2877
.LBB94_2812:
	s_and_not1_b32 vcc_lo, exec_lo, s5
	s_cbranch_vccz .LBB94_2922
	s_branch .LBB94_3434
.LBB94_2813:
	s_mov_b32 s5, 0
	s_mov_b32 s1, 0
                                        ; implicit-def: $vgpr0_vgpr1
	s_cbranch_execnz .LBB94_2844
	s_branch .LBB94_2873
.LBB94_2814:
	s_mov_b32 s5, 0
	s_mov_b32 s1, 0
                                        ; implicit-def: $vgpr0_vgpr1
	s_cbranch_execz .LBB94_2843
	s_branch .LBB94_2828
.LBB94_2815:
	s_mov_b32 s5, 0
	s_mov_b32 s1, 0
                                        ; implicit-def: $vgpr0_vgpr1
	s_cbranch_execnz .LBB94_2824
	s_branch .LBB94_2827
.LBB94_2816:
	s_mov_b32 s8, -1
	s_mov_b32 s5, 0
	s_mov_b32 s1, 0
	s_branch .LBB94_2818
.LBB94_2817:
	s_mov_b32 s1, -1
	s_mov_b32 s5, 0
.LBB94_2818:
                                        ; implicit-def: $vgpr0_vgpr1
.LBB94_2819:
	s_and_b32 vcc_lo, exec_lo, s8
	s_cbranch_vccz .LBB94_2822
; %bb.2820:
	s_cmp_eq_u32 s0, 44
	s_cbranch_scc0 .LBB94_2823
; %bb.2821:
	global_load_u8 v6, v[2:3], off
	s_mov_b32 s1, 0
	s_mov_b32 s5, -1
	s_wait_loadcnt 0x0
	v_cmp_ne_u32_e32 vcc_lo, 0, v6
	v_lshlrev_b32_e32 v0, 23, v6
	s_delay_alu instid0(VALU_DEP_1) | instskip(NEXT) | instid1(VALU_DEP_1)
	v_trunc_f32_e32 v0, v0
	v_mul_f32_e64 v1, 0x2f800000, |v0|
	s_delay_alu instid0(VALU_DEP_1) | instskip(NEXT) | instid1(VALU_DEP_1)
	v_floor_f32_e32 v1, v1
	v_fma_f32 v4, 0xcf800000, v1, |v0|
	v_ashrrev_i32_e32 v0, 31, v0
	v_cvt_u32_f32_e32 v5, v1
	s_delay_alu instid0(VALU_DEP_3) | instskip(NEXT) | instid1(VALU_DEP_2)
	v_cvt_u32_f32_e32 v4, v4
	v_dual_mov_b32 v1, v0 :: v_dual_bitop2_b32 v5, v5, v0 bitop3:0x14
	s_delay_alu instid0(VALU_DEP_2) | instskip(NEXT) | instid1(VALU_DEP_1)
	v_xor_b32_e32 v4, v4, v0
	v_sub_nc_u64_e32 v[0:1], v[4:5], v[0:1]
	s_delay_alu instid0(VALU_DEP_1)
	v_dual_cndmask_b32 v1, 0, v1 :: v_dual_cndmask_b32 v0, 0, v0
.LBB94_2822:
	s_branch .LBB94_2827
.LBB94_2823:
	s_mov_b32 s1, -1
                                        ; implicit-def: $vgpr0_vgpr1
	s_branch .LBB94_2827
.LBB94_2824:
	s_cmp_eq_u32 s0, 29
	s_cbranch_scc0 .LBB94_2826
; %bb.2825:
	global_load_b64 v[0:1], v[2:3], off
	s_mov_b32 s1, 0
	s_mov_b32 s5, -1
	s_branch .LBB94_2827
.LBB94_2826:
	s_mov_b32 s1, -1
                                        ; implicit-def: $vgpr0_vgpr1
.LBB94_2827:
	s_branch .LBB94_2843
.LBB94_2828:
	s_cmp_lt_i32 s0, 27
	s_cbranch_scc1 .LBB94_2831
; %bb.2829:
	s_cmp_gt_i32 s0, 27
	s_cbranch_scc0 .LBB94_2832
; %bb.2830:
	s_wait_loadcnt 0x0
	global_load_b32 v0, v[2:3], off
	v_mov_b32_e32 v1, 0
	s_mov_b32 s5, 0
	s_branch .LBB94_2833
.LBB94_2831:
	s_mov_b32 s5, -1
                                        ; implicit-def: $vgpr0_vgpr1
	s_branch .LBB94_2836
.LBB94_2832:
	s_mov_b32 s5, -1
                                        ; implicit-def: $vgpr0_vgpr1
.LBB94_2833:
	s_delay_alu instid0(SALU_CYCLE_1)
	s_and_not1_b32 vcc_lo, exec_lo, s5
	s_cbranch_vccnz .LBB94_2835
; %bb.2834:
	s_wait_loadcnt 0x0
	global_load_u16 v0, v[2:3], off
	s_mov_b32 s5, 0
	s_delay_alu instid0(SALU_CYCLE_1)
	v_mov_b32_e32 v1, s5
	s_wait_loadcnt 0x0
	v_and_b32_e32 v0, 0xffff, v0
.LBB94_2835:
	s_mov_b32 s5, 0
.LBB94_2836:
	s_delay_alu instid0(SALU_CYCLE_1)
	s_and_not1_b32 vcc_lo, exec_lo, s5
	s_cbranch_vccnz .LBB94_2842
; %bb.2837:
	global_load_u8 v4, v[2:3], off
	s_mov_b32 s8, 0
	s_mov_b32 s5, exec_lo
	s_wait_loadcnt 0x0
	v_cmpx_lt_i16_e32 0x7f, v4
	s_xor_b32 s5, exec_lo, s5
	s_cbranch_execz .LBB94_2853
; %bb.2838:
	v_cmp_ne_u16_e32 vcc_lo, 0x80, v4
	s_and_b32 s8, vcc_lo, exec_lo
	s_and_not1_saveexec_b32 s5, s5
	s_cbranch_execnz .LBB94_2854
.LBB94_2839:
	s_or_b32 exec_lo, exec_lo, s5
	v_mov_b64_e32 v[0:1], 0
	s_and_saveexec_b32 s5, s8
	s_cbranch_execz .LBB94_2841
.LBB94_2840:
	v_and_b32_e32 v0, 0xffff, v4
	s_delay_alu instid0(VALU_DEP_1) | instskip(SKIP_1) | instid1(VALU_DEP_2)
	v_and_b32_e32 v1, 7, v0
	v_bfe_u32 v7, v0, 3, 4
	v_clz_i32_u32_e32 v5, v1
	s_delay_alu instid0(VALU_DEP_2) | instskip(NEXT) | instid1(VALU_DEP_2)
	v_cmp_eq_u32_e32 vcc_lo, 0, v7
	v_min_u32_e32 v5, 32, v5
	s_delay_alu instid0(VALU_DEP_1) | instskip(NEXT) | instid1(VALU_DEP_1)
	v_subrev_nc_u32_e32 v6, 28, v5
	v_dual_lshlrev_b32 v0, v6, v0 :: v_dual_sub_nc_u32 v5, 29, v5
	s_delay_alu instid0(VALU_DEP_1) | instskip(NEXT) | instid1(VALU_DEP_2)
	v_and_b32_e32 v0, 7, v0
	v_dual_cndmask_b32 v5, v7, v5 :: v_dual_lshlrev_b32 v4, 24, v4
	s_delay_alu instid0(VALU_DEP_2) | instskip(NEXT) | instid1(VALU_DEP_2)
	v_cndmask_b32_e32 v0, v1, v0, vcc_lo
	v_and_b32_e32 v1, 0x80000000, v4
	s_delay_alu instid0(VALU_DEP_3) | instskip(NEXT) | instid1(VALU_DEP_3)
	v_lshl_add_u32 v4, v5, 23, 0x3b800000
	v_lshlrev_b32_e32 v0, 20, v0
	s_delay_alu instid0(VALU_DEP_1) | instskip(NEXT) | instid1(VALU_DEP_1)
	v_or3_b32 v0, v1, v4, v0
	v_trunc_f32_e32 v0, v0
	s_delay_alu instid0(VALU_DEP_1) | instskip(NEXT) | instid1(VALU_DEP_1)
	v_mul_f32_e64 v1, 0x2f800000, |v0|
	v_floor_f32_e32 v1, v1
	s_delay_alu instid0(VALU_DEP_1) | instskip(SKIP_2) | instid1(VALU_DEP_3)
	v_fma_f32 v4, 0xcf800000, v1, |v0|
	v_ashrrev_i32_e32 v0, 31, v0
	v_cvt_u32_f32_e32 v5, v1
	v_cvt_u32_f32_e32 v4, v4
	s_delay_alu instid0(VALU_DEP_2) | instskip(NEXT) | instid1(VALU_DEP_2)
	v_dual_mov_b32 v1, v0 :: v_dual_bitop2_b32 v5, v5, v0 bitop3:0x14
	v_xor_b32_e32 v4, v4, v0
	s_delay_alu instid0(VALU_DEP_1)
	v_sub_nc_u64_e32 v[0:1], v[4:5], v[0:1]
.LBB94_2841:
	s_or_b32 exec_lo, exec_lo, s5
.LBB94_2842:
	s_mov_b32 s5, -1
.LBB94_2843:
	s_branch .LBB94_2873
.LBB94_2844:
	s_cmp_gt_i32 s0, 22
	s_cbranch_scc0 .LBB94_2852
; %bb.2845:
	s_cmp_lt_i32 s0, 24
	s_cbranch_scc1 .LBB94_2855
; %bb.2846:
	s_cmp_gt_i32 s0, 24
	s_cbranch_scc0 .LBB94_2856
; %bb.2847:
	global_load_u8 v4, v[2:3], off
	s_mov_b32 s5, 0
	s_mov_b32 s4, exec_lo
	s_wait_loadcnt 0x0
	v_cmpx_lt_i16_e32 0x7f, v4
	s_xor_b32 s4, exec_lo, s4
	s_cbranch_execz .LBB94_2867
; %bb.2848:
	v_cmp_ne_u16_e32 vcc_lo, 0x80, v4
	s_and_b32 s5, vcc_lo, exec_lo
	s_and_not1_saveexec_b32 s4, s4
	s_cbranch_execnz .LBB94_2868
.LBB94_2849:
	s_or_b32 exec_lo, exec_lo, s4
	v_mov_b64_e32 v[0:1], 0
	s_and_saveexec_b32 s4, s5
	s_cbranch_execz .LBB94_2851
.LBB94_2850:
	v_and_b32_e32 v0, 0xffff, v4
	s_delay_alu instid0(VALU_DEP_1) | instskip(SKIP_1) | instid1(VALU_DEP_2)
	v_and_b32_e32 v1, 3, v0
	v_bfe_u32 v7, v0, 2, 5
	v_clz_i32_u32_e32 v5, v1
	s_delay_alu instid0(VALU_DEP_2) | instskip(NEXT) | instid1(VALU_DEP_2)
	v_cmp_eq_u32_e32 vcc_lo, 0, v7
	v_min_u32_e32 v5, 32, v5
	s_delay_alu instid0(VALU_DEP_1) | instskip(NEXT) | instid1(VALU_DEP_1)
	v_subrev_nc_u32_e32 v6, 29, v5
	v_dual_lshlrev_b32 v0, v6, v0 :: v_dual_sub_nc_u32 v5, 30, v5
	s_delay_alu instid0(VALU_DEP_1) | instskip(NEXT) | instid1(VALU_DEP_2)
	v_and_b32_e32 v0, 3, v0
	v_dual_cndmask_b32 v5, v7, v5 :: v_dual_lshlrev_b32 v4, 24, v4
	s_delay_alu instid0(VALU_DEP_2) | instskip(NEXT) | instid1(VALU_DEP_2)
	v_cndmask_b32_e32 v0, v1, v0, vcc_lo
	v_and_b32_e32 v1, 0x80000000, v4
	s_delay_alu instid0(VALU_DEP_3) | instskip(NEXT) | instid1(VALU_DEP_3)
	v_lshl_add_u32 v4, v5, 23, 0x37800000
	v_lshlrev_b32_e32 v0, 21, v0
	s_delay_alu instid0(VALU_DEP_1) | instskip(NEXT) | instid1(VALU_DEP_1)
	v_or3_b32 v0, v1, v4, v0
	v_trunc_f32_e32 v0, v0
	s_delay_alu instid0(VALU_DEP_1) | instskip(NEXT) | instid1(VALU_DEP_1)
	v_mul_f32_e64 v1, 0x2f800000, |v0|
	v_floor_f32_e32 v1, v1
	s_delay_alu instid0(VALU_DEP_1) | instskip(SKIP_2) | instid1(VALU_DEP_3)
	v_fma_f32 v4, 0xcf800000, v1, |v0|
	v_ashrrev_i32_e32 v0, 31, v0
	v_cvt_u32_f32_e32 v5, v1
	v_cvt_u32_f32_e32 v4, v4
	s_delay_alu instid0(VALU_DEP_2) | instskip(NEXT) | instid1(VALU_DEP_2)
	v_dual_mov_b32 v1, v0 :: v_dual_bitop2_b32 v5, v5, v0 bitop3:0x14
	v_xor_b32_e32 v4, v4, v0
	s_delay_alu instid0(VALU_DEP_1)
	v_sub_nc_u64_e32 v[0:1], v[4:5], v[0:1]
.LBB94_2851:
	s_or_b32 exec_lo, exec_lo, s4
	s_mov_b32 s4, 0
	s_branch .LBB94_2857
.LBB94_2852:
                                        ; implicit-def: $vgpr0_vgpr1
	s_mov_b32 s4, 0
	s_branch .LBB94_2863
.LBB94_2853:
	s_and_not1_saveexec_b32 s5, s5
	s_cbranch_execz .LBB94_2839
.LBB94_2854:
	v_cmp_ne_u16_e32 vcc_lo, 0, v4
	s_and_not1_b32 s8, s8, exec_lo
	s_and_b32 s9, vcc_lo, exec_lo
	s_delay_alu instid0(SALU_CYCLE_1)
	s_or_b32 s8, s8, s9
	s_or_b32 exec_lo, exec_lo, s5
	v_mov_b64_e32 v[0:1], 0
	s_and_saveexec_b32 s5, s8
	s_cbranch_execnz .LBB94_2840
	s_branch .LBB94_2841
.LBB94_2855:
	s_mov_b32 s4, -1
                                        ; implicit-def: $vgpr0_vgpr1
	s_branch .LBB94_2860
.LBB94_2856:
	s_mov_b32 s4, -1
                                        ; implicit-def: $vgpr0_vgpr1
.LBB94_2857:
	s_delay_alu instid0(SALU_CYCLE_1)
	s_and_b32 vcc_lo, exec_lo, s4
	s_cbranch_vccz .LBB94_2859
; %bb.2858:
	s_wait_loadcnt 0x0
	global_load_u8 v0, v[2:3], off
	s_wait_loadcnt 0x0
	v_lshlrev_b32_e32 v0, 24, v0
	s_delay_alu instid0(VALU_DEP_1) | instskip(NEXT) | instid1(VALU_DEP_1)
	v_and_b32_e32 v1, 0x7f000000, v0
	v_clz_i32_u32_e32 v4, v1
	v_cmp_ne_u32_e32 vcc_lo, 0, v1
	v_add_nc_u32_e32 v6, 0x1000000, v1
	s_delay_alu instid0(VALU_DEP_3) | instskip(NEXT) | instid1(VALU_DEP_1)
	v_min_u32_e32 v4, 32, v4
	v_sub_nc_u32_e64 v4, v4, 4 clamp
	s_delay_alu instid0(VALU_DEP_1) | instskip(NEXT) | instid1(VALU_DEP_1)
	v_dual_lshlrev_b32 v5, v4, v1 :: v_dual_lshlrev_b32 v4, 23, v4
	v_lshrrev_b32_e32 v5, 4, v5
	s_delay_alu instid0(VALU_DEP_1) | instskip(NEXT) | instid1(VALU_DEP_1)
	v_dual_sub_nc_u32 v4, v5, v4 :: v_dual_ashrrev_i32 v5, 8, v6
	v_add_nc_u32_e32 v4, 0x3c000000, v4
	s_delay_alu instid0(VALU_DEP_1) | instskip(NEXT) | instid1(VALU_DEP_1)
	v_and_or_b32 v4, 0x7f800000, v5, v4
	v_cndmask_b32_e32 v1, 0, v4, vcc_lo
	s_delay_alu instid0(VALU_DEP_1) | instskip(NEXT) | instid1(VALU_DEP_1)
	v_and_or_b32 v0, 0x80000000, v0, v1
	v_trunc_f32_e32 v0, v0
	s_delay_alu instid0(VALU_DEP_1) | instskip(NEXT) | instid1(VALU_DEP_1)
	v_mul_f32_e64 v1, 0x2f800000, |v0|
	v_floor_f32_e32 v1, v1
	s_delay_alu instid0(VALU_DEP_1) | instskip(SKIP_2) | instid1(VALU_DEP_3)
	v_fma_f32 v4, 0xcf800000, v1, |v0|
	v_ashrrev_i32_e32 v0, 31, v0
	v_cvt_u32_f32_e32 v5, v1
	v_cvt_u32_f32_e32 v4, v4
	s_delay_alu instid0(VALU_DEP_2) | instskip(NEXT) | instid1(VALU_DEP_2)
	v_dual_mov_b32 v1, v0 :: v_dual_bitop2_b32 v5, v5, v0 bitop3:0x14
	v_xor_b32_e32 v4, v4, v0
	s_delay_alu instid0(VALU_DEP_1)
	v_sub_nc_u64_e32 v[0:1], v[4:5], v[0:1]
.LBB94_2859:
	s_mov_b32 s4, 0
.LBB94_2860:
	s_delay_alu instid0(SALU_CYCLE_1)
	s_and_not1_b32 vcc_lo, exec_lo, s4
	s_cbranch_vccnz .LBB94_2862
; %bb.2861:
	s_wait_loadcnt 0x0
	global_load_u8 v0, v[2:3], off
	s_wait_loadcnt 0x0
	v_lshlrev_b32_e32 v1, 25, v0
	v_lshlrev_b16 v0, 8, v0
	s_delay_alu instid0(VALU_DEP_1) | instskip(SKIP_1) | instid1(VALU_DEP_2)
	v_and_or_b32 v5, 0x7f00, v0, 0.5
	v_bfe_i32 v0, v0, 0, 16
	v_add_f32_e32 v5, -0.5, v5
	v_lshrrev_b32_e32 v4, 4, v1
	v_cmp_gt_u32_e32 vcc_lo, 0x8000000, v1
	s_delay_alu instid0(VALU_DEP_2) | instskip(NEXT) | instid1(VALU_DEP_1)
	v_or_b32_e32 v4, 0x70000000, v4
	v_mul_f32_e32 v4, 0x7800000, v4
	s_delay_alu instid0(VALU_DEP_1) | instskip(NEXT) | instid1(VALU_DEP_1)
	v_cndmask_b32_e32 v1, v4, v5, vcc_lo
	v_and_or_b32 v0, 0x80000000, v0, v1
	s_delay_alu instid0(VALU_DEP_1) | instskip(NEXT) | instid1(VALU_DEP_1)
	v_trunc_f32_e32 v0, v0
	v_mul_f32_e64 v1, 0x2f800000, |v0|
	s_delay_alu instid0(VALU_DEP_1) | instskip(NEXT) | instid1(VALU_DEP_1)
	v_floor_f32_e32 v1, v1
	v_fma_f32 v4, 0xcf800000, v1, |v0|
	v_ashrrev_i32_e32 v0, 31, v0
	v_cvt_u32_f32_e32 v5, v1
	s_delay_alu instid0(VALU_DEP_3) | instskip(NEXT) | instid1(VALU_DEP_2)
	v_cvt_u32_f32_e32 v4, v4
	v_dual_mov_b32 v1, v0 :: v_dual_bitop2_b32 v5, v5, v0 bitop3:0x14
	s_delay_alu instid0(VALU_DEP_2) | instskip(NEXT) | instid1(VALU_DEP_1)
	v_xor_b32_e32 v4, v4, v0
	v_sub_nc_u64_e32 v[0:1], v[4:5], v[0:1]
.LBB94_2862:
	s_mov_b32 s5, -1
	s_mov_b32 s4, 0
	s_cbranch_execnz .LBB94_2873
.LBB94_2863:
	s_cmp_gt_i32 s0, 14
	s_cbranch_scc0 .LBB94_2866
; %bb.2864:
	s_cmp_eq_u32 s0, 15
	s_cbranch_scc0 .LBB94_2869
; %bb.2865:
	s_wait_loadcnt 0x0
	global_load_u16 v0, v[2:3], off
	s_mov_b32 s1, 0
	s_mov_b32 s5, -1
	s_wait_loadcnt 0x0
	v_lshlrev_b32_e32 v0, 16, v0
	s_delay_alu instid0(VALU_DEP_1) | instskip(NEXT) | instid1(VALU_DEP_1)
	v_trunc_f32_e32 v0, v0
	v_mul_f32_e64 v1, 0x2f800000, |v0|
	s_delay_alu instid0(VALU_DEP_1) | instskip(NEXT) | instid1(VALU_DEP_1)
	v_floor_f32_e32 v1, v1
	v_fma_f32 v4, 0xcf800000, v1, |v0|
	v_ashrrev_i32_e32 v0, 31, v0
	v_cvt_u32_f32_e32 v5, v1
	s_delay_alu instid0(VALU_DEP_3) | instskip(NEXT) | instid1(VALU_DEP_2)
	v_cvt_u32_f32_e32 v4, v4
	v_dual_mov_b32 v1, v0 :: v_dual_bitop2_b32 v5, v5, v0 bitop3:0x14
	s_delay_alu instid0(VALU_DEP_2) | instskip(NEXT) | instid1(VALU_DEP_1)
	v_xor_b32_e32 v4, v4, v0
	v_sub_nc_u64_e32 v[0:1], v[4:5], v[0:1]
	s_branch .LBB94_2871
.LBB94_2866:
	s_mov_b32 s4, -1
	s_branch .LBB94_2870
.LBB94_2867:
	s_and_not1_saveexec_b32 s4, s4
	s_cbranch_execz .LBB94_2849
.LBB94_2868:
	v_cmp_ne_u16_e32 vcc_lo, 0, v4
	s_and_not1_b32 s5, s5, exec_lo
	s_and_b32 s8, vcc_lo, exec_lo
	s_delay_alu instid0(SALU_CYCLE_1)
	s_or_b32 s5, s5, s8
	s_or_b32 exec_lo, exec_lo, s4
	v_mov_b64_e32 v[0:1], 0
	s_and_saveexec_b32 s4, s5
	s_cbranch_execnz .LBB94_2850
	s_branch .LBB94_2851
.LBB94_2869:
	s_mov_b32 s1, -1
.LBB94_2870:
                                        ; implicit-def: $vgpr0_vgpr1
.LBB94_2871:
	s_and_b32 vcc_lo, exec_lo, s4
	s_mov_b32 s4, 0
	s_cbranch_vccz .LBB94_2873
; %bb.2872:
	s_cmp_lg_u32 s0, 11
	s_mov_b32 s4, -1
	s_cselect_b32 s1, -1, 0
.LBB94_2873:
	s_delay_alu instid0(SALU_CYCLE_1)
	s_and_b32 vcc_lo, exec_lo, s1
	s_mov_b32 s36, s34
	s_cbranch_vccnz .LBB94_2934
; %bb.2874:
	s_and_not1_b32 vcc_lo, exec_lo, s4
	s_cbranch_vccnz .LBB94_2876
.LBB94_2875:
	s_wait_loadcnt 0x0
	global_load_u8 v0, v[2:3], off
	s_mov_b32 s0, 0
	s_mov_b32 s5, -1
	v_mov_b32_e32 v1, s0
	s_wait_loadcnt 0x0
	v_cmp_ne_u16_e32 vcc_lo, 0, v0
	v_cndmask_b32_e64 v0, 0, 1, vcc_lo
.LBB94_2876:
	s_branch .LBB94_2812
.LBB94_2877:
	s_and_b32 s0, 0xffff, s30
	s_delay_alu instid0(SALU_CYCLE_1)
	s_cmp_lt_i32 s0, 5
	s_cbranch_scc1 .LBB94_2882
; %bb.2878:
	s_cmp_lt_i32 s0, 8
	s_cbranch_scc1 .LBB94_2883
; %bb.2879:
	;; [unrolled: 3-line block ×3, first 2 shown]
	s_cmp_gt_i32 s0, 9
	s_cbranch_scc0 .LBB94_2885
; %bb.2881:
	s_wait_loadcnt 0x0
	global_load_b64 v[0:1], v[2:3], off
	s_mov_b32 s1, 0
	s_wait_loadcnt 0x0
	v_trunc_f64_e32 v[0:1], v[0:1]
	s_delay_alu instid0(VALU_DEP_1) | instskip(NEXT) | instid1(VALU_DEP_1)
	v_ldexp_f64 v[4:5], v[0:1], 0xffffffe0
	v_floor_f64_e32 v[4:5], v[4:5]
	s_delay_alu instid0(VALU_DEP_1) | instskip(SKIP_1) | instid1(VALU_DEP_2)
	v_fmamk_f64 v[6:7], v[4:5], 0xc1f00000, v[0:1]
	v_cvt_i32_f64_e32 v1, v[4:5]
	v_cvt_u32_f64_e32 v0, v[6:7]
	s_branch .LBB94_2886
.LBB94_2882:
                                        ; implicit-def: $vgpr0_vgpr1
	s_branch .LBB94_2903
.LBB94_2883:
                                        ; implicit-def: $vgpr0_vgpr1
	s_branch .LBB94_2892
.LBB94_2884:
	s_mov_b32 s1, -1
                                        ; implicit-def: $vgpr0_vgpr1
	s_branch .LBB94_2889
.LBB94_2885:
	s_mov_b32 s1, -1
                                        ; implicit-def: $vgpr0_vgpr1
.LBB94_2886:
	s_delay_alu instid0(SALU_CYCLE_1)
	s_and_not1_b32 vcc_lo, exec_lo, s1
	s_cbranch_vccnz .LBB94_2888
; %bb.2887:
	s_wait_loadcnt 0x0
	global_load_b32 v0, v[2:3], off
	s_wait_loadcnt 0x0
	v_trunc_f32_e32 v0, v0
	s_delay_alu instid0(VALU_DEP_1) | instskip(NEXT) | instid1(VALU_DEP_1)
	v_mul_f32_e64 v1, 0x2f800000, |v0|
	v_floor_f32_e32 v1, v1
	s_delay_alu instid0(VALU_DEP_1) | instskip(SKIP_2) | instid1(VALU_DEP_3)
	v_fma_f32 v4, 0xcf800000, v1, |v0|
	v_ashrrev_i32_e32 v0, 31, v0
	v_cvt_u32_f32_e32 v5, v1
	v_cvt_u32_f32_e32 v4, v4
	s_delay_alu instid0(VALU_DEP_2) | instskip(NEXT) | instid1(VALU_DEP_2)
	v_dual_mov_b32 v1, v0 :: v_dual_bitop2_b32 v5, v5, v0 bitop3:0x14
	v_xor_b32_e32 v4, v4, v0
	s_delay_alu instid0(VALU_DEP_1)
	v_sub_nc_u64_e32 v[0:1], v[4:5], v[0:1]
.LBB94_2888:
	s_mov_b32 s1, 0
.LBB94_2889:
	s_delay_alu instid0(SALU_CYCLE_1)
	s_and_not1_b32 vcc_lo, exec_lo, s1
	s_cbranch_vccnz .LBB94_2891
; %bb.2890:
	s_wait_loadcnt 0x0
	global_load_b32 v0, v[2:3], off
	s_wait_loadcnt 0x0
	v_cvt_f32_f16_e32 v0, v0
	s_delay_alu instid0(VALU_DEP_1) | instskip(NEXT) | instid1(VALU_DEP_1)
	v_cvt_i32_f32_e32 v0, v0
	v_ashrrev_i32_e32 v1, 31, v0
.LBB94_2891:
	s_cbranch_execnz .LBB94_2902
.LBB94_2892:
	s_cmp_lt_i32 s0, 6
	s_cbranch_scc1 .LBB94_2895
; %bb.2893:
	s_cmp_gt_i32 s0, 6
	s_cbranch_scc0 .LBB94_2896
; %bb.2894:
	s_wait_loadcnt 0x0
	global_load_b64 v[0:1], v[2:3], off
	s_mov_b32 s1, 0
	s_wait_loadcnt 0x0
	v_trunc_f64_e32 v[0:1], v[0:1]
	s_delay_alu instid0(VALU_DEP_1) | instskip(NEXT) | instid1(VALU_DEP_1)
	v_ldexp_f64 v[4:5], v[0:1], 0xffffffe0
	v_floor_f64_e32 v[4:5], v[4:5]
	s_delay_alu instid0(VALU_DEP_1) | instskip(SKIP_1) | instid1(VALU_DEP_2)
	v_fmamk_f64 v[6:7], v[4:5], 0xc1f00000, v[0:1]
	v_cvt_i32_f64_e32 v1, v[4:5]
	v_cvt_u32_f64_e32 v0, v[6:7]
	s_branch .LBB94_2897
.LBB94_2895:
	s_mov_b32 s1, -1
                                        ; implicit-def: $vgpr0_vgpr1
	s_branch .LBB94_2900
.LBB94_2896:
	s_mov_b32 s1, -1
                                        ; implicit-def: $vgpr0_vgpr1
.LBB94_2897:
	s_delay_alu instid0(SALU_CYCLE_1)
	s_and_not1_b32 vcc_lo, exec_lo, s1
	s_cbranch_vccnz .LBB94_2899
; %bb.2898:
	s_wait_loadcnt 0x0
	global_load_b32 v0, v[2:3], off
	s_wait_loadcnt 0x0
	v_trunc_f32_e32 v0, v0
	s_delay_alu instid0(VALU_DEP_1) | instskip(NEXT) | instid1(VALU_DEP_1)
	v_mul_f32_e64 v1, 0x2f800000, |v0|
	v_floor_f32_e32 v1, v1
	s_delay_alu instid0(VALU_DEP_1) | instskip(SKIP_2) | instid1(VALU_DEP_3)
	v_fma_f32 v4, 0xcf800000, v1, |v0|
	v_ashrrev_i32_e32 v0, 31, v0
	v_cvt_u32_f32_e32 v5, v1
	v_cvt_u32_f32_e32 v4, v4
	s_delay_alu instid0(VALU_DEP_2) | instskip(NEXT) | instid1(VALU_DEP_2)
	v_dual_mov_b32 v1, v0 :: v_dual_bitop2_b32 v5, v5, v0 bitop3:0x14
	v_xor_b32_e32 v4, v4, v0
	s_delay_alu instid0(VALU_DEP_1)
	v_sub_nc_u64_e32 v[0:1], v[4:5], v[0:1]
.LBB94_2899:
	s_mov_b32 s1, 0
.LBB94_2900:
	s_delay_alu instid0(SALU_CYCLE_1)
	s_and_not1_b32 vcc_lo, exec_lo, s1
	s_cbranch_vccnz .LBB94_2902
; %bb.2901:
	s_wait_loadcnt 0x0
	global_load_u16 v0, v[2:3], off
	s_wait_loadcnt 0x0
	v_cvt_f32_f16_e32 v0, v0
	s_delay_alu instid0(VALU_DEP_1) | instskip(NEXT) | instid1(VALU_DEP_1)
	v_cvt_i32_f32_e32 v0, v0
	v_ashrrev_i32_e32 v1, 31, v0
.LBB94_2902:
	s_cbranch_execnz .LBB94_2921
.LBB94_2903:
	s_cmp_lt_i32 s0, 2
	s_cbranch_scc1 .LBB94_2907
; %bb.2904:
	s_cmp_lt_i32 s0, 3
	s_cbranch_scc1 .LBB94_2908
; %bb.2905:
	s_cmp_gt_i32 s0, 3
	s_cbranch_scc0 .LBB94_2909
; %bb.2906:
	s_wait_loadcnt 0x0
	global_load_b64 v[0:1], v[2:3], off
	s_mov_b32 s1, 0
	s_branch .LBB94_2910
.LBB94_2907:
                                        ; implicit-def: $vgpr0_vgpr1
	s_branch .LBB94_2916
.LBB94_2908:
	s_mov_b32 s1, -1
                                        ; implicit-def: $vgpr0_vgpr1
	s_branch .LBB94_2913
.LBB94_2909:
	s_mov_b32 s1, -1
                                        ; implicit-def: $vgpr0_vgpr1
.LBB94_2910:
	s_delay_alu instid0(SALU_CYCLE_1)
	s_and_not1_b32 vcc_lo, exec_lo, s1
	s_cbranch_vccnz .LBB94_2912
; %bb.2911:
	s_wait_loadcnt 0x0
	global_load_b32 v0, v[2:3], off
	s_wait_loadcnt 0x0
	v_ashrrev_i32_e32 v1, 31, v0
.LBB94_2912:
	s_mov_b32 s1, 0
.LBB94_2913:
	s_delay_alu instid0(SALU_CYCLE_1)
	s_and_not1_b32 vcc_lo, exec_lo, s1
	s_cbranch_vccnz .LBB94_2915
; %bb.2914:
	s_wait_loadcnt 0x0
	global_load_u16 v0, v[2:3], off
	s_wait_loadcnt 0x0
	v_bfe_i32 v0, v0, 0, 16
	s_delay_alu instid0(VALU_DEP_1)
	v_ashrrev_i32_e32 v1, 31, v0
.LBB94_2915:
	s_cbranch_execnz .LBB94_2921
.LBB94_2916:
	s_cmp_gt_i32 s0, 0
	s_mov_b32 s0, 0
	s_cbranch_scc0 .LBB94_2918
; %bb.2917:
	s_wait_loadcnt 0x0
	global_load_i8 v0, v[2:3], off
	s_wait_loadcnt 0x0
	v_bfe_i32 v0, v0, 0, 16
	s_delay_alu instid0(VALU_DEP_1)
	v_ashrrev_i32_e32 v1, 31, v0
	s_branch .LBB94_2919
.LBB94_2918:
	s_mov_b32 s0, -1
                                        ; implicit-def: $vgpr0_vgpr1
.LBB94_2919:
	s_delay_alu instid0(SALU_CYCLE_1)
	s_and_not1_b32 vcc_lo, exec_lo, s0
	s_cbranch_vccnz .LBB94_2921
; %bb.2920:
	s_wait_loadcnt 0x0
	global_load_u8 v0, v[2:3], off
	s_mov_b32 s0, 0
	s_delay_alu instid0(SALU_CYCLE_1)
	v_mov_b32_e32 v1, s0
	s_wait_loadcnt 0x0
	v_and_b32_e32 v0, 0xffff, v0
.LBB94_2921:
.LBB94_2922:
	s_wait_xcnt 0x0
	v_mov_b32_e32 v2, 0
	s_clause 0x1
	s_load_b32 s61, s[28:29], 0x38
	s_load_b64 s[8:9], s[28:29], 0x10
	global_load_u8 v6, v2, s[28:29] offset:242
	s_wait_kmcnt 0x0
	v_mul_lo_u32 v2, s61, v26
	s_delay_alu instid0(VALU_DEP_1) | instskip(SKIP_3) | instid1(VALU_DEP_2)
	v_ashrrev_i32_e32 v3, 31, v2
	s_wait_loadcnt 0x0
	v_and_b32_e32 v4, 0xffff, v6
	v_readfirstlane_b32 s31, v6
	v_cmp_gt_i32_e32 vcc_lo, 11, v4
	v_add_nc_u64_e32 v[4:5], s[8:9], v[2:3]
	s_cbranch_vccnz .LBB94_2929
; %bb.2923:
	s_and_b32 s0, 0xffff, s31
	s_mov_b32 s4, 0
	s_cmp_gt_i32 s0, 25
	s_cbranch_scc0 .LBB94_2931
; %bb.2924:
	s_cmp_gt_i32 s0, 28
	s_cbranch_scc0 .LBB94_2932
; %bb.2925:
	;; [unrolled: 3-line block ×4, first 2 shown]
	s_cmp_eq_u32 s0, 46
	s_mov_b32 s10, 0
	s_cbranch_scc0 .LBB94_2936
; %bb.2928:
	global_load_b32 v2, v[4:5], off
	s_mov_b32 s1, 0
	s_mov_b32 s5, -1
	s_wait_loadcnt 0x0
	v_lshlrev_b32_e32 v2, 16, v2
	s_delay_alu instid0(VALU_DEP_1) | instskip(NEXT) | instid1(VALU_DEP_1)
	v_trunc_f32_e32 v2, v2
	v_mul_f32_e64 v3, 0x2f800000, |v2|
	s_delay_alu instid0(VALU_DEP_1) | instskip(NEXT) | instid1(VALU_DEP_1)
	v_floor_f32_e32 v3, v3
	v_fma_f32 v6, 0xcf800000, v3, |v2|
	v_ashrrev_i32_e32 v2, 31, v2
	v_cvt_u32_f32_e32 v7, v3
	s_delay_alu instid0(VALU_DEP_3) | instskip(NEXT) | instid1(VALU_DEP_2)
	v_cvt_u32_f32_e32 v6, v6
	v_dual_mov_b32 v3, v2 :: v_dual_bitop2_b32 v7, v7, v2 bitop3:0x14
	s_delay_alu instid0(VALU_DEP_2) | instskip(NEXT) | instid1(VALU_DEP_1)
	v_xor_b32_e32 v6, v6, v2
	v_sub_nc_u64_e32 v[2:3], v[6:7], v[2:3]
	s_branch .LBB94_2938
.LBB94_2929:
	s_mov_b32 s5, 0
                                        ; implicit-def: $vgpr2_vgpr3
	s_cbranch_execnz .LBB94_2999
.LBB94_2930:
	s_and_not1_b32 vcc_lo, exec_lo, s5
	s_cbranch_vccnz .LBB94_3434
	s_branch .LBB94_3046
.LBB94_2931:
	s_mov_b32 s5, 0
	s_mov_b32 s1, 0
                                        ; implicit-def: $vgpr2_vgpr3
	s_cbranch_execnz .LBB94_2965
	s_branch .LBB94_2995
.LBB94_2932:
	s_mov_b32 s10, -1
	s_mov_b32 s5, 0
	s_mov_b32 s1, 0
                                        ; implicit-def: $vgpr2_vgpr3
	s_branch .LBB94_2948
.LBB94_2933:
	s_mov_b32 s10, -1
	s_mov_b32 s5, 0
	s_mov_b32 s1, 0
                                        ; implicit-def: $vgpr2_vgpr3
	s_branch .LBB94_2943
.LBB94_2934:
	s_or_b32 s36, s34, exec_lo
	s_trap 2
	s_cbranch_execz .LBB94_2875
	s_branch .LBB94_2876
.LBB94_2935:
	s_mov_b32 s10, -1
	s_mov_b32 s5, 0
	s_mov_b32 s1, 0
	s_branch .LBB94_2937
.LBB94_2936:
	s_mov_b32 s1, -1
	s_mov_b32 s5, 0
.LBB94_2937:
                                        ; implicit-def: $vgpr2_vgpr3
.LBB94_2938:
	s_and_b32 vcc_lo, exec_lo, s10
	s_cbranch_vccz .LBB94_2942
; %bb.2939:
	s_cmp_eq_u32 s0, 44
	s_cbranch_scc0 .LBB94_2941
; %bb.2940:
	global_load_u8 v8, v[4:5], off
	s_mov_b32 s1, 0
	s_mov_b32 s5, -1
	s_wait_loadcnt 0x0
	v_cmp_ne_u32_e32 vcc_lo, 0, v8
	v_lshlrev_b32_e32 v2, 23, v8
	s_delay_alu instid0(VALU_DEP_1) | instskip(NEXT) | instid1(VALU_DEP_1)
	v_trunc_f32_e32 v2, v2
	v_mul_f32_e64 v3, 0x2f800000, |v2|
	s_delay_alu instid0(VALU_DEP_1) | instskip(NEXT) | instid1(VALU_DEP_1)
	v_floor_f32_e32 v3, v3
	v_fma_f32 v6, 0xcf800000, v3, |v2|
	v_ashrrev_i32_e32 v2, 31, v2
	v_cvt_u32_f32_e32 v7, v3
	s_delay_alu instid0(VALU_DEP_3) | instskip(NEXT) | instid1(VALU_DEP_2)
	v_cvt_u32_f32_e32 v6, v6
	v_dual_mov_b32 v3, v2 :: v_dual_bitop2_b32 v7, v7, v2 bitop3:0x14
	s_delay_alu instid0(VALU_DEP_2) | instskip(NEXT) | instid1(VALU_DEP_1)
	v_xor_b32_e32 v6, v6, v2
	v_sub_nc_u64_e32 v[2:3], v[6:7], v[2:3]
	s_delay_alu instid0(VALU_DEP_1)
	v_dual_cndmask_b32 v3, 0, v3 :: v_dual_cndmask_b32 v2, 0, v2
	s_branch .LBB94_2942
.LBB94_2941:
	s_mov_b32 s1, -1
                                        ; implicit-def: $vgpr2_vgpr3
.LBB94_2942:
	s_mov_b32 s10, 0
.LBB94_2943:
	s_delay_alu instid0(SALU_CYCLE_1)
	s_and_b32 vcc_lo, exec_lo, s10
	s_cbranch_vccz .LBB94_2947
; %bb.2944:
	s_cmp_eq_u32 s0, 29
	s_cbranch_scc0 .LBB94_2946
; %bb.2945:
	global_load_b64 v[2:3], v[4:5], off
	s_mov_b32 s1, 0
	s_mov_b32 s5, -1
	s_branch .LBB94_2947
.LBB94_2946:
	s_mov_b32 s1, -1
                                        ; implicit-def: $vgpr2_vgpr3
.LBB94_2947:
	s_mov_b32 s10, 0
.LBB94_2948:
	s_delay_alu instid0(SALU_CYCLE_1)
	s_and_b32 vcc_lo, exec_lo, s10
	s_cbranch_vccz .LBB94_2964
; %bb.2949:
	s_cmp_lt_i32 s0, 27
	s_cbranch_scc1 .LBB94_2952
; %bb.2950:
	s_cmp_gt_i32 s0, 27
	s_cbranch_scc0 .LBB94_2953
; %bb.2951:
	s_wait_loadcnt 0x0
	global_load_b32 v2, v[4:5], off
	v_mov_b32_e32 v3, 0
	s_mov_b32 s5, 0
	s_branch .LBB94_2954
.LBB94_2952:
	s_mov_b32 s5, -1
                                        ; implicit-def: $vgpr2_vgpr3
	s_branch .LBB94_2957
.LBB94_2953:
	s_mov_b32 s5, -1
                                        ; implicit-def: $vgpr2_vgpr3
.LBB94_2954:
	s_delay_alu instid0(SALU_CYCLE_1)
	s_and_not1_b32 vcc_lo, exec_lo, s5
	s_cbranch_vccnz .LBB94_2956
; %bb.2955:
	s_wait_loadcnt 0x0
	global_load_u16 v2, v[4:5], off
	s_mov_b32 s5, 0
	s_delay_alu instid0(SALU_CYCLE_1)
	v_mov_b32_e32 v3, s5
	s_wait_loadcnt 0x0
	v_and_b32_e32 v2, 0xffff, v2
.LBB94_2956:
	s_mov_b32 s5, 0
.LBB94_2957:
	s_delay_alu instid0(SALU_CYCLE_1)
	s_and_not1_b32 vcc_lo, exec_lo, s5
	s_cbranch_vccnz .LBB94_2963
; %bb.2958:
	global_load_u8 v6, v[4:5], off
	s_mov_b32 s10, 0
	s_mov_b32 s5, exec_lo
	s_wait_loadcnt 0x0
	v_cmpx_lt_i16_e32 0x7f, v6
	s_xor_b32 s5, exec_lo, s5
	s_cbranch_execz .LBB94_2974
; %bb.2959:
	v_cmp_ne_u16_e32 vcc_lo, 0x80, v6
	s_and_b32 s10, vcc_lo, exec_lo
	s_and_not1_saveexec_b32 s5, s5
	s_cbranch_execnz .LBB94_2975
.LBB94_2960:
	s_or_b32 exec_lo, exec_lo, s5
	v_mov_b64_e32 v[2:3], 0
	s_and_saveexec_b32 s5, s10
	s_cbranch_execz .LBB94_2962
.LBB94_2961:
	v_and_b32_e32 v2, 0xffff, v6
	s_delay_alu instid0(VALU_DEP_1) | instskip(SKIP_1) | instid1(VALU_DEP_2)
	v_and_b32_e32 v3, 7, v2
	v_bfe_u32 v9, v2, 3, 4
	v_clz_i32_u32_e32 v7, v3
	s_delay_alu instid0(VALU_DEP_2) | instskip(NEXT) | instid1(VALU_DEP_2)
	v_cmp_eq_u32_e32 vcc_lo, 0, v9
	v_min_u32_e32 v7, 32, v7
	s_delay_alu instid0(VALU_DEP_1) | instskip(NEXT) | instid1(VALU_DEP_1)
	v_subrev_nc_u32_e32 v8, 28, v7
	v_dual_lshlrev_b32 v2, v8, v2 :: v_dual_sub_nc_u32 v7, 29, v7
	s_delay_alu instid0(VALU_DEP_1) | instskip(NEXT) | instid1(VALU_DEP_2)
	v_and_b32_e32 v2, 7, v2
	v_dual_cndmask_b32 v7, v9, v7 :: v_dual_lshlrev_b32 v6, 24, v6
	s_delay_alu instid0(VALU_DEP_2) | instskip(NEXT) | instid1(VALU_DEP_2)
	v_cndmask_b32_e32 v2, v3, v2, vcc_lo
	v_and_b32_e32 v3, 0x80000000, v6
	s_delay_alu instid0(VALU_DEP_3) | instskip(NEXT) | instid1(VALU_DEP_3)
	v_lshl_add_u32 v6, v7, 23, 0x3b800000
	v_lshlrev_b32_e32 v2, 20, v2
	s_delay_alu instid0(VALU_DEP_1) | instskip(NEXT) | instid1(VALU_DEP_1)
	v_or3_b32 v2, v3, v6, v2
	v_trunc_f32_e32 v2, v2
	s_delay_alu instid0(VALU_DEP_1) | instskip(NEXT) | instid1(VALU_DEP_1)
	v_mul_f32_e64 v3, 0x2f800000, |v2|
	v_floor_f32_e32 v3, v3
	s_delay_alu instid0(VALU_DEP_1) | instskip(SKIP_2) | instid1(VALU_DEP_3)
	v_fma_f32 v6, 0xcf800000, v3, |v2|
	v_ashrrev_i32_e32 v2, 31, v2
	v_cvt_u32_f32_e32 v7, v3
	v_cvt_u32_f32_e32 v6, v6
	s_delay_alu instid0(VALU_DEP_2) | instskip(NEXT) | instid1(VALU_DEP_2)
	v_dual_mov_b32 v3, v2 :: v_dual_bitop2_b32 v7, v7, v2 bitop3:0x14
	v_xor_b32_e32 v6, v6, v2
	s_delay_alu instid0(VALU_DEP_1)
	v_sub_nc_u64_e32 v[2:3], v[6:7], v[2:3]
.LBB94_2962:
	s_or_b32 exec_lo, exec_lo, s5
.LBB94_2963:
	s_mov_b32 s5, -1
.LBB94_2964:
	s_branch .LBB94_2995
.LBB94_2965:
	s_cmp_gt_i32 s0, 22
	s_cbranch_scc0 .LBB94_2973
; %bb.2966:
	s_cmp_lt_i32 s0, 24
	s_cbranch_scc1 .LBB94_2976
; %bb.2967:
	s_cmp_gt_i32 s0, 24
	s_cbranch_scc0 .LBB94_2977
; %bb.2968:
	global_load_u8 v6, v[4:5], off
	s_mov_b32 s5, 0
	s_mov_b32 s4, exec_lo
	s_wait_loadcnt 0x0
	v_cmpx_lt_i16_e32 0x7f, v6
	s_xor_b32 s4, exec_lo, s4
	s_cbranch_execz .LBB94_2989
; %bb.2969:
	v_cmp_ne_u16_e32 vcc_lo, 0x80, v6
	s_and_b32 s5, vcc_lo, exec_lo
	s_and_not1_saveexec_b32 s4, s4
	s_cbranch_execnz .LBB94_2990
.LBB94_2970:
	s_or_b32 exec_lo, exec_lo, s4
	v_mov_b64_e32 v[2:3], 0
	s_and_saveexec_b32 s4, s5
	s_cbranch_execz .LBB94_2972
.LBB94_2971:
	v_and_b32_e32 v2, 0xffff, v6
	s_delay_alu instid0(VALU_DEP_1) | instskip(SKIP_1) | instid1(VALU_DEP_2)
	v_and_b32_e32 v3, 3, v2
	v_bfe_u32 v9, v2, 2, 5
	v_clz_i32_u32_e32 v7, v3
	s_delay_alu instid0(VALU_DEP_2) | instskip(NEXT) | instid1(VALU_DEP_2)
	v_cmp_eq_u32_e32 vcc_lo, 0, v9
	v_min_u32_e32 v7, 32, v7
	s_delay_alu instid0(VALU_DEP_1) | instskip(NEXT) | instid1(VALU_DEP_1)
	v_subrev_nc_u32_e32 v8, 29, v7
	v_dual_lshlrev_b32 v2, v8, v2 :: v_dual_sub_nc_u32 v7, 30, v7
	s_delay_alu instid0(VALU_DEP_1) | instskip(NEXT) | instid1(VALU_DEP_2)
	v_and_b32_e32 v2, 3, v2
	v_dual_cndmask_b32 v7, v9, v7 :: v_dual_lshlrev_b32 v6, 24, v6
	s_delay_alu instid0(VALU_DEP_2) | instskip(NEXT) | instid1(VALU_DEP_2)
	v_cndmask_b32_e32 v2, v3, v2, vcc_lo
	v_and_b32_e32 v3, 0x80000000, v6
	s_delay_alu instid0(VALU_DEP_3) | instskip(NEXT) | instid1(VALU_DEP_3)
	v_lshl_add_u32 v6, v7, 23, 0x37800000
	v_lshlrev_b32_e32 v2, 21, v2
	s_delay_alu instid0(VALU_DEP_1) | instskip(NEXT) | instid1(VALU_DEP_1)
	v_or3_b32 v2, v3, v6, v2
	v_trunc_f32_e32 v2, v2
	s_delay_alu instid0(VALU_DEP_1) | instskip(NEXT) | instid1(VALU_DEP_1)
	v_mul_f32_e64 v3, 0x2f800000, |v2|
	v_floor_f32_e32 v3, v3
	s_delay_alu instid0(VALU_DEP_1) | instskip(SKIP_2) | instid1(VALU_DEP_3)
	v_fma_f32 v6, 0xcf800000, v3, |v2|
	v_ashrrev_i32_e32 v2, 31, v2
	v_cvt_u32_f32_e32 v7, v3
	v_cvt_u32_f32_e32 v6, v6
	s_delay_alu instid0(VALU_DEP_2) | instskip(NEXT) | instid1(VALU_DEP_2)
	v_dual_mov_b32 v3, v2 :: v_dual_bitop2_b32 v7, v7, v2 bitop3:0x14
	v_xor_b32_e32 v6, v6, v2
	s_delay_alu instid0(VALU_DEP_1)
	v_sub_nc_u64_e32 v[2:3], v[6:7], v[2:3]
.LBB94_2972:
	s_or_b32 exec_lo, exec_lo, s4
	s_mov_b32 s4, 0
	s_branch .LBB94_2978
.LBB94_2973:
	s_mov_b32 s4, -1
                                        ; implicit-def: $vgpr2_vgpr3
	s_branch .LBB94_2984
.LBB94_2974:
	s_and_not1_saveexec_b32 s5, s5
	s_cbranch_execz .LBB94_2960
.LBB94_2975:
	v_cmp_ne_u16_e32 vcc_lo, 0, v6
	s_and_not1_b32 s10, s10, exec_lo
	s_and_b32 s11, vcc_lo, exec_lo
	s_delay_alu instid0(SALU_CYCLE_1)
	s_or_b32 s10, s10, s11
	s_or_b32 exec_lo, exec_lo, s5
	v_mov_b64_e32 v[2:3], 0
	s_and_saveexec_b32 s5, s10
	s_cbranch_execnz .LBB94_2961
	s_branch .LBB94_2962
.LBB94_2976:
	s_mov_b32 s4, -1
                                        ; implicit-def: $vgpr2_vgpr3
	s_branch .LBB94_2981
.LBB94_2977:
	s_mov_b32 s4, -1
                                        ; implicit-def: $vgpr2_vgpr3
.LBB94_2978:
	s_delay_alu instid0(SALU_CYCLE_1)
	s_and_b32 vcc_lo, exec_lo, s4
	s_cbranch_vccz .LBB94_2980
; %bb.2979:
	s_wait_loadcnt 0x0
	global_load_u8 v2, v[4:5], off
	s_wait_loadcnt 0x0
	v_lshlrev_b32_e32 v2, 24, v2
	s_delay_alu instid0(VALU_DEP_1) | instskip(NEXT) | instid1(VALU_DEP_1)
	v_and_b32_e32 v3, 0x7f000000, v2
	v_clz_i32_u32_e32 v6, v3
	v_cmp_ne_u32_e32 vcc_lo, 0, v3
	v_add_nc_u32_e32 v8, 0x1000000, v3
	s_delay_alu instid0(VALU_DEP_3) | instskip(NEXT) | instid1(VALU_DEP_1)
	v_min_u32_e32 v6, 32, v6
	v_sub_nc_u32_e64 v6, v6, 4 clamp
	s_delay_alu instid0(VALU_DEP_1) | instskip(NEXT) | instid1(VALU_DEP_1)
	v_dual_lshlrev_b32 v7, v6, v3 :: v_dual_lshlrev_b32 v6, 23, v6
	v_lshrrev_b32_e32 v7, 4, v7
	s_delay_alu instid0(VALU_DEP_1) | instskip(NEXT) | instid1(VALU_DEP_1)
	v_dual_sub_nc_u32 v6, v7, v6 :: v_dual_ashrrev_i32 v7, 8, v8
	v_add_nc_u32_e32 v6, 0x3c000000, v6
	s_delay_alu instid0(VALU_DEP_1) | instskip(NEXT) | instid1(VALU_DEP_1)
	v_and_or_b32 v6, 0x7f800000, v7, v6
	v_cndmask_b32_e32 v3, 0, v6, vcc_lo
	s_delay_alu instid0(VALU_DEP_1) | instskip(NEXT) | instid1(VALU_DEP_1)
	v_and_or_b32 v2, 0x80000000, v2, v3
	v_trunc_f32_e32 v2, v2
	s_delay_alu instid0(VALU_DEP_1) | instskip(NEXT) | instid1(VALU_DEP_1)
	v_mul_f32_e64 v3, 0x2f800000, |v2|
	v_floor_f32_e32 v3, v3
	s_delay_alu instid0(VALU_DEP_1) | instskip(SKIP_2) | instid1(VALU_DEP_3)
	v_fma_f32 v6, 0xcf800000, v3, |v2|
	v_ashrrev_i32_e32 v2, 31, v2
	v_cvt_u32_f32_e32 v7, v3
	v_cvt_u32_f32_e32 v6, v6
	s_delay_alu instid0(VALU_DEP_2) | instskip(NEXT) | instid1(VALU_DEP_2)
	v_dual_mov_b32 v3, v2 :: v_dual_bitop2_b32 v7, v7, v2 bitop3:0x14
	v_xor_b32_e32 v6, v6, v2
	s_delay_alu instid0(VALU_DEP_1)
	v_sub_nc_u64_e32 v[2:3], v[6:7], v[2:3]
.LBB94_2980:
	s_mov_b32 s4, 0
.LBB94_2981:
	s_delay_alu instid0(SALU_CYCLE_1)
	s_and_not1_b32 vcc_lo, exec_lo, s4
	s_cbranch_vccnz .LBB94_2983
; %bb.2982:
	s_wait_loadcnt 0x0
	global_load_u8 v2, v[4:5], off
	s_wait_loadcnt 0x0
	v_lshlrev_b32_e32 v3, 25, v2
	v_lshlrev_b16 v2, 8, v2
	s_delay_alu instid0(VALU_DEP_1) | instskip(SKIP_1) | instid1(VALU_DEP_2)
	v_and_or_b32 v7, 0x7f00, v2, 0.5
	v_bfe_i32 v2, v2, 0, 16
	v_add_f32_e32 v7, -0.5, v7
	v_lshrrev_b32_e32 v6, 4, v3
	v_cmp_gt_u32_e32 vcc_lo, 0x8000000, v3
	s_delay_alu instid0(VALU_DEP_2) | instskip(NEXT) | instid1(VALU_DEP_1)
	v_or_b32_e32 v6, 0x70000000, v6
	v_mul_f32_e32 v6, 0x7800000, v6
	s_delay_alu instid0(VALU_DEP_1) | instskip(NEXT) | instid1(VALU_DEP_1)
	v_cndmask_b32_e32 v3, v6, v7, vcc_lo
	v_and_or_b32 v2, 0x80000000, v2, v3
	s_delay_alu instid0(VALU_DEP_1) | instskip(NEXT) | instid1(VALU_DEP_1)
	v_trunc_f32_e32 v2, v2
	v_mul_f32_e64 v3, 0x2f800000, |v2|
	s_delay_alu instid0(VALU_DEP_1) | instskip(NEXT) | instid1(VALU_DEP_1)
	v_floor_f32_e32 v3, v3
	v_fma_f32 v6, 0xcf800000, v3, |v2|
	v_ashrrev_i32_e32 v2, 31, v2
	v_cvt_u32_f32_e32 v7, v3
	s_delay_alu instid0(VALU_DEP_3) | instskip(NEXT) | instid1(VALU_DEP_2)
	v_cvt_u32_f32_e32 v6, v6
	v_dual_mov_b32 v3, v2 :: v_dual_bitop2_b32 v7, v7, v2 bitop3:0x14
	s_delay_alu instid0(VALU_DEP_2) | instskip(NEXT) | instid1(VALU_DEP_1)
	v_xor_b32_e32 v6, v6, v2
	v_sub_nc_u64_e32 v[2:3], v[6:7], v[2:3]
.LBB94_2983:
	s_mov_b32 s4, 0
	s_mov_b32 s5, -1
.LBB94_2984:
	s_and_not1_b32 vcc_lo, exec_lo, s4
	s_mov_b32 s4, 0
	s_cbranch_vccnz .LBB94_2995
; %bb.2985:
	s_cmp_gt_i32 s0, 14
	s_cbranch_scc0 .LBB94_2988
; %bb.2986:
	s_cmp_eq_u32 s0, 15
	s_cbranch_scc0 .LBB94_2991
; %bb.2987:
	s_wait_loadcnt 0x0
	global_load_u16 v2, v[4:5], off
	s_mov_b32 s1, 0
	s_mov_b32 s5, -1
	s_wait_loadcnt 0x0
	v_lshlrev_b32_e32 v2, 16, v2
	s_delay_alu instid0(VALU_DEP_1) | instskip(NEXT) | instid1(VALU_DEP_1)
	v_trunc_f32_e32 v2, v2
	v_mul_f32_e64 v3, 0x2f800000, |v2|
	s_delay_alu instid0(VALU_DEP_1) | instskip(NEXT) | instid1(VALU_DEP_1)
	v_floor_f32_e32 v3, v3
	v_fma_f32 v6, 0xcf800000, v3, |v2|
	v_ashrrev_i32_e32 v2, 31, v2
	v_cvt_u32_f32_e32 v7, v3
	s_delay_alu instid0(VALU_DEP_3) | instskip(NEXT) | instid1(VALU_DEP_2)
	v_cvt_u32_f32_e32 v6, v6
	v_dual_mov_b32 v3, v2 :: v_dual_bitop2_b32 v7, v7, v2 bitop3:0x14
	s_delay_alu instid0(VALU_DEP_2) | instskip(NEXT) | instid1(VALU_DEP_1)
	v_xor_b32_e32 v6, v6, v2
	v_sub_nc_u64_e32 v[2:3], v[6:7], v[2:3]
	s_branch .LBB94_2993
.LBB94_2988:
	s_mov_b32 s4, -1
	s_branch .LBB94_2992
.LBB94_2989:
	s_and_not1_saveexec_b32 s4, s4
	s_cbranch_execz .LBB94_2970
.LBB94_2990:
	v_cmp_ne_u16_e32 vcc_lo, 0, v6
	s_and_not1_b32 s5, s5, exec_lo
	s_and_b32 s10, vcc_lo, exec_lo
	s_delay_alu instid0(SALU_CYCLE_1)
	s_or_b32 s5, s5, s10
	s_or_b32 exec_lo, exec_lo, s4
	v_mov_b64_e32 v[2:3], 0
	s_and_saveexec_b32 s4, s5
	s_cbranch_execnz .LBB94_2971
	s_branch .LBB94_2972
.LBB94_2991:
	s_mov_b32 s1, -1
.LBB94_2992:
                                        ; implicit-def: $vgpr2_vgpr3
.LBB94_2993:
	s_and_b32 vcc_lo, exec_lo, s4
	s_mov_b32 s4, 0
	s_cbranch_vccz .LBB94_2995
; %bb.2994:
	s_cmp_lg_u32 s0, 11
	s_mov_b32 s4, -1
	s_cselect_b32 s1, -1, 0
.LBB94_2995:
	s_delay_alu instid0(SALU_CYCLE_1)
	s_and_b32 vcc_lo, exec_lo, s1
	s_cbranch_vccnz .LBB94_3058
; %bb.2996:
	s_and_not1_b32 vcc_lo, exec_lo, s4
	s_cbranch_vccnz .LBB94_2998
.LBB94_2997:
	s_wait_loadcnt 0x0
	global_load_u8 v2, v[4:5], off
	s_mov_b32 s0, 0
	s_mov_b32 s5, -1
	v_mov_b32_e32 v3, s0
	s_wait_loadcnt 0x0
	v_cmp_ne_u16_e32 vcc_lo, 0, v2
	v_cndmask_b32_e64 v2, 0, 1, vcc_lo
.LBB94_2998:
	s_branch .LBB94_2930
.LBB94_2999:
	s_and_b32 s0, 0xffff, s31
	s_delay_alu instid0(SALU_CYCLE_1)
	s_cmp_lt_i32 s0, 5
	s_cbranch_scc1 .LBB94_3004
; %bb.3000:
	s_cmp_lt_i32 s0, 8
	s_cbranch_scc1 .LBB94_3005
; %bb.3001:
	;; [unrolled: 3-line block ×3, first 2 shown]
	s_cmp_gt_i32 s0, 9
	s_cbranch_scc0 .LBB94_3007
; %bb.3003:
	s_wait_loadcnt 0x0
	global_load_b64 v[2:3], v[4:5], off
	s_mov_b32 s1, 0
	s_wait_loadcnt 0x0
	v_trunc_f64_e32 v[2:3], v[2:3]
	s_delay_alu instid0(VALU_DEP_1) | instskip(NEXT) | instid1(VALU_DEP_1)
	v_ldexp_f64 v[6:7], v[2:3], 0xffffffe0
	v_floor_f64_e32 v[6:7], v[6:7]
	s_delay_alu instid0(VALU_DEP_1) | instskip(SKIP_1) | instid1(VALU_DEP_2)
	v_fmamk_f64 v[8:9], v[6:7], 0xc1f00000, v[2:3]
	v_cvt_i32_f64_e32 v3, v[6:7]
	v_cvt_u32_f64_e32 v2, v[8:9]
	s_branch .LBB94_3008
.LBB94_3004:
                                        ; implicit-def: $vgpr2_vgpr3
	s_branch .LBB94_3026
.LBB94_3005:
	s_mov_b32 s1, -1
                                        ; implicit-def: $vgpr2_vgpr3
	s_branch .LBB94_3014
.LBB94_3006:
	s_mov_b32 s1, -1
                                        ; implicit-def: $vgpr2_vgpr3
	s_branch .LBB94_3011
.LBB94_3007:
	s_mov_b32 s1, -1
                                        ; implicit-def: $vgpr2_vgpr3
.LBB94_3008:
	s_delay_alu instid0(SALU_CYCLE_1)
	s_and_not1_b32 vcc_lo, exec_lo, s1
	s_cbranch_vccnz .LBB94_3010
; %bb.3009:
	s_wait_loadcnt 0x0
	global_load_b32 v2, v[4:5], off
	s_wait_loadcnt 0x0
	v_trunc_f32_e32 v2, v2
	s_delay_alu instid0(VALU_DEP_1) | instskip(NEXT) | instid1(VALU_DEP_1)
	v_mul_f32_e64 v3, 0x2f800000, |v2|
	v_floor_f32_e32 v3, v3
	s_delay_alu instid0(VALU_DEP_1) | instskip(SKIP_2) | instid1(VALU_DEP_3)
	v_fma_f32 v6, 0xcf800000, v3, |v2|
	v_ashrrev_i32_e32 v2, 31, v2
	v_cvt_u32_f32_e32 v7, v3
	v_cvt_u32_f32_e32 v6, v6
	s_delay_alu instid0(VALU_DEP_2) | instskip(NEXT) | instid1(VALU_DEP_2)
	v_dual_mov_b32 v3, v2 :: v_dual_bitop2_b32 v7, v7, v2 bitop3:0x14
	v_xor_b32_e32 v6, v6, v2
	s_delay_alu instid0(VALU_DEP_1)
	v_sub_nc_u64_e32 v[2:3], v[6:7], v[2:3]
.LBB94_3010:
	s_mov_b32 s1, 0
.LBB94_3011:
	s_delay_alu instid0(SALU_CYCLE_1)
	s_and_not1_b32 vcc_lo, exec_lo, s1
	s_cbranch_vccnz .LBB94_3013
; %bb.3012:
	s_wait_loadcnt 0x0
	global_load_b32 v2, v[4:5], off
	s_wait_loadcnt 0x0
	v_cvt_f32_f16_e32 v2, v2
	s_delay_alu instid0(VALU_DEP_1) | instskip(NEXT) | instid1(VALU_DEP_1)
	v_cvt_i32_f32_e32 v2, v2
	v_ashrrev_i32_e32 v3, 31, v2
.LBB94_3013:
	s_mov_b32 s1, 0
.LBB94_3014:
	s_delay_alu instid0(SALU_CYCLE_1)
	s_and_not1_b32 vcc_lo, exec_lo, s1
	s_cbranch_vccnz .LBB94_3025
; %bb.3015:
	s_cmp_lt_i32 s0, 6
	s_cbranch_scc1 .LBB94_3018
; %bb.3016:
	s_cmp_gt_i32 s0, 6
	s_cbranch_scc0 .LBB94_3019
; %bb.3017:
	s_wait_loadcnt 0x0
	global_load_b64 v[2:3], v[4:5], off
	s_mov_b32 s1, 0
	s_wait_loadcnt 0x0
	v_trunc_f64_e32 v[2:3], v[2:3]
	s_delay_alu instid0(VALU_DEP_1) | instskip(NEXT) | instid1(VALU_DEP_1)
	v_ldexp_f64 v[6:7], v[2:3], 0xffffffe0
	v_floor_f64_e32 v[6:7], v[6:7]
	s_delay_alu instid0(VALU_DEP_1) | instskip(SKIP_1) | instid1(VALU_DEP_2)
	v_fmamk_f64 v[8:9], v[6:7], 0xc1f00000, v[2:3]
	v_cvt_i32_f64_e32 v3, v[6:7]
	v_cvt_u32_f64_e32 v2, v[8:9]
	s_branch .LBB94_3020
.LBB94_3018:
	s_mov_b32 s1, -1
                                        ; implicit-def: $vgpr2_vgpr3
	s_branch .LBB94_3023
.LBB94_3019:
	s_mov_b32 s1, -1
                                        ; implicit-def: $vgpr2_vgpr3
.LBB94_3020:
	s_delay_alu instid0(SALU_CYCLE_1)
	s_and_not1_b32 vcc_lo, exec_lo, s1
	s_cbranch_vccnz .LBB94_3022
; %bb.3021:
	s_wait_loadcnt 0x0
	global_load_b32 v2, v[4:5], off
	s_wait_loadcnt 0x0
	v_trunc_f32_e32 v2, v2
	s_delay_alu instid0(VALU_DEP_1) | instskip(NEXT) | instid1(VALU_DEP_1)
	v_mul_f32_e64 v3, 0x2f800000, |v2|
	v_floor_f32_e32 v3, v3
	s_delay_alu instid0(VALU_DEP_1) | instskip(SKIP_2) | instid1(VALU_DEP_3)
	v_fma_f32 v6, 0xcf800000, v3, |v2|
	v_ashrrev_i32_e32 v2, 31, v2
	v_cvt_u32_f32_e32 v7, v3
	v_cvt_u32_f32_e32 v6, v6
	s_delay_alu instid0(VALU_DEP_2) | instskip(NEXT) | instid1(VALU_DEP_2)
	v_dual_mov_b32 v3, v2 :: v_dual_bitop2_b32 v7, v7, v2 bitop3:0x14
	v_xor_b32_e32 v6, v6, v2
	s_delay_alu instid0(VALU_DEP_1)
	v_sub_nc_u64_e32 v[2:3], v[6:7], v[2:3]
.LBB94_3022:
	s_mov_b32 s1, 0
.LBB94_3023:
	s_delay_alu instid0(SALU_CYCLE_1)
	s_and_not1_b32 vcc_lo, exec_lo, s1
	s_cbranch_vccnz .LBB94_3025
; %bb.3024:
	s_wait_loadcnt 0x0
	global_load_u16 v2, v[4:5], off
	s_wait_loadcnt 0x0
	v_cvt_f32_f16_e32 v2, v2
	s_delay_alu instid0(VALU_DEP_1) | instskip(NEXT) | instid1(VALU_DEP_1)
	v_cvt_i32_f32_e32 v2, v2
	v_ashrrev_i32_e32 v3, 31, v2
.LBB94_3025:
	s_cbranch_execnz .LBB94_3045
.LBB94_3026:
	s_cmp_lt_i32 s0, 2
	s_cbranch_scc1 .LBB94_3030
; %bb.3027:
	s_cmp_lt_i32 s0, 3
	s_cbranch_scc1 .LBB94_3031
; %bb.3028:
	s_cmp_gt_i32 s0, 3
	s_cbranch_scc0 .LBB94_3032
; %bb.3029:
	s_wait_loadcnt 0x0
	global_load_b64 v[2:3], v[4:5], off
	s_mov_b32 s1, 0
	s_branch .LBB94_3033
.LBB94_3030:
	s_mov_b32 s1, -1
                                        ; implicit-def: $vgpr2_vgpr3
	s_branch .LBB94_3039
.LBB94_3031:
	s_mov_b32 s1, -1
                                        ; implicit-def: $vgpr2_vgpr3
	s_branch .LBB94_3036
.LBB94_3032:
	s_mov_b32 s1, -1
                                        ; implicit-def: $vgpr2_vgpr3
.LBB94_3033:
	s_delay_alu instid0(SALU_CYCLE_1)
	s_and_not1_b32 vcc_lo, exec_lo, s1
	s_cbranch_vccnz .LBB94_3035
; %bb.3034:
	s_wait_loadcnt 0x0
	global_load_b32 v2, v[4:5], off
	s_wait_loadcnt 0x0
	v_ashrrev_i32_e32 v3, 31, v2
.LBB94_3035:
	s_mov_b32 s1, 0
.LBB94_3036:
	s_delay_alu instid0(SALU_CYCLE_1)
	s_and_not1_b32 vcc_lo, exec_lo, s1
	s_cbranch_vccnz .LBB94_3038
; %bb.3037:
	s_wait_loadcnt 0x0
	global_load_u16 v2, v[4:5], off
	s_wait_loadcnt 0x0
	v_bfe_i32 v2, v2, 0, 16
	s_delay_alu instid0(VALU_DEP_1)
	v_ashrrev_i32_e32 v3, 31, v2
.LBB94_3038:
	s_mov_b32 s1, 0
.LBB94_3039:
	s_delay_alu instid0(SALU_CYCLE_1)
	s_and_not1_b32 vcc_lo, exec_lo, s1
	s_cbranch_vccnz .LBB94_3045
; %bb.3040:
	s_cmp_gt_i32 s0, 0
	s_mov_b32 s0, 0
	s_cbranch_scc0 .LBB94_3042
; %bb.3041:
	s_wait_loadcnt 0x0
	global_load_i8 v2, v[4:5], off
	s_wait_loadcnt 0x0
	v_bfe_i32 v2, v2, 0, 16
	s_delay_alu instid0(VALU_DEP_1)
	v_ashrrev_i32_e32 v3, 31, v2
	s_branch .LBB94_3043
.LBB94_3042:
	s_mov_b32 s0, -1
                                        ; implicit-def: $vgpr2_vgpr3
.LBB94_3043:
	s_delay_alu instid0(SALU_CYCLE_1)
	s_and_not1_b32 vcc_lo, exec_lo, s0
	s_cbranch_vccnz .LBB94_3045
; %bb.3044:
	s_wait_loadcnt 0x0
	global_load_u8 v2, v[4:5], off
	s_mov_b32 s0, 0
	s_delay_alu instid0(SALU_CYCLE_1)
	v_mov_b32_e32 v3, s0
	s_wait_loadcnt 0x0
	v_and_b32_e32 v2, 0xffff, v2
.LBB94_3045:
.LBB94_3046:
	s_wait_xcnt 0x0
	v_mov_b32_e32 v4, 0
	s_clause 0x1
	s_load_b32 s48, s[28:29], 0x3c
	s_load_b64 s[10:11], s[28:29], 0x18
	global_load_u8 v8, v4, s[28:29] offset:243
	s_wait_kmcnt 0x0
	v_mul_lo_u32 v4, s48, v26
	s_delay_alu instid0(VALU_DEP_1) | instskip(SKIP_3) | instid1(VALU_DEP_2)
	v_ashrrev_i32_e32 v5, 31, v4
	s_wait_loadcnt 0x0
	v_and_b32_e32 v6, 0xffff, v8
	v_readfirstlane_b32 s49, v8
	v_cmp_gt_i32_e32 vcc_lo, 11, v6
	v_add_nc_u64_e32 v[6:7], s[10:11], v[4:5]
	s_cbranch_vccnz .LBB94_3053
; %bb.3047:
	s_and_b32 s0, 0xffff, s49
	s_mov_b32 s4, 0
	s_cmp_gt_i32 s0, 25
	s_cbranch_scc0 .LBB94_3055
; %bb.3048:
	s_cmp_gt_i32 s0, 28
	s_cbranch_scc0 .LBB94_3056
; %bb.3049:
	;; [unrolled: 3-line block ×4, first 2 shown]
	s_cmp_eq_u32 s0, 46
	s_mov_b32 s12, 0
	s_cbranch_scc0 .LBB94_3060
; %bb.3052:
	global_load_b32 v5, v[6:7], off
	s_mov_b32 s1, 0
	s_mov_b32 s5, -1
	s_wait_loadcnt 0x0
	v_lshlrev_b32_e32 v5, 16, v5
	s_delay_alu instid0(VALU_DEP_1) | instskip(NEXT) | instid1(VALU_DEP_1)
	v_trunc_f32_e32 v5, v5
	v_mul_f32_e64 v8, 0x2f800000, |v5|
	s_delay_alu instid0(VALU_DEP_1) | instskip(SKIP_1) | instid1(VALU_DEP_2)
	v_floor_f32_e32 v9, v8
	v_ashrrev_i32_e32 v8, 31, v5
	v_fma_f32 v10, 0xcf800000, v9, |v5|
	v_cvt_u32_f32_e32 v5, v9
	s_delay_alu instid0(VALU_DEP_3) | instskip(NEXT) | instid1(VALU_DEP_3)
	v_mov_b32_e32 v9, v8
	v_cvt_u32_f32_e32 v10, v10
	s_delay_alu instid0(VALU_DEP_3) | instskip(NEXT) | instid1(VALU_DEP_2)
	v_xor_b32_e32 v11, v5, v8
	v_xor_b32_e32 v10, v10, v8
	s_delay_alu instid0(VALU_DEP_1)
	v_sub_nc_u64_e32 v[8:9], v[10:11], v[8:9]
	s_branch .LBB94_3062
.LBB94_3053:
	s_mov_b32 s5, 0
                                        ; implicit-def: $vgpr8_vgpr9
	s_cbranch_execnz .LBB94_3124
.LBB94_3054:
	s_and_not1_b32 vcc_lo, exec_lo, s5
	s_cbranch_vccnz .LBB94_3434
	s_branch .LBB94_3172
.LBB94_3055:
	s_mov_b32 s12, -1
	s_mov_b32 s5, 0
	s_mov_b32 s1, 0
                                        ; implicit-def: $vgpr8_vgpr9
	s_branch .LBB94_3089
.LBB94_3056:
	s_mov_b32 s12, -1
	s_mov_b32 s5, 0
	s_mov_b32 s1, 0
                                        ; implicit-def: $vgpr8_vgpr9
	s_branch .LBB94_3072
.LBB94_3057:
	s_mov_b32 s12, -1
	s_mov_b32 s5, 0
	s_mov_b32 s1, 0
                                        ; implicit-def: $vgpr8_vgpr9
	s_branch .LBB94_3067
.LBB94_3058:
	s_or_b32 s36, s36, exec_lo
	s_trap 2
	s_cbranch_execz .LBB94_2997
	s_branch .LBB94_2998
.LBB94_3059:
	s_mov_b32 s12, -1
	s_mov_b32 s5, 0
	s_mov_b32 s1, 0
	s_branch .LBB94_3061
.LBB94_3060:
	s_mov_b32 s1, -1
	s_mov_b32 s5, 0
.LBB94_3061:
                                        ; implicit-def: $vgpr8_vgpr9
.LBB94_3062:
	s_and_b32 vcc_lo, exec_lo, s12
	s_cbranch_vccz .LBB94_3066
; %bb.3063:
	s_cmp_eq_u32 s0, 44
	s_cbranch_scc0 .LBB94_3065
; %bb.3064:
	global_load_u8 v5, v[6:7], off
	s_mov_b32 s1, 0
	s_mov_b32 s5, -1
	s_wait_loadcnt 0x0
	v_lshlrev_b32_e32 v8, 23, v5
	v_cmp_ne_u32_e32 vcc_lo, 0, v5
	s_delay_alu instid0(VALU_DEP_2) | instskip(NEXT) | instid1(VALU_DEP_1)
	v_trunc_f32_e32 v8, v8
	v_mul_f32_e64 v9, 0x2f800000, |v8|
	s_delay_alu instid0(VALU_DEP_1) | instskip(NEXT) | instid1(VALU_DEP_1)
	v_floor_f32_e32 v9, v9
	v_fma_f32 v10, 0xcf800000, v9, |v8|
	v_ashrrev_i32_e32 v8, 31, v8
	v_cvt_u32_f32_e32 v11, v9
	s_delay_alu instid0(VALU_DEP_3) | instskip(NEXT) | instid1(VALU_DEP_2)
	v_cvt_u32_f32_e32 v10, v10
	v_dual_mov_b32 v9, v8 :: v_dual_bitop2_b32 v11, v11, v8 bitop3:0x14
	s_delay_alu instid0(VALU_DEP_2) | instskip(NEXT) | instid1(VALU_DEP_1)
	v_xor_b32_e32 v10, v10, v8
	v_sub_nc_u64_e32 v[8:9], v[10:11], v[8:9]
	s_delay_alu instid0(VALU_DEP_1)
	v_dual_cndmask_b32 v9, 0, v9 :: v_dual_cndmask_b32 v8, 0, v8
	s_branch .LBB94_3066
.LBB94_3065:
	s_mov_b32 s1, -1
                                        ; implicit-def: $vgpr8_vgpr9
.LBB94_3066:
	s_mov_b32 s12, 0
.LBB94_3067:
	s_delay_alu instid0(SALU_CYCLE_1)
	s_and_b32 vcc_lo, exec_lo, s12
	s_cbranch_vccz .LBB94_3071
; %bb.3068:
	s_cmp_eq_u32 s0, 29
	s_cbranch_scc0 .LBB94_3070
; %bb.3069:
	global_load_b64 v[8:9], v[6:7], off
	s_mov_b32 s1, 0
	s_mov_b32 s5, -1
	s_branch .LBB94_3071
.LBB94_3070:
	s_mov_b32 s1, -1
                                        ; implicit-def: $vgpr8_vgpr9
.LBB94_3071:
	s_mov_b32 s12, 0
.LBB94_3072:
	s_delay_alu instid0(SALU_CYCLE_1)
	s_and_b32 vcc_lo, exec_lo, s12
	s_cbranch_vccz .LBB94_3088
; %bb.3073:
	s_cmp_lt_i32 s0, 27
	s_cbranch_scc1 .LBB94_3076
; %bb.3074:
	s_cmp_gt_i32 s0, 27
	s_cbranch_scc0 .LBB94_3077
; %bb.3075:
	s_wait_loadcnt 0x0
	global_load_b32 v8, v[6:7], off
	v_mov_b32_e32 v9, 0
	s_mov_b32 s5, 0
	s_branch .LBB94_3078
.LBB94_3076:
	s_mov_b32 s5, -1
                                        ; implicit-def: $vgpr8_vgpr9
	s_branch .LBB94_3081
.LBB94_3077:
	s_mov_b32 s5, -1
                                        ; implicit-def: $vgpr8_vgpr9
.LBB94_3078:
	s_delay_alu instid0(SALU_CYCLE_1)
	s_and_not1_b32 vcc_lo, exec_lo, s5
	s_cbranch_vccnz .LBB94_3080
; %bb.3079:
	global_load_u16 v5, v[6:7], off
	s_mov_b32 s5, 0
	s_wait_loadcnt 0x1
	v_mov_b32_e32 v9, s5
	s_wait_loadcnt 0x0
	v_and_b32_e32 v8, 0xffff, v5
.LBB94_3080:
	s_mov_b32 s5, 0
.LBB94_3081:
	s_delay_alu instid0(SALU_CYCLE_1)
	s_and_not1_b32 vcc_lo, exec_lo, s5
	s_cbranch_vccnz .LBB94_3087
; %bb.3082:
	global_load_u8 v5, v[6:7], off
	s_mov_b32 s12, 0
	s_mov_b32 s5, exec_lo
	s_wait_loadcnt 0x0
	v_cmpx_lt_i16_e32 0x7f, v5
	s_xor_b32 s5, exec_lo, s5
	s_cbranch_execz .LBB94_3099
; %bb.3083:
	v_cmp_ne_u16_e32 vcc_lo, 0x80, v5
	s_and_b32 s12, vcc_lo, exec_lo
	s_and_not1_saveexec_b32 s5, s5
	s_cbranch_execnz .LBB94_3100
.LBB94_3084:
	s_or_b32 exec_lo, exec_lo, s5
	v_mov_b64_e32 v[8:9], 0
	s_and_saveexec_b32 s5, s12
	s_cbranch_execz .LBB94_3086
.LBB94_3085:
	v_and_b32_e32 v8, 0xffff, v5
	s_delay_alu instid0(VALU_DEP_1) | instskip(SKIP_1) | instid1(VALU_DEP_2)
	v_and_b32_e32 v9, 7, v8
	v_bfe_u32 v12, v8, 3, 4
	v_clz_i32_u32_e32 v10, v9
	s_delay_alu instid0(VALU_DEP_2) | instskip(NEXT) | instid1(VALU_DEP_2)
	v_cmp_eq_u32_e32 vcc_lo, 0, v12
	v_min_u32_e32 v10, 32, v10
	s_delay_alu instid0(VALU_DEP_1) | instskip(NEXT) | instid1(VALU_DEP_1)
	v_subrev_nc_u32_e32 v11, 28, v10
	v_dual_lshlrev_b32 v8, v11, v8 :: v_dual_sub_nc_u32 v10, 29, v10
	s_delay_alu instid0(VALU_DEP_1) | instskip(NEXT) | instid1(VALU_DEP_1)
	v_dual_lshlrev_b32 v5, 24, v5 :: v_dual_bitop2_b32 v8, 7, v8 bitop3:0x40
	v_dual_cndmask_b32 v10, v12, v10, vcc_lo :: v_dual_cndmask_b32 v8, v9, v8, vcc_lo
	s_delay_alu instid0(VALU_DEP_2) | instskip(NEXT) | instid1(VALU_DEP_2)
	v_and_b32_e32 v5, 0x80000000, v5
	v_lshl_add_u32 v9, v10, 23, 0x3b800000
	s_delay_alu instid0(VALU_DEP_3) | instskip(NEXT) | instid1(VALU_DEP_1)
	v_lshlrev_b32_e32 v8, 20, v8
	v_or3_b32 v5, v5, v9, v8
	s_delay_alu instid0(VALU_DEP_1) | instskip(NEXT) | instid1(VALU_DEP_1)
	v_trunc_f32_e32 v5, v5
	v_mul_f32_e64 v8, 0x2f800000, |v5|
	s_delay_alu instid0(VALU_DEP_1) | instskip(SKIP_1) | instid1(VALU_DEP_2)
	v_floor_f32_e32 v9, v8
	v_ashrrev_i32_e32 v8, 31, v5
	v_fma_f32 v10, 0xcf800000, v9, |v5|
	v_cvt_u32_f32_e32 v5, v9
	s_delay_alu instid0(VALU_DEP_3) | instskip(NEXT) | instid1(VALU_DEP_3)
	v_mov_b32_e32 v9, v8
	v_cvt_u32_f32_e32 v10, v10
	s_delay_alu instid0(VALU_DEP_3) | instskip(NEXT) | instid1(VALU_DEP_2)
	v_xor_b32_e32 v11, v5, v8
	v_xor_b32_e32 v10, v10, v8
	s_delay_alu instid0(VALU_DEP_1)
	v_sub_nc_u64_e32 v[8:9], v[10:11], v[8:9]
.LBB94_3086:
	s_or_b32 exec_lo, exec_lo, s5
.LBB94_3087:
	s_mov_b32 s5, -1
.LBB94_3088:
	s_mov_b32 s12, 0
.LBB94_3089:
	s_delay_alu instid0(SALU_CYCLE_1)
	s_and_b32 vcc_lo, exec_lo, s12
	s_cbranch_vccz .LBB94_3120
; %bb.3090:
	s_cmp_gt_i32 s0, 22
	s_cbranch_scc0 .LBB94_3098
; %bb.3091:
	s_cmp_lt_i32 s0, 24
	s_cbranch_scc1 .LBB94_3101
; %bb.3092:
	s_cmp_gt_i32 s0, 24
	s_cbranch_scc0 .LBB94_3102
; %bb.3093:
	global_load_u8 v5, v[6:7], off
	s_mov_b32 s5, 0
	s_mov_b32 s4, exec_lo
	s_wait_loadcnt 0x0
	v_cmpx_lt_i16_e32 0x7f, v5
	s_xor_b32 s4, exec_lo, s4
	s_cbranch_execz .LBB94_3114
; %bb.3094:
	v_cmp_ne_u16_e32 vcc_lo, 0x80, v5
	s_and_b32 s5, vcc_lo, exec_lo
	s_and_not1_saveexec_b32 s4, s4
	s_cbranch_execnz .LBB94_3115
.LBB94_3095:
	s_or_b32 exec_lo, exec_lo, s4
	v_mov_b64_e32 v[8:9], 0
	s_and_saveexec_b32 s4, s5
	s_cbranch_execz .LBB94_3097
.LBB94_3096:
	v_and_b32_e32 v8, 0xffff, v5
	s_delay_alu instid0(VALU_DEP_1) | instskip(SKIP_1) | instid1(VALU_DEP_2)
	v_and_b32_e32 v9, 3, v8
	v_bfe_u32 v12, v8, 2, 5
	v_clz_i32_u32_e32 v10, v9
	s_delay_alu instid0(VALU_DEP_2) | instskip(NEXT) | instid1(VALU_DEP_2)
	v_cmp_eq_u32_e32 vcc_lo, 0, v12
	v_min_u32_e32 v10, 32, v10
	s_delay_alu instid0(VALU_DEP_1) | instskip(NEXT) | instid1(VALU_DEP_1)
	v_subrev_nc_u32_e32 v11, 29, v10
	v_dual_lshlrev_b32 v8, v11, v8 :: v_dual_sub_nc_u32 v10, 30, v10
	s_delay_alu instid0(VALU_DEP_1) | instskip(NEXT) | instid1(VALU_DEP_1)
	v_dual_lshlrev_b32 v5, 24, v5 :: v_dual_bitop2_b32 v8, 3, v8 bitop3:0x40
	v_dual_cndmask_b32 v10, v12, v10, vcc_lo :: v_dual_cndmask_b32 v8, v9, v8, vcc_lo
	s_delay_alu instid0(VALU_DEP_2) | instskip(NEXT) | instid1(VALU_DEP_2)
	v_and_b32_e32 v5, 0x80000000, v5
	v_lshl_add_u32 v9, v10, 23, 0x37800000
	s_delay_alu instid0(VALU_DEP_3) | instskip(NEXT) | instid1(VALU_DEP_1)
	v_lshlrev_b32_e32 v8, 21, v8
	v_or3_b32 v5, v5, v9, v8
	s_delay_alu instid0(VALU_DEP_1) | instskip(NEXT) | instid1(VALU_DEP_1)
	v_trunc_f32_e32 v5, v5
	v_mul_f32_e64 v8, 0x2f800000, |v5|
	s_delay_alu instid0(VALU_DEP_1) | instskip(SKIP_1) | instid1(VALU_DEP_2)
	v_floor_f32_e32 v9, v8
	v_ashrrev_i32_e32 v8, 31, v5
	v_fma_f32 v10, 0xcf800000, v9, |v5|
	v_cvt_u32_f32_e32 v5, v9
	s_delay_alu instid0(VALU_DEP_3) | instskip(NEXT) | instid1(VALU_DEP_3)
	v_mov_b32_e32 v9, v8
	v_cvt_u32_f32_e32 v10, v10
	s_delay_alu instid0(VALU_DEP_3) | instskip(NEXT) | instid1(VALU_DEP_2)
	v_xor_b32_e32 v11, v5, v8
	v_xor_b32_e32 v10, v10, v8
	s_delay_alu instid0(VALU_DEP_1)
	v_sub_nc_u64_e32 v[8:9], v[10:11], v[8:9]
.LBB94_3097:
	s_or_b32 exec_lo, exec_lo, s4
	s_mov_b32 s4, 0
	s_branch .LBB94_3103
.LBB94_3098:
	s_mov_b32 s4, -1
                                        ; implicit-def: $vgpr8_vgpr9
	s_branch .LBB94_3109
.LBB94_3099:
	s_and_not1_saveexec_b32 s5, s5
	s_cbranch_execz .LBB94_3084
.LBB94_3100:
	v_cmp_ne_u16_e32 vcc_lo, 0, v5
	s_and_not1_b32 s12, s12, exec_lo
	s_and_b32 s13, vcc_lo, exec_lo
	s_delay_alu instid0(SALU_CYCLE_1)
	s_or_b32 s12, s12, s13
	s_or_b32 exec_lo, exec_lo, s5
	v_mov_b64_e32 v[8:9], 0
	s_and_saveexec_b32 s5, s12
	s_cbranch_execnz .LBB94_3085
	s_branch .LBB94_3086
.LBB94_3101:
	s_mov_b32 s4, -1
                                        ; implicit-def: $vgpr8_vgpr9
	s_branch .LBB94_3106
.LBB94_3102:
	s_mov_b32 s4, -1
                                        ; implicit-def: $vgpr8_vgpr9
.LBB94_3103:
	s_delay_alu instid0(SALU_CYCLE_1)
	s_and_b32 vcc_lo, exec_lo, s4
	s_cbranch_vccz .LBB94_3105
; %bb.3104:
	global_load_u8 v5, v[6:7], off
	s_wait_loadcnt 0x0
	v_lshlrev_b32_e32 v5, 24, v5
	s_delay_alu instid0(VALU_DEP_1) | instskip(NEXT) | instid1(VALU_DEP_1)
	v_and_b32_e32 v8, 0x7f000000, v5
	v_clz_i32_u32_e32 v9, v8
	v_cmp_ne_u32_e32 vcc_lo, 0, v8
	v_add_nc_u32_e32 v11, 0x1000000, v8
	s_delay_alu instid0(VALU_DEP_3) | instskip(NEXT) | instid1(VALU_DEP_1)
	v_min_u32_e32 v9, 32, v9
	v_sub_nc_u32_e64 v9, v9, 4 clamp
	s_delay_alu instid0(VALU_DEP_1) | instskip(NEXT) | instid1(VALU_DEP_1)
	v_dual_lshlrev_b32 v10, v9, v8 :: v_dual_lshlrev_b32 v9, 23, v9
	v_lshrrev_b32_e32 v10, 4, v10
	s_delay_alu instid0(VALU_DEP_1) | instskip(NEXT) | instid1(VALU_DEP_1)
	v_dual_sub_nc_u32 v9, v10, v9 :: v_dual_ashrrev_i32 v10, 8, v11
	v_add_nc_u32_e32 v9, 0x3c000000, v9
	s_delay_alu instid0(VALU_DEP_1) | instskip(NEXT) | instid1(VALU_DEP_1)
	v_and_or_b32 v9, 0x7f800000, v10, v9
	v_cndmask_b32_e32 v8, 0, v9, vcc_lo
	s_delay_alu instid0(VALU_DEP_1) | instskip(NEXT) | instid1(VALU_DEP_1)
	v_and_or_b32 v5, 0x80000000, v5, v8
	v_trunc_f32_e32 v5, v5
	s_delay_alu instid0(VALU_DEP_1) | instskip(NEXT) | instid1(VALU_DEP_1)
	v_mul_f32_e64 v8, 0x2f800000, |v5|
	v_floor_f32_e32 v9, v8
	v_ashrrev_i32_e32 v8, 31, v5
	s_delay_alu instid0(VALU_DEP_2) | instskip(SKIP_1) | instid1(VALU_DEP_3)
	v_fma_f32 v10, 0xcf800000, v9, |v5|
	v_cvt_u32_f32_e32 v5, v9
	v_mov_b32_e32 v9, v8
	s_delay_alu instid0(VALU_DEP_3) | instskip(NEXT) | instid1(VALU_DEP_3)
	v_cvt_u32_f32_e32 v10, v10
	v_xor_b32_e32 v11, v5, v8
	s_delay_alu instid0(VALU_DEP_2) | instskip(NEXT) | instid1(VALU_DEP_1)
	v_xor_b32_e32 v10, v10, v8
	v_sub_nc_u64_e32 v[8:9], v[10:11], v[8:9]
.LBB94_3105:
	s_mov_b32 s4, 0
.LBB94_3106:
	s_delay_alu instid0(SALU_CYCLE_1)
	s_and_not1_b32 vcc_lo, exec_lo, s4
	s_cbranch_vccnz .LBB94_3108
; %bb.3107:
	global_load_u8 v5, v[6:7], off
	s_wait_loadcnt 0x0
	v_lshlrev_b32_e32 v8, 25, v5
	v_lshlrev_b16 v5, 8, v5
	s_delay_alu instid0(VALU_DEP_1) | instskip(SKIP_1) | instid1(VALU_DEP_2)
	v_and_or_b32 v10, 0x7f00, v5, 0.5
	v_bfe_i32 v5, v5, 0, 16
	v_dual_add_f32 v10, -0.5, v10 :: v_dual_lshrrev_b32 v9, 4, v8
	v_cmp_gt_u32_e32 vcc_lo, 0x8000000, v8
	s_delay_alu instid0(VALU_DEP_2) | instskip(NEXT) | instid1(VALU_DEP_1)
	v_or_b32_e32 v9, 0x70000000, v9
	v_mul_f32_e32 v9, 0x7800000, v9
	s_delay_alu instid0(VALU_DEP_1) | instskip(NEXT) | instid1(VALU_DEP_1)
	v_cndmask_b32_e32 v8, v9, v10, vcc_lo
	v_and_or_b32 v5, 0x80000000, v5, v8
	s_delay_alu instid0(VALU_DEP_1) | instskip(NEXT) | instid1(VALU_DEP_1)
	v_trunc_f32_e32 v5, v5
	v_mul_f32_e64 v8, 0x2f800000, |v5|
	s_delay_alu instid0(VALU_DEP_1) | instskip(SKIP_1) | instid1(VALU_DEP_2)
	v_floor_f32_e32 v9, v8
	v_ashrrev_i32_e32 v8, 31, v5
	v_fma_f32 v10, 0xcf800000, v9, |v5|
	v_cvt_u32_f32_e32 v5, v9
	s_delay_alu instid0(VALU_DEP_3) | instskip(NEXT) | instid1(VALU_DEP_3)
	v_mov_b32_e32 v9, v8
	v_cvt_u32_f32_e32 v10, v10
	s_delay_alu instid0(VALU_DEP_3) | instskip(NEXT) | instid1(VALU_DEP_2)
	v_xor_b32_e32 v11, v5, v8
	v_xor_b32_e32 v10, v10, v8
	s_delay_alu instid0(VALU_DEP_1)
	v_sub_nc_u64_e32 v[8:9], v[10:11], v[8:9]
.LBB94_3108:
	s_mov_b32 s4, 0
	s_mov_b32 s5, -1
.LBB94_3109:
	s_and_not1_b32 vcc_lo, exec_lo, s4
	s_mov_b32 s4, 0
	s_cbranch_vccnz .LBB94_3120
; %bb.3110:
	s_cmp_gt_i32 s0, 14
	s_cbranch_scc0 .LBB94_3113
; %bb.3111:
	s_cmp_eq_u32 s0, 15
	s_cbranch_scc0 .LBB94_3116
; %bb.3112:
	global_load_u16 v5, v[6:7], off
	s_mov_b32 s1, 0
	s_mov_b32 s5, -1
	s_wait_loadcnt 0x0
	v_lshlrev_b32_e32 v5, 16, v5
	s_delay_alu instid0(VALU_DEP_1) | instskip(NEXT) | instid1(VALU_DEP_1)
	v_trunc_f32_e32 v5, v5
	v_mul_f32_e64 v8, 0x2f800000, |v5|
	s_delay_alu instid0(VALU_DEP_1) | instskip(SKIP_1) | instid1(VALU_DEP_2)
	v_floor_f32_e32 v9, v8
	v_ashrrev_i32_e32 v8, 31, v5
	v_fma_f32 v10, 0xcf800000, v9, |v5|
	v_cvt_u32_f32_e32 v5, v9
	s_delay_alu instid0(VALU_DEP_3) | instskip(NEXT) | instid1(VALU_DEP_3)
	v_mov_b32_e32 v9, v8
	v_cvt_u32_f32_e32 v10, v10
	s_delay_alu instid0(VALU_DEP_3) | instskip(NEXT) | instid1(VALU_DEP_2)
	v_xor_b32_e32 v11, v5, v8
	v_xor_b32_e32 v10, v10, v8
	s_delay_alu instid0(VALU_DEP_1)
	v_sub_nc_u64_e32 v[8:9], v[10:11], v[8:9]
	s_branch .LBB94_3118
.LBB94_3113:
	s_mov_b32 s4, -1
	s_branch .LBB94_3117
.LBB94_3114:
	s_and_not1_saveexec_b32 s4, s4
	s_cbranch_execz .LBB94_3095
.LBB94_3115:
	v_cmp_ne_u16_e32 vcc_lo, 0, v5
	s_and_not1_b32 s5, s5, exec_lo
	s_and_b32 s12, vcc_lo, exec_lo
	s_delay_alu instid0(SALU_CYCLE_1)
	s_or_b32 s5, s5, s12
	s_or_b32 exec_lo, exec_lo, s4
	v_mov_b64_e32 v[8:9], 0
	s_and_saveexec_b32 s4, s5
	s_cbranch_execnz .LBB94_3096
	s_branch .LBB94_3097
.LBB94_3116:
	s_mov_b32 s1, -1
.LBB94_3117:
                                        ; implicit-def: $vgpr8_vgpr9
.LBB94_3118:
	s_and_b32 vcc_lo, exec_lo, s4
	s_mov_b32 s4, 0
	s_cbranch_vccz .LBB94_3120
; %bb.3119:
	s_cmp_lg_u32 s0, 11
	s_mov_b32 s4, -1
	s_cselect_b32 s1, -1, 0
.LBB94_3120:
	s_delay_alu instid0(SALU_CYCLE_1)
	s_and_b32 vcc_lo, exec_lo, s1
	s_cbranch_vccnz .LBB94_3183
; %bb.3121:
	s_and_not1_b32 vcc_lo, exec_lo, s4
	s_cbranch_vccnz .LBB94_3123
.LBB94_3122:
	global_load_u8 v5, v[6:7], off
	s_mov_b32 s0, 0
	s_mov_b32 s5, -1
	s_wait_loadcnt 0x1
	v_mov_b32_e32 v9, s0
	s_wait_loadcnt 0x0
	v_cmp_ne_u16_e32 vcc_lo, 0, v5
	v_cndmask_b32_e64 v8, 0, 1, vcc_lo
.LBB94_3123:
	s_branch .LBB94_3054
.LBB94_3124:
	s_and_b32 s0, 0xffff, s49
	s_delay_alu instid0(SALU_CYCLE_1)
	s_cmp_lt_i32 s0, 5
	s_cbranch_scc1 .LBB94_3129
; %bb.3125:
	s_cmp_lt_i32 s0, 8
	s_cbranch_scc1 .LBB94_3130
; %bb.3126:
	;; [unrolled: 3-line block ×3, first 2 shown]
	s_cmp_gt_i32 s0, 9
	s_cbranch_scc0 .LBB94_3132
; %bb.3128:
	s_wait_loadcnt 0x0
	global_load_b64 v[8:9], v[6:7], off
	s_mov_b32 s1, 0
	s_wait_loadcnt 0x0
	v_trunc_f64_e32 v[8:9], v[8:9]
	s_delay_alu instid0(VALU_DEP_1) | instskip(NEXT) | instid1(VALU_DEP_1)
	v_ldexp_f64 v[10:11], v[8:9], 0xffffffe0
	v_floor_f64_e32 v[10:11], v[10:11]
	s_delay_alu instid0(VALU_DEP_1) | instskip(SKIP_1) | instid1(VALU_DEP_2)
	v_fmamk_f64 v[12:13], v[10:11], 0xc1f00000, v[8:9]
	v_cvt_i32_f64_e32 v9, v[10:11]
	v_cvt_u32_f64_e32 v8, v[12:13]
	s_branch .LBB94_3133
.LBB94_3129:
	s_mov_b32 s1, -1
                                        ; implicit-def: $vgpr8_vgpr9
	s_branch .LBB94_3151
.LBB94_3130:
	s_mov_b32 s1, -1
                                        ; implicit-def: $vgpr8_vgpr9
	s_branch .LBB94_3139
.LBB94_3131:
	s_mov_b32 s1, -1
                                        ; implicit-def: $vgpr8_vgpr9
	s_branch .LBB94_3136
.LBB94_3132:
	s_mov_b32 s1, -1
                                        ; implicit-def: $vgpr8_vgpr9
.LBB94_3133:
	s_delay_alu instid0(SALU_CYCLE_1)
	s_and_not1_b32 vcc_lo, exec_lo, s1
	s_cbranch_vccnz .LBB94_3135
; %bb.3134:
	global_load_b32 v5, v[6:7], off
	s_wait_loadcnt 0x0
	v_trunc_f32_e32 v5, v5
	s_delay_alu instid0(VALU_DEP_1) | instskip(NEXT) | instid1(VALU_DEP_1)
	v_mul_f32_e64 v8, 0x2f800000, |v5|
	v_floor_f32_e32 v9, v8
	v_ashrrev_i32_e32 v8, 31, v5
	s_delay_alu instid0(VALU_DEP_2) | instskip(SKIP_1) | instid1(VALU_DEP_3)
	v_fma_f32 v10, 0xcf800000, v9, |v5|
	v_cvt_u32_f32_e32 v5, v9
	v_mov_b32_e32 v9, v8
	s_delay_alu instid0(VALU_DEP_3) | instskip(NEXT) | instid1(VALU_DEP_3)
	v_cvt_u32_f32_e32 v10, v10
	v_xor_b32_e32 v11, v5, v8
	s_delay_alu instid0(VALU_DEP_2) | instskip(NEXT) | instid1(VALU_DEP_1)
	v_xor_b32_e32 v10, v10, v8
	v_sub_nc_u64_e32 v[8:9], v[10:11], v[8:9]
.LBB94_3135:
	s_mov_b32 s1, 0
.LBB94_3136:
	s_delay_alu instid0(SALU_CYCLE_1)
	s_and_not1_b32 vcc_lo, exec_lo, s1
	s_cbranch_vccnz .LBB94_3138
; %bb.3137:
	global_load_b32 v5, v[6:7], off
	s_wait_loadcnt 0x0
	v_cvt_f32_f16_e32 v5, v5
	s_delay_alu instid0(VALU_DEP_1) | instskip(NEXT) | instid1(VALU_DEP_1)
	v_cvt_i32_f32_e32 v8, v5
	v_ashrrev_i32_e32 v9, 31, v8
.LBB94_3138:
	s_mov_b32 s1, 0
.LBB94_3139:
	s_delay_alu instid0(SALU_CYCLE_1)
	s_and_not1_b32 vcc_lo, exec_lo, s1
	s_cbranch_vccnz .LBB94_3150
; %bb.3140:
	s_cmp_lt_i32 s0, 6
	s_cbranch_scc1 .LBB94_3143
; %bb.3141:
	s_cmp_gt_i32 s0, 6
	s_cbranch_scc0 .LBB94_3144
; %bb.3142:
	s_wait_loadcnt 0x0
	global_load_b64 v[8:9], v[6:7], off
	s_mov_b32 s1, 0
	s_wait_loadcnt 0x0
	v_trunc_f64_e32 v[8:9], v[8:9]
	s_delay_alu instid0(VALU_DEP_1) | instskip(NEXT) | instid1(VALU_DEP_1)
	v_ldexp_f64 v[10:11], v[8:9], 0xffffffe0
	v_floor_f64_e32 v[10:11], v[10:11]
	s_delay_alu instid0(VALU_DEP_1) | instskip(SKIP_1) | instid1(VALU_DEP_2)
	v_fmamk_f64 v[12:13], v[10:11], 0xc1f00000, v[8:9]
	v_cvt_i32_f64_e32 v9, v[10:11]
	v_cvt_u32_f64_e32 v8, v[12:13]
	s_branch .LBB94_3145
.LBB94_3143:
	s_mov_b32 s1, -1
                                        ; implicit-def: $vgpr8_vgpr9
	s_branch .LBB94_3148
.LBB94_3144:
	s_mov_b32 s1, -1
                                        ; implicit-def: $vgpr8_vgpr9
.LBB94_3145:
	s_delay_alu instid0(SALU_CYCLE_1)
	s_and_not1_b32 vcc_lo, exec_lo, s1
	s_cbranch_vccnz .LBB94_3147
; %bb.3146:
	global_load_b32 v5, v[6:7], off
	s_wait_loadcnt 0x0
	v_trunc_f32_e32 v5, v5
	s_delay_alu instid0(VALU_DEP_1) | instskip(NEXT) | instid1(VALU_DEP_1)
	v_mul_f32_e64 v8, 0x2f800000, |v5|
	v_floor_f32_e32 v9, v8
	v_ashrrev_i32_e32 v8, 31, v5
	s_delay_alu instid0(VALU_DEP_2) | instskip(SKIP_1) | instid1(VALU_DEP_3)
	v_fma_f32 v10, 0xcf800000, v9, |v5|
	v_cvt_u32_f32_e32 v5, v9
	v_mov_b32_e32 v9, v8
	s_delay_alu instid0(VALU_DEP_3) | instskip(NEXT) | instid1(VALU_DEP_3)
	v_cvt_u32_f32_e32 v10, v10
	v_xor_b32_e32 v11, v5, v8
	s_delay_alu instid0(VALU_DEP_2) | instskip(NEXT) | instid1(VALU_DEP_1)
	v_xor_b32_e32 v10, v10, v8
	v_sub_nc_u64_e32 v[8:9], v[10:11], v[8:9]
.LBB94_3147:
	s_mov_b32 s1, 0
.LBB94_3148:
	s_delay_alu instid0(SALU_CYCLE_1)
	s_and_not1_b32 vcc_lo, exec_lo, s1
	s_cbranch_vccnz .LBB94_3150
; %bb.3149:
	global_load_u16 v5, v[6:7], off
	s_wait_loadcnt 0x0
	v_cvt_f32_f16_e32 v5, v5
	s_delay_alu instid0(VALU_DEP_1) | instskip(NEXT) | instid1(VALU_DEP_1)
	v_cvt_i32_f32_e32 v8, v5
	v_ashrrev_i32_e32 v9, 31, v8
.LBB94_3150:
	s_mov_b32 s1, 0
.LBB94_3151:
	s_delay_alu instid0(SALU_CYCLE_1)
	s_and_not1_b32 vcc_lo, exec_lo, s1
	s_cbranch_vccnz .LBB94_3171
; %bb.3152:
	s_cmp_lt_i32 s0, 2
	s_cbranch_scc1 .LBB94_3156
; %bb.3153:
	s_cmp_lt_i32 s0, 3
	s_cbranch_scc1 .LBB94_3157
; %bb.3154:
	s_cmp_gt_i32 s0, 3
	s_cbranch_scc0 .LBB94_3158
; %bb.3155:
	s_wait_loadcnt 0x0
	global_load_b64 v[8:9], v[6:7], off
	s_mov_b32 s1, 0
	s_branch .LBB94_3159
.LBB94_3156:
	s_mov_b32 s1, -1
                                        ; implicit-def: $vgpr8_vgpr9
	s_branch .LBB94_3165
.LBB94_3157:
	s_mov_b32 s1, -1
                                        ; implicit-def: $vgpr8_vgpr9
	s_branch .LBB94_3162
.LBB94_3158:
	s_mov_b32 s1, -1
                                        ; implicit-def: $vgpr8_vgpr9
.LBB94_3159:
	s_delay_alu instid0(SALU_CYCLE_1)
	s_and_not1_b32 vcc_lo, exec_lo, s1
	s_cbranch_vccnz .LBB94_3161
; %bb.3160:
	s_wait_loadcnt 0x0
	global_load_b32 v8, v[6:7], off
	s_wait_loadcnt 0x0
	v_ashrrev_i32_e32 v9, 31, v8
.LBB94_3161:
	s_mov_b32 s1, 0
.LBB94_3162:
	s_delay_alu instid0(SALU_CYCLE_1)
	s_and_not1_b32 vcc_lo, exec_lo, s1
	s_cbranch_vccnz .LBB94_3164
; %bb.3163:
	global_load_u16 v5, v[6:7], off
	s_wait_loadcnt 0x0
	v_bfe_i32 v8, v5, 0, 16
	s_delay_alu instid0(VALU_DEP_1)
	v_ashrrev_i32_e32 v9, 31, v8
.LBB94_3164:
	s_mov_b32 s1, 0
.LBB94_3165:
	s_delay_alu instid0(SALU_CYCLE_1)
	s_and_not1_b32 vcc_lo, exec_lo, s1
	s_cbranch_vccnz .LBB94_3171
; %bb.3166:
	s_cmp_gt_i32 s0, 0
	s_mov_b32 s0, 0
	s_cbranch_scc0 .LBB94_3168
; %bb.3167:
	global_load_i8 v5, v[6:7], off
	s_wait_loadcnt 0x0
	v_bfe_i32 v8, v5, 0, 16
	s_delay_alu instid0(VALU_DEP_1)
	v_ashrrev_i32_e32 v9, 31, v8
	s_branch .LBB94_3169
.LBB94_3168:
	s_mov_b32 s0, -1
                                        ; implicit-def: $vgpr8_vgpr9
.LBB94_3169:
	s_delay_alu instid0(SALU_CYCLE_1)
	s_and_not1_b32 vcc_lo, exec_lo, s0
	s_cbranch_vccnz .LBB94_3171
; %bb.3170:
	global_load_u8 v5, v[6:7], off
	s_mov_b32 s0, 0
	s_wait_loadcnt 0x1
	v_mov_b32_e32 v9, s0
	s_wait_loadcnt 0x0
	v_and_b32_e32 v8, 0xffff, v5
.LBB94_3171:
.LBB94_3172:
	s_clause 0x2
	s_load_b32 s50, s[28:29], 0x40
	s_load_b64 s[12:13], s[28:29], 0x20
	s_load_b32 s0, s[28:29], 0xf4
	s_wait_kmcnt 0x0
	v_mul_lo_u32 v6, s50, v26
	s_and_b32 s51, s0, 0xff
	s_delay_alu instid0(SALU_CYCLE_1) | instskip(NEXT) | instid1(VALU_DEP_1)
	s_cmp_lt_i32 s51, 11
	v_ashrrev_i32_e32 v7, 31, v6
	s_delay_alu instid0(VALU_DEP_1)
	v_add_nc_u64_e32 v[10:11], s[12:13], v[6:7]
	s_cbranch_scc1 .LBB94_3179
; %bb.3173:
	s_and_b32 s0, 0xffff, s51
	s_mov_b32 s4, 0
	s_cmp_gt_i32 s0, 25
	s_cbranch_scc0 .LBB94_3180
; %bb.3174:
	s_cmp_gt_i32 s0, 28
	s_cbranch_scc0 .LBB94_3181
; %bb.3175:
	;; [unrolled: 3-line block ×4, first 2 shown]
	s_cmp_eq_u32 s0, 46
	s_mov_b32 s14, 0
	s_cbranch_scc0 .LBB94_3185
; %bb.3178:
	global_load_b32 v5, v[10:11], off
	s_mov_b32 s1, 0
	s_mov_b32 s5, -1
	s_wait_loadcnt 0x0
	v_lshlrev_b32_e32 v5, 16, v5
	s_delay_alu instid0(VALU_DEP_1) | instskip(NEXT) | instid1(VALU_DEP_1)
	v_trunc_f32_e32 v5, v5
	v_mul_f32_e64 v7, 0x2f800000, |v5|
	v_ashrrev_i32_e32 v12, 31, v5
	s_delay_alu instid0(VALU_DEP_2) | instskip(NEXT) | instid1(VALU_DEP_1)
	v_floor_f32_e32 v7, v7
	v_fma_f32 v13, 0xcf800000, v7, |v5|
	v_cvt_u32_f32_e32 v5, v7
	s_delay_alu instid0(VALU_DEP_2) | instskip(NEXT) | instid1(VALU_DEP_2)
	v_cvt_u32_f32_e32 v7, v13
	v_dual_mov_b32 v13, v12 :: v_dual_bitop2_b32 v15, v5, v12 bitop3:0x14
	s_delay_alu instid0(VALU_DEP_2) | instskip(NEXT) | instid1(VALU_DEP_1)
	v_xor_b32_e32 v14, v7, v12
	v_sub_nc_u64_e32 v[12:13], v[14:15], v[12:13]
	s_branch .LBB94_3187
.LBB94_3179:
	s_mov_b32 s0, -1
	s_mov_b32 s5, 0
                                        ; implicit-def: $vgpr12_vgpr13
	s_branch .LBB94_3249
.LBB94_3180:
	s_mov_b32 s14, -1
	s_mov_b32 s5, 0
	s_mov_b32 s1, 0
                                        ; implicit-def: $vgpr12_vgpr13
	s_branch .LBB94_3214
.LBB94_3181:
	s_mov_b32 s14, -1
	s_mov_b32 s5, 0
	s_mov_b32 s1, 0
                                        ; implicit-def: $vgpr12_vgpr13
	s_branch .LBB94_3197
.LBB94_3182:
	s_mov_b32 s14, -1
	s_mov_b32 s5, 0
	s_mov_b32 s1, 0
                                        ; implicit-def: $vgpr12_vgpr13
	s_branch .LBB94_3192
.LBB94_3183:
	s_or_b32 s36, s36, exec_lo
	s_trap 2
	s_cbranch_execz .LBB94_3122
	s_branch .LBB94_3123
.LBB94_3184:
	s_mov_b32 s14, -1
	s_mov_b32 s5, 0
	s_mov_b32 s1, 0
	s_branch .LBB94_3186
.LBB94_3185:
	s_mov_b32 s1, -1
	s_mov_b32 s5, 0
.LBB94_3186:
                                        ; implicit-def: $vgpr12_vgpr13
.LBB94_3187:
	s_and_b32 vcc_lo, exec_lo, s14
	s_cbranch_vccz .LBB94_3191
; %bb.3188:
	s_cmp_eq_u32 s0, 44
	s_cbranch_scc0 .LBB94_3190
; %bb.3189:
	global_load_u8 v5, v[10:11], off
	s_mov_b32 s1, 0
	s_mov_b32 s5, -1
	s_wait_loadcnt 0x0
	v_lshlrev_b32_e32 v7, 23, v5
	v_cmp_ne_u32_e32 vcc_lo, 0, v5
	s_delay_alu instid0(VALU_DEP_2) | instskip(NEXT) | instid1(VALU_DEP_1)
	v_trunc_f32_e32 v7, v7
	v_mul_f32_e64 v12, 0x2f800000, |v7|
	s_delay_alu instid0(VALU_DEP_1) | instskip(SKIP_1) | instid1(VALU_DEP_2)
	v_floor_f32_e32 v13, v12
	v_ashrrev_i32_e32 v12, 31, v7
	v_fma_f32 v14, 0xcf800000, v13, |v7|
	v_cvt_u32_f32_e32 v7, v13
	s_delay_alu instid0(VALU_DEP_3) | instskip(NEXT) | instid1(VALU_DEP_3)
	v_mov_b32_e32 v13, v12
	v_cvt_u32_f32_e32 v14, v14
	s_delay_alu instid0(VALU_DEP_3) | instskip(NEXT) | instid1(VALU_DEP_2)
	v_xor_b32_e32 v15, v7, v12
	v_xor_b32_e32 v14, v14, v12
	s_delay_alu instid0(VALU_DEP_1) | instskip(NEXT) | instid1(VALU_DEP_1)
	v_sub_nc_u64_e32 v[12:13], v[14:15], v[12:13]
	v_dual_cndmask_b32 v13, 0, v13 :: v_dual_cndmask_b32 v12, 0, v12
	s_branch .LBB94_3191
.LBB94_3190:
	s_mov_b32 s1, -1
                                        ; implicit-def: $vgpr12_vgpr13
.LBB94_3191:
	s_mov_b32 s14, 0
.LBB94_3192:
	s_delay_alu instid0(SALU_CYCLE_1)
	s_and_b32 vcc_lo, exec_lo, s14
	s_cbranch_vccz .LBB94_3196
; %bb.3193:
	s_cmp_eq_u32 s0, 29
	s_cbranch_scc0 .LBB94_3195
; %bb.3194:
	global_load_b64 v[12:13], v[10:11], off
	s_mov_b32 s1, 0
	s_mov_b32 s5, -1
	s_branch .LBB94_3196
.LBB94_3195:
	s_mov_b32 s1, -1
                                        ; implicit-def: $vgpr12_vgpr13
.LBB94_3196:
	s_mov_b32 s14, 0
.LBB94_3197:
	s_delay_alu instid0(SALU_CYCLE_1)
	s_and_b32 vcc_lo, exec_lo, s14
	s_cbranch_vccz .LBB94_3213
; %bb.3198:
	s_cmp_lt_i32 s0, 27
	s_cbranch_scc1 .LBB94_3201
; %bb.3199:
	s_cmp_gt_i32 s0, 27
	s_cbranch_scc0 .LBB94_3202
; %bb.3200:
	s_wait_loadcnt 0x0
	global_load_b32 v12, v[10:11], off
	v_mov_b32_e32 v13, 0
	s_mov_b32 s5, 0
	s_branch .LBB94_3203
.LBB94_3201:
	s_mov_b32 s5, -1
                                        ; implicit-def: $vgpr12_vgpr13
	s_branch .LBB94_3206
.LBB94_3202:
	s_mov_b32 s5, -1
                                        ; implicit-def: $vgpr12_vgpr13
.LBB94_3203:
	s_delay_alu instid0(SALU_CYCLE_1)
	s_and_not1_b32 vcc_lo, exec_lo, s5
	s_cbranch_vccnz .LBB94_3205
; %bb.3204:
	global_load_u16 v5, v[10:11], off
	s_mov_b32 s5, 0
	s_wait_loadcnt 0x1
	v_mov_b32_e32 v13, s5
	s_wait_loadcnt 0x0
	v_and_b32_e32 v12, 0xffff, v5
.LBB94_3205:
	s_mov_b32 s5, 0
.LBB94_3206:
	s_delay_alu instid0(SALU_CYCLE_1)
	s_and_not1_b32 vcc_lo, exec_lo, s5
	s_cbranch_vccnz .LBB94_3212
; %bb.3207:
	global_load_u8 v5, v[10:11], off
	s_mov_b32 s14, 0
	s_mov_b32 s5, exec_lo
	s_wait_loadcnt 0x0
	v_cmpx_lt_i16_e32 0x7f, v5
	s_xor_b32 s5, exec_lo, s5
	s_cbranch_execz .LBB94_3224
; %bb.3208:
	v_cmp_ne_u16_e32 vcc_lo, 0x80, v5
	s_and_b32 s14, vcc_lo, exec_lo
	s_and_not1_saveexec_b32 s5, s5
	s_cbranch_execnz .LBB94_3225
.LBB94_3209:
	s_or_b32 exec_lo, exec_lo, s5
	v_mov_b64_e32 v[12:13], 0
	s_and_saveexec_b32 s5, s14
	s_cbranch_execz .LBB94_3211
.LBB94_3210:
	v_and_b32_e32 v7, 0xffff, v5
	s_delay_alu instid0(VALU_DEP_1) | instskip(SKIP_1) | instid1(VALU_DEP_2)
	v_and_b32_e32 v12, 7, v7
	v_bfe_u32 v15, v7, 3, 4
	v_clz_i32_u32_e32 v13, v12
	s_delay_alu instid0(VALU_DEP_2) | instskip(NEXT) | instid1(VALU_DEP_2)
	v_cmp_eq_u32_e32 vcc_lo, 0, v15
	v_min_u32_e32 v13, 32, v13
	s_delay_alu instid0(VALU_DEP_1) | instskip(NEXT) | instid1(VALU_DEP_1)
	v_subrev_nc_u32_e32 v14, 28, v13
	v_dual_lshlrev_b32 v7, v14, v7 :: v_dual_sub_nc_u32 v13, 29, v13
	s_delay_alu instid0(VALU_DEP_1) | instskip(NEXT) | instid1(VALU_DEP_1)
	v_dual_lshlrev_b32 v5, 24, v5 :: v_dual_bitop2_b32 v7, 7, v7 bitop3:0x40
	v_dual_cndmask_b32 v7, v12, v7, vcc_lo :: v_dual_cndmask_b32 v13, v15, v13, vcc_lo
	s_delay_alu instid0(VALU_DEP_2) | instskip(NEXT) | instid1(VALU_DEP_2)
	v_and_b32_e32 v5, 0x80000000, v5
	v_lshlrev_b32_e32 v7, 20, v7
	s_delay_alu instid0(VALU_DEP_3) | instskip(NEXT) | instid1(VALU_DEP_1)
	v_lshl_add_u32 v12, v13, 23, 0x3b800000
	v_or3_b32 v5, v5, v12, v7
	s_delay_alu instid0(VALU_DEP_1) | instskip(NEXT) | instid1(VALU_DEP_1)
	v_trunc_f32_e32 v5, v5
	v_mul_f32_e64 v7, 0x2f800000, |v5|
	v_ashrrev_i32_e32 v12, 31, v5
	s_delay_alu instid0(VALU_DEP_2) | instskip(NEXT) | instid1(VALU_DEP_1)
	v_floor_f32_e32 v7, v7
	v_fma_f32 v13, 0xcf800000, v7, |v5|
	v_cvt_u32_f32_e32 v5, v7
	s_delay_alu instid0(VALU_DEP_2) | instskip(NEXT) | instid1(VALU_DEP_2)
	v_cvt_u32_f32_e32 v7, v13
	v_dual_mov_b32 v13, v12 :: v_dual_bitop2_b32 v15, v5, v12 bitop3:0x14
	s_delay_alu instid0(VALU_DEP_2) | instskip(NEXT) | instid1(VALU_DEP_1)
	v_xor_b32_e32 v14, v7, v12
	v_sub_nc_u64_e32 v[12:13], v[14:15], v[12:13]
.LBB94_3211:
	s_or_b32 exec_lo, exec_lo, s5
.LBB94_3212:
	s_mov_b32 s5, -1
.LBB94_3213:
	s_mov_b32 s14, 0
.LBB94_3214:
	s_delay_alu instid0(SALU_CYCLE_1)
	s_and_b32 vcc_lo, exec_lo, s14
	s_cbranch_vccz .LBB94_3245
; %bb.3215:
	s_cmp_gt_i32 s0, 22
	s_cbranch_scc0 .LBB94_3223
; %bb.3216:
	s_cmp_lt_i32 s0, 24
	s_cbranch_scc1 .LBB94_3226
; %bb.3217:
	s_cmp_gt_i32 s0, 24
	s_cbranch_scc0 .LBB94_3227
; %bb.3218:
	global_load_u8 v5, v[10:11], off
	s_mov_b32 s5, 0
	s_mov_b32 s4, exec_lo
	s_wait_loadcnt 0x0
	v_cmpx_lt_i16_e32 0x7f, v5
	s_xor_b32 s4, exec_lo, s4
	s_cbranch_execz .LBB94_3239
; %bb.3219:
	v_cmp_ne_u16_e32 vcc_lo, 0x80, v5
	s_and_b32 s5, vcc_lo, exec_lo
	s_and_not1_saveexec_b32 s4, s4
	s_cbranch_execnz .LBB94_3240
.LBB94_3220:
	s_or_b32 exec_lo, exec_lo, s4
	v_mov_b64_e32 v[12:13], 0
	s_and_saveexec_b32 s4, s5
	s_cbranch_execz .LBB94_3222
.LBB94_3221:
	v_and_b32_e32 v7, 0xffff, v5
	s_delay_alu instid0(VALU_DEP_1) | instskip(SKIP_1) | instid1(VALU_DEP_2)
	v_and_b32_e32 v12, 3, v7
	v_bfe_u32 v15, v7, 2, 5
	v_clz_i32_u32_e32 v13, v12
	s_delay_alu instid0(VALU_DEP_2) | instskip(NEXT) | instid1(VALU_DEP_2)
	v_cmp_eq_u32_e32 vcc_lo, 0, v15
	v_min_u32_e32 v13, 32, v13
	s_delay_alu instid0(VALU_DEP_1) | instskip(NEXT) | instid1(VALU_DEP_1)
	v_subrev_nc_u32_e32 v14, 29, v13
	v_dual_lshlrev_b32 v7, v14, v7 :: v_dual_sub_nc_u32 v13, 30, v13
	s_delay_alu instid0(VALU_DEP_1) | instskip(NEXT) | instid1(VALU_DEP_1)
	v_dual_lshlrev_b32 v5, 24, v5 :: v_dual_bitop2_b32 v7, 3, v7 bitop3:0x40
	v_dual_cndmask_b32 v7, v12, v7, vcc_lo :: v_dual_cndmask_b32 v13, v15, v13, vcc_lo
	s_delay_alu instid0(VALU_DEP_2) | instskip(NEXT) | instid1(VALU_DEP_2)
	v_and_b32_e32 v5, 0x80000000, v5
	v_lshlrev_b32_e32 v7, 21, v7
	s_delay_alu instid0(VALU_DEP_3) | instskip(NEXT) | instid1(VALU_DEP_1)
	v_lshl_add_u32 v12, v13, 23, 0x37800000
	v_or3_b32 v5, v5, v12, v7
	s_delay_alu instid0(VALU_DEP_1) | instskip(NEXT) | instid1(VALU_DEP_1)
	v_trunc_f32_e32 v5, v5
	v_mul_f32_e64 v7, 0x2f800000, |v5|
	v_ashrrev_i32_e32 v12, 31, v5
	s_delay_alu instid0(VALU_DEP_2) | instskip(NEXT) | instid1(VALU_DEP_1)
	v_floor_f32_e32 v7, v7
	v_fma_f32 v13, 0xcf800000, v7, |v5|
	v_cvt_u32_f32_e32 v5, v7
	s_delay_alu instid0(VALU_DEP_2) | instskip(NEXT) | instid1(VALU_DEP_2)
	v_cvt_u32_f32_e32 v7, v13
	v_dual_mov_b32 v13, v12 :: v_dual_bitop2_b32 v15, v5, v12 bitop3:0x14
	s_delay_alu instid0(VALU_DEP_2) | instskip(NEXT) | instid1(VALU_DEP_1)
	v_xor_b32_e32 v14, v7, v12
	v_sub_nc_u64_e32 v[12:13], v[14:15], v[12:13]
.LBB94_3222:
	s_or_b32 exec_lo, exec_lo, s4
	s_mov_b32 s4, 0
	s_branch .LBB94_3228
.LBB94_3223:
	s_mov_b32 s4, -1
                                        ; implicit-def: $vgpr12_vgpr13
	s_branch .LBB94_3234
.LBB94_3224:
	s_and_not1_saveexec_b32 s5, s5
	s_cbranch_execz .LBB94_3209
.LBB94_3225:
	v_cmp_ne_u16_e32 vcc_lo, 0, v5
	s_and_not1_b32 s14, s14, exec_lo
	s_and_b32 s15, vcc_lo, exec_lo
	s_delay_alu instid0(SALU_CYCLE_1)
	s_or_b32 s14, s14, s15
	s_or_b32 exec_lo, exec_lo, s5
	v_mov_b64_e32 v[12:13], 0
	s_and_saveexec_b32 s5, s14
	s_cbranch_execnz .LBB94_3210
	s_branch .LBB94_3211
.LBB94_3226:
	s_mov_b32 s4, -1
                                        ; implicit-def: $vgpr12_vgpr13
	s_branch .LBB94_3231
.LBB94_3227:
	s_mov_b32 s4, -1
                                        ; implicit-def: $vgpr12_vgpr13
.LBB94_3228:
	s_delay_alu instid0(SALU_CYCLE_1)
	s_and_b32 vcc_lo, exec_lo, s4
	s_cbranch_vccz .LBB94_3230
; %bb.3229:
	global_load_u8 v5, v[10:11], off
	s_wait_loadcnt 0x0
	v_lshlrev_b32_e32 v5, 24, v5
	s_delay_alu instid0(VALU_DEP_1) | instskip(NEXT) | instid1(VALU_DEP_1)
	v_and_b32_e32 v7, 0x7f000000, v5
	v_clz_i32_u32_e32 v12, v7
	v_cmp_ne_u32_e32 vcc_lo, 0, v7
	v_add_nc_u32_e32 v14, 0x1000000, v7
	s_delay_alu instid0(VALU_DEP_3) | instskip(NEXT) | instid1(VALU_DEP_1)
	v_min_u32_e32 v12, 32, v12
	v_sub_nc_u32_e64 v12, v12, 4 clamp
	s_delay_alu instid0(VALU_DEP_1) | instskip(NEXT) | instid1(VALU_DEP_1)
	v_dual_lshlrev_b32 v13, v12, v7 :: v_dual_lshlrev_b32 v12, 23, v12
	v_lshrrev_b32_e32 v13, 4, v13
	s_delay_alu instid0(VALU_DEP_1) | instskip(NEXT) | instid1(VALU_DEP_1)
	v_dual_sub_nc_u32 v12, v13, v12 :: v_dual_ashrrev_i32 v13, 8, v14
	v_add_nc_u32_e32 v12, 0x3c000000, v12
	s_delay_alu instid0(VALU_DEP_1) | instskip(NEXT) | instid1(VALU_DEP_1)
	v_and_or_b32 v12, 0x7f800000, v13, v12
	v_cndmask_b32_e32 v7, 0, v12, vcc_lo
	s_delay_alu instid0(VALU_DEP_1) | instskip(NEXT) | instid1(VALU_DEP_1)
	v_and_or_b32 v5, 0x80000000, v5, v7
	v_trunc_f32_e32 v5, v5
	s_delay_alu instid0(VALU_DEP_1) | instskip(SKIP_1) | instid1(VALU_DEP_2)
	v_mul_f32_e64 v7, 0x2f800000, |v5|
	v_ashrrev_i32_e32 v12, 31, v5
	v_floor_f32_e32 v7, v7
	s_delay_alu instid0(VALU_DEP_1) | instskip(SKIP_1) | instid1(VALU_DEP_2)
	v_fma_f32 v13, 0xcf800000, v7, |v5|
	v_cvt_u32_f32_e32 v5, v7
	v_cvt_u32_f32_e32 v7, v13
	s_delay_alu instid0(VALU_DEP_2) | instskip(NEXT) | instid1(VALU_DEP_2)
	v_dual_mov_b32 v13, v12 :: v_dual_bitop2_b32 v15, v5, v12 bitop3:0x14
	v_xor_b32_e32 v14, v7, v12
	s_delay_alu instid0(VALU_DEP_1)
	v_sub_nc_u64_e32 v[12:13], v[14:15], v[12:13]
.LBB94_3230:
	s_mov_b32 s4, 0
.LBB94_3231:
	s_delay_alu instid0(SALU_CYCLE_1)
	s_and_not1_b32 vcc_lo, exec_lo, s4
	s_cbranch_vccnz .LBB94_3233
; %bb.3232:
	global_load_u8 v5, v[10:11], off
	s_wait_loadcnt 0x0
	v_lshlrev_b32_e32 v7, 25, v5
	v_lshlrev_b16 v5, 8, v5
	s_delay_alu instid0(VALU_DEP_1) | instskip(NEXT) | instid1(VALU_DEP_3)
	v_and_or_b32 v13, 0x7f00, v5, 0.5
	v_lshrrev_b32_e32 v12, 4, v7
	v_bfe_i32 v5, v5, 0, 16
	s_delay_alu instid0(VALU_DEP_3) | instskip(NEXT) | instid1(VALU_DEP_3)
	v_add_f32_e32 v13, -0.5, v13
	v_or_b32_e32 v12, 0x70000000, v12
	s_delay_alu instid0(VALU_DEP_1) | instskip(SKIP_1) | instid1(VALU_DEP_2)
	v_mul_f32_e32 v12, 0x7800000, v12
	v_cmp_gt_u32_e32 vcc_lo, 0x8000000, v7
	v_cndmask_b32_e32 v7, v12, v13, vcc_lo
	s_delay_alu instid0(VALU_DEP_1) | instskip(NEXT) | instid1(VALU_DEP_1)
	v_and_or_b32 v5, 0x80000000, v5, v7
	v_trunc_f32_e32 v5, v5
	s_delay_alu instid0(VALU_DEP_1) | instskip(SKIP_1) | instid1(VALU_DEP_2)
	v_mul_f32_e64 v7, 0x2f800000, |v5|
	v_ashrrev_i32_e32 v12, 31, v5
	v_floor_f32_e32 v7, v7
	s_delay_alu instid0(VALU_DEP_1) | instskip(SKIP_1) | instid1(VALU_DEP_2)
	v_fma_f32 v13, 0xcf800000, v7, |v5|
	v_cvt_u32_f32_e32 v5, v7
	v_cvt_u32_f32_e32 v7, v13
	s_delay_alu instid0(VALU_DEP_2) | instskip(NEXT) | instid1(VALU_DEP_2)
	v_dual_mov_b32 v13, v12 :: v_dual_bitop2_b32 v15, v5, v12 bitop3:0x14
	v_xor_b32_e32 v14, v7, v12
	s_delay_alu instid0(VALU_DEP_1)
	v_sub_nc_u64_e32 v[12:13], v[14:15], v[12:13]
.LBB94_3233:
	s_mov_b32 s4, 0
	s_mov_b32 s5, -1
.LBB94_3234:
	s_and_not1_b32 vcc_lo, exec_lo, s4
	s_mov_b32 s4, 0
	s_cbranch_vccnz .LBB94_3245
; %bb.3235:
	s_cmp_gt_i32 s0, 14
	s_cbranch_scc0 .LBB94_3238
; %bb.3236:
	s_cmp_eq_u32 s0, 15
	s_cbranch_scc0 .LBB94_3241
; %bb.3237:
	global_load_u16 v5, v[10:11], off
	s_mov_b32 s1, 0
	s_mov_b32 s5, -1
	s_wait_loadcnt 0x0
	v_lshlrev_b32_e32 v5, 16, v5
	s_delay_alu instid0(VALU_DEP_1) | instskip(NEXT) | instid1(VALU_DEP_1)
	v_trunc_f32_e32 v5, v5
	v_mul_f32_e64 v7, 0x2f800000, |v5|
	v_ashrrev_i32_e32 v12, 31, v5
	s_delay_alu instid0(VALU_DEP_2) | instskip(NEXT) | instid1(VALU_DEP_1)
	v_floor_f32_e32 v7, v7
	v_fma_f32 v13, 0xcf800000, v7, |v5|
	v_cvt_u32_f32_e32 v5, v7
	s_delay_alu instid0(VALU_DEP_2) | instskip(NEXT) | instid1(VALU_DEP_2)
	v_cvt_u32_f32_e32 v7, v13
	v_dual_mov_b32 v13, v12 :: v_dual_bitop2_b32 v15, v5, v12 bitop3:0x14
	s_delay_alu instid0(VALU_DEP_2) | instskip(NEXT) | instid1(VALU_DEP_1)
	v_xor_b32_e32 v14, v7, v12
	v_sub_nc_u64_e32 v[12:13], v[14:15], v[12:13]
	s_branch .LBB94_3243
.LBB94_3238:
	s_mov_b32 s4, -1
	s_branch .LBB94_3242
.LBB94_3239:
	s_and_not1_saveexec_b32 s4, s4
	s_cbranch_execz .LBB94_3220
.LBB94_3240:
	v_cmp_ne_u16_e32 vcc_lo, 0, v5
	s_and_not1_b32 s5, s5, exec_lo
	s_and_b32 s14, vcc_lo, exec_lo
	s_delay_alu instid0(SALU_CYCLE_1)
	s_or_b32 s5, s5, s14
	s_or_b32 exec_lo, exec_lo, s4
	v_mov_b64_e32 v[12:13], 0
	s_and_saveexec_b32 s4, s5
	s_cbranch_execnz .LBB94_3221
	s_branch .LBB94_3222
.LBB94_3241:
	s_mov_b32 s1, -1
.LBB94_3242:
                                        ; implicit-def: $vgpr12_vgpr13
.LBB94_3243:
	s_and_b32 vcc_lo, exec_lo, s4
	s_mov_b32 s4, 0
	s_cbranch_vccz .LBB94_3245
; %bb.3244:
	s_cmp_lg_u32 s0, 11
	s_mov_b32 s4, -1
	s_cselect_b32 s1, -1, 0
.LBB94_3245:
	s_delay_alu instid0(SALU_CYCLE_1)
	s_and_b32 vcc_lo, exec_lo, s1
	s_cbranch_vccnz .LBB94_3310
; %bb.3246:
	s_and_not1_b32 vcc_lo, exec_lo, s4
	s_cbranch_vccnz .LBB94_3248
.LBB94_3247:
	global_load_u8 v5, v[10:11], off
	s_mov_b32 s0, 0
	s_mov_b32 s5, -1
	s_wait_loadcnt 0x1
	v_mov_b32_e32 v13, s0
	s_wait_loadcnt 0x0
	v_cmp_ne_u16_e32 vcc_lo, 0, v5
	v_cndmask_b32_e64 v12, 0, 1, vcc_lo
.LBB94_3248:
	s_mov_b32 s0, 0
.LBB94_3249:
	s_delay_alu instid0(SALU_CYCLE_1)
	s_and_b32 vcc_lo, exec_lo, s0
	s_cbranch_vccz .LBB94_3298
; %bb.3250:
	s_and_b32 s0, 0xffff, s51
	s_delay_alu instid0(SALU_CYCLE_1)
	s_cmp_lt_i32 s0, 5
	s_cbranch_scc1 .LBB94_3255
; %bb.3251:
	s_cmp_lt_i32 s0, 8
	s_cbranch_scc1 .LBB94_3256
; %bb.3252:
	;; [unrolled: 3-line block ×3, first 2 shown]
	s_cmp_gt_i32 s0, 9
	s_cbranch_scc0 .LBB94_3258
; %bb.3254:
	s_wait_loadcnt 0x0
	global_load_b64 v[12:13], v[10:11], off
	s_mov_b32 s1, 0
	s_wait_loadcnt 0x0
	v_trunc_f64_e32 v[12:13], v[12:13]
	s_delay_alu instid0(VALU_DEP_1) | instskip(NEXT) | instid1(VALU_DEP_1)
	v_ldexp_f64 v[14:15], v[12:13], 0xffffffe0
	v_floor_f64_e32 v[14:15], v[14:15]
	s_delay_alu instid0(VALU_DEP_1) | instskip(SKIP_1) | instid1(VALU_DEP_2)
	v_fmamk_f64 v[16:17], v[14:15], 0xc1f00000, v[12:13]
	v_cvt_i32_f64_e32 v13, v[14:15]
	v_cvt_u32_f64_e32 v12, v[16:17]
	s_branch .LBB94_3259
.LBB94_3255:
	s_mov_b32 s1, -1
                                        ; implicit-def: $vgpr12_vgpr13
	s_branch .LBB94_3277
.LBB94_3256:
	s_mov_b32 s1, -1
                                        ; implicit-def: $vgpr12_vgpr13
	s_branch .LBB94_3265
.LBB94_3257:
	s_mov_b32 s1, -1
                                        ; implicit-def: $vgpr12_vgpr13
	s_branch .LBB94_3262
.LBB94_3258:
	s_mov_b32 s1, -1
                                        ; implicit-def: $vgpr12_vgpr13
.LBB94_3259:
	s_delay_alu instid0(SALU_CYCLE_1)
	s_and_not1_b32 vcc_lo, exec_lo, s1
	s_cbranch_vccnz .LBB94_3261
; %bb.3260:
	global_load_b32 v5, v[10:11], off
	s_wait_loadcnt 0x0
	v_trunc_f32_e32 v5, v5
	s_delay_alu instid0(VALU_DEP_1) | instskip(SKIP_1) | instid1(VALU_DEP_2)
	v_mul_f32_e64 v7, 0x2f800000, |v5|
	v_ashrrev_i32_e32 v12, 31, v5
	v_floor_f32_e32 v7, v7
	s_delay_alu instid0(VALU_DEP_1) | instskip(SKIP_1) | instid1(VALU_DEP_2)
	v_fma_f32 v13, 0xcf800000, v7, |v5|
	v_cvt_u32_f32_e32 v5, v7
	v_cvt_u32_f32_e32 v7, v13
	s_delay_alu instid0(VALU_DEP_2) | instskip(NEXT) | instid1(VALU_DEP_2)
	v_dual_mov_b32 v13, v12 :: v_dual_bitop2_b32 v15, v5, v12 bitop3:0x14
	v_xor_b32_e32 v14, v7, v12
	s_delay_alu instid0(VALU_DEP_1)
	v_sub_nc_u64_e32 v[12:13], v[14:15], v[12:13]
.LBB94_3261:
	s_mov_b32 s1, 0
.LBB94_3262:
	s_delay_alu instid0(SALU_CYCLE_1)
	s_and_not1_b32 vcc_lo, exec_lo, s1
	s_cbranch_vccnz .LBB94_3264
; %bb.3263:
	global_load_b32 v5, v[10:11], off
	s_wait_loadcnt 0x0
	v_cvt_f32_f16_e32 v5, v5
	s_delay_alu instid0(VALU_DEP_1) | instskip(NEXT) | instid1(VALU_DEP_1)
	v_cvt_i32_f32_e32 v12, v5
	v_ashrrev_i32_e32 v13, 31, v12
.LBB94_3264:
	s_mov_b32 s1, 0
.LBB94_3265:
	s_delay_alu instid0(SALU_CYCLE_1)
	s_and_not1_b32 vcc_lo, exec_lo, s1
	s_cbranch_vccnz .LBB94_3276
; %bb.3266:
	s_cmp_lt_i32 s0, 6
	s_cbranch_scc1 .LBB94_3269
; %bb.3267:
	s_cmp_gt_i32 s0, 6
	s_cbranch_scc0 .LBB94_3270
; %bb.3268:
	s_wait_loadcnt 0x0
	global_load_b64 v[12:13], v[10:11], off
	s_mov_b32 s1, 0
	s_wait_loadcnt 0x0
	v_trunc_f64_e32 v[12:13], v[12:13]
	s_delay_alu instid0(VALU_DEP_1) | instskip(NEXT) | instid1(VALU_DEP_1)
	v_ldexp_f64 v[14:15], v[12:13], 0xffffffe0
	v_floor_f64_e32 v[14:15], v[14:15]
	s_delay_alu instid0(VALU_DEP_1) | instskip(SKIP_1) | instid1(VALU_DEP_2)
	v_fmamk_f64 v[16:17], v[14:15], 0xc1f00000, v[12:13]
	v_cvt_i32_f64_e32 v13, v[14:15]
	v_cvt_u32_f64_e32 v12, v[16:17]
	s_branch .LBB94_3271
.LBB94_3269:
	s_mov_b32 s1, -1
                                        ; implicit-def: $vgpr12_vgpr13
	s_branch .LBB94_3274
.LBB94_3270:
	s_mov_b32 s1, -1
                                        ; implicit-def: $vgpr12_vgpr13
.LBB94_3271:
	s_delay_alu instid0(SALU_CYCLE_1)
	s_and_not1_b32 vcc_lo, exec_lo, s1
	s_cbranch_vccnz .LBB94_3273
; %bb.3272:
	global_load_b32 v5, v[10:11], off
	s_wait_loadcnt 0x0
	v_trunc_f32_e32 v5, v5
	s_delay_alu instid0(VALU_DEP_1) | instskip(SKIP_1) | instid1(VALU_DEP_2)
	v_mul_f32_e64 v7, 0x2f800000, |v5|
	v_ashrrev_i32_e32 v12, 31, v5
	v_floor_f32_e32 v7, v7
	s_delay_alu instid0(VALU_DEP_1) | instskip(SKIP_1) | instid1(VALU_DEP_2)
	v_fma_f32 v13, 0xcf800000, v7, |v5|
	v_cvt_u32_f32_e32 v5, v7
	v_cvt_u32_f32_e32 v7, v13
	s_delay_alu instid0(VALU_DEP_2) | instskip(NEXT) | instid1(VALU_DEP_2)
	v_dual_mov_b32 v13, v12 :: v_dual_bitop2_b32 v15, v5, v12 bitop3:0x14
	v_xor_b32_e32 v14, v7, v12
	s_delay_alu instid0(VALU_DEP_1)
	v_sub_nc_u64_e32 v[12:13], v[14:15], v[12:13]
.LBB94_3273:
	s_mov_b32 s1, 0
.LBB94_3274:
	s_delay_alu instid0(SALU_CYCLE_1)
	s_and_not1_b32 vcc_lo, exec_lo, s1
	s_cbranch_vccnz .LBB94_3276
; %bb.3275:
	global_load_u16 v5, v[10:11], off
	s_wait_loadcnt 0x0
	v_cvt_f32_f16_e32 v5, v5
	s_delay_alu instid0(VALU_DEP_1) | instskip(NEXT) | instid1(VALU_DEP_1)
	v_cvt_i32_f32_e32 v12, v5
	v_ashrrev_i32_e32 v13, 31, v12
.LBB94_3276:
	s_mov_b32 s1, 0
.LBB94_3277:
	s_delay_alu instid0(SALU_CYCLE_1)
	s_and_not1_b32 vcc_lo, exec_lo, s1
	s_cbranch_vccnz .LBB94_3297
; %bb.3278:
	s_cmp_lt_i32 s0, 2
	s_cbranch_scc1 .LBB94_3282
; %bb.3279:
	s_cmp_lt_i32 s0, 3
	s_cbranch_scc1 .LBB94_3283
; %bb.3280:
	s_cmp_gt_i32 s0, 3
	s_cbranch_scc0 .LBB94_3284
; %bb.3281:
	s_wait_loadcnt 0x0
	global_load_b64 v[12:13], v[10:11], off
	s_mov_b32 s1, 0
	s_branch .LBB94_3285
.LBB94_3282:
	s_mov_b32 s1, -1
                                        ; implicit-def: $vgpr12_vgpr13
	s_branch .LBB94_3291
.LBB94_3283:
	s_mov_b32 s1, -1
                                        ; implicit-def: $vgpr12_vgpr13
	s_branch .LBB94_3288
.LBB94_3284:
	s_mov_b32 s1, -1
                                        ; implicit-def: $vgpr12_vgpr13
.LBB94_3285:
	s_delay_alu instid0(SALU_CYCLE_1)
	s_and_not1_b32 vcc_lo, exec_lo, s1
	s_cbranch_vccnz .LBB94_3287
; %bb.3286:
	s_wait_loadcnt 0x0
	global_load_b32 v12, v[10:11], off
	s_wait_loadcnt 0x0
	v_ashrrev_i32_e32 v13, 31, v12
.LBB94_3287:
	s_mov_b32 s1, 0
.LBB94_3288:
	s_delay_alu instid0(SALU_CYCLE_1)
	s_and_not1_b32 vcc_lo, exec_lo, s1
	s_cbranch_vccnz .LBB94_3290
; %bb.3289:
	global_load_u16 v5, v[10:11], off
	s_wait_loadcnt 0x0
	v_bfe_i32 v12, v5, 0, 16
	s_delay_alu instid0(VALU_DEP_1)
	v_ashrrev_i32_e32 v13, 31, v12
.LBB94_3290:
	s_mov_b32 s1, 0
.LBB94_3291:
	s_delay_alu instid0(SALU_CYCLE_1)
	s_and_not1_b32 vcc_lo, exec_lo, s1
	s_cbranch_vccnz .LBB94_3297
; %bb.3292:
	s_cmp_gt_i32 s0, 0
	s_mov_b32 s0, 0
	s_cbranch_scc0 .LBB94_3294
; %bb.3293:
	global_load_i8 v5, v[10:11], off
	s_wait_loadcnt 0x0
	v_bfe_i32 v12, v5, 0, 16
	s_delay_alu instid0(VALU_DEP_1)
	v_ashrrev_i32_e32 v13, 31, v12
	s_branch .LBB94_3295
.LBB94_3294:
	s_mov_b32 s0, -1
                                        ; implicit-def: $vgpr12_vgpr13
.LBB94_3295:
	s_delay_alu instid0(SALU_CYCLE_1)
	s_and_not1_b32 vcc_lo, exec_lo, s0
	s_cbranch_vccnz .LBB94_3297
; %bb.3296:
	global_load_u8 v5, v[10:11], off
	s_mov_b32 s0, 0
	s_wait_loadcnt 0x1
	v_mov_b32_e32 v13, s0
	s_wait_loadcnt 0x0
	v_and_b32_e32 v12, 0xffff, v5
.LBB94_3297:
	s_mov_b32 s5, -1
.LBB94_3298:
	s_delay_alu instid0(SALU_CYCLE_1)
	s_and_not1_b32 vcc_lo, exec_lo, s5
	s_cbranch_vccnz .LBB94_3434
; %bb.3299:
	s_clause 0x1
	s_load_b32 s52, s[28:29], 0x44
	s_load_b64 s[14:15], s[28:29], 0x28
	s_wait_kmcnt 0x0
	v_mul_lo_u32 v10, s52, v26
	s_delay_alu instid0(VALU_DEP_1)
	v_dual_mov_b32 v5, 0 :: v_dual_ashrrev_i32 v11, 31, v10
	global_load_u8 v5, v5, s[28:29] offset:245
	v_add_nc_u64_e32 v[14:15], s[14:15], v[10:11]
	s_wait_loadcnt 0x0
	v_and_b32_e32 v7, 0xffff, v5
	v_readfirstlane_b32 s53, v5
	s_delay_alu instid0(VALU_DEP_2)
	v_cmp_gt_i32_e32 vcc_lo, 11, v7
	s_cbranch_vccnz .LBB94_3306
; %bb.3300:
	s_and_b32 s0, 0xffff, s53
	s_mov_b32 s4, 0
	s_cmp_gt_i32 s0, 25
	s_cbranch_scc0 .LBB94_3307
; %bb.3301:
	s_cmp_gt_i32 s0, 28
	s_cbranch_scc0 .LBB94_3308
; %bb.3302:
	;; [unrolled: 3-line block ×4, first 2 shown]
	s_cmp_eq_u32 s0, 46
	s_mov_b32 s16, 0
	s_cbranch_scc0 .LBB94_3312
; %bb.3305:
	global_load_b32 v5, v[14:15], off
	s_mov_b32 s1, 0
	s_mov_b32 s5, -1
	s_wait_loadcnt 0x0
	v_lshlrev_b32_e32 v5, 16, v5
	s_delay_alu instid0(VALU_DEP_1) | instskip(NEXT) | instid1(VALU_DEP_1)
	v_trunc_f32_e32 v5, v5
	v_mul_f32_e64 v7, 0x2f800000, |v5|
	v_ashrrev_i32_e32 v16, 31, v5
	s_delay_alu instid0(VALU_DEP_2) | instskip(NEXT) | instid1(VALU_DEP_2)
	v_floor_f32_e32 v7, v7
	v_mov_b32_e32 v17, v16
	s_delay_alu instid0(VALU_DEP_2) | instskip(SKIP_1) | instid1(VALU_DEP_2)
	v_fma_f32 v11, 0xcf800000, v7, |v5|
	v_cvt_u32_f32_e32 v5, v7
	v_cvt_u32_f32_e32 v7, v11
	s_delay_alu instid0(VALU_DEP_2) | instskip(NEXT) | instid1(VALU_DEP_2)
	v_xor_b32_e32 v19, v5, v16
	v_xor_b32_e32 v18, v7, v16
	s_delay_alu instid0(VALU_DEP_1)
	v_sub_nc_u64_e32 v[16:17], v[18:19], v[16:17]
	s_branch .LBB94_3314
.LBB94_3306:
	s_mov_b32 s0, -1
	s_mov_b32 s5, 0
                                        ; implicit-def: $vgpr16_vgpr17
	s_branch .LBB94_3376
.LBB94_3307:
	s_mov_b32 s16, -1
	s_mov_b32 s5, 0
	s_mov_b32 s1, 0
                                        ; implicit-def: $vgpr16_vgpr17
	s_branch .LBB94_3341
.LBB94_3308:
	s_mov_b32 s16, -1
	s_mov_b32 s5, 0
	s_mov_b32 s1, 0
                                        ; implicit-def: $vgpr16_vgpr17
	s_branch .LBB94_3324
.LBB94_3309:
	s_mov_b32 s16, -1
	s_mov_b32 s5, 0
	s_mov_b32 s1, 0
                                        ; implicit-def: $vgpr16_vgpr17
	s_branch .LBB94_3319
.LBB94_3310:
	s_or_b32 s36, s36, exec_lo
	s_trap 2
	s_cbranch_execz .LBB94_3247
	s_branch .LBB94_3248
.LBB94_3311:
	s_mov_b32 s16, -1
	s_mov_b32 s5, 0
	s_mov_b32 s1, 0
	s_branch .LBB94_3313
.LBB94_3312:
	s_mov_b32 s1, -1
	s_mov_b32 s5, 0
.LBB94_3313:
                                        ; implicit-def: $vgpr16_vgpr17
.LBB94_3314:
	s_and_b32 vcc_lo, exec_lo, s16
	s_cbranch_vccz .LBB94_3318
; %bb.3315:
	s_cmp_eq_u32 s0, 44
	s_cbranch_scc0 .LBB94_3317
; %bb.3316:
	global_load_u8 v5, v[14:15], off
	s_mov_b32 s1, 0
	s_mov_b32 s5, -1
	s_wait_loadcnt 0x0
	v_lshlrev_b32_e32 v7, 23, v5
	v_cmp_ne_u32_e32 vcc_lo, 0, v5
	s_delay_alu instid0(VALU_DEP_2) | instskip(NEXT) | instid1(VALU_DEP_1)
	v_trunc_f32_e32 v7, v7
	v_mul_f32_e64 v11, 0x2f800000, |v7|
	v_ashrrev_i32_e32 v16, 31, v7
	s_delay_alu instid0(VALU_DEP_2) | instskip(NEXT) | instid1(VALU_DEP_1)
	v_floor_f32_e32 v11, v11
	v_fma_f32 v17, 0xcf800000, v11, |v7|
	v_cvt_u32_f32_e32 v7, v11
	s_delay_alu instid0(VALU_DEP_2) | instskip(NEXT) | instid1(VALU_DEP_2)
	v_cvt_u32_f32_e32 v11, v17
	v_dual_mov_b32 v17, v16 :: v_dual_bitop2_b32 v19, v7, v16 bitop3:0x14
	s_delay_alu instid0(VALU_DEP_2) | instskip(NEXT) | instid1(VALU_DEP_1)
	v_xor_b32_e32 v18, v11, v16
	v_sub_nc_u64_e32 v[16:17], v[18:19], v[16:17]
	s_delay_alu instid0(VALU_DEP_1)
	v_dual_cndmask_b32 v17, 0, v17 :: v_dual_cndmask_b32 v16, 0, v16
	s_branch .LBB94_3318
.LBB94_3317:
	s_mov_b32 s1, -1
                                        ; implicit-def: $vgpr16_vgpr17
.LBB94_3318:
	s_mov_b32 s16, 0
.LBB94_3319:
	s_delay_alu instid0(SALU_CYCLE_1)
	s_and_b32 vcc_lo, exec_lo, s16
	s_cbranch_vccz .LBB94_3323
; %bb.3320:
	s_cmp_eq_u32 s0, 29
	s_cbranch_scc0 .LBB94_3322
; %bb.3321:
	global_load_b64 v[16:17], v[14:15], off
	s_mov_b32 s1, 0
	s_mov_b32 s5, -1
	s_branch .LBB94_3323
.LBB94_3322:
	s_mov_b32 s1, -1
                                        ; implicit-def: $vgpr16_vgpr17
.LBB94_3323:
	s_mov_b32 s16, 0
.LBB94_3324:
	s_delay_alu instid0(SALU_CYCLE_1)
	s_and_b32 vcc_lo, exec_lo, s16
	s_cbranch_vccz .LBB94_3340
; %bb.3325:
	s_cmp_lt_i32 s0, 27
	s_cbranch_scc1 .LBB94_3328
; %bb.3326:
	s_cmp_gt_i32 s0, 27
	s_cbranch_scc0 .LBB94_3329
; %bb.3327:
	s_wait_loadcnt 0x0
	global_load_b32 v16, v[14:15], off
	v_mov_b32_e32 v17, 0
	s_mov_b32 s5, 0
	s_branch .LBB94_3330
.LBB94_3328:
	s_mov_b32 s5, -1
                                        ; implicit-def: $vgpr16_vgpr17
	s_branch .LBB94_3333
.LBB94_3329:
	s_mov_b32 s5, -1
                                        ; implicit-def: $vgpr16_vgpr17
.LBB94_3330:
	s_delay_alu instid0(SALU_CYCLE_1)
	s_and_not1_b32 vcc_lo, exec_lo, s5
	s_cbranch_vccnz .LBB94_3332
; %bb.3331:
	global_load_u16 v5, v[14:15], off
	s_mov_b32 s5, 0
	s_wait_loadcnt 0x1
	v_mov_b32_e32 v17, s5
	s_wait_loadcnt 0x0
	v_and_b32_e32 v16, 0xffff, v5
.LBB94_3332:
	s_mov_b32 s5, 0
.LBB94_3333:
	s_delay_alu instid0(SALU_CYCLE_1)
	s_and_not1_b32 vcc_lo, exec_lo, s5
	s_cbranch_vccnz .LBB94_3339
; %bb.3334:
	global_load_u8 v5, v[14:15], off
	s_mov_b32 s16, 0
	s_mov_b32 s5, exec_lo
	s_wait_loadcnt 0x0
	v_cmpx_lt_i16_e32 0x7f, v5
	s_xor_b32 s5, exec_lo, s5
	s_cbranch_execz .LBB94_3351
; %bb.3335:
	v_cmp_ne_u16_e32 vcc_lo, 0x80, v5
	s_and_b32 s16, vcc_lo, exec_lo
	s_and_not1_saveexec_b32 s5, s5
	s_cbranch_execnz .LBB94_3352
.LBB94_3336:
	s_or_b32 exec_lo, exec_lo, s5
	v_mov_b64_e32 v[16:17], 0
	s_and_saveexec_b32 s5, s16
	s_cbranch_execz .LBB94_3338
.LBB94_3337:
	v_and_b32_e32 v7, 0xffff, v5
	s_delay_alu instid0(VALU_DEP_1) | instskip(SKIP_1) | instid1(VALU_DEP_2)
	v_and_b32_e32 v11, 7, v7
	v_bfe_u32 v18, v7, 3, 4
	v_clz_i32_u32_e32 v16, v11
	s_delay_alu instid0(VALU_DEP_2) | instskip(NEXT) | instid1(VALU_DEP_2)
	v_cmp_eq_u32_e32 vcc_lo, 0, v18
	v_min_u32_e32 v16, 32, v16
	s_delay_alu instid0(VALU_DEP_1) | instskip(NEXT) | instid1(VALU_DEP_1)
	v_subrev_nc_u32_e32 v17, 28, v16
	v_dual_lshlrev_b32 v7, v17, v7 :: v_dual_sub_nc_u32 v16, 29, v16
	s_delay_alu instid0(VALU_DEP_1) | instskip(NEXT) | instid1(VALU_DEP_1)
	v_dual_lshlrev_b32 v5, 24, v5 :: v_dual_bitop2_b32 v7, 7, v7 bitop3:0x40
	v_dual_cndmask_b32 v16, v18, v16 :: v_dual_cndmask_b32 v7, v11, v7
	s_delay_alu instid0(VALU_DEP_2) | instskip(NEXT) | instid1(VALU_DEP_2)
	v_and_b32_e32 v5, 0x80000000, v5
	v_lshl_add_u32 v11, v16, 23, 0x3b800000
	s_delay_alu instid0(VALU_DEP_3) | instskip(NEXT) | instid1(VALU_DEP_1)
	v_lshlrev_b32_e32 v7, 20, v7
	v_or3_b32 v5, v5, v11, v7
	s_delay_alu instid0(VALU_DEP_1) | instskip(NEXT) | instid1(VALU_DEP_1)
	v_trunc_f32_e32 v5, v5
	v_mul_f32_e64 v7, 0x2f800000, |v5|
	v_ashrrev_i32_e32 v16, 31, v5
	s_delay_alu instid0(VALU_DEP_2) | instskip(NEXT) | instid1(VALU_DEP_2)
	v_floor_f32_e32 v7, v7
	v_mov_b32_e32 v17, v16
	s_delay_alu instid0(VALU_DEP_2) | instskip(SKIP_1) | instid1(VALU_DEP_2)
	v_fma_f32 v11, 0xcf800000, v7, |v5|
	v_cvt_u32_f32_e32 v5, v7
	v_cvt_u32_f32_e32 v7, v11
	s_delay_alu instid0(VALU_DEP_2) | instskip(NEXT) | instid1(VALU_DEP_2)
	v_xor_b32_e32 v19, v5, v16
	v_xor_b32_e32 v18, v7, v16
	s_delay_alu instid0(VALU_DEP_1)
	v_sub_nc_u64_e32 v[16:17], v[18:19], v[16:17]
.LBB94_3338:
	s_or_b32 exec_lo, exec_lo, s5
.LBB94_3339:
	s_mov_b32 s5, -1
.LBB94_3340:
	s_mov_b32 s16, 0
.LBB94_3341:
	s_delay_alu instid0(SALU_CYCLE_1)
	s_and_b32 vcc_lo, exec_lo, s16
	s_cbranch_vccz .LBB94_3372
; %bb.3342:
	s_cmp_gt_i32 s0, 22
	s_cbranch_scc0 .LBB94_3350
; %bb.3343:
	s_cmp_lt_i32 s0, 24
	s_cbranch_scc1 .LBB94_3353
; %bb.3344:
	s_cmp_gt_i32 s0, 24
	s_cbranch_scc0 .LBB94_3354
; %bb.3345:
	global_load_u8 v5, v[14:15], off
	s_mov_b32 s5, 0
	s_mov_b32 s4, exec_lo
	s_wait_loadcnt 0x0
	v_cmpx_lt_i16_e32 0x7f, v5
	s_xor_b32 s4, exec_lo, s4
	s_cbranch_execz .LBB94_3366
; %bb.3346:
	v_cmp_ne_u16_e32 vcc_lo, 0x80, v5
	s_and_b32 s5, vcc_lo, exec_lo
	s_and_not1_saveexec_b32 s4, s4
	s_cbranch_execnz .LBB94_3367
.LBB94_3347:
	s_or_b32 exec_lo, exec_lo, s4
	v_mov_b64_e32 v[16:17], 0
	s_and_saveexec_b32 s4, s5
	s_cbranch_execz .LBB94_3349
.LBB94_3348:
	v_and_b32_e32 v7, 0xffff, v5
	s_delay_alu instid0(VALU_DEP_1) | instskip(SKIP_1) | instid1(VALU_DEP_2)
	v_and_b32_e32 v11, 3, v7
	v_bfe_u32 v18, v7, 2, 5
	v_clz_i32_u32_e32 v16, v11
	s_delay_alu instid0(VALU_DEP_2) | instskip(NEXT) | instid1(VALU_DEP_2)
	v_cmp_eq_u32_e32 vcc_lo, 0, v18
	v_min_u32_e32 v16, 32, v16
	s_delay_alu instid0(VALU_DEP_1) | instskip(NEXT) | instid1(VALU_DEP_1)
	v_subrev_nc_u32_e32 v17, 29, v16
	v_dual_lshlrev_b32 v7, v17, v7 :: v_dual_sub_nc_u32 v16, 30, v16
	s_delay_alu instid0(VALU_DEP_1) | instskip(NEXT) | instid1(VALU_DEP_1)
	v_dual_lshlrev_b32 v5, 24, v5 :: v_dual_bitop2_b32 v7, 3, v7 bitop3:0x40
	v_dual_cndmask_b32 v16, v18, v16 :: v_dual_cndmask_b32 v7, v11, v7
	s_delay_alu instid0(VALU_DEP_2) | instskip(NEXT) | instid1(VALU_DEP_2)
	v_and_b32_e32 v5, 0x80000000, v5
	v_lshl_add_u32 v11, v16, 23, 0x37800000
	s_delay_alu instid0(VALU_DEP_3) | instskip(NEXT) | instid1(VALU_DEP_1)
	v_lshlrev_b32_e32 v7, 21, v7
	v_or3_b32 v5, v5, v11, v7
	s_delay_alu instid0(VALU_DEP_1) | instskip(NEXT) | instid1(VALU_DEP_1)
	v_trunc_f32_e32 v5, v5
	v_mul_f32_e64 v7, 0x2f800000, |v5|
	v_ashrrev_i32_e32 v16, 31, v5
	s_delay_alu instid0(VALU_DEP_2) | instskip(NEXT) | instid1(VALU_DEP_2)
	v_floor_f32_e32 v7, v7
	v_mov_b32_e32 v17, v16
	s_delay_alu instid0(VALU_DEP_2) | instskip(SKIP_1) | instid1(VALU_DEP_2)
	v_fma_f32 v11, 0xcf800000, v7, |v5|
	v_cvt_u32_f32_e32 v5, v7
	v_cvt_u32_f32_e32 v7, v11
	s_delay_alu instid0(VALU_DEP_2) | instskip(NEXT) | instid1(VALU_DEP_2)
	v_xor_b32_e32 v19, v5, v16
	v_xor_b32_e32 v18, v7, v16
	s_delay_alu instid0(VALU_DEP_1)
	v_sub_nc_u64_e32 v[16:17], v[18:19], v[16:17]
.LBB94_3349:
	s_or_b32 exec_lo, exec_lo, s4
	s_mov_b32 s4, 0
	s_branch .LBB94_3355
.LBB94_3350:
	s_mov_b32 s4, -1
                                        ; implicit-def: $vgpr16_vgpr17
	s_branch .LBB94_3361
.LBB94_3351:
	s_and_not1_saveexec_b32 s5, s5
	s_cbranch_execz .LBB94_3336
.LBB94_3352:
	v_cmp_ne_u16_e32 vcc_lo, 0, v5
	s_and_not1_b32 s16, s16, exec_lo
	s_and_b32 s17, vcc_lo, exec_lo
	s_delay_alu instid0(SALU_CYCLE_1)
	s_or_b32 s16, s16, s17
	s_or_b32 exec_lo, exec_lo, s5
	v_mov_b64_e32 v[16:17], 0
	s_and_saveexec_b32 s5, s16
	s_cbranch_execnz .LBB94_3337
	s_branch .LBB94_3338
.LBB94_3353:
	s_mov_b32 s4, -1
                                        ; implicit-def: $vgpr16_vgpr17
	s_branch .LBB94_3358
.LBB94_3354:
	s_mov_b32 s4, -1
                                        ; implicit-def: $vgpr16_vgpr17
.LBB94_3355:
	s_delay_alu instid0(SALU_CYCLE_1)
	s_and_b32 vcc_lo, exec_lo, s4
	s_cbranch_vccz .LBB94_3357
; %bb.3356:
	global_load_u8 v5, v[14:15], off
	s_wait_loadcnt 0x0
	v_lshlrev_b32_e32 v5, 24, v5
	s_delay_alu instid0(VALU_DEP_1) | instskip(NEXT) | instid1(VALU_DEP_1)
	v_and_b32_e32 v7, 0x7f000000, v5
	v_clz_i32_u32_e32 v11, v7
	v_add_nc_u32_e32 v17, 0x1000000, v7
	v_cmp_ne_u32_e32 vcc_lo, 0, v7
	s_delay_alu instid0(VALU_DEP_3) | instskip(NEXT) | instid1(VALU_DEP_1)
	v_min_u32_e32 v11, 32, v11
	v_sub_nc_u32_e64 v11, v11, 4 clamp
	s_delay_alu instid0(VALU_DEP_1) | instskip(NEXT) | instid1(VALU_DEP_1)
	v_lshlrev_b32_e32 v16, v11, v7
	v_dual_lshlrev_b32 v11, 23, v11 :: v_dual_lshrrev_b32 v16, 4, v16
	s_delay_alu instid0(VALU_DEP_1) | instskip(NEXT) | instid1(VALU_DEP_1)
	v_dual_sub_nc_u32 v11, v16, v11 :: v_dual_ashrrev_i32 v16, 8, v17
	v_add_nc_u32_e32 v11, 0x3c000000, v11
	s_delay_alu instid0(VALU_DEP_1) | instskip(NEXT) | instid1(VALU_DEP_1)
	v_and_or_b32 v11, 0x7f800000, v16, v11
	v_cndmask_b32_e32 v7, 0, v11, vcc_lo
	s_delay_alu instid0(VALU_DEP_1) | instskip(NEXT) | instid1(VALU_DEP_1)
	v_and_or_b32 v5, 0x80000000, v5, v7
	v_trunc_f32_e32 v5, v5
	s_delay_alu instid0(VALU_DEP_1) | instskip(SKIP_1) | instid1(VALU_DEP_2)
	v_mul_f32_e64 v7, 0x2f800000, |v5|
	v_ashrrev_i32_e32 v16, 31, v5
	v_floor_f32_e32 v7, v7
	s_delay_alu instid0(VALU_DEP_1) | instskip(SKIP_1) | instid1(VALU_DEP_4)
	v_fma_f32 v11, 0xcf800000, v7, |v5|
	v_cvt_u32_f32_e32 v5, v7
	v_mov_b32_e32 v17, v16
	s_delay_alu instid0(VALU_DEP_3) | instskip(NEXT) | instid1(VALU_DEP_3)
	v_cvt_u32_f32_e32 v7, v11
	v_xor_b32_e32 v19, v5, v16
	s_delay_alu instid0(VALU_DEP_2) | instskip(NEXT) | instid1(VALU_DEP_1)
	v_xor_b32_e32 v18, v7, v16
	v_sub_nc_u64_e32 v[16:17], v[18:19], v[16:17]
.LBB94_3357:
	s_mov_b32 s4, 0
.LBB94_3358:
	s_delay_alu instid0(SALU_CYCLE_1)
	s_and_not1_b32 vcc_lo, exec_lo, s4
	s_cbranch_vccnz .LBB94_3360
; %bb.3359:
	global_load_u8 v5, v[14:15], off
	s_wait_loadcnt 0x0
	v_lshlrev_b32_e32 v7, 25, v5
	v_lshlrev_b16 v5, 8, v5
	s_delay_alu instid0(VALU_DEP_1) | instskip(SKIP_1) | instid1(VALU_DEP_2)
	v_and_or_b32 v16, 0x7f00, v5, 0.5
	v_bfe_i32 v5, v5, 0, 16
	v_dual_add_f32 v16, -0.5, v16 :: v_dual_lshrrev_b32 v11, 4, v7
	v_cmp_gt_u32_e32 vcc_lo, 0x8000000, v7
	s_delay_alu instid0(VALU_DEP_2) | instskip(NEXT) | instid1(VALU_DEP_1)
	v_or_b32_e32 v11, 0x70000000, v11
	v_mul_f32_e32 v11, 0x7800000, v11
	s_delay_alu instid0(VALU_DEP_1) | instskip(NEXT) | instid1(VALU_DEP_1)
	v_cndmask_b32_e32 v7, v11, v16, vcc_lo
	v_and_or_b32 v5, 0x80000000, v5, v7
	s_delay_alu instid0(VALU_DEP_1) | instskip(NEXT) | instid1(VALU_DEP_1)
	v_trunc_f32_e32 v5, v5
	v_mul_f32_e64 v7, 0x2f800000, |v5|
	v_ashrrev_i32_e32 v16, 31, v5
	s_delay_alu instid0(VALU_DEP_2) | instskip(NEXT) | instid1(VALU_DEP_2)
	v_floor_f32_e32 v7, v7
	v_mov_b32_e32 v17, v16
	s_delay_alu instid0(VALU_DEP_2) | instskip(SKIP_1) | instid1(VALU_DEP_2)
	v_fma_f32 v11, 0xcf800000, v7, |v5|
	v_cvt_u32_f32_e32 v5, v7
	v_cvt_u32_f32_e32 v7, v11
	s_delay_alu instid0(VALU_DEP_2) | instskip(NEXT) | instid1(VALU_DEP_2)
	v_xor_b32_e32 v19, v5, v16
	v_xor_b32_e32 v18, v7, v16
	s_delay_alu instid0(VALU_DEP_1)
	v_sub_nc_u64_e32 v[16:17], v[18:19], v[16:17]
.LBB94_3360:
	s_mov_b32 s4, 0
	s_mov_b32 s5, -1
.LBB94_3361:
	s_and_not1_b32 vcc_lo, exec_lo, s4
	s_mov_b32 s4, 0
	s_cbranch_vccnz .LBB94_3372
; %bb.3362:
	s_cmp_gt_i32 s0, 14
	s_cbranch_scc0 .LBB94_3365
; %bb.3363:
	s_cmp_eq_u32 s0, 15
	s_cbranch_scc0 .LBB94_3368
; %bb.3364:
	global_load_u16 v5, v[14:15], off
	s_mov_b32 s1, 0
	s_mov_b32 s5, -1
	s_wait_loadcnt 0x0
	v_lshlrev_b32_e32 v5, 16, v5
	s_delay_alu instid0(VALU_DEP_1) | instskip(NEXT) | instid1(VALU_DEP_1)
	v_trunc_f32_e32 v5, v5
	v_mul_f32_e64 v7, 0x2f800000, |v5|
	v_ashrrev_i32_e32 v16, 31, v5
	s_delay_alu instid0(VALU_DEP_2) | instskip(NEXT) | instid1(VALU_DEP_2)
	v_floor_f32_e32 v7, v7
	v_mov_b32_e32 v17, v16
	s_delay_alu instid0(VALU_DEP_2) | instskip(SKIP_1) | instid1(VALU_DEP_2)
	v_fma_f32 v11, 0xcf800000, v7, |v5|
	v_cvt_u32_f32_e32 v5, v7
	v_cvt_u32_f32_e32 v7, v11
	s_delay_alu instid0(VALU_DEP_2) | instskip(NEXT) | instid1(VALU_DEP_2)
	v_xor_b32_e32 v19, v5, v16
	v_xor_b32_e32 v18, v7, v16
	s_delay_alu instid0(VALU_DEP_1)
	v_sub_nc_u64_e32 v[16:17], v[18:19], v[16:17]
	s_branch .LBB94_3370
.LBB94_3365:
	s_mov_b32 s4, -1
	s_branch .LBB94_3369
.LBB94_3366:
	s_and_not1_saveexec_b32 s4, s4
	s_cbranch_execz .LBB94_3347
.LBB94_3367:
	v_cmp_ne_u16_e32 vcc_lo, 0, v5
	s_and_not1_b32 s5, s5, exec_lo
	s_and_b32 s16, vcc_lo, exec_lo
	s_delay_alu instid0(SALU_CYCLE_1)
	s_or_b32 s5, s5, s16
	s_or_b32 exec_lo, exec_lo, s4
	v_mov_b64_e32 v[16:17], 0
	s_and_saveexec_b32 s4, s5
	s_cbranch_execnz .LBB94_3348
	s_branch .LBB94_3349
.LBB94_3368:
	s_mov_b32 s1, -1
.LBB94_3369:
                                        ; implicit-def: $vgpr16_vgpr17
.LBB94_3370:
	s_and_b32 vcc_lo, exec_lo, s4
	s_mov_b32 s4, 0
	s_cbranch_vccz .LBB94_3372
; %bb.3371:
	s_cmp_lg_u32 s0, 11
	s_mov_b32 s4, -1
	s_cselect_b32 s1, -1, 0
.LBB94_3372:
	s_delay_alu instid0(SALU_CYCLE_1)
	s_and_b32 vcc_lo, exec_lo, s1
	s_cbranch_vccnz .LBB94_3499
; %bb.3373:
	s_and_not1_b32 vcc_lo, exec_lo, s4
	s_cbranch_vccnz .LBB94_3375
.LBB94_3374:
	global_load_u8 v5, v[14:15], off
	s_mov_b32 s0, 0
	s_mov_b32 s5, -1
	s_wait_loadcnt 0x1
	v_mov_b32_e32 v17, s0
	s_wait_loadcnt 0x0
	v_cmp_ne_u16_e32 vcc_lo, 0, v5
	v_cndmask_b32_e64 v16, 0, 1, vcc_lo
.LBB94_3375:
	s_mov_b32 s0, 0
.LBB94_3376:
	s_delay_alu instid0(SALU_CYCLE_1)
	s_and_b32 vcc_lo, exec_lo, s0
	s_cbranch_vccz .LBB94_3425
; %bb.3377:
	s_and_b32 s0, 0xffff, s53
	s_delay_alu instid0(SALU_CYCLE_1)
	s_cmp_lt_i32 s0, 5
	s_cbranch_scc1 .LBB94_3382
; %bb.3378:
	s_cmp_lt_i32 s0, 8
	s_cbranch_scc1 .LBB94_3383
; %bb.3379:
	;; [unrolled: 3-line block ×3, first 2 shown]
	s_cmp_gt_i32 s0, 9
	s_cbranch_scc0 .LBB94_3385
; %bb.3381:
	s_wait_loadcnt 0x0
	global_load_b64 v[16:17], v[14:15], off
	s_mov_b32 s1, 0
	s_wait_loadcnt 0x0
	v_trunc_f64_e32 v[16:17], v[16:17]
	s_delay_alu instid0(VALU_DEP_1) | instskip(NEXT) | instid1(VALU_DEP_1)
	v_ldexp_f64 v[18:19], v[16:17], 0xffffffe0
	v_floor_f64_e32 v[18:19], v[18:19]
	s_delay_alu instid0(VALU_DEP_1) | instskip(SKIP_1) | instid1(VALU_DEP_2)
	v_fmamk_f64 v[20:21], v[18:19], 0xc1f00000, v[16:17]
	v_cvt_i32_f64_e32 v17, v[18:19]
	v_cvt_u32_f64_e32 v16, v[20:21]
	s_branch .LBB94_3386
.LBB94_3382:
	s_mov_b32 s1, -1
                                        ; implicit-def: $vgpr16_vgpr17
	s_branch .LBB94_3404
.LBB94_3383:
	s_mov_b32 s1, -1
                                        ; implicit-def: $vgpr16_vgpr17
	s_branch .LBB94_3392
.LBB94_3384:
	s_mov_b32 s1, -1
                                        ; implicit-def: $vgpr16_vgpr17
	s_branch .LBB94_3389
.LBB94_3385:
	s_mov_b32 s1, -1
                                        ; implicit-def: $vgpr16_vgpr17
.LBB94_3386:
	s_delay_alu instid0(SALU_CYCLE_1)
	s_and_not1_b32 vcc_lo, exec_lo, s1
	s_cbranch_vccnz .LBB94_3388
; %bb.3387:
	global_load_b32 v5, v[14:15], off
	s_wait_loadcnt 0x0
	v_trunc_f32_e32 v5, v5
	s_delay_alu instid0(VALU_DEP_1) | instskip(SKIP_1) | instid1(VALU_DEP_2)
	v_mul_f32_e64 v7, 0x2f800000, |v5|
	v_ashrrev_i32_e32 v16, 31, v5
	v_floor_f32_e32 v7, v7
	s_delay_alu instid0(VALU_DEP_1) | instskip(SKIP_1) | instid1(VALU_DEP_4)
	v_fma_f32 v11, 0xcf800000, v7, |v5|
	v_cvt_u32_f32_e32 v5, v7
	v_mov_b32_e32 v17, v16
	s_delay_alu instid0(VALU_DEP_3) | instskip(NEXT) | instid1(VALU_DEP_3)
	v_cvt_u32_f32_e32 v7, v11
	v_xor_b32_e32 v19, v5, v16
	s_delay_alu instid0(VALU_DEP_2) | instskip(NEXT) | instid1(VALU_DEP_1)
	v_xor_b32_e32 v18, v7, v16
	v_sub_nc_u64_e32 v[16:17], v[18:19], v[16:17]
.LBB94_3388:
	s_mov_b32 s1, 0
.LBB94_3389:
	s_delay_alu instid0(SALU_CYCLE_1)
	s_and_not1_b32 vcc_lo, exec_lo, s1
	s_cbranch_vccnz .LBB94_3391
; %bb.3390:
	global_load_b32 v5, v[14:15], off
	s_wait_loadcnt 0x0
	v_cvt_f32_f16_e32 v5, v5
	s_delay_alu instid0(VALU_DEP_1) | instskip(NEXT) | instid1(VALU_DEP_1)
	v_cvt_i32_f32_e32 v16, v5
	v_ashrrev_i32_e32 v17, 31, v16
.LBB94_3391:
	s_mov_b32 s1, 0
.LBB94_3392:
	s_delay_alu instid0(SALU_CYCLE_1)
	s_and_not1_b32 vcc_lo, exec_lo, s1
	s_cbranch_vccnz .LBB94_3403
; %bb.3393:
	s_cmp_lt_i32 s0, 6
	s_cbranch_scc1 .LBB94_3396
; %bb.3394:
	s_cmp_gt_i32 s0, 6
	s_cbranch_scc0 .LBB94_3397
; %bb.3395:
	s_wait_loadcnt 0x0
	global_load_b64 v[16:17], v[14:15], off
	s_mov_b32 s1, 0
	s_wait_loadcnt 0x0
	v_trunc_f64_e32 v[16:17], v[16:17]
	s_delay_alu instid0(VALU_DEP_1) | instskip(NEXT) | instid1(VALU_DEP_1)
	v_ldexp_f64 v[18:19], v[16:17], 0xffffffe0
	v_floor_f64_e32 v[18:19], v[18:19]
	s_delay_alu instid0(VALU_DEP_1) | instskip(SKIP_1) | instid1(VALU_DEP_2)
	v_fmamk_f64 v[20:21], v[18:19], 0xc1f00000, v[16:17]
	v_cvt_i32_f64_e32 v17, v[18:19]
	v_cvt_u32_f64_e32 v16, v[20:21]
	s_branch .LBB94_3398
.LBB94_3396:
	s_mov_b32 s1, -1
                                        ; implicit-def: $vgpr16_vgpr17
	s_branch .LBB94_3401
.LBB94_3397:
	s_mov_b32 s1, -1
                                        ; implicit-def: $vgpr16_vgpr17
.LBB94_3398:
	s_delay_alu instid0(SALU_CYCLE_1)
	s_and_not1_b32 vcc_lo, exec_lo, s1
	s_cbranch_vccnz .LBB94_3400
; %bb.3399:
	global_load_b32 v5, v[14:15], off
	s_wait_loadcnt 0x0
	v_trunc_f32_e32 v5, v5
	s_delay_alu instid0(VALU_DEP_1) | instskip(SKIP_1) | instid1(VALU_DEP_2)
	v_mul_f32_e64 v7, 0x2f800000, |v5|
	v_ashrrev_i32_e32 v16, 31, v5
	v_floor_f32_e32 v7, v7
	s_delay_alu instid0(VALU_DEP_1) | instskip(SKIP_1) | instid1(VALU_DEP_4)
	v_fma_f32 v11, 0xcf800000, v7, |v5|
	v_cvt_u32_f32_e32 v5, v7
	v_mov_b32_e32 v17, v16
	s_delay_alu instid0(VALU_DEP_3) | instskip(NEXT) | instid1(VALU_DEP_3)
	v_cvt_u32_f32_e32 v7, v11
	v_xor_b32_e32 v19, v5, v16
	s_delay_alu instid0(VALU_DEP_2) | instskip(NEXT) | instid1(VALU_DEP_1)
	v_xor_b32_e32 v18, v7, v16
	v_sub_nc_u64_e32 v[16:17], v[18:19], v[16:17]
.LBB94_3400:
	s_mov_b32 s1, 0
.LBB94_3401:
	s_delay_alu instid0(SALU_CYCLE_1)
	s_and_not1_b32 vcc_lo, exec_lo, s1
	s_cbranch_vccnz .LBB94_3403
; %bb.3402:
	global_load_u16 v5, v[14:15], off
	s_wait_loadcnt 0x0
	v_cvt_f32_f16_e32 v5, v5
	s_delay_alu instid0(VALU_DEP_1) | instskip(NEXT) | instid1(VALU_DEP_1)
	v_cvt_i32_f32_e32 v16, v5
	v_ashrrev_i32_e32 v17, 31, v16
.LBB94_3403:
	s_mov_b32 s1, 0
.LBB94_3404:
	s_delay_alu instid0(SALU_CYCLE_1)
	s_and_not1_b32 vcc_lo, exec_lo, s1
	s_cbranch_vccnz .LBB94_3424
; %bb.3405:
	s_cmp_lt_i32 s0, 2
	s_cbranch_scc1 .LBB94_3409
; %bb.3406:
	s_cmp_lt_i32 s0, 3
	s_cbranch_scc1 .LBB94_3410
; %bb.3407:
	s_cmp_gt_i32 s0, 3
	s_cbranch_scc0 .LBB94_3411
; %bb.3408:
	s_wait_loadcnt 0x0
	global_load_b64 v[16:17], v[14:15], off
	s_mov_b32 s1, 0
	s_branch .LBB94_3412
.LBB94_3409:
	s_mov_b32 s1, -1
                                        ; implicit-def: $vgpr16_vgpr17
	s_branch .LBB94_3418
.LBB94_3410:
	s_mov_b32 s1, -1
                                        ; implicit-def: $vgpr16_vgpr17
	s_branch .LBB94_3415
.LBB94_3411:
	s_mov_b32 s1, -1
                                        ; implicit-def: $vgpr16_vgpr17
.LBB94_3412:
	s_delay_alu instid0(SALU_CYCLE_1)
	s_and_not1_b32 vcc_lo, exec_lo, s1
	s_cbranch_vccnz .LBB94_3414
; %bb.3413:
	s_wait_loadcnt 0x0
	global_load_b32 v16, v[14:15], off
	s_wait_loadcnt 0x0
	v_ashrrev_i32_e32 v17, 31, v16
.LBB94_3414:
	s_mov_b32 s1, 0
.LBB94_3415:
	s_delay_alu instid0(SALU_CYCLE_1)
	s_and_not1_b32 vcc_lo, exec_lo, s1
	s_cbranch_vccnz .LBB94_3417
; %bb.3416:
	global_load_u16 v5, v[14:15], off
	s_wait_loadcnt 0x0
	v_bfe_i32 v16, v5, 0, 16
	s_delay_alu instid0(VALU_DEP_1)
	v_ashrrev_i32_e32 v17, 31, v16
.LBB94_3417:
	s_mov_b32 s1, 0
.LBB94_3418:
	s_delay_alu instid0(SALU_CYCLE_1)
	s_and_not1_b32 vcc_lo, exec_lo, s1
	s_cbranch_vccnz .LBB94_3424
; %bb.3419:
	s_cmp_gt_i32 s0, 0
	s_mov_b32 s0, 0
	s_cbranch_scc0 .LBB94_3421
; %bb.3420:
	global_load_i8 v5, v[14:15], off
	s_wait_loadcnt 0x0
	v_bfe_i32 v16, v5, 0, 16
	s_delay_alu instid0(VALU_DEP_1)
	v_ashrrev_i32_e32 v17, 31, v16
	s_branch .LBB94_3422
.LBB94_3421:
	s_mov_b32 s0, -1
                                        ; implicit-def: $vgpr16_vgpr17
.LBB94_3422:
	s_delay_alu instid0(SALU_CYCLE_1)
	s_and_not1_b32 vcc_lo, exec_lo, s0
	s_cbranch_vccnz .LBB94_3424
; %bb.3423:
	global_load_u8 v5, v[14:15], off
	s_mov_b32 s0, 0
	s_wait_loadcnt 0x1
	v_mov_b32_e32 v17, s0
	s_wait_loadcnt 0x0
	v_and_b32_e32 v16, 0xffff, v5
.LBB94_3424:
	s_mov_b32 s5, -1
.LBB94_3425:
	s_delay_alu instid0(SALU_CYCLE_1)
	s_and_not1_b32 vcc_lo, exec_lo, s5
	s_cbranch_vccnz .LBB94_3434
; %bb.3426:
	s_load_b64 s[0:1], s[28:29], 0x48
	s_get_pc_i64 s[4:5]
	s_add_nc_u64 s[4:5], s[4:5], .str.6@rel64+4
	s_delay_alu instid0(SALU_CYCLE_1) | instskip(SKIP_3) | instid1(SALU_CYCLE_1)
	s_cmp_eq_u64 s[4:5], 0
	s_wait_kmcnt 0x0
	v_cmp_ne_u64_e32 vcc_lo, s[0:1], v[0:1]
	s_cselect_b32 s0, -1, 0
	s_or_b32 s0, s0, vcc_lo
	s_delay_alu instid0(SALU_CYCLE_1) | instskip(NEXT) | instid1(SALU_CYCLE_1)
	s_and_saveexec_b32 s1, s0
	s_xor_b32 s0, exec_lo, s1
	s_cbranch_execnz .LBB94_3809
.LBB94_3427:
	s_or_saveexec_b32 s37, s0
	s_mov_b32 s1, 0
	s_mov_b32 s4, 0
                                        ; implicit-def: $vgpr20_vgpr21
                                        ; implicit-def: $sgpr0
	s_xor_b32 exec_lo, exec_lo, s37
	s_cbranch_execz .LBB94_4323
; %bb.3428:
	s_load_b64 s[0:1], s[28:29], 0x58
	s_get_pc_i64 s[4:5]
	s_add_nc_u64 s[4:5], s[4:5], .str.7@rel64+4
	s_mov_b32 s38, s36
	s_cmp_eq_u64 s[4:5], 0
	s_wait_kmcnt 0x0
	v_cmp_ne_u64_e32 vcc_lo, s[0:1], v[2:3]
	s_cselect_b32 s0, -1, 0
	s_delay_alu instid0(SALU_CYCLE_1) | instskip(NEXT) | instid1(SALU_CYCLE_1)
	s_or_b32 s0, s0, vcc_lo
	s_and_saveexec_b32 s1, s0
	s_delay_alu instid0(SALU_CYCLE_1)
	s_xor_b32 s0, exec_lo, s1
	s_cbranch_execnz .LBB94_3938
.LBB94_3429:
	s_or_saveexec_b32 s39, s0
	s_mov_b32 s1, 0
	s_mov_b32 s4, 0
                                        ; implicit-def: $vgpr20_vgpr21
                                        ; implicit-def: $sgpr0
	s_xor_b32 exec_lo, exec_lo, s39
	s_cbranch_execz .LBB94_4322
; %bb.3430:
	s_load_b64 s[16:17], s[28:29], 0x50
	v_sub_nc_u64_e32 v[14:15], v[12:13], v[8:9]
	s_get_pc_i64 s[4:5]
	s_add_nc_u64 s[4:5], s[4:5], .str.8@rel64+4
	s_mov_b32 s40, s38
	s_delay_alu instid0(VALU_DEP_1)
	v_cmp_gt_i64_e32 vcc_lo, v[0:1], v[14:15]
	s_wait_kmcnt 0x0
	v_cmp_lt_i64_e64 s0, s[16:17], v[14:15]
	s_or_b32 s0, vcc_lo, s0
	s_cmp_eq_u64 s[4:5], 0
	s_cselect_b32 s1, -1, 0
	s_delay_alu instid0(SALU_CYCLE_1) | instskip(NEXT) | instid1(SALU_CYCLE_1)
	s_or_b32 s0, s1, s0
	s_and_saveexec_b32 s1, s0
	s_delay_alu instid0(SALU_CYCLE_1)
	s_xor_b32 s0, exec_lo, s1
	s_cbranch_execnz .LBB94_4067
.LBB94_3431:
	s_or_saveexec_b32 s41, s0
	s_mov_b32 s1, 0
	s_mov_b32 s4, 0
                                        ; implicit-def: $vgpr20_vgpr21
                                        ; implicit-def: $sgpr0
	s_xor_b32 exec_lo, exec_lo, s41
	s_cbranch_execz .LBB94_4321
; %bb.3432:
	s_load_b32 s45, s[28:29], 0x60
	v_cmp_lt_i64_e32 vcc_lo, 0, v[2:3]
	v_mov_b64_e32 v[14:15], 0
	s_wait_kmcnt 0x0
	s_add_co_i32 s4, s45, -1
	s_delay_alu instid0(SALU_CYCLE_1) | instskip(SKIP_1) | instid1(SALU_CYCLE_1)
	s_cmp_gt_i32 s4, -1
	s_cselect_b32 s0, -1, 0
	s_and_b32 s47, vcc_lo, s0
	s_delay_alu instid0(SALU_CYCLE_1)
	s_and_saveexec_b32 s42, s47
	s_cbranch_execz .LBB94_3484
; %bb.3433:
	s_wait_loadcnt 0x0
	v_mul_u64_e32 v[18:19], v[16:17], v[2:3]
	s_mov_b32 s5, s1
	v_mov_b64_e32 v[14:15], 0
	s_lshl_b64 s[20:21], s[4:5], 3
	v_mov_b32_e32 v16, 0
	s_add_nc_u64 s[20:21], s[28:29], s[20:21]
	s_mov_b64 s[18:19], 0xffffffff
	s_add_nc_u64 s[20:21], s[20:21], 0x68
	s_mov_b32 s5, s45
	s_branch .LBB94_3480
.LBB94_3434:
	s_mov_b32 s1, 0
	s_mov_b32 s4, 0
                                        ; implicit-def: $vgpr20_vgpr21
                                        ; implicit-def: $sgpr0
.LBB94_3435:
	s_and_not1_b32 s2, s34, exec_lo
	s_and_b32 s3, s36, exec_lo
	s_and_b32 s4, s4, exec_lo
	;; [unrolled: 1-line block ×3, first 2 shown]
	s_or_b32 s34, s2, s3
.LBB94_3436:
	s_wait_xcnt 0x0
	s_or_b32 exec_lo, exec_lo, s35
	s_and_saveexec_b32 s1, s34
	s_cbranch_execz .LBB94_3439
; %bb.3437:
	; divergent unreachable
	s_or_b32 exec_lo, exec_lo, s1
	s_and_saveexec_b32 s1, s48
	s_delay_alu instid0(SALU_CYCLE_1)
	s_xor_b32 s1, exec_lo, s1
	s_cbranch_execnz .LBB94_3440
.LBB94_3438:
	s_or_b32 exec_lo, exec_lo, s1
	s_and_saveexec_b32 s1, s4
	s_cbranch_execnz .LBB94_3441
	s_branch .LBB94_3478
.LBB94_3439:
	s_or_b32 exec_lo, exec_lo, s1
	s_and_saveexec_b32 s1, s48
	s_delay_alu instid0(SALU_CYCLE_1)
	s_xor_b32 s1, exec_lo, s1
	s_cbranch_execz .LBB94_3438
.LBB94_3440:
	s_wait_loadcnt 0x0
	v_mov_b32_e32 v0, 0
	global_store_b8 v[20:21], v0, off
	s_wait_xcnt 0x0
	s_or_b32 exec_lo, exec_lo, s1
	s_and_saveexec_b32 s1, s4
	s_cbranch_execz .LBB94_3478
.LBB94_3441:
	s_sext_i32_i16 s2, s0
	s_mov_b32 s1, -1
	s_cmp_lt_i32 s2, 5
	s_cbranch_scc1 .LBB94_3462
; %bb.3442:
	s_cmp_lt_i32 s2, 8
	s_cbranch_scc1 .LBB94_3452
; %bb.3443:
	;; [unrolled: 3-line block ×3, first 2 shown]
	s_cmp_gt_i32 s2, 9
	s_cbranch_scc0 .LBB94_3446
; %bb.3445:
	s_wait_loadcnt 0x0
	v_mov_b32_e32 v0, 0
	s_mov_b32 s1, 0
	s_delay_alu instid0(VALU_DEP_1)
	v_dual_mov_b32 v1, v0 :: v_dual_mov_b32 v2, v0
	v_mov_b32_e32 v3, v0
	global_store_b128 v[20:21], v[0:3], off
.LBB94_3446:
	s_and_not1_b32 vcc_lo, exec_lo, s1
	s_cbranch_vccnz .LBB94_3448
; %bb.3447:
	s_wait_loadcnt 0x0
	v_mov_b64_e32 v[0:1], 0
	global_store_b64 v[20:21], v[0:1], off
.LBB94_3448:
	s_mov_b32 s1, 0
.LBB94_3449:
	s_delay_alu instid0(SALU_CYCLE_1)
	s_and_not1_b32 vcc_lo, exec_lo, s1
	s_cbranch_vccnz .LBB94_3451
; %bb.3450:
	s_wait_loadcnt 0x0
	v_mov_b32_e32 v0, 0
	global_store_b32 v[20:21], v0, off
.LBB94_3451:
	s_mov_b32 s1, 0
.LBB94_3452:
	s_delay_alu instid0(SALU_CYCLE_1)
	s_and_not1_b32 vcc_lo, exec_lo, s1
	s_cbranch_vccnz .LBB94_3461
; %bb.3453:
	s_sext_i32_i16 s2, s0
	s_mov_b32 s1, -1
	s_cmp_lt_i32 s2, 6
	s_cbranch_scc1 .LBB94_3459
; %bb.3454:
	s_cmp_gt_i32 s2, 6
	s_cbranch_scc0 .LBB94_3456
; %bb.3455:
	s_wait_loadcnt 0x0
	v_mov_b64_e32 v[0:1], 0
	s_mov_b32 s1, 0
	global_store_b64 v[20:21], v[0:1], off
.LBB94_3456:
	s_and_not1_b32 vcc_lo, exec_lo, s1
	s_cbranch_vccnz .LBB94_3458
; %bb.3457:
	s_wait_loadcnt 0x0
	v_mov_b32_e32 v0, 0
	global_store_b32 v[20:21], v0, off
.LBB94_3458:
	s_mov_b32 s1, 0
.LBB94_3459:
	s_delay_alu instid0(SALU_CYCLE_1)
	s_and_not1_b32 vcc_lo, exec_lo, s1
	s_cbranch_vccnz .LBB94_3461
; %bb.3460:
	s_wait_loadcnt 0x0
	v_mov_b32_e32 v0, 0
	global_store_b16 v[20:21], v0, off
.LBB94_3461:
	s_mov_b32 s1, 0
.LBB94_3462:
	s_delay_alu instid0(SALU_CYCLE_1)
	s_and_not1_b32 vcc_lo, exec_lo, s1
	s_cbranch_vccnz .LBB94_3478
; %bb.3463:
	s_sext_i32_i16 s2, s0
	s_mov_b32 s1, -1
	s_cmp_lt_i32 s2, 2
	s_cbranch_scc1 .LBB94_3473
; %bb.3464:
	s_cmp_lt_i32 s2, 3
	s_cbranch_scc1 .LBB94_3470
; %bb.3465:
	s_cmp_gt_i32 s2, 3
	s_cbranch_scc0 .LBB94_3467
; %bb.3466:
	s_wait_loadcnt 0x0
	v_mov_b64_e32 v[0:1], 0
	s_mov_b32 s1, 0
	global_store_b64 v[20:21], v[0:1], off
.LBB94_3467:
	s_and_not1_b32 vcc_lo, exec_lo, s1
	s_cbranch_vccnz .LBB94_3469
; %bb.3468:
	s_wait_loadcnt 0x0
	v_mov_b32_e32 v0, 0
	global_store_b32 v[20:21], v0, off
.LBB94_3469:
	s_mov_b32 s1, 0
.LBB94_3470:
	s_delay_alu instid0(SALU_CYCLE_1)
	s_and_not1_b32 vcc_lo, exec_lo, s1
	s_cbranch_vccnz .LBB94_3472
; %bb.3471:
	s_wait_loadcnt 0x0
	v_mov_b32_e32 v0, 0
	global_store_b16 v[20:21], v0, off
.LBB94_3472:
	s_mov_b32 s1, 0
.LBB94_3473:
	s_delay_alu instid0(SALU_CYCLE_1)
	s_and_not1_b32 vcc_lo, exec_lo, s1
	s_cbranch_vccnz .LBB94_3478
; %bb.3474:
	s_sext_i32_i16 s0, s0
	s_delay_alu instid0(SALU_CYCLE_1)
	s_cmp_gt_i32 s0, 0
	s_mov_b32 s0, -1
	s_cbranch_scc0 .LBB94_3476
; %bb.3475:
	s_wait_loadcnt 0x0
	v_mov_b32_e32 v0, 0
	s_mov_b32 s0, 0
	global_store_b8 v[20:21], v0, off
.LBB94_3476:
	s_and_not1_b32 vcc_lo, exec_lo, s0
	s_cbranch_vccnz .LBB94_3478
; %bb.3477:
	s_wait_loadcnt 0x0
	v_mov_b32_e32 v0, 0
	global_store_b8 v[20:21], v0, off
	s_endpgm
.LBB94_3478:
	s_endpgm
.LBB94_3479:                            ;   in Loop: Header=BB94_3480 Depth=1
	s_or_b32 exec_lo, exec_lo, s0
	s_delay_alu instid0(VALU_DEP_1)
	v_mul_u64_e32 v[22:23], s[22:23], v[20:21]
	s_load_b64 s[22:23], s[20:21], 0x40
	s_add_co_i32 s5, s5, -1
	s_wait_xcnt 0x0
	s_add_nc_u64 s[20:21], s[20:21], -8
	s_cmp_eq_u32 s5, 0
	s_delay_alu instid0(VALU_DEP_1) | instskip(SKIP_1) | instid1(VALU_DEP_1)
	v_sub_nc_u64_e32 v[18:19], v[18:19], v[22:23]
	s_wait_kmcnt 0x0
	v_mad_nc_u64_u32 v[14:15], v18, s22, v[14:15]
	s_delay_alu instid0(VALU_DEP_1) | instskip(NEXT) | instid1(VALU_DEP_1)
	v_mad_u32 v5, v19, s22, v15
	v_mad_u32 v15, v18, s23, v5
	v_mov_b64_e32 v[18:19], v[20:21]
	s_cbranch_scc1 .LBB94_3484
.LBB94_3480:                            ; =>This Inner Loop Header: Depth=1
	s_load_b64 s[22:23], s[20:21], 0x0
                                        ; implicit-def: $vgpr20_vgpr21
	s_mov_b32 s0, exec_lo
	s_wait_kmcnt 0x0
	s_delay_alu instid0(VALU_DEP_1) | instskip(NEXT) | instid1(VALU_DEP_1)
	v_or_b32_e32 v17, s23, v19
	v_cmpx_ne_u64_e32 0, v[16:17]
	s_xor_b32 s43, exec_lo, s0
	s_cbranch_execz .LBB94_3482
; %bb.3481:                             ;   in Loop: Header=BB94_3480 Depth=1
	s_ashr_i32 s24, s23, 31
	v_dual_mov_b32 v25, v16 :: v_dual_ashrrev_i32 v20, 31, v19
	s_mov_b32 s25, s24
	s_delay_alu instid0(SALU_CYCLE_1) | instskip(NEXT) | instid1(VALU_DEP_1)
	s_add_nc_u64 s[26:27], s[22:23], s[24:25]
	v_mov_b32_e32 v21, v20
	s_xor_b64 s[26:27], s[26:27], s[24:25]
	s_delay_alu instid0(SALU_CYCLE_1)
	s_cvt_f32_u32 s0, s26
	s_cvt_f32_u32 s25, s27
	s_sub_nc_u64 s[58:59], 0, s[26:27]
	v_add_nc_u64_e32 v[22:23], v[18:19], v[20:21]
	v_mov_b32_e32 v31, v16
	s_fmamk_f32 s0, s25, 0x4f800000, s0
	s_delay_alu instid0(SALU_CYCLE_3) | instskip(NEXT) | instid1(VALU_DEP_2)
	v_s_rcp_f32 s0, s0
	v_xor_b32_e32 v24, v22, v20
	s_delay_alu instid0(VALU_DEP_3) | instskip(NEXT) | instid1(TRANS32_DEP_1)
	v_dual_mov_b32 v35, v16 :: v_dual_bitop2_b32 v30, v23, v20 bitop3:0x14
	s_mul_f32 s0, s0, 0x5f7ffffc
	s_delay_alu instid0(SALU_CYCLE_3) | instskip(NEXT) | instid1(SALU_CYCLE_3)
	s_mul_f32 s25, s0, 0x2f800000
	s_trunc_f32 s25, s25
	s_delay_alu instid0(SALU_CYCLE_3) | instskip(SKIP_1) | instid1(SALU_CYCLE_2)
	s_fmamk_f32 s0, s25, 0xcf800000, s0
	s_cvt_u32_f32 s57, s25
	s_cvt_u32_f32 s56, s0
	s_delay_alu instid0(SALU_CYCLE_3) | instskip(NEXT) | instid1(SALU_CYCLE_1)
	s_mul_u64 s[62:63], s[58:59], s[56:57]
	s_mul_hi_u32 s65, s56, s63
	s_mul_i32 s64, s56, s63
	s_mul_hi_u32 s0, s56, s62
	s_mul_i32 s44, s57, s62
	s_add_nc_u64 s[64:65], s[0:1], s[64:65]
	s_mul_hi_u32 s25, s57, s62
	s_mul_hi_u32 s46, s57, s63
	s_add_co_u32 s0, s64, s44
	s_add_co_ci_u32 s0, s65, s25
	s_mul_i32 s62, s57, s63
	s_add_co_ci_u32 s63, s46, 0
	s_delay_alu instid0(SALU_CYCLE_1) | instskip(NEXT) | instid1(SALU_CYCLE_1)
	s_add_nc_u64 s[62:63], s[0:1], s[62:63]
	s_add_co_u32 s56, s56, s62
	s_cselect_b32 s0, -1, 0
	s_delay_alu instid0(SALU_CYCLE_1) | instskip(SKIP_1) | instid1(SALU_CYCLE_1)
	s_cmp_lg_u32 s0, 0
	s_add_co_ci_u32 s57, s57, s63
	s_mul_u64 s[58:59], s[58:59], s[56:57]
	s_delay_alu instid0(SALU_CYCLE_1)
	s_mul_hi_u32 s63, s56, s59
	s_mul_i32 s62, s56, s59
	s_mul_hi_u32 s0, s56, s58
	s_mul_i32 s44, s57, s58
	s_add_nc_u64 s[62:63], s[0:1], s[62:63]
	s_mul_hi_u32 s25, s57, s58
	s_mul_hi_u32 s46, s57, s59
	s_add_co_u32 s0, s62, s44
	s_add_co_ci_u32 s0, s63, s25
	s_mul_i32 s58, s57, s59
	s_add_co_ci_u32 s59, s46, 0
	s_delay_alu instid0(SALU_CYCLE_1) | instskip(NEXT) | instid1(SALU_CYCLE_1)
	s_add_nc_u64 s[58:59], s[0:1], s[58:59]
	s_add_co_u32 s44, s56, s58
	s_cselect_b32 s0, -1, 0
	v_mul_hi_u32 v34, v24, s44
	s_cmp_lg_u32 s0, 0
	s_add_co_ci_u32 s0, s57, s59
	s_and_b64 s[56:57], s[44:45], s[18:19]
	v_mul_u64_e32 v[28:29], s[0:1], v[24:25]
	v_mul_u64_e32 v[22:23], s[56:57], v[30:31]
	v_mul_u64_e32 v[32:33], s[0:1], v[30:31]
	s_delay_alu instid0(VALU_DEP_3) | instskip(NEXT) | instid1(VALU_DEP_1)
	v_add_nc_u64_e32 v[28:29], v[34:35], v[28:29]
	v_add_co_u32 v5, vcc_lo, v28, v22
	s_delay_alu instid0(VALU_DEP_2) | instskip(NEXT) | instid1(VALU_DEP_4)
	v_add_co_ci_u32_e32 v34, vcc_lo, v29, v23, vcc_lo
	v_add_co_ci_u32_e32 v33, vcc_lo, 0, v33, vcc_lo
	s_delay_alu instid0(VALU_DEP_1) | instskip(NEXT) | instid1(VALU_DEP_1)
	v_add_nc_u64_e32 v[22:23], v[34:35], v[32:33]
	v_mul_u64_e32 v[28:29], s[26:27], v[22:23]
	s_delay_alu instid0(VALU_DEP_1) | instskip(NEXT) | instid1(VALU_DEP_2)
	v_sub_nc_u32_e32 v5, v30, v29
	v_sub_co_u32 v7, vcc_lo, v24, v28
	s_delay_alu instid0(VALU_DEP_1) | instskip(NEXT) | instid1(VALU_DEP_3)
	v_sub_co_ci_u32_e64 v17, null, v30, v29, vcc_lo
	v_subrev_co_ci_u32_e64 v5, null, s27, v5, vcc_lo
	s_delay_alu instid0(VALU_DEP_3) | instskip(SKIP_1) | instid1(VALU_DEP_3)
	v_sub_co_u32 v11, s0, v7, s26
	v_add_nc_u64_e32 v[24:25], 2, v[22:23]
	v_subrev_co_ci_u32_e64 v5, null, 0, v5, s0
	s_delay_alu instid0(VALU_DEP_3) | instskip(SKIP_2) | instid1(VALU_DEP_4)
	v_cmp_le_u32_e32 vcc_lo, s26, v11
	v_add_nc_u64_e32 v[28:29], 1, v[22:23]
	v_cndmask_b32_e64 v11, 0, -1, vcc_lo
	v_cmp_le_u32_e32 vcc_lo, s27, v5
	v_cndmask_b32_e64 v21, 0, -1, vcc_lo
	v_cmp_le_u32_e32 vcc_lo, s26, v7
	;; [unrolled: 2-line block ×3, first 2 shown]
	v_cndmask_b32_e64 v27, 0, -1, vcc_lo
	v_cmp_eq_u32_e32 vcc_lo, s27, v5
	v_cndmask_b32_e32 v5, v21, v11, vcc_lo
	v_cmp_eq_u32_e32 vcc_lo, s27, v17
	s_delay_alu instid0(VALU_DEP_4) | instskip(NEXT) | instid1(VALU_DEP_3)
	v_cndmask_b32_e32 v7, v27, v7, vcc_lo
	v_cmp_ne_u32_e32 vcc_lo, 0, v5
	v_cndmask_b32_e32 v5, v29, v25, vcc_lo
	s_delay_alu instid0(VALU_DEP_3) | instskip(SKIP_1) | instid1(VALU_DEP_2)
	v_cmp_ne_u32_e64 s0, 0, v7
	v_cndmask_b32_e32 v7, v28, v24, vcc_lo
	v_dual_cndmask_b32 v5, v23, v5, s0 :: v_dual_bitop2_b32 v20, s24, v20 bitop3:0x14
	s_delay_alu instid0(VALU_DEP_1) | instskip(NEXT) | instid1(VALU_DEP_2)
	v_dual_cndmask_b32 v7, v22, v7, s0 :: v_dual_mov_b32 v21, v20
	v_xor_b32_e32 v23, v5, v20
	s_delay_alu instid0(VALU_DEP_2) | instskip(NEXT) | instid1(VALU_DEP_1)
	v_xor_b32_e32 v22, v7, v20
	v_sub_nc_u64_e32 v[20:21], v[22:23], v[20:21]
.LBB94_3482:                            ;   in Loop: Header=BB94_3480 Depth=1
	s_and_not1_saveexec_b32 s0, s43
	s_cbranch_execz .LBB94_3479
; %bb.3483:                             ;   in Loop: Header=BB94_3480 Depth=1
	v_cvt_f32_u32_e32 v5, s22
	s_sub_co_i32 s24, 0, s22
	v_mov_b32_e32 v21, v16
	s_delay_alu instid0(VALU_DEP_2) | instskip(SKIP_1) | instid1(TRANS32_DEP_1)
	v_rcp_iflag_f32_e32 v5, v5
	v_nop
	v_mul_f32_e32 v5, 0x4f7ffffe, v5
	s_delay_alu instid0(VALU_DEP_1) | instskip(NEXT) | instid1(VALU_DEP_1)
	v_cvt_u32_f32_e32 v5, v5
	v_mul_lo_u32 v7, s24, v5
	s_delay_alu instid0(VALU_DEP_1) | instskip(NEXT) | instid1(VALU_DEP_1)
	v_mul_hi_u32 v7, v5, v7
	v_add_nc_u32_e32 v5, v5, v7
	s_delay_alu instid0(VALU_DEP_1) | instskip(NEXT) | instid1(VALU_DEP_1)
	v_mul_hi_u32 v5, v18, v5
	v_mul_lo_u32 v7, v5, s22
	s_delay_alu instid0(VALU_DEP_1) | instskip(NEXT) | instid1(VALU_DEP_1)
	v_dual_add_nc_u32 v11, 1, v5 :: v_dual_sub_nc_u32 v7, v18, v7
	v_subrev_nc_u32_e32 v17, s22, v7
	v_cmp_le_u32_e32 vcc_lo, s22, v7
	s_delay_alu instid0(VALU_DEP_2) | instskip(NEXT) | instid1(VALU_DEP_1)
	v_dual_cndmask_b32 v7, v7, v17, vcc_lo :: v_dual_cndmask_b32 v5, v5, v11, vcc_lo
	v_cmp_le_u32_e32 vcc_lo, s22, v7
	s_delay_alu instid0(VALU_DEP_2) | instskip(NEXT) | instid1(VALU_DEP_1)
	v_add_nc_u32_e32 v11, 1, v5
	v_cndmask_b32_e32 v20, v5, v11, vcc_lo
	s_branch .LBB94_3479
.LBB94_3484:
	s_or_b32 exec_lo, exec_lo, s42
	s_load_b64 s[18:19], s[28:29], 0xe8
	s_get_pc_i64 s[0:1]
	s_add_nc_u64 s[0:1], s[0:1], .str.9@rel64+4
	s_mov_b32 s20, -1
	s_cmp_lg_u64 s[0:1], 0
	s_mov_b32 s42, s40
	s_cselect_b32 s46, -1, 0
	s_mov_b32 s0, exec_lo
	v_cmpx_gt_i64_e64 v[12:13], v[8:9]
	s_cbranch_execz .LBB94_3491
; %bb.3485:
	v_lshlrev_b64_e32 v[14:15], 3, v[14:15]
	s_mov_b32 s5, 0
	s_xor_b32 s20, s46, -1
                                        ; implicit-def: $sgpr1
                                        ; implicit-def: $sgpr22
                                        ; implicit-def: $sgpr21
	s_delay_alu instid0(VALU_DEP_1) | instskip(SKIP_2) | instid1(VALU_DEP_2)
	v_lshl_add_u64 v[8:9], v[8:9], 3, v[14:15]
	s_wait_kmcnt 0x0
	v_add_nc_u64_e32 v[14:15], s[18:19], v[14:15]
	v_add_nc_u64_e32 v[8:9], s[18:19], v[8:9]
	s_delay_alu instid0(VALU_DEP_2) | instskip(NEXT) | instid1(VALU_DEP_2)
	v_lshl_add_u64 v[12:13], v[12:13], 3, v[14:15]
	v_add_nc_u64_e32 v[8:9], 8, v[8:9]
	s_branch .LBB94_3487
.LBB94_3486:                            ;   in Loop: Header=BB94_3487 Depth=1
	s_or_b32 exec_lo, exec_lo, s23
	s_xor_b32 s23, s21, -1
	s_and_b32 s24, exec_lo, s22
	s_delay_alu instid0(SALU_CYCLE_1) | instskip(SKIP_2) | instid1(SALU_CYCLE_1)
	s_or_b32 s5, s24, s5
	s_and_not1_b32 s1, s1, exec_lo
	s_and_b32 s23, s23, exec_lo
	s_or_b32 s1, s1, s23
	s_and_not1_b32 exec_lo, exec_lo, s5
	s_cbranch_execz .LBB94_3489
.LBB94_3487:                            ; =>This Inner Loop Header: Depth=1
	s_or_b32 s21, s21, exec_lo
	s_or_b32 s22, s22, exec_lo
	s_mov_b32 s23, exec_lo
	s_delay_alu instid0(VALU_DEP_1)
	v_cmpx_lt_u64_e64 v[8:9], v[12:13]
	s_cbranch_execz .LBB94_3486
; %bb.3488:                             ;   in Loop: Header=BB94_3487 Depth=1
	s_wait_loadcnt 0x0
	global_load_b128 v[14:17], v[8:9], off offset:-8
	s_wait_xcnt 0x0
	v_add_nc_u64_e32 v[8:9], 8, v[8:9]
	s_and_not1_b32 s22, s22, exec_lo
	s_and_not1_b32 s21, s21, exec_lo
	s_wait_loadcnt 0x0
	v_cmp_ge_i64_e32 vcc_lo, v[14:15], v[16:17]
	s_or_b32 s24, s20, vcc_lo
	s_delay_alu instid0(SALU_CYCLE_1) | instskip(NEXT) | instid1(SALU_CYCLE_1)
	s_and_b32 s24, s24, exec_lo
	s_or_b32 s22, s22, s24
	s_branch .LBB94_3486
.LBB94_3489:
	s_or_b32 exec_lo, exec_lo, s5
	s_mov_b32 s5, -1
	s_mov_b32 s20, s40
	s_and_saveexec_b32 s21, s1
	s_delay_alu instid0(SALU_CYCLE_1)
	s_xor_b32 s1, exec_lo, s21
	s_cbranch_execnz .LBB94_3594
.LBB94_3490:
	s_or_b32 exec_lo, exec_lo, s1
	s_delay_alu instid0(SALU_CYCLE_1) | instskip(SKIP_1) | instid1(SALU_CYCLE_1)
	s_and_not1_b32 s1, s40, exec_lo
	s_and_b32 s20, s20, exec_lo
	s_or_b32 s42, s1, s20
	s_or_not1_b32 s20, s5, exec_lo
.LBB94_3491:
	s_or_b32 exec_lo, exec_lo, s0
	s_mov_b32 s1, 0
	s_mov_b32 s5, 0
                                        ; implicit-def: $vgpr20_vgpr21
                                        ; implicit-def: $sgpr0
	s_and_saveexec_b32 s43, s20
	s_cbranch_execz .LBB94_4320
; %bb.3492:
	v_add_nc_u32_e32 v5, 0x80, v26
	s_and_b32 s56, 0xffff, s30
	s_delay_alu instid0(SALU_CYCLE_1) | instskip(NEXT) | instid1(VALU_DEP_1)
	s_cmp_lt_i32 s56, 11
	v_mul_lo_u32 v8, s55, v5
	s_delay_alu instid0(VALU_DEP_1) | instskip(NEXT) | instid1(VALU_DEP_1)
	v_ashrrev_i32_e32 v9, 31, v8
	v_add_nc_u64_e32 v[12:13], s[6:7], v[8:9]
	s_cbranch_scc1 .LBB94_3500
; %bb.3493:
	s_cmp_gt_i32 s56, 25
	s_cbranch_scc0 .LBB94_3502
; %bb.3494:
	s_cmp_gt_i32 s56, 28
	s_cbranch_scc0 .LBB94_3504
; %bb.3495:
	s_cmp_gt_i32 s56, 43
	s_cbranch_scc0 .LBB94_3506
; %bb.3496:
	s_cmp_gt_i32 s56, 45
	s_cbranch_scc0 .LBB94_3595
; %bb.3497:
	s_cmp_eq_u32 s56, 46
	s_mov_b32 s20, 0
	s_cbranch_scc0 .LBB94_3682
; %bb.3498:
	global_load_b32 v7, v[12:13], off
	s_mov_b32 s0, 0
	s_mov_b32 s5, -1
	s_wait_loadcnt 0x0
	v_lshlrev_b32_e32 v7, 16, v7
	s_delay_alu instid0(VALU_DEP_1) | instskip(NEXT) | instid1(VALU_DEP_1)
	v_trunc_f32_e32 v7, v7
	v_mul_f32_e64 v9, 0x2f800000, |v7|
	v_ashrrev_i32_e32 v14, 31, v7
	s_delay_alu instid0(VALU_DEP_2) | instskip(NEXT) | instid1(VALU_DEP_2)
	v_floor_f32_e32 v9, v9
	v_mov_b32_e32 v15, v14
	s_delay_alu instid0(VALU_DEP_2) | instskip(SKIP_1) | instid1(VALU_DEP_2)
	v_fma_f32 v11, 0xcf800000, v9, |v7|
	v_cvt_u32_f32_e32 v7, v9
	v_cvt_u32_f32_e32 v9, v11
	s_delay_alu instid0(VALU_DEP_2) | instskip(NEXT) | instid1(VALU_DEP_2)
	v_xor_b32_e32 v17, v7, v14
	v_xor_b32_e32 v16, v9, v14
	s_delay_alu instid0(VALU_DEP_1)
	v_sub_nc_u64_e32 v[20:21], v[16:17], v[14:15]
	s_branch .LBB94_3684
.LBB94_3499:
	s_or_b32 s36, s36, exec_lo
	s_trap 2
	s_cbranch_execz .LBB94_3374
	s_branch .LBB94_3375
.LBB94_3500:
	s_mov_b32 s0, -1
	s_mov_b32 s44, s42
                                        ; implicit-def: $vgpr20_vgpr21
	s_branch .LBB94_3746
.LBB94_3501:
	s_mov_b32 s39, -1
	s_mov_b32 s40, 0
	s_mov_b32 s31, s76
	s_branch .LBB94_3636
.LBB94_3502:
	s_mov_b32 s20, -1
	s_mov_b32 s0, 0
                                        ; implicit-def: $vgpr20_vgpr21
	s_branch .LBB94_3711
.LBB94_3503:
	s_mov_b32 s41, -1
	s_mov_b32 s40, 0
	s_mov_b32 s31, s76
	s_branch .LBB94_3616
.LBB94_3504:
	s_mov_b32 s20, -1
	s_mov_b32 s0, 0
                                        ; implicit-def: $vgpr20_vgpr21
	s_branch .LBB94_3694
.LBB94_3505:
	s_mov_b32 s41, -1
	s_mov_b32 s40, 0
	s_mov_b32 s31, s76
	s_branch .LBB94_3605
.LBB94_3506:
	s_mov_b32 s20, -1
	s_mov_b32 s0, 0
                                        ; implicit-def: $vgpr20_vgpr21
	s_branch .LBB94_3689
.LBB94_3507:
	s_mov_b32 s41, -1
	s_mov_b32 s40, 0
	s_mov_b32 s31, s56
.LBB94_3508:
	s_and_b32 vcc_lo, exec_lo, s41
	s_cbranch_vccz .LBB94_3511
; %bb.3509:
	s_cmp_eq_u32 s39, 44
	s_mov_b32 s31, -1
	s_cbranch_scc0 .LBB94_3511
; %bb.3510:
	s_wait_xcnt 0x0
	v_mov_b32_e32 v2, 0
	s_mov_b32 s40, -1
	s_mov_b32 s31, 0
	global_store_b8 v[0:1], v2, off
.LBB94_3511:
	s_mov_b32 s41, 0
.LBB94_3512:
	s_delay_alu instid0(SALU_CYCLE_1)
	s_and_b32 vcc_lo, exec_lo, s41
	s_cbranch_vccz .LBB94_3515
; %bb.3513:
	s_cmp_eq_u32 s39, 29
	s_mov_b32 s31, -1
	s_cbranch_scc0 .LBB94_3515
; %bb.3514:
	s_wait_xcnt 0x0
	v_mov_b64_e32 v[2:3], 0
	s_mov_b32 s40, -1
	s_mov_b32 s31, 0
	s_mov_b32 s41, 0
	global_store_b64 v[0:1], v[2:3], off
	s_branch .LBB94_3516
.LBB94_3515:
	s_mov_b32 s41, 0
.LBB94_3516:
	s_delay_alu instid0(SALU_CYCLE_1)
	s_and_b32 vcc_lo, exec_lo, s41
	s_cbranch_vccz .LBB94_3526
; %bb.3517:
	s_cmp_lt_i32 s39, 27
	s_mov_b32 s40, -1
	s_cbranch_scc1 .LBB94_3523
; %bb.3518:
	s_cmp_gt_i32 s39, 27
	s_cbranch_scc0 .LBB94_3520
; %bb.3519:
	s_wait_xcnt 0x0
	v_mov_b32_e32 v2, 0
	s_mov_b32 s40, 0
	global_store_b32 v[0:1], v2, off
.LBB94_3520:
	s_and_not1_b32 vcc_lo, exec_lo, s40
	s_cbranch_vccnz .LBB94_3522
; %bb.3521:
	s_wait_xcnt 0x0
	v_mov_b32_e32 v2, 0
	global_store_b16 v[0:1], v2, off
.LBB94_3522:
	s_mov_b32 s40, 0
.LBB94_3523:
	s_delay_alu instid0(SALU_CYCLE_1)
	s_and_not1_b32 vcc_lo, exec_lo, s40
	s_cbranch_vccnz .LBB94_3525
; %bb.3524:
	s_wait_xcnt 0x0
	v_mov_b32_e32 v2, 0
	global_store_b8 v[0:1], v2, off
.LBB94_3525:
	s_mov_b32 s40, -1
.LBB94_3526:
	s_mov_b32 s41, 0
.LBB94_3527:
	s_delay_alu instid0(SALU_CYCLE_1)
	s_and_b32 vcc_lo, exec_lo, s41
	s_cbranch_vccz .LBB94_3546
; %bb.3528:
	s_cmp_gt_i32 s39, 22
	s_mov_b32 s41, -1
	s_cbranch_scc0 .LBB94_3538
; %bb.3529:
	s_cmp_lt_i32 s39, 24
	s_mov_b32 s40, -1
	s_cbranch_scc1 .LBB94_3535
; %bb.3530:
	s_cmp_gt_i32 s39, 24
	s_cbranch_scc0 .LBB94_3532
; %bb.3531:
	s_wait_xcnt 0x0
	v_mov_b32_e32 v2, 0
	s_mov_b32 s40, 0
	global_store_b8 v[0:1], v2, off
.LBB94_3532:
	s_and_not1_b32 vcc_lo, exec_lo, s40
	s_cbranch_vccnz .LBB94_3534
; %bb.3533:
	s_wait_xcnt 0x0
	v_mov_b32_e32 v2, 0
	global_store_b8 v[0:1], v2, off
.LBB94_3534:
	s_mov_b32 s40, 0
.LBB94_3535:
	s_delay_alu instid0(SALU_CYCLE_1)
	s_and_not1_b32 vcc_lo, exec_lo, s40
	s_cbranch_vccnz .LBB94_3537
; %bb.3536:
	s_wait_xcnt 0x0
	v_mov_b32_e32 v2, 0
	global_store_b8 v[0:1], v2, off
.LBB94_3537:
	s_mov_b32 s41, 0
	s_mov_b32 s40, -1
.LBB94_3538:
	s_and_not1_b32 vcc_lo, exec_lo, s41
	s_cbranch_vccnz .LBB94_3546
; %bb.3539:
	s_cmp_gt_i32 s39, 14
	s_mov_b32 s41, -1
	s_cbranch_scc0 .LBB94_3543
; %bb.3540:
	s_cmp_eq_u32 s39, 15
	s_mov_b32 s31, -1
	s_cbranch_scc0 .LBB94_3542
; %bb.3541:
	s_wait_xcnt 0x0
	v_mov_b32_e32 v2, 0
	s_mov_b32 s40, -1
	s_mov_b32 s31, 0
	global_store_b16 v[0:1], v2, off
.LBB94_3542:
	s_mov_b32 s41, 0
.LBB94_3543:
	s_delay_alu instid0(SALU_CYCLE_1)
	s_and_b32 vcc_lo, exec_lo, s41
	s_cbranch_vccz .LBB94_3546
; %bb.3544:
	s_cmp_eq_u32 s39, 11
	s_mov_b32 s31, -1
	s_cbranch_scc0 .LBB94_3546
; %bb.3545:
	s_wait_xcnt 0x0
	v_mov_b32_e32 v2, 0
	s_mov_b32 s40, -1
	s_mov_b32 s31, 0
	global_store_b8 v[0:1], v2, off
.LBB94_3546:
	s_mov_b32 s39, 0
.LBB94_3547:
	s_delay_alu instid0(SALU_CYCLE_1)
	s_and_b32 vcc_lo, exec_lo, s39
	s_cbranch_vccz .LBB94_3586
; %bb.3548:
	s_and_b32 s38, 0xffff, s38
	s_mov_b32 s39, -1
	s_cmp_lt_i32 s38, 5
	s_cbranch_scc1 .LBB94_3569
; %bb.3549:
	s_cmp_lt_i32 s38, 8
	s_cbranch_scc1 .LBB94_3559
; %bb.3550:
	;; [unrolled: 3-line block ×3, first 2 shown]
	s_cmp_gt_i32 s38, 9
	s_cbranch_scc0 .LBB94_3553
; %bb.3552:
	s_wait_xcnt 0x0
	v_mov_b32_e32 v2, 0
	s_mov_b32 s39, 0
	s_delay_alu instid0(VALU_DEP_1)
	v_dual_mov_b32 v3, v2 :: v_dual_mov_b32 v4, v2
	v_mov_b32_e32 v5, v2
	global_store_b128 v[0:1], v[2:5], off
.LBB94_3553:
	s_and_not1_b32 vcc_lo, exec_lo, s39
	s_cbranch_vccnz .LBB94_3555
; %bb.3554:
	s_wait_xcnt 0x0
	v_mov_b64_e32 v[2:3], 0
	global_store_b64 v[0:1], v[2:3], off
.LBB94_3555:
	s_mov_b32 s39, 0
.LBB94_3556:
	s_delay_alu instid0(SALU_CYCLE_1)
	s_and_not1_b32 vcc_lo, exec_lo, s39
	s_cbranch_vccnz .LBB94_3558
; %bb.3557:
	s_wait_xcnt 0x0
	v_mov_b32_e32 v2, 0
	global_store_b32 v[0:1], v2, off
.LBB94_3558:
	s_mov_b32 s39, 0
.LBB94_3559:
	s_delay_alu instid0(SALU_CYCLE_1)
	s_and_not1_b32 vcc_lo, exec_lo, s39
	s_cbranch_vccnz .LBB94_3568
; %bb.3560:
	s_cmp_lt_i32 s38, 6
	s_mov_b32 s39, -1
	s_cbranch_scc1 .LBB94_3566
; %bb.3561:
	s_cmp_gt_i32 s38, 6
	s_cbranch_scc0 .LBB94_3563
; %bb.3562:
	s_wait_xcnt 0x0
	v_mov_b64_e32 v[2:3], 0
	s_mov_b32 s39, 0
	global_store_b64 v[0:1], v[2:3], off
.LBB94_3563:
	s_and_not1_b32 vcc_lo, exec_lo, s39
	s_cbranch_vccnz .LBB94_3565
; %bb.3564:
	s_wait_xcnt 0x0
	v_mov_b32_e32 v2, 0
	global_store_b32 v[0:1], v2, off
.LBB94_3565:
	s_mov_b32 s39, 0
.LBB94_3566:
	s_delay_alu instid0(SALU_CYCLE_1)
	s_and_not1_b32 vcc_lo, exec_lo, s39
	s_cbranch_vccnz .LBB94_3568
; %bb.3567:
	s_wait_xcnt 0x0
	v_mov_b32_e32 v2, 0
	global_store_b16 v[0:1], v2, off
.LBB94_3568:
	s_mov_b32 s39, 0
.LBB94_3569:
	s_delay_alu instid0(SALU_CYCLE_1)
	s_and_not1_b32 vcc_lo, exec_lo, s39
	s_cbranch_vccnz .LBB94_3585
; %bb.3570:
	s_cmp_lt_i32 s38, 2
	s_mov_b32 s39, -1
	s_cbranch_scc1 .LBB94_3580
; %bb.3571:
	s_cmp_lt_i32 s38, 3
	s_cbranch_scc1 .LBB94_3577
; %bb.3572:
	s_cmp_gt_i32 s38, 3
	s_cbranch_scc0 .LBB94_3574
; %bb.3573:
	s_wait_xcnt 0x0
	v_mov_b64_e32 v[2:3], 0
	s_mov_b32 s39, 0
	global_store_b64 v[0:1], v[2:3], off
.LBB94_3574:
	s_and_not1_b32 vcc_lo, exec_lo, s39
	s_cbranch_vccnz .LBB94_3576
; %bb.3575:
	s_wait_xcnt 0x0
	v_mov_b32_e32 v2, 0
	global_store_b32 v[0:1], v2, off
.LBB94_3576:
	s_mov_b32 s39, 0
.LBB94_3577:
	s_delay_alu instid0(SALU_CYCLE_1)
	s_and_not1_b32 vcc_lo, exec_lo, s39
	s_cbranch_vccnz .LBB94_3579
; %bb.3578:
	s_wait_xcnt 0x0
	v_mov_b32_e32 v2, 0
	global_store_b16 v[0:1], v2, off
.LBB94_3579:
	s_mov_b32 s39, 0
.LBB94_3580:
	s_delay_alu instid0(SALU_CYCLE_1)
	s_and_not1_b32 vcc_lo, exec_lo, s39
	s_cbranch_vccnz .LBB94_3585
; %bb.3581:
	s_cmp_gt_i32 s38, 0
	s_mov_b32 s38, -1
	s_cbranch_scc0 .LBB94_3583
; %bb.3582:
	s_wait_xcnt 0x0
	v_mov_b32_e32 v2, 0
	s_mov_b32 s38, 0
	global_store_b8 v[0:1], v2, off
.LBB94_3583:
	s_and_not1_b32 vcc_lo, exec_lo, s38
	s_cbranch_vccnz .LBB94_3585
; %bb.3584:
	s_wait_xcnt 0x0
	v_mov_b32_e32 v2, 0
	global_store_b8 v[0:1], v2, off
.LBB94_3585:
	s_mov_b32 s40, -1
.LBB94_3586:
	s_delay_alu instid0(SALU_CYCLE_1)
	s_and_not1_b32 vcc_lo, exec_lo, s40
	s_cbranch_vccnz .LBB94_3588
; %bb.3587:
	v_add_nc_u32_e32 v26, 0x80, v26
	s_mov_b32 s38, -1
	s_branch .LBB94_3589
.LBB94_3588:
	s_mov_b32 s38, 0
                                        ; implicit-def: $vgpr26
.LBB94_3589:
	s_and_not1_b32 s39, s56, exec_lo
	s_and_b32 s31, s31, exec_lo
	s_and_not1_b32 s0, s0, exec_lo
	s_or_b32 s31, s39, s31
	s_and_b32 s38, s38, exec_lo
.LBB94_3590:
	s_wait_xcnt 0x0
	s_or_b32 exec_lo, exec_lo, s1
	s_delay_alu instid0(SALU_CYCLE_1)
	s_and_not1_b32 s1, s56, exec_lo
	s_and_b32 s31, s31, exec_lo
	s_and_not1_b32 s40, s59, exec_lo
	s_and_b32 s0, s0, exec_lo
	s_or_b32 s39, s1, s31
	s_or_b32 s0, s40, s0
	s_xor_b32 s31, exec_lo, -1
	s_and_b32 s1, s38, exec_lo
.LBB94_3591:
	s_or_b32 exec_lo, exec_lo, s76
	s_delay_alu instid0(SALU_CYCLE_1)
	s_and_not1_b32 s38, s56, exec_lo
	s_and_b32 s39, s39, exec_lo
	s_and_b32 s0, s0, exec_lo
	s_or_b32 s40, s38, s39
	s_and_not1_b32 s38, s59, exec_lo
	s_and_not1_b32 s39, s60, exec_lo
	s_and_b32 s41, s31, exec_lo
	s_or_b32 s31, s38, s0
	s_or_b32 s39, s39, s41
	s_xor_b32 s38, exec_lo, -1
	s_and_b32 s0, s1, exec_lo
.LBB94_3592:
	s_or_b32 exec_lo, exec_lo, s75
	s_delay_alu instid0(SALU_CYCLE_1)
	s_and_not1_b32 s1, s56, exec_lo
	s_and_b32 s40, s40, exec_lo
	s_and_not1_b32 s41, s59, exec_lo
	s_and_b32 s31, s31, exec_lo
	s_or_b32 s1, s1, s40
	s_or_b32 s31, s41, s31
	s_and_not1_b32 s40, s60, exec_lo
	s_and_b32 s39, s39, exec_lo
	s_and_not1_b32 s41, s61, exec_lo
	s_and_b32 s42, s38, exec_lo
	s_or_b32 s38, s40, s39
	s_or_b32 s40, s41, s42
	s_xor_b32 s39, exec_lo, -1
	s_and_b32 s0, s0, exec_lo
	s_or_b32 exec_lo, exec_lo, s74
	s_branch .LBB94_1298
.LBB94_3593:
	s_mov_b32 s41, -1
	s_mov_b32 s40, 0
	s_mov_b32 s31, s76
	s_branch .LBB94_3601
.LBB94_3594:
	s_or_b32 s20, s40, exec_lo
	s_xor_b32 s5, exec_lo, -1
	s_trap 2
	s_branch .LBB94_3490
.LBB94_3595:
	s_mov_b32 s20, -1
	s_mov_b32 s0, 0
	s_branch .LBB94_3683
.LBB94_3596:
	s_mov_b32 s41, -1
	s_mov_b32 s40, 0
	s_mov_b32 s31, s76
.LBB94_3597:
	s_and_b32 vcc_lo, exec_lo, s41
	s_cbranch_vccz .LBB94_3600
; %bb.3598:
	s_cmp_eq_u32 s39, 44
	s_mov_b32 s31, -1
	s_cbranch_scc0 .LBB94_3600
; %bb.3599:
	s_wait_xcnt 0x0
	v_mov_b32_e32 v2, 0
	s_mov_b32 s40, -1
	s_mov_b32 s31, 0
	global_store_b8 v[0:1], v2, off
.LBB94_3600:
	s_mov_b32 s41, 0
.LBB94_3601:
	s_delay_alu instid0(SALU_CYCLE_1)
	s_and_b32 vcc_lo, exec_lo, s41
	s_cbranch_vccz .LBB94_3604
; %bb.3602:
	s_cmp_eq_u32 s39, 29
	s_mov_b32 s31, -1
	s_cbranch_scc0 .LBB94_3604
; %bb.3603:
	s_wait_xcnt 0x0
	v_mov_b64_e32 v[2:3], 0
	s_mov_b32 s40, -1
	s_mov_b32 s31, 0
	s_mov_b32 s41, 0
	global_store_b64 v[0:1], v[2:3], off
	s_branch .LBB94_3605
.LBB94_3604:
	s_mov_b32 s41, 0
.LBB94_3605:
	s_delay_alu instid0(SALU_CYCLE_1)
	s_and_b32 vcc_lo, exec_lo, s41
	s_cbranch_vccz .LBB94_3615
; %bb.3606:
	s_cmp_lt_i32 s39, 27
	s_mov_b32 s40, -1
	s_cbranch_scc1 .LBB94_3612
; %bb.3607:
	s_cmp_gt_i32 s39, 27
	s_cbranch_scc0 .LBB94_3609
; %bb.3608:
	s_wait_xcnt 0x0
	v_mov_b32_e32 v2, 0
	s_mov_b32 s40, 0
	global_store_b32 v[0:1], v2, off
.LBB94_3609:
	s_and_not1_b32 vcc_lo, exec_lo, s40
	s_cbranch_vccnz .LBB94_3611
; %bb.3610:
	s_wait_xcnt 0x0
	v_mov_b32_e32 v2, 0
	global_store_b16 v[0:1], v2, off
.LBB94_3611:
	s_mov_b32 s40, 0
.LBB94_3612:
	s_delay_alu instid0(SALU_CYCLE_1)
	s_and_not1_b32 vcc_lo, exec_lo, s40
	s_cbranch_vccnz .LBB94_3614
; %bb.3613:
	s_wait_xcnt 0x0
	v_mov_b32_e32 v2, 0
	global_store_b8 v[0:1], v2, off
.LBB94_3614:
	s_mov_b32 s40, -1
.LBB94_3615:
	s_mov_b32 s41, 0
.LBB94_3616:
	s_delay_alu instid0(SALU_CYCLE_1)
	s_and_b32 vcc_lo, exec_lo, s41
	s_cbranch_vccz .LBB94_3635
; %bb.3617:
	s_cmp_gt_i32 s39, 22
	s_mov_b32 s41, -1
	s_cbranch_scc0 .LBB94_3627
; %bb.3618:
	s_cmp_lt_i32 s39, 24
	s_mov_b32 s40, -1
	s_cbranch_scc1 .LBB94_3624
; %bb.3619:
	s_cmp_gt_i32 s39, 24
	s_cbranch_scc0 .LBB94_3621
; %bb.3620:
	s_wait_xcnt 0x0
	v_mov_b32_e32 v2, 0
	s_mov_b32 s40, 0
	global_store_b8 v[0:1], v2, off
.LBB94_3621:
	s_and_not1_b32 vcc_lo, exec_lo, s40
	s_cbranch_vccnz .LBB94_3623
; %bb.3622:
	s_wait_xcnt 0x0
	v_mov_b32_e32 v2, 0
	global_store_b8 v[0:1], v2, off
.LBB94_3623:
	s_mov_b32 s40, 0
.LBB94_3624:
	s_delay_alu instid0(SALU_CYCLE_1)
	s_and_not1_b32 vcc_lo, exec_lo, s40
	s_cbranch_vccnz .LBB94_3626
; %bb.3625:
	s_wait_xcnt 0x0
	v_mov_b32_e32 v2, 0
	global_store_b8 v[0:1], v2, off
.LBB94_3626:
	s_mov_b32 s41, 0
	s_mov_b32 s40, -1
.LBB94_3627:
	s_and_not1_b32 vcc_lo, exec_lo, s41
	s_cbranch_vccnz .LBB94_3635
; %bb.3628:
	s_cmp_gt_i32 s39, 14
	s_mov_b32 s41, -1
	s_cbranch_scc0 .LBB94_3632
; %bb.3629:
	s_cmp_eq_u32 s39, 15
	s_mov_b32 s31, -1
	s_cbranch_scc0 .LBB94_3631
; %bb.3630:
	s_wait_xcnt 0x0
	v_mov_b32_e32 v2, 0
	s_mov_b32 s40, -1
	s_mov_b32 s31, 0
	global_store_b16 v[0:1], v2, off
.LBB94_3631:
	s_mov_b32 s41, 0
.LBB94_3632:
	s_delay_alu instid0(SALU_CYCLE_1)
	s_and_b32 vcc_lo, exec_lo, s41
	s_cbranch_vccz .LBB94_3635
; %bb.3633:
	s_cmp_eq_u32 s39, 11
	s_mov_b32 s31, -1
	s_cbranch_scc0 .LBB94_3635
; %bb.3634:
	s_wait_xcnt 0x0
	v_mov_b32_e32 v2, 0
	s_mov_b32 s40, -1
	s_mov_b32 s31, 0
	global_store_b8 v[0:1], v2, off
.LBB94_3635:
	s_mov_b32 s39, 0
.LBB94_3636:
	s_delay_alu instid0(SALU_CYCLE_1)
	s_and_b32 vcc_lo, exec_lo, s39
	s_cbranch_vccz .LBB94_3675
; %bb.3637:
	s_and_b32 s38, 0xffff, s38
	s_mov_b32 s39, -1
	s_cmp_lt_i32 s38, 5
	s_cbranch_scc1 .LBB94_3658
; %bb.3638:
	s_cmp_lt_i32 s38, 8
	s_cbranch_scc1 .LBB94_3648
; %bb.3639:
	;; [unrolled: 3-line block ×3, first 2 shown]
	s_cmp_gt_i32 s38, 9
	s_cbranch_scc0 .LBB94_3642
; %bb.3641:
	s_wait_xcnt 0x0
	v_mov_b32_e32 v2, 0
	s_mov_b32 s39, 0
	s_delay_alu instid0(VALU_DEP_1)
	v_dual_mov_b32 v3, v2 :: v_dual_mov_b32 v4, v2
	v_mov_b32_e32 v5, v2
	global_store_b128 v[0:1], v[2:5], off
.LBB94_3642:
	s_and_not1_b32 vcc_lo, exec_lo, s39
	s_cbranch_vccnz .LBB94_3644
; %bb.3643:
	s_wait_xcnt 0x0
	v_mov_b64_e32 v[2:3], 0
	global_store_b64 v[0:1], v[2:3], off
.LBB94_3644:
	s_mov_b32 s39, 0
.LBB94_3645:
	s_delay_alu instid0(SALU_CYCLE_1)
	s_and_not1_b32 vcc_lo, exec_lo, s39
	s_cbranch_vccnz .LBB94_3647
; %bb.3646:
	s_wait_xcnt 0x0
	v_mov_b32_e32 v2, 0
	global_store_b32 v[0:1], v2, off
.LBB94_3647:
	s_mov_b32 s39, 0
.LBB94_3648:
	s_delay_alu instid0(SALU_CYCLE_1)
	s_and_not1_b32 vcc_lo, exec_lo, s39
	s_cbranch_vccnz .LBB94_3657
; %bb.3649:
	s_cmp_lt_i32 s38, 6
	s_mov_b32 s39, -1
	s_cbranch_scc1 .LBB94_3655
; %bb.3650:
	s_cmp_gt_i32 s38, 6
	s_cbranch_scc0 .LBB94_3652
; %bb.3651:
	s_wait_xcnt 0x0
	v_mov_b64_e32 v[2:3], 0
	s_mov_b32 s39, 0
	global_store_b64 v[0:1], v[2:3], off
.LBB94_3652:
	s_and_not1_b32 vcc_lo, exec_lo, s39
	s_cbranch_vccnz .LBB94_3654
; %bb.3653:
	s_wait_xcnt 0x0
	v_mov_b32_e32 v2, 0
	global_store_b32 v[0:1], v2, off
.LBB94_3654:
	s_mov_b32 s39, 0
.LBB94_3655:
	s_delay_alu instid0(SALU_CYCLE_1)
	s_and_not1_b32 vcc_lo, exec_lo, s39
	s_cbranch_vccnz .LBB94_3657
; %bb.3656:
	s_wait_xcnt 0x0
	v_mov_b32_e32 v2, 0
	global_store_b16 v[0:1], v2, off
.LBB94_3657:
	s_mov_b32 s39, 0
.LBB94_3658:
	s_delay_alu instid0(SALU_CYCLE_1)
	s_and_not1_b32 vcc_lo, exec_lo, s39
	s_cbranch_vccnz .LBB94_3674
; %bb.3659:
	s_cmp_lt_i32 s38, 2
	s_mov_b32 s39, -1
	s_cbranch_scc1 .LBB94_3669
; %bb.3660:
	s_cmp_lt_i32 s38, 3
	s_cbranch_scc1 .LBB94_3666
; %bb.3661:
	s_cmp_gt_i32 s38, 3
	s_cbranch_scc0 .LBB94_3663
; %bb.3662:
	s_wait_xcnt 0x0
	v_mov_b64_e32 v[2:3], 0
	s_mov_b32 s39, 0
	global_store_b64 v[0:1], v[2:3], off
.LBB94_3663:
	s_and_not1_b32 vcc_lo, exec_lo, s39
	s_cbranch_vccnz .LBB94_3665
; %bb.3664:
	s_wait_xcnt 0x0
	v_mov_b32_e32 v2, 0
	global_store_b32 v[0:1], v2, off
.LBB94_3665:
	s_mov_b32 s39, 0
.LBB94_3666:
	s_delay_alu instid0(SALU_CYCLE_1)
	s_and_not1_b32 vcc_lo, exec_lo, s39
	s_cbranch_vccnz .LBB94_3668
; %bb.3667:
	s_wait_xcnt 0x0
	v_mov_b32_e32 v2, 0
	global_store_b16 v[0:1], v2, off
.LBB94_3668:
	s_mov_b32 s39, 0
.LBB94_3669:
	s_delay_alu instid0(SALU_CYCLE_1)
	s_and_not1_b32 vcc_lo, exec_lo, s39
	s_cbranch_vccnz .LBB94_3674
; %bb.3670:
	s_cmp_gt_i32 s38, 0
	s_mov_b32 s38, -1
	s_cbranch_scc0 .LBB94_3672
; %bb.3671:
	s_wait_xcnt 0x0
	v_mov_b32_e32 v2, 0
	s_mov_b32 s38, 0
	global_store_b8 v[0:1], v2, off
.LBB94_3672:
	s_and_not1_b32 vcc_lo, exec_lo, s38
	s_cbranch_vccnz .LBB94_3674
; %bb.3673:
	s_wait_xcnt 0x0
	v_mov_b32_e32 v2, 0
	global_store_b8 v[0:1], v2, off
.LBB94_3674:
	s_mov_b32 s40, -1
.LBB94_3675:
	s_delay_alu instid0(SALU_CYCLE_1)
	s_and_not1_b32 vcc_lo, exec_lo, s40
	s_cbranch_vccnz .LBB94_3677
; %bb.3676:
	v_add_nc_u32_e32 v26, 0x80, v26
	s_mov_b32 s38, -1
	s_branch .LBB94_3678
.LBB94_3677:
	s_mov_b32 s38, 0
                                        ; implicit-def: $vgpr26
.LBB94_3678:
	s_and_not1_b32 s39, s76, exec_lo
	s_and_b32 s31, s31, exec_lo
	s_and_not1_b32 s0, s0, exec_lo
	s_or_b32 s31, s39, s31
	s_and_b32 s38, s38, exec_lo
.LBB94_3679:
	s_wait_xcnt 0x0
	s_or_b32 exec_lo, exec_lo, s1
	s_delay_alu instid0(SALU_CYCLE_1)
	s_and_not1_b32 s1, s76, exec_lo
	s_and_b32 s31, s31, exec_lo
	s_and_not1_b32 s40, s77, exec_lo
	s_and_b32 s0, s0, exec_lo
	s_or_b32 s39, s1, s31
	s_or_b32 s0, s40, s0
	s_xor_b32 s31, exec_lo, -1
	s_and_b32 s1, s38, exec_lo
.LBB94_3680:
	s_or_b32 exec_lo, exec_lo, s88
	s_delay_alu instid0(SALU_CYCLE_1)
	s_and_not1_b32 s38, s76, exec_lo
	s_and_b32 s39, s39, exec_lo
	s_and_b32 s0, s0, exec_lo
	s_or_b32 s40, s38, s39
	s_and_not1_b32 s38, s77, exec_lo
	s_and_not1_b32 s39, s78, exec_lo
	s_and_b32 s41, s31, exec_lo
	s_or_b32 s31, s38, s0
	s_or_b32 s39, s39, s41
	s_xor_b32 s38, exec_lo, -1
	s_and_b32 s0, s1, exec_lo
.LBB94_3681:
	s_or_b32 exec_lo, exec_lo, s87
	s_delay_alu instid0(SALU_CYCLE_1)
	s_and_not1_b32 s1, s76, exec_lo
	s_and_b32 s40, s40, exec_lo
	s_and_not1_b32 s41, s77, exec_lo
	s_and_b32 s31, s31, exec_lo
	s_or_b32 s1, s1, s40
	s_or_b32 s31, s41, s31
	s_and_not1_b32 s40, s78, exec_lo
	s_and_b32 s39, s39, exec_lo
	s_and_not1_b32 s41, s74, exec_lo
	s_and_b32 s42, s38, exec_lo
	s_or_b32 s38, s40, s39
	s_or_b32 s40, s41, s42
	s_xor_b32 s39, exec_lo, -1
	s_and_b32 s0, s0, exec_lo
	s_or_b32 exec_lo, exec_lo, s86
	s_branch .LBB94_2046
.LBB94_3682:
	s_mov_b32 s0, -1
.LBB94_3683:
                                        ; implicit-def: $vgpr20_vgpr21
.LBB94_3684:
	s_and_b32 vcc_lo, exec_lo, s20
	s_cbranch_vccz .LBB94_3688
; %bb.3685:
	s_cmp_eq_u32 s56, 44
	s_cbranch_scc0 .LBB94_3687
; %bb.3686:
	global_load_u8 v7, v[12:13], off
	s_mov_b32 s0, 0
	s_mov_b32 s5, -1
	s_wait_loadcnt 0x0
	v_lshlrev_b32_e32 v9, 23, v7
	v_cmp_ne_u32_e32 vcc_lo, 0, v7
	s_delay_alu instid0(VALU_DEP_2) | instskip(NEXT) | instid1(VALU_DEP_1)
	v_trunc_f32_e32 v9, v9
	v_mul_f32_e64 v11, 0x2f800000, |v9|
	v_ashrrev_i32_e32 v14, 31, v9
	s_delay_alu instid0(VALU_DEP_2) | instskip(NEXT) | instid1(VALU_DEP_1)
	v_floor_f32_e32 v11, v11
	v_fma_f32 v15, 0xcf800000, v11, |v9|
	v_cvt_u32_f32_e32 v9, v11
	s_delay_alu instid0(VALU_DEP_2) | instskip(NEXT) | instid1(VALU_DEP_2)
	v_cvt_u32_f32_e32 v11, v15
	v_dual_mov_b32 v15, v14 :: v_dual_bitop2_b32 v17, v9, v14 bitop3:0x14
	s_delay_alu instid0(VALU_DEP_2) | instskip(NEXT) | instid1(VALU_DEP_1)
	v_xor_b32_e32 v16, v11, v14
	v_sub_nc_u64_e32 v[14:15], v[16:17], v[14:15]
	s_delay_alu instid0(VALU_DEP_1)
	v_dual_cndmask_b32 v21, 0, v15 :: v_dual_cndmask_b32 v20, 0, v14
	s_branch .LBB94_3688
.LBB94_3687:
	s_mov_b32 s0, -1
                                        ; implicit-def: $vgpr20_vgpr21
.LBB94_3688:
	s_mov_b32 s20, 0
.LBB94_3689:
	s_delay_alu instid0(SALU_CYCLE_1)
	s_and_b32 vcc_lo, exec_lo, s20
	s_cbranch_vccz .LBB94_3693
; %bb.3690:
	s_cmp_eq_u32 s56, 29
	s_cbranch_scc0 .LBB94_3692
; %bb.3691:
	global_load_b64 v[20:21], v[12:13], off
	s_mov_b32 s0, 0
	s_mov_b32 s5, -1
	s_branch .LBB94_3693
.LBB94_3692:
	s_mov_b32 s0, -1
                                        ; implicit-def: $vgpr20_vgpr21
.LBB94_3693:
	s_mov_b32 s20, 0
.LBB94_3694:
	s_delay_alu instid0(SALU_CYCLE_1)
	s_and_b32 vcc_lo, exec_lo, s20
	s_cbranch_vccz .LBB94_3710
; %bb.3695:
	s_cmp_lt_i32 s56, 27
	s_cbranch_scc1 .LBB94_3698
; %bb.3696:
	s_cmp_gt_i32 s56, 27
	s_cbranch_scc0 .LBB94_3699
; %bb.3697:
	s_wait_loadcnt 0x0
	global_load_b32 v20, v[12:13], off
	v_mov_b32_e32 v21, 0
	s_mov_b32 s5, 0
	s_branch .LBB94_3700
.LBB94_3698:
	s_mov_b32 s5, -1
                                        ; implicit-def: $vgpr20_vgpr21
	s_branch .LBB94_3703
.LBB94_3699:
	s_mov_b32 s5, -1
                                        ; implicit-def: $vgpr20_vgpr21
.LBB94_3700:
	s_delay_alu instid0(SALU_CYCLE_1)
	s_and_not1_b32 vcc_lo, exec_lo, s5
	s_cbranch_vccnz .LBB94_3702
; %bb.3701:
	global_load_u16 v7, v[12:13], off
	s_mov_b32 s5, 0
	s_wait_loadcnt 0x1
	v_mov_b32_e32 v21, s5
	s_wait_loadcnt 0x0
	v_and_b32_e32 v20, 0xffff, v7
.LBB94_3702:
	s_mov_b32 s5, 0
.LBB94_3703:
	s_delay_alu instid0(SALU_CYCLE_1)
	s_and_not1_b32 vcc_lo, exec_lo, s5
	s_cbranch_vccnz .LBB94_3709
; %bb.3704:
	global_load_u8 v7, v[12:13], off
	s_mov_b32 s20, 0
	s_mov_b32 s5, exec_lo
	s_wait_loadcnt 0x0
	v_cmpx_lt_i16_e32 0x7f, v7
	s_xor_b32 s5, exec_lo, s5
	s_cbranch_execz .LBB94_3721
; %bb.3705:
	v_cmp_ne_u16_e32 vcc_lo, 0x80, v7
	s_and_b32 s20, vcc_lo, exec_lo
	s_and_not1_saveexec_b32 s5, s5
	s_cbranch_execnz .LBB94_3722
.LBB94_3706:
	s_or_b32 exec_lo, exec_lo, s5
	v_mov_b64_e32 v[20:21], 0
	s_and_saveexec_b32 s5, s20
	s_cbranch_execz .LBB94_3708
.LBB94_3707:
	v_and_b32_e32 v9, 0xffff, v7
	s_delay_alu instid0(VALU_DEP_1) | instskip(SKIP_1) | instid1(VALU_DEP_2)
	v_and_b32_e32 v11, 7, v9
	v_bfe_u32 v16, v9, 3, 4
	v_clz_i32_u32_e32 v14, v11
	s_delay_alu instid0(VALU_DEP_2) | instskip(NEXT) | instid1(VALU_DEP_2)
	v_cmp_eq_u32_e32 vcc_lo, 0, v16
	v_min_u32_e32 v14, 32, v14
	s_delay_alu instid0(VALU_DEP_1) | instskip(NEXT) | instid1(VALU_DEP_1)
	v_subrev_nc_u32_e32 v15, 28, v14
	v_dual_lshlrev_b32 v9, v15, v9 :: v_dual_sub_nc_u32 v14, 29, v14
	s_delay_alu instid0(VALU_DEP_1) | instskip(NEXT) | instid1(VALU_DEP_1)
	v_dual_lshlrev_b32 v7, 24, v7 :: v_dual_bitop2_b32 v9, 7, v9 bitop3:0x40
	v_dual_cndmask_b32 v14, v16, v14 :: v_dual_cndmask_b32 v9, v11, v9
	s_delay_alu instid0(VALU_DEP_2) | instskip(NEXT) | instid1(VALU_DEP_2)
	v_and_b32_e32 v7, 0x80000000, v7
	v_lshl_add_u32 v11, v14, 23, 0x3b800000
	s_delay_alu instid0(VALU_DEP_3) | instskip(NEXT) | instid1(VALU_DEP_1)
	v_lshlrev_b32_e32 v9, 20, v9
	v_or3_b32 v7, v7, v11, v9
	s_delay_alu instid0(VALU_DEP_1) | instskip(NEXT) | instid1(VALU_DEP_1)
	v_trunc_f32_e32 v7, v7
	v_mul_f32_e64 v9, 0x2f800000, |v7|
	v_ashrrev_i32_e32 v14, 31, v7
	s_delay_alu instid0(VALU_DEP_2) | instskip(NEXT) | instid1(VALU_DEP_2)
	v_floor_f32_e32 v9, v9
	v_mov_b32_e32 v15, v14
	s_delay_alu instid0(VALU_DEP_2) | instskip(SKIP_1) | instid1(VALU_DEP_2)
	v_fma_f32 v11, 0xcf800000, v9, |v7|
	v_cvt_u32_f32_e32 v7, v9
	v_cvt_u32_f32_e32 v9, v11
	s_delay_alu instid0(VALU_DEP_2) | instskip(NEXT) | instid1(VALU_DEP_2)
	v_xor_b32_e32 v17, v7, v14
	v_xor_b32_e32 v16, v9, v14
	s_delay_alu instid0(VALU_DEP_1)
	v_sub_nc_u64_e32 v[20:21], v[16:17], v[14:15]
.LBB94_3708:
	s_or_b32 exec_lo, exec_lo, s5
.LBB94_3709:
	s_mov_b32 s5, -1
.LBB94_3710:
	s_mov_b32 s20, 0
.LBB94_3711:
	s_delay_alu instid0(SALU_CYCLE_1)
	s_and_b32 vcc_lo, exec_lo, s20
	s_cbranch_vccz .LBB94_3742
; %bb.3712:
	s_cmp_gt_i32 s56, 22
	s_cbranch_scc0 .LBB94_3720
; %bb.3713:
	s_cmp_lt_i32 s56, 24
	s_cbranch_scc1 .LBB94_3723
; %bb.3714:
	s_cmp_gt_i32 s56, 24
	s_cbranch_scc0 .LBB94_3724
; %bb.3715:
	global_load_u8 v7, v[12:13], off
	s_mov_b32 s5, 0
	s_mov_b32 s1, exec_lo
	s_wait_loadcnt 0x0
	v_cmpx_lt_i16_e32 0x7f, v7
	s_xor_b32 s1, exec_lo, s1
	s_cbranch_execz .LBB94_3736
; %bb.3716:
	v_cmp_ne_u16_e32 vcc_lo, 0x80, v7
	s_and_b32 s5, vcc_lo, exec_lo
	s_and_not1_saveexec_b32 s1, s1
	s_cbranch_execnz .LBB94_3737
.LBB94_3717:
	s_or_b32 exec_lo, exec_lo, s1
	v_mov_b64_e32 v[20:21], 0
	s_and_saveexec_b32 s1, s5
	s_cbranch_execz .LBB94_3719
.LBB94_3718:
	v_and_b32_e32 v9, 0xffff, v7
	s_delay_alu instid0(VALU_DEP_1) | instskip(SKIP_1) | instid1(VALU_DEP_2)
	v_and_b32_e32 v11, 3, v9
	v_bfe_u32 v16, v9, 2, 5
	v_clz_i32_u32_e32 v14, v11
	s_delay_alu instid0(VALU_DEP_2) | instskip(NEXT) | instid1(VALU_DEP_2)
	v_cmp_eq_u32_e32 vcc_lo, 0, v16
	v_min_u32_e32 v14, 32, v14
	s_delay_alu instid0(VALU_DEP_1) | instskip(NEXT) | instid1(VALU_DEP_1)
	v_subrev_nc_u32_e32 v15, 29, v14
	v_dual_lshlrev_b32 v9, v15, v9 :: v_dual_sub_nc_u32 v14, 30, v14
	s_delay_alu instid0(VALU_DEP_1) | instskip(NEXT) | instid1(VALU_DEP_1)
	v_dual_lshlrev_b32 v7, 24, v7 :: v_dual_bitop2_b32 v9, 3, v9 bitop3:0x40
	v_dual_cndmask_b32 v14, v16, v14 :: v_dual_cndmask_b32 v9, v11, v9
	s_delay_alu instid0(VALU_DEP_2) | instskip(NEXT) | instid1(VALU_DEP_2)
	v_and_b32_e32 v7, 0x80000000, v7
	v_lshl_add_u32 v11, v14, 23, 0x37800000
	s_delay_alu instid0(VALU_DEP_3) | instskip(NEXT) | instid1(VALU_DEP_1)
	v_lshlrev_b32_e32 v9, 21, v9
	v_or3_b32 v7, v7, v11, v9
	s_delay_alu instid0(VALU_DEP_1) | instskip(NEXT) | instid1(VALU_DEP_1)
	v_trunc_f32_e32 v7, v7
	v_mul_f32_e64 v9, 0x2f800000, |v7|
	v_ashrrev_i32_e32 v14, 31, v7
	s_delay_alu instid0(VALU_DEP_2) | instskip(NEXT) | instid1(VALU_DEP_2)
	v_floor_f32_e32 v9, v9
	v_mov_b32_e32 v15, v14
	s_delay_alu instid0(VALU_DEP_2) | instskip(SKIP_1) | instid1(VALU_DEP_2)
	v_fma_f32 v11, 0xcf800000, v9, |v7|
	v_cvt_u32_f32_e32 v7, v9
	v_cvt_u32_f32_e32 v9, v11
	s_delay_alu instid0(VALU_DEP_2) | instskip(NEXT) | instid1(VALU_DEP_2)
	v_xor_b32_e32 v17, v7, v14
	v_xor_b32_e32 v16, v9, v14
	s_delay_alu instid0(VALU_DEP_1)
	v_sub_nc_u64_e32 v[20:21], v[16:17], v[14:15]
.LBB94_3719:
	s_or_b32 exec_lo, exec_lo, s1
	s_mov_b32 s1, 0
	s_branch .LBB94_3725
.LBB94_3720:
	s_mov_b32 s1, -1
                                        ; implicit-def: $vgpr20_vgpr21
	s_branch .LBB94_3731
.LBB94_3721:
	s_and_not1_saveexec_b32 s5, s5
	s_cbranch_execz .LBB94_3706
.LBB94_3722:
	v_cmp_ne_u16_e32 vcc_lo, 0, v7
	s_and_not1_b32 s20, s20, exec_lo
	s_and_b32 s21, vcc_lo, exec_lo
	s_delay_alu instid0(SALU_CYCLE_1)
	s_or_b32 s20, s20, s21
	s_or_b32 exec_lo, exec_lo, s5
	v_mov_b64_e32 v[20:21], 0
	s_and_saveexec_b32 s5, s20
	s_cbranch_execnz .LBB94_3707
	s_branch .LBB94_3708
.LBB94_3723:
	s_mov_b32 s1, -1
                                        ; implicit-def: $vgpr20_vgpr21
	s_branch .LBB94_3728
.LBB94_3724:
	s_mov_b32 s1, -1
                                        ; implicit-def: $vgpr20_vgpr21
.LBB94_3725:
	s_delay_alu instid0(SALU_CYCLE_1)
	s_and_b32 vcc_lo, exec_lo, s1
	s_cbranch_vccz .LBB94_3727
; %bb.3726:
	global_load_u8 v7, v[12:13], off
	s_wait_loadcnt 0x0
	v_lshlrev_b32_e32 v7, 24, v7
	s_delay_alu instid0(VALU_DEP_1) | instskip(NEXT) | instid1(VALU_DEP_1)
	v_and_b32_e32 v9, 0x7f000000, v7
	v_clz_i32_u32_e32 v11, v9
	v_add_nc_u32_e32 v15, 0x1000000, v9
	v_cmp_ne_u32_e32 vcc_lo, 0, v9
	s_delay_alu instid0(VALU_DEP_3) | instskip(NEXT) | instid1(VALU_DEP_1)
	v_min_u32_e32 v11, 32, v11
	v_sub_nc_u32_e64 v11, v11, 4 clamp
	s_delay_alu instid0(VALU_DEP_1) | instskip(NEXT) | instid1(VALU_DEP_1)
	v_dual_lshlrev_b32 v14, v11, v9 :: v_dual_lshlrev_b32 v11, 23, v11
	v_lshrrev_b32_e32 v14, 4, v14
	s_delay_alu instid0(VALU_DEP_1) | instskip(SKIP_1) | instid1(VALU_DEP_2)
	v_sub_nc_u32_e32 v11, v14, v11
	v_ashrrev_i32_e32 v14, 8, v15
	v_add_nc_u32_e32 v11, 0x3c000000, v11
	s_delay_alu instid0(VALU_DEP_1) | instskip(NEXT) | instid1(VALU_DEP_1)
	v_and_or_b32 v11, 0x7f800000, v14, v11
	v_cndmask_b32_e32 v9, 0, v11, vcc_lo
	s_delay_alu instid0(VALU_DEP_1) | instskip(NEXT) | instid1(VALU_DEP_1)
	v_and_or_b32 v7, 0x80000000, v7, v9
	v_trunc_f32_e32 v7, v7
	s_delay_alu instid0(VALU_DEP_1) | instskip(SKIP_1) | instid1(VALU_DEP_2)
	v_mul_f32_e64 v9, 0x2f800000, |v7|
	v_ashrrev_i32_e32 v14, 31, v7
	v_floor_f32_e32 v9, v9
	s_delay_alu instid0(VALU_DEP_2) | instskip(NEXT) | instid1(VALU_DEP_2)
	v_mov_b32_e32 v15, v14
	v_fma_f32 v11, 0xcf800000, v9, |v7|
	v_cvt_u32_f32_e32 v7, v9
	s_delay_alu instid0(VALU_DEP_2) | instskip(NEXT) | instid1(VALU_DEP_2)
	v_cvt_u32_f32_e32 v9, v11
	v_xor_b32_e32 v17, v7, v14
	s_delay_alu instid0(VALU_DEP_2) | instskip(NEXT) | instid1(VALU_DEP_1)
	v_xor_b32_e32 v16, v9, v14
	v_sub_nc_u64_e32 v[20:21], v[16:17], v[14:15]
.LBB94_3727:
	s_mov_b32 s1, 0
.LBB94_3728:
	s_delay_alu instid0(SALU_CYCLE_1)
	s_and_not1_b32 vcc_lo, exec_lo, s1
	s_cbranch_vccnz .LBB94_3730
; %bb.3729:
	global_load_u8 v7, v[12:13], off
	s_wait_loadcnt 0x0
	v_lshlrev_b32_e32 v9, 25, v7
	v_lshlrev_b16 v7, 8, v7
	s_delay_alu instid0(VALU_DEP_1) | instskip(SKIP_1) | instid1(VALU_DEP_2)
	v_and_or_b32 v14, 0x7f00, v7, 0.5
	v_bfe_i32 v7, v7, 0, 16
	v_dual_add_f32 v14, -0.5, v14 :: v_dual_lshrrev_b32 v11, 4, v9
	v_cmp_gt_u32_e32 vcc_lo, 0x8000000, v9
	s_delay_alu instid0(VALU_DEP_2) | instskip(NEXT) | instid1(VALU_DEP_1)
	v_or_b32_e32 v11, 0x70000000, v11
	v_mul_f32_e32 v11, 0x7800000, v11
	s_delay_alu instid0(VALU_DEP_1) | instskip(NEXT) | instid1(VALU_DEP_1)
	v_cndmask_b32_e32 v9, v11, v14, vcc_lo
	v_and_or_b32 v7, 0x80000000, v7, v9
	s_delay_alu instid0(VALU_DEP_1) | instskip(NEXT) | instid1(VALU_DEP_1)
	v_trunc_f32_e32 v7, v7
	v_mul_f32_e64 v9, 0x2f800000, |v7|
	v_ashrrev_i32_e32 v14, 31, v7
	s_delay_alu instid0(VALU_DEP_2) | instskip(NEXT) | instid1(VALU_DEP_2)
	v_floor_f32_e32 v9, v9
	v_mov_b32_e32 v15, v14
	s_delay_alu instid0(VALU_DEP_2) | instskip(SKIP_1) | instid1(VALU_DEP_2)
	v_fma_f32 v11, 0xcf800000, v9, |v7|
	v_cvt_u32_f32_e32 v7, v9
	v_cvt_u32_f32_e32 v9, v11
	s_delay_alu instid0(VALU_DEP_2) | instskip(NEXT) | instid1(VALU_DEP_2)
	v_xor_b32_e32 v17, v7, v14
	v_xor_b32_e32 v16, v9, v14
	s_delay_alu instid0(VALU_DEP_1)
	v_sub_nc_u64_e32 v[20:21], v[16:17], v[14:15]
.LBB94_3730:
	s_mov_b32 s1, 0
	s_mov_b32 s5, -1
.LBB94_3731:
	s_and_not1_b32 vcc_lo, exec_lo, s1
	s_mov_b32 s1, 0
	s_cbranch_vccnz .LBB94_3742
; %bb.3732:
	s_cmp_gt_i32 s56, 14
	s_cbranch_scc0 .LBB94_3735
; %bb.3733:
	s_cmp_eq_u32 s56, 15
	s_cbranch_scc0 .LBB94_3738
; %bb.3734:
	global_load_u16 v7, v[12:13], off
	s_mov_b32 s0, 0
	s_mov_b32 s5, -1
	s_wait_loadcnt 0x0
	v_lshlrev_b32_e32 v7, 16, v7
	s_delay_alu instid0(VALU_DEP_1) | instskip(NEXT) | instid1(VALU_DEP_1)
	v_trunc_f32_e32 v7, v7
	v_mul_f32_e64 v9, 0x2f800000, |v7|
	v_ashrrev_i32_e32 v14, 31, v7
	s_delay_alu instid0(VALU_DEP_2) | instskip(NEXT) | instid1(VALU_DEP_2)
	v_floor_f32_e32 v9, v9
	v_mov_b32_e32 v15, v14
	s_delay_alu instid0(VALU_DEP_2) | instskip(SKIP_1) | instid1(VALU_DEP_2)
	v_fma_f32 v11, 0xcf800000, v9, |v7|
	v_cvt_u32_f32_e32 v7, v9
	v_cvt_u32_f32_e32 v9, v11
	s_delay_alu instid0(VALU_DEP_2) | instskip(NEXT) | instid1(VALU_DEP_2)
	v_xor_b32_e32 v17, v7, v14
	v_xor_b32_e32 v16, v9, v14
	s_delay_alu instid0(VALU_DEP_1)
	v_sub_nc_u64_e32 v[20:21], v[16:17], v[14:15]
	s_branch .LBB94_3740
.LBB94_3735:
	s_mov_b32 s1, -1
	s_branch .LBB94_3739
.LBB94_3736:
	s_and_not1_saveexec_b32 s1, s1
	s_cbranch_execz .LBB94_3717
.LBB94_3737:
	v_cmp_ne_u16_e32 vcc_lo, 0, v7
	s_and_not1_b32 s5, s5, exec_lo
	s_and_b32 s20, vcc_lo, exec_lo
	s_delay_alu instid0(SALU_CYCLE_1)
	s_or_b32 s5, s5, s20
	s_or_b32 exec_lo, exec_lo, s1
	v_mov_b64_e32 v[20:21], 0
	s_and_saveexec_b32 s1, s5
	s_cbranch_execnz .LBB94_3718
	s_branch .LBB94_3719
.LBB94_3738:
	s_mov_b32 s0, -1
.LBB94_3739:
                                        ; implicit-def: $vgpr20_vgpr21
.LBB94_3740:
	s_and_b32 vcc_lo, exec_lo, s1
	s_mov_b32 s1, 0
	s_cbranch_vccz .LBB94_3742
; %bb.3741:
	s_cmp_lg_u32 s56, 11
	s_mov_b32 s1, -1
	s_cselect_b32 s0, -1, 0
.LBB94_3742:
	s_delay_alu instid0(SALU_CYCLE_1)
	s_and_b32 vcc_lo, exec_lo, s0
	s_mov_b32 s44, s42
	s_cbranch_vccnz .LBB94_3807
; %bb.3743:
	s_and_not1_b32 vcc_lo, exec_lo, s1
	s_cbranch_vccnz .LBB94_3745
.LBB94_3744:
	global_load_u8 v7, v[12:13], off
	s_mov_b32 s0, 0
	s_mov_b32 s5, -1
	s_wait_loadcnt 0x1
	v_mov_b32_e32 v21, s0
	s_wait_loadcnt 0x0
	v_cmp_ne_u16_e32 vcc_lo, 0, v7
	v_cndmask_b32_e64 v20, 0, 1, vcc_lo
.LBB94_3745:
	s_mov_b32 s0, 0
.LBB94_3746:
	s_delay_alu instid0(SALU_CYCLE_1)
	s_and_b32 vcc_lo, exec_lo, s0
	s_cbranch_vccz .LBB94_3795
; %bb.3747:
	s_cmp_lt_i32 s56, 5
	s_cbranch_scc1 .LBB94_3752
; %bb.3748:
	s_cmp_lt_i32 s56, 8
	s_cbranch_scc1 .LBB94_3753
	;; [unrolled: 3-line block ×3, first 2 shown]
; %bb.3750:
	s_cmp_gt_i32 s56, 9
	s_cbranch_scc0 .LBB94_3755
; %bb.3751:
	global_load_b64 v[14:15], v[12:13], off
	s_mov_b32 s0, 0
	s_wait_loadcnt 0x0
	v_trunc_f64_e32 v[14:15], v[14:15]
	s_delay_alu instid0(VALU_DEP_1) | instskip(NEXT) | instid1(VALU_DEP_1)
	v_ldexp_f64 v[16:17], v[14:15], 0xffffffe0
	v_floor_f64_e32 v[16:17], v[16:17]
	s_delay_alu instid0(VALU_DEP_1) | instskip(SKIP_1) | instid1(VALU_DEP_2)
	v_fmamk_f64 v[14:15], v[16:17], 0xc1f00000, v[14:15]
	v_cvt_i32_f64_e32 v21, v[16:17]
	v_cvt_u32_f64_e32 v20, v[14:15]
	s_branch .LBB94_3756
.LBB94_3752:
	s_mov_b32 s0, -1
                                        ; implicit-def: $vgpr20_vgpr21
	s_branch .LBB94_3774
.LBB94_3753:
	s_mov_b32 s0, -1
                                        ; implicit-def: $vgpr20_vgpr21
	s_branch .LBB94_3762
.LBB94_3754:
	s_mov_b32 s0, -1
                                        ; implicit-def: $vgpr20_vgpr21
	s_branch .LBB94_3759
.LBB94_3755:
	s_mov_b32 s0, -1
                                        ; implicit-def: $vgpr20_vgpr21
.LBB94_3756:
	s_delay_alu instid0(SALU_CYCLE_1)
	s_and_not1_b32 vcc_lo, exec_lo, s0
	s_cbranch_vccnz .LBB94_3758
; %bb.3757:
	global_load_b32 v7, v[12:13], off
	s_wait_loadcnt 0x0
	v_trunc_f32_e32 v7, v7
	s_delay_alu instid0(VALU_DEP_1) | instskip(SKIP_1) | instid1(VALU_DEP_2)
	v_mul_f32_e64 v9, 0x2f800000, |v7|
	v_ashrrev_i32_e32 v14, 31, v7
	v_floor_f32_e32 v9, v9
	s_delay_alu instid0(VALU_DEP_1) | instskip(SKIP_1) | instid1(VALU_DEP_4)
	v_fma_f32 v11, 0xcf800000, v9, |v7|
	v_cvt_u32_f32_e32 v7, v9
	v_mov_b32_e32 v15, v14
	s_delay_alu instid0(VALU_DEP_3) | instskip(NEXT) | instid1(VALU_DEP_3)
	v_cvt_u32_f32_e32 v9, v11
	v_xor_b32_e32 v17, v7, v14
	s_delay_alu instid0(VALU_DEP_2) | instskip(NEXT) | instid1(VALU_DEP_1)
	v_xor_b32_e32 v16, v9, v14
	v_sub_nc_u64_e32 v[20:21], v[16:17], v[14:15]
.LBB94_3758:
	s_mov_b32 s0, 0
.LBB94_3759:
	s_delay_alu instid0(SALU_CYCLE_1)
	s_and_not1_b32 vcc_lo, exec_lo, s0
	s_cbranch_vccnz .LBB94_3761
; %bb.3760:
	global_load_b32 v7, v[12:13], off
	s_wait_loadcnt 0x0
	v_cvt_f32_f16_e32 v7, v7
	s_delay_alu instid0(VALU_DEP_1) | instskip(NEXT) | instid1(VALU_DEP_1)
	v_cvt_i32_f32_e32 v20, v7
	v_ashrrev_i32_e32 v21, 31, v20
.LBB94_3761:
	s_mov_b32 s0, 0
.LBB94_3762:
	s_delay_alu instid0(SALU_CYCLE_1)
	s_and_not1_b32 vcc_lo, exec_lo, s0
	s_cbranch_vccnz .LBB94_3773
; %bb.3763:
	s_cmp_lt_i32 s56, 6
	s_cbranch_scc1 .LBB94_3766
; %bb.3764:
	s_cmp_gt_i32 s56, 6
	s_cbranch_scc0 .LBB94_3767
; %bb.3765:
	global_load_b64 v[14:15], v[12:13], off
	s_mov_b32 s0, 0
	s_wait_loadcnt 0x0
	v_trunc_f64_e32 v[14:15], v[14:15]
	s_delay_alu instid0(VALU_DEP_1) | instskip(NEXT) | instid1(VALU_DEP_1)
	v_ldexp_f64 v[16:17], v[14:15], 0xffffffe0
	v_floor_f64_e32 v[16:17], v[16:17]
	s_delay_alu instid0(VALU_DEP_1) | instskip(SKIP_1) | instid1(VALU_DEP_2)
	v_fmamk_f64 v[14:15], v[16:17], 0xc1f00000, v[14:15]
	v_cvt_i32_f64_e32 v21, v[16:17]
	v_cvt_u32_f64_e32 v20, v[14:15]
	s_branch .LBB94_3768
.LBB94_3766:
	s_mov_b32 s0, -1
                                        ; implicit-def: $vgpr20_vgpr21
	s_branch .LBB94_3771
.LBB94_3767:
	s_mov_b32 s0, -1
                                        ; implicit-def: $vgpr20_vgpr21
.LBB94_3768:
	s_delay_alu instid0(SALU_CYCLE_1)
	s_and_not1_b32 vcc_lo, exec_lo, s0
	s_cbranch_vccnz .LBB94_3770
; %bb.3769:
	global_load_b32 v7, v[12:13], off
	s_wait_loadcnt 0x0
	v_trunc_f32_e32 v7, v7
	s_delay_alu instid0(VALU_DEP_1) | instskip(SKIP_1) | instid1(VALU_DEP_2)
	v_mul_f32_e64 v9, 0x2f800000, |v7|
	v_ashrrev_i32_e32 v14, 31, v7
	v_floor_f32_e32 v9, v9
	s_delay_alu instid0(VALU_DEP_1) | instskip(SKIP_1) | instid1(VALU_DEP_4)
	v_fma_f32 v11, 0xcf800000, v9, |v7|
	v_cvt_u32_f32_e32 v7, v9
	v_mov_b32_e32 v15, v14
	s_delay_alu instid0(VALU_DEP_3) | instskip(NEXT) | instid1(VALU_DEP_3)
	v_cvt_u32_f32_e32 v9, v11
	v_xor_b32_e32 v17, v7, v14
	s_delay_alu instid0(VALU_DEP_2) | instskip(NEXT) | instid1(VALU_DEP_1)
	v_xor_b32_e32 v16, v9, v14
	v_sub_nc_u64_e32 v[20:21], v[16:17], v[14:15]
.LBB94_3770:
	s_mov_b32 s0, 0
.LBB94_3771:
	s_delay_alu instid0(SALU_CYCLE_1)
	s_and_not1_b32 vcc_lo, exec_lo, s0
	s_cbranch_vccnz .LBB94_3773
; %bb.3772:
	global_load_u16 v7, v[12:13], off
	s_wait_loadcnt 0x0
	v_cvt_f32_f16_e32 v7, v7
	s_delay_alu instid0(VALU_DEP_1) | instskip(NEXT) | instid1(VALU_DEP_1)
	v_cvt_i32_f32_e32 v20, v7
	v_ashrrev_i32_e32 v21, 31, v20
.LBB94_3773:
	s_mov_b32 s0, 0
.LBB94_3774:
	s_delay_alu instid0(SALU_CYCLE_1)
	s_and_not1_b32 vcc_lo, exec_lo, s0
	s_cbranch_vccnz .LBB94_3794
; %bb.3775:
	s_cmp_lt_i32 s56, 2
	s_cbranch_scc1 .LBB94_3779
; %bb.3776:
	s_cmp_lt_i32 s56, 3
	s_cbranch_scc1 .LBB94_3780
; %bb.3777:
	s_cmp_gt_i32 s56, 3
	s_cbranch_scc0 .LBB94_3781
; %bb.3778:
	s_wait_loadcnt 0x0
	global_load_b64 v[20:21], v[12:13], off
	s_mov_b32 s0, 0
	s_branch .LBB94_3782
.LBB94_3779:
	s_mov_b32 s0, -1
                                        ; implicit-def: $vgpr20_vgpr21
	s_branch .LBB94_3788
.LBB94_3780:
	s_mov_b32 s0, -1
                                        ; implicit-def: $vgpr20_vgpr21
	s_branch .LBB94_3785
.LBB94_3781:
	s_mov_b32 s0, -1
                                        ; implicit-def: $vgpr20_vgpr21
.LBB94_3782:
	s_delay_alu instid0(SALU_CYCLE_1)
	s_and_not1_b32 vcc_lo, exec_lo, s0
	s_cbranch_vccnz .LBB94_3784
; %bb.3783:
	s_wait_loadcnt 0x0
	global_load_b32 v20, v[12:13], off
	s_wait_loadcnt 0x0
	v_ashrrev_i32_e32 v21, 31, v20
.LBB94_3784:
	s_mov_b32 s0, 0
.LBB94_3785:
	s_delay_alu instid0(SALU_CYCLE_1)
	s_and_not1_b32 vcc_lo, exec_lo, s0
	s_cbranch_vccnz .LBB94_3787
; %bb.3786:
	global_load_u16 v7, v[12:13], off
	s_wait_loadcnt 0x0
	v_bfe_i32 v20, v7, 0, 16
	s_delay_alu instid0(VALU_DEP_1)
	v_ashrrev_i32_e32 v21, 31, v20
.LBB94_3787:
	s_mov_b32 s0, 0
.LBB94_3788:
	s_delay_alu instid0(SALU_CYCLE_1)
	s_and_not1_b32 vcc_lo, exec_lo, s0
	s_cbranch_vccnz .LBB94_3794
; %bb.3789:
	s_cmp_gt_i32 s56, 0
	s_mov_b32 s0, 0
	s_cbranch_scc0 .LBB94_3791
; %bb.3790:
	global_load_i8 v7, v[12:13], off
	s_wait_loadcnt 0x0
	v_bfe_i32 v20, v7, 0, 16
	s_delay_alu instid0(VALU_DEP_1)
	v_ashrrev_i32_e32 v21, 31, v20
	s_branch .LBB94_3792
.LBB94_3791:
	s_mov_b32 s0, -1
                                        ; implicit-def: $vgpr20_vgpr21
.LBB94_3792:
	s_delay_alu instid0(SALU_CYCLE_1)
	s_and_not1_b32 vcc_lo, exec_lo, s0
	s_cbranch_vccnz .LBB94_3794
; %bb.3793:
	global_load_u8 v7, v[12:13], off
	s_mov_b32 s0, 0
	s_wait_loadcnt 0x1
	v_mov_b32_e32 v21, s0
	s_wait_loadcnt 0x0
	v_and_b32_e32 v20, 0xffff, v7
.LBB94_3794:
	s_mov_b32 s5, -1
.LBB94_3795:
	s_delay_alu instid0(SALU_CYCLE_1)
	s_and_not1_b32 vcc_lo, exec_lo, s5
	s_cbranch_vccnz .LBB94_4318
; %bb.3796:
	s_wait_xcnt 0x0
	v_mul_lo_u32 v12, s61, v5
	s_and_b32 s57, 0xffff, s31
	s_delay_alu instid0(SALU_CYCLE_1) | instskip(NEXT) | instid1(VALU_DEP_1)
	s_cmp_lt_i32 s57, 11
	v_ashrrev_i32_e32 v13, 31, v12
	s_delay_alu instid0(VALU_DEP_1)
	v_add_nc_u64_e32 v[14:15], s[8:9], v[12:13]
	s_cbranch_scc1 .LBB94_3803
; %bb.3797:
	s_cmp_gt_i32 s57, 25
	s_mov_b32 s1, 0
	s_cbranch_scc0 .LBB94_3804
; %bb.3798:
	s_cmp_gt_i32 s57, 28
	s_cbranch_scc0 .LBB94_3805
; %bb.3799:
	s_cmp_gt_i32 s57, 43
	;; [unrolled: 3-line block ×3, first 2 shown]
	s_cbranch_scc0 .LBB94_3808
; %bb.3801:
	s_cmp_eq_u32 s57, 46
	s_mov_b32 s20, 0
	s_cbranch_scc0 .LBB94_3810
; %bb.3802:
	global_load_b32 v5, v[14:15], off
	s_mov_b32 s0, 0
	s_mov_b32 s5, -1
	s_wait_loadcnt 0x0
	v_lshlrev_b32_e32 v5, 16, v5
	s_delay_alu instid0(VALU_DEP_1) | instskip(NEXT) | instid1(VALU_DEP_1)
	v_trunc_f32_e32 v5, v5
	v_mul_f32_e64 v7, 0x2f800000, |v5|
	v_ashrrev_i32_e32 v16, 31, v5
	s_delay_alu instid0(VALU_DEP_2) | instskip(NEXT) | instid1(VALU_DEP_2)
	v_floor_f32_e32 v7, v7
	v_mov_b32_e32 v17, v16
	s_delay_alu instid0(VALU_DEP_2) | instskip(SKIP_1) | instid1(VALU_DEP_2)
	v_fma_f32 v9, 0xcf800000, v7, |v5|
	v_cvt_u32_f32_e32 v5, v7
	v_cvt_u32_f32_e32 v7, v9
	s_delay_alu instid0(VALU_DEP_2) | instskip(NEXT) | instid1(VALU_DEP_2)
	v_xor_b32_e32 v19, v5, v16
	v_xor_b32_e32 v18, v7, v16
	s_delay_alu instid0(VALU_DEP_1)
	v_sub_nc_u64_e32 v[22:23], v[18:19], v[16:17]
	s_branch .LBB94_3812
.LBB94_3803:
	s_mov_b32 s0, -1
	s_mov_b32 s5, 0
                                        ; implicit-def: $vgpr22_vgpr23
	s_branch .LBB94_3874
.LBB94_3804:
	s_mov_b32 s20, -1
	s_mov_b32 s5, 0
	s_mov_b32 s0, 0
                                        ; implicit-def: $vgpr22_vgpr23
	s_branch .LBB94_3839
.LBB94_3805:
	s_mov_b32 s20, -1
	s_mov_b32 s5, 0
	s_mov_b32 s0, 0
                                        ; implicit-def: $vgpr22_vgpr23
	s_branch .LBB94_3822
.LBB94_3806:
	s_mov_b32 s20, -1
	s_mov_b32 s5, 0
	s_mov_b32 s0, 0
                                        ; implicit-def: $vgpr22_vgpr23
	s_branch .LBB94_3817
.LBB94_3807:
	s_or_b32 s44, s42, exec_lo
	s_trap 2
	s_cbranch_execz .LBB94_3744
	s_branch .LBB94_3745
.LBB94_3808:
	s_mov_b32 s20, -1
	s_mov_b32 s5, 0
	s_mov_b32 s0, 0
	s_branch .LBB94_3811
.LBB94_3809:
	s_or_b32 s36, s36, exec_lo
	s_trap 2
                                        ; implicit-def: $vgpr0_vgpr1
                                        ; implicit-def: $vgpr2_vgpr3
                                        ; implicit-def: $vgpr4
                                        ; implicit-def: $vgpr8_vgpr9
                                        ; implicit-def: $vgpr6
                                        ; implicit-def: $vgpr12_vgpr13
                                        ; implicit-def: $vgpr10
                                        ; implicit-def: $vgpr16_vgpr17
                                        ; implicit-def: $vgpr26
	s_branch .LBB94_3427
.LBB94_3810:
	s_mov_b32 s0, -1
	s_mov_b32 s5, 0
.LBB94_3811:
                                        ; implicit-def: $vgpr22_vgpr23
.LBB94_3812:
	s_and_b32 vcc_lo, exec_lo, s20
	s_cbranch_vccz .LBB94_3816
; %bb.3813:
	s_cmp_eq_u32 s57, 44
	s_cbranch_scc0 .LBB94_3815
; %bb.3814:
	global_load_u8 v5, v[14:15], off
	s_mov_b32 s0, 0
	s_mov_b32 s5, -1
	s_wait_loadcnt 0x0
	v_lshlrev_b32_e32 v7, 23, v5
	v_cmp_ne_u32_e32 vcc_lo, 0, v5
	s_delay_alu instid0(VALU_DEP_2) | instskip(NEXT) | instid1(VALU_DEP_1)
	v_trunc_f32_e32 v7, v7
	v_mul_f32_e64 v9, 0x2f800000, |v7|
	v_ashrrev_i32_e32 v16, 31, v7
	s_delay_alu instid0(VALU_DEP_2) | instskip(NEXT) | instid1(VALU_DEP_2)
	v_floor_f32_e32 v9, v9
	v_mov_b32_e32 v17, v16
	s_delay_alu instid0(VALU_DEP_2) | instskip(SKIP_1) | instid1(VALU_DEP_2)
	v_fma_f32 v11, 0xcf800000, v9, |v7|
	v_cvt_u32_f32_e32 v7, v9
	v_cvt_u32_f32_e32 v9, v11
	s_delay_alu instid0(VALU_DEP_2) | instskip(NEXT) | instid1(VALU_DEP_2)
	v_xor_b32_e32 v19, v7, v16
	v_xor_b32_e32 v18, v9, v16
	s_delay_alu instid0(VALU_DEP_1) | instskip(NEXT) | instid1(VALU_DEP_1)
	v_sub_nc_u64_e32 v[16:17], v[18:19], v[16:17]
	v_dual_cndmask_b32 v23, 0, v17 :: v_dual_cndmask_b32 v22, 0, v16
	s_branch .LBB94_3816
.LBB94_3815:
	s_mov_b32 s0, -1
                                        ; implicit-def: $vgpr22_vgpr23
.LBB94_3816:
	s_mov_b32 s20, 0
.LBB94_3817:
	s_delay_alu instid0(SALU_CYCLE_1)
	s_and_b32 vcc_lo, exec_lo, s20
	s_cbranch_vccz .LBB94_3821
; %bb.3818:
	s_cmp_eq_u32 s57, 29
	s_cbranch_scc0 .LBB94_3820
; %bb.3819:
	global_load_b64 v[22:23], v[14:15], off
	s_mov_b32 s0, 0
	s_mov_b32 s5, -1
	s_branch .LBB94_3821
.LBB94_3820:
	s_mov_b32 s0, -1
                                        ; implicit-def: $vgpr22_vgpr23
.LBB94_3821:
	s_mov_b32 s20, 0
.LBB94_3822:
	s_delay_alu instid0(SALU_CYCLE_1)
	s_and_b32 vcc_lo, exec_lo, s20
	s_cbranch_vccz .LBB94_3838
; %bb.3823:
	s_cmp_lt_i32 s57, 27
	s_cbranch_scc1 .LBB94_3826
; %bb.3824:
	s_cmp_gt_i32 s57, 27
	s_cbranch_scc0 .LBB94_3827
; %bb.3825:
	s_wait_loadcnt 0x0
	global_load_b32 v22, v[14:15], off
	v_mov_b32_e32 v23, 0
	s_mov_b32 s5, 0
	s_branch .LBB94_3828
.LBB94_3826:
	s_mov_b32 s5, -1
                                        ; implicit-def: $vgpr22_vgpr23
	s_branch .LBB94_3831
.LBB94_3827:
	s_mov_b32 s5, -1
                                        ; implicit-def: $vgpr22_vgpr23
.LBB94_3828:
	s_delay_alu instid0(SALU_CYCLE_1)
	s_and_not1_b32 vcc_lo, exec_lo, s5
	s_cbranch_vccnz .LBB94_3830
; %bb.3829:
	global_load_u16 v5, v[14:15], off
	s_mov_b32 s5, 0
	s_wait_loadcnt 0x1
	v_mov_b32_e32 v23, s5
	s_wait_loadcnt 0x0
	v_and_b32_e32 v22, 0xffff, v5
.LBB94_3830:
	s_mov_b32 s5, 0
.LBB94_3831:
	s_delay_alu instid0(SALU_CYCLE_1)
	s_and_not1_b32 vcc_lo, exec_lo, s5
	s_cbranch_vccnz .LBB94_3837
; %bb.3832:
	global_load_u8 v5, v[14:15], off
	s_mov_b32 s20, 0
	s_mov_b32 s5, exec_lo
	s_wait_loadcnt 0x0
	v_cmpx_lt_i16_e32 0x7f, v5
	s_xor_b32 s5, exec_lo, s5
	s_cbranch_execz .LBB94_3849
; %bb.3833:
	v_cmp_ne_u16_e32 vcc_lo, 0x80, v5
	s_and_b32 s20, vcc_lo, exec_lo
	s_and_not1_saveexec_b32 s5, s5
	s_cbranch_execnz .LBB94_3850
.LBB94_3834:
	s_or_b32 exec_lo, exec_lo, s5
	v_mov_b64_e32 v[22:23], 0
	s_and_saveexec_b32 s5, s20
	s_cbranch_execz .LBB94_3836
.LBB94_3835:
	v_and_b32_e32 v7, 0xffff, v5
	s_delay_alu instid0(VALU_DEP_1) | instskip(SKIP_1) | instid1(VALU_DEP_2)
	v_dual_lshlrev_b32 v5, 24, v5 :: v_dual_bitop2_b32 v9, 7, v7 bitop3:0x40
	v_bfe_u32 v16, v7, 3, 4
	v_and_b32_e32 v5, 0x80000000, v5
	s_delay_alu instid0(VALU_DEP_3) | instskip(NEXT) | instid1(VALU_DEP_3)
	v_clz_i32_u32_e32 v11, v9
	v_cmp_eq_u32_e32 vcc_lo, 0, v16
	s_delay_alu instid0(VALU_DEP_2) | instskip(NEXT) | instid1(VALU_DEP_1)
	v_min_u32_e32 v11, 32, v11
	v_subrev_nc_u32_e32 v13, 28, v11
	v_sub_nc_u32_e32 v11, 29, v11
	s_delay_alu instid0(VALU_DEP_2) | instskip(NEXT) | instid1(VALU_DEP_2)
	v_lshlrev_b32_e32 v7, v13, v7
	v_cndmask_b32_e32 v11, v16, v11, vcc_lo
	s_delay_alu instid0(VALU_DEP_2) | instskip(NEXT) | instid1(VALU_DEP_1)
	v_and_b32_e32 v7, 7, v7
	v_cndmask_b32_e32 v7, v9, v7, vcc_lo
	s_delay_alu instid0(VALU_DEP_3) | instskip(NEXT) | instid1(VALU_DEP_2)
	v_lshl_add_u32 v9, v11, 23, 0x3b800000
	v_lshlrev_b32_e32 v7, 20, v7
	s_delay_alu instid0(VALU_DEP_1) | instskip(NEXT) | instid1(VALU_DEP_1)
	v_or3_b32 v5, v5, v9, v7
	v_trunc_f32_e32 v5, v5
	s_delay_alu instid0(VALU_DEP_1) | instskip(SKIP_1) | instid1(VALU_DEP_2)
	v_mul_f32_e64 v7, 0x2f800000, |v5|
	v_ashrrev_i32_e32 v16, 31, v5
	v_floor_f32_e32 v7, v7
	s_delay_alu instid0(VALU_DEP_2) | instskip(NEXT) | instid1(VALU_DEP_2)
	v_mov_b32_e32 v17, v16
	v_fma_f32 v9, 0xcf800000, v7, |v5|
	v_cvt_u32_f32_e32 v5, v7
	s_delay_alu instid0(VALU_DEP_2) | instskip(NEXT) | instid1(VALU_DEP_2)
	v_cvt_u32_f32_e32 v7, v9
	v_xor_b32_e32 v19, v5, v16
	s_delay_alu instid0(VALU_DEP_2) | instskip(NEXT) | instid1(VALU_DEP_1)
	v_xor_b32_e32 v18, v7, v16
	v_sub_nc_u64_e32 v[22:23], v[18:19], v[16:17]
.LBB94_3836:
	s_or_b32 exec_lo, exec_lo, s5
.LBB94_3837:
	s_mov_b32 s5, -1
.LBB94_3838:
	s_mov_b32 s20, 0
.LBB94_3839:
	s_delay_alu instid0(SALU_CYCLE_1)
	s_and_b32 vcc_lo, exec_lo, s20
	s_cbranch_vccz .LBB94_3870
; %bb.3840:
	s_cmp_gt_i32 s57, 22
	s_cbranch_scc0 .LBB94_3848
; %bb.3841:
	s_cmp_lt_i32 s57, 24
	s_cbranch_scc1 .LBB94_3851
; %bb.3842:
	s_cmp_gt_i32 s57, 24
	s_cbranch_scc0 .LBB94_3852
; %bb.3843:
	global_load_u8 v5, v[14:15], off
	s_mov_b32 s5, 0
	s_mov_b32 s1, exec_lo
	s_wait_loadcnt 0x0
	v_cmpx_lt_i16_e32 0x7f, v5
	s_xor_b32 s1, exec_lo, s1
	s_cbranch_execz .LBB94_3864
; %bb.3844:
	v_cmp_ne_u16_e32 vcc_lo, 0x80, v5
	s_and_b32 s5, vcc_lo, exec_lo
	s_and_not1_saveexec_b32 s1, s1
	s_cbranch_execnz .LBB94_3865
.LBB94_3845:
	s_or_b32 exec_lo, exec_lo, s1
	v_mov_b64_e32 v[22:23], 0
	s_and_saveexec_b32 s1, s5
	s_cbranch_execz .LBB94_3847
.LBB94_3846:
	v_and_b32_e32 v7, 0xffff, v5
	s_delay_alu instid0(VALU_DEP_1) | instskip(SKIP_1) | instid1(VALU_DEP_2)
	v_dual_lshlrev_b32 v5, 24, v5 :: v_dual_bitop2_b32 v9, 3, v7 bitop3:0x40
	v_bfe_u32 v16, v7, 2, 5
	v_and_b32_e32 v5, 0x80000000, v5
	s_delay_alu instid0(VALU_DEP_3) | instskip(NEXT) | instid1(VALU_DEP_3)
	v_clz_i32_u32_e32 v11, v9
	v_cmp_eq_u32_e32 vcc_lo, 0, v16
	s_delay_alu instid0(VALU_DEP_2) | instskip(NEXT) | instid1(VALU_DEP_1)
	v_min_u32_e32 v11, 32, v11
	v_subrev_nc_u32_e32 v13, 29, v11
	v_sub_nc_u32_e32 v11, 30, v11
	s_delay_alu instid0(VALU_DEP_2) | instskip(NEXT) | instid1(VALU_DEP_2)
	v_lshlrev_b32_e32 v7, v13, v7
	v_cndmask_b32_e32 v11, v16, v11, vcc_lo
	s_delay_alu instid0(VALU_DEP_2) | instskip(NEXT) | instid1(VALU_DEP_1)
	v_and_b32_e32 v7, 3, v7
	v_cndmask_b32_e32 v7, v9, v7, vcc_lo
	s_delay_alu instid0(VALU_DEP_3) | instskip(NEXT) | instid1(VALU_DEP_2)
	v_lshl_add_u32 v9, v11, 23, 0x37800000
	v_lshlrev_b32_e32 v7, 21, v7
	s_delay_alu instid0(VALU_DEP_1) | instskip(NEXT) | instid1(VALU_DEP_1)
	v_or3_b32 v5, v5, v9, v7
	v_trunc_f32_e32 v5, v5
	s_delay_alu instid0(VALU_DEP_1) | instskip(SKIP_1) | instid1(VALU_DEP_2)
	v_mul_f32_e64 v7, 0x2f800000, |v5|
	v_ashrrev_i32_e32 v16, 31, v5
	v_floor_f32_e32 v7, v7
	s_delay_alu instid0(VALU_DEP_2) | instskip(NEXT) | instid1(VALU_DEP_2)
	v_mov_b32_e32 v17, v16
	v_fma_f32 v9, 0xcf800000, v7, |v5|
	v_cvt_u32_f32_e32 v5, v7
	s_delay_alu instid0(VALU_DEP_2) | instskip(NEXT) | instid1(VALU_DEP_2)
	v_cvt_u32_f32_e32 v7, v9
	v_xor_b32_e32 v19, v5, v16
	s_delay_alu instid0(VALU_DEP_2) | instskip(NEXT) | instid1(VALU_DEP_1)
	v_xor_b32_e32 v18, v7, v16
	v_sub_nc_u64_e32 v[22:23], v[18:19], v[16:17]
.LBB94_3847:
	s_or_b32 exec_lo, exec_lo, s1
	s_mov_b32 s1, 0
	s_branch .LBB94_3853
.LBB94_3848:
	s_mov_b32 s1, -1
                                        ; implicit-def: $vgpr22_vgpr23
	s_branch .LBB94_3859
.LBB94_3849:
	s_and_not1_saveexec_b32 s5, s5
	s_cbranch_execz .LBB94_3834
.LBB94_3850:
	v_cmp_ne_u16_e32 vcc_lo, 0, v5
	s_and_not1_b32 s20, s20, exec_lo
	s_and_b32 s21, vcc_lo, exec_lo
	s_delay_alu instid0(SALU_CYCLE_1)
	s_or_b32 s20, s20, s21
	s_or_b32 exec_lo, exec_lo, s5
	v_mov_b64_e32 v[22:23], 0
	s_and_saveexec_b32 s5, s20
	s_cbranch_execnz .LBB94_3835
	s_branch .LBB94_3836
.LBB94_3851:
	s_mov_b32 s1, -1
                                        ; implicit-def: $vgpr22_vgpr23
	s_branch .LBB94_3856
.LBB94_3852:
	s_mov_b32 s1, -1
                                        ; implicit-def: $vgpr22_vgpr23
.LBB94_3853:
	s_delay_alu instid0(SALU_CYCLE_1)
	s_and_b32 vcc_lo, exec_lo, s1
	s_cbranch_vccz .LBB94_3855
; %bb.3854:
	global_load_u8 v5, v[14:15], off
	s_wait_loadcnt 0x0
	v_lshlrev_b32_e32 v5, 24, v5
	s_delay_alu instid0(VALU_DEP_1) | instskip(NEXT) | instid1(VALU_DEP_1)
	v_and_b32_e32 v7, 0x7f000000, v5
	v_clz_i32_u32_e32 v9, v7
	v_add_nc_u32_e32 v13, 0x1000000, v7
	v_cmp_ne_u32_e32 vcc_lo, 0, v7
	s_delay_alu instid0(VALU_DEP_3) | instskip(NEXT) | instid1(VALU_DEP_1)
	v_min_u32_e32 v9, 32, v9
	v_sub_nc_u32_e64 v9, v9, 4 clamp
	s_delay_alu instid0(VALU_DEP_1) | instskip(NEXT) | instid1(VALU_DEP_1)
	v_dual_lshlrev_b32 v11, v9, v7 :: v_dual_lshlrev_b32 v9, 23, v9
	v_lshrrev_b32_e32 v11, 4, v11
	s_delay_alu instid0(VALU_DEP_1) | instskip(SKIP_1) | instid1(VALU_DEP_2)
	v_sub_nc_u32_e32 v9, v11, v9
	v_ashrrev_i32_e32 v11, 8, v13
	v_add_nc_u32_e32 v9, 0x3c000000, v9
	s_delay_alu instid0(VALU_DEP_1) | instskip(NEXT) | instid1(VALU_DEP_1)
	v_and_or_b32 v9, 0x7f800000, v11, v9
	v_cndmask_b32_e32 v7, 0, v9, vcc_lo
	s_delay_alu instid0(VALU_DEP_1) | instskip(NEXT) | instid1(VALU_DEP_1)
	v_and_or_b32 v5, 0x80000000, v5, v7
	v_trunc_f32_e32 v5, v5
	s_delay_alu instid0(VALU_DEP_1) | instskip(SKIP_1) | instid1(VALU_DEP_2)
	v_mul_f32_e64 v7, 0x2f800000, |v5|
	v_ashrrev_i32_e32 v16, 31, v5
	v_floor_f32_e32 v7, v7
	s_delay_alu instid0(VALU_DEP_2) | instskip(NEXT) | instid1(VALU_DEP_2)
	v_mov_b32_e32 v17, v16
	v_fma_f32 v9, 0xcf800000, v7, |v5|
	v_cvt_u32_f32_e32 v5, v7
	s_delay_alu instid0(VALU_DEP_2) | instskip(NEXT) | instid1(VALU_DEP_2)
	v_cvt_u32_f32_e32 v7, v9
	v_xor_b32_e32 v19, v5, v16
	s_delay_alu instid0(VALU_DEP_2) | instskip(NEXT) | instid1(VALU_DEP_1)
	v_xor_b32_e32 v18, v7, v16
	v_sub_nc_u64_e32 v[22:23], v[18:19], v[16:17]
.LBB94_3855:
	s_mov_b32 s1, 0
.LBB94_3856:
	s_delay_alu instid0(SALU_CYCLE_1)
	s_and_not1_b32 vcc_lo, exec_lo, s1
	s_cbranch_vccnz .LBB94_3858
; %bb.3857:
	global_load_u8 v5, v[14:15], off
	s_wait_loadcnt 0x0
	v_lshlrev_b32_e32 v7, 25, v5
	v_lshlrev_b16 v5, 8, v5
	s_delay_alu instid0(VALU_DEP_1) | instskip(SKIP_1) | instid1(VALU_DEP_2)
	v_and_or_b32 v11, 0x7f00, v5, 0.5
	v_bfe_i32 v5, v5, 0, 16
	v_add_f32_e32 v11, -0.5, v11
	v_lshrrev_b32_e32 v9, 4, v7
	v_cmp_gt_u32_e32 vcc_lo, 0x8000000, v7
	s_delay_alu instid0(VALU_DEP_2) | instskip(NEXT) | instid1(VALU_DEP_1)
	v_or_b32_e32 v9, 0x70000000, v9
	v_mul_f32_e32 v9, 0x7800000, v9
	s_delay_alu instid0(VALU_DEP_1) | instskip(NEXT) | instid1(VALU_DEP_1)
	v_cndmask_b32_e32 v7, v9, v11, vcc_lo
	v_and_or_b32 v5, 0x80000000, v5, v7
	s_delay_alu instid0(VALU_DEP_1) | instskip(NEXT) | instid1(VALU_DEP_1)
	v_trunc_f32_e32 v5, v5
	v_mul_f32_e64 v7, 0x2f800000, |v5|
	v_ashrrev_i32_e32 v16, 31, v5
	s_delay_alu instid0(VALU_DEP_2) | instskip(NEXT) | instid1(VALU_DEP_2)
	v_floor_f32_e32 v7, v7
	v_mov_b32_e32 v17, v16
	s_delay_alu instid0(VALU_DEP_2) | instskip(SKIP_1) | instid1(VALU_DEP_2)
	v_fma_f32 v9, 0xcf800000, v7, |v5|
	v_cvt_u32_f32_e32 v5, v7
	v_cvt_u32_f32_e32 v7, v9
	s_delay_alu instid0(VALU_DEP_2) | instskip(NEXT) | instid1(VALU_DEP_2)
	v_xor_b32_e32 v19, v5, v16
	v_xor_b32_e32 v18, v7, v16
	s_delay_alu instid0(VALU_DEP_1)
	v_sub_nc_u64_e32 v[22:23], v[18:19], v[16:17]
.LBB94_3858:
	s_mov_b32 s1, 0
	s_mov_b32 s5, -1
.LBB94_3859:
	s_and_not1_b32 vcc_lo, exec_lo, s1
	s_mov_b32 s1, 0
	s_cbranch_vccnz .LBB94_3870
; %bb.3860:
	s_cmp_gt_i32 s57, 14
	s_cbranch_scc0 .LBB94_3863
; %bb.3861:
	s_cmp_eq_u32 s57, 15
	s_cbranch_scc0 .LBB94_3866
; %bb.3862:
	global_load_u16 v5, v[14:15], off
	s_mov_b32 s0, 0
	s_mov_b32 s5, -1
	s_wait_loadcnt 0x0
	v_lshlrev_b32_e32 v5, 16, v5
	s_delay_alu instid0(VALU_DEP_1) | instskip(NEXT) | instid1(VALU_DEP_1)
	v_trunc_f32_e32 v5, v5
	v_mul_f32_e64 v7, 0x2f800000, |v5|
	v_ashrrev_i32_e32 v16, 31, v5
	s_delay_alu instid0(VALU_DEP_2) | instskip(NEXT) | instid1(VALU_DEP_2)
	v_floor_f32_e32 v7, v7
	v_mov_b32_e32 v17, v16
	s_delay_alu instid0(VALU_DEP_2) | instskip(SKIP_1) | instid1(VALU_DEP_2)
	v_fma_f32 v9, 0xcf800000, v7, |v5|
	v_cvt_u32_f32_e32 v5, v7
	v_cvt_u32_f32_e32 v7, v9
	s_delay_alu instid0(VALU_DEP_2) | instskip(NEXT) | instid1(VALU_DEP_2)
	v_xor_b32_e32 v19, v5, v16
	v_xor_b32_e32 v18, v7, v16
	s_delay_alu instid0(VALU_DEP_1)
	v_sub_nc_u64_e32 v[22:23], v[18:19], v[16:17]
	s_branch .LBB94_3868
.LBB94_3863:
	s_mov_b32 s1, -1
	s_branch .LBB94_3867
.LBB94_3864:
	s_and_not1_saveexec_b32 s1, s1
	s_cbranch_execz .LBB94_3845
.LBB94_3865:
	v_cmp_ne_u16_e32 vcc_lo, 0, v5
	s_and_not1_b32 s5, s5, exec_lo
	s_and_b32 s20, vcc_lo, exec_lo
	s_delay_alu instid0(SALU_CYCLE_1)
	s_or_b32 s5, s5, s20
	s_or_b32 exec_lo, exec_lo, s1
	v_mov_b64_e32 v[22:23], 0
	s_and_saveexec_b32 s1, s5
	s_cbranch_execnz .LBB94_3846
	s_branch .LBB94_3847
.LBB94_3866:
	s_mov_b32 s0, -1
.LBB94_3867:
                                        ; implicit-def: $vgpr22_vgpr23
.LBB94_3868:
	s_and_b32 vcc_lo, exec_lo, s1
	s_mov_b32 s1, 0
	s_cbranch_vccz .LBB94_3870
; %bb.3869:
	s_cmp_lg_u32 s57, 11
	s_mov_b32 s1, -1
	s_cselect_b32 s0, -1, 0
.LBB94_3870:
	s_delay_alu instid0(SALU_CYCLE_1)
	s_and_b32 vcc_lo, exec_lo, s0
	s_cbranch_vccnz .LBB94_3935
; %bb.3871:
	s_and_not1_b32 vcc_lo, exec_lo, s1
	s_cbranch_vccnz .LBB94_3873
.LBB94_3872:
	global_load_u8 v5, v[14:15], off
	s_mov_b32 s0, 0
	s_mov_b32 s5, -1
	s_wait_loadcnt 0x1
	v_mov_b32_e32 v23, s0
	s_wait_loadcnt 0x0
	v_cmp_ne_u16_e32 vcc_lo, 0, v5
	v_cndmask_b32_e64 v22, 0, 1, vcc_lo
.LBB94_3873:
	s_mov_b32 s0, 0
.LBB94_3874:
	s_delay_alu instid0(SALU_CYCLE_1)
	s_and_b32 vcc_lo, exec_lo, s0
	s_cbranch_vccz .LBB94_3923
; %bb.3875:
	s_cmp_lt_i32 s57, 5
	s_cbranch_scc1 .LBB94_3880
; %bb.3876:
	s_cmp_lt_i32 s57, 8
	s_cbranch_scc1 .LBB94_3881
	;; [unrolled: 3-line block ×3, first 2 shown]
; %bb.3878:
	s_cmp_gt_i32 s57, 9
	s_cbranch_scc0 .LBB94_3883
; %bb.3879:
	s_wait_loadcnt 0x0
	global_load_b64 v[16:17], v[14:15], off
	s_mov_b32 s0, 0
	s_wait_loadcnt 0x0
	v_trunc_f64_e32 v[16:17], v[16:17]
	s_delay_alu instid0(VALU_DEP_1) | instskip(NEXT) | instid1(VALU_DEP_1)
	v_ldexp_f64 v[18:19], v[16:17], 0xffffffe0
	v_floor_f64_e32 v[18:19], v[18:19]
	s_delay_alu instid0(VALU_DEP_1) | instskip(SKIP_1) | instid1(VALU_DEP_2)
	v_fmamk_f64 v[16:17], v[18:19], 0xc1f00000, v[16:17]
	v_cvt_i32_f64_e32 v23, v[18:19]
	v_cvt_u32_f64_e32 v22, v[16:17]
	s_branch .LBB94_3884
.LBB94_3880:
	s_mov_b32 s0, -1
                                        ; implicit-def: $vgpr22_vgpr23
	s_branch .LBB94_3902
.LBB94_3881:
	s_mov_b32 s0, -1
                                        ; implicit-def: $vgpr22_vgpr23
	s_branch .LBB94_3890
.LBB94_3882:
	s_mov_b32 s0, -1
                                        ; implicit-def: $vgpr22_vgpr23
	s_branch .LBB94_3887
.LBB94_3883:
	s_mov_b32 s0, -1
                                        ; implicit-def: $vgpr22_vgpr23
.LBB94_3884:
	s_delay_alu instid0(SALU_CYCLE_1)
	s_and_not1_b32 vcc_lo, exec_lo, s0
	s_cbranch_vccnz .LBB94_3886
; %bb.3885:
	global_load_b32 v5, v[14:15], off
	s_wait_loadcnt 0x0
	v_trunc_f32_e32 v5, v5
	s_delay_alu instid0(VALU_DEP_1) | instskip(SKIP_1) | instid1(VALU_DEP_2)
	v_mul_f32_e64 v7, 0x2f800000, |v5|
	v_ashrrev_i32_e32 v16, 31, v5
	v_floor_f32_e32 v7, v7
	s_delay_alu instid0(VALU_DEP_1) | instskip(SKIP_1) | instid1(VALU_DEP_4)
	v_fma_f32 v9, 0xcf800000, v7, |v5|
	v_cvt_u32_f32_e32 v5, v7
	v_mov_b32_e32 v17, v16
	s_delay_alu instid0(VALU_DEP_3) | instskip(NEXT) | instid1(VALU_DEP_3)
	v_cvt_u32_f32_e32 v7, v9
	v_xor_b32_e32 v19, v5, v16
	s_delay_alu instid0(VALU_DEP_2) | instskip(NEXT) | instid1(VALU_DEP_1)
	v_xor_b32_e32 v18, v7, v16
	v_sub_nc_u64_e32 v[22:23], v[18:19], v[16:17]
.LBB94_3886:
	s_mov_b32 s0, 0
.LBB94_3887:
	s_delay_alu instid0(SALU_CYCLE_1)
	s_and_not1_b32 vcc_lo, exec_lo, s0
	s_cbranch_vccnz .LBB94_3889
; %bb.3888:
	global_load_b32 v5, v[14:15], off
	s_wait_loadcnt 0x0
	v_cvt_f32_f16_e32 v5, v5
	s_delay_alu instid0(VALU_DEP_1) | instskip(NEXT) | instid1(VALU_DEP_1)
	v_cvt_i32_f32_e32 v22, v5
	v_ashrrev_i32_e32 v23, 31, v22
.LBB94_3889:
	s_mov_b32 s0, 0
.LBB94_3890:
	s_delay_alu instid0(SALU_CYCLE_1)
	s_and_not1_b32 vcc_lo, exec_lo, s0
	s_cbranch_vccnz .LBB94_3901
; %bb.3891:
	s_cmp_lt_i32 s57, 6
	s_cbranch_scc1 .LBB94_3894
; %bb.3892:
	s_cmp_gt_i32 s57, 6
	s_cbranch_scc0 .LBB94_3895
; %bb.3893:
	s_wait_loadcnt 0x0
	global_load_b64 v[16:17], v[14:15], off
	s_mov_b32 s0, 0
	s_wait_loadcnt 0x0
	v_trunc_f64_e32 v[16:17], v[16:17]
	s_delay_alu instid0(VALU_DEP_1) | instskip(NEXT) | instid1(VALU_DEP_1)
	v_ldexp_f64 v[18:19], v[16:17], 0xffffffe0
	v_floor_f64_e32 v[18:19], v[18:19]
	s_delay_alu instid0(VALU_DEP_1) | instskip(SKIP_1) | instid1(VALU_DEP_2)
	v_fmamk_f64 v[16:17], v[18:19], 0xc1f00000, v[16:17]
	v_cvt_i32_f64_e32 v23, v[18:19]
	v_cvt_u32_f64_e32 v22, v[16:17]
	s_branch .LBB94_3896
.LBB94_3894:
	s_mov_b32 s0, -1
                                        ; implicit-def: $vgpr22_vgpr23
	s_branch .LBB94_3899
.LBB94_3895:
	s_mov_b32 s0, -1
                                        ; implicit-def: $vgpr22_vgpr23
.LBB94_3896:
	s_delay_alu instid0(SALU_CYCLE_1)
	s_and_not1_b32 vcc_lo, exec_lo, s0
	s_cbranch_vccnz .LBB94_3898
; %bb.3897:
	global_load_b32 v5, v[14:15], off
	s_wait_loadcnt 0x0
	v_trunc_f32_e32 v5, v5
	s_delay_alu instid0(VALU_DEP_1) | instskip(SKIP_1) | instid1(VALU_DEP_2)
	v_mul_f32_e64 v7, 0x2f800000, |v5|
	v_ashrrev_i32_e32 v16, 31, v5
	v_floor_f32_e32 v7, v7
	s_delay_alu instid0(VALU_DEP_1) | instskip(SKIP_1) | instid1(VALU_DEP_4)
	v_fma_f32 v9, 0xcf800000, v7, |v5|
	v_cvt_u32_f32_e32 v5, v7
	v_mov_b32_e32 v17, v16
	s_delay_alu instid0(VALU_DEP_3) | instskip(NEXT) | instid1(VALU_DEP_3)
	v_cvt_u32_f32_e32 v7, v9
	v_xor_b32_e32 v19, v5, v16
	s_delay_alu instid0(VALU_DEP_2) | instskip(NEXT) | instid1(VALU_DEP_1)
	v_xor_b32_e32 v18, v7, v16
	v_sub_nc_u64_e32 v[22:23], v[18:19], v[16:17]
.LBB94_3898:
	s_mov_b32 s0, 0
.LBB94_3899:
	s_delay_alu instid0(SALU_CYCLE_1)
	s_and_not1_b32 vcc_lo, exec_lo, s0
	s_cbranch_vccnz .LBB94_3901
; %bb.3900:
	global_load_u16 v5, v[14:15], off
	s_wait_loadcnt 0x0
	v_cvt_f32_f16_e32 v5, v5
	s_delay_alu instid0(VALU_DEP_1) | instskip(NEXT) | instid1(VALU_DEP_1)
	v_cvt_i32_f32_e32 v22, v5
	v_ashrrev_i32_e32 v23, 31, v22
.LBB94_3901:
	s_mov_b32 s0, 0
.LBB94_3902:
	s_delay_alu instid0(SALU_CYCLE_1)
	s_and_not1_b32 vcc_lo, exec_lo, s0
	s_cbranch_vccnz .LBB94_3922
; %bb.3903:
	s_cmp_lt_i32 s57, 2
	s_cbranch_scc1 .LBB94_3907
; %bb.3904:
	s_cmp_lt_i32 s57, 3
	s_cbranch_scc1 .LBB94_3908
; %bb.3905:
	s_cmp_gt_i32 s57, 3
	s_cbranch_scc0 .LBB94_3909
; %bb.3906:
	s_wait_loadcnt 0x0
	global_load_b64 v[22:23], v[14:15], off
	s_mov_b32 s0, 0
	s_branch .LBB94_3910
.LBB94_3907:
	s_mov_b32 s0, -1
                                        ; implicit-def: $vgpr22_vgpr23
	s_branch .LBB94_3916
.LBB94_3908:
	s_mov_b32 s0, -1
                                        ; implicit-def: $vgpr22_vgpr23
	s_branch .LBB94_3913
.LBB94_3909:
	s_mov_b32 s0, -1
                                        ; implicit-def: $vgpr22_vgpr23
.LBB94_3910:
	s_delay_alu instid0(SALU_CYCLE_1)
	s_and_not1_b32 vcc_lo, exec_lo, s0
	s_cbranch_vccnz .LBB94_3912
; %bb.3911:
	s_wait_loadcnt 0x0
	global_load_b32 v22, v[14:15], off
	s_wait_loadcnt 0x0
	v_ashrrev_i32_e32 v23, 31, v22
.LBB94_3912:
	s_mov_b32 s0, 0
.LBB94_3913:
	s_delay_alu instid0(SALU_CYCLE_1)
	s_and_not1_b32 vcc_lo, exec_lo, s0
	s_cbranch_vccnz .LBB94_3915
; %bb.3914:
	global_load_u16 v5, v[14:15], off
	s_wait_loadcnt 0x0
	v_bfe_i32 v22, v5, 0, 16
	s_delay_alu instid0(VALU_DEP_1)
	v_ashrrev_i32_e32 v23, 31, v22
.LBB94_3915:
	s_mov_b32 s0, 0
.LBB94_3916:
	s_delay_alu instid0(SALU_CYCLE_1)
	s_and_not1_b32 vcc_lo, exec_lo, s0
	s_cbranch_vccnz .LBB94_3922
; %bb.3917:
	s_cmp_gt_i32 s57, 0
	s_mov_b32 s0, 0
	s_cbranch_scc0 .LBB94_3919
; %bb.3918:
	global_load_i8 v5, v[14:15], off
	s_wait_loadcnt 0x0
	v_bfe_i32 v22, v5, 0, 16
	s_delay_alu instid0(VALU_DEP_1)
	v_ashrrev_i32_e32 v23, 31, v22
	s_branch .LBB94_3920
.LBB94_3919:
	s_mov_b32 s0, -1
                                        ; implicit-def: $vgpr22_vgpr23
.LBB94_3920:
	s_delay_alu instid0(SALU_CYCLE_1)
	s_and_not1_b32 vcc_lo, exec_lo, s0
	s_cbranch_vccnz .LBB94_3922
; %bb.3921:
	global_load_u8 v5, v[14:15], off
	s_mov_b32 s0, 0
	s_wait_loadcnt 0x1
	v_mov_b32_e32 v23, s0
	s_wait_loadcnt 0x0
	v_and_b32_e32 v22, 0xffff, v5
.LBB94_3922:
	s_mov_b32 s5, -1
.LBB94_3923:
	s_delay_alu instid0(SALU_CYCLE_1)
	s_and_not1_b32 vcc_lo, exec_lo, s5
	s_cbranch_vccnz .LBB94_4318
; %bb.3924:
	s_lshl_b32 s62, s48, 7
	s_and_b32 s58, 0xffff, s49
	s_wait_xcnt 0x0
	v_add_nc_u32_e32 v14, s62, v4
	s_cmp_lt_i32 s58, 11
	s_delay_alu instid0(VALU_DEP_1) | instskip(SKIP_1) | instid1(VALU_DEP_1)
	v_ashrrev_i32_e32 v15, 31, v14
	s_wait_loadcnt 0x0
	v_add_nc_u64_e32 v[16:17], s[10:11], v[14:15]
	s_cbranch_scc1 .LBB94_3931
; %bb.3925:
	s_cmp_gt_i32 s58, 25
	s_mov_b32 s1, 0
	s_cbranch_scc0 .LBB94_3932
; %bb.3926:
	s_cmp_gt_i32 s58, 28
	s_cbranch_scc0 .LBB94_3933
; %bb.3927:
	s_cmp_gt_i32 s58, 43
	;; [unrolled: 3-line block ×3, first 2 shown]
	s_cbranch_scc0 .LBB94_3936
; %bb.3929:
	s_cmp_eq_u32 s58, 46
	s_mov_b32 s20, 0
	s_cbranch_scc0 .LBB94_3939
; %bb.3930:
	global_load_b32 v4, v[16:17], off
	s_mov_b32 s0, 0
	s_mov_b32 s5, -1
	s_wait_loadcnt 0x0
	v_lshlrev_b32_e32 v4, 16, v4
	s_delay_alu instid0(VALU_DEP_1) | instskip(NEXT) | instid1(VALU_DEP_1)
	v_trunc_f32_e32 v4, v4
	v_mul_f32_e64 v5, 0x2f800000, |v4|
	s_delay_alu instid0(VALU_DEP_1) | instskip(NEXT) | instid1(VALU_DEP_1)
	v_floor_f32_e32 v5, v5
	v_fma_f32 v7, 0xcf800000, v5, |v4|
	v_ashrrev_i32_e32 v4, 31, v4
	v_cvt_u32_f32_e32 v9, v5
	s_delay_alu instid0(VALU_DEP_3) | instskip(NEXT) | instid1(VALU_DEP_2)
	v_cvt_u32_f32_e32 v7, v7
	v_dual_mov_b32 v5, v4 :: v_dual_bitop2_b32 v19, v9, v4 bitop3:0x14
	s_delay_alu instid0(VALU_DEP_2) | instskip(NEXT) | instid1(VALU_DEP_1)
	v_xor_b32_e32 v18, v7, v4
	v_sub_nc_u64_e32 v[4:5], v[18:19], v[4:5]
	s_branch .LBB94_3941
.LBB94_3931:
	s_mov_b32 s0, -1
	s_mov_b32 s5, 0
                                        ; implicit-def: $vgpr4_vgpr5
	s_branch .LBB94_4003
.LBB94_3932:
	s_mov_b32 s20, -1
	s_mov_b32 s5, 0
	s_mov_b32 s0, 0
                                        ; implicit-def: $vgpr4_vgpr5
	s_branch .LBB94_3968
.LBB94_3933:
	s_mov_b32 s20, -1
	s_mov_b32 s5, 0
	s_mov_b32 s0, 0
                                        ; implicit-def: $vgpr4_vgpr5
	s_branch .LBB94_3951
.LBB94_3934:
	s_mov_b32 s20, -1
	s_mov_b32 s5, 0
	s_mov_b32 s0, 0
                                        ; implicit-def: $vgpr4_vgpr5
	s_branch .LBB94_3946
.LBB94_3935:
	s_or_b32 s44, s44, exec_lo
	s_trap 2
	s_cbranch_execz .LBB94_3872
	s_branch .LBB94_3873
.LBB94_3936:
	s_mov_b32 s20, -1
	s_mov_b32 s5, 0
	s_mov_b32 s0, 0
	s_branch .LBB94_3940
.LBB94_3937:
	s_or_b32 exec_lo, exec_lo, s56
	s_branch .LBB94_629
.LBB94_3938:
	s_or_b32 s38, s36, exec_lo
	s_trap 2
                                        ; implicit-def: $vgpr0_vgpr1
                                        ; implicit-def: $vgpr2_vgpr3
                                        ; implicit-def: $vgpr4
                                        ; implicit-def: $vgpr8_vgpr9
                                        ; implicit-def: $vgpr6
                                        ; implicit-def: $vgpr12_vgpr13
                                        ; implicit-def: $vgpr10
                                        ; implicit-def: $vgpr16_vgpr17
                                        ; implicit-def: $vgpr26
	s_branch .LBB94_3429
.LBB94_3939:
	s_mov_b32 s0, -1
	s_mov_b32 s5, 0
.LBB94_3940:
                                        ; implicit-def: $vgpr4_vgpr5
.LBB94_3941:
	s_and_b32 vcc_lo, exec_lo, s20
	s_cbranch_vccz .LBB94_3945
; %bb.3942:
	s_cmp_eq_u32 s58, 44
	s_cbranch_scc0 .LBB94_3944
; %bb.3943:
	global_load_u8 v7, v[16:17], off
	s_mov_b32 s0, 0
	s_mov_b32 s5, -1
	s_wait_loadcnt 0x0
	v_cmp_ne_u32_e32 vcc_lo, 0, v7
	v_lshlrev_b32_e32 v4, 23, v7
	s_delay_alu instid0(VALU_DEP_1) | instskip(NEXT) | instid1(VALU_DEP_1)
	v_trunc_f32_e32 v4, v4
	v_mul_f32_e64 v5, 0x2f800000, |v4|
	s_delay_alu instid0(VALU_DEP_1) | instskip(NEXT) | instid1(VALU_DEP_1)
	v_floor_f32_e32 v5, v5
	v_fma_f32 v9, 0xcf800000, v5, |v4|
	v_ashrrev_i32_e32 v4, 31, v4
	v_cvt_u32_f32_e32 v11, v5
	s_delay_alu instid0(VALU_DEP_3) | instskip(NEXT) | instid1(VALU_DEP_2)
	v_cvt_u32_f32_e32 v9, v9
	v_dual_mov_b32 v5, v4 :: v_dual_bitop2_b32 v19, v11, v4 bitop3:0x14
	s_delay_alu instid0(VALU_DEP_2) | instskip(NEXT) | instid1(VALU_DEP_1)
	v_xor_b32_e32 v18, v9, v4
	v_sub_nc_u64_e32 v[4:5], v[18:19], v[4:5]
	s_delay_alu instid0(VALU_DEP_1)
	v_dual_cndmask_b32 v5, 0, v5 :: v_dual_cndmask_b32 v4, 0, v4
	s_branch .LBB94_3945
.LBB94_3944:
	s_mov_b32 s0, -1
                                        ; implicit-def: $vgpr4_vgpr5
.LBB94_3945:
	s_mov_b32 s20, 0
.LBB94_3946:
	s_delay_alu instid0(SALU_CYCLE_1)
	s_and_b32 vcc_lo, exec_lo, s20
	s_cbranch_vccz .LBB94_3950
; %bb.3947:
	s_cmp_eq_u32 s58, 29
	s_cbranch_scc0 .LBB94_3949
; %bb.3948:
	global_load_b64 v[4:5], v[16:17], off
	s_mov_b32 s0, 0
	s_mov_b32 s5, -1
	s_branch .LBB94_3950
.LBB94_3949:
	s_mov_b32 s0, -1
                                        ; implicit-def: $vgpr4_vgpr5
.LBB94_3950:
	s_mov_b32 s20, 0
.LBB94_3951:
	s_delay_alu instid0(SALU_CYCLE_1)
	s_and_b32 vcc_lo, exec_lo, s20
	s_cbranch_vccz .LBB94_3967
; %bb.3952:
	s_cmp_lt_i32 s58, 27
	s_cbranch_scc1 .LBB94_3955
; %bb.3953:
	s_cmp_gt_i32 s58, 27
	s_cbranch_scc0 .LBB94_3956
; %bb.3954:
	s_wait_loadcnt 0x0
	global_load_b32 v4, v[16:17], off
	v_mov_b32_e32 v5, 0
	s_mov_b32 s5, 0
	s_branch .LBB94_3957
.LBB94_3955:
	s_mov_b32 s5, -1
                                        ; implicit-def: $vgpr4_vgpr5
	s_branch .LBB94_3960
.LBB94_3956:
	s_mov_b32 s5, -1
                                        ; implicit-def: $vgpr4_vgpr5
.LBB94_3957:
	s_delay_alu instid0(SALU_CYCLE_1)
	s_and_not1_b32 vcc_lo, exec_lo, s5
	s_cbranch_vccnz .LBB94_3959
; %bb.3958:
	s_wait_loadcnt 0x0
	global_load_u16 v4, v[16:17], off
	s_mov_b32 s5, 0
	s_delay_alu instid0(SALU_CYCLE_1)
	v_mov_b32_e32 v5, s5
	s_wait_loadcnt 0x0
	v_and_b32_e32 v4, 0xffff, v4
.LBB94_3959:
	s_mov_b32 s5, 0
.LBB94_3960:
	s_delay_alu instid0(SALU_CYCLE_1)
	s_and_not1_b32 vcc_lo, exec_lo, s5
	s_cbranch_vccnz .LBB94_3966
; %bb.3961:
	global_load_u8 v7, v[16:17], off
	s_mov_b32 s20, 0
	s_mov_b32 s5, exec_lo
	s_wait_loadcnt 0x0
	v_cmpx_lt_i16_e32 0x7f, v7
	s_xor_b32 s5, exec_lo, s5
	s_cbranch_execz .LBB94_3978
; %bb.3962:
	v_cmp_ne_u16_e32 vcc_lo, 0x80, v7
	s_and_b32 s20, vcc_lo, exec_lo
	s_and_not1_saveexec_b32 s5, s5
	s_cbranch_execnz .LBB94_3979
.LBB94_3963:
	s_or_b32 exec_lo, exec_lo, s5
	v_mov_b64_e32 v[4:5], 0
	s_and_saveexec_b32 s5, s20
	s_cbranch_execz .LBB94_3965
.LBB94_3964:
	v_and_b32_e32 v4, 0xffff, v7
	s_delay_alu instid0(VALU_DEP_1) | instskip(SKIP_1) | instid1(VALU_DEP_2)
	v_and_b32_e32 v5, 7, v4
	v_bfe_u32 v13, v4, 3, 4
	v_clz_i32_u32_e32 v9, v5
	s_delay_alu instid0(VALU_DEP_2) | instskip(NEXT) | instid1(VALU_DEP_2)
	v_cmp_eq_u32_e32 vcc_lo, 0, v13
	v_min_u32_e32 v9, 32, v9
	s_delay_alu instid0(VALU_DEP_1) | instskip(NEXT) | instid1(VALU_DEP_1)
	v_subrev_nc_u32_e32 v11, 28, v9
	v_dual_lshlrev_b32 v4, v11, v4 :: v_dual_sub_nc_u32 v9, 29, v9
	s_delay_alu instid0(VALU_DEP_1) | instskip(NEXT) | instid1(VALU_DEP_2)
	v_dual_lshlrev_b32 v7, 24, v7 :: v_dual_bitop2_b32 v4, 7, v4 bitop3:0x40
	v_cndmask_b32_e32 v9, v13, v9, vcc_lo
	s_delay_alu instid0(VALU_DEP_2) | instskip(NEXT) | instid1(VALU_DEP_3)
	v_cndmask_b32_e32 v4, v5, v4, vcc_lo
	v_and_b32_e32 v5, 0x80000000, v7
	s_delay_alu instid0(VALU_DEP_3) | instskip(NEXT) | instid1(VALU_DEP_3)
	v_lshl_add_u32 v7, v9, 23, 0x3b800000
	v_lshlrev_b32_e32 v4, 20, v4
	s_delay_alu instid0(VALU_DEP_1) | instskip(NEXT) | instid1(VALU_DEP_1)
	v_or3_b32 v4, v5, v7, v4
	v_trunc_f32_e32 v4, v4
	s_delay_alu instid0(VALU_DEP_1) | instskip(NEXT) | instid1(VALU_DEP_1)
	v_mul_f32_e64 v5, 0x2f800000, |v4|
	v_floor_f32_e32 v5, v5
	s_delay_alu instid0(VALU_DEP_1) | instskip(SKIP_2) | instid1(VALU_DEP_3)
	v_fma_f32 v7, 0xcf800000, v5, |v4|
	v_ashrrev_i32_e32 v4, 31, v4
	v_cvt_u32_f32_e32 v9, v5
	v_cvt_u32_f32_e32 v7, v7
	s_delay_alu instid0(VALU_DEP_2) | instskip(NEXT) | instid1(VALU_DEP_2)
	v_dual_mov_b32 v5, v4 :: v_dual_bitop2_b32 v19, v9, v4 bitop3:0x14
	v_xor_b32_e32 v18, v7, v4
	s_delay_alu instid0(VALU_DEP_1)
	v_sub_nc_u64_e32 v[4:5], v[18:19], v[4:5]
.LBB94_3965:
	s_or_b32 exec_lo, exec_lo, s5
.LBB94_3966:
	s_mov_b32 s5, -1
.LBB94_3967:
	s_mov_b32 s20, 0
.LBB94_3968:
	s_delay_alu instid0(SALU_CYCLE_1)
	s_and_b32 vcc_lo, exec_lo, s20
	s_cbranch_vccz .LBB94_3999
; %bb.3969:
	s_cmp_gt_i32 s58, 22
	s_cbranch_scc0 .LBB94_3977
; %bb.3970:
	s_cmp_lt_i32 s58, 24
	s_cbranch_scc1 .LBB94_3980
; %bb.3971:
	s_cmp_gt_i32 s58, 24
	s_cbranch_scc0 .LBB94_3981
; %bb.3972:
	global_load_u8 v7, v[16:17], off
	s_mov_b32 s5, 0
	s_mov_b32 s1, exec_lo
	s_wait_loadcnt 0x0
	v_cmpx_lt_i16_e32 0x7f, v7
	s_xor_b32 s1, exec_lo, s1
	s_cbranch_execz .LBB94_3993
; %bb.3973:
	v_cmp_ne_u16_e32 vcc_lo, 0x80, v7
	s_and_b32 s5, vcc_lo, exec_lo
	s_and_not1_saveexec_b32 s1, s1
	s_cbranch_execnz .LBB94_3994
.LBB94_3974:
	s_or_b32 exec_lo, exec_lo, s1
	v_mov_b64_e32 v[4:5], 0
	s_and_saveexec_b32 s1, s5
	s_cbranch_execz .LBB94_3976
.LBB94_3975:
	v_and_b32_e32 v4, 0xffff, v7
	s_delay_alu instid0(VALU_DEP_1) | instskip(SKIP_1) | instid1(VALU_DEP_2)
	v_and_b32_e32 v5, 3, v4
	v_bfe_u32 v13, v4, 2, 5
	v_clz_i32_u32_e32 v9, v5
	s_delay_alu instid0(VALU_DEP_2) | instskip(NEXT) | instid1(VALU_DEP_2)
	v_cmp_eq_u32_e32 vcc_lo, 0, v13
	v_min_u32_e32 v9, 32, v9
	s_delay_alu instid0(VALU_DEP_1) | instskip(NEXT) | instid1(VALU_DEP_1)
	v_subrev_nc_u32_e32 v11, 29, v9
	v_dual_lshlrev_b32 v4, v11, v4 :: v_dual_sub_nc_u32 v9, 30, v9
	s_delay_alu instid0(VALU_DEP_1) | instskip(NEXT) | instid1(VALU_DEP_2)
	v_dual_lshlrev_b32 v7, 24, v7 :: v_dual_bitop2_b32 v4, 3, v4 bitop3:0x40
	v_cndmask_b32_e32 v9, v13, v9, vcc_lo
	s_delay_alu instid0(VALU_DEP_2) | instskip(NEXT) | instid1(VALU_DEP_3)
	v_cndmask_b32_e32 v4, v5, v4, vcc_lo
	v_and_b32_e32 v5, 0x80000000, v7
	s_delay_alu instid0(VALU_DEP_3) | instskip(NEXT) | instid1(VALU_DEP_3)
	v_lshl_add_u32 v7, v9, 23, 0x37800000
	v_lshlrev_b32_e32 v4, 21, v4
	s_delay_alu instid0(VALU_DEP_1) | instskip(NEXT) | instid1(VALU_DEP_1)
	v_or3_b32 v4, v5, v7, v4
	v_trunc_f32_e32 v4, v4
	s_delay_alu instid0(VALU_DEP_1) | instskip(NEXT) | instid1(VALU_DEP_1)
	v_mul_f32_e64 v5, 0x2f800000, |v4|
	v_floor_f32_e32 v5, v5
	s_delay_alu instid0(VALU_DEP_1) | instskip(SKIP_2) | instid1(VALU_DEP_3)
	v_fma_f32 v7, 0xcf800000, v5, |v4|
	v_ashrrev_i32_e32 v4, 31, v4
	v_cvt_u32_f32_e32 v9, v5
	v_cvt_u32_f32_e32 v7, v7
	s_delay_alu instid0(VALU_DEP_2) | instskip(NEXT) | instid1(VALU_DEP_2)
	v_dual_mov_b32 v5, v4 :: v_dual_bitop2_b32 v19, v9, v4 bitop3:0x14
	v_xor_b32_e32 v18, v7, v4
	s_delay_alu instid0(VALU_DEP_1)
	v_sub_nc_u64_e32 v[4:5], v[18:19], v[4:5]
.LBB94_3976:
	s_or_b32 exec_lo, exec_lo, s1
	s_mov_b32 s1, 0
	s_branch .LBB94_3982
.LBB94_3977:
	s_mov_b32 s1, -1
                                        ; implicit-def: $vgpr4_vgpr5
	s_branch .LBB94_3988
.LBB94_3978:
	s_and_not1_saveexec_b32 s5, s5
	s_cbranch_execz .LBB94_3963
.LBB94_3979:
	v_cmp_ne_u16_e32 vcc_lo, 0, v7
	s_and_not1_b32 s20, s20, exec_lo
	s_and_b32 s21, vcc_lo, exec_lo
	s_delay_alu instid0(SALU_CYCLE_1)
	s_or_b32 s20, s20, s21
	s_or_b32 exec_lo, exec_lo, s5
	v_mov_b64_e32 v[4:5], 0
	s_and_saveexec_b32 s5, s20
	s_cbranch_execnz .LBB94_3964
	s_branch .LBB94_3965
.LBB94_3980:
	s_mov_b32 s1, -1
                                        ; implicit-def: $vgpr4_vgpr5
	s_branch .LBB94_3985
.LBB94_3981:
	s_mov_b32 s1, -1
                                        ; implicit-def: $vgpr4_vgpr5
.LBB94_3982:
	s_delay_alu instid0(SALU_CYCLE_1)
	s_and_b32 vcc_lo, exec_lo, s1
	s_cbranch_vccz .LBB94_3984
; %bb.3983:
	s_wait_loadcnt 0x0
	global_load_u8 v4, v[16:17], off
	s_wait_loadcnt 0x0
	v_lshlrev_b32_e32 v4, 24, v4
	s_delay_alu instid0(VALU_DEP_1) | instskip(NEXT) | instid1(VALU_DEP_1)
	v_and_b32_e32 v5, 0x7f000000, v4
	v_clz_i32_u32_e32 v7, v5
	v_add_nc_u32_e32 v11, 0x1000000, v5
	v_cmp_ne_u32_e32 vcc_lo, 0, v5
	s_delay_alu instid0(VALU_DEP_3) | instskip(NEXT) | instid1(VALU_DEP_1)
	v_min_u32_e32 v7, 32, v7
	v_sub_nc_u32_e64 v7, v7, 4 clamp
	s_delay_alu instid0(VALU_DEP_1) | instskip(NEXT) | instid1(VALU_DEP_1)
	v_dual_lshlrev_b32 v9, v7, v5 :: v_dual_lshlrev_b32 v7, 23, v7
	v_lshrrev_b32_e32 v9, 4, v9
	s_delay_alu instid0(VALU_DEP_1) | instskip(SKIP_1) | instid1(VALU_DEP_2)
	v_sub_nc_u32_e32 v7, v9, v7
	v_ashrrev_i32_e32 v9, 8, v11
	v_add_nc_u32_e32 v7, 0x3c000000, v7
	s_delay_alu instid0(VALU_DEP_1) | instskip(NEXT) | instid1(VALU_DEP_1)
	v_and_or_b32 v7, 0x7f800000, v9, v7
	v_cndmask_b32_e32 v5, 0, v7, vcc_lo
	s_delay_alu instid0(VALU_DEP_1) | instskip(NEXT) | instid1(VALU_DEP_1)
	v_and_or_b32 v4, 0x80000000, v4, v5
	v_trunc_f32_e32 v4, v4
	s_delay_alu instid0(VALU_DEP_1) | instskip(NEXT) | instid1(VALU_DEP_1)
	v_mul_f32_e64 v5, 0x2f800000, |v4|
	v_floor_f32_e32 v5, v5
	s_delay_alu instid0(VALU_DEP_1) | instskip(SKIP_2) | instid1(VALU_DEP_3)
	v_fma_f32 v7, 0xcf800000, v5, |v4|
	v_ashrrev_i32_e32 v4, 31, v4
	v_cvt_u32_f32_e32 v9, v5
	v_cvt_u32_f32_e32 v7, v7
	s_delay_alu instid0(VALU_DEP_2) | instskip(NEXT) | instid1(VALU_DEP_2)
	v_dual_mov_b32 v5, v4 :: v_dual_bitop2_b32 v19, v9, v4 bitop3:0x14
	v_xor_b32_e32 v18, v7, v4
	s_delay_alu instid0(VALU_DEP_1)
	v_sub_nc_u64_e32 v[4:5], v[18:19], v[4:5]
.LBB94_3984:
	s_mov_b32 s1, 0
.LBB94_3985:
	s_delay_alu instid0(SALU_CYCLE_1)
	s_and_not1_b32 vcc_lo, exec_lo, s1
	s_cbranch_vccnz .LBB94_3987
; %bb.3986:
	s_wait_loadcnt 0x0
	global_load_u8 v4, v[16:17], off
	s_wait_loadcnt 0x0
	v_lshlrev_b32_e32 v5, 25, v4
	v_lshlrev_b16 v4, 8, v4
	s_delay_alu instid0(VALU_DEP_1) | instskip(SKIP_1) | instid1(VALU_DEP_2)
	v_and_or_b32 v9, 0x7f00, v4, 0.5
	v_bfe_i32 v4, v4, 0, 16
	v_add_f32_e32 v9, -0.5, v9
	v_lshrrev_b32_e32 v7, 4, v5
	v_cmp_gt_u32_e32 vcc_lo, 0x8000000, v5
	s_delay_alu instid0(VALU_DEP_2) | instskip(NEXT) | instid1(VALU_DEP_1)
	v_or_b32_e32 v7, 0x70000000, v7
	v_mul_f32_e32 v7, 0x7800000, v7
	s_delay_alu instid0(VALU_DEP_1) | instskip(NEXT) | instid1(VALU_DEP_1)
	v_cndmask_b32_e32 v5, v7, v9, vcc_lo
	v_and_or_b32 v4, 0x80000000, v4, v5
	s_delay_alu instid0(VALU_DEP_1) | instskip(NEXT) | instid1(VALU_DEP_1)
	v_trunc_f32_e32 v4, v4
	v_mul_f32_e64 v5, 0x2f800000, |v4|
	s_delay_alu instid0(VALU_DEP_1) | instskip(NEXT) | instid1(VALU_DEP_1)
	v_floor_f32_e32 v5, v5
	v_fma_f32 v7, 0xcf800000, v5, |v4|
	v_ashrrev_i32_e32 v4, 31, v4
	v_cvt_u32_f32_e32 v9, v5
	s_delay_alu instid0(VALU_DEP_3) | instskip(NEXT) | instid1(VALU_DEP_2)
	v_cvt_u32_f32_e32 v7, v7
	v_dual_mov_b32 v5, v4 :: v_dual_bitop2_b32 v19, v9, v4 bitop3:0x14
	s_delay_alu instid0(VALU_DEP_2) | instskip(NEXT) | instid1(VALU_DEP_1)
	v_xor_b32_e32 v18, v7, v4
	v_sub_nc_u64_e32 v[4:5], v[18:19], v[4:5]
.LBB94_3987:
	s_mov_b32 s1, 0
	s_mov_b32 s5, -1
.LBB94_3988:
	s_and_not1_b32 vcc_lo, exec_lo, s1
	s_mov_b32 s1, 0
	s_cbranch_vccnz .LBB94_3999
; %bb.3989:
	s_cmp_gt_i32 s58, 14
	s_cbranch_scc0 .LBB94_3992
; %bb.3990:
	s_cmp_eq_u32 s58, 15
	s_cbranch_scc0 .LBB94_3995
; %bb.3991:
	s_wait_loadcnt 0x0
	global_load_u16 v4, v[16:17], off
	s_mov_b32 s0, 0
	s_mov_b32 s5, -1
	s_wait_loadcnt 0x0
	v_lshlrev_b32_e32 v4, 16, v4
	s_delay_alu instid0(VALU_DEP_1) | instskip(NEXT) | instid1(VALU_DEP_1)
	v_trunc_f32_e32 v4, v4
	v_mul_f32_e64 v5, 0x2f800000, |v4|
	s_delay_alu instid0(VALU_DEP_1) | instskip(NEXT) | instid1(VALU_DEP_1)
	v_floor_f32_e32 v5, v5
	v_fma_f32 v7, 0xcf800000, v5, |v4|
	v_ashrrev_i32_e32 v4, 31, v4
	v_cvt_u32_f32_e32 v9, v5
	s_delay_alu instid0(VALU_DEP_3) | instskip(NEXT) | instid1(VALU_DEP_2)
	v_cvt_u32_f32_e32 v7, v7
	v_dual_mov_b32 v5, v4 :: v_dual_bitop2_b32 v19, v9, v4 bitop3:0x14
	s_delay_alu instid0(VALU_DEP_2) | instskip(NEXT) | instid1(VALU_DEP_1)
	v_xor_b32_e32 v18, v7, v4
	v_sub_nc_u64_e32 v[4:5], v[18:19], v[4:5]
	s_branch .LBB94_3997
.LBB94_3992:
	s_mov_b32 s1, -1
	s_branch .LBB94_3996
.LBB94_3993:
	s_and_not1_saveexec_b32 s1, s1
	s_cbranch_execz .LBB94_3974
.LBB94_3994:
	v_cmp_ne_u16_e32 vcc_lo, 0, v7
	s_and_not1_b32 s5, s5, exec_lo
	s_and_b32 s20, vcc_lo, exec_lo
	s_delay_alu instid0(SALU_CYCLE_1)
	s_or_b32 s5, s5, s20
	s_or_b32 exec_lo, exec_lo, s1
	v_mov_b64_e32 v[4:5], 0
	s_and_saveexec_b32 s1, s5
	s_cbranch_execnz .LBB94_3975
	s_branch .LBB94_3976
.LBB94_3995:
	s_mov_b32 s0, -1
.LBB94_3996:
                                        ; implicit-def: $vgpr4_vgpr5
.LBB94_3997:
	s_and_b32 vcc_lo, exec_lo, s1
	s_mov_b32 s1, 0
	s_cbranch_vccz .LBB94_3999
; %bb.3998:
	s_cmp_lg_u32 s58, 11
	s_mov_b32 s1, -1
	s_cselect_b32 s0, -1, 0
.LBB94_3999:
	s_delay_alu instid0(SALU_CYCLE_1)
	s_and_b32 vcc_lo, exec_lo, s0
	s_cbranch_vccnz .LBB94_4064
; %bb.4000:
	s_and_not1_b32 vcc_lo, exec_lo, s1
	s_cbranch_vccnz .LBB94_4002
.LBB94_4001:
	s_wait_loadcnt 0x0
	global_load_u8 v4, v[16:17], off
	s_mov_b32 s0, 0
	s_mov_b32 s5, -1
	v_mov_b32_e32 v5, s0
	s_wait_loadcnt 0x0
	v_cmp_ne_u16_e32 vcc_lo, 0, v4
	v_cndmask_b32_e64 v4, 0, 1, vcc_lo
.LBB94_4002:
	s_mov_b32 s0, 0
.LBB94_4003:
	s_delay_alu instid0(SALU_CYCLE_1)
	s_and_b32 vcc_lo, exec_lo, s0
	s_cbranch_vccz .LBB94_4052
; %bb.4004:
	s_cmp_lt_i32 s58, 5
	s_cbranch_scc1 .LBB94_4009
; %bb.4005:
	s_cmp_lt_i32 s58, 8
	s_cbranch_scc1 .LBB94_4010
	;; [unrolled: 3-line block ×3, first 2 shown]
; %bb.4007:
	s_cmp_gt_i32 s58, 9
	s_cbranch_scc0 .LBB94_4012
; %bb.4008:
	s_wait_loadcnt 0x0
	global_load_b64 v[4:5], v[16:17], off
	s_mov_b32 s0, 0
	s_wait_loadcnt 0x0
	v_trunc_f64_e32 v[4:5], v[4:5]
	s_delay_alu instid0(VALU_DEP_1) | instskip(NEXT) | instid1(VALU_DEP_1)
	v_ldexp_f64 v[18:19], v[4:5], 0xffffffe0
	v_floor_f64_e32 v[18:19], v[18:19]
	s_delay_alu instid0(VALU_DEP_1) | instskip(SKIP_1) | instid1(VALU_DEP_2)
	v_fmamk_f64 v[24:25], v[18:19], 0xc1f00000, v[4:5]
	v_cvt_i32_f64_e32 v5, v[18:19]
	v_cvt_u32_f64_e32 v4, v[24:25]
	s_branch .LBB94_4013
.LBB94_4009:
	s_mov_b32 s0, -1
                                        ; implicit-def: $vgpr4_vgpr5
	s_branch .LBB94_4031
.LBB94_4010:
	s_mov_b32 s0, -1
                                        ; implicit-def: $vgpr4_vgpr5
	s_branch .LBB94_4019
.LBB94_4011:
	s_mov_b32 s0, -1
                                        ; implicit-def: $vgpr4_vgpr5
	s_branch .LBB94_4016
.LBB94_4012:
	s_mov_b32 s0, -1
                                        ; implicit-def: $vgpr4_vgpr5
.LBB94_4013:
	s_delay_alu instid0(SALU_CYCLE_1)
	s_and_not1_b32 vcc_lo, exec_lo, s0
	s_cbranch_vccnz .LBB94_4015
; %bb.4014:
	s_wait_loadcnt 0x0
	global_load_b32 v4, v[16:17], off
	s_wait_loadcnt 0x0
	v_trunc_f32_e32 v4, v4
	s_delay_alu instid0(VALU_DEP_1) | instskip(NEXT) | instid1(VALU_DEP_1)
	v_mul_f32_e64 v5, 0x2f800000, |v4|
	v_floor_f32_e32 v5, v5
	s_delay_alu instid0(VALU_DEP_1) | instskip(SKIP_2) | instid1(VALU_DEP_3)
	v_fma_f32 v7, 0xcf800000, v5, |v4|
	v_ashrrev_i32_e32 v4, 31, v4
	v_cvt_u32_f32_e32 v9, v5
	v_cvt_u32_f32_e32 v7, v7
	s_delay_alu instid0(VALU_DEP_2) | instskip(NEXT) | instid1(VALU_DEP_2)
	v_dual_mov_b32 v5, v4 :: v_dual_bitop2_b32 v19, v9, v4 bitop3:0x14
	v_xor_b32_e32 v18, v7, v4
	s_delay_alu instid0(VALU_DEP_1)
	v_sub_nc_u64_e32 v[4:5], v[18:19], v[4:5]
.LBB94_4015:
	s_mov_b32 s0, 0
.LBB94_4016:
	s_delay_alu instid0(SALU_CYCLE_1)
	s_and_not1_b32 vcc_lo, exec_lo, s0
	s_cbranch_vccnz .LBB94_4018
; %bb.4017:
	s_wait_loadcnt 0x0
	global_load_b32 v4, v[16:17], off
	s_wait_loadcnt 0x0
	v_cvt_f32_f16_e32 v4, v4
	s_delay_alu instid0(VALU_DEP_1) | instskip(NEXT) | instid1(VALU_DEP_1)
	v_cvt_i32_f32_e32 v4, v4
	v_ashrrev_i32_e32 v5, 31, v4
.LBB94_4018:
	s_mov_b32 s0, 0
.LBB94_4019:
	s_delay_alu instid0(SALU_CYCLE_1)
	s_and_not1_b32 vcc_lo, exec_lo, s0
	s_cbranch_vccnz .LBB94_4030
; %bb.4020:
	s_cmp_lt_i32 s58, 6
	s_cbranch_scc1 .LBB94_4023
; %bb.4021:
	s_cmp_gt_i32 s58, 6
	s_cbranch_scc0 .LBB94_4024
; %bb.4022:
	s_wait_loadcnt 0x0
	global_load_b64 v[4:5], v[16:17], off
	s_mov_b32 s0, 0
	s_wait_loadcnt 0x0
	v_trunc_f64_e32 v[4:5], v[4:5]
	s_delay_alu instid0(VALU_DEP_1) | instskip(NEXT) | instid1(VALU_DEP_1)
	v_ldexp_f64 v[18:19], v[4:5], 0xffffffe0
	v_floor_f64_e32 v[18:19], v[18:19]
	s_delay_alu instid0(VALU_DEP_1) | instskip(SKIP_1) | instid1(VALU_DEP_2)
	v_fmamk_f64 v[24:25], v[18:19], 0xc1f00000, v[4:5]
	v_cvt_i32_f64_e32 v5, v[18:19]
	v_cvt_u32_f64_e32 v4, v[24:25]
	s_branch .LBB94_4025
.LBB94_4023:
	s_mov_b32 s0, -1
                                        ; implicit-def: $vgpr4_vgpr5
	s_branch .LBB94_4028
.LBB94_4024:
	s_mov_b32 s0, -1
                                        ; implicit-def: $vgpr4_vgpr5
.LBB94_4025:
	s_delay_alu instid0(SALU_CYCLE_1)
	s_and_not1_b32 vcc_lo, exec_lo, s0
	s_cbranch_vccnz .LBB94_4027
; %bb.4026:
	s_wait_loadcnt 0x0
	global_load_b32 v4, v[16:17], off
	s_wait_loadcnt 0x0
	v_trunc_f32_e32 v4, v4
	s_delay_alu instid0(VALU_DEP_1) | instskip(NEXT) | instid1(VALU_DEP_1)
	v_mul_f32_e64 v5, 0x2f800000, |v4|
	v_floor_f32_e32 v5, v5
	s_delay_alu instid0(VALU_DEP_1) | instskip(SKIP_2) | instid1(VALU_DEP_3)
	v_fma_f32 v7, 0xcf800000, v5, |v4|
	v_ashrrev_i32_e32 v4, 31, v4
	v_cvt_u32_f32_e32 v9, v5
	v_cvt_u32_f32_e32 v7, v7
	s_delay_alu instid0(VALU_DEP_2) | instskip(NEXT) | instid1(VALU_DEP_2)
	v_dual_mov_b32 v5, v4 :: v_dual_bitop2_b32 v19, v9, v4 bitop3:0x14
	v_xor_b32_e32 v18, v7, v4
	s_delay_alu instid0(VALU_DEP_1)
	v_sub_nc_u64_e32 v[4:5], v[18:19], v[4:5]
.LBB94_4027:
	s_mov_b32 s0, 0
.LBB94_4028:
	s_delay_alu instid0(SALU_CYCLE_1)
	s_and_not1_b32 vcc_lo, exec_lo, s0
	s_cbranch_vccnz .LBB94_4030
; %bb.4029:
	s_wait_loadcnt 0x0
	global_load_u16 v4, v[16:17], off
	s_wait_loadcnt 0x0
	v_cvt_f32_f16_e32 v4, v4
	s_delay_alu instid0(VALU_DEP_1) | instskip(NEXT) | instid1(VALU_DEP_1)
	v_cvt_i32_f32_e32 v4, v4
	v_ashrrev_i32_e32 v5, 31, v4
.LBB94_4030:
	s_mov_b32 s0, 0
.LBB94_4031:
	s_delay_alu instid0(SALU_CYCLE_1)
	s_and_not1_b32 vcc_lo, exec_lo, s0
	s_cbranch_vccnz .LBB94_4051
; %bb.4032:
	s_cmp_lt_i32 s58, 2
	s_cbranch_scc1 .LBB94_4036
; %bb.4033:
	s_cmp_lt_i32 s58, 3
	s_cbranch_scc1 .LBB94_4037
; %bb.4034:
	s_cmp_gt_i32 s58, 3
	s_cbranch_scc0 .LBB94_4038
; %bb.4035:
	s_wait_loadcnt 0x0
	global_load_b64 v[4:5], v[16:17], off
	s_mov_b32 s0, 0
	s_branch .LBB94_4039
.LBB94_4036:
	s_mov_b32 s0, -1
                                        ; implicit-def: $vgpr4_vgpr5
	s_branch .LBB94_4045
.LBB94_4037:
	s_mov_b32 s0, -1
                                        ; implicit-def: $vgpr4_vgpr5
	s_branch .LBB94_4042
.LBB94_4038:
	s_mov_b32 s0, -1
                                        ; implicit-def: $vgpr4_vgpr5
.LBB94_4039:
	s_delay_alu instid0(SALU_CYCLE_1)
	s_and_not1_b32 vcc_lo, exec_lo, s0
	s_cbranch_vccnz .LBB94_4041
; %bb.4040:
	s_wait_loadcnt 0x0
	global_load_b32 v4, v[16:17], off
	s_wait_loadcnt 0x0
	v_ashrrev_i32_e32 v5, 31, v4
.LBB94_4041:
	s_mov_b32 s0, 0
.LBB94_4042:
	s_delay_alu instid0(SALU_CYCLE_1)
	s_and_not1_b32 vcc_lo, exec_lo, s0
	s_cbranch_vccnz .LBB94_4044
; %bb.4043:
	s_wait_loadcnt 0x0
	global_load_u16 v4, v[16:17], off
	s_wait_loadcnt 0x0
	v_bfe_i32 v4, v4, 0, 16
	s_delay_alu instid0(VALU_DEP_1)
	v_ashrrev_i32_e32 v5, 31, v4
.LBB94_4044:
	s_mov_b32 s0, 0
.LBB94_4045:
	s_delay_alu instid0(SALU_CYCLE_1)
	s_and_not1_b32 vcc_lo, exec_lo, s0
	s_cbranch_vccnz .LBB94_4051
; %bb.4046:
	s_cmp_gt_i32 s58, 0
	s_mov_b32 s0, 0
	s_cbranch_scc0 .LBB94_4048
; %bb.4047:
	s_wait_loadcnt 0x0
	global_load_i8 v4, v[16:17], off
	s_wait_loadcnt 0x0
	v_bfe_i32 v4, v4, 0, 16
	s_delay_alu instid0(VALU_DEP_1)
	v_ashrrev_i32_e32 v5, 31, v4
	s_branch .LBB94_4049
.LBB94_4048:
	s_mov_b32 s0, -1
                                        ; implicit-def: $vgpr4_vgpr5
.LBB94_4049:
	s_delay_alu instid0(SALU_CYCLE_1)
	s_and_not1_b32 vcc_lo, exec_lo, s0
	s_cbranch_vccnz .LBB94_4051
; %bb.4050:
	s_wait_loadcnt 0x0
	global_load_u8 v4, v[16:17], off
	s_mov_b32 s0, 0
	s_delay_alu instid0(SALU_CYCLE_1)
	v_mov_b32_e32 v5, s0
	s_wait_loadcnt 0x0
	v_and_b32_e32 v4, 0xffff, v4
.LBB94_4051:
	s_mov_b32 s5, -1
.LBB94_4052:
	s_delay_alu instid0(SALU_CYCLE_1)
	s_and_not1_b32 vcc_lo, exec_lo, s5
	s_cbranch_vccnz .LBB94_4318
; %bb.4053:
	s_lshl_b32 s63, s50, 7
	s_and_b32 s59, 0xffff, s51
	s_wait_xcnt 0x0
	v_add_nc_u32_e32 v16, s63, v6
	s_cmp_lt_i32 s59, 11
	s_delay_alu instid0(VALU_DEP_1) | instskip(NEXT) | instid1(VALU_DEP_1)
	v_ashrrev_i32_e32 v17, 31, v16
	v_add_nc_u64_e32 v[18:19], s[12:13], v[16:17]
	s_cbranch_scc1 .LBB94_4060
; %bb.4054:
	s_cmp_gt_i32 s59, 25
	s_mov_b32 s1, 0
	s_cbranch_scc0 .LBB94_4061
; %bb.4055:
	s_cmp_gt_i32 s59, 28
	s_cbranch_scc0 .LBB94_4062
; %bb.4056:
	s_cmp_gt_i32 s59, 43
	;; [unrolled: 3-line block ×3, first 2 shown]
	s_cbranch_scc0 .LBB94_4065
; %bb.4058:
	s_cmp_eq_u32 s59, 46
	s_mov_b32 s20, 0
	s_cbranch_scc0 .LBB94_4068
; %bb.4059:
	global_load_b32 v6, v[18:19], off
	s_mov_b32 s0, 0
	s_mov_b32 s5, -1
	s_wait_loadcnt 0x0
	v_lshlrev_b32_e32 v6, 16, v6
	s_delay_alu instid0(VALU_DEP_1) | instskip(NEXT) | instid1(VALU_DEP_1)
	v_trunc_f32_e32 v6, v6
	v_mul_f32_e64 v7, 0x2f800000, |v6|
	s_delay_alu instid0(VALU_DEP_1) | instskip(NEXT) | instid1(VALU_DEP_1)
	v_floor_f32_e32 v7, v7
	v_fma_f32 v9, 0xcf800000, v7, |v6|
	v_ashrrev_i32_e32 v6, 31, v6
	v_cvt_u32_f32_e32 v11, v7
	s_delay_alu instid0(VALU_DEP_3) | instskip(NEXT) | instid1(VALU_DEP_2)
	v_cvt_u32_f32_e32 v9, v9
	v_dual_mov_b32 v7, v6 :: v_dual_bitop2_b32 v25, v11, v6 bitop3:0x14
	s_delay_alu instid0(VALU_DEP_2) | instskip(NEXT) | instid1(VALU_DEP_1)
	v_xor_b32_e32 v24, v9, v6
	v_sub_nc_u64_e32 v[6:7], v[24:25], v[6:7]
	s_branch .LBB94_4070
.LBB94_4060:
	s_mov_b32 s0, -1
	s_mov_b32 s5, 0
                                        ; implicit-def: $vgpr6_vgpr7
	s_branch .LBB94_4132
.LBB94_4061:
	s_mov_b32 s20, -1
	s_mov_b32 s5, 0
	s_mov_b32 s0, 0
                                        ; implicit-def: $vgpr6_vgpr7
	s_branch .LBB94_4097
.LBB94_4062:
	s_mov_b32 s20, -1
	s_mov_b32 s5, 0
	s_mov_b32 s0, 0
                                        ; implicit-def: $vgpr6_vgpr7
	s_branch .LBB94_4080
.LBB94_4063:
	s_mov_b32 s20, -1
	s_mov_b32 s5, 0
	s_mov_b32 s0, 0
                                        ; implicit-def: $vgpr6_vgpr7
	s_branch .LBB94_4075
.LBB94_4064:
	s_or_b32 s44, s44, exec_lo
	s_trap 2
	s_cbranch_execz .LBB94_4001
	s_branch .LBB94_4002
.LBB94_4065:
	s_mov_b32 s20, -1
	s_mov_b32 s5, 0
	s_mov_b32 s0, 0
	s_branch .LBB94_4069
.LBB94_4066:
	s_or_b32 exec_lo, exec_lo, s74
	s_branch .LBB94_1298
.LBB94_4067:
	s_or_b32 s40, s38, exec_lo
	s_trap 2
                                        ; implicit-def: $vgpr0_vgpr1
                                        ; implicit-def: $vgpr2_vgpr3
                                        ; implicit-def: $vgpr4
                                        ; implicit-def: $vgpr8_vgpr9
                                        ; implicit-def: $vgpr6
                                        ; implicit-def: $vgpr12_vgpr13
                                        ; implicit-def: $vgpr10
                                        ; implicit-def: $vgpr16_vgpr17
                                        ; implicit-def: $vgpr26
	s_branch .LBB94_3431
.LBB94_4068:
	s_mov_b32 s0, -1
	s_mov_b32 s5, 0
.LBB94_4069:
                                        ; implicit-def: $vgpr6_vgpr7
.LBB94_4070:
	s_and_b32 vcc_lo, exec_lo, s20
	s_cbranch_vccz .LBB94_4074
; %bb.4071:
	s_cmp_eq_u32 s59, 44
	s_cbranch_scc0 .LBB94_4073
; %bb.4072:
	global_load_u8 v9, v[18:19], off
	s_mov_b32 s0, 0
	s_mov_b32 s5, -1
	s_wait_loadcnt 0x0
	v_cmp_ne_u32_e32 vcc_lo, 0, v9
	v_lshlrev_b32_e32 v6, 23, v9
	s_delay_alu instid0(VALU_DEP_1) | instskip(NEXT) | instid1(VALU_DEP_1)
	v_trunc_f32_e32 v6, v6
	v_mul_f32_e64 v7, 0x2f800000, |v6|
	s_delay_alu instid0(VALU_DEP_1) | instskip(NEXT) | instid1(VALU_DEP_1)
	v_floor_f32_e32 v7, v7
	v_fma_f32 v11, 0xcf800000, v7, |v6|
	v_ashrrev_i32_e32 v6, 31, v6
	v_cvt_u32_f32_e32 v13, v7
	s_delay_alu instid0(VALU_DEP_3) | instskip(NEXT) | instid1(VALU_DEP_2)
	v_cvt_u32_f32_e32 v11, v11
	v_dual_mov_b32 v7, v6 :: v_dual_bitop2_b32 v25, v13, v6 bitop3:0x14
	s_delay_alu instid0(VALU_DEP_2) | instskip(NEXT) | instid1(VALU_DEP_1)
	v_xor_b32_e32 v24, v11, v6
	v_sub_nc_u64_e32 v[6:7], v[24:25], v[6:7]
	s_delay_alu instid0(VALU_DEP_1)
	v_dual_cndmask_b32 v7, 0, v7 :: v_dual_cndmask_b32 v6, 0, v6
	s_branch .LBB94_4074
.LBB94_4073:
	s_mov_b32 s0, -1
                                        ; implicit-def: $vgpr6_vgpr7
.LBB94_4074:
	s_mov_b32 s20, 0
.LBB94_4075:
	s_delay_alu instid0(SALU_CYCLE_1)
	s_and_b32 vcc_lo, exec_lo, s20
	s_cbranch_vccz .LBB94_4079
; %bb.4076:
	s_cmp_eq_u32 s59, 29
	s_cbranch_scc0 .LBB94_4078
; %bb.4077:
	global_load_b64 v[6:7], v[18:19], off
	s_mov_b32 s0, 0
	s_mov_b32 s5, -1
	s_branch .LBB94_4079
.LBB94_4078:
	s_mov_b32 s0, -1
                                        ; implicit-def: $vgpr6_vgpr7
.LBB94_4079:
	s_mov_b32 s20, 0
.LBB94_4080:
	s_delay_alu instid0(SALU_CYCLE_1)
	s_and_b32 vcc_lo, exec_lo, s20
	s_cbranch_vccz .LBB94_4096
; %bb.4081:
	s_cmp_lt_i32 s59, 27
	s_cbranch_scc1 .LBB94_4084
; %bb.4082:
	s_cmp_gt_i32 s59, 27
	s_cbranch_scc0 .LBB94_4085
; %bb.4083:
	s_wait_loadcnt 0x0
	global_load_b32 v6, v[18:19], off
	v_mov_b32_e32 v7, 0
	s_mov_b32 s5, 0
	s_branch .LBB94_4086
.LBB94_4084:
	s_mov_b32 s5, -1
                                        ; implicit-def: $vgpr6_vgpr7
	s_branch .LBB94_4089
.LBB94_4085:
	s_mov_b32 s5, -1
                                        ; implicit-def: $vgpr6_vgpr7
.LBB94_4086:
	s_delay_alu instid0(SALU_CYCLE_1)
	s_and_not1_b32 vcc_lo, exec_lo, s5
	s_cbranch_vccnz .LBB94_4088
; %bb.4087:
	s_wait_loadcnt 0x0
	global_load_u16 v6, v[18:19], off
	s_mov_b32 s5, 0
	s_delay_alu instid0(SALU_CYCLE_1)
	v_mov_b32_e32 v7, s5
	s_wait_loadcnt 0x0
	v_and_b32_e32 v6, 0xffff, v6
.LBB94_4088:
	s_mov_b32 s5, 0
.LBB94_4089:
	s_delay_alu instid0(SALU_CYCLE_1)
	s_and_not1_b32 vcc_lo, exec_lo, s5
	s_cbranch_vccnz .LBB94_4095
; %bb.4090:
	global_load_u8 v9, v[18:19], off
	s_mov_b32 s20, 0
	s_mov_b32 s5, exec_lo
	s_wait_loadcnt 0x0
	v_cmpx_lt_i16_e32 0x7f, v9
	s_xor_b32 s5, exec_lo, s5
	s_cbranch_execz .LBB94_4107
; %bb.4091:
	v_cmp_ne_u16_e32 vcc_lo, 0x80, v9
	s_and_b32 s20, vcc_lo, exec_lo
	s_and_not1_saveexec_b32 s5, s5
	s_cbranch_execnz .LBB94_4108
.LBB94_4092:
	s_or_b32 exec_lo, exec_lo, s5
	v_mov_b64_e32 v[6:7], 0
	s_and_saveexec_b32 s5, s20
	s_cbranch_execz .LBB94_4094
.LBB94_4093:
	v_and_b32_e32 v6, 0xffff, v9
	s_delay_alu instid0(VALU_DEP_1) | instskip(SKIP_1) | instid1(VALU_DEP_2)
	v_and_b32_e32 v7, 7, v6
	v_bfe_u32 v15, v6, 3, 4
	v_clz_i32_u32_e32 v11, v7
	s_delay_alu instid0(VALU_DEP_2) | instskip(NEXT) | instid1(VALU_DEP_2)
	v_cmp_eq_u32_e32 vcc_lo, 0, v15
	v_min_u32_e32 v11, 32, v11
	s_delay_alu instid0(VALU_DEP_1) | instskip(NEXT) | instid1(VALU_DEP_1)
	v_subrev_nc_u32_e32 v13, 28, v11
	v_dual_lshlrev_b32 v6, v13, v6 :: v_dual_sub_nc_u32 v11, 29, v11
	s_delay_alu instid0(VALU_DEP_1) | instskip(NEXT) | instid1(VALU_DEP_2)
	v_dual_lshlrev_b32 v9, 24, v9 :: v_dual_bitop2_b32 v6, 7, v6 bitop3:0x40
	v_cndmask_b32_e32 v11, v15, v11, vcc_lo
	s_delay_alu instid0(VALU_DEP_2) | instskip(NEXT) | instid1(VALU_DEP_3)
	v_cndmask_b32_e32 v6, v7, v6, vcc_lo
	v_and_b32_e32 v7, 0x80000000, v9
	s_delay_alu instid0(VALU_DEP_3) | instskip(NEXT) | instid1(VALU_DEP_3)
	v_lshl_add_u32 v9, v11, 23, 0x3b800000
	v_lshlrev_b32_e32 v6, 20, v6
	s_delay_alu instid0(VALU_DEP_1) | instskip(NEXT) | instid1(VALU_DEP_1)
	v_or3_b32 v6, v7, v9, v6
	v_trunc_f32_e32 v6, v6
	s_delay_alu instid0(VALU_DEP_1) | instskip(NEXT) | instid1(VALU_DEP_1)
	v_mul_f32_e64 v7, 0x2f800000, |v6|
	v_floor_f32_e32 v7, v7
	s_delay_alu instid0(VALU_DEP_1) | instskip(SKIP_2) | instid1(VALU_DEP_3)
	v_fma_f32 v9, 0xcf800000, v7, |v6|
	v_ashrrev_i32_e32 v6, 31, v6
	v_cvt_u32_f32_e32 v11, v7
	v_cvt_u32_f32_e32 v9, v9
	s_delay_alu instid0(VALU_DEP_2) | instskip(NEXT) | instid1(VALU_DEP_2)
	v_dual_mov_b32 v7, v6 :: v_dual_bitop2_b32 v25, v11, v6 bitop3:0x14
	v_xor_b32_e32 v24, v9, v6
	s_delay_alu instid0(VALU_DEP_1)
	v_sub_nc_u64_e32 v[6:7], v[24:25], v[6:7]
.LBB94_4094:
	s_or_b32 exec_lo, exec_lo, s5
.LBB94_4095:
	s_mov_b32 s5, -1
.LBB94_4096:
	s_mov_b32 s20, 0
.LBB94_4097:
	s_delay_alu instid0(SALU_CYCLE_1)
	s_and_b32 vcc_lo, exec_lo, s20
	s_cbranch_vccz .LBB94_4128
; %bb.4098:
	s_cmp_gt_i32 s59, 22
	s_cbranch_scc0 .LBB94_4106
; %bb.4099:
	s_cmp_lt_i32 s59, 24
	s_cbranch_scc1 .LBB94_4109
; %bb.4100:
	s_cmp_gt_i32 s59, 24
	s_cbranch_scc0 .LBB94_4110
; %bb.4101:
	global_load_u8 v9, v[18:19], off
	s_mov_b32 s5, 0
	s_mov_b32 s1, exec_lo
	s_wait_loadcnt 0x0
	v_cmpx_lt_i16_e32 0x7f, v9
	s_xor_b32 s1, exec_lo, s1
	s_cbranch_execz .LBB94_4122
; %bb.4102:
	v_cmp_ne_u16_e32 vcc_lo, 0x80, v9
	s_and_b32 s5, vcc_lo, exec_lo
	s_and_not1_saveexec_b32 s1, s1
	s_cbranch_execnz .LBB94_4123
.LBB94_4103:
	s_or_b32 exec_lo, exec_lo, s1
	v_mov_b64_e32 v[6:7], 0
	s_and_saveexec_b32 s1, s5
	s_cbranch_execz .LBB94_4105
.LBB94_4104:
	v_and_b32_e32 v6, 0xffff, v9
	s_delay_alu instid0(VALU_DEP_1) | instskip(SKIP_1) | instid1(VALU_DEP_2)
	v_and_b32_e32 v7, 3, v6
	v_bfe_u32 v15, v6, 2, 5
	v_clz_i32_u32_e32 v11, v7
	s_delay_alu instid0(VALU_DEP_2) | instskip(NEXT) | instid1(VALU_DEP_2)
	v_cmp_eq_u32_e32 vcc_lo, 0, v15
	v_min_u32_e32 v11, 32, v11
	s_delay_alu instid0(VALU_DEP_1) | instskip(NEXT) | instid1(VALU_DEP_1)
	v_subrev_nc_u32_e32 v13, 29, v11
	v_dual_lshlrev_b32 v6, v13, v6 :: v_dual_sub_nc_u32 v11, 30, v11
	s_delay_alu instid0(VALU_DEP_1) | instskip(NEXT) | instid1(VALU_DEP_2)
	v_dual_lshlrev_b32 v9, 24, v9 :: v_dual_bitop2_b32 v6, 3, v6 bitop3:0x40
	v_cndmask_b32_e32 v11, v15, v11, vcc_lo
	s_delay_alu instid0(VALU_DEP_2) | instskip(NEXT) | instid1(VALU_DEP_3)
	v_cndmask_b32_e32 v6, v7, v6, vcc_lo
	v_and_b32_e32 v7, 0x80000000, v9
	s_delay_alu instid0(VALU_DEP_3) | instskip(NEXT) | instid1(VALU_DEP_3)
	v_lshl_add_u32 v9, v11, 23, 0x37800000
	v_lshlrev_b32_e32 v6, 21, v6
	s_delay_alu instid0(VALU_DEP_1) | instskip(NEXT) | instid1(VALU_DEP_1)
	v_or3_b32 v6, v7, v9, v6
	v_trunc_f32_e32 v6, v6
	s_delay_alu instid0(VALU_DEP_1) | instskip(NEXT) | instid1(VALU_DEP_1)
	v_mul_f32_e64 v7, 0x2f800000, |v6|
	v_floor_f32_e32 v7, v7
	s_delay_alu instid0(VALU_DEP_1) | instskip(SKIP_2) | instid1(VALU_DEP_3)
	v_fma_f32 v9, 0xcf800000, v7, |v6|
	v_ashrrev_i32_e32 v6, 31, v6
	v_cvt_u32_f32_e32 v11, v7
	v_cvt_u32_f32_e32 v9, v9
	s_delay_alu instid0(VALU_DEP_2) | instskip(NEXT) | instid1(VALU_DEP_2)
	v_dual_mov_b32 v7, v6 :: v_dual_bitop2_b32 v25, v11, v6 bitop3:0x14
	v_xor_b32_e32 v24, v9, v6
	s_delay_alu instid0(VALU_DEP_1)
	v_sub_nc_u64_e32 v[6:7], v[24:25], v[6:7]
.LBB94_4105:
	s_or_b32 exec_lo, exec_lo, s1
	s_mov_b32 s1, 0
	s_branch .LBB94_4111
.LBB94_4106:
	s_mov_b32 s1, -1
                                        ; implicit-def: $vgpr6_vgpr7
	s_branch .LBB94_4117
.LBB94_4107:
	s_and_not1_saveexec_b32 s5, s5
	s_cbranch_execz .LBB94_4092
.LBB94_4108:
	v_cmp_ne_u16_e32 vcc_lo, 0, v9
	s_and_not1_b32 s20, s20, exec_lo
	s_and_b32 s21, vcc_lo, exec_lo
	s_delay_alu instid0(SALU_CYCLE_1)
	s_or_b32 s20, s20, s21
	s_or_b32 exec_lo, exec_lo, s5
	v_mov_b64_e32 v[6:7], 0
	s_and_saveexec_b32 s5, s20
	s_cbranch_execnz .LBB94_4093
	s_branch .LBB94_4094
.LBB94_4109:
	s_mov_b32 s1, -1
                                        ; implicit-def: $vgpr6_vgpr7
	s_branch .LBB94_4114
.LBB94_4110:
	s_mov_b32 s1, -1
                                        ; implicit-def: $vgpr6_vgpr7
.LBB94_4111:
	s_delay_alu instid0(SALU_CYCLE_1)
	s_and_b32 vcc_lo, exec_lo, s1
	s_cbranch_vccz .LBB94_4113
; %bb.4112:
	s_wait_loadcnt 0x0
	global_load_u8 v6, v[18:19], off
	s_wait_loadcnt 0x0
	v_lshlrev_b32_e32 v6, 24, v6
	s_delay_alu instid0(VALU_DEP_1) | instskip(NEXT) | instid1(VALU_DEP_1)
	v_and_b32_e32 v7, 0x7f000000, v6
	v_clz_i32_u32_e32 v9, v7
	v_add_nc_u32_e32 v13, 0x1000000, v7
	v_cmp_ne_u32_e32 vcc_lo, 0, v7
	s_delay_alu instid0(VALU_DEP_3) | instskip(NEXT) | instid1(VALU_DEP_1)
	v_min_u32_e32 v9, 32, v9
	v_sub_nc_u32_e64 v9, v9, 4 clamp
	s_delay_alu instid0(VALU_DEP_1) | instskip(NEXT) | instid1(VALU_DEP_1)
	v_dual_lshlrev_b32 v11, v9, v7 :: v_dual_lshlrev_b32 v9, 23, v9
	v_lshrrev_b32_e32 v11, 4, v11
	s_delay_alu instid0(VALU_DEP_1) | instskip(SKIP_1) | instid1(VALU_DEP_2)
	v_sub_nc_u32_e32 v9, v11, v9
	v_ashrrev_i32_e32 v11, 8, v13
	v_add_nc_u32_e32 v9, 0x3c000000, v9
	s_delay_alu instid0(VALU_DEP_1) | instskip(NEXT) | instid1(VALU_DEP_1)
	v_and_or_b32 v9, 0x7f800000, v11, v9
	v_cndmask_b32_e32 v7, 0, v9, vcc_lo
	s_delay_alu instid0(VALU_DEP_1) | instskip(NEXT) | instid1(VALU_DEP_1)
	v_and_or_b32 v6, 0x80000000, v6, v7
	v_trunc_f32_e32 v6, v6
	s_delay_alu instid0(VALU_DEP_1) | instskip(NEXT) | instid1(VALU_DEP_1)
	v_mul_f32_e64 v7, 0x2f800000, |v6|
	v_floor_f32_e32 v7, v7
	s_delay_alu instid0(VALU_DEP_1) | instskip(SKIP_2) | instid1(VALU_DEP_3)
	v_fma_f32 v9, 0xcf800000, v7, |v6|
	v_ashrrev_i32_e32 v6, 31, v6
	v_cvt_u32_f32_e32 v11, v7
	v_cvt_u32_f32_e32 v9, v9
	s_delay_alu instid0(VALU_DEP_2) | instskip(NEXT) | instid1(VALU_DEP_2)
	v_dual_mov_b32 v7, v6 :: v_dual_bitop2_b32 v25, v11, v6 bitop3:0x14
	v_xor_b32_e32 v24, v9, v6
	s_delay_alu instid0(VALU_DEP_1)
	v_sub_nc_u64_e32 v[6:7], v[24:25], v[6:7]
.LBB94_4113:
	s_mov_b32 s1, 0
.LBB94_4114:
	s_delay_alu instid0(SALU_CYCLE_1)
	s_and_not1_b32 vcc_lo, exec_lo, s1
	s_cbranch_vccnz .LBB94_4116
; %bb.4115:
	s_wait_loadcnt 0x0
	global_load_u8 v6, v[18:19], off
	s_wait_loadcnt 0x0
	v_lshlrev_b32_e32 v7, 25, v6
	v_lshlrev_b16 v6, 8, v6
	s_delay_alu instid0(VALU_DEP_1) | instskip(SKIP_1) | instid1(VALU_DEP_2)
	v_and_or_b32 v11, 0x7f00, v6, 0.5
	v_bfe_i32 v6, v6, 0, 16
	v_add_f32_e32 v11, -0.5, v11
	v_lshrrev_b32_e32 v9, 4, v7
	v_cmp_gt_u32_e32 vcc_lo, 0x8000000, v7
	s_delay_alu instid0(VALU_DEP_2) | instskip(NEXT) | instid1(VALU_DEP_1)
	v_or_b32_e32 v9, 0x70000000, v9
	v_mul_f32_e32 v9, 0x7800000, v9
	s_delay_alu instid0(VALU_DEP_1) | instskip(NEXT) | instid1(VALU_DEP_1)
	v_cndmask_b32_e32 v7, v9, v11, vcc_lo
	v_and_or_b32 v6, 0x80000000, v6, v7
	s_delay_alu instid0(VALU_DEP_1) | instskip(NEXT) | instid1(VALU_DEP_1)
	v_trunc_f32_e32 v6, v6
	v_mul_f32_e64 v7, 0x2f800000, |v6|
	s_delay_alu instid0(VALU_DEP_1) | instskip(NEXT) | instid1(VALU_DEP_1)
	v_floor_f32_e32 v7, v7
	v_fma_f32 v9, 0xcf800000, v7, |v6|
	v_ashrrev_i32_e32 v6, 31, v6
	v_cvt_u32_f32_e32 v11, v7
	s_delay_alu instid0(VALU_DEP_3) | instskip(NEXT) | instid1(VALU_DEP_2)
	v_cvt_u32_f32_e32 v9, v9
	v_dual_mov_b32 v7, v6 :: v_dual_bitop2_b32 v25, v11, v6 bitop3:0x14
	s_delay_alu instid0(VALU_DEP_2) | instskip(NEXT) | instid1(VALU_DEP_1)
	v_xor_b32_e32 v24, v9, v6
	v_sub_nc_u64_e32 v[6:7], v[24:25], v[6:7]
.LBB94_4116:
	s_mov_b32 s1, 0
	s_mov_b32 s5, -1
.LBB94_4117:
	s_and_not1_b32 vcc_lo, exec_lo, s1
	s_mov_b32 s1, 0
	s_cbranch_vccnz .LBB94_4128
; %bb.4118:
	s_cmp_gt_i32 s59, 14
	s_cbranch_scc0 .LBB94_4121
; %bb.4119:
	s_cmp_eq_u32 s59, 15
	s_cbranch_scc0 .LBB94_4124
; %bb.4120:
	s_wait_loadcnt 0x0
	global_load_u16 v6, v[18:19], off
	s_mov_b32 s0, 0
	s_mov_b32 s5, -1
	s_wait_loadcnt 0x0
	v_lshlrev_b32_e32 v6, 16, v6
	s_delay_alu instid0(VALU_DEP_1) | instskip(NEXT) | instid1(VALU_DEP_1)
	v_trunc_f32_e32 v6, v6
	v_mul_f32_e64 v7, 0x2f800000, |v6|
	s_delay_alu instid0(VALU_DEP_1) | instskip(NEXT) | instid1(VALU_DEP_1)
	v_floor_f32_e32 v7, v7
	v_fma_f32 v9, 0xcf800000, v7, |v6|
	v_ashrrev_i32_e32 v6, 31, v6
	v_cvt_u32_f32_e32 v11, v7
	s_delay_alu instid0(VALU_DEP_3) | instskip(NEXT) | instid1(VALU_DEP_2)
	v_cvt_u32_f32_e32 v9, v9
	v_dual_mov_b32 v7, v6 :: v_dual_bitop2_b32 v25, v11, v6 bitop3:0x14
	s_delay_alu instid0(VALU_DEP_2) | instskip(NEXT) | instid1(VALU_DEP_1)
	v_xor_b32_e32 v24, v9, v6
	v_sub_nc_u64_e32 v[6:7], v[24:25], v[6:7]
	s_branch .LBB94_4126
.LBB94_4121:
	s_mov_b32 s1, -1
	s_branch .LBB94_4125
.LBB94_4122:
	s_and_not1_saveexec_b32 s1, s1
	s_cbranch_execz .LBB94_4103
.LBB94_4123:
	v_cmp_ne_u16_e32 vcc_lo, 0, v9
	s_and_not1_b32 s5, s5, exec_lo
	s_and_b32 s20, vcc_lo, exec_lo
	s_delay_alu instid0(SALU_CYCLE_1)
	s_or_b32 s5, s5, s20
	s_or_b32 exec_lo, exec_lo, s1
	v_mov_b64_e32 v[6:7], 0
	s_and_saveexec_b32 s1, s5
	s_cbranch_execnz .LBB94_4104
	s_branch .LBB94_4105
.LBB94_4124:
	s_mov_b32 s0, -1
.LBB94_4125:
                                        ; implicit-def: $vgpr6_vgpr7
.LBB94_4126:
	s_and_b32 vcc_lo, exec_lo, s1
	s_mov_b32 s1, 0
	s_cbranch_vccz .LBB94_4128
; %bb.4127:
	s_cmp_lg_u32 s59, 11
	s_mov_b32 s1, -1
	s_cselect_b32 s0, -1, 0
.LBB94_4128:
	s_delay_alu instid0(SALU_CYCLE_1)
	s_and_b32 vcc_lo, exec_lo, s0
	s_cbranch_vccnz .LBB94_4193
; %bb.4129:
	s_and_not1_b32 vcc_lo, exec_lo, s1
	s_cbranch_vccnz .LBB94_4131
.LBB94_4130:
	s_wait_loadcnt 0x0
	global_load_u8 v6, v[18:19], off
	s_mov_b32 s0, 0
	s_mov_b32 s5, -1
	v_mov_b32_e32 v7, s0
	s_wait_loadcnt 0x0
	v_cmp_ne_u16_e32 vcc_lo, 0, v6
	v_cndmask_b32_e64 v6, 0, 1, vcc_lo
.LBB94_4131:
	s_mov_b32 s0, 0
.LBB94_4132:
	s_delay_alu instid0(SALU_CYCLE_1)
	s_and_b32 vcc_lo, exec_lo, s0
	s_cbranch_vccz .LBB94_4181
; %bb.4133:
	s_cmp_lt_i32 s59, 5
	s_cbranch_scc1 .LBB94_4138
; %bb.4134:
	s_cmp_lt_i32 s59, 8
	s_cbranch_scc1 .LBB94_4139
	;; [unrolled: 3-line block ×3, first 2 shown]
; %bb.4136:
	s_cmp_gt_i32 s59, 9
	s_cbranch_scc0 .LBB94_4141
; %bb.4137:
	s_wait_loadcnt 0x0
	global_load_b64 v[6:7], v[18:19], off
	s_mov_b32 s0, 0
	s_wait_loadcnt 0x0
	v_trunc_f64_e32 v[6:7], v[6:7]
	s_delay_alu instid0(VALU_DEP_1) | instskip(NEXT) | instid1(VALU_DEP_1)
	v_ldexp_f64 v[24:25], v[6:7], 0xffffffe0
	v_floor_f64_e32 v[24:25], v[24:25]
	s_delay_alu instid0(VALU_DEP_1) | instskip(SKIP_1) | instid1(VALU_DEP_2)
	v_fmamk_f64 v[28:29], v[24:25], 0xc1f00000, v[6:7]
	v_cvt_i32_f64_e32 v7, v[24:25]
	v_cvt_u32_f64_e32 v6, v[28:29]
	s_branch .LBB94_4142
.LBB94_4138:
	s_mov_b32 s0, -1
                                        ; implicit-def: $vgpr6_vgpr7
	s_branch .LBB94_4160
.LBB94_4139:
	s_mov_b32 s0, -1
                                        ; implicit-def: $vgpr6_vgpr7
	s_branch .LBB94_4148
.LBB94_4140:
	s_mov_b32 s0, -1
                                        ; implicit-def: $vgpr6_vgpr7
	s_branch .LBB94_4145
.LBB94_4141:
	s_mov_b32 s0, -1
                                        ; implicit-def: $vgpr6_vgpr7
.LBB94_4142:
	s_delay_alu instid0(SALU_CYCLE_1)
	s_and_not1_b32 vcc_lo, exec_lo, s0
	s_cbranch_vccnz .LBB94_4144
; %bb.4143:
	s_wait_loadcnt 0x0
	global_load_b32 v6, v[18:19], off
	s_wait_loadcnt 0x0
	v_trunc_f32_e32 v6, v6
	s_delay_alu instid0(VALU_DEP_1) | instskip(NEXT) | instid1(VALU_DEP_1)
	v_mul_f32_e64 v7, 0x2f800000, |v6|
	v_floor_f32_e32 v7, v7
	s_delay_alu instid0(VALU_DEP_1) | instskip(SKIP_2) | instid1(VALU_DEP_3)
	v_fma_f32 v9, 0xcf800000, v7, |v6|
	v_ashrrev_i32_e32 v6, 31, v6
	v_cvt_u32_f32_e32 v11, v7
	v_cvt_u32_f32_e32 v9, v9
	s_delay_alu instid0(VALU_DEP_2) | instskip(NEXT) | instid1(VALU_DEP_2)
	v_dual_mov_b32 v7, v6 :: v_dual_bitop2_b32 v25, v11, v6 bitop3:0x14
	v_xor_b32_e32 v24, v9, v6
	s_delay_alu instid0(VALU_DEP_1)
	v_sub_nc_u64_e32 v[6:7], v[24:25], v[6:7]
.LBB94_4144:
	s_mov_b32 s0, 0
.LBB94_4145:
	s_delay_alu instid0(SALU_CYCLE_1)
	s_and_not1_b32 vcc_lo, exec_lo, s0
	s_cbranch_vccnz .LBB94_4147
; %bb.4146:
	s_wait_loadcnt 0x0
	global_load_b32 v6, v[18:19], off
	s_wait_loadcnt 0x0
	v_cvt_f32_f16_e32 v6, v6
	s_delay_alu instid0(VALU_DEP_1) | instskip(NEXT) | instid1(VALU_DEP_1)
	v_cvt_i32_f32_e32 v6, v6
	v_ashrrev_i32_e32 v7, 31, v6
.LBB94_4147:
	s_mov_b32 s0, 0
.LBB94_4148:
	s_delay_alu instid0(SALU_CYCLE_1)
	s_and_not1_b32 vcc_lo, exec_lo, s0
	s_cbranch_vccnz .LBB94_4159
; %bb.4149:
	s_cmp_lt_i32 s59, 6
	s_cbranch_scc1 .LBB94_4152
; %bb.4150:
	s_cmp_gt_i32 s59, 6
	s_cbranch_scc0 .LBB94_4153
; %bb.4151:
	s_wait_loadcnt 0x0
	global_load_b64 v[6:7], v[18:19], off
	s_mov_b32 s0, 0
	s_wait_loadcnt 0x0
	v_trunc_f64_e32 v[6:7], v[6:7]
	s_delay_alu instid0(VALU_DEP_1) | instskip(NEXT) | instid1(VALU_DEP_1)
	v_ldexp_f64 v[24:25], v[6:7], 0xffffffe0
	v_floor_f64_e32 v[24:25], v[24:25]
	s_delay_alu instid0(VALU_DEP_1) | instskip(SKIP_1) | instid1(VALU_DEP_2)
	v_fmamk_f64 v[28:29], v[24:25], 0xc1f00000, v[6:7]
	v_cvt_i32_f64_e32 v7, v[24:25]
	v_cvt_u32_f64_e32 v6, v[28:29]
	s_branch .LBB94_4154
.LBB94_4152:
	s_mov_b32 s0, -1
                                        ; implicit-def: $vgpr6_vgpr7
	s_branch .LBB94_4157
.LBB94_4153:
	s_mov_b32 s0, -1
                                        ; implicit-def: $vgpr6_vgpr7
.LBB94_4154:
	s_delay_alu instid0(SALU_CYCLE_1)
	s_and_not1_b32 vcc_lo, exec_lo, s0
	s_cbranch_vccnz .LBB94_4156
; %bb.4155:
	s_wait_loadcnt 0x0
	global_load_b32 v6, v[18:19], off
	s_wait_loadcnt 0x0
	v_trunc_f32_e32 v6, v6
	s_delay_alu instid0(VALU_DEP_1) | instskip(NEXT) | instid1(VALU_DEP_1)
	v_mul_f32_e64 v7, 0x2f800000, |v6|
	v_floor_f32_e32 v7, v7
	s_delay_alu instid0(VALU_DEP_1) | instskip(SKIP_2) | instid1(VALU_DEP_3)
	v_fma_f32 v9, 0xcf800000, v7, |v6|
	v_ashrrev_i32_e32 v6, 31, v6
	v_cvt_u32_f32_e32 v11, v7
	v_cvt_u32_f32_e32 v9, v9
	s_delay_alu instid0(VALU_DEP_2) | instskip(NEXT) | instid1(VALU_DEP_2)
	v_dual_mov_b32 v7, v6 :: v_dual_bitop2_b32 v25, v11, v6 bitop3:0x14
	v_xor_b32_e32 v24, v9, v6
	s_delay_alu instid0(VALU_DEP_1)
	v_sub_nc_u64_e32 v[6:7], v[24:25], v[6:7]
.LBB94_4156:
	s_mov_b32 s0, 0
.LBB94_4157:
	s_delay_alu instid0(SALU_CYCLE_1)
	s_and_not1_b32 vcc_lo, exec_lo, s0
	s_cbranch_vccnz .LBB94_4159
; %bb.4158:
	s_wait_loadcnt 0x0
	global_load_u16 v6, v[18:19], off
	s_wait_loadcnt 0x0
	v_cvt_f32_f16_e32 v6, v6
	s_delay_alu instid0(VALU_DEP_1) | instskip(NEXT) | instid1(VALU_DEP_1)
	v_cvt_i32_f32_e32 v6, v6
	v_ashrrev_i32_e32 v7, 31, v6
.LBB94_4159:
	s_mov_b32 s0, 0
.LBB94_4160:
	s_delay_alu instid0(SALU_CYCLE_1)
	s_and_not1_b32 vcc_lo, exec_lo, s0
	s_cbranch_vccnz .LBB94_4180
; %bb.4161:
	s_cmp_lt_i32 s59, 2
	s_cbranch_scc1 .LBB94_4165
; %bb.4162:
	s_cmp_lt_i32 s59, 3
	s_cbranch_scc1 .LBB94_4166
; %bb.4163:
	s_cmp_gt_i32 s59, 3
	s_cbranch_scc0 .LBB94_4167
; %bb.4164:
	s_wait_loadcnt 0x0
	global_load_b64 v[6:7], v[18:19], off
	s_mov_b32 s0, 0
	s_branch .LBB94_4168
.LBB94_4165:
	s_mov_b32 s0, -1
                                        ; implicit-def: $vgpr6_vgpr7
	s_branch .LBB94_4174
.LBB94_4166:
	s_mov_b32 s0, -1
                                        ; implicit-def: $vgpr6_vgpr7
	s_branch .LBB94_4171
.LBB94_4167:
	s_mov_b32 s0, -1
                                        ; implicit-def: $vgpr6_vgpr7
.LBB94_4168:
	s_delay_alu instid0(SALU_CYCLE_1)
	s_and_not1_b32 vcc_lo, exec_lo, s0
	s_cbranch_vccnz .LBB94_4170
; %bb.4169:
	s_wait_loadcnt 0x0
	global_load_b32 v6, v[18:19], off
	s_wait_loadcnt 0x0
	v_ashrrev_i32_e32 v7, 31, v6
.LBB94_4170:
	s_mov_b32 s0, 0
.LBB94_4171:
	s_delay_alu instid0(SALU_CYCLE_1)
	s_and_not1_b32 vcc_lo, exec_lo, s0
	s_cbranch_vccnz .LBB94_4173
; %bb.4172:
	s_wait_loadcnt 0x0
	global_load_u16 v6, v[18:19], off
	s_wait_loadcnt 0x0
	v_bfe_i32 v6, v6, 0, 16
	s_delay_alu instid0(VALU_DEP_1)
	v_ashrrev_i32_e32 v7, 31, v6
.LBB94_4173:
	s_mov_b32 s0, 0
.LBB94_4174:
	s_delay_alu instid0(SALU_CYCLE_1)
	s_and_not1_b32 vcc_lo, exec_lo, s0
	s_cbranch_vccnz .LBB94_4180
; %bb.4175:
	s_cmp_gt_i32 s59, 0
	s_mov_b32 s0, 0
	s_cbranch_scc0 .LBB94_4177
; %bb.4176:
	s_wait_loadcnt 0x0
	global_load_i8 v6, v[18:19], off
	s_wait_loadcnt 0x0
	v_bfe_i32 v6, v6, 0, 16
	s_delay_alu instid0(VALU_DEP_1)
	v_ashrrev_i32_e32 v7, 31, v6
	s_branch .LBB94_4178
.LBB94_4177:
	s_mov_b32 s0, -1
                                        ; implicit-def: $vgpr6_vgpr7
.LBB94_4178:
	s_delay_alu instid0(SALU_CYCLE_1)
	s_and_not1_b32 vcc_lo, exec_lo, s0
	s_cbranch_vccnz .LBB94_4180
; %bb.4179:
	s_wait_loadcnt 0x0
	global_load_u8 v6, v[18:19], off
	s_mov_b32 s0, 0
	s_delay_alu instid0(SALU_CYCLE_1)
	v_mov_b32_e32 v7, s0
	s_wait_loadcnt 0x0
	v_and_b32_e32 v6, 0xffff, v6
.LBB94_4180:
	s_mov_b32 s5, -1
.LBB94_4181:
	s_delay_alu instid0(SALU_CYCLE_1)
	s_and_not1_b32 vcc_lo, exec_lo, s5
	s_cbranch_vccnz .LBB94_4318
; %bb.4182:
	s_lshl_b32 s64, s52, 7
	s_and_b32 s60, 0xffff, s53
	s_wait_xcnt 0x0
	v_add_nc_u32_e32 v18, s64, v10
	s_cmp_lt_i32 s60, 11
	s_delay_alu instid0(VALU_DEP_1) | instskip(NEXT) | instid1(VALU_DEP_1)
	v_ashrrev_i32_e32 v19, 31, v18
	v_add_nc_u64_e32 v[10:11], s[14:15], v[18:19]
	s_cbranch_scc1 .LBB94_4189
; %bb.4183:
	s_cmp_gt_i32 s60, 25
	s_mov_b32 s1, 0
	s_cbranch_scc0 .LBB94_4190
; %bb.4184:
	s_cmp_gt_i32 s60, 28
	s_cbranch_scc0 .LBB94_4191
; %bb.4185:
	s_cmp_gt_i32 s60, 43
	;; [unrolled: 3-line block ×3, first 2 shown]
	s_cbranch_scc0 .LBB94_4194
; %bb.4187:
	s_cmp_eq_u32 s60, 46
	s_mov_b32 s20, 0
	s_cbranch_scc0 .LBB94_4196
; %bb.4188:
	global_load_b32 v9, v[10:11], off
	s_mov_b32 s0, 0
	s_mov_b32 s5, -1
	s_wait_loadcnt 0x0
	v_lshlrev_b32_e32 v9, 16, v9
	s_delay_alu instid0(VALU_DEP_1) | instskip(NEXT) | instid1(VALU_DEP_1)
	v_trunc_f32_e32 v9, v9
	v_mul_f32_e64 v13, 0x2f800000, |v9|
	v_ashrrev_i32_e32 v24, 31, v9
	s_delay_alu instid0(VALU_DEP_2) | instskip(NEXT) | instid1(VALU_DEP_2)
	v_floor_f32_e32 v13, v13
	v_mov_b32_e32 v25, v24
	s_delay_alu instid0(VALU_DEP_2) | instskip(SKIP_1) | instid1(VALU_DEP_2)
	v_fma_f32 v15, 0xcf800000, v13, |v9|
	v_cvt_u32_f32_e32 v9, v13
	v_cvt_u32_f32_e32 v13, v15
	s_delay_alu instid0(VALU_DEP_2) | instskip(NEXT) | instid1(VALU_DEP_2)
	v_xor_b32_e32 v29, v9, v24
	v_xor_b32_e32 v28, v13, v24
	s_delay_alu instid0(VALU_DEP_1)
	v_sub_nc_u64_e32 v[24:25], v[28:29], v[24:25]
	s_branch .LBB94_4198
.LBB94_4189:
	s_mov_b32 s0, -1
	s_mov_b32 s5, 0
                                        ; implicit-def: $vgpr24_vgpr25
	s_branch .LBB94_4260
.LBB94_4190:
	s_mov_b32 s20, -1
	s_mov_b32 s5, 0
	s_mov_b32 s0, 0
                                        ; implicit-def: $vgpr24_vgpr25
	s_branch .LBB94_4225
.LBB94_4191:
	s_mov_b32 s20, -1
	s_mov_b32 s5, 0
	s_mov_b32 s0, 0
                                        ; implicit-def: $vgpr24_vgpr25
	s_branch .LBB94_4208
.LBB94_4192:
	s_mov_b32 s20, -1
	s_mov_b32 s5, 0
	s_mov_b32 s0, 0
                                        ; implicit-def: $vgpr24_vgpr25
	s_branch .LBB94_4203
.LBB94_4193:
	s_or_b32 s44, s44, exec_lo
	s_trap 2
	s_cbranch_execz .LBB94_4130
	s_branch .LBB94_4131
.LBB94_4194:
	s_mov_b32 s20, -1
	s_mov_b32 s5, 0
	s_mov_b32 s0, 0
	s_branch .LBB94_4197
.LBB94_4195:
	s_or_b32 exec_lo, exec_lo, s86
	s_branch .LBB94_2046
.LBB94_4196:
	s_mov_b32 s0, -1
	s_mov_b32 s5, 0
.LBB94_4197:
                                        ; implicit-def: $vgpr24_vgpr25
.LBB94_4198:
	s_and_b32 vcc_lo, exec_lo, s20
	s_cbranch_vccz .LBB94_4202
; %bb.4199:
	s_cmp_eq_u32 s60, 44
	s_cbranch_scc0 .LBB94_4201
; %bb.4200:
	global_load_u8 v9, v[10:11], off
	s_mov_b32 s0, 0
	s_mov_b32 s5, -1
	s_wait_loadcnt 0x0
	v_lshlrev_b32_e32 v13, 23, v9
	v_cmp_ne_u32_e32 vcc_lo, 0, v9
	s_delay_alu instid0(VALU_DEP_2) | instskip(NEXT) | instid1(VALU_DEP_1)
	v_trunc_f32_e32 v13, v13
	v_mul_f32_e64 v15, 0x2f800000, |v13|
	v_ashrrev_i32_e32 v24, 31, v13
	s_delay_alu instid0(VALU_DEP_2) | instskip(NEXT) | instid1(VALU_DEP_2)
	v_floor_f32_e32 v15, v15
	v_mov_b32_e32 v25, v24
	s_delay_alu instid0(VALU_DEP_2) | instskip(SKIP_1) | instid1(VALU_DEP_2)
	v_fma_f32 v17, 0xcf800000, v15, |v13|
	v_cvt_u32_f32_e32 v13, v15
	v_cvt_u32_f32_e32 v15, v17
	s_delay_alu instid0(VALU_DEP_2) | instskip(NEXT) | instid1(VALU_DEP_2)
	v_xor_b32_e32 v29, v13, v24
	v_xor_b32_e32 v28, v15, v24
	s_delay_alu instid0(VALU_DEP_1) | instskip(NEXT) | instid1(VALU_DEP_1)
	v_sub_nc_u64_e32 v[24:25], v[28:29], v[24:25]
	v_dual_cndmask_b32 v25, 0, v25 :: v_dual_cndmask_b32 v24, 0, v24
	s_branch .LBB94_4202
.LBB94_4201:
	s_mov_b32 s0, -1
                                        ; implicit-def: $vgpr24_vgpr25
.LBB94_4202:
	s_mov_b32 s20, 0
.LBB94_4203:
	s_delay_alu instid0(SALU_CYCLE_1)
	s_and_b32 vcc_lo, exec_lo, s20
	s_cbranch_vccz .LBB94_4207
; %bb.4204:
	s_cmp_eq_u32 s60, 29
	s_cbranch_scc0 .LBB94_4206
; %bb.4205:
	global_load_b64 v[24:25], v[10:11], off
	s_mov_b32 s0, 0
	s_mov_b32 s5, -1
	s_branch .LBB94_4207
.LBB94_4206:
	s_mov_b32 s0, -1
                                        ; implicit-def: $vgpr24_vgpr25
.LBB94_4207:
	s_mov_b32 s20, 0
.LBB94_4208:
	s_delay_alu instid0(SALU_CYCLE_1)
	s_and_b32 vcc_lo, exec_lo, s20
	s_cbranch_vccz .LBB94_4224
; %bb.4209:
	s_cmp_lt_i32 s60, 27
	s_cbranch_scc1 .LBB94_4212
; %bb.4210:
	s_cmp_gt_i32 s60, 27
	s_cbranch_scc0 .LBB94_4213
; %bb.4211:
	s_wait_loadcnt 0x0
	global_load_b32 v24, v[10:11], off
	v_mov_b32_e32 v25, 0
	s_mov_b32 s5, 0
	s_branch .LBB94_4214
.LBB94_4212:
	s_mov_b32 s5, -1
                                        ; implicit-def: $vgpr24_vgpr25
	s_branch .LBB94_4217
.LBB94_4213:
	s_mov_b32 s5, -1
                                        ; implicit-def: $vgpr24_vgpr25
.LBB94_4214:
	s_delay_alu instid0(SALU_CYCLE_1)
	s_and_not1_b32 vcc_lo, exec_lo, s5
	s_cbranch_vccnz .LBB94_4216
; %bb.4215:
	global_load_u16 v9, v[10:11], off
	s_mov_b32 s5, 0
	s_wait_loadcnt 0x1
	v_mov_b32_e32 v25, s5
	s_wait_loadcnt 0x0
	v_and_b32_e32 v24, 0xffff, v9
.LBB94_4216:
	s_mov_b32 s5, 0
.LBB94_4217:
	s_delay_alu instid0(SALU_CYCLE_1)
	s_and_not1_b32 vcc_lo, exec_lo, s5
	s_cbranch_vccnz .LBB94_4223
; %bb.4218:
	global_load_u8 v9, v[10:11], off
	s_mov_b32 s20, 0
	s_mov_b32 s5, exec_lo
	s_wait_loadcnt 0x0
	v_cmpx_lt_i16_e32 0x7f, v9
	s_xor_b32 s5, exec_lo, s5
	s_cbranch_execz .LBB94_4235
; %bb.4219:
	v_cmp_ne_u16_e32 vcc_lo, 0x80, v9
	s_and_b32 s20, vcc_lo, exec_lo
	s_and_not1_saveexec_b32 s5, s5
	s_cbranch_execnz .LBB94_4236
.LBB94_4220:
	s_or_b32 exec_lo, exec_lo, s5
	v_mov_b64_e32 v[24:25], 0
	s_and_saveexec_b32 s5, s20
	s_cbranch_execz .LBB94_4222
.LBB94_4221:
	v_and_b32_e32 v13, 0xffff, v9
	v_lshlrev_b32_e32 v9, 24, v9
	s_delay_alu instid0(VALU_DEP_2) | instskip(SKIP_1) | instid1(VALU_DEP_3)
	v_and_b32_e32 v15, 7, v13
	v_bfe_u32 v24, v13, 3, 4
	v_and_b32_e32 v9, 0x80000000, v9
	s_delay_alu instid0(VALU_DEP_3) | instskip(NEXT) | instid1(VALU_DEP_3)
	v_clz_i32_u32_e32 v17, v15
	v_cmp_eq_u32_e32 vcc_lo, 0, v24
	s_delay_alu instid0(VALU_DEP_2) | instskip(NEXT) | instid1(VALU_DEP_1)
	v_min_u32_e32 v17, 32, v17
	v_subrev_nc_u32_e32 v19, 28, v17
	v_sub_nc_u32_e32 v17, 29, v17
	s_delay_alu instid0(VALU_DEP_2) | instskip(NEXT) | instid1(VALU_DEP_2)
	v_lshlrev_b32_e32 v13, v19, v13
	v_cndmask_b32_e32 v17, v24, v17, vcc_lo
	s_delay_alu instid0(VALU_DEP_2) | instskip(NEXT) | instid1(VALU_DEP_1)
	v_and_b32_e32 v13, 7, v13
	v_cndmask_b32_e32 v13, v15, v13, vcc_lo
	s_delay_alu instid0(VALU_DEP_3) | instskip(NEXT) | instid1(VALU_DEP_2)
	v_lshl_add_u32 v15, v17, 23, 0x3b800000
	v_lshlrev_b32_e32 v13, 20, v13
	s_delay_alu instid0(VALU_DEP_1) | instskip(NEXT) | instid1(VALU_DEP_1)
	v_or3_b32 v9, v9, v15, v13
	v_trunc_f32_e32 v9, v9
	s_delay_alu instid0(VALU_DEP_1) | instskip(SKIP_1) | instid1(VALU_DEP_2)
	v_mul_f32_e64 v13, 0x2f800000, |v9|
	v_ashrrev_i32_e32 v24, 31, v9
	v_floor_f32_e32 v13, v13
	s_delay_alu instid0(VALU_DEP_2) | instskip(NEXT) | instid1(VALU_DEP_2)
	v_mov_b32_e32 v25, v24
	v_fma_f32 v15, 0xcf800000, v13, |v9|
	v_cvt_u32_f32_e32 v9, v13
	s_delay_alu instid0(VALU_DEP_2) | instskip(NEXT) | instid1(VALU_DEP_2)
	v_cvt_u32_f32_e32 v13, v15
	v_xor_b32_e32 v29, v9, v24
	s_delay_alu instid0(VALU_DEP_2) | instskip(NEXT) | instid1(VALU_DEP_1)
	v_xor_b32_e32 v28, v13, v24
	v_sub_nc_u64_e32 v[24:25], v[28:29], v[24:25]
.LBB94_4222:
	s_or_b32 exec_lo, exec_lo, s5
.LBB94_4223:
	s_mov_b32 s5, -1
.LBB94_4224:
	s_mov_b32 s20, 0
.LBB94_4225:
	s_delay_alu instid0(SALU_CYCLE_1)
	s_and_b32 vcc_lo, exec_lo, s20
	s_cbranch_vccz .LBB94_4256
; %bb.4226:
	s_cmp_gt_i32 s60, 22
	s_cbranch_scc0 .LBB94_4234
; %bb.4227:
	s_cmp_lt_i32 s60, 24
	s_cbranch_scc1 .LBB94_4237
; %bb.4228:
	s_cmp_gt_i32 s60, 24
	s_cbranch_scc0 .LBB94_4238
; %bb.4229:
	global_load_u8 v9, v[10:11], off
	s_mov_b32 s5, 0
	s_mov_b32 s1, exec_lo
	s_wait_loadcnt 0x0
	v_cmpx_lt_i16_e32 0x7f, v9
	s_xor_b32 s1, exec_lo, s1
	s_cbranch_execz .LBB94_4250
; %bb.4230:
	v_cmp_ne_u16_e32 vcc_lo, 0x80, v9
	s_and_b32 s5, vcc_lo, exec_lo
	s_and_not1_saveexec_b32 s1, s1
	s_cbranch_execnz .LBB94_4251
.LBB94_4231:
	s_or_b32 exec_lo, exec_lo, s1
	v_mov_b64_e32 v[24:25], 0
	s_and_saveexec_b32 s1, s5
	s_cbranch_execz .LBB94_4233
.LBB94_4232:
	v_and_b32_e32 v13, 0xffff, v9
	v_lshlrev_b32_e32 v9, 24, v9
	s_delay_alu instid0(VALU_DEP_2) | instskip(SKIP_1) | instid1(VALU_DEP_3)
	v_and_b32_e32 v15, 3, v13
	v_bfe_u32 v24, v13, 2, 5
	v_and_b32_e32 v9, 0x80000000, v9
	s_delay_alu instid0(VALU_DEP_3) | instskip(NEXT) | instid1(VALU_DEP_3)
	v_clz_i32_u32_e32 v17, v15
	v_cmp_eq_u32_e32 vcc_lo, 0, v24
	s_delay_alu instid0(VALU_DEP_2) | instskip(NEXT) | instid1(VALU_DEP_1)
	v_min_u32_e32 v17, 32, v17
	v_subrev_nc_u32_e32 v19, 29, v17
	v_sub_nc_u32_e32 v17, 30, v17
	s_delay_alu instid0(VALU_DEP_2) | instskip(NEXT) | instid1(VALU_DEP_2)
	v_lshlrev_b32_e32 v13, v19, v13
	v_cndmask_b32_e32 v17, v24, v17, vcc_lo
	s_delay_alu instid0(VALU_DEP_2) | instskip(NEXT) | instid1(VALU_DEP_1)
	v_and_b32_e32 v13, 3, v13
	v_cndmask_b32_e32 v13, v15, v13, vcc_lo
	s_delay_alu instid0(VALU_DEP_3) | instskip(NEXT) | instid1(VALU_DEP_2)
	v_lshl_add_u32 v15, v17, 23, 0x37800000
	v_lshlrev_b32_e32 v13, 21, v13
	s_delay_alu instid0(VALU_DEP_1) | instskip(NEXT) | instid1(VALU_DEP_1)
	v_or3_b32 v9, v9, v15, v13
	v_trunc_f32_e32 v9, v9
	s_delay_alu instid0(VALU_DEP_1) | instskip(SKIP_1) | instid1(VALU_DEP_2)
	v_mul_f32_e64 v13, 0x2f800000, |v9|
	v_ashrrev_i32_e32 v24, 31, v9
	v_floor_f32_e32 v13, v13
	s_delay_alu instid0(VALU_DEP_2) | instskip(NEXT) | instid1(VALU_DEP_2)
	v_mov_b32_e32 v25, v24
	v_fma_f32 v15, 0xcf800000, v13, |v9|
	v_cvt_u32_f32_e32 v9, v13
	s_delay_alu instid0(VALU_DEP_2) | instskip(NEXT) | instid1(VALU_DEP_2)
	v_cvt_u32_f32_e32 v13, v15
	v_xor_b32_e32 v29, v9, v24
	s_delay_alu instid0(VALU_DEP_2) | instskip(NEXT) | instid1(VALU_DEP_1)
	v_xor_b32_e32 v28, v13, v24
	v_sub_nc_u64_e32 v[24:25], v[28:29], v[24:25]
.LBB94_4233:
	s_or_b32 exec_lo, exec_lo, s1
	s_mov_b32 s1, 0
	s_branch .LBB94_4239
.LBB94_4234:
	s_mov_b32 s1, -1
                                        ; implicit-def: $vgpr24_vgpr25
	s_branch .LBB94_4245
.LBB94_4235:
	s_and_not1_saveexec_b32 s5, s5
	s_cbranch_execz .LBB94_4220
.LBB94_4236:
	v_cmp_ne_u16_e32 vcc_lo, 0, v9
	s_and_not1_b32 s20, s20, exec_lo
	s_and_b32 s21, vcc_lo, exec_lo
	s_delay_alu instid0(SALU_CYCLE_1)
	s_or_b32 s20, s20, s21
	s_or_b32 exec_lo, exec_lo, s5
	v_mov_b64_e32 v[24:25], 0
	s_and_saveexec_b32 s5, s20
	s_cbranch_execnz .LBB94_4221
	s_branch .LBB94_4222
.LBB94_4237:
	s_mov_b32 s1, -1
                                        ; implicit-def: $vgpr24_vgpr25
	s_branch .LBB94_4242
.LBB94_4238:
	s_mov_b32 s1, -1
                                        ; implicit-def: $vgpr24_vgpr25
.LBB94_4239:
	s_delay_alu instid0(SALU_CYCLE_1)
	s_and_b32 vcc_lo, exec_lo, s1
	s_cbranch_vccz .LBB94_4241
; %bb.4240:
	global_load_u8 v9, v[10:11], off
	s_wait_loadcnt 0x0
	v_lshlrev_b32_e32 v9, 24, v9
	s_delay_alu instid0(VALU_DEP_1) | instskip(NEXT) | instid1(VALU_DEP_1)
	v_and_b32_e32 v13, 0x7f000000, v9
	v_clz_i32_u32_e32 v15, v13
	v_cmp_ne_u32_e32 vcc_lo, 0, v13
	v_add_nc_u32_e32 v19, 0x1000000, v13
	s_delay_alu instid0(VALU_DEP_3) | instskip(NEXT) | instid1(VALU_DEP_1)
	v_min_u32_e32 v15, 32, v15
	v_sub_nc_u32_e64 v15, v15, 4 clamp
	s_delay_alu instid0(VALU_DEP_1) | instskip(NEXT) | instid1(VALU_DEP_1)
	v_dual_lshlrev_b32 v17, v15, v13 :: v_dual_lshlrev_b32 v15, 23, v15
	v_lshrrev_b32_e32 v17, 4, v17
	s_delay_alu instid0(VALU_DEP_1) | instskip(SKIP_1) | instid1(VALU_DEP_2)
	v_sub_nc_u32_e32 v15, v17, v15
	v_ashrrev_i32_e32 v17, 8, v19
	v_add_nc_u32_e32 v15, 0x3c000000, v15
	s_delay_alu instid0(VALU_DEP_1) | instskip(NEXT) | instid1(VALU_DEP_1)
	v_and_or_b32 v15, 0x7f800000, v17, v15
	v_cndmask_b32_e32 v13, 0, v15, vcc_lo
	s_delay_alu instid0(VALU_DEP_1) | instskip(NEXT) | instid1(VALU_DEP_1)
	v_and_or_b32 v9, 0x80000000, v9, v13
	v_trunc_f32_e32 v9, v9
	s_delay_alu instid0(VALU_DEP_1) | instskip(SKIP_1) | instid1(VALU_DEP_2)
	v_mul_f32_e64 v13, 0x2f800000, |v9|
	v_ashrrev_i32_e32 v24, 31, v9
	v_floor_f32_e32 v13, v13
	s_delay_alu instid0(VALU_DEP_2) | instskip(NEXT) | instid1(VALU_DEP_2)
	v_mov_b32_e32 v25, v24
	v_fma_f32 v15, 0xcf800000, v13, |v9|
	v_cvt_u32_f32_e32 v9, v13
	s_delay_alu instid0(VALU_DEP_2) | instskip(NEXT) | instid1(VALU_DEP_2)
	v_cvt_u32_f32_e32 v13, v15
	v_xor_b32_e32 v29, v9, v24
	s_delay_alu instid0(VALU_DEP_2) | instskip(NEXT) | instid1(VALU_DEP_1)
	v_xor_b32_e32 v28, v13, v24
	v_sub_nc_u64_e32 v[24:25], v[28:29], v[24:25]
.LBB94_4241:
	s_mov_b32 s1, 0
.LBB94_4242:
	s_delay_alu instid0(SALU_CYCLE_1)
	s_and_not1_b32 vcc_lo, exec_lo, s1
	s_cbranch_vccnz .LBB94_4244
; %bb.4243:
	global_load_u8 v9, v[10:11], off
	s_wait_loadcnt 0x0
	v_lshlrev_b32_e32 v13, 25, v9
	v_lshlrev_b16 v9, 8, v9
	s_delay_alu instid0(VALU_DEP_2) | instskip(NEXT) | instid1(VALU_DEP_2)
	v_lshrrev_b32_e32 v15, 4, v13
	v_and_or_b32 v17, 0x7f00, v9, 0.5
	v_cmp_gt_u32_e32 vcc_lo, 0x8000000, v13
	v_bfe_i32 v9, v9, 0, 16
	s_delay_alu instid0(VALU_DEP_4) | instskip(NEXT) | instid1(VALU_DEP_4)
	v_or_b32_e32 v15, 0x70000000, v15
	v_add_f32_e32 v17, -0.5, v17
	s_delay_alu instid0(VALU_DEP_2) | instskip(NEXT) | instid1(VALU_DEP_1)
	v_mul_f32_e32 v15, 0x7800000, v15
	v_cndmask_b32_e32 v13, v15, v17, vcc_lo
	s_delay_alu instid0(VALU_DEP_1) | instskip(NEXT) | instid1(VALU_DEP_1)
	v_and_or_b32 v9, 0x80000000, v9, v13
	v_trunc_f32_e32 v9, v9
	s_delay_alu instid0(VALU_DEP_1) | instskip(SKIP_1) | instid1(VALU_DEP_2)
	v_mul_f32_e64 v13, 0x2f800000, |v9|
	v_ashrrev_i32_e32 v24, 31, v9
	v_floor_f32_e32 v13, v13
	s_delay_alu instid0(VALU_DEP_2) | instskip(NEXT) | instid1(VALU_DEP_2)
	v_mov_b32_e32 v25, v24
	v_fma_f32 v15, 0xcf800000, v13, |v9|
	v_cvt_u32_f32_e32 v9, v13
	s_delay_alu instid0(VALU_DEP_2) | instskip(NEXT) | instid1(VALU_DEP_2)
	v_cvt_u32_f32_e32 v13, v15
	v_xor_b32_e32 v29, v9, v24
	s_delay_alu instid0(VALU_DEP_2) | instskip(NEXT) | instid1(VALU_DEP_1)
	v_xor_b32_e32 v28, v13, v24
	v_sub_nc_u64_e32 v[24:25], v[28:29], v[24:25]
.LBB94_4244:
	s_mov_b32 s1, 0
	s_mov_b32 s5, -1
.LBB94_4245:
	s_and_not1_b32 vcc_lo, exec_lo, s1
	s_mov_b32 s1, 0
	s_cbranch_vccnz .LBB94_4256
; %bb.4246:
	s_cmp_gt_i32 s60, 14
	s_cbranch_scc0 .LBB94_4249
; %bb.4247:
	s_cmp_eq_u32 s60, 15
	s_cbranch_scc0 .LBB94_4252
; %bb.4248:
	global_load_u16 v9, v[10:11], off
	s_mov_b32 s0, 0
	s_mov_b32 s5, -1
	s_wait_loadcnt 0x0
	v_lshlrev_b32_e32 v9, 16, v9
	s_delay_alu instid0(VALU_DEP_1) | instskip(NEXT) | instid1(VALU_DEP_1)
	v_trunc_f32_e32 v9, v9
	v_mul_f32_e64 v13, 0x2f800000, |v9|
	v_ashrrev_i32_e32 v24, 31, v9
	s_delay_alu instid0(VALU_DEP_2) | instskip(NEXT) | instid1(VALU_DEP_2)
	v_floor_f32_e32 v13, v13
	v_mov_b32_e32 v25, v24
	s_delay_alu instid0(VALU_DEP_2) | instskip(SKIP_1) | instid1(VALU_DEP_2)
	v_fma_f32 v15, 0xcf800000, v13, |v9|
	v_cvt_u32_f32_e32 v9, v13
	v_cvt_u32_f32_e32 v13, v15
	s_delay_alu instid0(VALU_DEP_2) | instskip(NEXT) | instid1(VALU_DEP_2)
	v_xor_b32_e32 v29, v9, v24
	v_xor_b32_e32 v28, v13, v24
	s_delay_alu instid0(VALU_DEP_1)
	v_sub_nc_u64_e32 v[24:25], v[28:29], v[24:25]
	s_branch .LBB94_4254
.LBB94_4249:
	s_mov_b32 s1, -1
	s_branch .LBB94_4253
.LBB94_4250:
	s_and_not1_saveexec_b32 s1, s1
	s_cbranch_execz .LBB94_4231
.LBB94_4251:
	v_cmp_ne_u16_e32 vcc_lo, 0, v9
	s_and_not1_b32 s5, s5, exec_lo
	s_and_b32 s20, vcc_lo, exec_lo
	s_delay_alu instid0(SALU_CYCLE_1)
	s_or_b32 s5, s5, s20
	s_or_b32 exec_lo, exec_lo, s1
	v_mov_b64_e32 v[24:25], 0
	s_and_saveexec_b32 s1, s5
	s_cbranch_execnz .LBB94_4232
	s_branch .LBB94_4233
.LBB94_4252:
	s_mov_b32 s0, -1
.LBB94_4253:
                                        ; implicit-def: $vgpr24_vgpr25
.LBB94_4254:
	s_and_b32 vcc_lo, exec_lo, s1
	s_mov_b32 s1, 0
	s_cbranch_vccz .LBB94_4256
; %bb.4255:
	s_cmp_lg_u32 s60, 11
	s_mov_b32 s1, -1
	s_cselect_b32 s0, -1, 0
.LBB94_4256:
	s_delay_alu instid0(SALU_CYCLE_1)
	s_and_b32 vcc_lo, exec_lo, s0
	s_cbranch_vccnz .LBB94_4344
; %bb.4257:
	s_and_not1_b32 vcc_lo, exec_lo, s1
	s_cbranch_vccnz .LBB94_4259
.LBB94_4258:
	global_load_u8 v9, v[10:11], off
	s_mov_b32 s0, 0
	s_mov_b32 s5, -1
	s_wait_loadcnt 0x1
	v_mov_b32_e32 v25, s0
	s_wait_loadcnt 0x0
	v_cmp_ne_u16_e32 vcc_lo, 0, v9
	v_cndmask_b32_e64 v24, 0, 1, vcc_lo
.LBB94_4259:
	s_mov_b32 s0, 0
.LBB94_4260:
	s_delay_alu instid0(SALU_CYCLE_1)
	s_and_b32 vcc_lo, exec_lo, s0
	s_cbranch_vccz .LBB94_4309
; %bb.4261:
	s_cmp_lt_i32 s60, 5
	s_cbranch_scc1 .LBB94_4266
; %bb.4262:
	s_cmp_lt_i32 s60, 8
	s_cbranch_scc1 .LBB94_4267
; %bb.4263:
	s_cmp_lt_i32 s60, 9
	s_cbranch_scc1 .LBB94_4268
; %bb.4264:
	s_cmp_gt_i32 s60, 9
	s_cbranch_scc0 .LBB94_4269
; %bb.4265:
	s_wait_loadcnt 0x0
	global_load_b64 v[24:25], v[10:11], off
	s_mov_b32 s0, 0
	s_wait_loadcnt 0x0
	v_trunc_f64_e32 v[24:25], v[24:25]
	s_delay_alu instid0(VALU_DEP_1) | instskip(NEXT) | instid1(VALU_DEP_1)
	v_ldexp_f64 v[28:29], v[24:25], 0xffffffe0
	v_floor_f64_e32 v[28:29], v[28:29]
	s_delay_alu instid0(VALU_DEP_1) | instskip(SKIP_1) | instid1(VALU_DEP_2)
	v_fmamk_f64 v[30:31], v[28:29], 0xc1f00000, v[24:25]
	v_cvt_i32_f64_e32 v25, v[28:29]
	v_cvt_u32_f64_e32 v24, v[30:31]
	s_branch .LBB94_4270
.LBB94_4266:
	s_mov_b32 s0, -1
                                        ; implicit-def: $vgpr24_vgpr25
	s_branch .LBB94_4288
.LBB94_4267:
	s_mov_b32 s0, -1
                                        ; implicit-def: $vgpr24_vgpr25
	s_branch .LBB94_4276
.LBB94_4268:
	s_mov_b32 s0, -1
                                        ; implicit-def: $vgpr24_vgpr25
	s_branch .LBB94_4273
.LBB94_4269:
	s_mov_b32 s0, -1
                                        ; implicit-def: $vgpr24_vgpr25
.LBB94_4270:
	s_delay_alu instid0(SALU_CYCLE_1)
	s_and_not1_b32 vcc_lo, exec_lo, s0
	s_cbranch_vccnz .LBB94_4272
; %bb.4271:
	global_load_b32 v9, v[10:11], off
	s_wait_loadcnt 0x0
	v_trunc_f32_e32 v9, v9
	s_delay_alu instid0(VALU_DEP_1) | instskip(SKIP_1) | instid1(VALU_DEP_2)
	v_mul_f32_e64 v13, 0x2f800000, |v9|
	v_ashrrev_i32_e32 v24, 31, v9
	v_floor_f32_e32 v13, v13
	s_delay_alu instid0(VALU_DEP_1) | instskip(SKIP_1) | instid1(VALU_DEP_4)
	v_fma_f32 v15, 0xcf800000, v13, |v9|
	v_cvt_u32_f32_e32 v9, v13
	v_mov_b32_e32 v25, v24
	s_delay_alu instid0(VALU_DEP_3) | instskip(NEXT) | instid1(VALU_DEP_3)
	v_cvt_u32_f32_e32 v13, v15
	v_xor_b32_e32 v29, v9, v24
	s_delay_alu instid0(VALU_DEP_2) | instskip(NEXT) | instid1(VALU_DEP_1)
	v_xor_b32_e32 v28, v13, v24
	v_sub_nc_u64_e32 v[24:25], v[28:29], v[24:25]
.LBB94_4272:
	s_mov_b32 s0, 0
.LBB94_4273:
	s_delay_alu instid0(SALU_CYCLE_1)
	s_and_not1_b32 vcc_lo, exec_lo, s0
	s_cbranch_vccnz .LBB94_4275
; %bb.4274:
	global_load_b32 v9, v[10:11], off
	s_wait_loadcnt 0x0
	v_cvt_f32_f16_e32 v9, v9
	s_delay_alu instid0(VALU_DEP_1) | instskip(NEXT) | instid1(VALU_DEP_1)
	v_cvt_i32_f32_e32 v24, v9
	v_ashrrev_i32_e32 v25, 31, v24
.LBB94_4275:
	s_mov_b32 s0, 0
.LBB94_4276:
	s_delay_alu instid0(SALU_CYCLE_1)
	s_and_not1_b32 vcc_lo, exec_lo, s0
	s_cbranch_vccnz .LBB94_4287
; %bb.4277:
	s_cmp_lt_i32 s60, 6
	s_cbranch_scc1 .LBB94_4280
; %bb.4278:
	s_cmp_gt_i32 s60, 6
	s_cbranch_scc0 .LBB94_4281
; %bb.4279:
	s_wait_loadcnt 0x0
	global_load_b64 v[24:25], v[10:11], off
	s_mov_b32 s0, 0
	s_wait_loadcnt 0x0
	v_trunc_f64_e32 v[24:25], v[24:25]
	s_delay_alu instid0(VALU_DEP_1) | instskip(NEXT) | instid1(VALU_DEP_1)
	v_ldexp_f64 v[28:29], v[24:25], 0xffffffe0
	v_floor_f64_e32 v[28:29], v[28:29]
	s_delay_alu instid0(VALU_DEP_1) | instskip(SKIP_1) | instid1(VALU_DEP_2)
	v_fmamk_f64 v[30:31], v[28:29], 0xc1f00000, v[24:25]
	v_cvt_i32_f64_e32 v25, v[28:29]
	v_cvt_u32_f64_e32 v24, v[30:31]
	s_branch .LBB94_4282
.LBB94_4280:
	s_mov_b32 s0, -1
                                        ; implicit-def: $vgpr24_vgpr25
	s_branch .LBB94_4285
.LBB94_4281:
	s_mov_b32 s0, -1
                                        ; implicit-def: $vgpr24_vgpr25
.LBB94_4282:
	s_delay_alu instid0(SALU_CYCLE_1)
	s_and_not1_b32 vcc_lo, exec_lo, s0
	s_cbranch_vccnz .LBB94_4284
; %bb.4283:
	global_load_b32 v9, v[10:11], off
	s_wait_loadcnt 0x0
	v_trunc_f32_e32 v9, v9
	s_delay_alu instid0(VALU_DEP_1) | instskip(SKIP_1) | instid1(VALU_DEP_2)
	v_mul_f32_e64 v13, 0x2f800000, |v9|
	v_ashrrev_i32_e32 v24, 31, v9
	v_floor_f32_e32 v13, v13
	s_delay_alu instid0(VALU_DEP_1) | instskip(SKIP_1) | instid1(VALU_DEP_4)
	v_fma_f32 v15, 0xcf800000, v13, |v9|
	v_cvt_u32_f32_e32 v9, v13
	v_mov_b32_e32 v25, v24
	s_delay_alu instid0(VALU_DEP_3) | instskip(NEXT) | instid1(VALU_DEP_3)
	v_cvt_u32_f32_e32 v13, v15
	v_xor_b32_e32 v29, v9, v24
	s_delay_alu instid0(VALU_DEP_2) | instskip(NEXT) | instid1(VALU_DEP_1)
	v_xor_b32_e32 v28, v13, v24
	v_sub_nc_u64_e32 v[24:25], v[28:29], v[24:25]
.LBB94_4284:
	s_mov_b32 s0, 0
.LBB94_4285:
	s_delay_alu instid0(SALU_CYCLE_1)
	s_and_not1_b32 vcc_lo, exec_lo, s0
	s_cbranch_vccnz .LBB94_4287
; %bb.4286:
	global_load_u16 v9, v[10:11], off
	s_wait_loadcnt 0x0
	v_cvt_f32_f16_e32 v9, v9
	s_delay_alu instid0(VALU_DEP_1) | instskip(NEXT) | instid1(VALU_DEP_1)
	v_cvt_i32_f32_e32 v24, v9
	v_ashrrev_i32_e32 v25, 31, v24
.LBB94_4287:
	s_mov_b32 s0, 0
.LBB94_4288:
	s_delay_alu instid0(SALU_CYCLE_1)
	s_and_not1_b32 vcc_lo, exec_lo, s0
	s_cbranch_vccnz .LBB94_4308
; %bb.4289:
	s_cmp_lt_i32 s60, 2
	s_cbranch_scc1 .LBB94_4293
; %bb.4290:
	s_cmp_lt_i32 s60, 3
	s_cbranch_scc1 .LBB94_4294
; %bb.4291:
	s_cmp_gt_i32 s60, 3
	s_cbranch_scc0 .LBB94_4295
; %bb.4292:
	s_wait_loadcnt 0x0
	global_load_b64 v[24:25], v[10:11], off
	s_mov_b32 s0, 0
	s_branch .LBB94_4296
.LBB94_4293:
	s_mov_b32 s0, -1
                                        ; implicit-def: $vgpr24_vgpr25
	s_branch .LBB94_4302
.LBB94_4294:
	s_mov_b32 s0, -1
                                        ; implicit-def: $vgpr24_vgpr25
	s_branch .LBB94_4299
.LBB94_4295:
	s_mov_b32 s0, -1
                                        ; implicit-def: $vgpr24_vgpr25
.LBB94_4296:
	s_delay_alu instid0(SALU_CYCLE_1)
	s_and_not1_b32 vcc_lo, exec_lo, s0
	s_cbranch_vccnz .LBB94_4298
; %bb.4297:
	s_wait_loadcnt 0x0
	global_load_b32 v24, v[10:11], off
	s_wait_loadcnt 0x0
	v_ashrrev_i32_e32 v25, 31, v24
.LBB94_4298:
	s_mov_b32 s0, 0
.LBB94_4299:
	s_delay_alu instid0(SALU_CYCLE_1)
	s_and_not1_b32 vcc_lo, exec_lo, s0
	s_cbranch_vccnz .LBB94_4301
; %bb.4300:
	global_load_u16 v9, v[10:11], off
	s_wait_loadcnt 0x0
	v_bfe_i32 v24, v9, 0, 16
	s_delay_alu instid0(VALU_DEP_1)
	v_ashrrev_i32_e32 v25, 31, v24
.LBB94_4301:
	s_mov_b32 s0, 0
.LBB94_4302:
	s_delay_alu instid0(SALU_CYCLE_1)
	s_and_not1_b32 vcc_lo, exec_lo, s0
	s_cbranch_vccnz .LBB94_4308
; %bb.4303:
	s_cmp_gt_i32 s60, 0
	s_mov_b32 s0, 0
	s_cbranch_scc0 .LBB94_4305
; %bb.4304:
	global_load_i8 v9, v[10:11], off
	s_wait_loadcnt 0x0
	v_bfe_i32 v24, v9, 0, 16
	s_delay_alu instid0(VALU_DEP_1)
	v_ashrrev_i32_e32 v25, 31, v24
	s_branch .LBB94_4306
.LBB94_4305:
	s_mov_b32 s0, -1
                                        ; implicit-def: $vgpr24_vgpr25
.LBB94_4306:
	s_delay_alu instid0(SALU_CYCLE_1)
	s_and_not1_b32 vcc_lo, exec_lo, s0
	s_cbranch_vccnz .LBB94_4308
; %bb.4307:
	global_load_u8 v9, v[10:11], off
	s_mov_b32 s0, 0
	s_wait_loadcnt 0x1
	v_mov_b32_e32 v25, s0
	s_wait_loadcnt 0x0
	v_and_b32_e32 v24, 0xffff, v9
.LBB94_4308:
	s_mov_b32 s5, -1
.LBB94_4309:
	s_delay_alu instid0(SALU_CYCLE_1)
	s_and_not1_b32 vcc_lo, exec_lo, s5
	s_cbranch_vccnz .LBB94_4318
; %bb.4310:
	s_mov_b32 s0, exec_lo
	s_wait_xcnt 0x0
	v_cmpx_ne_u64_e64 v[20:21], v[0:1]
	s_xor_b32 s0, exec_lo, s0
	s_cbranch_execnz .LBB94_4478
.LBB94_4311:
	s_or_saveexec_b32 s48, s0
	s_mov_b32 s1, 0
	s_mov_b32 s5, 0
                                        ; implicit-def: $vgpr20_vgpr21
                                        ; implicit-def: $sgpr0
	s_xor_b32 exec_lo, exec_lo, s48
	s_cbranch_execz .LBB94_4989
; %bb.4312:
	s_mov_b32 s49, s44
	s_mov_b32 s0, exec_lo
	v_cmpx_ne_u64_e64 v[22:23], v[2:3]
	s_xor_b32 s0, exec_lo, s0
	s_cbranch_execnz .LBB94_4606
; %bb.4313:
	s_or_saveexec_b32 s50, s0
                                        ; implicit-def: $vgpr20_vgpr21
                                        ; implicit-def: $sgpr0
	s_delay_alu instid0(SALU_CYCLE_1)
	s_xor_b32 exec_lo, exec_lo, s50
	s_cbranch_execz .LBB94_4988
.LBB94_4314:
	s_wait_loadcnt 0x0
	v_sub_nc_u64_e32 v[10:11], v[6:7], v[4:5]
	s_mov_b32 s51, s49
	s_delay_alu instid0(VALU_DEP_1) | instskip(SKIP_2) | instid1(SALU_CYCLE_1)
	v_cmp_gt_i64_e32 vcc_lo, v[0:1], v[10:11]
	v_cmp_lt_i64_e64 s0, s[16:17], v[10:11]
	s_or_b32 s0, vcc_lo, s0
	s_and_saveexec_b32 s1, s0
	s_delay_alu instid0(SALU_CYCLE_1)
	s_xor_b32 s0, exec_lo, s1
	s_cbranch_execnz .LBB94_4734
; %bb.4315:
	s_or_saveexec_b32 s52, s0
	s_mov_b32 s1, 0
                                        ; implicit-def: $vgpr20_vgpr21
                                        ; implicit-def: $sgpr0
	s_xor_b32 exec_lo, exec_lo, s52
	s_cbranch_execz .LBB94_4987
.LBB94_4316:
	v_mov_b64_e32 v[10:11], 0
	s_and_saveexec_b32 s53, s47
	s_cbranch_execz .LBB94_4329
; %bb.4317:
	v_mul_u64_e32 v[22:23], v[24:25], v[2:3]
	s_mov_b32 s5, s1
	v_mov_b64_e32 v[10:11], 0
	s_lshl_b64 s[22:23], s[4:5], 3
	v_mov_b32_e32 v20, 0
	s_add_nc_u64 s[22:23], s[28:29], s[22:23]
	s_mov_b64 s[20:21], 0xffffffff
	s_add_nc_u64 s[22:23], s[22:23], 0x68
	s_mov_b32 s5, s45
	s_branch .LBB94_4325
.LBB94_4318:
	s_mov_b32 s1, 0
	s_mov_b32 s5, 0
                                        ; implicit-def: $vgpr20_vgpr21
                                        ; implicit-def: $sgpr0
.LBB94_4319:
	s_and_not1_b32 s2, s42, exec_lo
	s_and_b32 s3, s44, exec_lo
	s_and_b32 s5, s5, exec_lo
	s_and_b32 s1, s1, exec_lo
	s_or_b32 s42, s2, s3
.LBB94_4320:
	s_wait_xcnt 0x0
	s_or_b32 exec_lo, exec_lo, s43
	s_delay_alu instid0(SALU_CYCLE_1)
	s_and_not1_b32 s2, s40, exec_lo
	s_and_b32 s3, s42, exec_lo
	s_and_b32 s4, s5, exec_lo
	;; [unrolled: 1-line block ×3, first 2 shown]
	s_or_b32 s40, s2, s3
.LBB94_4321:
	s_or_b32 exec_lo, exec_lo, s41
	s_delay_alu instid0(SALU_CYCLE_1)
	s_and_not1_b32 s2, s38, exec_lo
	s_and_b32 s3, s40, exec_lo
	s_and_b32 s4, s4, exec_lo
	;; [unrolled: 1-line block ×3, first 2 shown]
	s_or_b32 s38, s2, s3
.LBB94_4322:
	s_or_b32 exec_lo, exec_lo, s39
	s_delay_alu instid0(SALU_CYCLE_1)
	s_and_not1_b32 s2, s36, exec_lo
	s_and_b32 s3, s38, exec_lo
	s_and_b32 s4, s4, exec_lo
	;; [unrolled: 1-line block ×3, first 2 shown]
	s_or_b32 s36, s2, s3
.LBB94_4323:
	s_or_b32 exec_lo, exec_lo, s37
	s_branch .LBB94_3435
.LBB94_4324:                            ;   in Loop: Header=BB94_4325 Depth=1
	s_or_b32 exec_lo, exec_lo, s0
	s_delay_alu instid0(VALU_DEP_1)
	v_mul_u64_e32 v[28:29], s[24:25], v[24:25]
	s_load_b64 s[24:25], s[22:23], 0x40
	s_add_co_i32 s5, s5, -1
	s_wait_xcnt 0x0
	s_add_nc_u64 s[22:23], s[22:23], -8
	s_cmp_eq_u32 s5, 0
	s_delay_alu instid0(VALU_DEP_1) | instskip(SKIP_1) | instid1(VALU_DEP_1)
	v_sub_nc_u64_e32 v[22:23], v[22:23], v[28:29]
	s_wait_kmcnt 0x0
	v_mad_nc_u64_u32 v[10:11], v22, s24, v[10:11]
	s_delay_alu instid0(VALU_DEP_1) | instskip(NEXT) | instid1(VALU_DEP_1)
	v_mad_u32 v9, v23, s24, v11
	v_mad_u32 v11, v22, s25, v9
	v_mov_b64_e32 v[22:23], v[24:25]
	s_cbranch_scc1 .LBB94_4329
.LBB94_4325:                            ; =>This Inner Loop Header: Depth=1
	s_load_b64 s[24:25], s[22:23], 0x0
                                        ; implicit-def: $vgpr24_vgpr25
	s_mov_b32 s0, exec_lo
	s_wait_kmcnt 0x0
	s_delay_alu instid0(VALU_DEP_1) | instskip(NEXT) | instid1(VALU_DEP_1)
	v_or_b32_e32 v21, s25, v23
	v_cmpx_ne_u64_e32 0, v[20:21]
	s_xor_b32 s54, exec_lo, s0
	s_cbranch_execz .LBB94_4327
; %bb.4326:                             ;   in Loop: Header=BB94_4325 Depth=1
	s_ashr_i32 s26, s25, 31
	v_dual_mov_b32 v31, v20 :: v_dual_ashrrev_i32 v24, 31, v23
	s_mov_b32 s27, s26
	v_mov_b32_e32 v35, v20
	s_add_nc_u64 s[30:31], s[24:25], s[26:27]
	s_delay_alu instid0(VALU_DEP_2)
	v_mov_b32_e32 v25, v24
	s_xor_b64 s[30:31], s[30:31], s[26:27]
	v_mov_b32_e32 v39, v20
	s_cvt_f32_u32 s0, s30
	s_cvt_f32_u32 s27, s31
	s_sub_nc_u64 s[68:69], 0, s[30:31]
	v_add_nc_u64_e32 v[28:29], v[22:23], v[24:25]
	s_delay_alu instid0(SALU_CYCLE_1) | instskip(NEXT) | instid1(SALU_CYCLE_3)
	s_fmamk_f32 s0, s27, 0x4f800000, s0
	v_s_rcp_f32 s0, s0
	s_delay_alu instid0(VALU_DEP_1) | instskip(NEXT) | instid1(VALU_DEP_2)
	v_xor_b32_e32 v34, v29, v24
	v_xor_b32_e32 v30, v28, v24
	s_delay_alu instid0(TRANS32_DEP_1) | instskip(NEXT) | instid1(SALU_CYCLE_3)
	s_mul_f32 s0, s0, 0x5f7ffffc
	s_mul_f32 s27, s0, 0x2f800000
	s_delay_alu instid0(SALU_CYCLE_3) | instskip(NEXT) | instid1(SALU_CYCLE_3)
	s_trunc_f32 s27, s27
	s_fmamk_f32 s0, s27, 0xcf800000, s0
	s_cvt_u32_f32 s67, s27
	s_delay_alu instid0(SALU_CYCLE_2) | instskip(NEXT) | instid1(SALU_CYCLE_3)
	s_cvt_u32_f32 s66, s0
	s_mul_u64 s[70:71], s[68:69], s[66:67]
	s_delay_alu instid0(SALU_CYCLE_1)
	s_mul_hi_u32 s73, s66, s71
	s_mul_i32 s72, s66, s71
	s_mul_hi_u32 s0, s66, s70
	s_mul_i32 s65, s67, s70
	s_add_nc_u64 s[72:73], s[0:1], s[72:73]
	s_mul_hi_u32 s27, s67, s70
	s_mul_hi_u32 s74, s67, s71
	s_add_co_u32 s0, s72, s65
	s_add_co_ci_u32 s0, s73, s27
	s_mul_i32 s70, s67, s71
	s_add_co_ci_u32 s71, s74, 0
	s_delay_alu instid0(SALU_CYCLE_1) | instskip(NEXT) | instid1(SALU_CYCLE_1)
	s_add_nc_u64 s[70:71], s[0:1], s[70:71]
	s_add_co_u32 s66, s66, s70
	s_cselect_b32 s0, -1, 0
	s_delay_alu instid0(SALU_CYCLE_1) | instskip(SKIP_1) | instid1(SALU_CYCLE_1)
	s_cmp_lg_u32 s0, 0
	s_add_co_ci_u32 s67, s67, s71
	s_mul_u64 s[68:69], s[68:69], s[66:67]
	s_delay_alu instid0(SALU_CYCLE_1)
	s_mul_hi_u32 s71, s66, s69
	s_mul_i32 s70, s66, s69
	s_mul_hi_u32 s0, s66, s68
	s_mul_i32 s65, s67, s68
	s_add_nc_u64 s[70:71], s[0:1], s[70:71]
	s_mul_hi_u32 s27, s67, s68
	s_mul_hi_u32 s72, s67, s69
	s_add_co_u32 s0, s70, s65
	s_add_co_ci_u32 s0, s71, s27
	s_mul_i32 s68, s67, s69
	s_add_co_ci_u32 s69, s72, 0
	s_delay_alu instid0(SALU_CYCLE_1) | instskip(NEXT) | instid1(SALU_CYCLE_1)
	s_add_nc_u64 s[68:69], s[0:1], s[68:69]
	s_add_co_u32 s66, s66, s68
	s_cselect_b32 s0, -1, 0
	v_mul_hi_u32 v38, v30, s66
	s_cmp_lg_u32 s0, 0
	s_add_co_ci_u32 s0, s67, s69
	s_and_b64 s[68:69], s[66:67], s[20:21]
	v_mul_u64_e32 v[32:33], s[0:1], v[30:31]
	v_mul_u64_e32 v[28:29], s[68:69], v[34:35]
	v_mul_u64_e32 v[36:37], s[0:1], v[34:35]
	s_delay_alu instid0(VALU_DEP_3) | instskip(NEXT) | instid1(VALU_DEP_1)
	v_add_nc_u64_e32 v[32:33], v[38:39], v[32:33]
	v_add_co_u32 v9, vcc_lo, v32, v28
	s_delay_alu instid0(VALU_DEP_2) | instskip(NEXT) | instid1(VALU_DEP_4)
	v_add_co_ci_u32_e32 v38, vcc_lo, v33, v29, vcc_lo
	v_add_co_ci_u32_e32 v37, vcc_lo, 0, v37, vcc_lo
	s_delay_alu instid0(VALU_DEP_1) | instskip(NEXT) | instid1(VALU_DEP_1)
	v_add_nc_u64_e32 v[28:29], v[38:39], v[36:37]
	v_mul_u64_e32 v[32:33], s[30:31], v[28:29]
	s_delay_alu instid0(VALU_DEP_1) | instskip(NEXT) | instid1(VALU_DEP_2)
	v_sub_nc_u32_e32 v9, v34, v33
	v_sub_co_u32 v13, vcc_lo, v30, v32
	s_delay_alu instid0(VALU_DEP_1) | instskip(NEXT) | instid1(VALU_DEP_3)
	v_sub_co_ci_u32_e64 v17, null, v34, v33, vcc_lo
	v_subrev_co_ci_u32_e64 v9, null, s31, v9, vcc_lo
	s_delay_alu instid0(VALU_DEP_3) | instskip(SKIP_1) | instid1(VALU_DEP_3)
	v_sub_co_u32 v15, s0, v13, s30
	v_add_nc_u64_e32 v[30:31], 2, v[28:29]
	v_subrev_co_ci_u32_e64 v9, null, 0, v9, s0
	s_delay_alu instid0(VALU_DEP_3) | instskip(SKIP_2) | instid1(VALU_DEP_4)
	v_cmp_le_u32_e32 vcc_lo, s30, v15
	v_add_nc_u64_e32 v[32:33], 1, v[28:29]
	v_cndmask_b32_e64 v15, 0, -1, vcc_lo
	v_cmp_le_u32_e32 vcc_lo, s31, v9
	v_cndmask_b32_e64 v19, 0, -1, vcc_lo
	v_cmp_le_u32_e32 vcc_lo, s30, v13
	;; [unrolled: 2-line block ×3, first 2 shown]
	v_cndmask_b32_e64 v21, 0, -1, vcc_lo
	v_cmp_eq_u32_e32 vcc_lo, s31, v9
	v_cndmask_b32_e32 v9, v19, v15, vcc_lo
	v_cmp_eq_u32_e32 vcc_lo, s31, v17
	s_delay_alu instid0(VALU_DEP_4) | instskip(NEXT) | instid1(VALU_DEP_3)
	v_cndmask_b32_e32 v13, v21, v13, vcc_lo
	v_cmp_ne_u32_e32 vcc_lo, 0, v9
	s_delay_alu instid0(VALU_DEP_2) | instskip(SKIP_1) | instid1(VALU_DEP_1)
	v_cmp_ne_u32_e64 s0, 0, v13
	v_dual_cndmask_b32 v9, v33, v31, vcc_lo :: v_dual_cndmask_b32 v13, v32, v30, vcc_lo
	v_dual_cndmask_b32 v9, v29, v9, s0 :: v_dual_bitop2_b32 v24, s26, v24 bitop3:0x14
	s_delay_alu instid0(VALU_DEP_1) | instskip(NEXT) | instid1(VALU_DEP_1)
	v_dual_cndmask_b32 v13, v28, v13, s0 :: v_dual_bitop2_b32 v29, v9, v24 bitop3:0x14
	v_dual_mov_b32 v25, v24 :: v_dual_bitop2_b32 v28, v13, v24 bitop3:0x14
	s_delay_alu instid0(VALU_DEP_1)
	v_sub_nc_u64_e32 v[24:25], v[28:29], v[24:25]
.LBB94_4327:                            ;   in Loop: Header=BB94_4325 Depth=1
	s_and_not1_saveexec_b32 s0, s54
	s_cbranch_execz .LBB94_4324
; %bb.4328:                             ;   in Loop: Header=BB94_4325 Depth=1
	v_cvt_f32_u32_e32 v9, s24
	s_sub_co_i32 s26, 0, s24
	v_mov_b32_e32 v25, v20
	s_delay_alu instid0(VALU_DEP_2) | instskip(SKIP_1) | instid1(TRANS32_DEP_1)
	v_rcp_iflag_f32_e32 v9, v9
	v_nop
	v_mul_f32_e32 v9, 0x4f7ffffe, v9
	s_delay_alu instid0(VALU_DEP_1) | instskip(NEXT) | instid1(VALU_DEP_1)
	v_cvt_u32_f32_e32 v9, v9
	v_mul_lo_u32 v13, s26, v9
	s_delay_alu instid0(VALU_DEP_1) | instskip(NEXT) | instid1(VALU_DEP_1)
	v_mul_hi_u32 v13, v9, v13
	v_add_nc_u32_e32 v9, v9, v13
	s_delay_alu instid0(VALU_DEP_1) | instskip(NEXT) | instid1(VALU_DEP_1)
	v_mul_hi_u32 v9, v22, v9
	v_mul_lo_u32 v13, v9, s24
	v_add_nc_u32_e32 v15, 1, v9
	s_delay_alu instid0(VALU_DEP_2) | instskip(NEXT) | instid1(VALU_DEP_1)
	v_sub_nc_u32_e32 v13, v22, v13
	v_subrev_nc_u32_e32 v17, s24, v13
	v_cmp_le_u32_e32 vcc_lo, s24, v13
	s_delay_alu instid0(VALU_DEP_2) | instskip(SKIP_1) | instid1(VALU_DEP_2)
	v_cndmask_b32_e32 v13, v13, v17, vcc_lo
	v_cndmask_b32_e32 v9, v9, v15, vcc_lo
	v_cmp_le_u32_e32 vcc_lo, s24, v13
	s_delay_alu instid0(VALU_DEP_2) | instskip(NEXT) | instid1(VALU_DEP_1)
	v_add_nc_u32_e32 v15, 1, v9
	v_cndmask_b32_e32 v24, v9, v15, vcc_lo
	s_branch .LBB94_4324
.LBB94_4329:
	s_or_b32 exec_lo, exec_lo, s53
	s_mov_b32 s20, -1
	s_mov_b32 s53, s51
	s_mov_b32 s0, exec_lo
	v_cmpx_gt_i64_e64 v[6:7], v[4:5]
	s_cbranch_execz .LBB94_4336
; %bb.4330:
	s_delay_alu instid0(VALU_DEP_2) | instskip(SKIP_2) | instid1(VALU_DEP_1)
	v_lshlrev_b64_e32 v[10:11], 3, v[10:11]
	s_mov_b32 s5, 0
	s_xor_b32 s20, s46, -1
                                        ; implicit-def: $sgpr1
                                        ; implicit-def: $sgpr22
                                        ; implicit-def: $sgpr21
	v_lshl_add_u64 v[4:5], v[4:5], 3, v[10:11]
	s_wait_kmcnt 0x0
	v_add_nc_u64_e32 v[10:11], s[18:19], v[10:11]
	s_delay_alu instid0(VALU_DEP_2) | instskip(NEXT) | instid1(VALU_DEP_2)
	v_add_nc_u64_e32 v[4:5], s[18:19], v[4:5]
	v_lshl_add_u64 v[6:7], v[6:7], 3, v[10:11]
	s_delay_alu instid0(VALU_DEP_2)
	v_add_nc_u64_e32 v[4:5], 8, v[4:5]
	s_branch .LBB94_4332
.LBB94_4331:                            ;   in Loop: Header=BB94_4332 Depth=1
	s_or_b32 exec_lo, exec_lo, s23
	s_xor_b32 s23, s21, -1
	s_and_b32 s24, exec_lo, s22
	s_delay_alu instid0(SALU_CYCLE_1) | instskip(SKIP_2) | instid1(SALU_CYCLE_1)
	s_or_b32 s5, s24, s5
	s_and_not1_b32 s1, s1, exec_lo
	s_and_b32 s23, s23, exec_lo
	s_or_b32 s1, s1, s23
	s_and_not1_b32 exec_lo, exec_lo, s5
	s_cbranch_execz .LBB94_4334
.LBB94_4332:                            ; =>This Inner Loop Header: Depth=1
	s_or_b32 s21, s21, exec_lo
	s_or_b32 s22, s22, exec_lo
	s_mov_b32 s23, exec_lo
	s_delay_alu instid0(VALU_DEP_1)
	v_cmpx_lt_u64_e64 v[4:5], v[6:7]
	s_cbranch_execz .LBB94_4331
; %bb.4333:                             ;   in Loop: Header=BB94_4332 Depth=1
	global_load_b128 v[20:23], v[4:5], off offset:-8
	s_wait_xcnt 0x0
	v_add_nc_u64_e32 v[4:5], 8, v[4:5]
	s_and_not1_b32 s22, s22, exec_lo
	s_and_not1_b32 s21, s21, exec_lo
	s_wait_loadcnt 0x0
	v_cmp_ge_i64_e32 vcc_lo, v[20:21], v[22:23]
	s_or_b32 s24, s20, vcc_lo
	s_delay_alu instid0(SALU_CYCLE_1) | instskip(NEXT) | instid1(SALU_CYCLE_1)
	s_and_b32 s24, s24, exec_lo
	s_or_b32 s22, s22, s24
	s_branch .LBB94_4331
.LBB94_4334:
	s_or_b32 exec_lo, exec_lo, s5
	s_mov_b32 s5, -1
	s_mov_b32 s20, s51
	s_and_saveexec_b32 s21, s1
	s_delay_alu instid0(SALU_CYCLE_1)
	s_xor_b32 s1, exec_lo, s21
	s_cbranch_execnz .LBB94_4349
.LBB94_4335:
	s_or_b32 exec_lo, exec_lo, s1
	s_delay_alu instid0(SALU_CYCLE_1) | instskip(SKIP_1) | instid1(SALU_CYCLE_1)
	s_and_not1_b32 s1, s51, exec_lo
	s_and_b32 s20, s20, exec_lo
	s_or_b32 s53, s1, s20
	s_or_not1_b32 s20, s5, exec_lo
.LBB94_4336:
	s_or_b32 exec_lo, exec_lo, s0
	s_mov_b32 s1, 0
	s_mov_b32 s5, 0
                                        ; implicit-def: $vgpr20_vgpr21
                                        ; implicit-def: $sgpr0
	s_and_saveexec_b32 s54, s20
	s_cbranch_execz .LBB94_4986
; %bb.4337:
	s_lshl_b32 s69, s55, 7
	s_cmp_lt_i32 s56, 11
	v_add_nc_u32_e32 v4, s69, v8
	s_delay_alu instid0(VALU_DEP_1) | instskip(NEXT) | instid1(VALU_DEP_1)
	v_ashrrev_i32_e32 v5, 31, v4
	v_add_nc_u64_e32 v[6:7], s[6:7], v[4:5]
	s_cbranch_scc1 .LBB94_4345
; %bb.4338:
	s_cmp_gt_i32 s56, 25
	s_cbranch_scc0 .LBB94_4346
; %bb.4339:
	s_cmp_gt_i32 s56, 28
	s_cbranch_scc0 .LBB94_4347
	;; [unrolled: 3-line block ×4, first 2 shown]
; %bb.4342:
	s_cmp_eq_u32 s56, 46
	s_mov_b32 s20, 0
	s_cbranch_scc0 .LBB94_4351
; %bb.4343:
	global_load_b32 v5, v[6:7], off
	s_mov_b32 s0, 0
	s_mov_b32 s5, -1
	s_wait_loadcnt 0x0
	v_lshlrev_b32_e32 v5, 16, v5
	s_delay_alu instid0(VALU_DEP_1) | instskip(NEXT) | instid1(VALU_DEP_1)
	v_trunc_f32_e32 v5, v5
	v_mul_f32_e64 v8, 0x2f800000, |v5|
	s_delay_alu instid0(VALU_DEP_1) | instskip(SKIP_1) | instid1(VALU_DEP_2)
	v_floor_f32_e32 v9, v8
	v_ashrrev_i32_e32 v8, 31, v5
	v_fma_f32 v10, 0xcf800000, v9, |v5|
	v_cvt_u32_f32_e32 v5, v9
	s_delay_alu instid0(VALU_DEP_3) | instskip(NEXT) | instid1(VALU_DEP_3)
	v_mov_b32_e32 v9, v8
	v_cvt_u32_f32_e32 v10, v10
	s_delay_alu instid0(VALU_DEP_3) | instskip(NEXT) | instid1(VALU_DEP_2)
	v_xor_b32_e32 v11, v5, v8
	v_xor_b32_e32 v10, v10, v8
	s_delay_alu instid0(VALU_DEP_1)
	v_sub_nc_u64_e32 v[20:21], v[10:11], v[8:9]
	s_branch .LBB94_4353
.LBB94_4344:
	s_or_b32 s44, s44, exec_lo
	s_trap 2
	s_cbranch_execz .LBB94_4258
	s_branch .LBB94_4259
.LBB94_4345:
	s_mov_b32 s0, -1
	s_mov_b32 s55, s53
                                        ; implicit-def: $vgpr20_vgpr21
	s_branch .LBB94_4415
.LBB94_4346:
	s_mov_b32 s20, -1
	s_mov_b32 s0, 0
                                        ; implicit-def: $vgpr20_vgpr21
	s_branch .LBB94_4380
.LBB94_4347:
	s_mov_b32 s20, -1
	s_mov_b32 s0, 0
                                        ; implicit-def: $vgpr20_vgpr21
	s_branch .LBB94_4363
.LBB94_4348:
	s_mov_b32 s20, -1
	s_mov_b32 s0, 0
                                        ; implicit-def: $vgpr20_vgpr21
	s_branch .LBB94_4358
.LBB94_4349:
	s_or_b32 s20, s51, exec_lo
	s_xor_b32 s5, exec_lo, -1
	s_trap 2
	s_branch .LBB94_4335
.LBB94_4350:
	s_mov_b32 s20, -1
	s_mov_b32 s0, 0
	s_branch .LBB94_4352
.LBB94_4351:
	s_mov_b32 s0, -1
.LBB94_4352:
                                        ; implicit-def: $vgpr20_vgpr21
.LBB94_4353:
	s_and_b32 vcc_lo, exec_lo, s20
	s_cbranch_vccz .LBB94_4357
; %bb.4354:
	s_cmp_eq_u32 s56, 44
	s_cbranch_scc0 .LBB94_4356
; %bb.4355:
	global_load_u8 v5, v[6:7], off
	s_mov_b32 s0, 0
	s_mov_b32 s5, -1
	s_wait_loadcnt 0x0
	v_lshlrev_b32_e32 v8, 23, v5
	v_cmp_ne_u32_e32 vcc_lo, 0, v5
	s_delay_alu instid0(VALU_DEP_2) | instskip(NEXT) | instid1(VALU_DEP_1)
	v_trunc_f32_e32 v8, v8
	v_mul_f32_e64 v9, 0x2f800000, |v8|
	s_delay_alu instid0(VALU_DEP_1) | instskip(NEXT) | instid1(VALU_DEP_1)
	v_floor_f32_e32 v9, v9
	v_fma_f32 v10, 0xcf800000, v9, |v8|
	v_ashrrev_i32_e32 v8, 31, v8
	v_cvt_u32_f32_e32 v11, v9
	s_delay_alu instid0(VALU_DEP_3) | instskip(NEXT) | instid1(VALU_DEP_2)
	v_cvt_u32_f32_e32 v10, v10
	v_dual_mov_b32 v9, v8 :: v_dual_bitop2_b32 v11, v11, v8 bitop3:0x14
	s_delay_alu instid0(VALU_DEP_2) | instskip(NEXT) | instid1(VALU_DEP_1)
	v_xor_b32_e32 v10, v10, v8
	v_sub_nc_u64_e32 v[8:9], v[10:11], v[8:9]
	s_delay_alu instid0(VALU_DEP_1)
	v_dual_cndmask_b32 v21, 0, v9 :: v_dual_cndmask_b32 v20, 0, v8
	s_branch .LBB94_4357
.LBB94_4356:
	s_mov_b32 s0, -1
                                        ; implicit-def: $vgpr20_vgpr21
.LBB94_4357:
	s_mov_b32 s20, 0
.LBB94_4358:
	s_delay_alu instid0(SALU_CYCLE_1)
	s_and_b32 vcc_lo, exec_lo, s20
	s_cbranch_vccz .LBB94_4362
; %bb.4359:
	s_cmp_eq_u32 s56, 29
	s_cbranch_scc0 .LBB94_4361
; %bb.4360:
	global_load_b64 v[20:21], v[6:7], off
	s_mov_b32 s0, 0
	s_mov_b32 s5, -1
	s_branch .LBB94_4362
.LBB94_4361:
	s_mov_b32 s0, -1
                                        ; implicit-def: $vgpr20_vgpr21
.LBB94_4362:
	s_mov_b32 s20, 0
.LBB94_4363:
	s_delay_alu instid0(SALU_CYCLE_1)
	s_and_b32 vcc_lo, exec_lo, s20
	s_cbranch_vccz .LBB94_4379
; %bb.4364:
	s_cmp_lt_i32 s56, 27
	s_cbranch_scc1 .LBB94_4367
; %bb.4365:
	s_cmp_gt_i32 s56, 27
	s_cbranch_scc0 .LBB94_4368
; %bb.4366:
	s_wait_loadcnt 0x0
	global_load_b32 v20, v[6:7], off
	v_mov_b32_e32 v21, 0
	s_mov_b32 s5, 0
	s_branch .LBB94_4369
.LBB94_4367:
	s_mov_b32 s5, -1
                                        ; implicit-def: $vgpr20_vgpr21
	s_branch .LBB94_4372
.LBB94_4368:
	s_mov_b32 s5, -1
                                        ; implicit-def: $vgpr20_vgpr21
.LBB94_4369:
	s_delay_alu instid0(SALU_CYCLE_1)
	s_and_not1_b32 vcc_lo, exec_lo, s5
	s_cbranch_vccnz .LBB94_4371
; %bb.4370:
	global_load_u16 v5, v[6:7], off
	s_mov_b32 s5, 0
	s_wait_loadcnt 0x1
	v_mov_b32_e32 v21, s5
	s_wait_loadcnt 0x0
	v_and_b32_e32 v20, 0xffff, v5
.LBB94_4371:
	s_mov_b32 s5, 0
.LBB94_4372:
	s_delay_alu instid0(SALU_CYCLE_1)
	s_and_not1_b32 vcc_lo, exec_lo, s5
	s_cbranch_vccnz .LBB94_4378
; %bb.4373:
	global_load_u8 v5, v[6:7], off
	s_mov_b32 s20, 0
	s_mov_b32 s5, exec_lo
	s_wait_loadcnt 0x0
	v_cmpx_lt_i16_e32 0x7f, v5
	s_xor_b32 s5, exec_lo, s5
	s_cbranch_execz .LBB94_4390
; %bb.4374:
	v_cmp_ne_u16_e32 vcc_lo, 0x80, v5
	s_and_b32 s20, vcc_lo, exec_lo
	s_and_not1_saveexec_b32 s5, s5
	s_cbranch_execnz .LBB94_4391
.LBB94_4375:
	s_or_b32 exec_lo, exec_lo, s5
	v_mov_b64_e32 v[20:21], 0
	s_and_saveexec_b32 s5, s20
	s_cbranch_execz .LBB94_4377
.LBB94_4376:
	v_and_b32_e32 v8, 0xffff, v5
	s_delay_alu instid0(VALU_DEP_1) | instskip(SKIP_1) | instid1(VALU_DEP_2)
	v_and_b32_e32 v9, 7, v8
	v_bfe_u32 v13, v8, 3, 4
	v_clz_i32_u32_e32 v10, v9
	s_delay_alu instid0(VALU_DEP_2) | instskip(NEXT) | instid1(VALU_DEP_2)
	v_cmp_eq_u32_e32 vcc_lo, 0, v13
	v_min_u32_e32 v10, 32, v10
	s_delay_alu instid0(VALU_DEP_1) | instskip(NEXT) | instid1(VALU_DEP_1)
	v_subrev_nc_u32_e32 v11, 28, v10
	v_dual_lshlrev_b32 v8, v11, v8 :: v_dual_sub_nc_u32 v10, 29, v10
	s_delay_alu instid0(VALU_DEP_1) | instskip(NEXT) | instid1(VALU_DEP_2)
	v_dual_lshlrev_b32 v5, 24, v5 :: v_dual_bitop2_b32 v8, 7, v8 bitop3:0x40
	v_cndmask_b32_e32 v10, v13, v10, vcc_lo
	s_delay_alu instid0(VALU_DEP_2) | instskip(NEXT) | instid1(VALU_DEP_3)
	v_cndmask_b32_e32 v8, v9, v8, vcc_lo
	v_and_b32_e32 v5, 0x80000000, v5
	s_delay_alu instid0(VALU_DEP_3) | instskip(NEXT) | instid1(VALU_DEP_3)
	v_lshl_add_u32 v9, v10, 23, 0x3b800000
	v_lshlrev_b32_e32 v8, 20, v8
	s_delay_alu instid0(VALU_DEP_1) | instskip(NEXT) | instid1(VALU_DEP_1)
	v_or3_b32 v5, v5, v9, v8
	v_trunc_f32_e32 v5, v5
	s_delay_alu instid0(VALU_DEP_1) | instskip(NEXT) | instid1(VALU_DEP_1)
	v_mul_f32_e64 v8, 0x2f800000, |v5|
	v_floor_f32_e32 v9, v8
	v_ashrrev_i32_e32 v8, 31, v5
	s_delay_alu instid0(VALU_DEP_2) | instskip(SKIP_1) | instid1(VALU_DEP_3)
	v_fma_f32 v10, 0xcf800000, v9, |v5|
	v_cvt_u32_f32_e32 v5, v9
	v_mov_b32_e32 v9, v8
	s_delay_alu instid0(VALU_DEP_3) | instskip(NEXT) | instid1(VALU_DEP_3)
	v_cvt_u32_f32_e32 v10, v10
	v_xor_b32_e32 v11, v5, v8
	s_delay_alu instid0(VALU_DEP_2) | instskip(NEXT) | instid1(VALU_DEP_1)
	v_xor_b32_e32 v10, v10, v8
	v_sub_nc_u64_e32 v[20:21], v[10:11], v[8:9]
.LBB94_4377:
	s_or_b32 exec_lo, exec_lo, s5
.LBB94_4378:
	s_mov_b32 s5, -1
.LBB94_4379:
	s_mov_b32 s20, 0
.LBB94_4380:
	s_delay_alu instid0(SALU_CYCLE_1)
	s_and_b32 vcc_lo, exec_lo, s20
	s_cbranch_vccz .LBB94_4411
; %bb.4381:
	s_cmp_gt_i32 s56, 22
	s_cbranch_scc0 .LBB94_4389
; %bb.4382:
	s_cmp_lt_i32 s56, 24
	s_cbranch_scc1 .LBB94_4392
; %bb.4383:
	s_cmp_gt_i32 s56, 24
	s_cbranch_scc0 .LBB94_4393
; %bb.4384:
	global_load_u8 v5, v[6:7], off
	s_mov_b32 s5, 0
	s_mov_b32 s1, exec_lo
	s_wait_loadcnt 0x0
	v_cmpx_lt_i16_e32 0x7f, v5
	s_xor_b32 s1, exec_lo, s1
	s_cbranch_execz .LBB94_4405
; %bb.4385:
	v_cmp_ne_u16_e32 vcc_lo, 0x80, v5
	s_and_b32 s5, vcc_lo, exec_lo
	s_and_not1_saveexec_b32 s1, s1
	s_cbranch_execnz .LBB94_4406
.LBB94_4386:
	s_or_b32 exec_lo, exec_lo, s1
	v_mov_b64_e32 v[20:21], 0
	s_and_saveexec_b32 s1, s5
	s_cbranch_execz .LBB94_4388
.LBB94_4387:
	v_and_b32_e32 v8, 0xffff, v5
	s_delay_alu instid0(VALU_DEP_1) | instskip(SKIP_1) | instid1(VALU_DEP_2)
	v_and_b32_e32 v9, 3, v8
	v_bfe_u32 v13, v8, 2, 5
	v_clz_i32_u32_e32 v10, v9
	s_delay_alu instid0(VALU_DEP_2) | instskip(NEXT) | instid1(VALU_DEP_2)
	v_cmp_eq_u32_e32 vcc_lo, 0, v13
	v_min_u32_e32 v10, 32, v10
	s_delay_alu instid0(VALU_DEP_1) | instskip(NEXT) | instid1(VALU_DEP_1)
	v_subrev_nc_u32_e32 v11, 29, v10
	v_dual_lshlrev_b32 v8, v11, v8 :: v_dual_sub_nc_u32 v10, 30, v10
	s_delay_alu instid0(VALU_DEP_1) | instskip(NEXT) | instid1(VALU_DEP_2)
	v_dual_lshlrev_b32 v5, 24, v5 :: v_dual_bitop2_b32 v8, 3, v8 bitop3:0x40
	v_cndmask_b32_e32 v10, v13, v10, vcc_lo
	s_delay_alu instid0(VALU_DEP_2) | instskip(NEXT) | instid1(VALU_DEP_3)
	v_cndmask_b32_e32 v8, v9, v8, vcc_lo
	v_and_b32_e32 v5, 0x80000000, v5
	s_delay_alu instid0(VALU_DEP_3) | instskip(NEXT) | instid1(VALU_DEP_3)
	v_lshl_add_u32 v9, v10, 23, 0x37800000
	v_lshlrev_b32_e32 v8, 21, v8
	s_delay_alu instid0(VALU_DEP_1) | instskip(NEXT) | instid1(VALU_DEP_1)
	v_or3_b32 v5, v5, v9, v8
	v_trunc_f32_e32 v5, v5
	s_delay_alu instid0(VALU_DEP_1) | instskip(NEXT) | instid1(VALU_DEP_1)
	v_mul_f32_e64 v8, 0x2f800000, |v5|
	v_floor_f32_e32 v9, v8
	v_ashrrev_i32_e32 v8, 31, v5
	s_delay_alu instid0(VALU_DEP_2) | instskip(SKIP_1) | instid1(VALU_DEP_3)
	v_fma_f32 v10, 0xcf800000, v9, |v5|
	v_cvt_u32_f32_e32 v5, v9
	v_mov_b32_e32 v9, v8
	s_delay_alu instid0(VALU_DEP_3) | instskip(NEXT) | instid1(VALU_DEP_3)
	v_cvt_u32_f32_e32 v10, v10
	v_xor_b32_e32 v11, v5, v8
	s_delay_alu instid0(VALU_DEP_2) | instskip(NEXT) | instid1(VALU_DEP_1)
	v_xor_b32_e32 v10, v10, v8
	v_sub_nc_u64_e32 v[20:21], v[10:11], v[8:9]
.LBB94_4388:
	s_or_b32 exec_lo, exec_lo, s1
	s_mov_b32 s1, 0
	s_branch .LBB94_4394
.LBB94_4389:
	s_mov_b32 s1, -1
                                        ; implicit-def: $vgpr20_vgpr21
	s_branch .LBB94_4400
.LBB94_4390:
	s_and_not1_saveexec_b32 s5, s5
	s_cbranch_execz .LBB94_4375
.LBB94_4391:
	v_cmp_ne_u16_e32 vcc_lo, 0, v5
	s_and_not1_b32 s20, s20, exec_lo
	s_and_b32 s21, vcc_lo, exec_lo
	s_delay_alu instid0(SALU_CYCLE_1)
	s_or_b32 s20, s20, s21
	s_or_b32 exec_lo, exec_lo, s5
	v_mov_b64_e32 v[20:21], 0
	s_and_saveexec_b32 s5, s20
	s_cbranch_execnz .LBB94_4376
	s_branch .LBB94_4377
.LBB94_4392:
	s_mov_b32 s1, -1
                                        ; implicit-def: $vgpr20_vgpr21
	s_branch .LBB94_4397
.LBB94_4393:
	s_mov_b32 s1, -1
                                        ; implicit-def: $vgpr20_vgpr21
.LBB94_4394:
	s_delay_alu instid0(SALU_CYCLE_1)
	s_and_b32 vcc_lo, exec_lo, s1
	s_cbranch_vccz .LBB94_4396
; %bb.4395:
	global_load_u8 v5, v[6:7], off
	s_wait_loadcnt 0x0
	v_lshlrev_b32_e32 v5, 24, v5
	s_delay_alu instid0(VALU_DEP_1) | instskip(NEXT) | instid1(VALU_DEP_1)
	v_and_b32_e32 v8, 0x7f000000, v5
	v_clz_i32_u32_e32 v9, v8
	v_cmp_ne_u32_e32 vcc_lo, 0, v8
	v_add_nc_u32_e32 v11, 0x1000000, v8
	s_delay_alu instid0(VALU_DEP_3) | instskip(NEXT) | instid1(VALU_DEP_1)
	v_min_u32_e32 v9, 32, v9
	v_sub_nc_u32_e64 v9, v9, 4 clamp
	s_delay_alu instid0(VALU_DEP_1) | instskip(NEXT) | instid1(VALU_DEP_1)
	v_dual_lshlrev_b32 v10, v9, v8 :: v_dual_lshlrev_b32 v9, 23, v9
	v_lshrrev_b32_e32 v10, 4, v10
	s_delay_alu instid0(VALU_DEP_1) | instskip(NEXT) | instid1(VALU_DEP_1)
	v_dual_sub_nc_u32 v9, v10, v9 :: v_dual_ashrrev_i32 v10, 8, v11
	v_add_nc_u32_e32 v9, 0x3c000000, v9
	s_delay_alu instid0(VALU_DEP_1) | instskip(NEXT) | instid1(VALU_DEP_1)
	v_and_or_b32 v9, 0x7f800000, v10, v9
	v_cndmask_b32_e32 v8, 0, v9, vcc_lo
	s_delay_alu instid0(VALU_DEP_1) | instskip(NEXT) | instid1(VALU_DEP_1)
	v_and_or_b32 v5, 0x80000000, v5, v8
	v_trunc_f32_e32 v5, v5
	s_delay_alu instid0(VALU_DEP_1) | instskip(NEXT) | instid1(VALU_DEP_1)
	v_mul_f32_e64 v8, 0x2f800000, |v5|
	v_floor_f32_e32 v9, v8
	v_ashrrev_i32_e32 v8, 31, v5
	s_delay_alu instid0(VALU_DEP_2) | instskip(SKIP_1) | instid1(VALU_DEP_3)
	v_fma_f32 v10, 0xcf800000, v9, |v5|
	v_cvt_u32_f32_e32 v5, v9
	v_mov_b32_e32 v9, v8
	s_delay_alu instid0(VALU_DEP_3) | instskip(NEXT) | instid1(VALU_DEP_3)
	v_cvt_u32_f32_e32 v10, v10
	v_xor_b32_e32 v11, v5, v8
	s_delay_alu instid0(VALU_DEP_2) | instskip(NEXT) | instid1(VALU_DEP_1)
	v_xor_b32_e32 v10, v10, v8
	v_sub_nc_u64_e32 v[20:21], v[10:11], v[8:9]
.LBB94_4396:
	s_mov_b32 s1, 0
.LBB94_4397:
	s_delay_alu instid0(SALU_CYCLE_1)
	s_and_not1_b32 vcc_lo, exec_lo, s1
	s_cbranch_vccnz .LBB94_4399
; %bb.4398:
	global_load_u8 v5, v[6:7], off
	s_wait_loadcnt 0x0
	v_lshlrev_b32_e32 v8, 25, v5
	v_lshlrev_b16 v5, 8, v5
	s_delay_alu instid0(VALU_DEP_1) | instskip(SKIP_1) | instid1(VALU_DEP_2)
	v_and_or_b32 v10, 0x7f00, v5, 0.5
	v_bfe_i32 v5, v5, 0, 16
	v_dual_add_f32 v10, -0.5, v10 :: v_dual_lshrrev_b32 v9, 4, v8
	v_cmp_gt_u32_e32 vcc_lo, 0x8000000, v8
	s_delay_alu instid0(VALU_DEP_2) | instskip(NEXT) | instid1(VALU_DEP_1)
	v_or_b32_e32 v9, 0x70000000, v9
	v_mul_f32_e32 v9, 0x7800000, v9
	s_delay_alu instid0(VALU_DEP_1) | instskip(NEXT) | instid1(VALU_DEP_1)
	v_cndmask_b32_e32 v8, v9, v10, vcc_lo
	v_and_or_b32 v5, 0x80000000, v5, v8
	s_delay_alu instid0(VALU_DEP_1) | instskip(NEXT) | instid1(VALU_DEP_1)
	v_trunc_f32_e32 v5, v5
	v_mul_f32_e64 v8, 0x2f800000, |v5|
	s_delay_alu instid0(VALU_DEP_1) | instskip(SKIP_1) | instid1(VALU_DEP_2)
	v_floor_f32_e32 v9, v8
	v_ashrrev_i32_e32 v8, 31, v5
	v_fma_f32 v10, 0xcf800000, v9, |v5|
	v_cvt_u32_f32_e32 v5, v9
	s_delay_alu instid0(VALU_DEP_3) | instskip(NEXT) | instid1(VALU_DEP_3)
	v_mov_b32_e32 v9, v8
	v_cvt_u32_f32_e32 v10, v10
	s_delay_alu instid0(VALU_DEP_3) | instskip(NEXT) | instid1(VALU_DEP_2)
	v_xor_b32_e32 v11, v5, v8
	v_xor_b32_e32 v10, v10, v8
	s_delay_alu instid0(VALU_DEP_1)
	v_sub_nc_u64_e32 v[20:21], v[10:11], v[8:9]
.LBB94_4399:
	s_mov_b32 s1, 0
	s_mov_b32 s5, -1
.LBB94_4400:
	s_and_not1_b32 vcc_lo, exec_lo, s1
	s_mov_b32 s1, 0
	s_cbranch_vccnz .LBB94_4411
; %bb.4401:
	s_cmp_gt_i32 s56, 14
	s_cbranch_scc0 .LBB94_4404
; %bb.4402:
	s_cmp_eq_u32 s56, 15
	s_cbranch_scc0 .LBB94_4407
; %bb.4403:
	global_load_u16 v5, v[6:7], off
	s_mov_b32 s0, 0
	s_mov_b32 s5, -1
	s_wait_loadcnt 0x0
	v_lshlrev_b32_e32 v5, 16, v5
	s_delay_alu instid0(VALU_DEP_1) | instskip(NEXT) | instid1(VALU_DEP_1)
	v_trunc_f32_e32 v5, v5
	v_mul_f32_e64 v8, 0x2f800000, |v5|
	s_delay_alu instid0(VALU_DEP_1) | instskip(SKIP_1) | instid1(VALU_DEP_2)
	v_floor_f32_e32 v9, v8
	v_ashrrev_i32_e32 v8, 31, v5
	v_fma_f32 v10, 0xcf800000, v9, |v5|
	v_cvt_u32_f32_e32 v5, v9
	s_delay_alu instid0(VALU_DEP_3) | instskip(NEXT) | instid1(VALU_DEP_3)
	v_mov_b32_e32 v9, v8
	v_cvt_u32_f32_e32 v10, v10
	s_delay_alu instid0(VALU_DEP_3) | instskip(NEXT) | instid1(VALU_DEP_2)
	v_xor_b32_e32 v11, v5, v8
	v_xor_b32_e32 v10, v10, v8
	s_delay_alu instid0(VALU_DEP_1)
	v_sub_nc_u64_e32 v[20:21], v[10:11], v[8:9]
	s_branch .LBB94_4409
.LBB94_4404:
	s_mov_b32 s1, -1
	s_branch .LBB94_4408
.LBB94_4405:
	s_and_not1_saveexec_b32 s1, s1
	s_cbranch_execz .LBB94_4386
.LBB94_4406:
	v_cmp_ne_u16_e32 vcc_lo, 0, v5
	s_and_not1_b32 s5, s5, exec_lo
	s_and_b32 s20, vcc_lo, exec_lo
	s_delay_alu instid0(SALU_CYCLE_1)
	s_or_b32 s5, s5, s20
	s_or_b32 exec_lo, exec_lo, s1
	v_mov_b64_e32 v[20:21], 0
	s_and_saveexec_b32 s1, s5
	s_cbranch_execnz .LBB94_4387
	s_branch .LBB94_4388
.LBB94_4407:
	s_mov_b32 s0, -1
.LBB94_4408:
                                        ; implicit-def: $vgpr20_vgpr21
.LBB94_4409:
	s_and_b32 vcc_lo, exec_lo, s1
	s_mov_b32 s1, 0
	s_cbranch_vccz .LBB94_4411
; %bb.4410:
	s_cmp_lg_u32 s56, 11
	s_mov_b32 s1, -1
	s_cselect_b32 s0, -1, 0
.LBB94_4411:
	s_delay_alu instid0(SALU_CYCLE_1)
	s_and_b32 vcc_lo, exec_lo, s0
	s_mov_b32 s55, s53
	s_cbranch_vccnz .LBB94_4476
; %bb.4412:
	s_and_not1_b32 vcc_lo, exec_lo, s1
	s_cbranch_vccnz .LBB94_4414
.LBB94_4413:
	global_load_u8 v5, v[6:7], off
	s_mov_b32 s0, 0
	s_mov_b32 s5, -1
	s_wait_loadcnt 0x1
	v_mov_b32_e32 v21, s0
	s_wait_loadcnt 0x0
	v_cmp_ne_u16_e32 vcc_lo, 0, v5
	v_cndmask_b32_e64 v20, 0, 1, vcc_lo
.LBB94_4414:
	s_mov_b32 s0, 0
.LBB94_4415:
	s_delay_alu instid0(SALU_CYCLE_1)
	s_and_b32 vcc_lo, exec_lo, s0
	s_cbranch_vccz .LBB94_4464
; %bb.4416:
	s_cmp_lt_i32 s56, 5
	s_cbranch_scc1 .LBB94_4421
; %bb.4417:
	s_cmp_lt_i32 s56, 8
	s_cbranch_scc1 .LBB94_4422
	;; [unrolled: 3-line block ×3, first 2 shown]
; %bb.4419:
	s_cmp_gt_i32 s56, 9
	s_cbranch_scc0 .LBB94_4424
; %bb.4420:
	global_load_b64 v[8:9], v[6:7], off
	s_mov_b32 s0, 0
	s_wait_loadcnt 0x0
	v_trunc_f64_e32 v[8:9], v[8:9]
	s_delay_alu instid0(VALU_DEP_1) | instskip(NEXT) | instid1(VALU_DEP_1)
	v_ldexp_f64 v[10:11], v[8:9], 0xffffffe0
	v_floor_f64_e32 v[10:11], v[10:11]
	s_delay_alu instid0(VALU_DEP_1) | instskip(SKIP_1) | instid1(VALU_DEP_2)
	v_fmamk_f64 v[8:9], v[10:11], 0xc1f00000, v[8:9]
	v_cvt_i32_f64_e32 v21, v[10:11]
	v_cvt_u32_f64_e32 v20, v[8:9]
	s_branch .LBB94_4425
.LBB94_4421:
	s_mov_b32 s0, -1
                                        ; implicit-def: $vgpr20_vgpr21
	s_branch .LBB94_4443
.LBB94_4422:
	s_mov_b32 s0, -1
                                        ; implicit-def: $vgpr20_vgpr21
	s_branch .LBB94_4431
.LBB94_4423:
	s_mov_b32 s0, -1
                                        ; implicit-def: $vgpr20_vgpr21
	s_branch .LBB94_4428
.LBB94_4424:
	s_mov_b32 s0, -1
                                        ; implicit-def: $vgpr20_vgpr21
.LBB94_4425:
	s_delay_alu instid0(SALU_CYCLE_1)
	s_and_not1_b32 vcc_lo, exec_lo, s0
	s_cbranch_vccnz .LBB94_4427
; %bb.4426:
	global_load_b32 v5, v[6:7], off
	s_wait_loadcnt 0x0
	v_trunc_f32_e32 v5, v5
	s_delay_alu instid0(VALU_DEP_1) | instskip(NEXT) | instid1(VALU_DEP_1)
	v_mul_f32_e64 v8, 0x2f800000, |v5|
	v_floor_f32_e32 v9, v8
	v_ashrrev_i32_e32 v8, 31, v5
	s_delay_alu instid0(VALU_DEP_2) | instskip(SKIP_1) | instid1(VALU_DEP_3)
	v_fma_f32 v10, 0xcf800000, v9, |v5|
	v_cvt_u32_f32_e32 v5, v9
	v_mov_b32_e32 v9, v8
	s_delay_alu instid0(VALU_DEP_3) | instskip(NEXT) | instid1(VALU_DEP_3)
	v_cvt_u32_f32_e32 v10, v10
	v_xor_b32_e32 v11, v5, v8
	s_delay_alu instid0(VALU_DEP_2) | instskip(NEXT) | instid1(VALU_DEP_1)
	v_xor_b32_e32 v10, v10, v8
	v_sub_nc_u64_e32 v[20:21], v[10:11], v[8:9]
.LBB94_4427:
	s_mov_b32 s0, 0
.LBB94_4428:
	s_delay_alu instid0(SALU_CYCLE_1)
	s_and_not1_b32 vcc_lo, exec_lo, s0
	s_cbranch_vccnz .LBB94_4430
; %bb.4429:
	global_load_b32 v5, v[6:7], off
	s_wait_loadcnt 0x0
	v_cvt_f32_f16_e32 v5, v5
	s_delay_alu instid0(VALU_DEP_1) | instskip(NEXT) | instid1(VALU_DEP_1)
	v_cvt_i32_f32_e32 v20, v5
	v_ashrrev_i32_e32 v21, 31, v20
.LBB94_4430:
	s_mov_b32 s0, 0
.LBB94_4431:
	s_delay_alu instid0(SALU_CYCLE_1)
	s_and_not1_b32 vcc_lo, exec_lo, s0
	s_cbranch_vccnz .LBB94_4442
; %bb.4432:
	s_cmp_lt_i32 s56, 6
	s_cbranch_scc1 .LBB94_4435
; %bb.4433:
	s_cmp_gt_i32 s56, 6
	s_cbranch_scc0 .LBB94_4436
; %bb.4434:
	global_load_b64 v[8:9], v[6:7], off
	s_mov_b32 s0, 0
	s_wait_loadcnt 0x0
	v_trunc_f64_e32 v[8:9], v[8:9]
	s_delay_alu instid0(VALU_DEP_1) | instskip(NEXT) | instid1(VALU_DEP_1)
	v_ldexp_f64 v[10:11], v[8:9], 0xffffffe0
	v_floor_f64_e32 v[10:11], v[10:11]
	s_delay_alu instid0(VALU_DEP_1) | instskip(SKIP_1) | instid1(VALU_DEP_2)
	v_fmamk_f64 v[8:9], v[10:11], 0xc1f00000, v[8:9]
	v_cvt_i32_f64_e32 v21, v[10:11]
	v_cvt_u32_f64_e32 v20, v[8:9]
	s_branch .LBB94_4437
.LBB94_4435:
	s_mov_b32 s0, -1
                                        ; implicit-def: $vgpr20_vgpr21
	s_branch .LBB94_4440
.LBB94_4436:
	s_mov_b32 s0, -1
                                        ; implicit-def: $vgpr20_vgpr21
.LBB94_4437:
	s_delay_alu instid0(SALU_CYCLE_1)
	s_and_not1_b32 vcc_lo, exec_lo, s0
	s_cbranch_vccnz .LBB94_4439
; %bb.4438:
	global_load_b32 v5, v[6:7], off
	s_wait_loadcnt 0x0
	v_trunc_f32_e32 v5, v5
	s_delay_alu instid0(VALU_DEP_1) | instskip(NEXT) | instid1(VALU_DEP_1)
	v_mul_f32_e64 v8, 0x2f800000, |v5|
	v_floor_f32_e32 v9, v8
	v_ashrrev_i32_e32 v8, 31, v5
	s_delay_alu instid0(VALU_DEP_2) | instskip(SKIP_1) | instid1(VALU_DEP_3)
	v_fma_f32 v10, 0xcf800000, v9, |v5|
	v_cvt_u32_f32_e32 v5, v9
	v_mov_b32_e32 v9, v8
	s_delay_alu instid0(VALU_DEP_3) | instskip(NEXT) | instid1(VALU_DEP_3)
	v_cvt_u32_f32_e32 v10, v10
	v_xor_b32_e32 v11, v5, v8
	s_delay_alu instid0(VALU_DEP_2) | instskip(NEXT) | instid1(VALU_DEP_1)
	v_xor_b32_e32 v10, v10, v8
	v_sub_nc_u64_e32 v[20:21], v[10:11], v[8:9]
.LBB94_4439:
	s_mov_b32 s0, 0
.LBB94_4440:
	s_delay_alu instid0(SALU_CYCLE_1)
	s_and_not1_b32 vcc_lo, exec_lo, s0
	s_cbranch_vccnz .LBB94_4442
; %bb.4441:
	global_load_u16 v5, v[6:7], off
	s_wait_loadcnt 0x0
	v_cvt_f32_f16_e32 v5, v5
	s_delay_alu instid0(VALU_DEP_1) | instskip(NEXT) | instid1(VALU_DEP_1)
	v_cvt_i32_f32_e32 v20, v5
	v_ashrrev_i32_e32 v21, 31, v20
.LBB94_4442:
	s_mov_b32 s0, 0
.LBB94_4443:
	s_delay_alu instid0(SALU_CYCLE_1)
	s_and_not1_b32 vcc_lo, exec_lo, s0
	s_cbranch_vccnz .LBB94_4463
; %bb.4444:
	s_cmp_lt_i32 s56, 2
	s_cbranch_scc1 .LBB94_4448
; %bb.4445:
	s_cmp_lt_i32 s56, 3
	s_cbranch_scc1 .LBB94_4449
; %bb.4446:
	s_cmp_gt_i32 s56, 3
	s_cbranch_scc0 .LBB94_4450
; %bb.4447:
	s_wait_loadcnt 0x0
	global_load_b64 v[20:21], v[6:7], off
	s_mov_b32 s0, 0
	s_branch .LBB94_4451
.LBB94_4448:
	s_mov_b32 s0, -1
                                        ; implicit-def: $vgpr20_vgpr21
	s_branch .LBB94_4457
.LBB94_4449:
	s_mov_b32 s0, -1
                                        ; implicit-def: $vgpr20_vgpr21
	s_branch .LBB94_4454
.LBB94_4450:
	s_mov_b32 s0, -1
                                        ; implicit-def: $vgpr20_vgpr21
.LBB94_4451:
	s_delay_alu instid0(SALU_CYCLE_1)
	s_and_not1_b32 vcc_lo, exec_lo, s0
	s_cbranch_vccnz .LBB94_4453
; %bb.4452:
	s_wait_loadcnt 0x0
	global_load_b32 v20, v[6:7], off
	s_wait_loadcnt 0x0
	v_ashrrev_i32_e32 v21, 31, v20
.LBB94_4453:
	s_mov_b32 s0, 0
.LBB94_4454:
	s_delay_alu instid0(SALU_CYCLE_1)
	s_and_not1_b32 vcc_lo, exec_lo, s0
	s_cbranch_vccnz .LBB94_4456
; %bb.4455:
	global_load_u16 v5, v[6:7], off
	s_wait_loadcnt 0x0
	v_bfe_i32 v20, v5, 0, 16
	s_delay_alu instid0(VALU_DEP_1)
	v_ashrrev_i32_e32 v21, 31, v20
.LBB94_4456:
	s_mov_b32 s0, 0
.LBB94_4457:
	s_delay_alu instid0(SALU_CYCLE_1)
	s_and_not1_b32 vcc_lo, exec_lo, s0
	s_cbranch_vccnz .LBB94_4463
; %bb.4458:
	s_cmp_gt_i32 s56, 0
	s_mov_b32 s0, 0
	s_cbranch_scc0 .LBB94_4460
; %bb.4459:
	global_load_i8 v5, v[6:7], off
	s_wait_loadcnt 0x0
	v_bfe_i32 v20, v5, 0, 16
	s_delay_alu instid0(VALU_DEP_1)
	v_ashrrev_i32_e32 v21, 31, v20
	s_branch .LBB94_4461
.LBB94_4460:
	s_mov_b32 s0, -1
                                        ; implicit-def: $vgpr20_vgpr21
.LBB94_4461:
	s_delay_alu instid0(SALU_CYCLE_1)
	s_and_not1_b32 vcc_lo, exec_lo, s0
	s_cbranch_vccnz .LBB94_4463
; %bb.4462:
	global_load_u8 v5, v[6:7], off
	s_mov_b32 s0, 0
	s_wait_loadcnt 0x1
	v_mov_b32_e32 v21, s0
	s_wait_loadcnt 0x0
	v_and_b32_e32 v20, 0xffff, v5
.LBB94_4463:
	s_mov_b32 s5, -1
.LBB94_4464:
	s_delay_alu instid0(SALU_CYCLE_1)
	s_and_not1_b32 vcc_lo, exec_lo, s5
	s_cbranch_vccnz .LBB94_4984
; %bb.4465:
	s_lshl_b32 s70, s61, 7
	s_cmp_lt_i32 s57, 11
	s_wait_xcnt 0x0
	v_add_nc_u32_e32 v6, s70, v12
	s_delay_alu instid0(VALU_DEP_1) | instskip(NEXT) | instid1(VALU_DEP_1)
	v_ashrrev_i32_e32 v7, 31, v6
	v_add_nc_u64_e32 v[8:9], s[8:9], v[6:7]
	s_cbranch_scc1 .LBB94_4472
; %bb.4466:
	s_cmp_gt_i32 s57, 25
	s_mov_b32 s1, 0
	s_cbranch_scc0 .LBB94_4473
; %bb.4467:
	s_cmp_gt_i32 s57, 28
	s_cbranch_scc0 .LBB94_4474
; %bb.4468:
	s_cmp_gt_i32 s57, 43
	;; [unrolled: 3-line block ×3, first 2 shown]
	s_cbranch_scc0 .LBB94_4477
; %bb.4470:
	s_cmp_eq_u32 s57, 46
	s_mov_b32 s20, 0
	s_cbranch_scc0 .LBB94_4479
; %bb.4471:
	global_load_b32 v5, v[8:9], off
	s_mov_b32 s0, 0
	s_mov_b32 s5, -1
	s_wait_loadcnt 0x0
	v_lshlrev_b32_e32 v5, 16, v5
	s_delay_alu instid0(VALU_DEP_1) | instskip(NEXT) | instid1(VALU_DEP_1)
	v_trunc_f32_e32 v5, v5
	v_mul_f32_e64 v7, 0x2f800000, |v5|
	v_ashrrev_i32_e32 v10, 31, v5
	s_delay_alu instid0(VALU_DEP_2) | instskip(NEXT) | instid1(VALU_DEP_1)
	v_floor_f32_e32 v7, v7
	v_fma_f32 v11, 0xcf800000, v7, |v5|
	v_cvt_u32_f32_e32 v5, v7
	s_delay_alu instid0(VALU_DEP_2) | instskip(NEXT) | instid1(VALU_DEP_2)
	v_cvt_u32_f32_e32 v7, v11
	v_dual_mov_b32 v11, v10 :: v_dual_bitop2_b32 v13, v5, v10 bitop3:0x14
	s_delay_alu instid0(VALU_DEP_2) | instskip(NEXT) | instid1(VALU_DEP_1)
	v_xor_b32_e32 v12, v7, v10
	v_sub_nc_u64_e32 v[22:23], v[12:13], v[10:11]
	s_branch .LBB94_4481
.LBB94_4472:
	s_mov_b32 s0, -1
	s_mov_b32 s5, 0
                                        ; implicit-def: $vgpr22_vgpr23
	s_branch .LBB94_4543
.LBB94_4473:
	s_mov_b32 s20, -1
	s_mov_b32 s5, 0
	s_mov_b32 s0, 0
                                        ; implicit-def: $vgpr22_vgpr23
	s_branch .LBB94_4508
.LBB94_4474:
	s_mov_b32 s20, -1
	s_mov_b32 s5, 0
	s_mov_b32 s0, 0
                                        ; implicit-def: $vgpr22_vgpr23
	s_branch .LBB94_4491
.LBB94_4475:
	s_mov_b32 s20, -1
	s_mov_b32 s5, 0
	s_mov_b32 s0, 0
                                        ; implicit-def: $vgpr22_vgpr23
	s_branch .LBB94_4486
.LBB94_4476:
	s_or_b32 s55, s53, exec_lo
	s_trap 2
	s_cbranch_execz .LBB94_4413
	s_branch .LBB94_4414
.LBB94_4477:
	s_mov_b32 s20, -1
	s_mov_b32 s5, 0
	s_mov_b32 s0, 0
	s_branch .LBB94_4480
.LBB94_4478:
	s_or_b32 s44, s44, exec_lo
	s_trap 2
                                        ; implicit-def: $vgpr8
                                        ; implicit-def: $vgpr12
                                        ; implicit-def: $vgpr22_vgpr23
                                        ; implicit-def: $vgpr14
                                        ; implicit-def: $vgpr4_vgpr5
                                        ; implicit-def: $vgpr16
                                        ; implicit-def: $vgpr6_vgpr7
                                        ; implicit-def: $vgpr18
                                        ; implicit-def: $vgpr24_vgpr25
                                        ; implicit-def: $vgpr0_vgpr1
                                        ; implicit-def: $vgpr2_vgpr3
                                        ; implicit-def: $vgpr26
	s_branch .LBB94_4311
.LBB94_4479:
	s_mov_b32 s0, -1
	s_mov_b32 s5, 0
.LBB94_4480:
                                        ; implicit-def: $vgpr22_vgpr23
.LBB94_4481:
	s_and_b32 vcc_lo, exec_lo, s20
	s_cbranch_vccz .LBB94_4485
; %bb.4482:
	s_cmp_eq_u32 s57, 44
	s_cbranch_scc0 .LBB94_4484
; %bb.4483:
	global_load_u8 v5, v[8:9], off
	s_mov_b32 s0, 0
	s_mov_b32 s5, -1
	s_wait_loadcnt 0x0
	v_lshlrev_b32_e32 v7, 23, v5
	v_cmp_ne_u32_e32 vcc_lo, 0, v5
	s_delay_alu instid0(VALU_DEP_2) | instskip(NEXT) | instid1(VALU_DEP_1)
	v_trunc_f32_e32 v7, v7
	v_mul_f32_e64 v10, 0x2f800000, |v7|
	s_delay_alu instid0(VALU_DEP_1) | instskip(SKIP_1) | instid1(VALU_DEP_2)
	v_floor_f32_e32 v11, v10
	v_ashrrev_i32_e32 v10, 31, v7
	v_fma_f32 v12, 0xcf800000, v11, |v7|
	v_cvt_u32_f32_e32 v7, v11
	s_delay_alu instid0(VALU_DEP_3) | instskip(NEXT) | instid1(VALU_DEP_3)
	v_mov_b32_e32 v11, v10
	v_cvt_u32_f32_e32 v12, v12
	s_delay_alu instid0(VALU_DEP_3) | instskip(NEXT) | instid1(VALU_DEP_2)
	v_xor_b32_e32 v13, v7, v10
	v_xor_b32_e32 v12, v12, v10
	s_delay_alu instid0(VALU_DEP_1) | instskip(NEXT) | instid1(VALU_DEP_1)
	v_sub_nc_u64_e32 v[10:11], v[12:13], v[10:11]
	v_dual_cndmask_b32 v23, 0, v11 :: v_dual_cndmask_b32 v22, 0, v10
	s_branch .LBB94_4485
.LBB94_4484:
	s_mov_b32 s0, -1
                                        ; implicit-def: $vgpr22_vgpr23
.LBB94_4485:
	s_mov_b32 s20, 0
.LBB94_4486:
	s_delay_alu instid0(SALU_CYCLE_1)
	s_and_b32 vcc_lo, exec_lo, s20
	s_cbranch_vccz .LBB94_4490
; %bb.4487:
	s_cmp_eq_u32 s57, 29
	s_cbranch_scc0 .LBB94_4489
; %bb.4488:
	global_load_b64 v[22:23], v[8:9], off
	s_mov_b32 s0, 0
	s_mov_b32 s5, -1
	s_branch .LBB94_4490
.LBB94_4489:
	s_mov_b32 s0, -1
                                        ; implicit-def: $vgpr22_vgpr23
.LBB94_4490:
	s_mov_b32 s20, 0
.LBB94_4491:
	s_delay_alu instid0(SALU_CYCLE_1)
	s_and_b32 vcc_lo, exec_lo, s20
	s_cbranch_vccz .LBB94_4507
; %bb.4492:
	s_cmp_lt_i32 s57, 27
	s_cbranch_scc1 .LBB94_4495
; %bb.4493:
	s_cmp_gt_i32 s57, 27
	s_cbranch_scc0 .LBB94_4496
; %bb.4494:
	s_wait_loadcnt 0x0
	global_load_b32 v22, v[8:9], off
	v_mov_b32_e32 v23, 0
	s_mov_b32 s5, 0
	s_branch .LBB94_4497
.LBB94_4495:
	s_mov_b32 s5, -1
                                        ; implicit-def: $vgpr22_vgpr23
	s_branch .LBB94_4500
.LBB94_4496:
	s_mov_b32 s5, -1
                                        ; implicit-def: $vgpr22_vgpr23
.LBB94_4497:
	s_delay_alu instid0(SALU_CYCLE_1)
	s_and_not1_b32 vcc_lo, exec_lo, s5
	s_cbranch_vccnz .LBB94_4499
; %bb.4498:
	global_load_u16 v5, v[8:9], off
	s_mov_b32 s5, 0
	s_wait_loadcnt 0x1
	v_mov_b32_e32 v23, s5
	s_wait_loadcnt 0x0
	v_and_b32_e32 v22, 0xffff, v5
.LBB94_4499:
	s_mov_b32 s5, 0
.LBB94_4500:
	s_delay_alu instid0(SALU_CYCLE_1)
	s_and_not1_b32 vcc_lo, exec_lo, s5
	s_cbranch_vccnz .LBB94_4506
; %bb.4501:
	global_load_u8 v5, v[8:9], off
	s_mov_b32 s20, 0
	s_mov_b32 s5, exec_lo
	s_wait_loadcnt 0x0
	v_cmpx_lt_i16_e32 0x7f, v5
	s_xor_b32 s5, exec_lo, s5
	s_cbranch_execz .LBB94_4518
; %bb.4502:
	v_cmp_ne_u16_e32 vcc_lo, 0x80, v5
	s_and_b32 s20, vcc_lo, exec_lo
	s_and_not1_saveexec_b32 s5, s5
	s_cbranch_execnz .LBB94_4519
.LBB94_4503:
	s_or_b32 exec_lo, exec_lo, s5
	v_mov_b64_e32 v[22:23], 0
	s_and_saveexec_b32 s5, s20
	s_cbranch_execz .LBB94_4505
.LBB94_4504:
	v_and_b32_e32 v7, 0xffff, v5
	s_delay_alu instid0(VALU_DEP_1) | instskip(SKIP_1) | instid1(VALU_DEP_2)
	v_dual_lshlrev_b32 v5, 24, v5 :: v_dual_bitop2_b32 v10, 7, v7 bitop3:0x40
	v_bfe_u32 v13, v7, 3, 4
	v_and_b32_e32 v5, 0x80000000, v5
	s_delay_alu instid0(VALU_DEP_3) | instskip(NEXT) | instid1(VALU_DEP_3)
	v_clz_i32_u32_e32 v11, v10
	v_cmp_eq_u32_e32 vcc_lo, 0, v13
	s_delay_alu instid0(VALU_DEP_2) | instskip(NEXT) | instid1(VALU_DEP_1)
	v_min_u32_e32 v11, 32, v11
	v_subrev_nc_u32_e32 v12, 28, v11
	v_sub_nc_u32_e32 v11, 29, v11
	s_delay_alu instid0(VALU_DEP_2) | instskip(NEXT) | instid1(VALU_DEP_2)
	v_lshlrev_b32_e32 v7, v12, v7
	v_cndmask_b32_e32 v11, v13, v11, vcc_lo
	s_delay_alu instid0(VALU_DEP_2) | instskip(NEXT) | instid1(VALU_DEP_1)
	v_and_b32_e32 v7, 7, v7
	v_cndmask_b32_e32 v7, v10, v7, vcc_lo
	s_delay_alu instid0(VALU_DEP_3) | instskip(NEXT) | instid1(VALU_DEP_2)
	v_lshl_add_u32 v10, v11, 23, 0x3b800000
	v_lshlrev_b32_e32 v7, 20, v7
	s_delay_alu instid0(VALU_DEP_1) | instskip(NEXT) | instid1(VALU_DEP_1)
	v_or3_b32 v5, v5, v10, v7
	v_trunc_f32_e32 v5, v5
	s_delay_alu instid0(VALU_DEP_1) | instskip(SKIP_1) | instid1(VALU_DEP_2)
	v_mul_f32_e64 v7, 0x2f800000, |v5|
	v_ashrrev_i32_e32 v10, 31, v5
	v_floor_f32_e32 v7, v7
	s_delay_alu instid0(VALU_DEP_1) | instskip(SKIP_1) | instid1(VALU_DEP_2)
	v_fma_f32 v11, 0xcf800000, v7, |v5|
	v_cvt_u32_f32_e32 v5, v7
	v_cvt_u32_f32_e32 v7, v11
	s_delay_alu instid0(VALU_DEP_2) | instskip(NEXT) | instid1(VALU_DEP_2)
	v_dual_mov_b32 v11, v10 :: v_dual_bitop2_b32 v13, v5, v10 bitop3:0x14
	v_xor_b32_e32 v12, v7, v10
	s_delay_alu instid0(VALU_DEP_1)
	v_sub_nc_u64_e32 v[22:23], v[12:13], v[10:11]
.LBB94_4505:
	s_or_b32 exec_lo, exec_lo, s5
.LBB94_4506:
	s_mov_b32 s5, -1
.LBB94_4507:
	s_mov_b32 s20, 0
.LBB94_4508:
	s_delay_alu instid0(SALU_CYCLE_1)
	s_and_b32 vcc_lo, exec_lo, s20
	s_cbranch_vccz .LBB94_4539
; %bb.4509:
	s_cmp_gt_i32 s57, 22
	s_cbranch_scc0 .LBB94_4517
; %bb.4510:
	s_cmp_lt_i32 s57, 24
	s_cbranch_scc1 .LBB94_4520
; %bb.4511:
	s_cmp_gt_i32 s57, 24
	s_cbranch_scc0 .LBB94_4521
; %bb.4512:
	global_load_u8 v5, v[8:9], off
	s_mov_b32 s5, 0
	s_mov_b32 s1, exec_lo
	s_wait_loadcnt 0x0
	v_cmpx_lt_i16_e32 0x7f, v5
	s_xor_b32 s1, exec_lo, s1
	s_cbranch_execz .LBB94_4533
; %bb.4513:
	v_cmp_ne_u16_e32 vcc_lo, 0x80, v5
	s_and_b32 s5, vcc_lo, exec_lo
	s_and_not1_saveexec_b32 s1, s1
	s_cbranch_execnz .LBB94_4534
.LBB94_4514:
	s_or_b32 exec_lo, exec_lo, s1
	v_mov_b64_e32 v[22:23], 0
	s_and_saveexec_b32 s1, s5
	s_cbranch_execz .LBB94_4516
.LBB94_4515:
	v_and_b32_e32 v7, 0xffff, v5
	s_delay_alu instid0(VALU_DEP_1) | instskip(SKIP_1) | instid1(VALU_DEP_2)
	v_dual_lshlrev_b32 v5, 24, v5 :: v_dual_bitop2_b32 v10, 3, v7 bitop3:0x40
	v_bfe_u32 v13, v7, 2, 5
	v_and_b32_e32 v5, 0x80000000, v5
	s_delay_alu instid0(VALU_DEP_3) | instskip(NEXT) | instid1(VALU_DEP_3)
	v_clz_i32_u32_e32 v11, v10
	v_cmp_eq_u32_e32 vcc_lo, 0, v13
	s_delay_alu instid0(VALU_DEP_2) | instskip(NEXT) | instid1(VALU_DEP_1)
	v_min_u32_e32 v11, 32, v11
	v_subrev_nc_u32_e32 v12, 29, v11
	v_sub_nc_u32_e32 v11, 30, v11
	s_delay_alu instid0(VALU_DEP_2) | instskip(NEXT) | instid1(VALU_DEP_2)
	v_lshlrev_b32_e32 v7, v12, v7
	v_cndmask_b32_e32 v11, v13, v11, vcc_lo
	s_delay_alu instid0(VALU_DEP_2) | instskip(NEXT) | instid1(VALU_DEP_1)
	v_and_b32_e32 v7, 3, v7
	v_cndmask_b32_e32 v7, v10, v7, vcc_lo
	s_delay_alu instid0(VALU_DEP_3) | instskip(NEXT) | instid1(VALU_DEP_2)
	v_lshl_add_u32 v10, v11, 23, 0x37800000
	v_lshlrev_b32_e32 v7, 21, v7
	s_delay_alu instid0(VALU_DEP_1) | instskip(NEXT) | instid1(VALU_DEP_1)
	v_or3_b32 v5, v5, v10, v7
	v_trunc_f32_e32 v5, v5
	s_delay_alu instid0(VALU_DEP_1) | instskip(SKIP_1) | instid1(VALU_DEP_2)
	v_mul_f32_e64 v7, 0x2f800000, |v5|
	v_ashrrev_i32_e32 v10, 31, v5
	v_floor_f32_e32 v7, v7
	s_delay_alu instid0(VALU_DEP_1) | instskip(SKIP_1) | instid1(VALU_DEP_2)
	v_fma_f32 v11, 0xcf800000, v7, |v5|
	v_cvt_u32_f32_e32 v5, v7
	v_cvt_u32_f32_e32 v7, v11
	s_delay_alu instid0(VALU_DEP_2) | instskip(NEXT) | instid1(VALU_DEP_2)
	v_dual_mov_b32 v11, v10 :: v_dual_bitop2_b32 v13, v5, v10 bitop3:0x14
	v_xor_b32_e32 v12, v7, v10
	s_delay_alu instid0(VALU_DEP_1)
	v_sub_nc_u64_e32 v[22:23], v[12:13], v[10:11]
.LBB94_4516:
	s_or_b32 exec_lo, exec_lo, s1
	s_mov_b32 s1, 0
	s_branch .LBB94_4522
.LBB94_4517:
	s_mov_b32 s1, -1
                                        ; implicit-def: $vgpr22_vgpr23
	s_branch .LBB94_4528
.LBB94_4518:
	s_and_not1_saveexec_b32 s5, s5
	s_cbranch_execz .LBB94_4503
.LBB94_4519:
	v_cmp_ne_u16_e32 vcc_lo, 0, v5
	s_and_not1_b32 s20, s20, exec_lo
	s_and_b32 s21, vcc_lo, exec_lo
	s_delay_alu instid0(SALU_CYCLE_1)
	s_or_b32 s20, s20, s21
	s_or_b32 exec_lo, exec_lo, s5
	v_mov_b64_e32 v[22:23], 0
	s_and_saveexec_b32 s5, s20
	s_cbranch_execnz .LBB94_4504
	s_branch .LBB94_4505
.LBB94_4520:
	s_mov_b32 s1, -1
                                        ; implicit-def: $vgpr22_vgpr23
	s_branch .LBB94_4525
.LBB94_4521:
	s_mov_b32 s1, -1
                                        ; implicit-def: $vgpr22_vgpr23
.LBB94_4522:
	s_delay_alu instid0(SALU_CYCLE_1)
	s_and_b32 vcc_lo, exec_lo, s1
	s_cbranch_vccz .LBB94_4524
; %bb.4523:
	global_load_u8 v5, v[8:9], off
	s_wait_loadcnt 0x0
	v_lshlrev_b32_e32 v5, 24, v5
	s_delay_alu instid0(VALU_DEP_1) | instskip(NEXT) | instid1(VALU_DEP_1)
	v_and_b32_e32 v7, 0x7f000000, v5
	v_clz_i32_u32_e32 v10, v7
	v_cmp_ne_u32_e32 vcc_lo, 0, v7
	v_add_nc_u32_e32 v12, 0x1000000, v7
	s_delay_alu instid0(VALU_DEP_3) | instskip(NEXT) | instid1(VALU_DEP_1)
	v_min_u32_e32 v10, 32, v10
	v_sub_nc_u32_e64 v10, v10, 4 clamp
	s_delay_alu instid0(VALU_DEP_1) | instskip(NEXT) | instid1(VALU_DEP_1)
	v_dual_lshlrev_b32 v11, v10, v7 :: v_dual_lshlrev_b32 v10, 23, v10
	v_lshrrev_b32_e32 v11, 4, v11
	s_delay_alu instid0(VALU_DEP_1) | instskip(NEXT) | instid1(VALU_DEP_1)
	v_dual_sub_nc_u32 v10, v11, v10 :: v_dual_ashrrev_i32 v11, 8, v12
	v_add_nc_u32_e32 v10, 0x3c000000, v10
	s_delay_alu instid0(VALU_DEP_1) | instskip(NEXT) | instid1(VALU_DEP_1)
	v_and_or_b32 v10, 0x7f800000, v11, v10
	v_cndmask_b32_e32 v7, 0, v10, vcc_lo
	s_delay_alu instid0(VALU_DEP_1) | instskip(NEXT) | instid1(VALU_DEP_1)
	v_and_or_b32 v5, 0x80000000, v5, v7
	v_trunc_f32_e32 v5, v5
	s_delay_alu instid0(VALU_DEP_1) | instskip(SKIP_1) | instid1(VALU_DEP_2)
	v_mul_f32_e64 v7, 0x2f800000, |v5|
	v_ashrrev_i32_e32 v10, 31, v5
	v_floor_f32_e32 v7, v7
	s_delay_alu instid0(VALU_DEP_1) | instskip(SKIP_1) | instid1(VALU_DEP_2)
	v_fma_f32 v11, 0xcf800000, v7, |v5|
	v_cvt_u32_f32_e32 v5, v7
	v_cvt_u32_f32_e32 v7, v11
	s_delay_alu instid0(VALU_DEP_2) | instskip(NEXT) | instid1(VALU_DEP_2)
	v_dual_mov_b32 v11, v10 :: v_dual_bitop2_b32 v13, v5, v10 bitop3:0x14
	v_xor_b32_e32 v12, v7, v10
	s_delay_alu instid0(VALU_DEP_1)
	v_sub_nc_u64_e32 v[22:23], v[12:13], v[10:11]
.LBB94_4524:
	s_mov_b32 s1, 0
.LBB94_4525:
	s_delay_alu instid0(SALU_CYCLE_1)
	s_and_not1_b32 vcc_lo, exec_lo, s1
	s_cbranch_vccnz .LBB94_4527
; %bb.4526:
	global_load_u8 v5, v[8:9], off
	s_wait_loadcnt 0x0
	v_lshlrev_b32_e32 v7, 25, v5
	v_lshlrev_b16 v5, 8, v5
	s_delay_alu instid0(VALU_DEP_1) | instskip(SKIP_1) | instid1(VALU_DEP_2)
	v_and_or_b32 v11, 0x7f00, v5, 0.5
	v_bfe_i32 v5, v5, 0, 16
	v_add_f32_e32 v11, -0.5, v11
	v_lshrrev_b32_e32 v10, 4, v7
	v_cmp_gt_u32_e32 vcc_lo, 0x8000000, v7
	s_delay_alu instid0(VALU_DEP_2) | instskip(NEXT) | instid1(VALU_DEP_1)
	v_or_b32_e32 v10, 0x70000000, v10
	v_mul_f32_e32 v10, 0x7800000, v10
	s_delay_alu instid0(VALU_DEP_1) | instskip(NEXT) | instid1(VALU_DEP_1)
	v_cndmask_b32_e32 v7, v10, v11, vcc_lo
	v_and_or_b32 v5, 0x80000000, v5, v7
	s_delay_alu instid0(VALU_DEP_1) | instskip(NEXT) | instid1(VALU_DEP_1)
	v_trunc_f32_e32 v5, v5
	v_mul_f32_e64 v7, 0x2f800000, |v5|
	v_ashrrev_i32_e32 v10, 31, v5
	s_delay_alu instid0(VALU_DEP_2) | instskip(NEXT) | instid1(VALU_DEP_1)
	v_floor_f32_e32 v7, v7
	v_fma_f32 v11, 0xcf800000, v7, |v5|
	v_cvt_u32_f32_e32 v5, v7
	s_delay_alu instid0(VALU_DEP_2) | instskip(NEXT) | instid1(VALU_DEP_2)
	v_cvt_u32_f32_e32 v7, v11
	v_dual_mov_b32 v11, v10 :: v_dual_bitop2_b32 v13, v5, v10 bitop3:0x14
	s_delay_alu instid0(VALU_DEP_2) | instskip(NEXT) | instid1(VALU_DEP_1)
	v_xor_b32_e32 v12, v7, v10
	v_sub_nc_u64_e32 v[22:23], v[12:13], v[10:11]
.LBB94_4527:
	s_mov_b32 s1, 0
	s_mov_b32 s5, -1
.LBB94_4528:
	s_and_not1_b32 vcc_lo, exec_lo, s1
	s_mov_b32 s1, 0
	s_cbranch_vccnz .LBB94_4539
; %bb.4529:
	s_cmp_gt_i32 s57, 14
	s_cbranch_scc0 .LBB94_4532
; %bb.4530:
	s_cmp_eq_u32 s57, 15
	s_cbranch_scc0 .LBB94_4535
; %bb.4531:
	global_load_u16 v5, v[8:9], off
	s_mov_b32 s0, 0
	s_mov_b32 s5, -1
	s_wait_loadcnt 0x0
	v_lshlrev_b32_e32 v5, 16, v5
	s_delay_alu instid0(VALU_DEP_1) | instskip(NEXT) | instid1(VALU_DEP_1)
	v_trunc_f32_e32 v5, v5
	v_mul_f32_e64 v7, 0x2f800000, |v5|
	v_ashrrev_i32_e32 v10, 31, v5
	s_delay_alu instid0(VALU_DEP_2) | instskip(NEXT) | instid1(VALU_DEP_1)
	v_floor_f32_e32 v7, v7
	v_fma_f32 v11, 0xcf800000, v7, |v5|
	v_cvt_u32_f32_e32 v5, v7
	s_delay_alu instid0(VALU_DEP_2) | instskip(NEXT) | instid1(VALU_DEP_2)
	v_cvt_u32_f32_e32 v7, v11
	v_dual_mov_b32 v11, v10 :: v_dual_bitop2_b32 v13, v5, v10 bitop3:0x14
	s_delay_alu instid0(VALU_DEP_2) | instskip(NEXT) | instid1(VALU_DEP_1)
	v_xor_b32_e32 v12, v7, v10
	v_sub_nc_u64_e32 v[22:23], v[12:13], v[10:11]
	s_branch .LBB94_4537
.LBB94_4532:
	s_mov_b32 s1, -1
	s_branch .LBB94_4536
.LBB94_4533:
	s_and_not1_saveexec_b32 s1, s1
	s_cbranch_execz .LBB94_4514
.LBB94_4534:
	v_cmp_ne_u16_e32 vcc_lo, 0, v5
	s_and_not1_b32 s5, s5, exec_lo
	s_and_b32 s20, vcc_lo, exec_lo
	s_delay_alu instid0(SALU_CYCLE_1)
	s_or_b32 s5, s5, s20
	s_or_b32 exec_lo, exec_lo, s1
	v_mov_b64_e32 v[22:23], 0
	s_and_saveexec_b32 s1, s5
	s_cbranch_execnz .LBB94_4515
	s_branch .LBB94_4516
.LBB94_4535:
	s_mov_b32 s0, -1
.LBB94_4536:
                                        ; implicit-def: $vgpr22_vgpr23
.LBB94_4537:
	s_and_b32 vcc_lo, exec_lo, s1
	s_mov_b32 s1, 0
	s_cbranch_vccz .LBB94_4539
; %bb.4538:
	s_cmp_lg_u32 s57, 11
	s_mov_b32 s1, -1
	s_cselect_b32 s0, -1, 0
.LBB94_4539:
	s_delay_alu instid0(SALU_CYCLE_1)
	s_and_b32 vcc_lo, exec_lo, s0
	s_cbranch_vccnz .LBB94_4604
; %bb.4540:
	s_and_not1_b32 vcc_lo, exec_lo, s1
	s_cbranch_vccnz .LBB94_4542
.LBB94_4541:
	global_load_u8 v5, v[8:9], off
	s_mov_b32 s0, 0
	s_mov_b32 s5, -1
	s_wait_loadcnt 0x1
	v_mov_b32_e32 v23, s0
	s_wait_loadcnt 0x0
	v_cmp_ne_u16_e32 vcc_lo, 0, v5
	v_cndmask_b32_e64 v22, 0, 1, vcc_lo
.LBB94_4542:
	s_mov_b32 s0, 0
.LBB94_4543:
	s_delay_alu instid0(SALU_CYCLE_1)
	s_and_b32 vcc_lo, exec_lo, s0
	s_cbranch_vccz .LBB94_4592
; %bb.4544:
	s_cmp_lt_i32 s57, 5
	s_cbranch_scc1 .LBB94_4549
; %bb.4545:
	s_cmp_lt_i32 s57, 8
	s_cbranch_scc1 .LBB94_4550
	;; [unrolled: 3-line block ×3, first 2 shown]
; %bb.4547:
	s_cmp_gt_i32 s57, 9
	s_cbranch_scc0 .LBB94_4552
; %bb.4548:
	global_load_b64 v[10:11], v[8:9], off
	s_mov_b32 s0, 0
	s_wait_loadcnt 0x0
	v_trunc_f64_e32 v[10:11], v[10:11]
	s_delay_alu instid0(VALU_DEP_1) | instskip(NEXT) | instid1(VALU_DEP_1)
	v_ldexp_f64 v[12:13], v[10:11], 0xffffffe0
	v_floor_f64_e32 v[12:13], v[12:13]
	s_delay_alu instid0(VALU_DEP_1) | instskip(SKIP_1) | instid1(VALU_DEP_2)
	v_fmamk_f64 v[10:11], v[12:13], 0xc1f00000, v[10:11]
	v_cvt_i32_f64_e32 v23, v[12:13]
	v_cvt_u32_f64_e32 v22, v[10:11]
	s_branch .LBB94_4553
.LBB94_4549:
	s_mov_b32 s0, -1
                                        ; implicit-def: $vgpr22_vgpr23
	s_branch .LBB94_4571
.LBB94_4550:
	s_mov_b32 s0, -1
                                        ; implicit-def: $vgpr22_vgpr23
	s_branch .LBB94_4559
.LBB94_4551:
	s_mov_b32 s0, -1
                                        ; implicit-def: $vgpr22_vgpr23
	s_branch .LBB94_4556
.LBB94_4552:
	s_mov_b32 s0, -1
                                        ; implicit-def: $vgpr22_vgpr23
.LBB94_4553:
	s_delay_alu instid0(SALU_CYCLE_1)
	s_and_not1_b32 vcc_lo, exec_lo, s0
	s_cbranch_vccnz .LBB94_4555
; %bb.4554:
	global_load_b32 v5, v[8:9], off
	s_wait_loadcnt 0x0
	v_trunc_f32_e32 v5, v5
	s_delay_alu instid0(VALU_DEP_1) | instskip(SKIP_1) | instid1(VALU_DEP_2)
	v_mul_f32_e64 v7, 0x2f800000, |v5|
	v_ashrrev_i32_e32 v10, 31, v5
	v_floor_f32_e32 v7, v7
	s_delay_alu instid0(VALU_DEP_1) | instskip(SKIP_1) | instid1(VALU_DEP_2)
	v_fma_f32 v11, 0xcf800000, v7, |v5|
	v_cvt_u32_f32_e32 v5, v7
	v_cvt_u32_f32_e32 v7, v11
	s_delay_alu instid0(VALU_DEP_2) | instskip(NEXT) | instid1(VALU_DEP_2)
	v_dual_mov_b32 v11, v10 :: v_dual_bitop2_b32 v13, v5, v10 bitop3:0x14
	v_xor_b32_e32 v12, v7, v10
	s_delay_alu instid0(VALU_DEP_1)
	v_sub_nc_u64_e32 v[22:23], v[12:13], v[10:11]
.LBB94_4555:
	s_mov_b32 s0, 0
.LBB94_4556:
	s_delay_alu instid0(SALU_CYCLE_1)
	s_and_not1_b32 vcc_lo, exec_lo, s0
	s_cbranch_vccnz .LBB94_4558
; %bb.4557:
	global_load_b32 v5, v[8:9], off
	s_wait_loadcnt 0x0
	v_cvt_f32_f16_e32 v5, v5
	s_delay_alu instid0(VALU_DEP_1) | instskip(NEXT) | instid1(VALU_DEP_1)
	v_cvt_i32_f32_e32 v22, v5
	v_ashrrev_i32_e32 v23, 31, v22
.LBB94_4558:
	s_mov_b32 s0, 0
.LBB94_4559:
	s_delay_alu instid0(SALU_CYCLE_1)
	s_and_not1_b32 vcc_lo, exec_lo, s0
	s_cbranch_vccnz .LBB94_4570
; %bb.4560:
	s_cmp_lt_i32 s57, 6
	s_cbranch_scc1 .LBB94_4563
; %bb.4561:
	s_cmp_gt_i32 s57, 6
	s_cbranch_scc0 .LBB94_4564
; %bb.4562:
	global_load_b64 v[10:11], v[8:9], off
	s_mov_b32 s0, 0
	s_wait_loadcnt 0x0
	v_trunc_f64_e32 v[10:11], v[10:11]
	s_delay_alu instid0(VALU_DEP_1) | instskip(NEXT) | instid1(VALU_DEP_1)
	v_ldexp_f64 v[12:13], v[10:11], 0xffffffe0
	v_floor_f64_e32 v[12:13], v[12:13]
	s_delay_alu instid0(VALU_DEP_1) | instskip(SKIP_1) | instid1(VALU_DEP_2)
	v_fmamk_f64 v[10:11], v[12:13], 0xc1f00000, v[10:11]
	v_cvt_i32_f64_e32 v23, v[12:13]
	v_cvt_u32_f64_e32 v22, v[10:11]
	s_branch .LBB94_4565
.LBB94_4563:
	s_mov_b32 s0, -1
                                        ; implicit-def: $vgpr22_vgpr23
	s_branch .LBB94_4568
.LBB94_4564:
	s_mov_b32 s0, -1
                                        ; implicit-def: $vgpr22_vgpr23
.LBB94_4565:
	s_delay_alu instid0(SALU_CYCLE_1)
	s_and_not1_b32 vcc_lo, exec_lo, s0
	s_cbranch_vccnz .LBB94_4567
; %bb.4566:
	global_load_b32 v5, v[8:9], off
	s_wait_loadcnt 0x0
	v_trunc_f32_e32 v5, v5
	s_delay_alu instid0(VALU_DEP_1) | instskip(SKIP_1) | instid1(VALU_DEP_2)
	v_mul_f32_e64 v7, 0x2f800000, |v5|
	v_ashrrev_i32_e32 v10, 31, v5
	v_floor_f32_e32 v7, v7
	s_delay_alu instid0(VALU_DEP_1) | instskip(SKIP_1) | instid1(VALU_DEP_2)
	v_fma_f32 v11, 0xcf800000, v7, |v5|
	v_cvt_u32_f32_e32 v5, v7
	v_cvt_u32_f32_e32 v7, v11
	s_delay_alu instid0(VALU_DEP_2) | instskip(NEXT) | instid1(VALU_DEP_2)
	v_dual_mov_b32 v11, v10 :: v_dual_bitop2_b32 v13, v5, v10 bitop3:0x14
	v_xor_b32_e32 v12, v7, v10
	s_delay_alu instid0(VALU_DEP_1)
	v_sub_nc_u64_e32 v[22:23], v[12:13], v[10:11]
.LBB94_4567:
	s_mov_b32 s0, 0
.LBB94_4568:
	s_delay_alu instid0(SALU_CYCLE_1)
	s_and_not1_b32 vcc_lo, exec_lo, s0
	s_cbranch_vccnz .LBB94_4570
; %bb.4569:
	global_load_u16 v5, v[8:9], off
	s_wait_loadcnt 0x0
	v_cvt_f32_f16_e32 v5, v5
	s_delay_alu instid0(VALU_DEP_1) | instskip(NEXT) | instid1(VALU_DEP_1)
	v_cvt_i32_f32_e32 v22, v5
	v_ashrrev_i32_e32 v23, 31, v22
.LBB94_4570:
	s_mov_b32 s0, 0
.LBB94_4571:
	s_delay_alu instid0(SALU_CYCLE_1)
	s_and_not1_b32 vcc_lo, exec_lo, s0
	s_cbranch_vccnz .LBB94_4591
; %bb.4572:
	s_cmp_lt_i32 s57, 2
	s_cbranch_scc1 .LBB94_4576
; %bb.4573:
	s_cmp_lt_i32 s57, 3
	s_cbranch_scc1 .LBB94_4577
; %bb.4574:
	s_cmp_gt_i32 s57, 3
	s_cbranch_scc0 .LBB94_4578
; %bb.4575:
	s_wait_loadcnt 0x0
	global_load_b64 v[22:23], v[8:9], off
	s_mov_b32 s0, 0
	s_branch .LBB94_4579
.LBB94_4576:
	s_mov_b32 s0, -1
                                        ; implicit-def: $vgpr22_vgpr23
	s_branch .LBB94_4585
.LBB94_4577:
	s_mov_b32 s0, -1
                                        ; implicit-def: $vgpr22_vgpr23
	s_branch .LBB94_4582
.LBB94_4578:
	s_mov_b32 s0, -1
                                        ; implicit-def: $vgpr22_vgpr23
.LBB94_4579:
	s_delay_alu instid0(SALU_CYCLE_1)
	s_and_not1_b32 vcc_lo, exec_lo, s0
	s_cbranch_vccnz .LBB94_4581
; %bb.4580:
	s_wait_loadcnt 0x0
	global_load_b32 v22, v[8:9], off
	s_wait_loadcnt 0x0
	v_ashrrev_i32_e32 v23, 31, v22
.LBB94_4581:
	s_mov_b32 s0, 0
.LBB94_4582:
	s_delay_alu instid0(SALU_CYCLE_1)
	s_and_not1_b32 vcc_lo, exec_lo, s0
	s_cbranch_vccnz .LBB94_4584
; %bb.4583:
	global_load_u16 v5, v[8:9], off
	s_wait_loadcnt 0x0
	v_bfe_i32 v22, v5, 0, 16
	s_delay_alu instid0(VALU_DEP_1)
	v_ashrrev_i32_e32 v23, 31, v22
.LBB94_4584:
	s_mov_b32 s0, 0
.LBB94_4585:
	s_delay_alu instid0(SALU_CYCLE_1)
	s_and_not1_b32 vcc_lo, exec_lo, s0
	s_cbranch_vccnz .LBB94_4591
; %bb.4586:
	s_cmp_gt_i32 s57, 0
	s_mov_b32 s0, 0
	s_cbranch_scc0 .LBB94_4588
; %bb.4587:
	global_load_i8 v5, v[8:9], off
	s_wait_loadcnt 0x0
	v_bfe_i32 v22, v5, 0, 16
	s_delay_alu instid0(VALU_DEP_1)
	v_ashrrev_i32_e32 v23, 31, v22
	s_branch .LBB94_4589
.LBB94_4588:
	s_mov_b32 s0, -1
                                        ; implicit-def: $vgpr22_vgpr23
.LBB94_4589:
	s_delay_alu instid0(SALU_CYCLE_1)
	s_and_not1_b32 vcc_lo, exec_lo, s0
	s_cbranch_vccnz .LBB94_4591
; %bb.4590:
	global_load_u8 v5, v[8:9], off
	s_mov_b32 s0, 0
	s_wait_loadcnt 0x1
	v_mov_b32_e32 v23, s0
	s_wait_loadcnt 0x0
	v_and_b32_e32 v22, 0xffff, v5
.LBB94_4591:
	s_mov_b32 s5, -1
.LBB94_4592:
	s_delay_alu instid0(SALU_CYCLE_1)
	s_and_not1_b32 vcc_lo, exec_lo, s5
	s_cbranch_vccnz .LBB94_4984
; %bb.4593:
	s_wait_xcnt 0x0
	v_add_nc_u32_e32 v8, s62, v14
	s_cmp_lt_i32 s58, 11
	s_delay_alu instid0(VALU_DEP_1) | instskip(NEXT) | instid1(VALU_DEP_1)
	v_ashrrev_i32_e32 v9, 31, v8
	v_add_nc_u64_e32 v[10:11], s[10:11], v[8:9]
	s_cbranch_scc1 .LBB94_4600
; %bb.4594:
	s_cmp_gt_i32 s58, 25
	s_mov_b32 s1, 0
	s_cbranch_scc0 .LBB94_4601
; %bb.4595:
	s_cmp_gt_i32 s58, 28
	s_cbranch_scc0 .LBB94_4602
; %bb.4596:
	s_cmp_gt_i32 s58, 43
	;; [unrolled: 3-line block ×3, first 2 shown]
	s_cbranch_scc0 .LBB94_4605
; %bb.4598:
	s_cmp_eq_u32 s58, 46
	s_mov_b32 s20, 0
	s_cbranch_scc0 .LBB94_4607
; %bb.4599:
	global_load_b32 v5, v[10:11], off
	s_mov_b32 s0, 0
	s_mov_b32 s5, -1
	s_wait_loadcnt 0x0
	v_lshlrev_b32_e32 v5, 16, v5
	s_delay_alu instid0(VALU_DEP_1) | instskip(NEXT) | instid1(VALU_DEP_1)
	v_trunc_f32_e32 v5, v5
	v_mul_f32_e64 v7, 0x2f800000, |v5|
	v_ashrrev_i32_e32 v12, 31, v5
	s_delay_alu instid0(VALU_DEP_2) | instskip(NEXT) | instid1(VALU_DEP_2)
	v_floor_f32_e32 v7, v7
	v_mov_b32_e32 v13, v12
	s_delay_alu instid0(VALU_DEP_2) | instskip(SKIP_1) | instid1(VALU_DEP_2)
	v_fma_f32 v9, 0xcf800000, v7, |v5|
	v_cvt_u32_f32_e32 v5, v7
	v_cvt_u32_f32_e32 v7, v9
	s_delay_alu instid0(VALU_DEP_2) | instskip(NEXT) | instid1(VALU_DEP_2)
	v_xor_b32_e32 v15, v5, v12
	v_xor_b32_e32 v14, v7, v12
	s_delay_alu instid0(VALU_DEP_1)
	v_sub_nc_u64_e32 v[14:15], v[14:15], v[12:13]
	s_branch .LBB94_4609
.LBB94_4600:
	s_mov_b32 s0, -1
	s_mov_b32 s5, 0
                                        ; implicit-def: $vgpr14_vgpr15
	s_branch .LBB94_4671
.LBB94_4601:
	s_mov_b32 s20, -1
	s_mov_b32 s5, 0
	s_mov_b32 s0, 0
                                        ; implicit-def: $vgpr14_vgpr15
	s_branch .LBB94_4636
.LBB94_4602:
	s_mov_b32 s20, -1
	s_mov_b32 s5, 0
	s_mov_b32 s0, 0
                                        ; implicit-def: $vgpr14_vgpr15
	s_branch .LBB94_4619
.LBB94_4603:
	s_mov_b32 s20, -1
	s_mov_b32 s5, 0
	s_mov_b32 s0, 0
                                        ; implicit-def: $vgpr14_vgpr15
	s_branch .LBB94_4614
.LBB94_4604:
	s_or_b32 s55, s55, exec_lo
	s_trap 2
	s_cbranch_execz .LBB94_4541
	s_branch .LBB94_4542
.LBB94_4605:
	s_mov_b32 s20, -1
	s_mov_b32 s5, 0
	s_mov_b32 s0, 0
	s_branch .LBB94_4608
.LBB94_4606:
	s_or_b32 s49, s44, exec_lo
	s_trap 2
                                        ; implicit-def: $vgpr8
                                        ; implicit-def: $vgpr12
                                        ; implicit-def: $vgpr14
                                        ; implicit-def: $vgpr4_vgpr5
                                        ; implicit-def: $vgpr16
                                        ; implicit-def: $vgpr6_vgpr7
                                        ; implicit-def: $vgpr18
                                        ; implicit-def: $vgpr24_vgpr25
                                        ; implicit-def: $vgpr0_vgpr1
                                        ; implicit-def: $vgpr2_vgpr3
                                        ; implicit-def: $vgpr26
	s_or_saveexec_b32 s50, s0
                                        ; implicit-def: $vgpr20_vgpr21
                                        ; implicit-def: $sgpr0
	s_delay_alu instid0(SALU_CYCLE_1)
	s_xor_b32 exec_lo, exec_lo, s50
	s_cbranch_execz .LBB94_4988
	s_branch .LBB94_4314
.LBB94_4607:
	s_mov_b32 s0, -1
	s_mov_b32 s5, 0
.LBB94_4608:
                                        ; implicit-def: $vgpr14_vgpr15
.LBB94_4609:
	s_and_b32 vcc_lo, exec_lo, s20
	s_cbranch_vccz .LBB94_4613
; %bb.4610:
	s_cmp_eq_u32 s58, 44
	s_cbranch_scc0 .LBB94_4612
; %bb.4611:
	global_load_u8 v5, v[10:11], off
	s_mov_b32 s0, 0
	s_mov_b32 s5, -1
	s_wait_loadcnt 0x0
	v_lshlrev_b32_e32 v7, 23, v5
	v_cmp_ne_u32_e32 vcc_lo, 0, v5
	s_delay_alu instid0(VALU_DEP_2) | instskip(NEXT) | instid1(VALU_DEP_1)
	v_trunc_f32_e32 v7, v7
	v_mul_f32_e64 v9, 0x2f800000, |v7|
	v_ashrrev_i32_e32 v12, 31, v7
	s_delay_alu instid0(VALU_DEP_2) | instskip(NEXT) | instid1(VALU_DEP_1)
	v_floor_f32_e32 v9, v9
	v_fma_f32 v13, 0xcf800000, v9, |v7|
	v_cvt_u32_f32_e32 v7, v9
	s_delay_alu instid0(VALU_DEP_2) | instskip(NEXT) | instid1(VALU_DEP_2)
	v_cvt_u32_f32_e32 v9, v13
	v_dual_mov_b32 v13, v12 :: v_dual_bitop2_b32 v15, v7, v12 bitop3:0x14
	s_delay_alu instid0(VALU_DEP_2) | instskip(NEXT) | instid1(VALU_DEP_1)
	v_xor_b32_e32 v14, v9, v12
	v_sub_nc_u64_e32 v[12:13], v[14:15], v[12:13]
	s_delay_alu instid0(VALU_DEP_1)
	v_dual_cndmask_b32 v15, 0, v13 :: v_dual_cndmask_b32 v14, 0, v12
	s_branch .LBB94_4613
.LBB94_4612:
	s_mov_b32 s0, -1
                                        ; implicit-def: $vgpr14_vgpr15
.LBB94_4613:
	s_mov_b32 s20, 0
.LBB94_4614:
	s_delay_alu instid0(SALU_CYCLE_1)
	s_and_b32 vcc_lo, exec_lo, s20
	s_cbranch_vccz .LBB94_4618
; %bb.4615:
	s_cmp_eq_u32 s58, 29
	s_cbranch_scc0 .LBB94_4617
; %bb.4616:
	global_load_b64 v[14:15], v[10:11], off
	s_mov_b32 s0, 0
	s_mov_b32 s5, -1
	s_branch .LBB94_4618
.LBB94_4617:
	s_mov_b32 s0, -1
                                        ; implicit-def: $vgpr14_vgpr15
.LBB94_4618:
	s_mov_b32 s20, 0
.LBB94_4619:
	s_delay_alu instid0(SALU_CYCLE_1)
	s_and_b32 vcc_lo, exec_lo, s20
	s_cbranch_vccz .LBB94_4635
; %bb.4620:
	s_cmp_lt_i32 s58, 27
	s_cbranch_scc1 .LBB94_4623
; %bb.4621:
	s_cmp_gt_i32 s58, 27
	s_cbranch_scc0 .LBB94_4624
; %bb.4622:
	s_wait_loadcnt 0x0
	global_load_b32 v14, v[10:11], off
	v_mov_b32_e32 v15, 0
	s_mov_b32 s5, 0
	s_branch .LBB94_4625
.LBB94_4623:
	s_mov_b32 s5, -1
                                        ; implicit-def: $vgpr14_vgpr15
	s_branch .LBB94_4628
.LBB94_4624:
	s_mov_b32 s5, -1
                                        ; implicit-def: $vgpr14_vgpr15
.LBB94_4625:
	s_delay_alu instid0(SALU_CYCLE_1)
	s_and_not1_b32 vcc_lo, exec_lo, s5
	s_cbranch_vccnz .LBB94_4627
; %bb.4626:
	global_load_u16 v5, v[10:11], off
	s_mov_b32 s5, 0
	s_wait_loadcnt 0x1
	v_mov_b32_e32 v15, s5
	s_wait_loadcnt 0x0
	v_and_b32_e32 v14, 0xffff, v5
.LBB94_4627:
	s_mov_b32 s5, 0
.LBB94_4628:
	s_delay_alu instid0(SALU_CYCLE_1)
	s_and_not1_b32 vcc_lo, exec_lo, s5
	s_cbranch_vccnz .LBB94_4634
; %bb.4629:
	global_load_u8 v5, v[10:11], off
	s_mov_b32 s20, 0
	s_mov_b32 s5, exec_lo
	s_wait_loadcnt 0x0
	v_cmpx_lt_i16_e32 0x7f, v5
	s_xor_b32 s5, exec_lo, s5
	s_cbranch_execz .LBB94_4646
; %bb.4630:
	v_cmp_ne_u16_e32 vcc_lo, 0x80, v5
	s_and_b32 s20, vcc_lo, exec_lo
	s_and_not1_saveexec_b32 s5, s5
	s_cbranch_execnz .LBB94_4647
.LBB94_4631:
	s_or_b32 exec_lo, exec_lo, s5
	v_mov_b64_e32 v[14:15], 0
	s_and_saveexec_b32 s5, s20
	s_cbranch_execz .LBB94_4633
.LBB94_4632:
	v_and_b32_e32 v7, 0xffff, v5
	s_delay_alu instid0(VALU_DEP_1) | instskip(SKIP_1) | instid1(VALU_DEP_2)
	v_and_b32_e32 v9, 7, v7
	v_bfe_u32 v14, v7, 3, 4
	v_clz_i32_u32_e32 v12, v9
	s_delay_alu instid0(VALU_DEP_2) | instskip(NEXT) | instid1(VALU_DEP_2)
	v_cmp_eq_u32_e32 vcc_lo, 0, v14
	v_min_u32_e32 v12, 32, v12
	s_delay_alu instid0(VALU_DEP_1) | instskip(NEXT) | instid1(VALU_DEP_1)
	v_subrev_nc_u32_e32 v13, 28, v12
	v_dual_lshlrev_b32 v7, v13, v7 :: v_dual_sub_nc_u32 v12, 29, v12
	s_delay_alu instid0(VALU_DEP_1) | instskip(NEXT) | instid1(VALU_DEP_1)
	v_dual_lshlrev_b32 v5, 24, v5 :: v_dual_bitop2_b32 v7, 7, v7 bitop3:0x40
	v_dual_cndmask_b32 v12, v14, v12 :: v_dual_cndmask_b32 v7, v9, v7
	s_delay_alu instid0(VALU_DEP_2) | instskip(NEXT) | instid1(VALU_DEP_2)
	v_and_b32_e32 v5, 0x80000000, v5
	v_lshl_add_u32 v9, v12, 23, 0x3b800000
	s_delay_alu instid0(VALU_DEP_3) | instskip(NEXT) | instid1(VALU_DEP_1)
	v_lshlrev_b32_e32 v7, 20, v7
	v_or3_b32 v5, v5, v9, v7
	s_delay_alu instid0(VALU_DEP_1) | instskip(NEXT) | instid1(VALU_DEP_1)
	v_trunc_f32_e32 v5, v5
	v_mul_f32_e64 v7, 0x2f800000, |v5|
	v_ashrrev_i32_e32 v12, 31, v5
	s_delay_alu instid0(VALU_DEP_2) | instskip(NEXT) | instid1(VALU_DEP_2)
	v_floor_f32_e32 v7, v7
	v_mov_b32_e32 v13, v12
	s_delay_alu instid0(VALU_DEP_2) | instskip(SKIP_1) | instid1(VALU_DEP_2)
	v_fma_f32 v9, 0xcf800000, v7, |v5|
	v_cvt_u32_f32_e32 v5, v7
	v_cvt_u32_f32_e32 v7, v9
	s_delay_alu instid0(VALU_DEP_2) | instskip(NEXT) | instid1(VALU_DEP_2)
	v_xor_b32_e32 v15, v5, v12
	v_xor_b32_e32 v14, v7, v12
	s_delay_alu instid0(VALU_DEP_1)
	v_sub_nc_u64_e32 v[14:15], v[14:15], v[12:13]
.LBB94_4633:
	s_or_b32 exec_lo, exec_lo, s5
.LBB94_4634:
	s_mov_b32 s5, -1
.LBB94_4635:
	s_mov_b32 s20, 0
.LBB94_4636:
	s_delay_alu instid0(SALU_CYCLE_1)
	s_and_b32 vcc_lo, exec_lo, s20
	s_cbranch_vccz .LBB94_4667
; %bb.4637:
	s_cmp_gt_i32 s58, 22
	s_cbranch_scc0 .LBB94_4645
; %bb.4638:
	s_cmp_lt_i32 s58, 24
	s_cbranch_scc1 .LBB94_4648
; %bb.4639:
	s_cmp_gt_i32 s58, 24
	s_cbranch_scc0 .LBB94_4649
; %bb.4640:
	global_load_u8 v5, v[10:11], off
	s_mov_b32 s5, 0
	s_mov_b32 s1, exec_lo
	s_wait_loadcnt 0x0
	v_cmpx_lt_i16_e32 0x7f, v5
	s_xor_b32 s1, exec_lo, s1
	s_cbranch_execz .LBB94_4661
; %bb.4641:
	v_cmp_ne_u16_e32 vcc_lo, 0x80, v5
	s_and_b32 s5, vcc_lo, exec_lo
	s_and_not1_saveexec_b32 s1, s1
	s_cbranch_execnz .LBB94_4662
.LBB94_4642:
	s_or_b32 exec_lo, exec_lo, s1
	v_mov_b64_e32 v[14:15], 0
	s_and_saveexec_b32 s1, s5
	s_cbranch_execz .LBB94_4644
.LBB94_4643:
	v_and_b32_e32 v7, 0xffff, v5
	s_delay_alu instid0(VALU_DEP_1) | instskip(SKIP_1) | instid1(VALU_DEP_2)
	v_and_b32_e32 v9, 3, v7
	v_bfe_u32 v14, v7, 2, 5
	v_clz_i32_u32_e32 v12, v9
	s_delay_alu instid0(VALU_DEP_2) | instskip(NEXT) | instid1(VALU_DEP_2)
	v_cmp_eq_u32_e32 vcc_lo, 0, v14
	v_min_u32_e32 v12, 32, v12
	s_delay_alu instid0(VALU_DEP_1) | instskip(NEXT) | instid1(VALU_DEP_1)
	v_subrev_nc_u32_e32 v13, 29, v12
	v_dual_lshlrev_b32 v7, v13, v7 :: v_dual_sub_nc_u32 v12, 30, v12
	s_delay_alu instid0(VALU_DEP_1) | instskip(NEXT) | instid1(VALU_DEP_1)
	v_dual_lshlrev_b32 v5, 24, v5 :: v_dual_bitop2_b32 v7, 3, v7 bitop3:0x40
	v_dual_cndmask_b32 v12, v14, v12 :: v_dual_cndmask_b32 v7, v9, v7
	s_delay_alu instid0(VALU_DEP_2) | instskip(NEXT) | instid1(VALU_DEP_2)
	v_and_b32_e32 v5, 0x80000000, v5
	v_lshl_add_u32 v9, v12, 23, 0x37800000
	s_delay_alu instid0(VALU_DEP_3) | instskip(NEXT) | instid1(VALU_DEP_1)
	v_lshlrev_b32_e32 v7, 21, v7
	v_or3_b32 v5, v5, v9, v7
	s_delay_alu instid0(VALU_DEP_1) | instskip(NEXT) | instid1(VALU_DEP_1)
	v_trunc_f32_e32 v5, v5
	v_mul_f32_e64 v7, 0x2f800000, |v5|
	v_ashrrev_i32_e32 v12, 31, v5
	s_delay_alu instid0(VALU_DEP_2) | instskip(NEXT) | instid1(VALU_DEP_2)
	v_floor_f32_e32 v7, v7
	v_mov_b32_e32 v13, v12
	s_delay_alu instid0(VALU_DEP_2) | instskip(SKIP_1) | instid1(VALU_DEP_2)
	v_fma_f32 v9, 0xcf800000, v7, |v5|
	v_cvt_u32_f32_e32 v5, v7
	v_cvt_u32_f32_e32 v7, v9
	s_delay_alu instid0(VALU_DEP_2) | instskip(NEXT) | instid1(VALU_DEP_2)
	v_xor_b32_e32 v15, v5, v12
	v_xor_b32_e32 v14, v7, v12
	s_delay_alu instid0(VALU_DEP_1)
	v_sub_nc_u64_e32 v[14:15], v[14:15], v[12:13]
.LBB94_4644:
	s_or_b32 exec_lo, exec_lo, s1
	s_mov_b32 s1, 0
	s_branch .LBB94_4650
.LBB94_4645:
	s_mov_b32 s1, -1
                                        ; implicit-def: $vgpr14_vgpr15
	s_branch .LBB94_4656
.LBB94_4646:
	s_and_not1_saveexec_b32 s5, s5
	s_cbranch_execz .LBB94_4631
.LBB94_4647:
	v_cmp_ne_u16_e32 vcc_lo, 0, v5
	s_and_not1_b32 s20, s20, exec_lo
	s_and_b32 s21, vcc_lo, exec_lo
	s_delay_alu instid0(SALU_CYCLE_1)
	s_or_b32 s20, s20, s21
	s_or_b32 exec_lo, exec_lo, s5
	v_mov_b64_e32 v[14:15], 0
	s_and_saveexec_b32 s5, s20
	s_cbranch_execnz .LBB94_4632
	s_branch .LBB94_4633
.LBB94_4648:
	s_mov_b32 s1, -1
                                        ; implicit-def: $vgpr14_vgpr15
	s_branch .LBB94_4653
.LBB94_4649:
	s_mov_b32 s1, -1
                                        ; implicit-def: $vgpr14_vgpr15
.LBB94_4650:
	s_delay_alu instid0(SALU_CYCLE_1)
	s_and_b32 vcc_lo, exec_lo, s1
	s_cbranch_vccz .LBB94_4652
; %bb.4651:
	global_load_u8 v5, v[10:11], off
	s_wait_loadcnt 0x0
	v_lshlrev_b32_e32 v5, 24, v5
	s_delay_alu instid0(VALU_DEP_1) | instskip(NEXT) | instid1(VALU_DEP_1)
	v_and_b32_e32 v7, 0x7f000000, v5
	v_clz_i32_u32_e32 v9, v7
	v_add_nc_u32_e32 v13, 0x1000000, v7
	v_cmp_ne_u32_e32 vcc_lo, 0, v7
	s_delay_alu instid0(VALU_DEP_3) | instskip(NEXT) | instid1(VALU_DEP_1)
	v_min_u32_e32 v9, 32, v9
	v_sub_nc_u32_e64 v9, v9, 4 clamp
	s_delay_alu instid0(VALU_DEP_1) | instskip(NEXT) | instid1(VALU_DEP_1)
	v_dual_lshlrev_b32 v12, v9, v7 :: v_dual_lshlrev_b32 v9, 23, v9
	v_lshrrev_b32_e32 v12, 4, v12
	s_delay_alu instid0(VALU_DEP_1) | instskip(SKIP_1) | instid1(VALU_DEP_2)
	v_sub_nc_u32_e32 v9, v12, v9
	v_ashrrev_i32_e32 v12, 8, v13
	v_add_nc_u32_e32 v9, 0x3c000000, v9
	s_delay_alu instid0(VALU_DEP_1) | instskip(NEXT) | instid1(VALU_DEP_1)
	v_and_or_b32 v9, 0x7f800000, v12, v9
	v_cndmask_b32_e32 v7, 0, v9, vcc_lo
	s_delay_alu instid0(VALU_DEP_1) | instskip(NEXT) | instid1(VALU_DEP_1)
	v_and_or_b32 v5, 0x80000000, v5, v7
	v_trunc_f32_e32 v5, v5
	s_delay_alu instid0(VALU_DEP_1) | instskip(SKIP_1) | instid1(VALU_DEP_2)
	v_mul_f32_e64 v7, 0x2f800000, |v5|
	v_ashrrev_i32_e32 v12, 31, v5
	v_floor_f32_e32 v7, v7
	s_delay_alu instid0(VALU_DEP_2) | instskip(NEXT) | instid1(VALU_DEP_2)
	v_mov_b32_e32 v13, v12
	v_fma_f32 v9, 0xcf800000, v7, |v5|
	v_cvt_u32_f32_e32 v5, v7
	s_delay_alu instid0(VALU_DEP_2) | instskip(NEXT) | instid1(VALU_DEP_2)
	v_cvt_u32_f32_e32 v7, v9
	v_xor_b32_e32 v15, v5, v12
	s_delay_alu instid0(VALU_DEP_2) | instskip(NEXT) | instid1(VALU_DEP_1)
	v_xor_b32_e32 v14, v7, v12
	v_sub_nc_u64_e32 v[14:15], v[14:15], v[12:13]
.LBB94_4652:
	s_mov_b32 s1, 0
.LBB94_4653:
	s_delay_alu instid0(SALU_CYCLE_1)
	s_and_not1_b32 vcc_lo, exec_lo, s1
	s_cbranch_vccnz .LBB94_4655
; %bb.4654:
	global_load_u8 v5, v[10:11], off
	s_wait_loadcnt 0x0
	v_lshlrev_b32_e32 v7, 25, v5
	v_lshlrev_b16 v5, 8, v5
	s_delay_alu instid0(VALU_DEP_1) | instskip(SKIP_1) | instid1(VALU_DEP_2)
	v_and_or_b32 v12, 0x7f00, v5, 0.5
	v_bfe_i32 v5, v5, 0, 16
	v_dual_add_f32 v12, -0.5, v12 :: v_dual_lshrrev_b32 v9, 4, v7
	v_cmp_gt_u32_e32 vcc_lo, 0x8000000, v7
	s_delay_alu instid0(VALU_DEP_2) | instskip(NEXT) | instid1(VALU_DEP_1)
	v_or_b32_e32 v9, 0x70000000, v9
	v_mul_f32_e32 v9, 0x7800000, v9
	s_delay_alu instid0(VALU_DEP_1) | instskip(NEXT) | instid1(VALU_DEP_1)
	v_cndmask_b32_e32 v7, v9, v12, vcc_lo
	v_and_or_b32 v5, 0x80000000, v5, v7
	s_delay_alu instid0(VALU_DEP_1) | instskip(NEXT) | instid1(VALU_DEP_1)
	v_trunc_f32_e32 v5, v5
	v_mul_f32_e64 v7, 0x2f800000, |v5|
	v_ashrrev_i32_e32 v12, 31, v5
	s_delay_alu instid0(VALU_DEP_2) | instskip(NEXT) | instid1(VALU_DEP_2)
	v_floor_f32_e32 v7, v7
	v_mov_b32_e32 v13, v12
	s_delay_alu instid0(VALU_DEP_2) | instskip(SKIP_1) | instid1(VALU_DEP_2)
	v_fma_f32 v9, 0xcf800000, v7, |v5|
	v_cvt_u32_f32_e32 v5, v7
	v_cvt_u32_f32_e32 v7, v9
	s_delay_alu instid0(VALU_DEP_2) | instskip(NEXT) | instid1(VALU_DEP_2)
	v_xor_b32_e32 v15, v5, v12
	v_xor_b32_e32 v14, v7, v12
	s_delay_alu instid0(VALU_DEP_1)
	v_sub_nc_u64_e32 v[14:15], v[14:15], v[12:13]
.LBB94_4655:
	s_mov_b32 s1, 0
	s_mov_b32 s5, -1
.LBB94_4656:
	s_and_not1_b32 vcc_lo, exec_lo, s1
	s_mov_b32 s1, 0
	s_cbranch_vccnz .LBB94_4667
; %bb.4657:
	s_cmp_gt_i32 s58, 14
	s_cbranch_scc0 .LBB94_4660
; %bb.4658:
	s_cmp_eq_u32 s58, 15
	s_cbranch_scc0 .LBB94_4663
; %bb.4659:
	global_load_u16 v5, v[10:11], off
	s_mov_b32 s0, 0
	s_mov_b32 s5, -1
	s_wait_loadcnt 0x0
	v_lshlrev_b32_e32 v5, 16, v5
	s_delay_alu instid0(VALU_DEP_1) | instskip(NEXT) | instid1(VALU_DEP_1)
	v_trunc_f32_e32 v5, v5
	v_mul_f32_e64 v7, 0x2f800000, |v5|
	v_ashrrev_i32_e32 v12, 31, v5
	s_delay_alu instid0(VALU_DEP_2) | instskip(NEXT) | instid1(VALU_DEP_2)
	v_floor_f32_e32 v7, v7
	v_mov_b32_e32 v13, v12
	s_delay_alu instid0(VALU_DEP_2) | instskip(SKIP_1) | instid1(VALU_DEP_2)
	v_fma_f32 v9, 0xcf800000, v7, |v5|
	v_cvt_u32_f32_e32 v5, v7
	v_cvt_u32_f32_e32 v7, v9
	s_delay_alu instid0(VALU_DEP_2) | instskip(NEXT) | instid1(VALU_DEP_2)
	v_xor_b32_e32 v15, v5, v12
	v_xor_b32_e32 v14, v7, v12
	s_delay_alu instid0(VALU_DEP_1)
	v_sub_nc_u64_e32 v[14:15], v[14:15], v[12:13]
	s_branch .LBB94_4665
.LBB94_4660:
	s_mov_b32 s1, -1
	s_branch .LBB94_4664
.LBB94_4661:
	s_and_not1_saveexec_b32 s1, s1
	s_cbranch_execz .LBB94_4642
.LBB94_4662:
	v_cmp_ne_u16_e32 vcc_lo, 0, v5
	s_and_not1_b32 s5, s5, exec_lo
	s_and_b32 s20, vcc_lo, exec_lo
	s_delay_alu instid0(SALU_CYCLE_1)
	s_or_b32 s5, s5, s20
	s_or_b32 exec_lo, exec_lo, s1
	v_mov_b64_e32 v[14:15], 0
	s_and_saveexec_b32 s1, s5
	s_cbranch_execnz .LBB94_4643
	s_branch .LBB94_4644
.LBB94_4663:
	s_mov_b32 s0, -1
.LBB94_4664:
                                        ; implicit-def: $vgpr14_vgpr15
.LBB94_4665:
	s_and_b32 vcc_lo, exec_lo, s1
	s_mov_b32 s1, 0
	s_cbranch_vccz .LBB94_4667
; %bb.4666:
	s_cmp_lg_u32 s58, 11
	s_mov_b32 s1, -1
	s_cselect_b32 s0, -1, 0
.LBB94_4667:
	s_delay_alu instid0(SALU_CYCLE_1)
	s_and_b32 vcc_lo, exec_lo, s0
	s_cbranch_vccnz .LBB94_4732
; %bb.4668:
	s_and_not1_b32 vcc_lo, exec_lo, s1
	s_cbranch_vccnz .LBB94_4670
.LBB94_4669:
	global_load_u8 v5, v[10:11], off
	s_mov_b32 s0, 0
	s_mov_b32 s5, -1
	s_wait_loadcnt 0x1
	v_mov_b32_e32 v15, s0
	s_wait_loadcnt 0x0
	v_cmp_ne_u16_e32 vcc_lo, 0, v5
	v_cndmask_b32_e64 v14, 0, 1, vcc_lo
.LBB94_4670:
	s_mov_b32 s0, 0
.LBB94_4671:
	s_delay_alu instid0(SALU_CYCLE_1)
	s_and_b32 vcc_lo, exec_lo, s0
	s_cbranch_vccz .LBB94_4720
; %bb.4672:
	s_cmp_lt_i32 s58, 5
	s_cbranch_scc1 .LBB94_4677
; %bb.4673:
	s_cmp_lt_i32 s58, 8
	s_cbranch_scc1 .LBB94_4678
	;; [unrolled: 3-line block ×3, first 2 shown]
; %bb.4675:
	s_cmp_gt_i32 s58, 9
	s_cbranch_scc0 .LBB94_4680
; %bb.4676:
	global_load_b64 v[12:13], v[10:11], off
	s_mov_b32 s0, 0
	s_wait_loadcnt 0x0
	v_trunc_f64_e32 v[12:13], v[12:13]
	s_delay_alu instid0(VALU_DEP_1) | instskip(NEXT) | instid1(VALU_DEP_1)
	v_ldexp_f64 v[14:15], v[12:13], 0xffffffe0
	v_floor_f64_e32 v[14:15], v[14:15]
	s_delay_alu instid0(VALU_DEP_1) | instskip(SKIP_1) | instid1(VALU_DEP_2)
	v_fmamk_f64 v[12:13], v[14:15], 0xc1f00000, v[12:13]
	v_cvt_i32_f64_e32 v15, v[14:15]
	v_cvt_u32_f64_e32 v14, v[12:13]
	s_branch .LBB94_4681
.LBB94_4677:
	s_mov_b32 s0, -1
                                        ; implicit-def: $vgpr14_vgpr15
	s_branch .LBB94_4699
.LBB94_4678:
	s_mov_b32 s0, -1
                                        ; implicit-def: $vgpr14_vgpr15
	s_branch .LBB94_4687
.LBB94_4679:
	s_mov_b32 s0, -1
                                        ; implicit-def: $vgpr14_vgpr15
	s_branch .LBB94_4684
.LBB94_4680:
	s_mov_b32 s0, -1
                                        ; implicit-def: $vgpr14_vgpr15
.LBB94_4681:
	s_delay_alu instid0(SALU_CYCLE_1)
	s_and_not1_b32 vcc_lo, exec_lo, s0
	s_cbranch_vccnz .LBB94_4683
; %bb.4682:
	global_load_b32 v5, v[10:11], off
	s_wait_loadcnt 0x0
	v_trunc_f32_e32 v5, v5
	s_delay_alu instid0(VALU_DEP_1) | instskip(SKIP_1) | instid1(VALU_DEP_2)
	v_mul_f32_e64 v7, 0x2f800000, |v5|
	v_ashrrev_i32_e32 v12, 31, v5
	v_floor_f32_e32 v7, v7
	s_delay_alu instid0(VALU_DEP_1) | instskip(SKIP_1) | instid1(VALU_DEP_4)
	v_fma_f32 v9, 0xcf800000, v7, |v5|
	v_cvt_u32_f32_e32 v5, v7
	v_mov_b32_e32 v13, v12
	s_delay_alu instid0(VALU_DEP_3) | instskip(NEXT) | instid1(VALU_DEP_3)
	v_cvt_u32_f32_e32 v7, v9
	v_xor_b32_e32 v15, v5, v12
	s_delay_alu instid0(VALU_DEP_2) | instskip(NEXT) | instid1(VALU_DEP_1)
	v_xor_b32_e32 v14, v7, v12
	v_sub_nc_u64_e32 v[14:15], v[14:15], v[12:13]
.LBB94_4683:
	s_mov_b32 s0, 0
.LBB94_4684:
	s_delay_alu instid0(SALU_CYCLE_1)
	s_and_not1_b32 vcc_lo, exec_lo, s0
	s_cbranch_vccnz .LBB94_4686
; %bb.4685:
	global_load_b32 v5, v[10:11], off
	s_wait_loadcnt 0x0
	v_cvt_f32_f16_e32 v5, v5
	s_delay_alu instid0(VALU_DEP_1) | instskip(NEXT) | instid1(VALU_DEP_1)
	v_cvt_i32_f32_e32 v14, v5
	v_ashrrev_i32_e32 v15, 31, v14
.LBB94_4686:
	s_mov_b32 s0, 0
.LBB94_4687:
	s_delay_alu instid0(SALU_CYCLE_1)
	s_and_not1_b32 vcc_lo, exec_lo, s0
	s_cbranch_vccnz .LBB94_4698
; %bb.4688:
	s_cmp_lt_i32 s58, 6
	s_cbranch_scc1 .LBB94_4691
; %bb.4689:
	s_cmp_gt_i32 s58, 6
	s_cbranch_scc0 .LBB94_4692
; %bb.4690:
	global_load_b64 v[12:13], v[10:11], off
	s_mov_b32 s0, 0
	s_wait_loadcnt 0x0
	v_trunc_f64_e32 v[12:13], v[12:13]
	s_delay_alu instid0(VALU_DEP_1) | instskip(NEXT) | instid1(VALU_DEP_1)
	v_ldexp_f64 v[14:15], v[12:13], 0xffffffe0
	v_floor_f64_e32 v[14:15], v[14:15]
	s_delay_alu instid0(VALU_DEP_1) | instskip(SKIP_1) | instid1(VALU_DEP_2)
	v_fmamk_f64 v[12:13], v[14:15], 0xc1f00000, v[12:13]
	v_cvt_i32_f64_e32 v15, v[14:15]
	v_cvt_u32_f64_e32 v14, v[12:13]
	s_branch .LBB94_4693
.LBB94_4691:
	s_mov_b32 s0, -1
                                        ; implicit-def: $vgpr14_vgpr15
	s_branch .LBB94_4696
.LBB94_4692:
	s_mov_b32 s0, -1
                                        ; implicit-def: $vgpr14_vgpr15
.LBB94_4693:
	s_delay_alu instid0(SALU_CYCLE_1)
	s_and_not1_b32 vcc_lo, exec_lo, s0
	s_cbranch_vccnz .LBB94_4695
; %bb.4694:
	global_load_b32 v5, v[10:11], off
	s_wait_loadcnt 0x0
	v_trunc_f32_e32 v5, v5
	s_delay_alu instid0(VALU_DEP_1) | instskip(SKIP_1) | instid1(VALU_DEP_2)
	v_mul_f32_e64 v7, 0x2f800000, |v5|
	v_ashrrev_i32_e32 v12, 31, v5
	v_floor_f32_e32 v7, v7
	s_delay_alu instid0(VALU_DEP_1) | instskip(SKIP_1) | instid1(VALU_DEP_4)
	v_fma_f32 v9, 0xcf800000, v7, |v5|
	v_cvt_u32_f32_e32 v5, v7
	v_mov_b32_e32 v13, v12
	s_delay_alu instid0(VALU_DEP_3) | instskip(NEXT) | instid1(VALU_DEP_3)
	v_cvt_u32_f32_e32 v7, v9
	v_xor_b32_e32 v15, v5, v12
	s_delay_alu instid0(VALU_DEP_2) | instskip(NEXT) | instid1(VALU_DEP_1)
	v_xor_b32_e32 v14, v7, v12
	v_sub_nc_u64_e32 v[14:15], v[14:15], v[12:13]
.LBB94_4695:
	s_mov_b32 s0, 0
.LBB94_4696:
	s_delay_alu instid0(SALU_CYCLE_1)
	s_and_not1_b32 vcc_lo, exec_lo, s0
	s_cbranch_vccnz .LBB94_4698
; %bb.4697:
	global_load_u16 v5, v[10:11], off
	s_wait_loadcnt 0x0
	v_cvt_f32_f16_e32 v5, v5
	s_delay_alu instid0(VALU_DEP_1) | instskip(NEXT) | instid1(VALU_DEP_1)
	v_cvt_i32_f32_e32 v14, v5
	v_ashrrev_i32_e32 v15, 31, v14
.LBB94_4698:
	s_mov_b32 s0, 0
.LBB94_4699:
	s_delay_alu instid0(SALU_CYCLE_1)
	s_and_not1_b32 vcc_lo, exec_lo, s0
	s_cbranch_vccnz .LBB94_4719
; %bb.4700:
	s_cmp_lt_i32 s58, 2
	s_cbranch_scc1 .LBB94_4704
; %bb.4701:
	s_cmp_lt_i32 s58, 3
	s_cbranch_scc1 .LBB94_4705
; %bb.4702:
	s_cmp_gt_i32 s58, 3
	s_cbranch_scc0 .LBB94_4706
; %bb.4703:
	s_wait_loadcnt 0x0
	global_load_b64 v[14:15], v[10:11], off
	s_mov_b32 s0, 0
	s_branch .LBB94_4707
.LBB94_4704:
	s_mov_b32 s0, -1
                                        ; implicit-def: $vgpr14_vgpr15
	s_branch .LBB94_4713
.LBB94_4705:
	s_mov_b32 s0, -1
                                        ; implicit-def: $vgpr14_vgpr15
	s_branch .LBB94_4710
.LBB94_4706:
	s_mov_b32 s0, -1
                                        ; implicit-def: $vgpr14_vgpr15
.LBB94_4707:
	s_delay_alu instid0(SALU_CYCLE_1)
	s_and_not1_b32 vcc_lo, exec_lo, s0
	s_cbranch_vccnz .LBB94_4709
; %bb.4708:
	s_wait_loadcnt 0x0
	global_load_b32 v14, v[10:11], off
	s_wait_loadcnt 0x0
	v_ashrrev_i32_e32 v15, 31, v14
.LBB94_4709:
	s_mov_b32 s0, 0
.LBB94_4710:
	s_delay_alu instid0(SALU_CYCLE_1)
	s_and_not1_b32 vcc_lo, exec_lo, s0
	s_cbranch_vccnz .LBB94_4712
; %bb.4711:
	global_load_u16 v5, v[10:11], off
	s_wait_loadcnt 0x0
	v_bfe_i32 v14, v5, 0, 16
	s_delay_alu instid0(VALU_DEP_1)
	v_ashrrev_i32_e32 v15, 31, v14
.LBB94_4712:
	s_mov_b32 s0, 0
.LBB94_4713:
	s_delay_alu instid0(SALU_CYCLE_1)
	s_and_not1_b32 vcc_lo, exec_lo, s0
	s_cbranch_vccnz .LBB94_4719
; %bb.4714:
	s_cmp_gt_i32 s58, 0
	s_mov_b32 s0, 0
	s_cbranch_scc0 .LBB94_4716
; %bb.4715:
	global_load_i8 v5, v[10:11], off
	s_wait_loadcnt 0x0
	v_bfe_i32 v14, v5, 0, 16
	s_delay_alu instid0(VALU_DEP_1)
	v_ashrrev_i32_e32 v15, 31, v14
	s_branch .LBB94_4717
.LBB94_4716:
	s_mov_b32 s0, -1
                                        ; implicit-def: $vgpr14_vgpr15
.LBB94_4717:
	s_delay_alu instid0(SALU_CYCLE_1)
	s_and_not1_b32 vcc_lo, exec_lo, s0
	s_cbranch_vccnz .LBB94_4719
; %bb.4718:
	global_load_u8 v5, v[10:11], off
	s_mov_b32 s0, 0
	s_wait_loadcnt 0x1
	v_mov_b32_e32 v15, s0
	s_wait_loadcnt 0x0
	v_and_b32_e32 v14, 0xffff, v5
.LBB94_4719:
	s_mov_b32 s5, -1
.LBB94_4720:
	s_delay_alu instid0(SALU_CYCLE_1)
	s_and_not1_b32 vcc_lo, exec_lo, s5
	s_cbranch_vccnz .LBB94_4984
; %bb.4721:
	s_wait_xcnt 0x0
	v_add_nc_u32_e32 v10, s63, v16
	s_cmp_lt_i32 s59, 11
	s_delay_alu instid0(VALU_DEP_1) | instskip(NEXT) | instid1(VALU_DEP_1)
	v_ashrrev_i32_e32 v11, 31, v10
	v_add_nc_u64_e32 v[12:13], s[12:13], v[10:11]
	s_cbranch_scc1 .LBB94_4728
; %bb.4722:
	s_cmp_gt_i32 s59, 25
	s_mov_b32 s1, 0
	s_cbranch_scc0 .LBB94_4729
; %bb.4723:
	s_cmp_gt_i32 s59, 28
	s_cbranch_scc0 .LBB94_4730
; %bb.4724:
	s_cmp_gt_i32 s59, 43
	;; [unrolled: 3-line block ×3, first 2 shown]
	s_cbranch_scc0 .LBB94_4733
; %bb.4726:
	s_cmp_eq_u32 s59, 46
	s_mov_b32 s20, 0
	s_cbranch_scc0 .LBB94_4735
; %bb.4727:
	global_load_b32 v5, v[12:13], off
	s_mov_b32 s0, 0
	s_mov_b32 s5, -1
	s_wait_loadcnt 0x0
	v_lshlrev_b32_e32 v5, 16, v5
	s_delay_alu instid0(VALU_DEP_1) | instskip(NEXT) | instid1(VALU_DEP_1)
	v_trunc_f32_e32 v5, v5
	v_mul_f32_e64 v7, 0x2f800000, |v5|
	v_ashrrev_i32_e32 v16, 31, v5
	s_delay_alu instid0(VALU_DEP_2) | instskip(NEXT) | instid1(VALU_DEP_2)
	v_floor_f32_e32 v7, v7
	v_mov_b32_e32 v17, v16
	s_delay_alu instid0(VALU_DEP_2) | instskip(SKIP_1) | instid1(VALU_DEP_2)
	v_fma_f32 v9, 0xcf800000, v7, |v5|
	v_cvt_u32_f32_e32 v5, v7
	v_cvt_u32_f32_e32 v7, v9
	s_delay_alu instid0(VALU_DEP_2) | instskip(NEXT) | instid1(VALU_DEP_2)
	v_xor_b32_e32 v25, v5, v16
	v_xor_b32_e32 v24, v7, v16
	s_delay_alu instid0(VALU_DEP_1)
	v_sub_nc_u64_e32 v[16:17], v[24:25], v[16:17]
	s_branch .LBB94_4737
.LBB94_4728:
	s_mov_b32 s0, -1
	s_mov_b32 s5, 0
                                        ; implicit-def: $vgpr16_vgpr17
	s_branch .LBB94_4799
.LBB94_4729:
	s_mov_b32 s20, -1
	s_mov_b32 s5, 0
	s_mov_b32 s0, 0
                                        ; implicit-def: $vgpr16_vgpr17
	s_branch .LBB94_4764
.LBB94_4730:
	s_mov_b32 s20, -1
	s_mov_b32 s5, 0
	s_mov_b32 s0, 0
                                        ; implicit-def: $vgpr16_vgpr17
	s_branch .LBB94_4747
.LBB94_4731:
	s_mov_b32 s20, -1
	s_mov_b32 s5, 0
	s_mov_b32 s0, 0
                                        ; implicit-def: $vgpr16_vgpr17
	s_branch .LBB94_4742
.LBB94_4732:
	s_or_b32 s55, s55, exec_lo
	s_trap 2
	s_cbranch_execz .LBB94_4669
	s_branch .LBB94_4670
.LBB94_4733:
	s_mov_b32 s20, -1
	s_mov_b32 s5, 0
	s_mov_b32 s0, 0
	s_branch .LBB94_4736
.LBB94_4734:
	s_or_b32 s51, s49, exec_lo
	s_trap 2
                                        ; implicit-def: $vgpr8
                                        ; implicit-def: $vgpr12
                                        ; implicit-def: $vgpr14
                                        ; implicit-def: $vgpr4_vgpr5
                                        ; implicit-def: $vgpr16
                                        ; implicit-def: $vgpr6_vgpr7
                                        ; implicit-def: $vgpr18
                                        ; implicit-def: $vgpr24_vgpr25
                                        ; implicit-def: $vgpr0_vgpr1
                                        ; implicit-def: $vgpr2_vgpr3
                                        ; implicit-def: $vgpr26
	s_or_saveexec_b32 s52, s0
	s_mov_b32 s1, 0
                                        ; implicit-def: $vgpr20_vgpr21
                                        ; implicit-def: $sgpr0
	s_xor_b32 exec_lo, exec_lo, s52
	s_cbranch_execz .LBB94_4987
	s_branch .LBB94_4316
.LBB94_4735:
	s_mov_b32 s0, -1
	s_mov_b32 s5, 0
.LBB94_4736:
                                        ; implicit-def: $vgpr16_vgpr17
.LBB94_4737:
	s_and_b32 vcc_lo, exec_lo, s20
	s_cbranch_vccz .LBB94_4741
; %bb.4738:
	s_cmp_eq_u32 s59, 44
	s_cbranch_scc0 .LBB94_4740
; %bb.4739:
	global_load_u8 v5, v[12:13], off
	s_mov_b32 s0, 0
	s_mov_b32 s5, -1
	s_wait_loadcnt 0x0
	v_lshlrev_b32_e32 v7, 23, v5
	v_cmp_ne_u32_e32 vcc_lo, 0, v5
	s_delay_alu instid0(VALU_DEP_2) | instskip(NEXT) | instid1(VALU_DEP_1)
	v_trunc_f32_e32 v7, v7
	v_mul_f32_e64 v9, 0x2f800000, |v7|
	v_ashrrev_i32_e32 v16, 31, v7
	s_delay_alu instid0(VALU_DEP_2) | instskip(NEXT) | instid1(VALU_DEP_2)
	v_floor_f32_e32 v9, v9
	v_mov_b32_e32 v17, v16
	s_delay_alu instid0(VALU_DEP_2) | instskip(SKIP_1) | instid1(VALU_DEP_2)
	v_fma_f32 v11, 0xcf800000, v9, |v7|
	v_cvt_u32_f32_e32 v7, v9
	v_cvt_u32_f32_e32 v9, v11
	s_delay_alu instid0(VALU_DEP_2) | instskip(NEXT) | instid1(VALU_DEP_2)
	v_xor_b32_e32 v25, v7, v16
	v_xor_b32_e32 v24, v9, v16
	s_delay_alu instid0(VALU_DEP_1) | instskip(NEXT) | instid1(VALU_DEP_1)
	v_sub_nc_u64_e32 v[16:17], v[24:25], v[16:17]
	v_dual_cndmask_b32 v17, 0, v17 :: v_dual_cndmask_b32 v16, 0, v16
	s_branch .LBB94_4741
.LBB94_4740:
	s_mov_b32 s0, -1
                                        ; implicit-def: $vgpr16_vgpr17
.LBB94_4741:
	s_mov_b32 s20, 0
.LBB94_4742:
	s_delay_alu instid0(SALU_CYCLE_1)
	s_and_b32 vcc_lo, exec_lo, s20
	s_cbranch_vccz .LBB94_4746
; %bb.4743:
	s_cmp_eq_u32 s59, 29
	s_cbranch_scc0 .LBB94_4745
; %bb.4744:
	global_load_b64 v[16:17], v[12:13], off
	s_mov_b32 s0, 0
	s_mov_b32 s5, -1
	s_branch .LBB94_4746
.LBB94_4745:
	s_mov_b32 s0, -1
                                        ; implicit-def: $vgpr16_vgpr17
.LBB94_4746:
	s_mov_b32 s20, 0
.LBB94_4747:
	s_delay_alu instid0(SALU_CYCLE_1)
	s_and_b32 vcc_lo, exec_lo, s20
	s_cbranch_vccz .LBB94_4763
; %bb.4748:
	s_cmp_lt_i32 s59, 27
	s_cbranch_scc1 .LBB94_4751
; %bb.4749:
	s_cmp_gt_i32 s59, 27
	s_cbranch_scc0 .LBB94_4752
; %bb.4750:
	s_wait_loadcnt 0x0
	global_load_b32 v16, v[12:13], off
	v_mov_b32_e32 v17, 0
	s_mov_b32 s5, 0
	s_branch .LBB94_4753
.LBB94_4751:
	s_mov_b32 s5, -1
                                        ; implicit-def: $vgpr16_vgpr17
	s_branch .LBB94_4756
.LBB94_4752:
	s_mov_b32 s5, -1
                                        ; implicit-def: $vgpr16_vgpr17
.LBB94_4753:
	s_delay_alu instid0(SALU_CYCLE_1)
	s_and_not1_b32 vcc_lo, exec_lo, s5
	s_cbranch_vccnz .LBB94_4755
; %bb.4754:
	global_load_u16 v5, v[12:13], off
	s_mov_b32 s5, 0
	s_wait_loadcnt 0x1
	v_mov_b32_e32 v17, s5
	s_wait_loadcnt 0x0
	v_and_b32_e32 v16, 0xffff, v5
.LBB94_4755:
	s_mov_b32 s5, 0
.LBB94_4756:
	s_delay_alu instid0(SALU_CYCLE_1)
	s_and_not1_b32 vcc_lo, exec_lo, s5
	s_cbranch_vccnz .LBB94_4762
; %bb.4757:
	global_load_u8 v5, v[12:13], off
	s_mov_b32 s20, 0
	s_mov_b32 s5, exec_lo
	s_wait_loadcnt 0x0
	v_cmpx_lt_i16_e32 0x7f, v5
	s_xor_b32 s5, exec_lo, s5
	s_cbranch_execz .LBB94_4774
; %bb.4758:
	v_cmp_ne_u16_e32 vcc_lo, 0x80, v5
	s_and_b32 s20, vcc_lo, exec_lo
	s_and_not1_saveexec_b32 s5, s5
	s_cbranch_execnz .LBB94_4775
.LBB94_4759:
	s_or_b32 exec_lo, exec_lo, s5
	v_mov_b64_e32 v[16:17], 0
	s_and_saveexec_b32 s5, s20
	s_cbranch_execz .LBB94_4761
.LBB94_4760:
	v_and_b32_e32 v7, 0xffff, v5
	s_delay_alu instid0(VALU_DEP_1) | instskip(SKIP_1) | instid1(VALU_DEP_2)
	v_dual_lshlrev_b32 v5, 24, v5 :: v_dual_bitop2_b32 v9, 7, v7 bitop3:0x40
	v_bfe_u32 v17, v7, 3, 4
	v_and_b32_e32 v5, 0x80000000, v5
	s_delay_alu instid0(VALU_DEP_3) | instskip(NEXT) | instid1(VALU_DEP_3)
	v_clz_i32_u32_e32 v11, v9
	v_cmp_eq_u32_e32 vcc_lo, 0, v17
	s_delay_alu instid0(VALU_DEP_2) | instskip(NEXT) | instid1(VALU_DEP_1)
	v_min_u32_e32 v11, 32, v11
	v_subrev_nc_u32_e32 v16, 28, v11
	v_sub_nc_u32_e32 v11, 29, v11
	s_delay_alu instid0(VALU_DEP_2) | instskip(NEXT) | instid1(VALU_DEP_2)
	v_lshlrev_b32_e32 v7, v16, v7
	v_cndmask_b32_e32 v11, v17, v11, vcc_lo
	s_delay_alu instid0(VALU_DEP_2) | instskip(NEXT) | instid1(VALU_DEP_1)
	v_and_b32_e32 v7, 7, v7
	v_cndmask_b32_e32 v7, v9, v7, vcc_lo
	s_delay_alu instid0(VALU_DEP_3) | instskip(NEXT) | instid1(VALU_DEP_2)
	v_lshl_add_u32 v9, v11, 23, 0x3b800000
	v_lshlrev_b32_e32 v7, 20, v7
	s_delay_alu instid0(VALU_DEP_1) | instskip(NEXT) | instid1(VALU_DEP_1)
	v_or3_b32 v5, v5, v9, v7
	v_trunc_f32_e32 v5, v5
	s_delay_alu instid0(VALU_DEP_1) | instskip(SKIP_1) | instid1(VALU_DEP_2)
	v_mul_f32_e64 v7, 0x2f800000, |v5|
	v_ashrrev_i32_e32 v16, 31, v5
	v_floor_f32_e32 v7, v7
	s_delay_alu instid0(VALU_DEP_2) | instskip(NEXT) | instid1(VALU_DEP_2)
	v_mov_b32_e32 v17, v16
	v_fma_f32 v9, 0xcf800000, v7, |v5|
	v_cvt_u32_f32_e32 v5, v7
	s_delay_alu instid0(VALU_DEP_2) | instskip(NEXT) | instid1(VALU_DEP_2)
	v_cvt_u32_f32_e32 v7, v9
	v_xor_b32_e32 v25, v5, v16
	s_delay_alu instid0(VALU_DEP_2) | instskip(NEXT) | instid1(VALU_DEP_1)
	v_xor_b32_e32 v24, v7, v16
	v_sub_nc_u64_e32 v[16:17], v[24:25], v[16:17]
.LBB94_4761:
	s_or_b32 exec_lo, exec_lo, s5
.LBB94_4762:
	s_mov_b32 s5, -1
.LBB94_4763:
	s_mov_b32 s20, 0
.LBB94_4764:
	s_delay_alu instid0(SALU_CYCLE_1)
	s_and_b32 vcc_lo, exec_lo, s20
	s_cbranch_vccz .LBB94_4795
; %bb.4765:
	s_cmp_gt_i32 s59, 22
	s_cbranch_scc0 .LBB94_4773
; %bb.4766:
	s_cmp_lt_i32 s59, 24
	s_cbranch_scc1 .LBB94_4776
; %bb.4767:
	s_cmp_gt_i32 s59, 24
	s_cbranch_scc0 .LBB94_4777
; %bb.4768:
	global_load_u8 v5, v[12:13], off
	s_mov_b32 s5, 0
	s_mov_b32 s1, exec_lo
	s_wait_loadcnt 0x0
	v_cmpx_lt_i16_e32 0x7f, v5
	s_xor_b32 s1, exec_lo, s1
	s_cbranch_execz .LBB94_4789
; %bb.4769:
	v_cmp_ne_u16_e32 vcc_lo, 0x80, v5
	s_and_b32 s5, vcc_lo, exec_lo
	s_and_not1_saveexec_b32 s1, s1
	s_cbranch_execnz .LBB94_4790
.LBB94_4770:
	s_or_b32 exec_lo, exec_lo, s1
	v_mov_b64_e32 v[16:17], 0
	s_and_saveexec_b32 s1, s5
	s_cbranch_execz .LBB94_4772
.LBB94_4771:
	v_and_b32_e32 v7, 0xffff, v5
	s_delay_alu instid0(VALU_DEP_1) | instskip(SKIP_1) | instid1(VALU_DEP_2)
	v_dual_lshlrev_b32 v5, 24, v5 :: v_dual_bitop2_b32 v9, 3, v7 bitop3:0x40
	v_bfe_u32 v17, v7, 2, 5
	v_and_b32_e32 v5, 0x80000000, v5
	s_delay_alu instid0(VALU_DEP_3) | instskip(NEXT) | instid1(VALU_DEP_3)
	v_clz_i32_u32_e32 v11, v9
	v_cmp_eq_u32_e32 vcc_lo, 0, v17
	s_delay_alu instid0(VALU_DEP_2) | instskip(NEXT) | instid1(VALU_DEP_1)
	v_min_u32_e32 v11, 32, v11
	v_subrev_nc_u32_e32 v16, 29, v11
	v_sub_nc_u32_e32 v11, 30, v11
	s_delay_alu instid0(VALU_DEP_2) | instskip(NEXT) | instid1(VALU_DEP_2)
	v_lshlrev_b32_e32 v7, v16, v7
	v_cndmask_b32_e32 v11, v17, v11, vcc_lo
	s_delay_alu instid0(VALU_DEP_2) | instskip(NEXT) | instid1(VALU_DEP_1)
	v_and_b32_e32 v7, 3, v7
	v_cndmask_b32_e32 v7, v9, v7, vcc_lo
	s_delay_alu instid0(VALU_DEP_3) | instskip(NEXT) | instid1(VALU_DEP_2)
	v_lshl_add_u32 v9, v11, 23, 0x37800000
	v_lshlrev_b32_e32 v7, 21, v7
	s_delay_alu instid0(VALU_DEP_1) | instskip(NEXT) | instid1(VALU_DEP_1)
	v_or3_b32 v5, v5, v9, v7
	v_trunc_f32_e32 v5, v5
	s_delay_alu instid0(VALU_DEP_1) | instskip(SKIP_1) | instid1(VALU_DEP_2)
	v_mul_f32_e64 v7, 0x2f800000, |v5|
	v_ashrrev_i32_e32 v16, 31, v5
	v_floor_f32_e32 v7, v7
	s_delay_alu instid0(VALU_DEP_2) | instskip(NEXT) | instid1(VALU_DEP_2)
	v_mov_b32_e32 v17, v16
	v_fma_f32 v9, 0xcf800000, v7, |v5|
	v_cvt_u32_f32_e32 v5, v7
	s_delay_alu instid0(VALU_DEP_2) | instskip(NEXT) | instid1(VALU_DEP_2)
	v_cvt_u32_f32_e32 v7, v9
	v_xor_b32_e32 v25, v5, v16
	s_delay_alu instid0(VALU_DEP_2) | instskip(NEXT) | instid1(VALU_DEP_1)
	v_xor_b32_e32 v24, v7, v16
	v_sub_nc_u64_e32 v[16:17], v[24:25], v[16:17]
.LBB94_4772:
	s_or_b32 exec_lo, exec_lo, s1
	s_mov_b32 s1, 0
	s_branch .LBB94_4778
.LBB94_4773:
	s_mov_b32 s1, -1
                                        ; implicit-def: $vgpr16_vgpr17
	s_branch .LBB94_4784
.LBB94_4774:
	s_and_not1_saveexec_b32 s5, s5
	s_cbranch_execz .LBB94_4759
.LBB94_4775:
	v_cmp_ne_u16_e32 vcc_lo, 0, v5
	s_and_not1_b32 s20, s20, exec_lo
	s_and_b32 s21, vcc_lo, exec_lo
	s_delay_alu instid0(SALU_CYCLE_1)
	s_or_b32 s20, s20, s21
	s_or_b32 exec_lo, exec_lo, s5
	v_mov_b64_e32 v[16:17], 0
	s_and_saveexec_b32 s5, s20
	s_cbranch_execnz .LBB94_4760
	s_branch .LBB94_4761
.LBB94_4776:
	s_mov_b32 s1, -1
                                        ; implicit-def: $vgpr16_vgpr17
	s_branch .LBB94_4781
.LBB94_4777:
	s_mov_b32 s1, -1
                                        ; implicit-def: $vgpr16_vgpr17
.LBB94_4778:
	s_delay_alu instid0(SALU_CYCLE_1)
	s_and_b32 vcc_lo, exec_lo, s1
	s_cbranch_vccz .LBB94_4780
; %bb.4779:
	global_load_u8 v5, v[12:13], off
	s_wait_loadcnt 0x0
	v_lshlrev_b32_e32 v5, 24, v5
	s_delay_alu instid0(VALU_DEP_1) | instskip(NEXT) | instid1(VALU_DEP_1)
	v_and_b32_e32 v7, 0x7f000000, v5
	v_clz_i32_u32_e32 v9, v7
	v_cmp_ne_u32_e32 vcc_lo, 0, v7
	v_add_nc_u32_e32 v16, 0x1000000, v7
	s_delay_alu instid0(VALU_DEP_3) | instskip(NEXT) | instid1(VALU_DEP_1)
	v_min_u32_e32 v9, 32, v9
	v_sub_nc_u32_e64 v9, v9, 4 clamp
	s_delay_alu instid0(VALU_DEP_1) | instskip(NEXT) | instid1(VALU_DEP_1)
	v_dual_lshlrev_b32 v11, v9, v7 :: v_dual_lshlrev_b32 v9, 23, v9
	v_lshrrev_b32_e32 v11, 4, v11
	s_delay_alu instid0(VALU_DEP_1) | instskip(NEXT) | instid1(VALU_DEP_1)
	v_dual_sub_nc_u32 v9, v11, v9 :: v_dual_ashrrev_i32 v11, 8, v16
	v_add_nc_u32_e32 v9, 0x3c000000, v9
	s_delay_alu instid0(VALU_DEP_1) | instskip(NEXT) | instid1(VALU_DEP_1)
	v_and_or_b32 v9, 0x7f800000, v11, v9
	v_cndmask_b32_e32 v7, 0, v9, vcc_lo
	s_delay_alu instid0(VALU_DEP_1) | instskip(NEXT) | instid1(VALU_DEP_1)
	v_and_or_b32 v5, 0x80000000, v5, v7
	v_trunc_f32_e32 v5, v5
	s_delay_alu instid0(VALU_DEP_1) | instskip(SKIP_1) | instid1(VALU_DEP_2)
	v_mul_f32_e64 v7, 0x2f800000, |v5|
	v_ashrrev_i32_e32 v16, 31, v5
	v_floor_f32_e32 v7, v7
	s_delay_alu instid0(VALU_DEP_1) | instskip(SKIP_1) | instid1(VALU_DEP_4)
	v_fma_f32 v9, 0xcf800000, v7, |v5|
	v_cvt_u32_f32_e32 v5, v7
	v_mov_b32_e32 v17, v16
	s_delay_alu instid0(VALU_DEP_3) | instskip(NEXT) | instid1(VALU_DEP_3)
	v_cvt_u32_f32_e32 v7, v9
	v_xor_b32_e32 v25, v5, v16
	s_delay_alu instid0(VALU_DEP_2) | instskip(NEXT) | instid1(VALU_DEP_1)
	v_xor_b32_e32 v24, v7, v16
	v_sub_nc_u64_e32 v[16:17], v[24:25], v[16:17]
.LBB94_4780:
	s_mov_b32 s1, 0
.LBB94_4781:
	s_delay_alu instid0(SALU_CYCLE_1)
	s_and_not1_b32 vcc_lo, exec_lo, s1
	s_cbranch_vccnz .LBB94_4783
; %bb.4782:
	global_load_u8 v5, v[12:13], off
	s_wait_loadcnt 0x0
	v_lshlrev_b32_e32 v7, 25, v5
	v_lshlrev_b16 v5, 8, v5
	s_delay_alu instid0(VALU_DEP_1) | instskip(SKIP_1) | instid1(VALU_DEP_2)
	v_and_or_b32 v11, 0x7f00, v5, 0.5
	v_bfe_i32 v5, v5, 0, 16
	v_add_f32_e32 v11, -0.5, v11
	v_lshrrev_b32_e32 v9, 4, v7
	v_cmp_gt_u32_e32 vcc_lo, 0x8000000, v7
	s_delay_alu instid0(VALU_DEP_2) | instskip(NEXT) | instid1(VALU_DEP_1)
	v_or_b32_e32 v9, 0x70000000, v9
	v_mul_f32_e32 v9, 0x7800000, v9
	s_delay_alu instid0(VALU_DEP_1) | instskip(NEXT) | instid1(VALU_DEP_1)
	v_cndmask_b32_e32 v7, v9, v11, vcc_lo
	v_and_or_b32 v5, 0x80000000, v5, v7
	s_delay_alu instid0(VALU_DEP_1) | instskip(NEXT) | instid1(VALU_DEP_1)
	v_trunc_f32_e32 v5, v5
	v_mul_f32_e64 v7, 0x2f800000, |v5|
	v_ashrrev_i32_e32 v16, 31, v5
	s_delay_alu instid0(VALU_DEP_2) | instskip(NEXT) | instid1(VALU_DEP_2)
	v_floor_f32_e32 v7, v7
	v_mov_b32_e32 v17, v16
	s_delay_alu instid0(VALU_DEP_2) | instskip(SKIP_1) | instid1(VALU_DEP_2)
	v_fma_f32 v9, 0xcf800000, v7, |v5|
	v_cvt_u32_f32_e32 v5, v7
	v_cvt_u32_f32_e32 v7, v9
	s_delay_alu instid0(VALU_DEP_2) | instskip(NEXT) | instid1(VALU_DEP_2)
	v_xor_b32_e32 v25, v5, v16
	v_xor_b32_e32 v24, v7, v16
	s_delay_alu instid0(VALU_DEP_1)
	v_sub_nc_u64_e32 v[16:17], v[24:25], v[16:17]
.LBB94_4783:
	s_mov_b32 s1, 0
	s_mov_b32 s5, -1
.LBB94_4784:
	s_and_not1_b32 vcc_lo, exec_lo, s1
	s_mov_b32 s1, 0
	s_cbranch_vccnz .LBB94_4795
; %bb.4785:
	s_cmp_gt_i32 s59, 14
	s_cbranch_scc0 .LBB94_4788
; %bb.4786:
	s_cmp_eq_u32 s59, 15
	s_cbranch_scc0 .LBB94_4791
; %bb.4787:
	global_load_u16 v5, v[12:13], off
	s_mov_b32 s0, 0
	s_mov_b32 s5, -1
	s_wait_loadcnt 0x0
	v_lshlrev_b32_e32 v5, 16, v5
	s_delay_alu instid0(VALU_DEP_1) | instskip(NEXT) | instid1(VALU_DEP_1)
	v_trunc_f32_e32 v5, v5
	v_mul_f32_e64 v7, 0x2f800000, |v5|
	v_ashrrev_i32_e32 v16, 31, v5
	s_delay_alu instid0(VALU_DEP_2) | instskip(NEXT) | instid1(VALU_DEP_2)
	v_floor_f32_e32 v7, v7
	v_mov_b32_e32 v17, v16
	s_delay_alu instid0(VALU_DEP_2) | instskip(SKIP_1) | instid1(VALU_DEP_2)
	v_fma_f32 v9, 0xcf800000, v7, |v5|
	v_cvt_u32_f32_e32 v5, v7
	v_cvt_u32_f32_e32 v7, v9
	s_delay_alu instid0(VALU_DEP_2) | instskip(NEXT) | instid1(VALU_DEP_2)
	v_xor_b32_e32 v25, v5, v16
	v_xor_b32_e32 v24, v7, v16
	s_delay_alu instid0(VALU_DEP_1)
	v_sub_nc_u64_e32 v[16:17], v[24:25], v[16:17]
	s_branch .LBB94_4793
.LBB94_4788:
	s_mov_b32 s1, -1
	s_branch .LBB94_4792
.LBB94_4789:
	s_and_not1_saveexec_b32 s1, s1
	s_cbranch_execz .LBB94_4770
.LBB94_4790:
	v_cmp_ne_u16_e32 vcc_lo, 0, v5
	s_and_not1_b32 s5, s5, exec_lo
	s_and_b32 s20, vcc_lo, exec_lo
	s_delay_alu instid0(SALU_CYCLE_1)
	s_or_b32 s5, s5, s20
	s_or_b32 exec_lo, exec_lo, s1
	v_mov_b64_e32 v[16:17], 0
	s_and_saveexec_b32 s1, s5
	s_cbranch_execnz .LBB94_4771
	s_branch .LBB94_4772
.LBB94_4791:
	s_mov_b32 s0, -1
.LBB94_4792:
                                        ; implicit-def: $vgpr16_vgpr17
.LBB94_4793:
	s_and_b32 vcc_lo, exec_lo, s1
	s_mov_b32 s1, 0
	s_cbranch_vccz .LBB94_4795
; %bb.4794:
	s_cmp_lg_u32 s59, 11
	s_mov_b32 s1, -1
	s_cselect_b32 s0, -1, 0
.LBB94_4795:
	s_delay_alu instid0(SALU_CYCLE_1)
	s_and_b32 vcc_lo, exec_lo, s0
	s_cbranch_vccnz .LBB94_4860
; %bb.4796:
	s_and_not1_b32 vcc_lo, exec_lo, s1
	s_cbranch_vccnz .LBB94_4798
.LBB94_4797:
	global_load_u8 v5, v[12:13], off
	s_mov_b32 s0, 0
	s_mov_b32 s5, -1
	s_wait_loadcnt 0x1
	v_mov_b32_e32 v17, s0
	s_wait_loadcnt 0x0
	v_cmp_ne_u16_e32 vcc_lo, 0, v5
	v_cndmask_b32_e64 v16, 0, 1, vcc_lo
.LBB94_4798:
	s_mov_b32 s0, 0
.LBB94_4799:
	s_delay_alu instid0(SALU_CYCLE_1)
	s_and_b32 vcc_lo, exec_lo, s0
	s_cbranch_vccz .LBB94_4848
; %bb.4800:
	s_cmp_lt_i32 s59, 5
	s_cbranch_scc1 .LBB94_4805
; %bb.4801:
	s_cmp_lt_i32 s59, 8
	s_cbranch_scc1 .LBB94_4806
	;; [unrolled: 3-line block ×3, first 2 shown]
; %bb.4803:
	s_cmp_gt_i32 s59, 9
	s_cbranch_scc0 .LBB94_4808
; %bb.4804:
	s_wait_loadcnt 0x0
	global_load_b64 v[16:17], v[12:13], off
	s_mov_b32 s0, 0
	s_wait_loadcnt 0x0
	v_trunc_f64_e32 v[16:17], v[16:17]
	s_delay_alu instid0(VALU_DEP_1) | instskip(NEXT) | instid1(VALU_DEP_1)
	v_ldexp_f64 v[24:25], v[16:17], 0xffffffe0
	v_floor_f64_e32 v[24:25], v[24:25]
	s_delay_alu instid0(VALU_DEP_1) | instskip(SKIP_1) | instid1(VALU_DEP_2)
	v_fmamk_f64 v[28:29], v[24:25], 0xc1f00000, v[16:17]
	v_cvt_i32_f64_e32 v17, v[24:25]
	v_cvt_u32_f64_e32 v16, v[28:29]
	s_branch .LBB94_4809
.LBB94_4805:
	s_mov_b32 s0, -1
                                        ; implicit-def: $vgpr16_vgpr17
	s_branch .LBB94_4827
.LBB94_4806:
	s_mov_b32 s0, -1
                                        ; implicit-def: $vgpr16_vgpr17
	s_branch .LBB94_4815
.LBB94_4807:
	s_mov_b32 s0, -1
                                        ; implicit-def: $vgpr16_vgpr17
	s_branch .LBB94_4812
.LBB94_4808:
	s_mov_b32 s0, -1
                                        ; implicit-def: $vgpr16_vgpr17
.LBB94_4809:
	s_delay_alu instid0(SALU_CYCLE_1)
	s_and_not1_b32 vcc_lo, exec_lo, s0
	s_cbranch_vccnz .LBB94_4811
; %bb.4810:
	global_load_b32 v5, v[12:13], off
	s_wait_loadcnt 0x0
	v_trunc_f32_e32 v5, v5
	s_delay_alu instid0(VALU_DEP_1) | instskip(SKIP_1) | instid1(VALU_DEP_2)
	v_mul_f32_e64 v7, 0x2f800000, |v5|
	v_ashrrev_i32_e32 v16, 31, v5
	v_floor_f32_e32 v7, v7
	s_delay_alu instid0(VALU_DEP_1) | instskip(SKIP_1) | instid1(VALU_DEP_4)
	v_fma_f32 v9, 0xcf800000, v7, |v5|
	v_cvt_u32_f32_e32 v5, v7
	v_mov_b32_e32 v17, v16
	s_delay_alu instid0(VALU_DEP_3) | instskip(NEXT) | instid1(VALU_DEP_3)
	v_cvt_u32_f32_e32 v7, v9
	v_xor_b32_e32 v25, v5, v16
	s_delay_alu instid0(VALU_DEP_2) | instskip(NEXT) | instid1(VALU_DEP_1)
	v_xor_b32_e32 v24, v7, v16
	v_sub_nc_u64_e32 v[16:17], v[24:25], v[16:17]
.LBB94_4811:
	s_mov_b32 s0, 0
.LBB94_4812:
	s_delay_alu instid0(SALU_CYCLE_1)
	s_and_not1_b32 vcc_lo, exec_lo, s0
	s_cbranch_vccnz .LBB94_4814
; %bb.4813:
	global_load_b32 v5, v[12:13], off
	s_wait_loadcnt 0x0
	v_cvt_f32_f16_e32 v5, v5
	s_delay_alu instid0(VALU_DEP_1) | instskip(NEXT) | instid1(VALU_DEP_1)
	v_cvt_i32_f32_e32 v16, v5
	v_ashrrev_i32_e32 v17, 31, v16
.LBB94_4814:
	s_mov_b32 s0, 0
.LBB94_4815:
	s_delay_alu instid0(SALU_CYCLE_1)
	s_and_not1_b32 vcc_lo, exec_lo, s0
	s_cbranch_vccnz .LBB94_4826
; %bb.4816:
	s_cmp_lt_i32 s59, 6
	s_cbranch_scc1 .LBB94_4819
; %bb.4817:
	s_cmp_gt_i32 s59, 6
	s_cbranch_scc0 .LBB94_4820
; %bb.4818:
	s_wait_loadcnt 0x0
	global_load_b64 v[16:17], v[12:13], off
	s_mov_b32 s0, 0
	s_wait_loadcnt 0x0
	v_trunc_f64_e32 v[16:17], v[16:17]
	s_delay_alu instid0(VALU_DEP_1) | instskip(NEXT) | instid1(VALU_DEP_1)
	v_ldexp_f64 v[24:25], v[16:17], 0xffffffe0
	v_floor_f64_e32 v[24:25], v[24:25]
	s_delay_alu instid0(VALU_DEP_1) | instskip(SKIP_1) | instid1(VALU_DEP_2)
	v_fmamk_f64 v[28:29], v[24:25], 0xc1f00000, v[16:17]
	v_cvt_i32_f64_e32 v17, v[24:25]
	v_cvt_u32_f64_e32 v16, v[28:29]
	s_branch .LBB94_4821
.LBB94_4819:
	s_mov_b32 s0, -1
                                        ; implicit-def: $vgpr16_vgpr17
	s_branch .LBB94_4824
.LBB94_4820:
	s_mov_b32 s0, -1
                                        ; implicit-def: $vgpr16_vgpr17
.LBB94_4821:
	s_delay_alu instid0(SALU_CYCLE_1)
	s_and_not1_b32 vcc_lo, exec_lo, s0
	s_cbranch_vccnz .LBB94_4823
; %bb.4822:
	global_load_b32 v5, v[12:13], off
	s_wait_loadcnt 0x0
	v_trunc_f32_e32 v5, v5
	s_delay_alu instid0(VALU_DEP_1) | instskip(SKIP_1) | instid1(VALU_DEP_2)
	v_mul_f32_e64 v7, 0x2f800000, |v5|
	v_ashrrev_i32_e32 v16, 31, v5
	v_floor_f32_e32 v7, v7
	s_delay_alu instid0(VALU_DEP_1) | instskip(SKIP_1) | instid1(VALU_DEP_4)
	v_fma_f32 v9, 0xcf800000, v7, |v5|
	v_cvt_u32_f32_e32 v5, v7
	v_mov_b32_e32 v17, v16
	s_delay_alu instid0(VALU_DEP_3) | instskip(NEXT) | instid1(VALU_DEP_3)
	v_cvt_u32_f32_e32 v7, v9
	v_xor_b32_e32 v25, v5, v16
	s_delay_alu instid0(VALU_DEP_2) | instskip(NEXT) | instid1(VALU_DEP_1)
	v_xor_b32_e32 v24, v7, v16
	v_sub_nc_u64_e32 v[16:17], v[24:25], v[16:17]
.LBB94_4823:
	s_mov_b32 s0, 0
.LBB94_4824:
	s_delay_alu instid0(SALU_CYCLE_1)
	s_and_not1_b32 vcc_lo, exec_lo, s0
	s_cbranch_vccnz .LBB94_4826
; %bb.4825:
	global_load_u16 v5, v[12:13], off
	s_wait_loadcnt 0x0
	v_cvt_f32_f16_e32 v5, v5
	s_delay_alu instid0(VALU_DEP_1) | instskip(NEXT) | instid1(VALU_DEP_1)
	v_cvt_i32_f32_e32 v16, v5
	v_ashrrev_i32_e32 v17, 31, v16
.LBB94_4826:
	s_mov_b32 s0, 0
.LBB94_4827:
	s_delay_alu instid0(SALU_CYCLE_1)
	s_and_not1_b32 vcc_lo, exec_lo, s0
	s_cbranch_vccnz .LBB94_4847
; %bb.4828:
	s_cmp_lt_i32 s59, 2
	s_cbranch_scc1 .LBB94_4832
; %bb.4829:
	s_cmp_lt_i32 s59, 3
	s_cbranch_scc1 .LBB94_4833
; %bb.4830:
	s_cmp_gt_i32 s59, 3
	s_cbranch_scc0 .LBB94_4834
; %bb.4831:
	s_wait_loadcnt 0x0
	global_load_b64 v[16:17], v[12:13], off
	s_mov_b32 s0, 0
	s_branch .LBB94_4835
.LBB94_4832:
	s_mov_b32 s0, -1
                                        ; implicit-def: $vgpr16_vgpr17
	s_branch .LBB94_4841
.LBB94_4833:
	s_mov_b32 s0, -1
                                        ; implicit-def: $vgpr16_vgpr17
	s_branch .LBB94_4838
.LBB94_4834:
	s_mov_b32 s0, -1
                                        ; implicit-def: $vgpr16_vgpr17
.LBB94_4835:
	s_delay_alu instid0(SALU_CYCLE_1)
	s_and_not1_b32 vcc_lo, exec_lo, s0
	s_cbranch_vccnz .LBB94_4837
; %bb.4836:
	s_wait_loadcnt 0x0
	global_load_b32 v16, v[12:13], off
	s_wait_loadcnt 0x0
	v_ashrrev_i32_e32 v17, 31, v16
.LBB94_4837:
	s_mov_b32 s0, 0
.LBB94_4838:
	s_delay_alu instid0(SALU_CYCLE_1)
	s_and_not1_b32 vcc_lo, exec_lo, s0
	s_cbranch_vccnz .LBB94_4840
; %bb.4839:
	global_load_u16 v5, v[12:13], off
	s_wait_loadcnt 0x0
	v_bfe_i32 v16, v5, 0, 16
	s_delay_alu instid0(VALU_DEP_1)
	v_ashrrev_i32_e32 v17, 31, v16
.LBB94_4840:
	s_mov_b32 s0, 0
.LBB94_4841:
	s_delay_alu instid0(SALU_CYCLE_1)
	s_and_not1_b32 vcc_lo, exec_lo, s0
	s_cbranch_vccnz .LBB94_4847
; %bb.4842:
	s_cmp_gt_i32 s59, 0
	s_mov_b32 s0, 0
	s_cbranch_scc0 .LBB94_4844
; %bb.4843:
	global_load_i8 v5, v[12:13], off
	s_wait_loadcnt 0x0
	v_bfe_i32 v16, v5, 0, 16
	s_delay_alu instid0(VALU_DEP_1)
	v_ashrrev_i32_e32 v17, 31, v16
	s_branch .LBB94_4845
.LBB94_4844:
	s_mov_b32 s0, -1
                                        ; implicit-def: $vgpr16_vgpr17
.LBB94_4845:
	s_delay_alu instid0(SALU_CYCLE_1)
	s_and_not1_b32 vcc_lo, exec_lo, s0
	s_cbranch_vccnz .LBB94_4847
; %bb.4846:
	global_load_u8 v5, v[12:13], off
	s_mov_b32 s0, 0
	s_wait_loadcnt 0x1
	v_mov_b32_e32 v17, s0
	s_wait_loadcnt 0x0
	v_and_b32_e32 v16, 0xffff, v5
.LBB94_4847:
	s_mov_b32 s5, -1
.LBB94_4848:
	s_delay_alu instid0(SALU_CYCLE_1)
	s_and_not1_b32 vcc_lo, exec_lo, s5
	s_cbranch_vccnz .LBB94_4984
; %bb.4849:
	s_wait_xcnt 0x0
	v_add_nc_u32_e32 v12, s64, v18
	s_cmp_lt_i32 s60, 11
	s_delay_alu instid0(VALU_DEP_1) | instskip(NEXT) | instid1(VALU_DEP_1)
	v_ashrrev_i32_e32 v13, 31, v12
	v_add_nc_u64_e32 v[18:19], s[14:15], v[12:13]
	s_cbranch_scc1 .LBB94_4856
; %bb.4850:
	s_cmp_gt_i32 s60, 25
	s_mov_b32 s1, 0
	s_cbranch_scc0 .LBB94_4857
; %bb.4851:
	s_cmp_gt_i32 s60, 28
	s_cbranch_scc0 .LBB94_4858
; %bb.4852:
	s_cmp_gt_i32 s60, 43
	;; [unrolled: 3-line block ×3, first 2 shown]
	s_cbranch_scc0 .LBB94_4861
; %bb.4854:
	s_cmp_eq_u32 s60, 46
	s_mov_b32 s20, 0
	s_cbranch_scc0 .LBB94_4862
; %bb.4855:
	global_load_b32 v5, v[18:19], off
	s_mov_b32 s0, 0
	s_mov_b32 s5, -1
	s_wait_loadcnt 0x0
	v_lshlrev_b32_e32 v5, 16, v5
	s_delay_alu instid0(VALU_DEP_1) | instskip(NEXT) | instid1(VALU_DEP_1)
	v_trunc_f32_e32 v5, v5
	v_mul_f32_e64 v7, 0x2f800000, |v5|
	v_ashrrev_i32_e32 v24, 31, v5
	s_delay_alu instid0(VALU_DEP_2) | instskip(NEXT) | instid1(VALU_DEP_2)
	v_floor_f32_e32 v7, v7
	v_mov_b32_e32 v25, v24
	s_delay_alu instid0(VALU_DEP_2) | instskip(SKIP_1) | instid1(VALU_DEP_2)
	v_fma_f32 v9, 0xcf800000, v7, |v5|
	v_cvt_u32_f32_e32 v5, v7
	v_cvt_u32_f32_e32 v7, v9
	s_delay_alu instid0(VALU_DEP_2) | instskip(NEXT) | instid1(VALU_DEP_2)
	v_xor_b32_e32 v29, v5, v24
	v_xor_b32_e32 v28, v7, v24
	s_delay_alu instid0(VALU_DEP_1)
	v_sub_nc_u64_e32 v[24:25], v[28:29], v[24:25]
	s_branch .LBB94_4864
.LBB94_4856:
	s_mov_b32 s0, -1
	s_mov_b32 s5, 0
                                        ; implicit-def: $vgpr24_vgpr25
	s_branch .LBB94_4926
.LBB94_4857:
	s_mov_b32 s20, -1
	s_mov_b32 s5, 0
	s_mov_b32 s0, 0
                                        ; implicit-def: $vgpr24_vgpr25
	s_branch .LBB94_4891
.LBB94_4858:
	s_mov_b32 s20, -1
	s_mov_b32 s5, 0
	s_mov_b32 s0, 0
                                        ; implicit-def: $vgpr24_vgpr25
	s_branch .LBB94_4874
.LBB94_4859:
	s_mov_b32 s20, -1
	s_mov_b32 s5, 0
	s_mov_b32 s0, 0
                                        ; implicit-def: $vgpr24_vgpr25
	s_branch .LBB94_4869
.LBB94_4860:
	s_or_b32 s55, s55, exec_lo
	s_trap 2
	s_cbranch_execz .LBB94_4797
	s_branch .LBB94_4798
.LBB94_4861:
	s_mov_b32 s20, -1
	s_mov_b32 s5, 0
	s_mov_b32 s0, 0
	s_branch .LBB94_4863
.LBB94_4862:
	s_mov_b32 s0, -1
	s_mov_b32 s5, 0
.LBB94_4863:
                                        ; implicit-def: $vgpr24_vgpr25
.LBB94_4864:
	s_and_b32 vcc_lo, exec_lo, s20
	s_cbranch_vccz .LBB94_4868
; %bb.4865:
	s_cmp_eq_u32 s60, 44
	s_cbranch_scc0 .LBB94_4867
; %bb.4866:
	global_load_u8 v5, v[18:19], off
	s_mov_b32 s0, 0
	s_mov_b32 s5, -1
	s_wait_loadcnt 0x0
	v_lshlrev_b32_e32 v7, 23, v5
	v_cmp_ne_u32_e32 vcc_lo, 0, v5
	s_delay_alu instid0(VALU_DEP_2) | instskip(NEXT) | instid1(VALU_DEP_1)
	v_trunc_f32_e32 v7, v7
	v_mul_f32_e64 v9, 0x2f800000, |v7|
	v_ashrrev_i32_e32 v24, 31, v7
	s_delay_alu instid0(VALU_DEP_2) | instskip(NEXT) | instid1(VALU_DEP_2)
	v_floor_f32_e32 v9, v9
	v_mov_b32_e32 v25, v24
	s_delay_alu instid0(VALU_DEP_2) | instskip(SKIP_1) | instid1(VALU_DEP_2)
	v_fma_f32 v11, 0xcf800000, v9, |v7|
	v_cvt_u32_f32_e32 v7, v9
	v_cvt_u32_f32_e32 v9, v11
	s_delay_alu instid0(VALU_DEP_2) | instskip(NEXT) | instid1(VALU_DEP_2)
	v_xor_b32_e32 v29, v7, v24
	v_xor_b32_e32 v28, v9, v24
	s_delay_alu instid0(VALU_DEP_1) | instskip(NEXT) | instid1(VALU_DEP_1)
	v_sub_nc_u64_e32 v[24:25], v[28:29], v[24:25]
	v_dual_cndmask_b32 v25, 0, v25 :: v_dual_cndmask_b32 v24, 0, v24
	s_branch .LBB94_4868
.LBB94_4867:
	s_mov_b32 s0, -1
                                        ; implicit-def: $vgpr24_vgpr25
.LBB94_4868:
	s_mov_b32 s20, 0
.LBB94_4869:
	s_delay_alu instid0(SALU_CYCLE_1)
	s_and_b32 vcc_lo, exec_lo, s20
	s_cbranch_vccz .LBB94_4873
; %bb.4870:
	s_cmp_eq_u32 s60, 29
	s_cbranch_scc0 .LBB94_4872
; %bb.4871:
	global_load_b64 v[24:25], v[18:19], off
	s_mov_b32 s0, 0
	s_mov_b32 s5, -1
	s_branch .LBB94_4873
.LBB94_4872:
	s_mov_b32 s0, -1
                                        ; implicit-def: $vgpr24_vgpr25
.LBB94_4873:
	s_mov_b32 s20, 0
.LBB94_4874:
	s_delay_alu instid0(SALU_CYCLE_1)
	s_and_b32 vcc_lo, exec_lo, s20
	s_cbranch_vccz .LBB94_4890
; %bb.4875:
	s_cmp_lt_i32 s60, 27
	s_cbranch_scc1 .LBB94_4878
; %bb.4876:
	s_cmp_gt_i32 s60, 27
	s_cbranch_scc0 .LBB94_4879
; %bb.4877:
	s_wait_loadcnt 0x0
	global_load_b32 v24, v[18:19], off
	v_mov_b32_e32 v25, 0
	s_mov_b32 s5, 0
	s_branch .LBB94_4880
.LBB94_4878:
	s_mov_b32 s5, -1
                                        ; implicit-def: $vgpr24_vgpr25
	s_branch .LBB94_4883
.LBB94_4879:
	s_mov_b32 s5, -1
                                        ; implicit-def: $vgpr24_vgpr25
.LBB94_4880:
	s_delay_alu instid0(SALU_CYCLE_1)
	s_and_not1_b32 vcc_lo, exec_lo, s5
	s_cbranch_vccnz .LBB94_4882
; %bb.4881:
	global_load_u16 v5, v[18:19], off
	s_mov_b32 s5, 0
	s_wait_loadcnt 0x1
	v_mov_b32_e32 v25, s5
	s_wait_loadcnt 0x0
	v_and_b32_e32 v24, 0xffff, v5
.LBB94_4882:
	s_mov_b32 s5, 0
.LBB94_4883:
	s_delay_alu instid0(SALU_CYCLE_1)
	s_and_not1_b32 vcc_lo, exec_lo, s5
	s_cbranch_vccnz .LBB94_4889
; %bb.4884:
	global_load_u8 v5, v[18:19], off
	s_mov_b32 s20, 0
	s_mov_b32 s5, exec_lo
	s_wait_loadcnt 0x0
	v_cmpx_lt_i16_e32 0x7f, v5
	s_xor_b32 s5, exec_lo, s5
	s_cbranch_execz .LBB94_4901
; %bb.4885:
	v_cmp_ne_u16_e32 vcc_lo, 0x80, v5
	s_and_b32 s20, vcc_lo, exec_lo
	s_and_not1_saveexec_b32 s5, s5
	s_cbranch_execnz .LBB94_4902
.LBB94_4886:
	s_or_b32 exec_lo, exec_lo, s5
	v_mov_b64_e32 v[24:25], 0
	s_and_saveexec_b32 s5, s20
	s_cbranch_execz .LBB94_4888
.LBB94_4887:
	v_and_b32_e32 v7, 0xffff, v5
	s_delay_alu instid0(VALU_DEP_1) | instskip(SKIP_1) | instid1(VALU_DEP_2)
	v_dual_lshlrev_b32 v5, 24, v5 :: v_dual_bitop2_b32 v9, 7, v7 bitop3:0x40
	v_bfe_u32 v24, v7, 3, 4
	v_and_b32_e32 v5, 0x80000000, v5
	s_delay_alu instid0(VALU_DEP_3) | instskip(NEXT) | instid1(VALU_DEP_3)
	v_clz_i32_u32_e32 v11, v9
	v_cmp_eq_u32_e32 vcc_lo, 0, v24
	s_delay_alu instid0(VALU_DEP_2) | instskip(NEXT) | instid1(VALU_DEP_1)
	v_min_u32_e32 v11, 32, v11
	v_subrev_nc_u32_e32 v13, 28, v11
	v_sub_nc_u32_e32 v11, 29, v11
	s_delay_alu instid0(VALU_DEP_2) | instskip(NEXT) | instid1(VALU_DEP_2)
	v_lshlrev_b32_e32 v7, v13, v7
	v_cndmask_b32_e32 v11, v24, v11, vcc_lo
	s_delay_alu instid0(VALU_DEP_2) | instskip(NEXT) | instid1(VALU_DEP_1)
	v_and_b32_e32 v7, 7, v7
	v_cndmask_b32_e32 v7, v9, v7, vcc_lo
	s_delay_alu instid0(VALU_DEP_3) | instskip(NEXT) | instid1(VALU_DEP_2)
	v_lshl_add_u32 v9, v11, 23, 0x3b800000
	v_lshlrev_b32_e32 v7, 20, v7
	s_delay_alu instid0(VALU_DEP_1) | instskip(NEXT) | instid1(VALU_DEP_1)
	v_or3_b32 v5, v5, v9, v7
	v_trunc_f32_e32 v5, v5
	s_delay_alu instid0(VALU_DEP_1) | instskip(SKIP_1) | instid1(VALU_DEP_2)
	v_mul_f32_e64 v7, 0x2f800000, |v5|
	v_ashrrev_i32_e32 v24, 31, v5
	v_floor_f32_e32 v7, v7
	s_delay_alu instid0(VALU_DEP_2) | instskip(NEXT) | instid1(VALU_DEP_2)
	v_mov_b32_e32 v25, v24
	v_fma_f32 v9, 0xcf800000, v7, |v5|
	v_cvt_u32_f32_e32 v5, v7
	s_delay_alu instid0(VALU_DEP_2) | instskip(NEXT) | instid1(VALU_DEP_2)
	v_cvt_u32_f32_e32 v7, v9
	v_xor_b32_e32 v29, v5, v24
	s_delay_alu instid0(VALU_DEP_2) | instskip(NEXT) | instid1(VALU_DEP_1)
	v_xor_b32_e32 v28, v7, v24
	v_sub_nc_u64_e32 v[24:25], v[28:29], v[24:25]
.LBB94_4888:
	s_or_b32 exec_lo, exec_lo, s5
.LBB94_4889:
	s_mov_b32 s5, -1
.LBB94_4890:
	s_mov_b32 s20, 0
.LBB94_4891:
	s_delay_alu instid0(SALU_CYCLE_1)
	s_and_b32 vcc_lo, exec_lo, s20
	s_cbranch_vccz .LBB94_4922
; %bb.4892:
	s_cmp_gt_i32 s60, 22
	s_cbranch_scc0 .LBB94_4900
; %bb.4893:
	s_cmp_lt_i32 s60, 24
	s_cbranch_scc1 .LBB94_4903
; %bb.4894:
	s_cmp_gt_i32 s60, 24
	s_cbranch_scc0 .LBB94_4904
; %bb.4895:
	global_load_u8 v5, v[18:19], off
	s_mov_b32 s5, 0
	s_mov_b32 s1, exec_lo
	s_wait_loadcnt 0x0
	v_cmpx_lt_i16_e32 0x7f, v5
	s_xor_b32 s1, exec_lo, s1
	s_cbranch_execz .LBB94_4916
; %bb.4896:
	v_cmp_ne_u16_e32 vcc_lo, 0x80, v5
	s_and_b32 s5, vcc_lo, exec_lo
	s_and_not1_saveexec_b32 s1, s1
	s_cbranch_execnz .LBB94_4917
.LBB94_4897:
	s_or_b32 exec_lo, exec_lo, s1
	v_mov_b64_e32 v[24:25], 0
	s_and_saveexec_b32 s1, s5
	s_cbranch_execz .LBB94_4899
.LBB94_4898:
	v_and_b32_e32 v7, 0xffff, v5
	s_delay_alu instid0(VALU_DEP_1) | instskip(SKIP_1) | instid1(VALU_DEP_2)
	v_dual_lshlrev_b32 v5, 24, v5 :: v_dual_bitop2_b32 v9, 3, v7 bitop3:0x40
	v_bfe_u32 v24, v7, 2, 5
	v_and_b32_e32 v5, 0x80000000, v5
	s_delay_alu instid0(VALU_DEP_3) | instskip(NEXT) | instid1(VALU_DEP_3)
	v_clz_i32_u32_e32 v11, v9
	v_cmp_eq_u32_e32 vcc_lo, 0, v24
	s_delay_alu instid0(VALU_DEP_2) | instskip(NEXT) | instid1(VALU_DEP_1)
	v_min_u32_e32 v11, 32, v11
	v_subrev_nc_u32_e32 v13, 29, v11
	v_sub_nc_u32_e32 v11, 30, v11
	s_delay_alu instid0(VALU_DEP_2) | instskip(NEXT) | instid1(VALU_DEP_2)
	v_lshlrev_b32_e32 v7, v13, v7
	v_cndmask_b32_e32 v11, v24, v11, vcc_lo
	s_delay_alu instid0(VALU_DEP_2) | instskip(NEXT) | instid1(VALU_DEP_1)
	v_and_b32_e32 v7, 3, v7
	v_cndmask_b32_e32 v7, v9, v7, vcc_lo
	s_delay_alu instid0(VALU_DEP_3) | instskip(NEXT) | instid1(VALU_DEP_2)
	v_lshl_add_u32 v9, v11, 23, 0x37800000
	v_lshlrev_b32_e32 v7, 21, v7
	s_delay_alu instid0(VALU_DEP_1) | instskip(NEXT) | instid1(VALU_DEP_1)
	v_or3_b32 v5, v5, v9, v7
	v_trunc_f32_e32 v5, v5
	s_delay_alu instid0(VALU_DEP_1) | instskip(SKIP_1) | instid1(VALU_DEP_2)
	v_mul_f32_e64 v7, 0x2f800000, |v5|
	v_ashrrev_i32_e32 v24, 31, v5
	v_floor_f32_e32 v7, v7
	s_delay_alu instid0(VALU_DEP_2) | instskip(NEXT) | instid1(VALU_DEP_2)
	v_mov_b32_e32 v25, v24
	v_fma_f32 v9, 0xcf800000, v7, |v5|
	v_cvt_u32_f32_e32 v5, v7
	s_delay_alu instid0(VALU_DEP_2) | instskip(NEXT) | instid1(VALU_DEP_2)
	v_cvt_u32_f32_e32 v7, v9
	v_xor_b32_e32 v29, v5, v24
	s_delay_alu instid0(VALU_DEP_2) | instskip(NEXT) | instid1(VALU_DEP_1)
	v_xor_b32_e32 v28, v7, v24
	v_sub_nc_u64_e32 v[24:25], v[28:29], v[24:25]
.LBB94_4899:
	s_or_b32 exec_lo, exec_lo, s1
	s_mov_b32 s1, 0
	s_branch .LBB94_4905
.LBB94_4900:
	s_mov_b32 s1, -1
                                        ; implicit-def: $vgpr24_vgpr25
	s_branch .LBB94_4911
.LBB94_4901:
	s_and_not1_saveexec_b32 s5, s5
	s_cbranch_execz .LBB94_4886
.LBB94_4902:
	v_cmp_ne_u16_e32 vcc_lo, 0, v5
	s_and_not1_b32 s20, s20, exec_lo
	s_and_b32 s21, vcc_lo, exec_lo
	s_delay_alu instid0(SALU_CYCLE_1)
	s_or_b32 s20, s20, s21
	s_or_b32 exec_lo, exec_lo, s5
	v_mov_b64_e32 v[24:25], 0
	s_and_saveexec_b32 s5, s20
	s_cbranch_execnz .LBB94_4887
	s_branch .LBB94_4888
.LBB94_4903:
	s_mov_b32 s1, -1
                                        ; implicit-def: $vgpr24_vgpr25
	s_branch .LBB94_4908
.LBB94_4904:
	s_mov_b32 s1, -1
                                        ; implicit-def: $vgpr24_vgpr25
.LBB94_4905:
	s_delay_alu instid0(SALU_CYCLE_1)
	s_and_b32 vcc_lo, exec_lo, s1
	s_cbranch_vccz .LBB94_4907
; %bb.4906:
	global_load_u8 v5, v[18:19], off
	s_wait_loadcnt 0x0
	v_lshlrev_b32_e32 v5, 24, v5
	s_delay_alu instid0(VALU_DEP_1) | instskip(NEXT) | instid1(VALU_DEP_1)
	v_and_b32_e32 v7, 0x7f000000, v5
	v_clz_i32_u32_e32 v9, v7
	v_add_nc_u32_e32 v13, 0x1000000, v7
	v_cmp_ne_u32_e32 vcc_lo, 0, v7
	s_delay_alu instid0(VALU_DEP_3) | instskip(NEXT) | instid1(VALU_DEP_1)
	v_min_u32_e32 v9, 32, v9
	v_sub_nc_u32_e64 v9, v9, 4 clamp
	s_delay_alu instid0(VALU_DEP_1) | instskip(NEXT) | instid1(VALU_DEP_1)
	v_dual_lshlrev_b32 v11, v9, v7 :: v_dual_lshlrev_b32 v9, 23, v9
	v_lshrrev_b32_e32 v11, 4, v11
	s_delay_alu instid0(VALU_DEP_1) | instskip(SKIP_1) | instid1(VALU_DEP_2)
	v_sub_nc_u32_e32 v9, v11, v9
	v_ashrrev_i32_e32 v11, 8, v13
	v_add_nc_u32_e32 v9, 0x3c000000, v9
	s_delay_alu instid0(VALU_DEP_1) | instskip(NEXT) | instid1(VALU_DEP_1)
	v_and_or_b32 v9, 0x7f800000, v11, v9
	v_cndmask_b32_e32 v7, 0, v9, vcc_lo
	s_delay_alu instid0(VALU_DEP_1) | instskip(NEXT) | instid1(VALU_DEP_1)
	v_and_or_b32 v5, 0x80000000, v5, v7
	v_trunc_f32_e32 v5, v5
	s_delay_alu instid0(VALU_DEP_1) | instskip(SKIP_1) | instid1(VALU_DEP_2)
	v_mul_f32_e64 v7, 0x2f800000, |v5|
	v_ashrrev_i32_e32 v24, 31, v5
	v_floor_f32_e32 v7, v7
	s_delay_alu instid0(VALU_DEP_2) | instskip(NEXT) | instid1(VALU_DEP_2)
	v_mov_b32_e32 v25, v24
	v_fma_f32 v9, 0xcf800000, v7, |v5|
	v_cvt_u32_f32_e32 v5, v7
	s_delay_alu instid0(VALU_DEP_2) | instskip(NEXT) | instid1(VALU_DEP_2)
	v_cvt_u32_f32_e32 v7, v9
	v_xor_b32_e32 v29, v5, v24
	s_delay_alu instid0(VALU_DEP_2) | instskip(NEXT) | instid1(VALU_DEP_1)
	v_xor_b32_e32 v28, v7, v24
	v_sub_nc_u64_e32 v[24:25], v[28:29], v[24:25]
.LBB94_4907:
	s_mov_b32 s1, 0
.LBB94_4908:
	s_delay_alu instid0(SALU_CYCLE_1)
	s_and_not1_b32 vcc_lo, exec_lo, s1
	s_cbranch_vccnz .LBB94_4910
; %bb.4909:
	global_load_u8 v5, v[18:19], off
	s_wait_loadcnt 0x0
	v_lshlrev_b32_e32 v7, 25, v5
	v_lshlrev_b16 v5, 8, v5
	s_delay_alu instid0(VALU_DEP_1) | instskip(SKIP_1) | instid1(VALU_DEP_2)
	v_and_or_b32 v11, 0x7f00, v5, 0.5
	v_bfe_i32 v5, v5, 0, 16
	v_add_f32_e32 v11, -0.5, v11
	v_lshrrev_b32_e32 v9, 4, v7
	v_cmp_gt_u32_e32 vcc_lo, 0x8000000, v7
	s_delay_alu instid0(VALU_DEP_2) | instskip(NEXT) | instid1(VALU_DEP_1)
	v_or_b32_e32 v9, 0x70000000, v9
	v_mul_f32_e32 v9, 0x7800000, v9
	s_delay_alu instid0(VALU_DEP_1) | instskip(NEXT) | instid1(VALU_DEP_1)
	v_cndmask_b32_e32 v7, v9, v11, vcc_lo
	v_and_or_b32 v5, 0x80000000, v5, v7
	s_delay_alu instid0(VALU_DEP_1) | instskip(NEXT) | instid1(VALU_DEP_1)
	v_trunc_f32_e32 v5, v5
	v_mul_f32_e64 v7, 0x2f800000, |v5|
	v_ashrrev_i32_e32 v24, 31, v5
	s_delay_alu instid0(VALU_DEP_2) | instskip(NEXT) | instid1(VALU_DEP_2)
	v_floor_f32_e32 v7, v7
	v_mov_b32_e32 v25, v24
	s_delay_alu instid0(VALU_DEP_2) | instskip(SKIP_1) | instid1(VALU_DEP_2)
	v_fma_f32 v9, 0xcf800000, v7, |v5|
	v_cvt_u32_f32_e32 v5, v7
	v_cvt_u32_f32_e32 v7, v9
	s_delay_alu instid0(VALU_DEP_2) | instskip(NEXT) | instid1(VALU_DEP_2)
	v_xor_b32_e32 v29, v5, v24
	v_xor_b32_e32 v28, v7, v24
	s_delay_alu instid0(VALU_DEP_1)
	v_sub_nc_u64_e32 v[24:25], v[28:29], v[24:25]
.LBB94_4910:
	s_mov_b32 s1, 0
	s_mov_b32 s5, -1
.LBB94_4911:
	s_and_not1_b32 vcc_lo, exec_lo, s1
	s_mov_b32 s1, 0
	s_cbranch_vccnz .LBB94_4922
; %bb.4912:
	s_cmp_gt_i32 s60, 14
	s_cbranch_scc0 .LBB94_4915
; %bb.4913:
	s_cmp_eq_u32 s60, 15
	s_cbranch_scc0 .LBB94_4918
; %bb.4914:
	global_load_u16 v5, v[18:19], off
	s_mov_b32 s0, 0
	s_mov_b32 s5, -1
	s_wait_loadcnt 0x0
	v_lshlrev_b32_e32 v5, 16, v5
	s_delay_alu instid0(VALU_DEP_1) | instskip(NEXT) | instid1(VALU_DEP_1)
	v_trunc_f32_e32 v5, v5
	v_mul_f32_e64 v7, 0x2f800000, |v5|
	v_ashrrev_i32_e32 v24, 31, v5
	s_delay_alu instid0(VALU_DEP_2) | instskip(NEXT) | instid1(VALU_DEP_2)
	v_floor_f32_e32 v7, v7
	v_mov_b32_e32 v25, v24
	s_delay_alu instid0(VALU_DEP_2) | instskip(SKIP_1) | instid1(VALU_DEP_2)
	v_fma_f32 v9, 0xcf800000, v7, |v5|
	v_cvt_u32_f32_e32 v5, v7
	v_cvt_u32_f32_e32 v7, v9
	s_delay_alu instid0(VALU_DEP_2) | instskip(NEXT) | instid1(VALU_DEP_2)
	v_xor_b32_e32 v29, v5, v24
	v_xor_b32_e32 v28, v7, v24
	s_delay_alu instid0(VALU_DEP_1)
	v_sub_nc_u64_e32 v[24:25], v[28:29], v[24:25]
	s_branch .LBB94_4920
.LBB94_4915:
	s_mov_b32 s1, -1
	s_branch .LBB94_4919
.LBB94_4916:
	s_and_not1_saveexec_b32 s1, s1
	s_cbranch_execz .LBB94_4897
.LBB94_4917:
	v_cmp_ne_u16_e32 vcc_lo, 0, v5
	s_and_not1_b32 s5, s5, exec_lo
	s_and_b32 s20, vcc_lo, exec_lo
	s_delay_alu instid0(SALU_CYCLE_1)
	s_or_b32 s5, s5, s20
	s_or_b32 exec_lo, exec_lo, s1
	v_mov_b64_e32 v[24:25], 0
	s_and_saveexec_b32 s1, s5
	s_cbranch_execnz .LBB94_4898
	s_branch .LBB94_4899
.LBB94_4918:
	s_mov_b32 s0, -1
.LBB94_4919:
                                        ; implicit-def: $vgpr24_vgpr25
.LBB94_4920:
	s_and_b32 vcc_lo, exec_lo, s1
	s_mov_b32 s1, 0
	s_cbranch_vccz .LBB94_4922
; %bb.4921:
	s_cmp_lg_u32 s60, 11
	s_mov_b32 s1, -1
	s_cselect_b32 s0, -1, 0
.LBB94_4922:
	s_delay_alu instid0(SALU_CYCLE_1)
	s_and_b32 vcc_lo, exec_lo, s0
	s_cbranch_vccnz .LBB94_5010
; %bb.4923:
	s_and_not1_b32 vcc_lo, exec_lo, s1
	s_cbranch_vccnz .LBB94_4925
.LBB94_4924:
	global_load_u8 v5, v[18:19], off
	s_mov_b32 s0, 0
	s_mov_b32 s5, -1
	s_wait_loadcnt 0x1
	v_mov_b32_e32 v25, s0
	s_wait_loadcnt 0x0
	v_cmp_ne_u16_e32 vcc_lo, 0, v5
	v_cndmask_b32_e64 v24, 0, 1, vcc_lo
.LBB94_4925:
	s_mov_b32 s0, 0
.LBB94_4926:
	s_delay_alu instid0(SALU_CYCLE_1)
	s_and_b32 vcc_lo, exec_lo, s0
	s_cbranch_vccz .LBB94_4975
; %bb.4927:
	s_cmp_lt_i32 s60, 5
	s_cbranch_scc1 .LBB94_4932
; %bb.4928:
	s_cmp_lt_i32 s60, 8
	s_cbranch_scc1 .LBB94_4933
	;; [unrolled: 3-line block ×3, first 2 shown]
; %bb.4930:
	s_cmp_gt_i32 s60, 9
	s_cbranch_scc0 .LBB94_4935
; %bb.4931:
	s_wait_loadcnt 0x0
	global_load_b64 v[24:25], v[18:19], off
	s_mov_b32 s0, 0
	s_wait_loadcnt 0x0
	v_trunc_f64_e32 v[24:25], v[24:25]
	s_delay_alu instid0(VALU_DEP_1) | instskip(NEXT) | instid1(VALU_DEP_1)
	v_ldexp_f64 v[28:29], v[24:25], 0xffffffe0
	v_floor_f64_e32 v[28:29], v[28:29]
	s_delay_alu instid0(VALU_DEP_1) | instskip(SKIP_1) | instid1(VALU_DEP_2)
	v_fmamk_f64 v[30:31], v[28:29], 0xc1f00000, v[24:25]
	v_cvt_i32_f64_e32 v25, v[28:29]
	v_cvt_u32_f64_e32 v24, v[30:31]
	s_branch .LBB94_4936
.LBB94_4932:
	s_mov_b32 s0, -1
                                        ; implicit-def: $vgpr24_vgpr25
	s_branch .LBB94_4954
.LBB94_4933:
	s_mov_b32 s0, -1
                                        ; implicit-def: $vgpr24_vgpr25
	s_branch .LBB94_4942
.LBB94_4934:
	s_mov_b32 s0, -1
                                        ; implicit-def: $vgpr24_vgpr25
	s_branch .LBB94_4939
.LBB94_4935:
	s_mov_b32 s0, -1
                                        ; implicit-def: $vgpr24_vgpr25
.LBB94_4936:
	s_delay_alu instid0(SALU_CYCLE_1)
	s_and_not1_b32 vcc_lo, exec_lo, s0
	s_cbranch_vccnz .LBB94_4938
; %bb.4937:
	global_load_b32 v5, v[18:19], off
	s_wait_loadcnt 0x0
	v_trunc_f32_e32 v5, v5
	s_delay_alu instid0(VALU_DEP_1) | instskip(SKIP_1) | instid1(VALU_DEP_2)
	v_mul_f32_e64 v7, 0x2f800000, |v5|
	v_ashrrev_i32_e32 v24, 31, v5
	v_floor_f32_e32 v7, v7
	s_delay_alu instid0(VALU_DEP_1) | instskip(SKIP_1) | instid1(VALU_DEP_4)
	v_fma_f32 v9, 0xcf800000, v7, |v5|
	v_cvt_u32_f32_e32 v5, v7
	v_mov_b32_e32 v25, v24
	s_delay_alu instid0(VALU_DEP_3) | instskip(NEXT) | instid1(VALU_DEP_3)
	v_cvt_u32_f32_e32 v7, v9
	v_xor_b32_e32 v29, v5, v24
	s_delay_alu instid0(VALU_DEP_2) | instskip(NEXT) | instid1(VALU_DEP_1)
	v_xor_b32_e32 v28, v7, v24
	v_sub_nc_u64_e32 v[24:25], v[28:29], v[24:25]
.LBB94_4938:
	s_mov_b32 s0, 0
.LBB94_4939:
	s_delay_alu instid0(SALU_CYCLE_1)
	s_and_not1_b32 vcc_lo, exec_lo, s0
	s_cbranch_vccnz .LBB94_4941
; %bb.4940:
	global_load_b32 v5, v[18:19], off
	s_wait_loadcnt 0x0
	v_cvt_f32_f16_e32 v5, v5
	s_delay_alu instid0(VALU_DEP_1) | instskip(NEXT) | instid1(VALU_DEP_1)
	v_cvt_i32_f32_e32 v24, v5
	v_ashrrev_i32_e32 v25, 31, v24
.LBB94_4941:
	s_mov_b32 s0, 0
.LBB94_4942:
	s_delay_alu instid0(SALU_CYCLE_1)
	s_and_not1_b32 vcc_lo, exec_lo, s0
	s_cbranch_vccnz .LBB94_4953
; %bb.4943:
	s_cmp_lt_i32 s60, 6
	s_cbranch_scc1 .LBB94_4946
; %bb.4944:
	s_cmp_gt_i32 s60, 6
	s_cbranch_scc0 .LBB94_4947
; %bb.4945:
	s_wait_loadcnt 0x0
	global_load_b64 v[24:25], v[18:19], off
	s_mov_b32 s0, 0
	s_wait_loadcnt 0x0
	v_trunc_f64_e32 v[24:25], v[24:25]
	s_delay_alu instid0(VALU_DEP_1) | instskip(NEXT) | instid1(VALU_DEP_1)
	v_ldexp_f64 v[28:29], v[24:25], 0xffffffe0
	v_floor_f64_e32 v[28:29], v[28:29]
	s_delay_alu instid0(VALU_DEP_1) | instskip(SKIP_1) | instid1(VALU_DEP_2)
	v_fmamk_f64 v[30:31], v[28:29], 0xc1f00000, v[24:25]
	v_cvt_i32_f64_e32 v25, v[28:29]
	v_cvt_u32_f64_e32 v24, v[30:31]
	s_branch .LBB94_4948
.LBB94_4946:
	s_mov_b32 s0, -1
                                        ; implicit-def: $vgpr24_vgpr25
	s_branch .LBB94_4951
.LBB94_4947:
	s_mov_b32 s0, -1
                                        ; implicit-def: $vgpr24_vgpr25
.LBB94_4948:
	s_delay_alu instid0(SALU_CYCLE_1)
	s_and_not1_b32 vcc_lo, exec_lo, s0
	s_cbranch_vccnz .LBB94_4950
; %bb.4949:
	global_load_b32 v5, v[18:19], off
	s_wait_loadcnt 0x0
	v_trunc_f32_e32 v5, v5
	s_delay_alu instid0(VALU_DEP_1) | instskip(SKIP_1) | instid1(VALU_DEP_2)
	v_mul_f32_e64 v7, 0x2f800000, |v5|
	v_ashrrev_i32_e32 v24, 31, v5
	v_floor_f32_e32 v7, v7
	s_delay_alu instid0(VALU_DEP_1) | instskip(SKIP_1) | instid1(VALU_DEP_4)
	v_fma_f32 v9, 0xcf800000, v7, |v5|
	v_cvt_u32_f32_e32 v5, v7
	v_mov_b32_e32 v25, v24
	s_delay_alu instid0(VALU_DEP_3) | instskip(NEXT) | instid1(VALU_DEP_3)
	v_cvt_u32_f32_e32 v7, v9
	v_xor_b32_e32 v29, v5, v24
	s_delay_alu instid0(VALU_DEP_2) | instskip(NEXT) | instid1(VALU_DEP_1)
	v_xor_b32_e32 v28, v7, v24
	v_sub_nc_u64_e32 v[24:25], v[28:29], v[24:25]
.LBB94_4950:
	s_mov_b32 s0, 0
.LBB94_4951:
	s_delay_alu instid0(SALU_CYCLE_1)
	s_and_not1_b32 vcc_lo, exec_lo, s0
	s_cbranch_vccnz .LBB94_4953
; %bb.4952:
	global_load_u16 v5, v[18:19], off
	s_wait_loadcnt 0x0
	v_cvt_f32_f16_e32 v5, v5
	s_delay_alu instid0(VALU_DEP_1) | instskip(NEXT) | instid1(VALU_DEP_1)
	v_cvt_i32_f32_e32 v24, v5
	v_ashrrev_i32_e32 v25, 31, v24
.LBB94_4953:
	s_mov_b32 s0, 0
.LBB94_4954:
	s_delay_alu instid0(SALU_CYCLE_1)
	s_and_not1_b32 vcc_lo, exec_lo, s0
	s_cbranch_vccnz .LBB94_4974
; %bb.4955:
	s_cmp_lt_i32 s60, 2
	s_cbranch_scc1 .LBB94_4959
; %bb.4956:
	s_cmp_lt_i32 s60, 3
	s_cbranch_scc1 .LBB94_4960
; %bb.4957:
	s_cmp_gt_i32 s60, 3
	s_cbranch_scc0 .LBB94_4961
; %bb.4958:
	s_wait_loadcnt 0x0
	global_load_b64 v[24:25], v[18:19], off
	s_mov_b32 s0, 0
	s_branch .LBB94_4962
.LBB94_4959:
	s_mov_b32 s0, -1
                                        ; implicit-def: $vgpr24_vgpr25
	s_branch .LBB94_4968
.LBB94_4960:
	s_mov_b32 s0, -1
                                        ; implicit-def: $vgpr24_vgpr25
	s_branch .LBB94_4965
.LBB94_4961:
	s_mov_b32 s0, -1
                                        ; implicit-def: $vgpr24_vgpr25
.LBB94_4962:
	s_delay_alu instid0(SALU_CYCLE_1)
	s_and_not1_b32 vcc_lo, exec_lo, s0
	s_cbranch_vccnz .LBB94_4964
; %bb.4963:
	s_wait_loadcnt 0x0
	global_load_b32 v24, v[18:19], off
	s_wait_loadcnt 0x0
	v_ashrrev_i32_e32 v25, 31, v24
.LBB94_4964:
	s_mov_b32 s0, 0
.LBB94_4965:
	s_delay_alu instid0(SALU_CYCLE_1)
	s_and_not1_b32 vcc_lo, exec_lo, s0
	s_cbranch_vccnz .LBB94_4967
; %bb.4966:
	global_load_u16 v5, v[18:19], off
	s_wait_loadcnt 0x0
	v_bfe_i32 v24, v5, 0, 16
	s_delay_alu instid0(VALU_DEP_1)
	v_ashrrev_i32_e32 v25, 31, v24
.LBB94_4967:
	s_mov_b32 s0, 0
.LBB94_4968:
	s_delay_alu instid0(SALU_CYCLE_1)
	s_and_not1_b32 vcc_lo, exec_lo, s0
	s_cbranch_vccnz .LBB94_4974
; %bb.4969:
	s_cmp_gt_i32 s60, 0
	s_mov_b32 s0, 0
	s_cbranch_scc0 .LBB94_4971
; %bb.4970:
	global_load_i8 v5, v[18:19], off
	s_wait_loadcnt 0x0
	v_bfe_i32 v24, v5, 0, 16
	s_delay_alu instid0(VALU_DEP_1)
	v_ashrrev_i32_e32 v25, 31, v24
	s_branch .LBB94_4972
.LBB94_4971:
	s_mov_b32 s0, -1
                                        ; implicit-def: $vgpr24_vgpr25
.LBB94_4972:
	s_delay_alu instid0(SALU_CYCLE_1)
	s_and_not1_b32 vcc_lo, exec_lo, s0
	s_cbranch_vccnz .LBB94_4974
; %bb.4973:
	global_load_u8 v5, v[18:19], off
	s_mov_b32 s0, 0
	s_wait_loadcnt 0x1
	v_mov_b32_e32 v25, s0
	s_wait_loadcnt 0x0
	v_and_b32_e32 v24, 0xffff, v5
.LBB94_4974:
	s_mov_b32 s5, -1
.LBB94_4975:
	s_delay_alu instid0(SALU_CYCLE_1)
	s_and_not1_b32 vcc_lo, exec_lo, s5
	s_cbranch_vccnz .LBB94_4984
; %bb.4976:
	s_mov_b32 s0, exec_lo
	s_wait_loadcnt 0x0
	v_cmpx_ne_u64_e64 v[20:21], v[0:1]
	s_xor_b32 s0, exec_lo, s0
	s_cbranch_execnz .LBB94_5144
.LBB94_4977:
	s_or_saveexec_b32 s61, s0
	s_mov_b32 s1, 0
	s_mov_b32 s5, 0
                                        ; implicit-def: $vgpr20_vgpr21
                                        ; implicit-def: $sgpr0
	s_xor_b32 exec_lo, exec_lo, s61
	s_cbranch_execz .LBB94_5655
; %bb.4978:
	s_mov_b32 s65, s55
	s_mov_b32 s0, exec_lo
	v_cmpx_ne_u64_e64 v[22:23], v[2:3]
	s_xor_b32 s0, exec_lo, s0
	s_cbranch_execnz .LBB94_5272
; %bb.4979:
	s_or_saveexec_b32 s66, s0
                                        ; implicit-def: $vgpr20_vgpr21
                                        ; implicit-def: $sgpr0
	s_delay_alu instid0(SALU_CYCLE_1)
	s_xor_b32 exec_lo, exec_lo, s66
	s_cbranch_execz .LBB94_5654
.LBB94_4980:
	v_sub_nc_u64_e32 v[18:19], v[16:17], v[14:15]
	s_mov_b32 s67, s65
	s_delay_alu instid0(VALU_DEP_1) | instskip(SKIP_2) | instid1(SALU_CYCLE_1)
	v_cmp_gt_i64_e32 vcc_lo, v[0:1], v[18:19]
	v_cmp_lt_i64_e64 s0, s[16:17], v[18:19]
	s_or_b32 s0, vcc_lo, s0
	s_and_saveexec_b32 s1, s0
	s_delay_alu instid0(SALU_CYCLE_1)
	s_xor_b32 s0, exec_lo, s1
	s_cbranch_execnz .LBB94_5400
.LBB94_4981:
	s_or_saveexec_b32 s68, s0
	s_mov_b32 s1, 0
	s_mov_b32 s20, 0
                                        ; implicit-def: $vgpr20_vgpr21
                                        ; implicit-def: $sgpr0
	s_xor_b32 exec_lo, exec_lo, s68
	s_cbranch_execz .LBB94_5653
; %bb.4982:
	v_mov_b64_e32 v[18:19], 0
	s_and_saveexec_b32 s71, s47
	s_cbranch_execz .LBB94_4995
; %bb.4983:
	v_mul_u64_e32 v[22:23], v[24:25], v[2:3]
	s_mov_b32 s5, s1
	v_mov_b64_e32 v[18:19], 0
	s_lshl_b64 s[22:23], s[4:5], 3
	v_mov_b32_e32 v20, 0
	s_add_nc_u64 s[22:23], s[28:29], s[22:23]
	s_mov_b64 s[20:21], 0xffffffff
	s_add_nc_u64 s[22:23], s[22:23], 0x68
	s_mov_b32 s5, s45
	s_branch .LBB94_4991
.LBB94_4984:
	s_mov_b32 s1, 0
	s_mov_b32 s5, 0
                                        ; implicit-def: $vgpr20_vgpr21
                                        ; implicit-def: $sgpr0
.LBB94_4985:
	s_and_not1_b32 s2, s53, exec_lo
	s_and_b32 s3, s55, exec_lo
	s_and_b32 s5, s5, exec_lo
	;; [unrolled: 1-line block ×3, first 2 shown]
	s_or_b32 s53, s2, s3
.LBB94_4986:
	s_wait_xcnt 0x0
	s_or_b32 exec_lo, exec_lo, s54
	s_delay_alu instid0(SALU_CYCLE_1)
	s_and_not1_b32 s2, s51, exec_lo
	s_and_b32 s3, s53, exec_lo
	s_and_b32 s5, s5, exec_lo
	;; [unrolled: 1-line block ×3, first 2 shown]
	s_or_b32 s51, s2, s3
.LBB94_4987:
	s_or_b32 exec_lo, exec_lo, s52
	s_delay_alu instid0(SALU_CYCLE_1)
	s_and_not1_b32 s2, s49, exec_lo
	s_and_b32 s3, s51, exec_lo
	s_and_b32 s5, s5, exec_lo
	;; [unrolled: 1-line block ×3, first 2 shown]
	s_or_b32 s49, s2, s3
.LBB94_4988:
	s_or_b32 exec_lo, exec_lo, s50
	s_delay_alu instid0(SALU_CYCLE_1)
	s_and_not1_b32 s2, s44, exec_lo
	s_and_b32 s3, s49, exec_lo
	s_and_b32 s5, s5, exec_lo
	;; [unrolled: 1-line block ×3, first 2 shown]
	s_or_b32 s44, s2, s3
.LBB94_4989:
	s_or_b32 exec_lo, exec_lo, s48
	s_branch .LBB94_4319
.LBB94_4990:                            ;   in Loop: Header=BB94_4991 Depth=1
	s_or_b32 exec_lo, exec_lo, s0
	s_delay_alu instid0(VALU_DEP_1)
	v_mul_u64_e32 v[28:29], s[24:25], v[24:25]
	s_load_b64 s[24:25], s[22:23], 0x40
	s_add_co_i32 s5, s5, -1
	s_wait_xcnt 0x0
	s_add_nc_u64 s[22:23], s[22:23], -8
	s_cmp_eq_u32 s5, 0
	s_delay_alu instid0(VALU_DEP_1) | instskip(SKIP_1) | instid1(VALU_DEP_1)
	v_sub_nc_u64_e32 v[22:23], v[22:23], v[28:29]
	s_wait_kmcnt 0x0
	v_mad_nc_u64_u32 v[18:19], v22, s24, v[18:19]
	s_delay_alu instid0(VALU_DEP_1) | instskip(NEXT) | instid1(VALU_DEP_1)
	v_mad_u32 v5, v23, s24, v19
	v_mad_u32 v19, v22, s25, v5
	v_mov_b64_e32 v[22:23], v[24:25]
	s_cbranch_scc1 .LBB94_4995
.LBB94_4991:                            ; =>This Inner Loop Header: Depth=1
	s_load_b64 s[24:25], s[22:23], 0x0
                                        ; implicit-def: $vgpr24_vgpr25
	s_mov_b32 s0, exec_lo
	s_wait_kmcnt 0x0
	s_delay_alu instid0(VALU_DEP_1) | instskip(NEXT) | instid1(VALU_DEP_1)
	v_or_b32_e32 v21, s25, v23
	v_cmpx_ne_u64_e32 0, v[20:21]
	s_xor_b32 s72, exec_lo, s0
	s_cbranch_execz .LBB94_4993
; %bb.4992:                             ;   in Loop: Header=BB94_4991 Depth=1
	s_ashr_i32 s26, s25, 31
	v_dual_mov_b32 v31, v20 :: v_dual_ashrrev_i32 v24, 31, v23
	s_mov_b32 s27, s26
	v_mov_b32_e32 v35, v20
	s_add_nc_u64 s[30:31], s[24:25], s[26:27]
	s_delay_alu instid0(VALU_DEP_2)
	v_mov_b32_e32 v25, v24
	s_xor_b64 s[30:31], s[30:31], s[26:27]
	v_mov_b32_e32 v39, v20
	s_cvt_f32_u32 s0, s30
	s_cvt_f32_u32 s27, s31
	s_sub_nc_u64 s[76:77], 0, s[30:31]
	v_add_nc_u64_e32 v[28:29], v[22:23], v[24:25]
	s_delay_alu instid0(SALU_CYCLE_1) | instskip(NEXT) | instid1(SALU_CYCLE_3)
	s_fmamk_f32 s0, s27, 0x4f800000, s0
	v_s_rcp_f32 s0, s0
	s_delay_alu instid0(VALU_DEP_1) | instskip(NEXT) | instid1(VALU_DEP_2)
	v_xor_b32_e32 v34, v29, v24
	v_xor_b32_e32 v30, v28, v24
	;; [unrolled: 1-line block ×3, first 2 shown]
	s_delay_alu instid0(TRANS32_DEP_1) | instskip(NEXT) | instid1(VALU_DEP_1)
	s_mul_f32 s0, s0, 0x5f7ffffc
	v_mov_b32_e32 v25, v24
	s_delay_alu instid0(SALU_CYCLE_2) | instskip(NEXT) | instid1(SALU_CYCLE_3)
	s_mul_f32 s27, s0, 0x2f800000
	s_trunc_f32 s27, s27
	s_delay_alu instid0(SALU_CYCLE_3) | instskip(SKIP_1) | instid1(SALU_CYCLE_2)
	s_fmamk_f32 s0, s27, 0xcf800000, s0
	s_cvt_u32_f32 s75, s27
	s_cvt_u32_f32 s74, s0
	s_delay_alu instid0(SALU_CYCLE_3) | instskip(NEXT) | instid1(SALU_CYCLE_1)
	s_mul_u64 s[78:79], s[76:77], s[74:75]
	s_mul_hi_u32 s81, s74, s79
	s_mul_i32 s80, s74, s79
	s_mul_hi_u32 s0, s74, s78
	s_mul_i32 s73, s75, s78
	s_add_nc_u64 s[80:81], s[0:1], s[80:81]
	s_mul_hi_u32 s27, s75, s78
	s_mul_hi_u32 s82, s75, s79
	s_add_co_u32 s0, s80, s73
	s_add_co_ci_u32 s0, s81, s27
	s_mul_i32 s78, s75, s79
	s_add_co_ci_u32 s79, s82, 0
	s_delay_alu instid0(SALU_CYCLE_1) | instskip(NEXT) | instid1(SALU_CYCLE_1)
	s_add_nc_u64 s[78:79], s[0:1], s[78:79]
	s_add_co_u32 s74, s74, s78
	s_cselect_b32 s0, -1, 0
	s_delay_alu instid0(SALU_CYCLE_1) | instskip(SKIP_1) | instid1(SALU_CYCLE_1)
	s_cmp_lg_u32 s0, 0
	s_add_co_ci_u32 s75, s75, s79
	s_mul_u64 s[76:77], s[76:77], s[74:75]
	s_delay_alu instid0(SALU_CYCLE_1)
	s_mul_hi_u32 s79, s74, s77
	s_mul_i32 s78, s74, s77
	s_mul_hi_u32 s0, s74, s76
	s_mul_i32 s73, s75, s76
	s_add_nc_u64 s[78:79], s[0:1], s[78:79]
	s_mul_hi_u32 s27, s75, s76
	s_mul_hi_u32 s80, s75, s77
	s_add_co_u32 s0, s78, s73
	s_add_co_ci_u32 s0, s79, s27
	s_mul_i32 s76, s75, s77
	s_add_co_ci_u32 s77, s80, 0
	s_delay_alu instid0(SALU_CYCLE_1) | instskip(NEXT) | instid1(SALU_CYCLE_1)
	s_add_nc_u64 s[76:77], s[0:1], s[76:77]
	s_add_co_u32 s74, s74, s76
	s_cselect_b32 s0, -1, 0
	v_mul_hi_u32 v38, v30, s74
	s_cmp_lg_u32 s0, 0
	s_add_co_ci_u32 s0, s75, s77
	s_and_b64 s[76:77], s[74:75], s[20:21]
	v_mul_u64_e32 v[32:33], s[0:1], v[30:31]
	v_mul_u64_e32 v[28:29], s[76:77], v[34:35]
	v_mul_u64_e32 v[36:37], s[0:1], v[34:35]
	s_delay_alu instid0(VALU_DEP_3) | instskip(NEXT) | instid1(VALU_DEP_1)
	v_add_nc_u64_e32 v[32:33], v[38:39], v[32:33]
	v_add_co_u32 v5, vcc_lo, v32, v28
	s_delay_alu instid0(VALU_DEP_2) | instskip(NEXT) | instid1(VALU_DEP_4)
	v_add_co_ci_u32_e32 v38, vcc_lo, v33, v29, vcc_lo
	v_add_co_ci_u32_e32 v37, vcc_lo, 0, v37, vcc_lo
	s_delay_alu instid0(VALU_DEP_1) | instskip(NEXT) | instid1(VALU_DEP_1)
	v_add_nc_u64_e32 v[28:29], v[38:39], v[36:37]
	v_mul_u64_e32 v[32:33], s[30:31], v[28:29]
	s_delay_alu instid0(VALU_DEP_1) | instskip(NEXT) | instid1(VALU_DEP_2)
	v_sub_nc_u32_e32 v5, v34, v33
	v_sub_co_u32 v7, vcc_lo, v30, v32
	s_delay_alu instid0(VALU_DEP_1) | instskip(NEXT) | instid1(VALU_DEP_3)
	v_sub_co_ci_u32_e64 v11, null, v34, v33, vcc_lo
	v_subrev_co_ci_u32_e64 v5, null, s31, v5, vcc_lo
	s_delay_alu instid0(VALU_DEP_3) | instskip(SKIP_1) | instid1(VALU_DEP_3)
	v_sub_co_u32 v9, s0, v7, s30
	v_add_nc_u64_e32 v[30:31], 2, v[28:29]
	v_subrev_co_ci_u32_e64 v5, null, 0, v5, s0
	s_delay_alu instid0(VALU_DEP_3) | instskip(SKIP_2) | instid1(VALU_DEP_4)
	v_cmp_le_u32_e32 vcc_lo, s30, v9
	v_add_nc_u64_e32 v[32:33], 1, v[28:29]
	v_cndmask_b32_e64 v9, 0, -1, vcc_lo
	v_cmp_le_u32_e32 vcc_lo, s31, v5
	v_cndmask_b32_e64 v13, 0, -1, vcc_lo
	v_cmp_le_u32_e32 vcc_lo, s30, v7
	v_cndmask_b32_e64 v7, 0, -1, vcc_lo
	v_cmp_le_u32_e32 vcc_lo, s31, v11
	v_cndmask_b32_e64 v21, 0, -1, vcc_lo
	v_cmp_eq_u32_e32 vcc_lo, s31, v5
	v_cndmask_b32_e32 v5, v13, v9, vcc_lo
	v_cmp_eq_u32_e32 vcc_lo, s31, v11
	s_delay_alu instid0(VALU_DEP_4) | instskip(NEXT) | instid1(VALU_DEP_3)
	v_cndmask_b32_e32 v7, v21, v7, vcc_lo
	v_cmp_ne_u32_e32 vcc_lo, 0, v5
	s_delay_alu instid0(VALU_DEP_2) | instskip(SKIP_1) | instid1(VALU_DEP_1)
	v_cmp_ne_u32_e64 s0, 0, v7
	v_dual_cndmask_b32 v5, v33, v31, vcc_lo :: v_dual_cndmask_b32 v7, v32, v30, vcc_lo
	v_dual_cndmask_b32 v5, v29, v5, s0 :: v_dual_cndmask_b32 v7, v28, v7, s0
	s_delay_alu instid0(VALU_DEP_1) | instskip(NEXT) | instid1(VALU_DEP_2)
	v_xor_b32_e32 v29, v5, v24
	v_xor_b32_e32 v28, v7, v24
	s_delay_alu instid0(VALU_DEP_1)
	v_sub_nc_u64_e32 v[24:25], v[28:29], v[24:25]
.LBB94_4993:                            ;   in Loop: Header=BB94_4991 Depth=1
	s_and_not1_saveexec_b32 s0, s72
	s_cbranch_execz .LBB94_4990
; %bb.4994:                             ;   in Loop: Header=BB94_4991 Depth=1
	v_cvt_f32_u32_e32 v5, s24
	s_sub_co_i32 s26, 0, s24
	v_mov_b32_e32 v25, v20
	s_delay_alu instid0(VALU_DEP_2) | instskip(SKIP_1) | instid1(TRANS32_DEP_1)
	v_rcp_iflag_f32_e32 v5, v5
	v_nop
	v_mul_f32_e32 v5, 0x4f7ffffe, v5
	s_delay_alu instid0(VALU_DEP_1) | instskip(NEXT) | instid1(VALU_DEP_1)
	v_cvt_u32_f32_e32 v5, v5
	v_mul_lo_u32 v7, s26, v5
	s_delay_alu instid0(VALU_DEP_1) | instskip(NEXT) | instid1(VALU_DEP_1)
	v_mul_hi_u32 v7, v5, v7
	v_add_nc_u32_e32 v5, v5, v7
	s_delay_alu instid0(VALU_DEP_1) | instskip(NEXT) | instid1(VALU_DEP_1)
	v_mul_hi_u32 v5, v22, v5
	v_mul_lo_u32 v7, v5, s24
	s_delay_alu instid0(VALU_DEP_1) | instskip(NEXT) | instid1(VALU_DEP_1)
	v_sub_nc_u32_e32 v7, v22, v7
	v_subrev_nc_u32_e32 v11, s24, v7
	v_cmp_le_u32_e32 vcc_lo, s24, v7
	s_delay_alu instid0(VALU_DEP_2) | instskip(NEXT) | instid1(VALU_DEP_1)
	v_dual_add_nc_u32 v9, 1, v5 :: v_dual_cndmask_b32 v7, v7, v11, vcc_lo
	v_cndmask_b32_e32 v5, v5, v9, vcc_lo
	s_delay_alu instid0(VALU_DEP_2) | instskip(NEXT) | instid1(VALU_DEP_2)
	v_cmp_le_u32_e32 vcc_lo, s24, v7
	v_add_nc_u32_e32 v9, 1, v5
	s_delay_alu instid0(VALU_DEP_1)
	v_cndmask_b32_e32 v24, v5, v9, vcc_lo
	s_branch .LBB94_4990
.LBB94_4995:
	s_or_b32 exec_lo, exec_lo, s71
	s_mov_b32 s21, -1
	s_mov_b32 s1, s67
	s_mov_b32 s0, exec_lo
	v_cmpx_gt_i64_e64 v[16:17], v[14:15]
	s_cbranch_execz .LBB94_5002
; %bb.4996:
	s_delay_alu instid0(VALU_DEP_2) | instskip(SKIP_2) | instid1(VALU_DEP_1)
	v_lshlrev_b64_e32 v[18:19], 3, v[18:19]
	s_mov_b32 s5, 0
	s_xor_b32 s20, s46, -1
                                        ; implicit-def: $sgpr1
                                        ; implicit-def: $sgpr22
                                        ; implicit-def: $sgpr21
	v_lshl_add_u64 v[14:15], v[14:15], 3, v[18:19]
	s_wait_kmcnt 0x0
	v_add_nc_u64_e32 v[18:19], s[18:19], v[18:19]
	s_delay_alu instid0(VALU_DEP_2) | instskip(NEXT) | instid1(VALU_DEP_2)
	v_add_nc_u64_e32 v[14:15], s[18:19], v[14:15]
	v_lshl_add_u64 v[16:17], v[16:17], 3, v[18:19]
	s_delay_alu instid0(VALU_DEP_2)
	v_add_nc_u64_e32 v[14:15], 8, v[14:15]
	s_branch .LBB94_4998
.LBB94_4997:                            ;   in Loop: Header=BB94_4998 Depth=1
	s_or_b32 exec_lo, exec_lo, s23
	s_xor_b32 s23, s21, -1
	s_and_b32 s24, exec_lo, s22
	s_delay_alu instid0(SALU_CYCLE_1) | instskip(SKIP_2) | instid1(SALU_CYCLE_1)
	s_or_b32 s5, s24, s5
	s_and_not1_b32 s1, s1, exec_lo
	s_and_b32 s23, s23, exec_lo
	s_or_b32 s1, s1, s23
	s_and_not1_b32 exec_lo, exec_lo, s5
	s_cbranch_execz .LBB94_5000
.LBB94_4998:                            ; =>This Inner Loop Header: Depth=1
	s_or_b32 s21, s21, exec_lo
	s_or_b32 s22, s22, exec_lo
	s_mov_b32 s23, exec_lo
	s_delay_alu instid0(VALU_DEP_1)
	v_cmpx_lt_u64_e64 v[14:15], v[16:17]
	s_cbranch_execz .LBB94_4997
; %bb.4999:                             ;   in Loop: Header=BB94_4998 Depth=1
	global_load_b128 v[18:21], v[14:15], off offset:-8
	s_wait_xcnt 0x0
	v_add_nc_u64_e32 v[14:15], 8, v[14:15]
	s_and_not1_b32 s22, s22, exec_lo
	s_and_not1_b32 s21, s21, exec_lo
	s_wait_loadcnt 0x0
	v_cmp_ge_i64_e32 vcc_lo, v[18:19], v[20:21]
	s_or_b32 s24, s20, vcc_lo
	s_delay_alu instid0(SALU_CYCLE_1) | instskip(NEXT) | instid1(SALU_CYCLE_1)
	s_and_b32 s24, s24, exec_lo
	s_or_b32 s22, s22, s24
	s_branch .LBB94_4997
.LBB94_5000:
	s_or_b32 exec_lo, exec_lo, s5
	s_mov_b32 s5, -1
	s_mov_b32 s20, s67
	s_and_saveexec_b32 s21, s1
	s_delay_alu instid0(SALU_CYCLE_1)
	s_xor_b32 s1, exec_lo, s21
	s_cbranch_execnz .LBB94_5015
.LBB94_5001:
	s_or_b32 exec_lo, exec_lo, s1
	s_delay_alu instid0(SALU_CYCLE_1)
	s_and_not1_b32 s1, s67, exec_lo
	s_and_b32 s20, s20, exec_lo
	s_or_not1_b32 s21, s5, exec_lo
	s_or_b32 s1, s1, s20
.LBB94_5002:
	s_or_b32 exec_lo, exec_lo, s0
	s_mov_b32 s5, 0
	s_mov_b32 s22, 0
                                        ; implicit-def: $vgpr20_vgpr21
                                        ; implicit-def: $sgpr0
	s_and_saveexec_b32 s20, s21
	s_cbranch_execz .LBB94_5652
; %bb.5003:
	v_add_nc_u32_e32 v4, s69, v4
	s_cmp_lt_i32 s56, 11
	s_delay_alu instid0(VALU_DEP_1) | instskip(NEXT) | instid1(VALU_DEP_1)
	v_ashrrev_i32_e32 v5, 31, v4
	v_add_nc_u64_e32 v[14:15], s[6:7], v[4:5]
	s_cbranch_scc1 .LBB94_5011
; %bb.5004:
	s_cmp_gt_i32 s56, 25
	s_cbranch_scc0 .LBB94_5012
; %bb.5005:
	s_cmp_gt_i32 s56, 28
	s_cbranch_scc0 .LBB94_5013
; %bb.5006:
	s_cmp_gt_i32 s56, 43
	s_cbranch_scc0 .LBB94_5014
; %bb.5007:
	s_cmp_gt_i32 s56, 45
	s_cbranch_scc0 .LBB94_5016
; %bb.5008:
	s_cmp_eq_u32 s56, 46
	s_mov_b32 s7, 0
	s_cbranch_scc0 .LBB94_5017
; %bb.5009:
	global_load_b32 v4, v[14:15], off
	s_mov_b32 s0, 0
	s_mov_b32 s6, -1
	s_wait_loadcnt 0x0
	v_lshlrev_b32_e32 v4, 16, v4
	s_delay_alu instid0(VALU_DEP_1) | instskip(NEXT) | instid1(VALU_DEP_1)
	v_trunc_f32_e32 v4, v4
	v_mul_f32_e64 v5, 0x2f800000, |v4|
	s_delay_alu instid0(VALU_DEP_1) | instskip(NEXT) | instid1(VALU_DEP_1)
	v_floor_f32_e32 v5, v5
	v_fma_f32 v7, 0xcf800000, v5, |v4|
	v_ashrrev_i32_e32 v4, 31, v4
	v_cvt_u32_f32_e32 v9, v5
	s_delay_alu instid0(VALU_DEP_3) | instskip(NEXT) | instid1(VALU_DEP_2)
	v_cvt_u32_f32_e32 v7, v7
	v_dual_mov_b32 v5, v4 :: v_dual_bitop2_b32 v17, v9, v4 bitop3:0x14
	s_delay_alu instid0(VALU_DEP_2) | instskip(NEXT) | instid1(VALU_DEP_1)
	v_xor_b32_e32 v16, v7, v4
	v_sub_nc_u64_e32 v[4:5], v[16:17], v[4:5]
	s_branch .LBB94_5019
.LBB94_5010:
	s_or_b32 s55, s55, exec_lo
	s_trap 2
	s_cbranch_execz .LBB94_4924
	s_branch .LBB94_4925
.LBB94_5011:
	s_mov_b32 s0, -1
	s_mov_b32 s6, 0
	s_mov_b32 s21, s1
                                        ; implicit-def: $vgpr4_vgpr5
	s_branch .LBB94_5081
.LBB94_5012:
	s_mov_b32 s7, -1
	s_mov_b32 s6, 0
	s_mov_b32 s0, 0
                                        ; implicit-def: $vgpr4_vgpr5
	s_branch .LBB94_5046
.LBB94_5013:
	s_mov_b32 s7, -1
	s_mov_b32 s6, 0
	s_mov_b32 s0, 0
                                        ; implicit-def: $vgpr4_vgpr5
	s_branch .LBB94_5029
.LBB94_5014:
	s_mov_b32 s7, -1
	s_mov_b32 s6, 0
	s_mov_b32 s0, 0
                                        ; implicit-def: $vgpr4_vgpr5
	s_branch .LBB94_5024
.LBB94_5015:
	s_or_b32 s20, s67, exec_lo
	s_xor_b32 s5, exec_lo, -1
	s_trap 2
	s_branch .LBB94_5001
.LBB94_5016:
	s_mov_b32 s7, -1
	s_mov_b32 s6, 0
	s_mov_b32 s0, 0
	s_branch .LBB94_5018
.LBB94_5017:
	s_mov_b32 s0, -1
	s_mov_b32 s6, 0
.LBB94_5018:
                                        ; implicit-def: $vgpr4_vgpr5
.LBB94_5019:
	s_and_b32 vcc_lo, exec_lo, s7
	s_cbranch_vccz .LBB94_5023
; %bb.5020:
	s_cmp_eq_u32 s56, 44
	s_cbranch_scc0 .LBB94_5022
; %bb.5021:
	global_load_u8 v7, v[14:15], off
	s_mov_b32 s0, 0
	s_mov_b32 s6, -1
	s_wait_loadcnt 0x0
	v_cmp_ne_u32_e32 vcc_lo, 0, v7
	v_lshlrev_b32_e32 v4, 23, v7
	s_delay_alu instid0(VALU_DEP_1) | instskip(NEXT) | instid1(VALU_DEP_1)
	v_trunc_f32_e32 v4, v4
	v_mul_f32_e64 v5, 0x2f800000, |v4|
	s_delay_alu instid0(VALU_DEP_1) | instskip(NEXT) | instid1(VALU_DEP_1)
	v_floor_f32_e32 v5, v5
	v_fma_f32 v9, 0xcf800000, v5, |v4|
	v_ashrrev_i32_e32 v4, 31, v4
	v_cvt_u32_f32_e32 v11, v5
	s_delay_alu instid0(VALU_DEP_3) | instskip(NEXT) | instid1(VALU_DEP_2)
	v_cvt_u32_f32_e32 v9, v9
	v_dual_mov_b32 v5, v4 :: v_dual_bitop2_b32 v17, v11, v4 bitop3:0x14
	s_delay_alu instid0(VALU_DEP_2) | instskip(NEXT) | instid1(VALU_DEP_1)
	v_xor_b32_e32 v16, v9, v4
	v_sub_nc_u64_e32 v[4:5], v[16:17], v[4:5]
	s_delay_alu instid0(VALU_DEP_1)
	v_dual_cndmask_b32 v5, 0, v5 :: v_dual_cndmask_b32 v4, 0, v4
	s_branch .LBB94_5023
.LBB94_5022:
	s_mov_b32 s0, -1
                                        ; implicit-def: $vgpr4_vgpr5
.LBB94_5023:
	s_mov_b32 s7, 0
.LBB94_5024:
	s_delay_alu instid0(SALU_CYCLE_1)
	s_and_b32 vcc_lo, exec_lo, s7
	s_cbranch_vccz .LBB94_5028
; %bb.5025:
	s_cmp_eq_u32 s56, 29
	s_cbranch_scc0 .LBB94_5027
; %bb.5026:
	global_load_b64 v[4:5], v[14:15], off
	s_mov_b32 s0, 0
	s_mov_b32 s6, -1
	s_branch .LBB94_5028
.LBB94_5027:
	s_mov_b32 s0, -1
                                        ; implicit-def: $vgpr4_vgpr5
.LBB94_5028:
	s_mov_b32 s7, 0
.LBB94_5029:
	s_delay_alu instid0(SALU_CYCLE_1)
	s_and_b32 vcc_lo, exec_lo, s7
	s_cbranch_vccz .LBB94_5045
; %bb.5030:
	s_cmp_lt_i32 s56, 27
	s_cbranch_scc1 .LBB94_5033
; %bb.5031:
	s_cmp_gt_i32 s56, 27
	s_cbranch_scc0 .LBB94_5034
; %bb.5032:
	s_wait_loadcnt 0x0
	global_load_b32 v4, v[14:15], off
	v_mov_b32_e32 v5, 0
	s_mov_b32 s6, 0
	s_branch .LBB94_5035
.LBB94_5033:
	s_mov_b32 s6, -1
                                        ; implicit-def: $vgpr4_vgpr5
	s_branch .LBB94_5038
.LBB94_5034:
	s_mov_b32 s6, -1
                                        ; implicit-def: $vgpr4_vgpr5
.LBB94_5035:
	s_delay_alu instid0(SALU_CYCLE_1)
	s_and_not1_b32 vcc_lo, exec_lo, s6
	s_cbranch_vccnz .LBB94_5037
; %bb.5036:
	s_wait_loadcnt 0x0
	global_load_u16 v4, v[14:15], off
	s_mov_b32 s6, 0
	s_delay_alu instid0(SALU_CYCLE_1)
	v_mov_b32_e32 v5, s6
	s_wait_loadcnt 0x0
	v_and_b32_e32 v4, 0xffff, v4
.LBB94_5037:
	s_mov_b32 s6, 0
.LBB94_5038:
	s_delay_alu instid0(SALU_CYCLE_1)
	s_and_not1_b32 vcc_lo, exec_lo, s6
	s_cbranch_vccnz .LBB94_5044
; %bb.5039:
	global_load_u8 v7, v[14:15], off
	s_mov_b32 s7, 0
	s_mov_b32 s6, exec_lo
	s_wait_loadcnt 0x0
	v_cmpx_lt_i16_e32 0x7f, v7
	s_xor_b32 s6, exec_lo, s6
	s_cbranch_execz .LBB94_5056
; %bb.5040:
	v_cmp_ne_u16_e32 vcc_lo, 0x80, v7
	s_and_b32 s7, vcc_lo, exec_lo
	s_and_not1_saveexec_b32 s6, s6
	s_cbranch_execnz .LBB94_5057
.LBB94_5041:
	s_or_b32 exec_lo, exec_lo, s6
	v_mov_b64_e32 v[4:5], 0
	s_and_saveexec_b32 s6, s7
	s_cbranch_execz .LBB94_5043
.LBB94_5042:
	v_and_b32_e32 v4, 0xffff, v7
	s_delay_alu instid0(VALU_DEP_1) | instskip(SKIP_1) | instid1(VALU_DEP_2)
	v_and_b32_e32 v5, 7, v4
	v_bfe_u32 v13, v4, 3, 4
	v_clz_i32_u32_e32 v9, v5
	s_delay_alu instid0(VALU_DEP_2) | instskip(NEXT) | instid1(VALU_DEP_2)
	v_cmp_eq_u32_e32 vcc_lo, 0, v13
	v_min_u32_e32 v9, 32, v9
	s_delay_alu instid0(VALU_DEP_1) | instskip(NEXT) | instid1(VALU_DEP_1)
	v_subrev_nc_u32_e32 v11, 28, v9
	v_dual_lshlrev_b32 v4, v11, v4 :: v_dual_sub_nc_u32 v9, 29, v9
	s_delay_alu instid0(VALU_DEP_1) | instskip(NEXT) | instid1(VALU_DEP_2)
	v_dual_lshlrev_b32 v7, 24, v7 :: v_dual_bitop2_b32 v4, 7, v4 bitop3:0x40
	v_cndmask_b32_e32 v9, v13, v9, vcc_lo
	s_delay_alu instid0(VALU_DEP_2) | instskip(NEXT) | instid1(VALU_DEP_3)
	v_cndmask_b32_e32 v4, v5, v4, vcc_lo
	v_and_b32_e32 v5, 0x80000000, v7
	s_delay_alu instid0(VALU_DEP_3) | instskip(NEXT) | instid1(VALU_DEP_3)
	v_lshl_add_u32 v7, v9, 23, 0x3b800000
	v_lshlrev_b32_e32 v4, 20, v4
	s_delay_alu instid0(VALU_DEP_1) | instskip(NEXT) | instid1(VALU_DEP_1)
	v_or3_b32 v4, v5, v7, v4
	v_trunc_f32_e32 v4, v4
	s_delay_alu instid0(VALU_DEP_1) | instskip(NEXT) | instid1(VALU_DEP_1)
	v_mul_f32_e64 v5, 0x2f800000, |v4|
	v_floor_f32_e32 v5, v5
	s_delay_alu instid0(VALU_DEP_1) | instskip(SKIP_2) | instid1(VALU_DEP_3)
	v_fma_f32 v7, 0xcf800000, v5, |v4|
	v_ashrrev_i32_e32 v4, 31, v4
	v_cvt_u32_f32_e32 v9, v5
	v_cvt_u32_f32_e32 v7, v7
	s_delay_alu instid0(VALU_DEP_2) | instskip(NEXT) | instid1(VALU_DEP_2)
	v_dual_mov_b32 v5, v4 :: v_dual_bitop2_b32 v17, v9, v4 bitop3:0x14
	v_xor_b32_e32 v16, v7, v4
	s_delay_alu instid0(VALU_DEP_1)
	v_sub_nc_u64_e32 v[4:5], v[16:17], v[4:5]
.LBB94_5043:
	s_or_b32 exec_lo, exec_lo, s6
.LBB94_5044:
	s_mov_b32 s6, -1
.LBB94_5045:
	s_mov_b32 s7, 0
.LBB94_5046:
	s_delay_alu instid0(SALU_CYCLE_1)
	s_and_b32 vcc_lo, exec_lo, s7
	s_cbranch_vccz .LBB94_5077
; %bb.5047:
	s_cmp_gt_i32 s56, 22
	s_cbranch_scc0 .LBB94_5055
; %bb.5048:
	s_cmp_lt_i32 s56, 24
	s_cbranch_scc1 .LBB94_5058
; %bb.5049:
	s_cmp_gt_i32 s56, 24
	s_cbranch_scc0 .LBB94_5059
; %bb.5050:
	global_load_u8 v7, v[14:15], off
	s_mov_b32 s6, 0
	s_mov_b32 s5, exec_lo
	s_wait_loadcnt 0x0
	v_cmpx_lt_i16_e32 0x7f, v7
	s_xor_b32 s5, exec_lo, s5
	s_cbranch_execz .LBB94_5071
; %bb.5051:
	v_cmp_ne_u16_e32 vcc_lo, 0x80, v7
	s_and_b32 s6, vcc_lo, exec_lo
	s_and_not1_saveexec_b32 s5, s5
	s_cbranch_execnz .LBB94_5072
.LBB94_5052:
	s_or_b32 exec_lo, exec_lo, s5
	v_mov_b64_e32 v[4:5], 0
	s_and_saveexec_b32 s5, s6
	s_cbranch_execz .LBB94_5054
.LBB94_5053:
	v_and_b32_e32 v4, 0xffff, v7
	s_delay_alu instid0(VALU_DEP_1) | instskip(SKIP_1) | instid1(VALU_DEP_2)
	v_and_b32_e32 v5, 3, v4
	v_bfe_u32 v13, v4, 2, 5
	v_clz_i32_u32_e32 v9, v5
	s_delay_alu instid0(VALU_DEP_2) | instskip(NEXT) | instid1(VALU_DEP_2)
	v_cmp_eq_u32_e32 vcc_lo, 0, v13
	v_min_u32_e32 v9, 32, v9
	s_delay_alu instid0(VALU_DEP_1) | instskip(NEXT) | instid1(VALU_DEP_1)
	v_subrev_nc_u32_e32 v11, 29, v9
	v_dual_lshlrev_b32 v4, v11, v4 :: v_dual_sub_nc_u32 v9, 30, v9
	s_delay_alu instid0(VALU_DEP_1) | instskip(NEXT) | instid1(VALU_DEP_2)
	v_dual_lshlrev_b32 v7, 24, v7 :: v_dual_bitop2_b32 v4, 3, v4 bitop3:0x40
	v_cndmask_b32_e32 v9, v13, v9, vcc_lo
	s_delay_alu instid0(VALU_DEP_2) | instskip(NEXT) | instid1(VALU_DEP_3)
	v_cndmask_b32_e32 v4, v5, v4, vcc_lo
	v_and_b32_e32 v5, 0x80000000, v7
	s_delay_alu instid0(VALU_DEP_3) | instskip(NEXT) | instid1(VALU_DEP_3)
	v_lshl_add_u32 v7, v9, 23, 0x37800000
	v_lshlrev_b32_e32 v4, 21, v4
	s_delay_alu instid0(VALU_DEP_1) | instskip(NEXT) | instid1(VALU_DEP_1)
	v_or3_b32 v4, v5, v7, v4
	v_trunc_f32_e32 v4, v4
	s_delay_alu instid0(VALU_DEP_1) | instskip(NEXT) | instid1(VALU_DEP_1)
	v_mul_f32_e64 v5, 0x2f800000, |v4|
	v_floor_f32_e32 v5, v5
	s_delay_alu instid0(VALU_DEP_1) | instskip(SKIP_2) | instid1(VALU_DEP_3)
	v_fma_f32 v7, 0xcf800000, v5, |v4|
	v_ashrrev_i32_e32 v4, 31, v4
	v_cvt_u32_f32_e32 v9, v5
	v_cvt_u32_f32_e32 v7, v7
	s_delay_alu instid0(VALU_DEP_2) | instskip(NEXT) | instid1(VALU_DEP_2)
	v_dual_mov_b32 v5, v4 :: v_dual_bitop2_b32 v17, v9, v4 bitop3:0x14
	v_xor_b32_e32 v16, v7, v4
	s_delay_alu instid0(VALU_DEP_1)
	v_sub_nc_u64_e32 v[4:5], v[16:17], v[4:5]
.LBB94_5054:
	s_or_b32 exec_lo, exec_lo, s5
	s_mov_b32 s5, 0
	s_branch .LBB94_5060
.LBB94_5055:
	s_mov_b32 s5, -1
                                        ; implicit-def: $vgpr4_vgpr5
	s_branch .LBB94_5066
.LBB94_5056:
	s_and_not1_saveexec_b32 s6, s6
	s_cbranch_execz .LBB94_5041
.LBB94_5057:
	v_cmp_ne_u16_e32 vcc_lo, 0, v7
	s_and_not1_b32 s7, s7, exec_lo
	s_and_b32 s21, vcc_lo, exec_lo
	s_delay_alu instid0(SALU_CYCLE_1)
	s_or_b32 s7, s7, s21
	s_or_b32 exec_lo, exec_lo, s6
	v_mov_b64_e32 v[4:5], 0
	s_and_saveexec_b32 s6, s7
	s_cbranch_execnz .LBB94_5042
	s_branch .LBB94_5043
.LBB94_5058:
	s_mov_b32 s5, -1
                                        ; implicit-def: $vgpr4_vgpr5
	s_branch .LBB94_5063
.LBB94_5059:
	s_mov_b32 s5, -1
                                        ; implicit-def: $vgpr4_vgpr5
.LBB94_5060:
	s_delay_alu instid0(SALU_CYCLE_1)
	s_and_b32 vcc_lo, exec_lo, s5
	s_cbranch_vccz .LBB94_5062
; %bb.5061:
	s_wait_loadcnt 0x0
	global_load_u8 v4, v[14:15], off
	s_wait_loadcnt 0x0
	v_lshlrev_b32_e32 v4, 24, v4
	s_delay_alu instid0(VALU_DEP_1) | instskip(NEXT) | instid1(VALU_DEP_1)
	v_and_b32_e32 v5, 0x7f000000, v4
	v_clz_i32_u32_e32 v7, v5
	v_add_nc_u32_e32 v11, 0x1000000, v5
	v_cmp_ne_u32_e32 vcc_lo, 0, v5
	s_delay_alu instid0(VALU_DEP_3) | instskip(NEXT) | instid1(VALU_DEP_1)
	v_min_u32_e32 v7, 32, v7
	v_sub_nc_u32_e64 v7, v7, 4 clamp
	s_delay_alu instid0(VALU_DEP_1) | instskip(NEXT) | instid1(VALU_DEP_1)
	v_dual_lshlrev_b32 v9, v7, v5 :: v_dual_lshlrev_b32 v7, 23, v7
	v_lshrrev_b32_e32 v9, 4, v9
	s_delay_alu instid0(VALU_DEP_1) | instskip(SKIP_1) | instid1(VALU_DEP_2)
	v_sub_nc_u32_e32 v7, v9, v7
	v_ashrrev_i32_e32 v9, 8, v11
	v_add_nc_u32_e32 v7, 0x3c000000, v7
	s_delay_alu instid0(VALU_DEP_1) | instskip(NEXT) | instid1(VALU_DEP_1)
	v_and_or_b32 v7, 0x7f800000, v9, v7
	v_cndmask_b32_e32 v5, 0, v7, vcc_lo
	s_delay_alu instid0(VALU_DEP_1) | instskip(NEXT) | instid1(VALU_DEP_1)
	v_and_or_b32 v4, 0x80000000, v4, v5
	v_trunc_f32_e32 v4, v4
	s_delay_alu instid0(VALU_DEP_1) | instskip(NEXT) | instid1(VALU_DEP_1)
	v_mul_f32_e64 v5, 0x2f800000, |v4|
	v_floor_f32_e32 v5, v5
	s_delay_alu instid0(VALU_DEP_1) | instskip(SKIP_2) | instid1(VALU_DEP_3)
	v_fma_f32 v7, 0xcf800000, v5, |v4|
	v_ashrrev_i32_e32 v4, 31, v4
	v_cvt_u32_f32_e32 v9, v5
	v_cvt_u32_f32_e32 v7, v7
	s_delay_alu instid0(VALU_DEP_2) | instskip(NEXT) | instid1(VALU_DEP_2)
	v_dual_mov_b32 v5, v4 :: v_dual_bitop2_b32 v17, v9, v4 bitop3:0x14
	v_xor_b32_e32 v16, v7, v4
	s_delay_alu instid0(VALU_DEP_1)
	v_sub_nc_u64_e32 v[4:5], v[16:17], v[4:5]
.LBB94_5062:
	s_mov_b32 s5, 0
.LBB94_5063:
	s_delay_alu instid0(SALU_CYCLE_1)
	s_and_not1_b32 vcc_lo, exec_lo, s5
	s_cbranch_vccnz .LBB94_5065
; %bb.5064:
	s_wait_loadcnt 0x0
	global_load_u8 v4, v[14:15], off
	s_wait_loadcnt 0x0
	v_lshlrev_b32_e32 v5, 25, v4
	v_lshlrev_b16 v4, 8, v4
	s_delay_alu instid0(VALU_DEP_1) | instskip(SKIP_1) | instid1(VALU_DEP_2)
	v_and_or_b32 v9, 0x7f00, v4, 0.5
	v_bfe_i32 v4, v4, 0, 16
	v_add_f32_e32 v9, -0.5, v9
	v_lshrrev_b32_e32 v7, 4, v5
	v_cmp_gt_u32_e32 vcc_lo, 0x8000000, v5
	s_delay_alu instid0(VALU_DEP_2) | instskip(NEXT) | instid1(VALU_DEP_1)
	v_or_b32_e32 v7, 0x70000000, v7
	v_mul_f32_e32 v7, 0x7800000, v7
	s_delay_alu instid0(VALU_DEP_1) | instskip(NEXT) | instid1(VALU_DEP_1)
	v_cndmask_b32_e32 v5, v7, v9, vcc_lo
	v_and_or_b32 v4, 0x80000000, v4, v5
	s_delay_alu instid0(VALU_DEP_1) | instskip(NEXT) | instid1(VALU_DEP_1)
	v_trunc_f32_e32 v4, v4
	v_mul_f32_e64 v5, 0x2f800000, |v4|
	s_delay_alu instid0(VALU_DEP_1) | instskip(NEXT) | instid1(VALU_DEP_1)
	v_floor_f32_e32 v5, v5
	v_fma_f32 v7, 0xcf800000, v5, |v4|
	v_ashrrev_i32_e32 v4, 31, v4
	v_cvt_u32_f32_e32 v9, v5
	s_delay_alu instid0(VALU_DEP_3) | instskip(NEXT) | instid1(VALU_DEP_2)
	v_cvt_u32_f32_e32 v7, v7
	v_dual_mov_b32 v5, v4 :: v_dual_bitop2_b32 v17, v9, v4 bitop3:0x14
	s_delay_alu instid0(VALU_DEP_2) | instskip(NEXT) | instid1(VALU_DEP_1)
	v_xor_b32_e32 v16, v7, v4
	v_sub_nc_u64_e32 v[4:5], v[16:17], v[4:5]
.LBB94_5065:
	s_mov_b32 s5, 0
	s_mov_b32 s6, -1
.LBB94_5066:
	s_and_not1_b32 vcc_lo, exec_lo, s5
	s_mov_b32 s5, 0
	s_cbranch_vccnz .LBB94_5077
; %bb.5067:
	s_cmp_gt_i32 s56, 14
	s_cbranch_scc0 .LBB94_5070
; %bb.5068:
	s_cmp_eq_u32 s56, 15
	s_cbranch_scc0 .LBB94_5073
; %bb.5069:
	s_wait_loadcnt 0x0
	global_load_u16 v4, v[14:15], off
	s_mov_b32 s0, 0
	s_mov_b32 s6, -1
	s_wait_loadcnt 0x0
	v_lshlrev_b32_e32 v4, 16, v4
	s_delay_alu instid0(VALU_DEP_1) | instskip(NEXT) | instid1(VALU_DEP_1)
	v_trunc_f32_e32 v4, v4
	v_mul_f32_e64 v5, 0x2f800000, |v4|
	s_delay_alu instid0(VALU_DEP_1) | instskip(NEXT) | instid1(VALU_DEP_1)
	v_floor_f32_e32 v5, v5
	v_fma_f32 v7, 0xcf800000, v5, |v4|
	v_ashrrev_i32_e32 v4, 31, v4
	v_cvt_u32_f32_e32 v9, v5
	s_delay_alu instid0(VALU_DEP_3) | instskip(NEXT) | instid1(VALU_DEP_2)
	v_cvt_u32_f32_e32 v7, v7
	v_dual_mov_b32 v5, v4 :: v_dual_bitop2_b32 v17, v9, v4 bitop3:0x14
	s_delay_alu instid0(VALU_DEP_2) | instskip(NEXT) | instid1(VALU_DEP_1)
	v_xor_b32_e32 v16, v7, v4
	v_sub_nc_u64_e32 v[4:5], v[16:17], v[4:5]
	s_branch .LBB94_5075
.LBB94_5070:
	s_mov_b32 s5, -1
	s_branch .LBB94_5074
.LBB94_5071:
	s_and_not1_saveexec_b32 s5, s5
	s_cbranch_execz .LBB94_5052
.LBB94_5072:
	v_cmp_ne_u16_e32 vcc_lo, 0, v7
	s_and_not1_b32 s6, s6, exec_lo
	s_and_b32 s7, vcc_lo, exec_lo
	s_delay_alu instid0(SALU_CYCLE_1)
	s_or_b32 s6, s6, s7
	s_or_b32 exec_lo, exec_lo, s5
	v_mov_b64_e32 v[4:5], 0
	s_and_saveexec_b32 s5, s6
	s_cbranch_execnz .LBB94_5053
	s_branch .LBB94_5054
.LBB94_5073:
	s_mov_b32 s0, -1
.LBB94_5074:
                                        ; implicit-def: $vgpr4_vgpr5
.LBB94_5075:
	s_and_b32 vcc_lo, exec_lo, s5
	s_mov_b32 s5, 0
	s_cbranch_vccz .LBB94_5077
; %bb.5076:
	s_cmp_lg_u32 s56, 11
	s_mov_b32 s5, -1
	s_cselect_b32 s0, -1, 0
.LBB94_5077:
	s_delay_alu instid0(SALU_CYCLE_1)
	s_and_b32 vcc_lo, exec_lo, s0
	s_mov_b32 s21, s1
	s_cbranch_vccnz .LBB94_5142
; %bb.5078:
	s_and_not1_b32 vcc_lo, exec_lo, s5
	s_cbranch_vccnz .LBB94_5080
.LBB94_5079:
	s_wait_loadcnt 0x0
	global_load_u8 v4, v[14:15], off
	s_mov_b32 s0, 0
	s_mov_b32 s6, -1
	v_mov_b32_e32 v5, s0
	s_wait_loadcnt 0x0
	v_cmp_ne_u16_e32 vcc_lo, 0, v4
	v_cndmask_b32_e64 v4, 0, 1, vcc_lo
.LBB94_5080:
	s_mov_b32 s0, 0
.LBB94_5081:
	s_delay_alu instid0(SALU_CYCLE_1)
	s_and_b32 vcc_lo, exec_lo, s0
	s_cbranch_vccz .LBB94_5130
; %bb.5082:
	s_cmp_lt_i32 s56, 5
	s_cbranch_scc1 .LBB94_5087
; %bb.5083:
	s_cmp_lt_i32 s56, 8
	s_cbranch_scc1 .LBB94_5088
	;; [unrolled: 3-line block ×3, first 2 shown]
; %bb.5085:
	s_cmp_gt_i32 s56, 9
	s_cbranch_scc0 .LBB94_5090
; %bb.5086:
	s_wait_loadcnt 0x0
	global_load_b64 v[4:5], v[14:15], off
	s_mov_b32 s0, 0
	s_wait_loadcnt 0x0
	v_trunc_f64_e32 v[4:5], v[4:5]
	s_delay_alu instid0(VALU_DEP_1) | instskip(NEXT) | instid1(VALU_DEP_1)
	v_ldexp_f64 v[16:17], v[4:5], 0xffffffe0
	v_floor_f64_e32 v[16:17], v[16:17]
	s_delay_alu instid0(VALU_DEP_1) | instskip(SKIP_1) | instid1(VALU_DEP_2)
	v_fmamk_f64 v[18:19], v[16:17], 0xc1f00000, v[4:5]
	v_cvt_i32_f64_e32 v5, v[16:17]
	v_cvt_u32_f64_e32 v4, v[18:19]
	s_branch .LBB94_5091
.LBB94_5087:
	s_mov_b32 s0, -1
                                        ; implicit-def: $vgpr4_vgpr5
	s_branch .LBB94_5109
.LBB94_5088:
	s_mov_b32 s0, -1
                                        ; implicit-def: $vgpr4_vgpr5
	s_branch .LBB94_5097
.LBB94_5089:
	s_mov_b32 s0, -1
                                        ; implicit-def: $vgpr4_vgpr5
	s_branch .LBB94_5094
.LBB94_5090:
	s_mov_b32 s0, -1
                                        ; implicit-def: $vgpr4_vgpr5
.LBB94_5091:
	s_delay_alu instid0(SALU_CYCLE_1)
	s_and_not1_b32 vcc_lo, exec_lo, s0
	s_cbranch_vccnz .LBB94_5093
; %bb.5092:
	s_wait_loadcnt 0x0
	global_load_b32 v4, v[14:15], off
	s_wait_loadcnt 0x0
	v_trunc_f32_e32 v4, v4
	s_delay_alu instid0(VALU_DEP_1) | instskip(NEXT) | instid1(VALU_DEP_1)
	v_mul_f32_e64 v5, 0x2f800000, |v4|
	v_floor_f32_e32 v5, v5
	s_delay_alu instid0(VALU_DEP_1) | instskip(SKIP_2) | instid1(VALU_DEP_3)
	v_fma_f32 v7, 0xcf800000, v5, |v4|
	v_ashrrev_i32_e32 v4, 31, v4
	v_cvt_u32_f32_e32 v9, v5
	v_cvt_u32_f32_e32 v7, v7
	s_delay_alu instid0(VALU_DEP_2) | instskip(NEXT) | instid1(VALU_DEP_2)
	v_dual_mov_b32 v5, v4 :: v_dual_bitop2_b32 v17, v9, v4 bitop3:0x14
	v_xor_b32_e32 v16, v7, v4
	s_delay_alu instid0(VALU_DEP_1)
	v_sub_nc_u64_e32 v[4:5], v[16:17], v[4:5]
.LBB94_5093:
	s_mov_b32 s0, 0
.LBB94_5094:
	s_delay_alu instid0(SALU_CYCLE_1)
	s_and_not1_b32 vcc_lo, exec_lo, s0
	s_cbranch_vccnz .LBB94_5096
; %bb.5095:
	s_wait_loadcnt 0x0
	global_load_b32 v4, v[14:15], off
	s_wait_loadcnt 0x0
	v_cvt_f32_f16_e32 v4, v4
	s_delay_alu instid0(VALU_DEP_1) | instskip(NEXT) | instid1(VALU_DEP_1)
	v_cvt_i32_f32_e32 v4, v4
	v_ashrrev_i32_e32 v5, 31, v4
.LBB94_5096:
	s_mov_b32 s0, 0
.LBB94_5097:
	s_delay_alu instid0(SALU_CYCLE_1)
	s_and_not1_b32 vcc_lo, exec_lo, s0
	s_cbranch_vccnz .LBB94_5108
; %bb.5098:
	s_cmp_lt_i32 s56, 6
	s_cbranch_scc1 .LBB94_5101
; %bb.5099:
	s_cmp_gt_i32 s56, 6
	s_cbranch_scc0 .LBB94_5102
; %bb.5100:
	s_wait_loadcnt 0x0
	global_load_b64 v[4:5], v[14:15], off
	s_mov_b32 s0, 0
	s_wait_loadcnt 0x0
	v_trunc_f64_e32 v[4:5], v[4:5]
	s_delay_alu instid0(VALU_DEP_1) | instskip(NEXT) | instid1(VALU_DEP_1)
	v_ldexp_f64 v[16:17], v[4:5], 0xffffffe0
	v_floor_f64_e32 v[16:17], v[16:17]
	s_delay_alu instid0(VALU_DEP_1) | instskip(SKIP_1) | instid1(VALU_DEP_2)
	v_fmamk_f64 v[18:19], v[16:17], 0xc1f00000, v[4:5]
	v_cvt_i32_f64_e32 v5, v[16:17]
	v_cvt_u32_f64_e32 v4, v[18:19]
	s_branch .LBB94_5103
.LBB94_5101:
	s_mov_b32 s0, -1
                                        ; implicit-def: $vgpr4_vgpr5
	s_branch .LBB94_5106
.LBB94_5102:
	s_mov_b32 s0, -1
                                        ; implicit-def: $vgpr4_vgpr5
.LBB94_5103:
	s_delay_alu instid0(SALU_CYCLE_1)
	s_and_not1_b32 vcc_lo, exec_lo, s0
	s_cbranch_vccnz .LBB94_5105
; %bb.5104:
	s_wait_loadcnt 0x0
	global_load_b32 v4, v[14:15], off
	s_wait_loadcnt 0x0
	v_trunc_f32_e32 v4, v4
	s_delay_alu instid0(VALU_DEP_1) | instskip(NEXT) | instid1(VALU_DEP_1)
	v_mul_f32_e64 v5, 0x2f800000, |v4|
	v_floor_f32_e32 v5, v5
	s_delay_alu instid0(VALU_DEP_1) | instskip(SKIP_2) | instid1(VALU_DEP_3)
	v_fma_f32 v7, 0xcf800000, v5, |v4|
	v_ashrrev_i32_e32 v4, 31, v4
	v_cvt_u32_f32_e32 v9, v5
	v_cvt_u32_f32_e32 v7, v7
	s_delay_alu instid0(VALU_DEP_2) | instskip(NEXT) | instid1(VALU_DEP_2)
	v_dual_mov_b32 v5, v4 :: v_dual_bitop2_b32 v17, v9, v4 bitop3:0x14
	v_xor_b32_e32 v16, v7, v4
	s_delay_alu instid0(VALU_DEP_1)
	v_sub_nc_u64_e32 v[4:5], v[16:17], v[4:5]
.LBB94_5105:
	s_mov_b32 s0, 0
.LBB94_5106:
	s_delay_alu instid0(SALU_CYCLE_1)
	s_and_not1_b32 vcc_lo, exec_lo, s0
	s_cbranch_vccnz .LBB94_5108
; %bb.5107:
	s_wait_loadcnt 0x0
	global_load_u16 v4, v[14:15], off
	s_wait_loadcnt 0x0
	v_cvt_f32_f16_e32 v4, v4
	s_delay_alu instid0(VALU_DEP_1) | instskip(NEXT) | instid1(VALU_DEP_1)
	v_cvt_i32_f32_e32 v4, v4
	v_ashrrev_i32_e32 v5, 31, v4
.LBB94_5108:
	s_mov_b32 s0, 0
.LBB94_5109:
	s_delay_alu instid0(SALU_CYCLE_1)
	s_and_not1_b32 vcc_lo, exec_lo, s0
	s_cbranch_vccnz .LBB94_5129
; %bb.5110:
	s_cmp_lt_i32 s56, 2
	s_cbranch_scc1 .LBB94_5114
; %bb.5111:
	s_cmp_lt_i32 s56, 3
	s_cbranch_scc1 .LBB94_5115
; %bb.5112:
	s_cmp_gt_i32 s56, 3
	s_cbranch_scc0 .LBB94_5116
; %bb.5113:
	s_wait_loadcnt 0x0
	global_load_b64 v[4:5], v[14:15], off
	s_mov_b32 s0, 0
	s_branch .LBB94_5117
.LBB94_5114:
	s_mov_b32 s0, -1
                                        ; implicit-def: $vgpr4_vgpr5
	s_branch .LBB94_5123
.LBB94_5115:
	s_mov_b32 s0, -1
                                        ; implicit-def: $vgpr4_vgpr5
	s_branch .LBB94_5120
.LBB94_5116:
	s_mov_b32 s0, -1
                                        ; implicit-def: $vgpr4_vgpr5
.LBB94_5117:
	s_delay_alu instid0(SALU_CYCLE_1)
	s_and_not1_b32 vcc_lo, exec_lo, s0
	s_cbranch_vccnz .LBB94_5119
; %bb.5118:
	s_wait_loadcnt 0x0
	global_load_b32 v4, v[14:15], off
	s_wait_loadcnt 0x0
	v_ashrrev_i32_e32 v5, 31, v4
.LBB94_5119:
	s_mov_b32 s0, 0
.LBB94_5120:
	s_delay_alu instid0(SALU_CYCLE_1)
	s_and_not1_b32 vcc_lo, exec_lo, s0
	s_cbranch_vccnz .LBB94_5122
; %bb.5121:
	s_wait_loadcnt 0x0
	global_load_u16 v4, v[14:15], off
	s_wait_loadcnt 0x0
	v_bfe_i32 v4, v4, 0, 16
	s_delay_alu instid0(VALU_DEP_1)
	v_ashrrev_i32_e32 v5, 31, v4
.LBB94_5122:
	s_mov_b32 s0, 0
.LBB94_5123:
	s_delay_alu instid0(SALU_CYCLE_1)
	s_and_not1_b32 vcc_lo, exec_lo, s0
	s_cbranch_vccnz .LBB94_5129
; %bb.5124:
	s_cmp_gt_i32 s56, 0
	s_mov_b32 s0, 0
	s_cbranch_scc0 .LBB94_5126
; %bb.5125:
	s_wait_loadcnt 0x0
	global_load_i8 v4, v[14:15], off
	s_wait_loadcnt 0x0
	v_bfe_i32 v4, v4, 0, 16
	s_delay_alu instid0(VALU_DEP_1)
	v_ashrrev_i32_e32 v5, 31, v4
	s_branch .LBB94_5127
.LBB94_5126:
	s_mov_b32 s0, -1
                                        ; implicit-def: $vgpr4_vgpr5
.LBB94_5127:
	s_delay_alu instid0(SALU_CYCLE_1)
	s_and_not1_b32 vcc_lo, exec_lo, s0
	s_cbranch_vccnz .LBB94_5129
; %bb.5128:
	s_wait_loadcnt 0x0
	global_load_u8 v4, v[14:15], off
	s_mov_b32 s0, 0
	s_delay_alu instid0(SALU_CYCLE_1)
	v_mov_b32_e32 v5, s0
	s_wait_loadcnt 0x0
	v_and_b32_e32 v4, 0xffff, v4
.LBB94_5129:
	s_mov_b32 s6, -1
.LBB94_5130:
	s_delay_alu instid0(SALU_CYCLE_1)
	s_and_not1_b32 vcc_lo, exec_lo, s6
	s_cbranch_vccnz .LBB94_5650
; %bb.5131:
	v_add_nc_u32_e32 v6, s70, v6
	s_cmp_lt_i32 s57, 11
	s_delay_alu instid0(VALU_DEP_1) | instskip(SKIP_1) | instid1(VALU_DEP_1)
	v_ashrrev_i32_e32 v7, 31, v6
	s_wait_xcnt 0x0
	v_add_nc_u64_e32 v[14:15], s[8:9], v[6:7]
	s_cbranch_scc1 .LBB94_5138
; %bb.5132:
	s_cmp_gt_i32 s57, 25
	s_mov_b32 s5, 0
	s_cbranch_scc0 .LBB94_5139
; %bb.5133:
	s_cmp_gt_i32 s57, 28
	s_cbranch_scc0 .LBB94_5140
; %bb.5134:
	s_cmp_gt_i32 s57, 43
	;; [unrolled: 3-line block ×3, first 2 shown]
	s_cbranch_scc0 .LBB94_5143
; %bb.5136:
	s_cmp_eq_u32 s57, 46
	s_mov_b32 s7, 0
	s_cbranch_scc0 .LBB94_5145
; %bb.5137:
	global_load_b32 v6, v[14:15], off
	s_mov_b32 s0, 0
	s_mov_b32 s6, -1
	s_wait_loadcnt 0x0
	v_lshlrev_b32_e32 v6, 16, v6
	s_delay_alu instid0(VALU_DEP_1) | instskip(NEXT) | instid1(VALU_DEP_1)
	v_trunc_f32_e32 v6, v6
	v_mul_f32_e64 v7, 0x2f800000, |v6|
	s_delay_alu instid0(VALU_DEP_1) | instskip(NEXT) | instid1(VALU_DEP_1)
	v_floor_f32_e32 v7, v7
	v_fma_f32 v9, 0xcf800000, v7, |v6|
	v_ashrrev_i32_e32 v6, 31, v6
	v_cvt_u32_f32_e32 v11, v7
	s_delay_alu instid0(VALU_DEP_3) | instskip(NEXT) | instid1(VALU_DEP_2)
	v_cvt_u32_f32_e32 v9, v9
	v_dual_mov_b32 v7, v6 :: v_dual_bitop2_b32 v17, v11, v6 bitop3:0x14
	s_delay_alu instid0(VALU_DEP_2) | instskip(NEXT) | instid1(VALU_DEP_1)
	v_xor_b32_e32 v16, v9, v6
	v_sub_nc_u64_e32 v[6:7], v[16:17], v[6:7]
	s_branch .LBB94_5147
.LBB94_5138:
	s_mov_b32 s0, -1
	s_mov_b32 s6, 0
                                        ; implicit-def: $vgpr6_vgpr7
	s_branch .LBB94_5209
.LBB94_5139:
	s_mov_b32 s7, -1
	s_mov_b32 s6, 0
	s_mov_b32 s0, 0
                                        ; implicit-def: $vgpr6_vgpr7
	s_branch .LBB94_5174
.LBB94_5140:
	s_mov_b32 s7, -1
	s_mov_b32 s6, 0
	s_mov_b32 s0, 0
                                        ; implicit-def: $vgpr6_vgpr7
	s_branch .LBB94_5157
.LBB94_5141:
	s_mov_b32 s7, -1
	s_mov_b32 s6, 0
	s_mov_b32 s0, 0
                                        ; implicit-def: $vgpr6_vgpr7
	s_branch .LBB94_5152
.LBB94_5142:
	s_or_b32 s21, s1, exec_lo
	s_trap 2
	s_cbranch_execz .LBB94_5079
	s_branch .LBB94_5080
.LBB94_5143:
	s_mov_b32 s7, -1
	s_mov_b32 s6, 0
	s_mov_b32 s0, 0
	s_branch .LBB94_5146
.LBB94_5144:
	s_or_b32 s55, s55, exec_lo
	s_trap 2
                                        ; implicit-def: $vgpr4
                                        ; implicit-def: $vgpr6
                                        ; implicit-def: $vgpr22_vgpr23
                                        ; implicit-def: $vgpr8
                                        ; implicit-def: $vgpr14_vgpr15
                                        ; implicit-def: $vgpr10
                                        ; implicit-def: $vgpr16_vgpr17
                                        ; implicit-def: $vgpr12
                                        ; implicit-def: $vgpr24_vgpr25
                                        ; implicit-def: $vgpr0_vgpr1
                                        ; implicit-def: $vgpr2_vgpr3
                                        ; implicit-def: $vgpr26
	s_branch .LBB94_4977
.LBB94_5145:
	s_mov_b32 s0, -1
	s_mov_b32 s6, 0
.LBB94_5146:
                                        ; implicit-def: $vgpr6_vgpr7
.LBB94_5147:
	s_and_b32 vcc_lo, exec_lo, s7
	s_cbranch_vccz .LBB94_5151
; %bb.5148:
	s_cmp_eq_u32 s57, 44
	s_cbranch_scc0 .LBB94_5150
; %bb.5149:
	global_load_u8 v9, v[14:15], off
	s_mov_b32 s0, 0
	s_mov_b32 s6, -1
	s_wait_loadcnt 0x0
	v_cmp_ne_u32_e32 vcc_lo, 0, v9
	v_lshlrev_b32_e32 v6, 23, v9
	s_delay_alu instid0(VALU_DEP_1) | instskip(NEXT) | instid1(VALU_DEP_1)
	v_trunc_f32_e32 v6, v6
	v_mul_f32_e64 v7, 0x2f800000, |v6|
	s_delay_alu instid0(VALU_DEP_1) | instskip(NEXT) | instid1(VALU_DEP_1)
	v_floor_f32_e32 v7, v7
	v_fma_f32 v11, 0xcf800000, v7, |v6|
	v_ashrrev_i32_e32 v6, 31, v6
	v_cvt_u32_f32_e32 v13, v7
	s_delay_alu instid0(VALU_DEP_3) | instskip(NEXT) | instid1(VALU_DEP_2)
	v_cvt_u32_f32_e32 v11, v11
	v_dual_mov_b32 v7, v6 :: v_dual_bitop2_b32 v17, v13, v6 bitop3:0x14
	s_delay_alu instid0(VALU_DEP_2) | instskip(NEXT) | instid1(VALU_DEP_1)
	v_xor_b32_e32 v16, v11, v6
	v_sub_nc_u64_e32 v[6:7], v[16:17], v[6:7]
	s_delay_alu instid0(VALU_DEP_1)
	v_dual_cndmask_b32 v7, 0, v7 :: v_dual_cndmask_b32 v6, 0, v6
	s_branch .LBB94_5151
.LBB94_5150:
	s_mov_b32 s0, -1
                                        ; implicit-def: $vgpr6_vgpr7
.LBB94_5151:
	s_mov_b32 s7, 0
.LBB94_5152:
	s_delay_alu instid0(SALU_CYCLE_1)
	s_and_b32 vcc_lo, exec_lo, s7
	s_cbranch_vccz .LBB94_5156
; %bb.5153:
	s_cmp_eq_u32 s57, 29
	s_cbranch_scc0 .LBB94_5155
; %bb.5154:
	global_load_b64 v[6:7], v[14:15], off
	s_mov_b32 s0, 0
	s_mov_b32 s6, -1
	s_branch .LBB94_5156
.LBB94_5155:
	s_mov_b32 s0, -1
                                        ; implicit-def: $vgpr6_vgpr7
.LBB94_5156:
	s_mov_b32 s7, 0
.LBB94_5157:
	s_delay_alu instid0(SALU_CYCLE_1)
	s_and_b32 vcc_lo, exec_lo, s7
	s_cbranch_vccz .LBB94_5173
; %bb.5158:
	s_cmp_lt_i32 s57, 27
	s_cbranch_scc1 .LBB94_5161
; %bb.5159:
	s_cmp_gt_i32 s57, 27
	s_cbranch_scc0 .LBB94_5162
; %bb.5160:
	s_wait_loadcnt 0x0
	global_load_b32 v6, v[14:15], off
	v_mov_b32_e32 v7, 0
	s_mov_b32 s6, 0
	s_branch .LBB94_5163
.LBB94_5161:
	s_mov_b32 s6, -1
                                        ; implicit-def: $vgpr6_vgpr7
	s_branch .LBB94_5166
.LBB94_5162:
	s_mov_b32 s6, -1
                                        ; implicit-def: $vgpr6_vgpr7
.LBB94_5163:
	s_delay_alu instid0(SALU_CYCLE_1)
	s_and_not1_b32 vcc_lo, exec_lo, s6
	s_cbranch_vccnz .LBB94_5165
; %bb.5164:
	s_wait_loadcnt 0x0
	global_load_u16 v6, v[14:15], off
	s_mov_b32 s6, 0
	s_delay_alu instid0(SALU_CYCLE_1)
	v_mov_b32_e32 v7, s6
	s_wait_loadcnt 0x0
	v_and_b32_e32 v6, 0xffff, v6
.LBB94_5165:
	s_mov_b32 s6, 0
.LBB94_5166:
	s_delay_alu instid0(SALU_CYCLE_1)
	s_and_not1_b32 vcc_lo, exec_lo, s6
	s_cbranch_vccnz .LBB94_5172
; %bb.5167:
	global_load_u8 v9, v[14:15], off
	s_mov_b32 s7, 0
	s_mov_b32 s6, exec_lo
	s_wait_loadcnt 0x0
	v_cmpx_lt_i16_e32 0x7f, v9
	s_xor_b32 s6, exec_lo, s6
	s_cbranch_execz .LBB94_5184
; %bb.5168:
	v_cmp_ne_u16_e32 vcc_lo, 0x80, v9
	s_and_b32 s7, vcc_lo, exec_lo
	s_and_not1_saveexec_b32 s6, s6
	s_cbranch_execnz .LBB94_5185
.LBB94_5169:
	s_or_b32 exec_lo, exec_lo, s6
	v_mov_b64_e32 v[6:7], 0
	s_and_saveexec_b32 s6, s7
	s_cbranch_execz .LBB94_5171
.LBB94_5170:
	v_and_b32_e32 v6, 0xffff, v9
	s_delay_alu instid0(VALU_DEP_1) | instskip(SKIP_1) | instid1(VALU_DEP_2)
	v_and_b32_e32 v7, 7, v6
	v_bfe_u32 v16, v6, 3, 4
	v_clz_i32_u32_e32 v11, v7
	s_delay_alu instid0(VALU_DEP_2) | instskip(NEXT) | instid1(VALU_DEP_2)
	v_cmp_eq_u32_e32 vcc_lo, 0, v16
	v_min_u32_e32 v11, 32, v11
	s_delay_alu instid0(VALU_DEP_1) | instskip(NEXT) | instid1(VALU_DEP_1)
	v_subrev_nc_u32_e32 v13, 28, v11
	v_dual_lshlrev_b32 v6, v13, v6 :: v_dual_sub_nc_u32 v11, 29, v11
	s_delay_alu instid0(VALU_DEP_1) | instskip(NEXT) | instid1(VALU_DEP_1)
	v_dual_lshlrev_b32 v9, 24, v9 :: v_dual_bitop2_b32 v6, 7, v6 bitop3:0x40
	v_dual_cndmask_b32 v11, v16, v11 :: v_dual_cndmask_b32 v6, v7, v6
	s_delay_alu instid0(VALU_DEP_2) | instskip(NEXT) | instid1(VALU_DEP_2)
	v_and_b32_e32 v7, 0x80000000, v9
	v_lshl_add_u32 v9, v11, 23, 0x3b800000
	s_delay_alu instid0(VALU_DEP_3) | instskip(NEXT) | instid1(VALU_DEP_1)
	v_lshlrev_b32_e32 v6, 20, v6
	v_or3_b32 v6, v7, v9, v6
	s_delay_alu instid0(VALU_DEP_1) | instskip(NEXT) | instid1(VALU_DEP_1)
	v_trunc_f32_e32 v6, v6
	v_mul_f32_e64 v7, 0x2f800000, |v6|
	s_delay_alu instid0(VALU_DEP_1) | instskip(NEXT) | instid1(VALU_DEP_1)
	v_floor_f32_e32 v7, v7
	v_fma_f32 v9, 0xcf800000, v7, |v6|
	v_ashrrev_i32_e32 v6, 31, v6
	v_cvt_u32_f32_e32 v11, v7
	s_delay_alu instid0(VALU_DEP_3) | instskip(NEXT) | instid1(VALU_DEP_2)
	v_cvt_u32_f32_e32 v9, v9
	v_dual_mov_b32 v7, v6 :: v_dual_bitop2_b32 v17, v11, v6 bitop3:0x14
	s_delay_alu instid0(VALU_DEP_2) | instskip(NEXT) | instid1(VALU_DEP_1)
	v_xor_b32_e32 v16, v9, v6
	v_sub_nc_u64_e32 v[6:7], v[16:17], v[6:7]
.LBB94_5171:
	s_or_b32 exec_lo, exec_lo, s6
.LBB94_5172:
	s_mov_b32 s6, -1
.LBB94_5173:
	s_mov_b32 s7, 0
.LBB94_5174:
	s_delay_alu instid0(SALU_CYCLE_1)
	s_and_b32 vcc_lo, exec_lo, s7
	s_cbranch_vccz .LBB94_5205
; %bb.5175:
	s_cmp_gt_i32 s57, 22
	s_cbranch_scc0 .LBB94_5183
; %bb.5176:
	s_cmp_lt_i32 s57, 24
	s_cbranch_scc1 .LBB94_5186
; %bb.5177:
	s_cmp_gt_i32 s57, 24
	s_cbranch_scc0 .LBB94_5187
; %bb.5178:
	global_load_u8 v9, v[14:15], off
	s_mov_b32 s6, 0
	s_mov_b32 s5, exec_lo
	s_wait_loadcnt 0x0
	v_cmpx_lt_i16_e32 0x7f, v9
	s_xor_b32 s5, exec_lo, s5
	s_cbranch_execz .LBB94_5199
; %bb.5179:
	v_cmp_ne_u16_e32 vcc_lo, 0x80, v9
	s_and_b32 s6, vcc_lo, exec_lo
	s_and_not1_saveexec_b32 s5, s5
	s_cbranch_execnz .LBB94_5200
.LBB94_5180:
	s_or_b32 exec_lo, exec_lo, s5
	v_mov_b64_e32 v[6:7], 0
	s_and_saveexec_b32 s5, s6
	s_cbranch_execz .LBB94_5182
.LBB94_5181:
	v_and_b32_e32 v6, 0xffff, v9
	s_delay_alu instid0(VALU_DEP_1) | instskip(SKIP_1) | instid1(VALU_DEP_2)
	v_and_b32_e32 v7, 3, v6
	v_bfe_u32 v16, v6, 2, 5
	v_clz_i32_u32_e32 v11, v7
	s_delay_alu instid0(VALU_DEP_2) | instskip(NEXT) | instid1(VALU_DEP_2)
	v_cmp_eq_u32_e32 vcc_lo, 0, v16
	v_min_u32_e32 v11, 32, v11
	s_delay_alu instid0(VALU_DEP_1) | instskip(NEXT) | instid1(VALU_DEP_1)
	v_subrev_nc_u32_e32 v13, 29, v11
	v_dual_lshlrev_b32 v6, v13, v6 :: v_dual_sub_nc_u32 v11, 30, v11
	s_delay_alu instid0(VALU_DEP_1) | instskip(NEXT) | instid1(VALU_DEP_1)
	v_dual_lshlrev_b32 v9, 24, v9 :: v_dual_bitop2_b32 v6, 3, v6 bitop3:0x40
	v_dual_cndmask_b32 v11, v16, v11 :: v_dual_cndmask_b32 v6, v7, v6
	s_delay_alu instid0(VALU_DEP_2) | instskip(NEXT) | instid1(VALU_DEP_2)
	v_and_b32_e32 v7, 0x80000000, v9
	v_lshl_add_u32 v9, v11, 23, 0x37800000
	s_delay_alu instid0(VALU_DEP_3) | instskip(NEXT) | instid1(VALU_DEP_1)
	v_lshlrev_b32_e32 v6, 21, v6
	v_or3_b32 v6, v7, v9, v6
	s_delay_alu instid0(VALU_DEP_1) | instskip(NEXT) | instid1(VALU_DEP_1)
	v_trunc_f32_e32 v6, v6
	v_mul_f32_e64 v7, 0x2f800000, |v6|
	s_delay_alu instid0(VALU_DEP_1) | instskip(NEXT) | instid1(VALU_DEP_1)
	v_floor_f32_e32 v7, v7
	v_fma_f32 v9, 0xcf800000, v7, |v6|
	v_ashrrev_i32_e32 v6, 31, v6
	v_cvt_u32_f32_e32 v11, v7
	s_delay_alu instid0(VALU_DEP_3) | instskip(NEXT) | instid1(VALU_DEP_2)
	v_cvt_u32_f32_e32 v9, v9
	v_dual_mov_b32 v7, v6 :: v_dual_bitop2_b32 v17, v11, v6 bitop3:0x14
	s_delay_alu instid0(VALU_DEP_2) | instskip(NEXT) | instid1(VALU_DEP_1)
	v_xor_b32_e32 v16, v9, v6
	v_sub_nc_u64_e32 v[6:7], v[16:17], v[6:7]
.LBB94_5182:
	s_or_b32 exec_lo, exec_lo, s5
	s_mov_b32 s5, 0
	s_branch .LBB94_5188
.LBB94_5183:
	s_mov_b32 s5, -1
                                        ; implicit-def: $vgpr6_vgpr7
	s_branch .LBB94_5194
.LBB94_5184:
	s_and_not1_saveexec_b32 s6, s6
	s_cbranch_execz .LBB94_5169
.LBB94_5185:
	v_cmp_ne_u16_e32 vcc_lo, 0, v9
	s_and_not1_b32 s7, s7, exec_lo
	s_and_b32 s8, vcc_lo, exec_lo
	s_delay_alu instid0(SALU_CYCLE_1)
	s_or_b32 s7, s7, s8
	s_or_b32 exec_lo, exec_lo, s6
	v_mov_b64_e32 v[6:7], 0
	s_and_saveexec_b32 s6, s7
	s_cbranch_execnz .LBB94_5170
	s_branch .LBB94_5171
.LBB94_5186:
	s_mov_b32 s5, -1
                                        ; implicit-def: $vgpr6_vgpr7
	s_branch .LBB94_5191
.LBB94_5187:
	s_mov_b32 s5, -1
                                        ; implicit-def: $vgpr6_vgpr7
.LBB94_5188:
	s_delay_alu instid0(SALU_CYCLE_1)
	s_and_b32 vcc_lo, exec_lo, s5
	s_cbranch_vccz .LBB94_5190
; %bb.5189:
	s_wait_loadcnt 0x0
	global_load_u8 v6, v[14:15], off
	s_wait_loadcnt 0x0
	v_lshlrev_b32_e32 v6, 24, v6
	s_delay_alu instid0(VALU_DEP_1) | instskip(NEXT) | instid1(VALU_DEP_1)
	v_and_b32_e32 v7, 0x7f000000, v6
	v_clz_i32_u32_e32 v9, v7
	v_add_nc_u32_e32 v13, 0x1000000, v7
	v_cmp_ne_u32_e32 vcc_lo, 0, v7
	s_delay_alu instid0(VALU_DEP_3) | instskip(NEXT) | instid1(VALU_DEP_1)
	v_min_u32_e32 v9, 32, v9
	v_sub_nc_u32_e64 v9, v9, 4 clamp
	s_delay_alu instid0(VALU_DEP_1) | instskip(NEXT) | instid1(VALU_DEP_1)
	v_dual_lshlrev_b32 v11, v9, v7 :: v_dual_lshlrev_b32 v9, 23, v9
	v_lshrrev_b32_e32 v11, 4, v11
	s_delay_alu instid0(VALU_DEP_1) | instskip(SKIP_1) | instid1(VALU_DEP_2)
	v_sub_nc_u32_e32 v9, v11, v9
	v_ashrrev_i32_e32 v11, 8, v13
	v_add_nc_u32_e32 v9, 0x3c000000, v9
	s_delay_alu instid0(VALU_DEP_1) | instskip(NEXT) | instid1(VALU_DEP_1)
	v_and_or_b32 v9, 0x7f800000, v11, v9
	v_cndmask_b32_e32 v7, 0, v9, vcc_lo
	s_delay_alu instid0(VALU_DEP_1) | instskip(NEXT) | instid1(VALU_DEP_1)
	v_and_or_b32 v6, 0x80000000, v6, v7
	v_trunc_f32_e32 v6, v6
	s_delay_alu instid0(VALU_DEP_1) | instskip(NEXT) | instid1(VALU_DEP_1)
	v_mul_f32_e64 v7, 0x2f800000, |v6|
	v_floor_f32_e32 v7, v7
	s_delay_alu instid0(VALU_DEP_1) | instskip(SKIP_2) | instid1(VALU_DEP_3)
	v_fma_f32 v9, 0xcf800000, v7, |v6|
	v_ashrrev_i32_e32 v6, 31, v6
	v_cvt_u32_f32_e32 v11, v7
	v_cvt_u32_f32_e32 v9, v9
	s_delay_alu instid0(VALU_DEP_2) | instskip(NEXT) | instid1(VALU_DEP_2)
	v_dual_mov_b32 v7, v6 :: v_dual_bitop2_b32 v17, v11, v6 bitop3:0x14
	v_xor_b32_e32 v16, v9, v6
	s_delay_alu instid0(VALU_DEP_1)
	v_sub_nc_u64_e32 v[6:7], v[16:17], v[6:7]
.LBB94_5190:
	s_mov_b32 s5, 0
.LBB94_5191:
	s_delay_alu instid0(SALU_CYCLE_1)
	s_and_not1_b32 vcc_lo, exec_lo, s5
	s_cbranch_vccnz .LBB94_5193
; %bb.5192:
	s_wait_loadcnt 0x0
	global_load_u8 v6, v[14:15], off
	s_wait_loadcnt 0x0
	v_lshlrev_b32_e32 v7, 25, v6
	v_lshlrev_b16 v6, 8, v6
	s_delay_alu instid0(VALU_DEP_1) | instskip(SKIP_1) | instid1(VALU_DEP_2)
	v_and_or_b32 v11, 0x7f00, v6, 0.5
	v_bfe_i32 v6, v6, 0, 16
	v_add_f32_e32 v11, -0.5, v11
	v_lshrrev_b32_e32 v9, 4, v7
	v_cmp_gt_u32_e32 vcc_lo, 0x8000000, v7
	s_delay_alu instid0(VALU_DEP_2) | instskip(NEXT) | instid1(VALU_DEP_1)
	v_or_b32_e32 v9, 0x70000000, v9
	v_mul_f32_e32 v9, 0x7800000, v9
	s_delay_alu instid0(VALU_DEP_1) | instskip(NEXT) | instid1(VALU_DEP_1)
	v_cndmask_b32_e32 v7, v9, v11, vcc_lo
	v_and_or_b32 v6, 0x80000000, v6, v7
	s_delay_alu instid0(VALU_DEP_1) | instskip(NEXT) | instid1(VALU_DEP_1)
	v_trunc_f32_e32 v6, v6
	v_mul_f32_e64 v7, 0x2f800000, |v6|
	s_delay_alu instid0(VALU_DEP_1) | instskip(NEXT) | instid1(VALU_DEP_1)
	v_floor_f32_e32 v7, v7
	v_fma_f32 v9, 0xcf800000, v7, |v6|
	v_ashrrev_i32_e32 v6, 31, v6
	v_cvt_u32_f32_e32 v11, v7
	s_delay_alu instid0(VALU_DEP_3) | instskip(NEXT) | instid1(VALU_DEP_2)
	v_cvt_u32_f32_e32 v9, v9
	v_dual_mov_b32 v7, v6 :: v_dual_bitop2_b32 v17, v11, v6 bitop3:0x14
	s_delay_alu instid0(VALU_DEP_2) | instskip(NEXT) | instid1(VALU_DEP_1)
	v_xor_b32_e32 v16, v9, v6
	v_sub_nc_u64_e32 v[6:7], v[16:17], v[6:7]
.LBB94_5193:
	s_mov_b32 s5, 0
	s_mov_b32 s6, -1
.LBB94_5194:
	s_and_not1_b32 vcc_lo, exec_lo, s5
	s_mov_b32 s5, 0
	s_cbranch_vccnz .LBB94_5205
; %bb.5195:
	s_cmp_gt_i32 s57, 14
	s_cbranch_scc0 .LBB94_5198
; %bb.5196:
	s_cmp_eq_u32 s57, 15
	s_cbranch_scc0 .LBB94_5201
; %bb.5197:
	s_wait_loadcnt 0x0
	global_load_u16 v6, v[14:15], off
	s_mov_b32 s0, 0
	s_mov_b32 s6, -1
	s_wait_loadcnt 0x0
	v_lshlrev_b32_e32 v6, 16, v6
	s_delay_alu instid0(VALU_DEP_1) | instskip(NEXT) | instid1(VALU_DEP_1)
	v_trunc_f32_e32 v6, v6
	v_mul_f32_e64 v7, 0x2f800000, |v6|
	s_delay_alu instid0(VALU_DEP_1) | instskip(NEXT) | instid1(VALU_DEP_1)
	v_floor_f32_e32 v7, v7
	v_fma_f32 v9, 0xcf800000, v7, |v6|
	v_ashrrev_i32_e32 v6, 31, v6
	v_cvt_u32_f32_e32 v11, v7
	s_delay_alu instid0(VALU_DEP_3) | instskip(NEXT) | instid1(VALU_DEP_2)
	v_cvt_u32_f32_e32 v9, v9
	v_dual_mov_b32 v7, v6 :: v_dual_bitop2_b32 v17, v11, v6 bitop3:0x14
	s_delay_alu instid0(VALU_DEP_2) | instskip(NEXT) | instid1(VALU_DEP_1)
	v_xor_b32_e32 v16, v9, v6
	v_sub_nc_u64_e32 v[6:7], v[16:17], v[6:7]
	s_branch .LBB94_5203
.LBB94_5198:
	s_mov_b32 s5, -1
	s_branch .LBB94_5202
.LBB94_5199:
	s_and_not1_saveexec_b32 s5, s5
	s_cbranch_execz .LBB94_5180
.LBB94_5200:
	v_cmp_ne_u16_e32 vcc_lo, 0, v9
	s_and_not1_b32 s6, s6, exec_lo
	s_and_b32 s7, vcc_lo, exec_lo
	s_delay_alu instid0(SALU_CYCLE_1)
	s_or_b32 s6, s6, s7
	s_or_b32 exec_lo, exec_lo, s5
	v_mov_b64_e32 v[6:7], 0
	s_and_saveexec_b32 s5, s6
	s_cbranch_execnz .LBB94_5181
	s_branch .LBB94_5182
.LBB94_5201:
	s_mov_b32 s0, -1
.LBB94_5202:
                                        ; implicit-def: $vgpr6_vgpr7
.LBB94_5203:
	s_and_b32 vcc_lo, exec_lo, s5
	s_mov_b32 s5, 0
	s_cbranch_vccz .LBB94_5205
; %bb.5204:
	s_cmp_lg_u32 s57, 11
	s_mov_b32 s5, -1
	s_cselect_b32 s0, -1, 0
.LBB94_5205:
	s_delay_alu instid0(SALU_CYCLE_1)
	s_and_b32 vcc_lo, exec_lo, s0
	s_cbranch_vccnz .LBB94_5270
; %bb.5206:
	s_and_not1_b32 vcc_lo, exec_lo, s5
	s_cbranch_vccnz .LBB94_5208
.LBB94_5207:
	s_wait_loadcnt 0x0
	global_load_u8 v6, v[14:15], off
	s_mov_b32 s0, 0
	s_mov_b32 s6, -1
	v_mov_b32_e32 v7, s0
	s_wait_loadcnt 0x0
	v_cmp_ne_u16_e32 vcc_lo, 0, v6
	v_cndmask_b32_e64 v6, 0, 1, vcc_lo
.LBB94_5208:
	s_mov_b32 s0, 0
.LBB94_5209:
	s_delay_alu instid0(SALU_CYCLE_1)
	s_and_b32 vcc_lo, exec_lo, s0
	s_cbranch_vccz .LBB94_5258
; %bb.5210:
	s_cmp_lt_i32 s57, 5
	s_cbranch_scc1 .LBB94_5215
; %bb.5211:
	s_cmp_lt_i32 s57, 8
	s_cbranch_scc1 .LBB94_5216
	;; [unrolled: 3-line block ×3, first 2 shown]
; %bb.5213:
	s_cmp_gt_i32 s57, 9
	s_cbranch_scc0 .LBB94_5218
; %bb.5214:
	s_wait_loadcnt 0x0
	global_load_b64 v[6:7], v[14:15], off
	s_mov_b32 s0, 0
	s_wait_loadcnt 0x0
	v_trunc_f64_e32 v[6:7], v[6:7]
	s_delay_alu instid0(VALU_DEP_1) | instskip(NEXT) | instid1(VALU_DEP_1)
	v_ldexp_f64 v[16:17], v[6:7], 0xffffffe0
	v_floor_f64_e32 v[16:17], v[16:17]
	s_delay_alu instid0(VALU_DEP_1) | instskip(SKIP_1) | instid1(VALU_DEP_2)
	v_fmamk_f64 v[18:19], v[16:17], 0xc1f00000, v[6:7]
	v_cvt_i32_f64_e32 v7, v[16:17]
	v_cvt_u32_f64_e32 v6, v[18:19]
	s_branch .LBB94_5219
.LBB94_5215:
	s_mov_b32 s0, -1
                                        ; implicit-def: $vgpr6_vgpr7
	s_branch .LBB94_5237
.LBB94_5216:
	s_mov_b32 s0, -1
                                        ; implicit-def: $vgpr6_vgpr7
	s_branch .LBB94_5225
.LBB94_5217:
	s_mov_b32 s0, -1
                                        ; implicit-def: $vgpr6_vgpr7
	s_branch .LBB94_5222
.LBB94_5218:
	s_mov_b32 s0, -1
                                        ; implicit-def: $vgpr6_vgpr7
.LBB94_5219:
	s_delay_alu instid0(SALU_CYCLE_1)
	s_and_not1_b32 vcc_lo, exec_lo, s0
	s_cbranch_vccnz .LBB94_5221
; %bb.5220:
	s_wait_loadcnt 0x0
	global_load_b32 v6, v[14:15], off
	s_wait_loadcnt 0x0
	v_trunc_f32_e32 v6, v6
	s_delay_alu instid0(VALU_DEP_1) | instskip(NEXT) | instid1(VALU_DEP_1)
	v_mul_f32_e64 v7, 0x2f800000, |v6|
	v_floor_f32_e32 v7, v7
	s_delay_alu instid0(VALU_DEP_1) | instskip(SKIP_2) | instid1(VALU_DEP_3)
	v_fma_f32 v9, 0xcf800000, v7, |v6|
	v_ashrrev_i32_e32 v6, 31, v6
	v_cvt_u32_f32_e32 v11, v7
	v_cvt_u32_f32_e32 v9, v9
	s_delay_alu instid0(VALU_DEP_2) | instskip(NEXT) | instid1(VALU_DEP_2)
	v_dual_mov_b32 v7, v6 :: v_dual_bitop2_b32 v17, v11, v6 bitop3:0x14
	v_xor_b32_e32 v16, v9, v6
	s_delay_alu instid0(VALU_DEP_1)
	v_sub_nc_u64_e32 v[6:7], v[16:17], v[6:7]
.LBB94_5221:
	s_mov_b32 s0, 0
.LBB94_5222:
	s_delay_alu instid0(SALU_CYCLE_1)
	s_and_not1_b32 vcc_lo, exec_lo, s0
	s_cbranch_vccnz .LBB94_5224
; %bb.5223:
	s_wait_loadcnt 0x0
	global_load_b32 v6, v[14:15], off
	s_wait_loadcnt 0x0
	v_cvt_f32_f16_e32 v6, v6
	s_delay_alu instid0(VALU_DEP_1) | instskip(NEXT) | instid1(VALU_DEP_1)
	v_cvt_i32_f32_e32 v6, v6
	v_ashrrev_i32_e32 v7, 31, v6
.LBB94_5224:
	s_mov_b32 s0, 0
.LBB94_5225:
	s_delay_alu instid0(SALU_CYCLE_1)
	s_and_not1_b32 vcc_lo, exec_lo, s0
	s_cbranch_vccnz .LBB94_5236
; %bb.5226:
	s_cmp_lt_i32 s57, 6
	s_cbranch_scc1 .LBB94_5229
; %bb.5227:
	s_cmp_gt_i32 s57, 6
	s_cbranch_scc0 .LBB94_5230
; %bb.5228:
	s_wait_loadcnt 0x0
	global_load_b64 v[6:7], v[14:15], off
	s_mov_b32 s0, 0
	s_wait_loadcnt 0x0
	v_trunc_f64_e32 v[6:7], v[6:7]
	s_delay_alu instid0(VALU_DEP_1) | instskip(NEXT) | instid1(VALU_DEP_1)
	v_ldexp_f64 v[16:17], v[6:7], 0xffffffe0
	v_floor_f64_e32 v[16:17], v[16:17]
	s_delay_alu instid0(VALU_DEP_1) | instskip(SKIP_1) | instid1(VALU_DEP_2)
	v_fmamk_f64 v[18:19], v[16:17], 0xc1f00000, v[6:7]
	v_cvt_i32_f64_e32 v7, v[16:17]
	v_cvt_u32_f64_e32 v6, v[18:19]
	s_branch .LBB94_5231
.LBB94_5229:
	s_mov_b32 s0, -1
                                        ; implicit-def: $vgpr6_vgpr7
	s_branch .LBB94_5234
.LBB94_5230:
	s_mov_b32 s0, -1
                                        ; implicit-def: $vgpr6_vgpr7
.LBB94_5231:
	s_delay_alu instid0(SALU_CYCLE_1)
	s_and_not1_b32 vcc_lo, exec_lo, s0
	s_cbranch_vccnz .LBB94_5233
; %bb.5232:
	s_wait_loadcnt 0x0
	global_load_b32 v6, v[14:15], off
	s_wait_loadcnt 0x0
	v_trunc_f32_e32 v6, v6
	s_delay_alu instid0(VALU_DEP_1) | instskip(NEXT) | instid1(VALU_DEP_1)
	v_mul_f32_e64 v7, 0x2f800000, |v6|
	v_floor_f32_e32 v7, v7
	s_delay_alu instid0(VALU_DEP_1) | instskip(SKIP_2) | instid1(VALU_DEP_3)
	v_fma_f32 v9, 0xcf800000, v7, |v6|
	v_ashrrev_i32_e32 v6, 31, v6
	v_cvt_u32_f32_e32 v11, v7
	v_cvt_u32_f32_e32 v9, v9
	s_delay_alu instid0(VALU_DEP_2) | instskip(NEXT) | instid1(VALU_DEP_2)
	v_dual_mov_b32 v7, v6 :: v_dual_bitop2_b32 v17, v11, v6 bitop3:0x14
	v_xor_b32_e32 v16, v9, v6
	s_delay_alu instid0(VALU_DEP_1)
	v_sub_nc_u64_e32 v[6:7], v[16:17], v[6:7]
.LBB94_5233:
	s_mov_b32 s0, 0
.LBB94_5234:
	s_delay_alu instid0(SALU_CYCLE_1)
	s_and_not1_b32 vcc_lo, exec_lo, s0
	s_cbranch_vccnz .LBB94_5236
; %bb.5235:
	s_wait_loadcnt 0x0
	global_load_u16 v6, v[14:15], off
	s_wait_loadcnt 0x0
	v_cvt_f32_f16_e32 v6, v6
	s_delay_alu instid0(VALU_DEP_1) | instskip(NEXT) | instid1(VALU_DEP_1)
	v_cvt_i32_f32_e32 v6, v6
	v_ashrrev_i32_e32 v7, 31, v6
.LBB94_5236:
	s_mov_b32 s0, 0
.LBB94_5237:
	s_delay_alu instid0(SALU_CYCLE_1)
	s_and_not1_b32 vcc_lo, exec_lo, s0
	s_cbranch_vccnz .LBB94_5257
; %bb.5238:
	s_cmp_lt_i32 s57, 2
	s_cbranch_scc1 .LBB94_5242
; %bb.5239:
	s_cmp_lt_i32 s57, 3
	s_cbranch_scc1 .LBB94_5243
; %bb.5240:
	s_cmp_gt_i32 s57, 3
	s_cbranch_scc0 .LBB94_5244
; %bb.5241:
	s_wait_loadcnt 0x0
	global_load_b64 v[6:7], v[14:15], off
	s_mov_b32 s0, 0
	s_branch .LBB94_5245
.LBB94_5242:
	s_mov_b32 s0, -1
                                        ; implicit-def: $vgpr6_vgpr7
	s_branch .LBB94_5251
.LBB94_5243:
	s_mov_b32 s0, -1
                                        ; implicit-def: $vgpr6_vgpr7
	s_branch .LBB94_5248
.LBB94_5244:
	s_mov_b32 s0, -1
                                        ; implicit-def: $vgpr6_vgpr7
.LBB94_5245:
	s_delay_alu instid0(SALU_CYCLE_1)
	s_and_not1_b32 vcc_lo, exec_lo, s0
	s_cbranch_vccnz .LBB94_5247
; %bb.5246:
	s_wait_loadcnt 0x0
	global_load_b32 v6, v[14:15], off
	s_wait_loadcnt 0x0
	v_ashrrev_i32_e32 v7, 31, v6
.LBB94_5247:
	s_mov_b32 s0, 0
.LBB94_5248:
	s_delay_alu instid0(SALU_CYCLE_1)
	s_and_not1_b32 vcc_lo, exec_lo, s0
	s_cbranch_vccnz .LBB94_5250
; %bb.5249:
	s_wait_loadcnt 0x0
	global_load_u16 v6, v[14:15], off
	s_wait_loadcnt 0x0
	v_bfe_i32 v6, v6, 0, 16
	s_delay_alu instid0(VALU_DEP_1)
	v_ashrrev_i32_e32 v7, 31, v6
.LBB94_5250:
	s_mov_b32 s0, 0
.LBB94_5251:
	s_delay_alu instid0(SALU_CYCLE_1)
	s_and_not1_b32 vcc_lo, exec_lo, s0
	s_cbranch_vccnz .LBB94_5257
; %bb.5252:
	s_cmp_gt_i32 s57, 0
	s_mov_b32 s0, 0
	s_cbranch_scc0 .LBB94_5254
; %bb.5253:
	s_wait_loadcnt 0x0
	global_load_i8 v6, v[14:15], off
	s_wait_loadcnt 0x0
	v_bfe_i32 v6, v6, 0, 16
	s_delay_alu instid0(VALU_DEP_1)
	v_ashrrev_i32_e32 v7, 31, v6
	s_branch .LBB94_5255
.LBB94_5254:
	s_mov_b32 s0, -1
                                        ; implicit-def: $vgpr6_vgpr7
.LBB94_5255:
	s_delay_alu instid0(SALU_CYCLE_1)
	s_and_not1_b32 vcc_lo, exec_lo, s0
	s_cbranch_vccnz .LBB94_5257
; %bb.5256:
	s_wait_loadcnt 0x0
	global_load_u8 v6, v[14:15], off
	s_mov_b32 s0, 0
	s_delay_alu instid0(SALU_CYCLE_1)
	v_mov_b32_e32 v7, s0
	s_wait_loadcnt 0x0
	v_and_b32_e32 v6, 0xffff, v6
.LBB94_5257:
	s_mov_b32 s6, -1
.LBB94_5258:
	s_delay_alu instid0(SALU_CYCLE_1)
	s_and_not1_b32 vcc_lo, exec_lo, s6
	s_cbranch_vccnz .LBB94_5650
; %bb.5259:
	v_add_nc_u32_e32 v8, s62, v8
	s_cmp_lt_i32 s58, 11
	s_delay_alu instid0(VALU_DEP_1) | instskip(SKIP_1) | instid1(VALU_DEP_1)
	v_ashrrev_i32_e32 v9, 31, v8
	s_wait_xcnt 0x0
	v_add_nc_u64_e32 v[14:15], s[10:11], v[8:9]
	s_cbranch_scc1 .LBB94_5266
; %bb.5260:
	s_cmp_gt_i32 s58, 25
	s_mov_b32 s5, 0
	s_cbranch_scc0 .LBB94_5267
; %bb.5261:
	s_cmp_gt_i32 s58, 28
	s_cbranch_scc0 .LBB94_5268
; %bb.5262:
	s_cmp_gt_i32 s58, 43
	;; [unrolled: 3-line block ×3, first 2 shown]
	s_cbranch_scc0 .LBB94_5271
; %bb.5264:
	s_cmp_eq_u32 s58, 46
	s_mov_b32 s7, 0
	s_cbranch_scc0 .LBB94_5273
; %bb.5265:
	global_load_b32 v8, v[14:15], off
	s_mov_b32 s0, 0
	s_mov_b32 s6, -1
	s_wait_loadcnt 0x0
	v_lshlrev_b32_e32 v8, 16, v8
	s_delay_alu instid0(VALU_DEP_1) | instskip(NEXT) | instid1(VALU_DEP_1)
	v_trunc_f32_e32 v8, v8
	v_mul_f32_e64 v9, 0x2f800000, |v8|
	s_delay_alu instid0(VALU_DEP_1) | instskip(NEXT) | instid1(VALU_DEP_1)
	v_floor_f32_e32 v9, v9
	v_fma_f32 v11, 0xcf800000, v9, |v8|
	v_ashrrev_i32_e32 v8, 31, v8
	v_cvt_u32_f32_e32 v13, v9
	s_delay_alu instid0(VALU_DEP_3) | instskip(NEXT) | instid1(VALU_DEP_2)
	v_cvt_u32_f32_e32 v11, v11
	v_dual_mov_b32 v9, v8 :: v_dual_bitop2_b32 v17, v13, v8 bitop3:0x14
	s_delay_alu instid0(VALU_DEP_2) | instskip(NEXT) | instid1(VALU_DEP_1)
	v_xor_b32_e32 v16, v11, v8
	v_sub_nc_u64_e32 v[8:9], v[16:17], v[8:9]
	s_branch .LBB94_5275
.LBB94_5266:
	s_mov_b32 s0, -1
	s_mov_b32 s6, 0
                                        ; implicit-def: $vgpr8_vgpr9
	s_branch .LBB94_5337
.LBB94_5267:
	s_mov_b32 s7, -1
	s_mov_b32 s6, 0
	s_mov_b32 s0, 0
                                        ; implicit-def: $vgpr8_vgpr9
	s_branch .LBB94_5302
.LBB94_5268:
	s_mov_b32 s7, -1
	s_mov_b32 s6, 0
	s_mov_b32 s0, 0
                                        ; implicit-def: $vgpr8_vgpr9
	s_branch .LBB94_5285
.LBB94_5269:
	s_mov_b32 s7, -1
	s_mov_b32 s6, 0
	s_mov_b32 s0, 0
                                        ; implicit-def: $vgpr8_vgpr9
	s_branch .LBB94_5280
.LBB94_5270:
	s_or_b32 s21, s21, exec_lo
	s_trap 2
	s_cbranch_execz .LBB94_5207
	s_branch .LBB94_5208
.LBB94_5271:
	s_mov_b32 s7, -1
	s_mov_b32 s6, 0
	s_mov_b32 s0, 0
	s_branch .LBB94_5274
.LBB94_5272:
	s_or_b32 s65, s55, exec_lo
	s_trap 2
                                        ; implicit-def: $vgpr4
                                        ; implicit-def: $vgpr6
                                        ; implicit-def: $vgpr8
                                        ; implicit-def: $vgpr14_vgpr15
                                        ; implicit-def: $vgpr10
                                        ; implicit-def: $vgpr16_vgpr17
                                        ; implicit-def: $vgpr12
                                        ; implicit-def: $vgpr24_vgpr25
                                        ; implicit-def: $vgpr0_vgpr1
                                        ; implicit-def: $vgpr2_vgpr3
                                        ; implicit-def: $vgpr26
	s_or_saveexec_b32 s66, s0
                                        ; implicit-def: $vgpr20_vgpr21
                                        ; implicit-def: $sgpr0
	s_delay_alu instid0(SALU_CYCLE_1)
	s_xor_b32 exec_lo, exec_lo, s66
	s_cbranch_execz .LBB94_5654
	s_branch .LBB94_4980
.LBB94_5273:
	s_mov_b32 s0, -1
	s_mov_b32 s6, 0
.LBB94_5274:
                                        ; implicit-def: $vgpr8_vgpr9
.LBB94_5275:
	s_and_b32 vcc_lo, exec_lo, s7
	s_cbranch_vccz .LBB94_5279
; %bb.5276:
	s_cmp_eq_u32 s58, 44
	s_cbranch_scc0 .LBB94_5278
; %bb.5277:
	global_load_u8 v11, v[14:15], off
	s_mov_b32 s0, 0
	s_mov_b32 s6, -1
	s_wait_loadcnt 0x0
	v_cmp_ne_u32_e32 vcc_lo, 0, v11
	v_lshlrev_b32_e32 v8, 23, v11
	s_delay_alu instid0(VALU_DEP_1) | instskip(NEXT) | instid1(VALU_DEP_1)
	v_trunc_f32_e32 v8, v8
	v_mul_f32_e64 v9, 0x2f800000, |v8|
	s_delay_alu instid0(VALU_DEP_1) | instskip(NEXT) | instid1(VALU_DEP_1)
	v_floor_f32_e32 v9, v9
	v_fma_f32 v13, 0xcf800000, v9, |v8|
	v_ashrrev_i32_e32 v8, 31, v8
	v_cvt_u32_f32_e32 v16, v9
	s_delay_alu instid0(VALU_DEP_3) | instskip(NEXT) | instid1(VALU_DEP_3)
	v_cvt_u32_f32_e32 v13, v13
	v_mov_b32_e32 v9, v8
	s_delay_alu instid0(VALU_DEP_3) | instskip(NEXT) | instid1(VALU_DEP_3)
	v_xor_b32_e32 v17, v16, v8
	v_xor_b32_e32 v16, v13, v8
	s_delay_alu instid0(VALU_DEP_1) | instskip(NEXT) | instid1(VALU_DEP_1)
	v_sub_nc_u64_e32 v[8:9], v[16:17], v[8:9]
	v_dual_cndmask_b32 v9, 0, v9 :: v_dual_cndmask_b32 v8, 0, v8
	s_branch .LBB94_5279
.LBB94_5278:
	s_mov_b32 s0, -1
                                        ; implicit-def: $vgpr8_vgpr9
.LBB94_5279:
	s_mov_b32 s7, 0
.LBB94_5280:
	s_delay_alu instid0(SALU_CYCLE_1)
	s_and_b32 vcc_lo, exec_lo, s7
	s_cbranch_vccz .LBB94_5284
; %bb.5281:
	s_cmp_eq_u32 s58, 29
	s_cbranch_scc0 .LBB94_5283
; %bb.5282:
	global_load_b64 v[8:9], v[14:15], off
	s_mov_b32 s0, 0
	s_mov_b32 s6, -1
	s_branch .LBB94_5284
.LBB94_5283:
	s_mov_b32 s0, -1
                                        ; implicit-def: $vgpr8_vgpr9
.LBB94_5284:
	s_mov_b32 s7, 0
.LBB94_5285:
	s_delay_alu instid0(SALU_CYCLE_1)
	s_and_b32 vcc_lo, exec_lo, s7
	s_cbranch_vccz .LBB94_5301
; %bb.5286:
	s_cmp_lt_i32 s58, 27
	s_cbranch_scc1 .LBB94_5289
; %bb.5287:
	s_cmp_gt_i32 s58, 27
	s_cbranch_scc0 .LBB94_5290
; %bb.5288:
	s_wait_loadcnt 0x0
	global_load_b32 v8, v[14:15], off
	v_mov_b32_e32 v9, 0
	s_mov_b32 s6, 0
	s_branch .LBB94_5291
.LBB94_5289:
	s_mov_b32 s6, -1
                                        ; implicit-def: $vgpr8_vgpr9
	s_branch .LBB94_5294
.LBB94_5290:
	s_mov_b32 s6, -1
                                        ; implicit-def: $vgpr8_vgpr9
.LBB94_5291:
	s_delay_alu instid0(SALU_CYCLE_1)
	s_and_not1_b32 vcc_lo, exec_lo, s6
	s_cbranch_vccnz .LBB94_5293
; %bb.5292:
	s_wait_loadcnt 0x0
	global_load_u16 v8, v[14:15], off
	s_mov_b32 s6, 0
	s_delay_alu instid0(SALU_CYCLE_1)
	v_mov_b32_e32 v9, s6
	s_wait_loadcnt 0x0
	v_and_b32_e32 v8, 0xffff, v8
.LBB94_5293:
	s_mov_b32 s6, 0
.LBB94_5294:
	s_delay_alu instid0(SALU_CYCLE_1)
	s_and_not1_b32 vcc_lo, exec_lo, s6
	s_cbranch_vccnz .LBB94_5300
; %bb.5295:
	global_load_u8 v11, v[14:15], off
	s_mov_b32 s7, 0
	s_mov_b32 s6, exec_lo
	s_wait_loadcnt 0x0
	v_cmpx_lt_i16_e32 0x7f, v11
	s_xor_b32 s6, exec_lo, s6
	s_cbranch_execz .LBB94_5312
; %bb.5296:
	v_cmp_ne_u16_e32 vcc_lo, 0x80, v11
	s_and_b32 s7, vcc_lo, exec_lo
	s_and_not1_saveexec_b32 s6, s6
	s_cbranch_execnz .LBB94_5313
.LBB94_5297:
	s_or_b32 exec_lo, exec_lo, s6
	v_mov_b64_e32 v[8:9], 0
	s_and_saveexec_b32 s6, s7
	s_cbranch_execz .LBB94_5299
.LBB94_5298:
	v_and_b32_e32 v8, 0xffff, v11
	s_delay_alu instid0(VALU_DEP_1) | instskip(SKIP_1) | instid1(VALU_DEP_2)
	v_and_b32_e32 v9, 7, v8
	v_bfe_u32 v17, v8, 3, 4
	v_clz_i32_u32_e32 v13, v9
	s_delay_alu instid0(VALU_DEP_2) | instskip(NEXT) | instid1(VALU_DEP_2)
	v_cmp_eq_u32_e32 vcc_lo, 0, v17
	v_min_u32_e32 v13, 32, v13
	s_delay_alu instid0(VALU_DEP_1) | instskip(NEXT) | instid1(VALU_DEP_1)
	v_subrev_nc_u32_e32 v16, 28, v13
	v_dual_lshlrev_b32 v8, v16, v8 :: v_dual_sub_nc_u32 v13, 29, v13
	s_delay_alu instid0(VALU_DEP_1) | instskip(NEXT) | instid1(VALU_DEP_2)
	v_dual_lshlrev_b32 v11, 24, v11 :: v_dual_bitop2_b32 v8, 7, v8 bitop3:0x40
	v_cndmask_b32_e32 v13, v17, v13, vcc_lo
	s_delay_alu instid0(VALU_DEP_2) | instskip(NEXT) | instid1(VALU_DEP_3)
	v_cndmask_b32_e32 v8, v9, v8, vcc_lo
	v_and_b32_e32 v9, 0x80000000, v11
	s_delay_alu instid0(VALU_DEP_3) | instskip(NEXT) | instid1(VALU_DEP_3)
	v_lshl_add_u32 v11, v13, 23, 0x3b800000
	v_lshlrev_b32_e32 v8, 20, v8
	s_delay_alu instid0(VALU_DEP_1) | instskip(NEXT) | instid1(VALU_DEP_1)
	v_or3_b32 v8, v9, v11, v8
	v_trunc_f32_e32 v8, v8
	s_delay_alu instid0(VALU_DEP_1) | instskip(NEXT) | instid1(VALU_DEP_1)
	v_mul_f32_e64 v9, 0x2f800000, |v8|
	v_floor_f32_e32 v9, v9
	s_delay_alu instid0(VALU_DEP_1) | instskip(SKIP_2) | instid1(VALU_DEP_3)
	v_fma_f32 v11, 0xcf800000, v9, |v8|
	v_ashrrev_i32_e32 v8, 31, v8
	v_cvt_u32_f32_e32 v13, v9
	v_cvt_u32_f32_e32 v11, v11
	s_delay_alu instid0(VALU_DEP_2) | instskip(NEXT) | instid1(VALU_DEP_2)
	v_dual_mov_b32 v9, v8 :: v_dual_bitop2_b32 v17, v13, v8 bitop3:0x14
	v_xor_b32_e32 v16, v11, v8
	s_delay_alu instid0(VALU_DEP_1)
	v_sub_nc_u64_e32 v[8:9], v[16:17], v[8:9]
.LBB94_5299:
	s_or_b32 exec_lo, exec_lo, s6
.LBB94_5300:
	s_mov_b32 s6, -1
.LBB94_5301:
	s_mov_b32 s7, 0
.LBB94_5302:
	s_delay_alu instid0(SALU_CYCLE_1)
	s_and_b32 vcc_lo, exec_lo, s7
	s_cbranch_vccz .LBB94_5333
; %bb.5303:
	s_cmp_gt_i32 s58, 22
	s_cbranch_scc0 .LBB94_5311
; %bb.5304:
	s_cmp_lt_i32 s58, 24
	s_cbranch_scc1 .LBB94_5314
; %bb.5305:
	s_cmp_gt_i32 s58, 24
	s_cbranch_scc0 .LBB94_5315
; %bb.5306:
	global_load_u8 v11, v[14:15], off
	s_mov_b32 s6, 0
	s_mov_b32 s5, exec_lo
	s_wait_loadcnt 0x0
	v_cmpx_lt_i16_e32 0x7f, v11
	s_xor_b32 s5, exec_lo, s5
	s_cbranch_execz .LBB94_5327
; %bb.5307:
	v_cmp_ne_u16_e32 vcc_lo, 0x80, v11
	s_and_b32 s6, vcc_lo, exec_lo
	s_and_not1_saveexec_b32 s5, s5
	s_cbranch_execnz .LBB94_5328
.LBB94_5308:
	s_or_b32 exec_lo, exec_lo, s5
	v_mov_b64_e32 v[8:9], 0
	s_and_saveexec_b32 s5, s6
	s_cbranch_execz .LBB94_5310
.LBB94_5309:
	v_and_b32_e32 v8, 0xffff, v11
	s_delay_alu instid0(VALU_DEP_1) | instskip(SKIP_1) | instid1(VALU_DEP_2)
	v_and_b32_e32 v9, 3, v8
	v_bfe_u32 v17, v8, 2, 5
	v_clz_i32_u32_e32 v13, v9
	s_delay_alu instid0(VALU_DEP_2) | instskip(NEXT) | instid1(VALU_DEP_2)
	v_cmp_eq_u32_e32 vcc_lo, 0, v17
	v_min_u32_e32 v13, 32, v13
	s_delay_alu instid0(VALU_DEP_1) | instskip(NEXT) | instid1(VALU_DEP_1)
	v_subrev_nc_u32_e32 v16, 29, v13
	v_dual_lshlrev_b32 v8, v16, v8 :: v_dual_sub_nc_u32 v13, 30, v13
	s_delay_alu instid0(VALU_DEP_1) | instskip(NEXT) | instid1(VALU_DEP_2)
	v_dual_lshlrev_b32 v11, 24, v11 :: v_dual_bitop2_b32 v8, 3, v8 bitop3:0x40
	v_cndmask_b32_e32 v13, v17, v13, vcc_lo
	s_delay_alu instid0(VALU_DEP_2) | instskip(NEXT) | instid1(VALU_DEP_3)
	v_cndmask_b32_e32 v8, v9, v8, vcc_lo
	v_and_b32_e32 v9, 0x80000000, v11
	s_delay_alu instid0(VALU_DEP_3) | instskip(NEXT) | instid1(VALU_DEP_3)
	v_lshl_add_u32 v11, v13, 23, 0x37800000
	v_lshlrev_b32_e32 v8, 21, v8
	s_delay_alu instid0(VALU_DEP_1) | instskip(NEXT) | instid1(VALU_DEP_1)
	v_or3_b32 v8, v9, v11, v8
	v_trunc_f32_e32 v8, v8
	s_delay_alu instid0(VALU_DEP_1) | instskip(NEXT) | instid1(VALU_DEP_1)
	v_mul_f32_e64 v9, 0x2f800000, |v8|
	v_floor_f32_e32 v9, v9
	s_delay_alu instid0(VALU_DEP_1) | instskip(SKIP_2) | instid1(VALU_DEP_3)
	v_fma_f32 v11, 0xcf800000, v9, |v8|
	v_ashrrev_i32_e32 v8, 31, v8
	v_cvt_u32_f32_e32 v13, v9
	v_cvt_u32_f32_e32 v11, v11
	s_delay_alu instid0(VALU_DEP_2) | instskip(NEXT) | instid1(VALU_DEP_2)
	v_dual_mov_b32 v9, v8 :: v_dual_bitop2_b32 v17, v13, v8 bitop3:0x14
	v_xor_b32_e32 v16, v11, v8
	s_delay_alu instid0(VALU_DEP_1)
	v_sub_nc_u64_e32 v[8:9], v[16:17], v[8:9]
.LBB94_5310:
	s_or_b32 exec_lo, exec_lo, s5
	s_mov_b32 s5, 0
	s_branch .LBB94_5316
.LBB94_5311:
	s_mov_b32 s5, -1
                                        ; implicit-def: $vgpr8_vgpr9
	s_branch .LBB94_5322
.LBB94_5312:
	s_and_not1_saveexec_b32 s6, s6
	s_cbranch_execz .LBB94_5297
.LBB94_5313:
	v_cmp_ne_u16_e32 vcc_lo, 0, v11
	s_and_not1_b32 s7, s7, exec_lo
	s_and_b32 s8, vcc_lo, exec_lo
	s_delay_alu instid0(SALU_CYCLE_1)
	s_or_b32 s7, s7, s8
	s_or_b32 exec_lo, exec_lo, s6
	v_mov_b64_e32 v[8:9], 0
	s_and_saveexec_b32 s6, s7
	s_cbranch_execnz .LBB94_5298
	s_branch .LBB94_5299
.LBB94_5314:
	s_mov_b32 s5, -1
                                        ; implicit-def: $vgpr8_vgpr9
	s_branch .LBB94_5319
.LBB94_5315:
	s_mov_b32 s5, -1
                                        ; implicit-def: $vgpr8_vgpr9
.LBB94_5316:
	s_delay_alu instid0(SALU_CYCLE_1)
	s_and_b32 vcc_lo, exec_lo, s5
	s_cbranch_vccz .LBB94_5318
; %bb.5317:
	s_wait_loadcnt 0x0
	global_load_u8 v8, v[14:15], off
	s_wait_loadcnt 0x0
	v_lshlrev_b32_e32 v8, 24, v8
	s_delay_alu instid0(VALU_DEP_1) | instskip(NEXT) | instid1(VALU_DEP_1)
	v_and_b32_e32 v9, 0x7f000000, v8
	v_clz_i32_u32_e32 v11, v9
	v_cmp_ne_u32_e32 vcc_lo, 0, v9
	v_add_nc_u32_e32 v16, 0x1000000, v9
	s_delay_alu instid0(VALU_DEP_3) | instskip(NEXT) | instid1(VALU_DEP_1)
	v_min_u32_e32 v11, 32, v11
	v_sub_nc_u32_e64 v11, v11, 4 clamp
	s_delay_alu instid0(VALU_DEP_1) | instskip(NEXT) | instid1(VALU_DEP_1)
	v_dual_lshlrev_b32 v13, v11, v9 :: v_dual_lshlrev_b32 v11, 23, v11
	v_lshrrev_b32_e32 v13, 4, v13
	s_delay_alu instid0(VALU_DEP_1) | instskip(NEXT) | instid1(VALU_DEP_1)
	v_dual_sub_nc_u32 v11, v13, v11 :: v_dual_ashrrev_i32 v13, 8, v16
	v_add_nc_u32_e32 v11, 0x3c000000, v11
	s_delay_alu instid0(VALU_DEP_1) | instskip(NEXT) | instid1(VALU_DEP_1)
	v_and_or_b32 v11, 0x7f800000, v13, v11
	v_cndmask_b32_e32 v9, 0, v11, vcc_lo
	s_delay_alu instid0(VALU_DEP_1) | instskip(NEXT) | instid1(VALU_DEP_1)
	v_and_or_b32 v8, 0x80000000, v8, v9
	v_trunc_f32_e32 v8, v8
	s_delay_alu instid0(VALU_DEP_1) | instskip(NEXT) | instid1(VALU_DEP_1)
	v_mul_f32_e64 v9, 0x2f800000, |v8|
	v_floor_f32_e32 v9, v9
	s_delay_alu instid0(VALU_DEP_1) | instskip(SKIP_2) | instid1(VALU_DEP_3)
	v_fma_f32 v11, 0xcf800000, v9, |v8|
	v_ashrrev_i32_e32 v8, 31, v8
	v_cvt_u32_f32_e32 v13, v9
	v_cvt_u32_f32_e32 v11, v11
	s_delay_alu instid0(VALU_DEP_2) | instskip(NEXT) | instid1(VALU_DEP_2)
	v_dual_mov_b32 v9, v8 :: v_dual_bitop2_b32 v17, v13, v8 bitop3:0x14
	v_xor_b32_e32 v16, v11, v8
	s_delay_alu instid0(VALU_DEP_1)
	v_sub_nc_u64_e32 v[8:9], v[16:17], v[8:9]
.LBB94_5318:
	s_mov_b32 s5, 0
.LBB94_5319:
	s_delay_alu instid0(SALU_CYCLE_1)
	s_and_not1_b32 vcc_lo, exec_lo, s5
	s_cbranch_vccnz .LBB94_5321
; %bb.5320:
	s_wait_loadcnt 0x0
	global_load_u8 v8, v[14:15], off
	s_wait_loadcnt 0x0
	v_lshlrev_b32_e32 v9, 25, v8
	v_lshlrev_b16 v8, 8, v8
	s_delay_alu instid0(VALU_DEP_1) | instskip(SKIP_1) | instid1(VALU_DEP_2)
	v_and_or_b32 v13, 0x7f00, v8, 0.5
	v_bfe_i32 v8, v8, 0, 16
	v_add_f32_e32 v13, -0.5, v13
	v_lshrrev_b32_e32 v11, 4, v9
	v_cmp_gt_u32_e32 vcc_lo, 0x8000000, v9
	s_delay_alu instid0(VALU_DEP_2) | instskip(NEXT) | instid1(VALU_DEP_1)
	v_or_b32_e32 v11, 0x70000000, v11
	v_mul_f32_e32 v11, 0x7800000, v11
	s_delay_alu instid0(VALU_DEP_1) | instskip(NEXT) | instid1(VALU_DEP_1)
	v_cndmask_b32_e32 v9, v11, v13, vcc_lo
	v_and_or_b32 v8, 0x80000000, v8, v9
	s_delay_alu instid0(VALU_DEP_1) | instskip(NEXT) | instid1(VALU_DEP_1)
	v_trunc_f32_e32 v8, v8
	v_mul_f32_e64 v9, 0x2f800000, |v8|
	s_delay_alu instid0(VALU_DEP_1) | instskip(NEXT) | instid1(VALU_DEP_1)
	v_floor_f32_e32 v9, v9
	v_fma_f32 v11, 0xcf800000, v9, |v8|
	v_ashrrev_i32_e32 v8, 31, v8
	v_cvt_u32_f32_e32 v13, v9
	s_delay_alu instid0(VALU_DEP_3) | instskip(NEXT) | instid1(VALU_DEP_2)
	v_cvt_u32_f32_e32 v11, v11
	v_dual_mov_b32 v9, v8 :: v_dual_bitop2_b32 v17, v13, v8 bitop3:0x14
	s_delay_alu instid0(VALU_DEP_2) | instskip(NEXT) | instid1(VALU_DEP_1)
	v_xor_b32_e32 v16, v11, v8
	v_sub_nc_u64_e32 v[8:9], v[16:17], v[8:9]
.LBB94_5321:
	s_mov_b32 s5, 0
	s_mov_b32 s6, -1
.LBB94_5322:
	s_and_not1_b32 vcc_lo, exec_lo, s5
	s_mov_b32 s5, 0
	s_cbranch_vccnz .LBB94_5333
; %bb.5323:
	s_cmp_gt_i32 s58, 14
	s_cbranch_scc0 .LBB94_5326
; %bb.5324:
	s_cmp_eq_u32 s58, 15
	s_cbranch_scc0 .LBB94_5329
; %bb.5325:
	s_wait_loadcnt 0x0
	global_load_u16 v8, v[14:15], off
	s_mov_b32 s0, 0
	s_mov_b32 s6, -1
	s_wait_loadcnt 0x0
	v_lshlrev_b32_e32 v8, 16, v8
	s_delay_alu instid0(VALU_DEP_1) | instskip(NEXT) | instid1(VALU_DEP_1)
	v_trunc_f32_e32 v8, v8
	v_mul_f32_e64 v9, 0x2f800000, |v8|
	s_delay_alu instid0(VALU_DEP_1) | instskip(NEXT) | instid1(VALU_DEP_1)
	v_floor_f32_e32 v9, v9
	v_fma_f32 v11, 0xcf800000, v9, |v8|
	v_ashrrev_i32_e32 v8, 31, v8
	v_cvt_u32_f32_e32 v13, v9
	s_delay_alu instid0(VALU_DEP_3) | instskip(NEXT) | instid1(VALU_DEP_2)
	v_cvt_u32_f32_e32 v11, v11
	v_dual_mov_b32 v9, v8 :: v_dual_bitop2_b32 v17, v13, v8 bitop3:0x14
	s_delay_alu instid0(VALU_DEP_2) | instskip(NEXT) | instid1(VALU_DEP_1)
	v_xor_b32_e32 v16, v11, v8
	v_sub_nc_u64_e32 v[8:9], v[16:17], v[8:9]
	s_branch .LBB94_5331
.LBB94_5326:
	s_mov_b32 s5, -1
	s_branch .LBB94_5330
.LBB94_5327:
	s_and_not1_saveexec_b32 s5, s5
	s_cbranch_execz .LBB94_5308
.LBB94_5328:
	v_cmp_ne_u16_e32 vcc_lo, 0, v11
	s_and_not1_b32 s6, s6, exec_lo
	s_and_b32 s7, vcc_lo, exec_lo
	s_delay_alu instid0(SALU_CYCLE_1)
	s_or_b32 s6, s6, s7
	s_or_b32 exec_lo, exec_lo, s5
	v_mov_b64_e32 v[8:9], 0
	s_and_saveexec_b32 s5, s6
	s_cbranch_execnz .LBB94_5309
	s_branch .LBB94_5310
.LBB94_5329:
	s_mov_b32 s0, -1
.LBB94_5330:
                                        ; implicit-def: $vgpr8_vgpr9
.LBB94_5331:
	s_and_b32 vcc_lo, exec_lo, s5
	s_mov_b32 s5, 0
	s_cbranch_vccz .LBB94_5333
; %bb.5332:
	s_cmp_lg_u32 s58, 11
	s_mov_b32 s5, -1
	s_cselect_b32 s0, -1, 0
.LBB94_5333:
	s_delay_alu instid0(SALU_CYCLE_1)
	s_and_b32 vcc_lo, exec_lo, s0
	s_cbranch_vccnz .LBB94_5398
; %bb.5334:
	s_and_not1_b32 vcc_lo, exec_lo, s5
	s_cbranch_vccnz .LBB94_5336
.LBB94_5335:
	s_wait_loadcnt 0x0
	global_load_u8 v8, v[14:15], off
	s_mov_b32 s0, 0
	s_mov_b32 s6, -1
	v_mov_b32_e32 v9, s0
	s_wait_loadcnt 0x0
	v_cmp_ne_u16_e32 vcc_lo, 0, v8
	v_cndmask_b32_e64 v8, 0, 1, vcc_lo
.LBB94_5336:
	s_mov_b32 s0, 0
.LBB94_5337:
	s_delay_alu instid0(SALU_CYCLE_1)
	s_and_b32 vcc_lo, exec_lo, s0
	s_cbranch_vccz .LBB94_5386
; %bb.5338:
	s_cmp_lt_i32 s58, 5
	s_cbranch_scc1 .LBB94_5343
; %bb.5339:
	s_cmp_lt_i32 s58, 8
	s_cbranch_scc1 .LBB94_5344
	;; [unrolled: 3-line block ×3, first 2 shown]
; %bb.5341:
	s_cmp_gt_i32 s58, 9
	s_cbranch_scc0 .LBB94_5346
; %bb.5342:
	s_wait_loadcnt 0x0
	global_load_b64 v[8:9], v[14:15], off
	s_mov_b32 s0, 0
	s_wait_loadcnt 0x0
	v_trunc_f64_e32 v[8:9], v[8:9]
	s_delay_alu instid0(VALU_DEP_1) | instskip(NEXT) | instid1(VALU_DEP_1)
	v_ldexp_f64 v[16:17], v[8:9], 0xffffffe0
	v_floor_f64_e32 v[16:17], v[16:17]
	s_delay_alu instid0(VALU_DEP_1) | instskip(SKIP_1) | instid1(VALU_DEP_2)
	v_fmamk_f64 v[18:19], v[16:17], 0xc1f00000, v[8:9]
	v_cvt_i32_f64_e32 v9, v[16:17]
	v_cvt_u32_f64_e32 v8, v[18:19]
	s_branch .LBB94_5347
.LBB94_5343:
	s_mov_b32 s0, -1
                                        ; implicit-def: $vgpr8_vgpr9
	s_branch .LBB94_5365
.LBB94_5344:
	s_mov_b32 s0, -1
                                        ; implicit-def: $vgpr8_vgpr9
	s_branch .LBB94_5353
.LBB94_5345:
	s_mov_b32 s0, -1
                                        ; implicit-def: $vgpr8_vgpr9
	s_branch .LBB94_5350
.LBB94_5346:
	s_mov_b32 s0, -1
                                        ; implicit-def: $vgpr8_vgpr9
.LBB94_5347:
	s_delay_alu instid0(SALU_CYCLE_1)
	s_and_not1_b32 vcc_lo, exec_lo, s0
	s_cbranch_vccnz .LBB94_5349
; %bb.5348:
	s_wait_loadcnt 0x0
	global_load_b32 v8, v[14:15], off
	s_wait_loadcnt 0x0
	v_trunc_f32_e32 v8, v8
	s_delay_alu instid0(VALU_DEP_1) | instskip(NEXT) | instid1(VALU_DEP_1)
	v_mul_f32_e64 v9, 0x2f800000, |v8|
	v_floor_f32_e32 v9, v9
	s_delay_alu instid0(VALU_DEP_1) | instskip(SKIP_2) | instid1(VALU_DEP_3)
	v_fma_f32 v11, 0xcf800000, v9, |v8|
	v_ashrrev_i32_e32 v8, 31, v8
	v_cvt_u32_f32_e32 v13, v9
	v_cvt_u32_f32_e32 v11, v11
	s_delay_alu instid0(VALU_DEP_2) | instskip(NEXT) | instid1(VALU_DEP_2)
	v_dual_mov_b32 v9, v8 :: v_dual_bitop2_b32 v17, v13, v8 bitop3:0x14
	v_xor_b32_e32 v16, v11, v8
	s_delay_alu instid0(VALU_DEP_1)
	v_sub_nc_u64_e32 v[8:9], v[16:17], v[8:9]
.LBB94_5349:
	s_mov_b32 s0, 0
.LBB94_5350:
	s_delay_alu instid0(SALU_CYCLE_1)
	s_and_not1_b32 vcc_lo, exec_lo, s0
	s_cbranch_vccnz .LBB94_5352
; %bb.5351:
	s_wait_loadcnt 0x0
	global_load_b32 v8, v[14:15], off
	s_wait_loadcnt 0x0
	v_cvt_f32_f16_e32 v8, v8
	s_delay_alu instid0(VALU_DEP_1) | instskip(NEXT) | instid1(VALU_DEP_1)
	v_cvt_i32_f32_e32 v8, v8
	v_ashrrev_i32_e32 v9, 31, v8
.LBB94_5352:
	s_mov_b32 s0, 0
.LBB94_5353:
	s_delay_alu instid0(SALU_CYCLE_1)
	s_and_not1_b32 vcc_lo, exec_lo, s0
	s_cbranch_vccnz .LBB94_5364
; %bb.5354:
	s_cmp_lt_i32 s58, 6
	s_cbranch_scc1 .LBB94_5357
; %bb.5355:
	s_cmp_gt_i32 s58, 6
	s_cbranch_scc0 .LBB94_5358
; %bb.5356:
	s_wait_loadcnt 0x0
	global_load_b64 v[8:9], v[14:15], off
	s_mov_b32 s0, 0
	s_wait_loadcnt 0x0
	v_trunc_f64_e32 v[8:9], v[8:9]
	s_delay_alu instid0(VALU_DEP_1) | instskip(NEXT) | instid1(VALU_DEP_1)
	v_ldexp_f64 v[16:17], v[8:9], 0xffffffe0
	v_floor_f64_e32 v[16:17], v[16:17]
	s_delay_alu instid0(VALU_DEP_1) | instskip(SKIP_1) | instid1(VALU_DEP_2)
	v_fmamk_f64 v[18:19], v[16:17], 0xc1f00000, v[8:9]
	v_cvt_i32_f64_e32 v9, v[16:17]
	v_cvt_u32_f64_e32 v8, v[18:19]
	s_branch .LBB94_5359
.LBB94_5357:
	s_mov_b32 s0, -1
                                        ; implicit-def: $vgpr8_vgpr9
	s_branch .LBB94_5362
.LBB94_5358:
	s_mov_b32 s0, -1
                                        ; implicit-def: $vgpr8_vgpr9
.LBB94_5359:
	s_delay_alu instid0(SALU_CYCLE_1)
	s_and_not1_b32 vcc_lo, exec_lo, s0
	s_cbranch_vccnz .LBB94_5361
; %bb.5360:
	s_wait_loadcnt 0x0
	global_load_b32 v8, v[14:15], off
	s_wait_loadcnt 0x0
	v_trunc_f32_e32 v8, v8
	s_delay_alu instid0(VALU_DEP_1) | instskip(NEXT) | instid1(VALU_DEP_1)
	v_mul_f32_e64 v9, 0x2f800000, |v8|
	v_floor_f32_e32 v9, v9
	s_delay_alu instid0(VALU_DEP_1) | instskip(SKIP_2) | instid1(VALU_DEP_3)
	v_fma_f32 v11, 0xcf800000, v9, |v8|
	v_ashrrev_i32_e32 v8, 31, v8
	v_cvt_u32_f32_e32 v13, v9
	v_cvt_u32_f32_e32 v11, v11
	s_delay_alu instid0(VALU_DEP_2) | instskip(NEXT) | instid1(VALU_DEP_2)
	v_dual_mov_b32 v9, v8 :: v_dual_bitop2_b32 v17, v13, v8 bitop3:0x14
	v_xor_b32_e32 v16, v11, v8
	s_delay_alu instid0(VALU_DEP_1)
	v_sub_nc_u64_e32 v[8:9], v[16:17], v[8:9]
.LBB94_5361:
	s_mov_b32 s0, 0
.LBB94_5362:
	s_delay_alu instid0(SALU_CYCLE_1)
	s_and_not1_b32 vcc_lo, exec_lo, s0
	s_cbranch_vccnz .LBB94_5364
; %bb.5363:
	s_wait_loadcnt 0x0
	global_load_u16 v8, v[14:15], off
	s_wait_loadcnt 0x0
	v_cvt_f32_f16_e32 v8, v8
	s_delay_alu instid0(VALU_DEP_1) | instskip(NEXT) | instid1(VALU_DEP_1)
	v_cvt_i32_f32_e32 v8, v8
	v_ashrrev_i32_e32 v9, 31, v8
.LBB94_5364:
	s_mov_b32 s0, 0
.LBB94_5365:
	s_delay_alu instid0(SALU_CYCLE_1)
	s_and_not1_b32 vcc_lo, exec_lo, s0
	s_cbranch_vccnz .LBB94_5385
; %bb.5366:
	s_cmp_lt_i32 s58, 2
	s_cbranch_scc1 .LBB94_5370
; %bb.5367:
	s_cmp_lt_i32 s58, 3
	s_cbranch_scc1 .LBB94_5371
; %bb.5368:
	s_cmp_gt_i32 s58, 3
	s_cbranch_scc0 .LBB94_5372
; %bb.5369:
	s_wait_loadcnt 0x0
	global_load_b64 v[8:9], v[14:15], off
	s_mov_b32 s0, 0
	s_branch .LBB94_5373
.LBB94_5370:
	s_mov_b32 s0, -1
                                        ; implicit-def: $vgpr8_vgpr9
	s_branch .LBB94_5379
.LBB94_5371:
	s_mov_b32 s0, -1
                                        ; implicit-def: $vgpr8_vgpr9
	s_branch .LBB94_5376
.LBB94_5372:
	s_mov_b32 s0, -1
                                        ; implicit-def: $vgpr8_vgpr9
.LBB94_5373:
	s_delay_alu instid0(SALU_CYCLE_1)
	s_and_not1_b32 vcc_lo, exec_lo, s0
	s_cbranch_vccnz .LBB94_5375
; %bb.5374:
	s_wait_loadcnt 0x0
	global_load_b32 v8, v[14:15], off
	s_wait_loadcnt 0x0
	v_ashrrev_i32_e32 v9, 31, v8
.LBB94_5375:
	s_mov_b32 s0, 0
.LBB94_5376:
	s_delay_alu instid0(SALU_CYCLE_1)
	s_and_not1_b32 vcc_lo, exec_lo, s0
	s_cbranch_vccnz .LBB94_5378
; %bb.5377:
	s_wait_loadcnt 0x0
	global_load_u16 v8, v[14:15], off
	s_wait_loadcnt 0x0
	v_bfe_i32 v8, v8, 0, 16
	s_delay_alu instid0(VALU_DEP_1)
	v_ashrrev_i32_e32 v9, 31, v8
.LBB94_5378:
	s_mov_b32 s0, 0
.LBB94_5379:
	s_delay_alu instid0(SALU_CYCLE_1)
	s_and_not1_b32 vcc_lo, exec_lo, s0
	s_cbranch_vccnz .LBB94_5385
; %bb.5380:
	s_cmp_gt_i32 s58, 0
	s_mov_b32 s0, 0
	s_cbranch_scc0 .LBB94_5382
; %bb.5381:
	s_wait_loadcnt 0x0
	global_load_i8 v8, v[14:15], off
	s_wait_loadcnt 0x0
	v_bfe_i32 v8, v8, 0, 16
	s_delay_alu instid0(VALU_DEP_1)
	v_ashrrev_i32_e32 v9, 31, v8
	s_branch .LBB94_5383
.LBB94_5382:
	s_mov_b32 s0, -1
                                        ; implicit-def: $vgpr8_vgpr9
.LBB94_5383:
	s_delay_alu instid0(SALU_CYCLE_1)
	s_and_not1_b32 vcc_lo, exec_lo, s0
	s_cbranch_vccnz .LBB94_5385
; %bb.5384:
	s_wait_loadcnt 0x0
	global_load_u8 v8, v[14:15], off
	s_mov_b32 s0, 0
	s_delay_alu instid0(SALU_CYCLE_1)
	v_mov_b32_e32 v9, s0
	s_wait_loadcnt 0x0
	v_and_b32_e32 v8, 0xffff, v8
.LBB94_5385:
	s_mov_b32 s6, -1
.LBB94_5386:
	s_delay_alu instid0(SALU_CYCLE_1)
	s_and_not1_b32 vcc_lo, exec_lo, s6
	s_cbranch_vccnz .LBB94_5650
; %bb.5387:
	v_add_nc_u32_e32 v10, s63, v10
	s_cmp_lt_i32 s59, 11
	s_delay_alu instid0(VALU_DEP_1) | instskip(SKIP_1) | instid1(VALU_DEP_1)
	v_ashrrev_i32_e32 v11, 31, v10
	s_wait_xcnt 0x0
	v_add_nc_u64_e32 v[14:15], s[12:13], v[10:11]
	s_cbranch_scc1 .LBB94_5394
; %bb.5388:
	s_cmp_gt_i32 s59, 25
	s_mov_b32 s5, 0
	s_cbranch_scc0 .LBB94_5395
; %bb.5389:
	s_cmp_gt_i32 s59, 28
	s_cbranch_scc0 .LBB94_5396
; %bb.5390:
	s_cmp_gt_i32 s59, 43
	;; [unrolled: 3-line block ×3, first 2 shown]
	s_cbranch_scc0 .LBB94_5399
; %bb.5392:
	s_cmp_eq_u32 s59, 46
	s_mov_b32 s7, 0
	s_cbranch_scc0 .LBB94_5401
; %bb.5393:
	global_load_b32 v10, v[14:15], off
	s_mov_b32 s0, 0
	s_mov_b32 s6, -1
	s_wait_loadcnt 0x0
	v_lshlrev_b32_e32 v10, 16, v10
	s_delay_alu instid0(VALU_DEP_1) | instskip(NEXT) | instid1(VALU_DEP_1)
	v_trunc_f32_e32 v10, v10
	v_mul_f32_e64 v11, 0x2f800000, |v10|
	s_delay_alu instid0(VALU_DEP_1) | instskip(NEXT) | instid1(VALU_DEP_1)
	v_floor_f32_e32 v11, v11
	v_fma_f32 v13, 0xcf800000, v11, |v10|
	v_ashrrev_i32_e32 v10, 31, v10
	v_cvt_u32_f32_e32 v16, v11
	s_delay_alu instid0(VALU_DEP_3) | instskip(NEXT) | instid1(VALU_DEP_2)
	v_cvt_u32_f32_e32 v13, v13
	v_dual_mov_b32 v11, v10 :: v_dual_bitop2_b32 v17, v16, v10 bitop3:0x14
	s_delay_alu instid0(VALU_DEP_2) | instskip(NEXT) | instid1(VALU_DEP_1)
	v_xor_b32_e32 v16, v13, v10
	v_sub_nc_u64_e32 v[10:11], v[16:17], v[10:11]
	s_branch .LBB94_5403
.LBB94_5394:
	s_mov_b32 s0, -1
	s_mov_b32 s6, 0
                                        ; implicit-def: $vgpr10_vgpr11
	s_branch .LBB94_5465
.LBB94_5395:
	s_mov_b32 s7, -1
	s_mov_b32 s6, 0
	s_mov_b32 s0, 0
                                        ; implicit-def: $vgpr10_vgpr11
	s_branch .LBB94_5430
.LBB94_5396:
	s_mov_b32 s7, -1
	s_mov_b32 s6, 0
	s_mov_b32 s0, 0
                                        ; implicit-def: $vgpr10_vgpr11
	s_branch .LBB94_5413
.LBB94_5397:
	s_mov_b32 s7, -1
	s_mov_b32 s6, 0
	s_mov_b32 s0, 0
                                        ; implicit-def: $vgpr10_vgpr11
	s_branch .LBB94_5408
.LBB94_5398:
	s_or_b32 s21, s21, exec_lo
	s_trap 2
	s_cbranch_execz .LBB94_5335
	s_branch .LBB94_5336
.LBB94_5399:
	s_mov_b32 s7, -1
	s_mov_b32 s6, 0
	s_mov_b32 s0, 0
	s_branch .LBB94_5402
.LBB94_5400:
	s_or_b32 s67, s65, exec_lo
	s_trap 2
                                        ; implicit-def: $vgpr4
                                        ; implicit-def: $vgpr6
                                        ; implicit-def: $vgpr8
                                        ; implicit-def: $vgpr14_vgpr15
                                        ; implicit-def: $vgpr10
                                        ; implicit-def: $vgpr16_vgpr17
                                        ; implicit-def: $vgpr12
                                        ; implicit-def: $vgpr24_vgpr25
                                        ; implicit-def: $vgpr0_vgpr1
                                        ; implicit-def: $vgpr2_vgpr3
                                        ; implicit-def: $vgpr26
	s_branch .LBB94_4981
.LBB94_5401:
	s_mov_b32 s0, -1
	s_mov_b32 s6, 0
.LBB94_5402:
                                        ; implicit-def: $vgpr10_vgpr11
.LBB94_5403:
	s_and_b32 vcc_lo, exec_lo, s7
	s_cbranch_vccz .LBB94_5407
; %bb.5404:
	s_cmp_eq_u32 s59, 44
	s_cbranch_scc0 .LBB94_5406
; %bb.5405:
	global_load_u8 v13, v[14:15], off
	s_mov_b32 s0, 0
	s_mov_b32 s6, -1
	s_wait_loadcnt 0x0
	v_cmp_ne_u32_e32 vcc_lo, 0, v13
	v_lshlrev_b32_e32 v10, 23, v13
	s_delay_alu instid0(VALU_DEP_1) | instskip(NEXT) | instid1(VALU_DEP_1)
	v_trunc_f32_e32 v10, v10
	v_mul_f32_e64 v11, 0x2f800000, |v10|
	s_delay_alu instid0(VALU_DEP_1) | instskip(NEXT) | instid1(VALU_DEP_1)
	v_floor_f32_e32 v11, v11
	v_fma_f32 v16, 0xcf800000, v11, |v10|
	v_ashrrev_i32_e32 v10, 31, v10
	v_cvt_u32_f32_e32 v17, v11
	s_delay_alu instid0(VALU_DEP_3) | instskip(NEXT) | instid1(VALU_DEP_2)
	v_cvt_u32_f32_e32 v16, v16
	v_dual_mov_b32 v11, v10 :: v_dual_bitop2_b32 v17, v17, v10 bitop3:0x14
	s_delay_alu instid0(VALU_DEP_2) | instskip(NEXT) | instid1(VALU_DEP_1)
	v_xor_b32_e32 v16, v16, v10
	v_sub_nc_u64_e32 v[10:11], v[16:17], v[10:11]
	s_delay_alu instid0(VALU_DEP_1)
	v_dual_cndmask_b32 v11, 0, v11 :: v_dual_cndmask_b32 v10, 0, v10
	s_branch .LBB94_5407
.LBB94_5406:
	s_mov_b32 s0, -1
                                        ; implicit-def: $vgpr10_vgpr11
.LBB94_5407:
	s_mov_b32 s7, 0
.LBB94_5408:
	s_delay_alu instid0(SALU_CYCLE_1)
	s_and_b32 vcc_lo, exec_lo, s7
	s_cbranch_vccz .LBB94_5412
; %bb.5409:
	s_cmp_eq_u32 s59, 29
	s_cbranch_scc0 .LBB94_5411
; %bb.5410:
	global_load_b64 v[10:11], v[14:15], off
	s_mov_b32 s0, 0
	s_mov_b32 s6, -1
	s_branch .LBB94_5412
.LBB94_5411:
	s_mov_b32 s0, -1
                                        ; implicit-def: $vgpr10_vgpr11
.LBB94_5412:
	s_mov_b32 s7, 0
.LBB94_5413:
	s_delay_alu instid0(SALU_CYCLE_1)
	s_and_b32 vcc_lo, exec_lo, s7
	s_cbranch_vccz .LBB94_5429
; %bb.5414:
	s_cmp_lt_i32 s59, 27
	s_cbranch_scc1 .LBB94_5417
; %bb.5415:
	s_cmp_gt_i32 s59, 27
	s_cbranch_scc0 .LBB94_5418
; %bb.5416:
	s_wait_loadcnt 0x0
	global_load_b32 v10, v[14:15], off
	v_mov_b32_e32 v11, 0
	s_mov_b32 s6, 0
	s_branch .LBB94_5419
.LBB94_5417:
	s_mov_b32 s6, -1
                                        ; implicit-def: $vgpr10_vgpr11
	s_branch .LBB94_5422
.LBB94_5418:
	s_mov_b32 s6, -1
                                        ; implicit-def: $vgpr10_vgpr11
.LBB94_5419:
	s_delay_alu instid0(SALU_CYCLE_1)
	s_and_not1_b32 vcc_lo, exec_lo, s6
	s_cbranch_vccnz .LBB94_5421
; %bb.5420:
	s_wait_loadcnt 0x0
	global_load_u16 v10, v[14:15], off
	s_mov_b32 s6, 0
	s_delay_alu instid0(SALU_CYCLE_1)
	v_mov_b32_e32 v11, s6
	s_wait_loadcnt 0x0
	v_and_b32_e32 v10, 0xffff, v10
.LBB94_5421:
	s_mov_b32 s6, 0
.LBB94_5422:
	s_delay_alu instid0(SALU_CYCLE_1)
	s_and_not1_b32 vcc_lo, exec_lo, s6
	s_cbranch_vccnz .LBB94_5428
; %bb.5423:
	global_load_u8 v13, v[14:15], off
	s_mov_b32 s7, 0
	s_mov_b32 s6, exec_lo
	s_wait_loadcnt 0x0
	v_cmpx_lt_i16_e32 0x7f, v13
	s_xor_b32 s6, exec_lo, s6
	s_cbranch_execz .LBB94_5440
; %bb.5424:
	v_cmp_ne_u16_e32 vcc_lo, 0x80, v13
	s_and_b32 s7, vcc_lo, exec_lo
	s_and_not1_saveexec_b32 s6, s6
	s_cbranch_execnz .LBB94_5441
.LBB94_5425:
	s_or_b32 exec_lo, exec_lo, s6
	v_mov_b64_e32 v[10:11], 0
	s_and_saveexec_b32 s6, s7
	s_cbranch_execz .LBB94_5427
.LBB94_5426:
	v_and_b32_e32 v10, 0xffff, v13
	s_delay_alu instid0(VALU_DEP_1) | instskip(SKIP_1) | instid1(VALU_DEP_2)
	v_and_b32_e32 v11, 7, v10
	v_bfe_u32 v18, v10, 3, 4
	v_clz_i32_u32_e32 v16, v11
	s_delay_alu instid0(VALU_DEP_2) | instskip(NEXT) | instid1(VALU_DEP_2)
	v_cmp_eq_u32_e32 vcc_lo, 0, v18
	v_min_u32_e32 v16, 32, v16
	s_delay_alu instid0(VALU_DEP_1) | instskip(NEXT) | instid1(VALU_DEP_1)
	v_subrev_nc_u32_e32 v17, 28, v16
	v_dual_lshlrev_b32 v10, v17, v10 :: v_dual_sub_nc_u32 v16, 29, v16
	s_delay_alu instid0(VALU_DEP_1) | instskip(NEXT) | instid1(VALU_DEP_1)
	v_dual_lshlrev_b32 v13, 24, v13 :: v_dual_bitop2_b32 v10, 7, v10 bitop3:0x40
	v_dual_cndmask_b32 v16, v18, v16, vcc_lo :: v_dual_cndmask_b32 v10, v11, v10, vcc_lo
	s_delay_alu instid0(VALU_DEP_2) | instskip(NEXT) | instid1(VALU_DEP_2)
	v_and_b32_e32 v11, 0x80000000, v13
	v_lshl_add_u32 v13, v16, 23, 0x3b800000
	s_delay_alu instid0(VALU_DEP_3) | instskip(NEXT) | instid1(VALU_DEP_1)
	v_lshlrev_b32_e32 v10, 20, v10
	v_or3_b32 v10, v11, v13, v10
	s_delay_alu instid0(VALU_DEP_1) | instskip(NEXT) | instid1(VALU_DEP_1)
	v_trunc_f32_e32 v10, v10
	v_mul_f32_e64 v11, 0x2f800000, |v10|
	s_delay_alu instid0(VALU_DEP_1) | instskip(NEXT) | instid1(VALU_DEP_1)
	v_floor_f32_e32 v11, v11
	v_fma_f32 v13, 0xcf800000, v11, |v10|
	v_ashrrev_i32_e32 v10, 31, v10
	v_cvt_u32_f32_e32 v16, v11
	s_delay_alu instid0(VALU_DEP_3) | instskip(NEXT) | instid1(VALU_DEP_2)
	v_cvt_u32_f32_e32 v13, v13
	v_dual_mov_b32 v11, v10 :: v_dual_bitop2_b32 v17, v16, v10 bitop3:0x14
	s_delay_alu instid0(VALU_DEP_2) | instskip(NEXT) | instid1(VALU_DEP_1)
	v_xor_b32_e32 v16, v13, v10
	v_sub_nc_u64_e32 v[10:11], v[16:17], v[10:11]
.LBB94_5427:
	s_or_b32 exec_lo, exec_lo, s6
.LBB94_5428:
	s_mov_b32 s6, -1
.LBB94_5429:
	s_mov_b32 s7, 0
.LBB94_5430:
	s_delay_alu instid0(SALU_CYCLE_1)
	s_and_b32 vcc_lo, exec_lo, s7
	s_cbranch_vccz .LBB94_5461
; %bb.5431:
	s_cmp_gt_i32 s59, 22
	s_cbranch_scc0 .LBB94_5439
; %bb.5432:
	s_cmp_lt_i32 s59, 24
	s_cbranch_scc1 .LBB94_5442
; %bb.5433:
	s_cmp_gt_i32 s59, 24
	s_cbranch_scc0 .LBB94_5443
; %bb.5434:
	global_load_u8 v13, v[14:15], off
	s_mov_b32 s6, 0
	s_mov_b32 s5, exec_lo
	s_wait_loadcnt 0x0
	v_cmpx_lt_i16_e32 0x7f, v13
	s_xor_b32 s5, exec_lo, s5
	s_cbranch_execz .LBB94_5455
; %bb.5435:
	v_cmp_ne_u16_e32 vcc_lo, 0x80, v13
	s_and_b32 s6, vcc_lo, exec_lo
	s_and_not1_saveexec_b32 s5, s5
	s_cbranch_execnz .LBB94_5456
.LBB94_5436:
	s_or_b32 exec_lo, exec_lo, s5
	v_mov_b64_e32 v[10:11], 0
	s_and_saveexec_b32 s5, s6
	s_cbranch_execz .LBB94_5438
.LBB94_5437:
	v_and_b32_e32 v10, 0xffff, v13
	s_delay_alu instid0(VALU_DEP_1) | instskip(SKIP_1) | instid1(VALU_DEP_2)
	v_and_b32_e32 v11, 3, v10
	v_bfe_u32 v18, v10, 2, 5
	v_clz_i32_u32_e32 v16, v11
	s_delay_alu instid0(VALU_DEP_2) | instskip(NEXT) | instid1(VALU_DEP_2)
	v_cmp_eq_u32_e32 vcc_lo, 0, v18
	v_min_u32_e32 v16, 32, v16
	s_delay_alu instid0(VALU_DEP_1) | instskip(NEXT) | instid1(VALU_DEP_1)
	v_subrev_nc_u32_e32 v17, 29, v16
	v_dual_lshlrev_b32 v10, v17, v10 :: v_dual_sub_nc_u32 v16, 30, v16
	s_delay_alu instid0(VALU_DEP_1) | instskip(NEXT) | instid1(VALU_DEP_1)
	v_dual_lshlrev_b32 v13, 24, v13 :: v_dual_bitop2_b32 v10, 3, v10 bitop3:0x40
	v_dual_cndmask_b32 v16, v18, v16, vcc_lo :: v_dual_cndmask_b32 v10, v11, v10, vcc_lo
	s_delay_alu instid0(VALU_DEP_2) | instskip(NEXT) | instid1(VALU_DEP_2)
	v_and_b32_e32 v11, 0x80000000, v13
	v_lshl_add_u32 v13, v16, 23, 0x37800000
	s_delay_alu instid0(VALU_DEP_3) | instskip(NEXT) | instid1(VALU_DEP_1)
	v_lshlrev_b32_e32 v10, 21, v10
	v_or3_b32 v10, v11, v13, v10
	s_delay_alu instid0(VALU_DEP_1) | instskip(NEXT) | instid1(VALU_DEP_1)
	v_trunc_f32_e32 v10, v10
	v_mul_f32_e64 v11, 0x2f800000, |v10|
	s_delay_alu instid0(VALU_DEP_1) | instskip(NEXT) | instid1(VALU_DEP_1)
	v_floor_f32_e32 v11, v11
	v_fma_f32 v13, 0xcf800000, v11, |v10|
	v_ashrrev_i32_e32 v10, 31, v10
	v_cvt_u32_f32_e32 v16, v11
	s_delay_alu instid0(VALU_DEP_3) | instskip(NEXT) | instid1(VALU_DEP_2)
	v_cvt_u32_f32_e32 v13, v13
	v_dual_mov_b32 v11, v10 :: v_dual_bitop2_b32 v17, v16, v10 bitop3:0x14
	s_delay_alu instid0(VALU_DEP_2) | instskip(NEXT) | instid1(VALU_DEP_1)
	v_xor_b32_e32 v16, v13, v10
	v_sub_nc_u64_e32 v[10:11], v[16:17], v[10:11]
.LBB94_5438:
	s_or_b32 exec_lo, exec_lo, s5
	s_mov_b32 s5, 0
	s_branch .LBB94_5444
.LBB94_5439:
	s_mov_b32 s5, -1
                                        ; implicit-def: $vgpr10_vgpr11
	s_branch .LBB94_5450
.LBB94_5440:
	s_and_not1_saveexec_b32 s6, s6
	s_cbranch_execz .LBB94_5425
.LBB94_5441:
	v_cmp_ne_u16_e32 vcc_lo, 0, v13
	s_and_not1_b32 s7, s7, exec_lo
	s_and_b32 s8, vcc_lo, exec_lo
	s_delay_alu instid0(SALU_CYCLE_1)
	s_or_b32 s7, s7, s8
	s_or_b32 exec_lo, exec_lo, s6
	v_mov_b64_e32 v[10:11], 0
	s_and_saveexec_b32 s6, s7
	s_cbranch_execnz .LBB94_5426
	s_branch .LBB94_5427
.LBB94_5442:
	s_mov_b32 s5, -1
                                        ; implicit-def: $vgpr10_vgpr11
	s_branch .LBB94_5447
.LBB94_5443:
	s_mov_b32 s5, -1
                                        ; implicit-def: $vgpr10_vgpr11
.LBB94_5444:
	s_delay_alu instid0(SALU_CYCLE_1)
	s_and_b32 vcc_lo, exec_lo, s5
	s_cbranch_vccz .LBB94_5446
; %bb.5445:
	s_wait_loadcnt 0x0
	global_load_u8 v10, v[14:15], off
	s_wait_loadcnt 0x0
	v_lshlrev_b32_e32 v10, 24, v10
	s_delay_alu instid0(VALU_DEP_1) | instskip(NEXT) | instid1(VALU_DEP_1)
	v_and_b32_e32 v11, 0x7f000000, v10
	v_clz_i32_u32_e32 v13, v11
	v_add_nc_u32_e32 v17, 0x1000000, v11
	v_cmp_ne_u32_e32 vcc_lo, 0, v11
	s_delay_alu instid0(VALU_DEP_3) | instskip(NEXT) | instid1(VALU_DEP_1)
	v_min_u32_e32 v13, 32, v13
	v_sub_nc_u32_e64 v13, v13, 4 clamp
	s_delay_alu instid0(VALU_DEP_1) | instskip(NEXT) | instid1(VALU_DEP_1)
	v_dual_lshlrev_b32 v16, v13, v11 :: v_dual_lshlrev_b32 v13, 23, v13
	v_lshrrev_b32_e32 v16, 4, v16
	s_delay_alu instid0(VALU_DEP_1) | instskip(SKIP_1) | instid1(VALU_DEP_2)
	v_sub_nc_u32_e32 v13, v16, v13
	v_ashrrev_i32_e32 v16, 8, v17
	v_add_nc_u32_e32 v13, 0x3c000000, v13
	s_delay_alu instid0(VALU_DEP_1) | instskip(NEXT) | instid1(VALU_DEP_1)
	v_and_or_b32 v13, 0x7f800000, v16, v13
	v_cndmask_b32_e32 v11, 0, v13, vcc_lo
	s_delay_alu instid0(VALU_DEP_1) | instskip(NEXT) | instid1(VALU_DEP_1)
	v_and_or_b32 v10, 0x80000000, v10, v11
	v_trunc_f32_e32 v10, v10
	s_delay_alu instid0(VALU_DEP_1) | instskip(NEXT) | instid1(VALU_DEP_1)
	v_mul_f32_e64 v11, 0x2f800000, |v10|
	v_floor_f32_e32 v11, v11
	s_delay_alu instid0(VALU_DEP_1) | instskip(SKIP_2) | instid1(VALU_DEP_3)
	v_fma_f32 v13, 0xcf800000, v11, |v10|
	v_ashrrev_i32_e32 v10, 31, v10
	v_cvt_u32_f32_e32 v16, v11
	v_cvt_u32_f32_e32 v13, v13
	s_delay_alu instid0(VALU_DEP_2) | instskip(NEXT) | instid1(VALU_DEP_2)
	v_dual_mov_b32 v11, v10 :: v_dual_bitop2_b32 v17, v16, v10 bitop3:0x14
	v_xor_b32_e32 v16, v13, v10
	s_delay_alu instid0(VALU_DEP_1)
	v_sub_nc_u64_e32 v[10:11], v[16:17], v[10:11]
.LBB94_5446:
	s_mov_b32 s5, 0
.LBB94_5447:
	s_delay_alu instid0(SALU_CYCLE_1)
	s_and_not1_b32 vcc_lo, exec_lo, s5
	s_cbranch_vccnz .LBB94_5449
; %bb.5448:
	s_wait_loadcnt 0x0
	global_load_u8 v10, v[14:15], off
	s_wait_loadcnt 0x0
	v_lshlrev_b32_e32 v11, 25, v10
	v_lshlrev_b16 v10, 8, v10
	s_delay_alu instid0(VALU_DEP_1) | instskip(SKIP_1) | instid1(VALU_DEP_2)
	v_and_or_b32 v16, 0x7f00, v10, 0.5
	v_bfe_i32 v10, v10, 0, 16
	v_dual_add_f32 v16, -0.5, v16 :: v_dual_lshrrev_b32 v13, 4, v11
	v_cmp_gt_u32_e32 vcc_lo, 0x8000000, v11
	s_delay_alu instid0(VALU_DEP_2) | instskip(NEXT) | instid1(VALU_DEP_1)
	v_or_b32_e32 v13, 0x70000000, v13
	v_mul_f32_e32 v13, 0x7800000, v13
	s_delay_alu instid0(VALU_DEP_1) | instskip(NEXT) | instid1(VALU_DEP_1)
	v_cndmask_b32_e32 v11, v13, v16, vcc_lo
	v_and_or_b32 v10, 0x80000000, v10, v11
	s_delay_alu instid0(VALU_DEP_1) | instskip(NEXT) | instid1(VALU_DEP_1)
	v_trunc_f32_e32 v10, v10
	v_mul_f32_e64 v11, 0x2f800000, |v10|
	s_delay_alu instid0(VALU_DEP_1) | instskip(NEXT) | instid1(VALU_DEP_1)
	v_floor_f32_e32 v11, v11
	v_fma_f32 v13, 0xcf800000, v11, |v10|
	v_ashrrev_i32_e32 v10, 31, v10
	v_cvt_u32_f32_e32 v16, v11
	s_delay_alu instid0(VALU_DEP_3) | instskip(NEXT) | instid1(VALU_DEP_2)
	v_cvt_u32_f32_e32 v13, v13
	v_dual_mov_b32 v11, v10 :: v_dual_bitop2_b32 v17, v16, v10 bitop3:0x14
	s_delay_alu instid0(VALU_DEP_2) | instskip(NEXT) | instid1(VALU_DEP_1)
	v_xor_b32_e32 v16, v13, v10
	v_sub_nc_u64_e32 v[10:11], v[16:17], v[10:11]
.LBB94_5449:
	s_mov_b32 s5, 0
	s_mov_b32 s6, -1
.LBB94_5450:
	s_and_not1_b32 vcc_lo, exec_lo, s5
	s_mov_b32 s5, 0
	s_cbranch_vccnz .LBB94_5461
; %bb.5451:
	s_cmp_gt_i32 s59, 14
	s_cbranch_scc0 .LBB94_5454
; %bb.5452:
	s_cmp_eq_u32 s59, 15
	s_cbranch_scc0 .LBB94_5457
; %bb.5453:
	s_wait_loadcnt 0x0
	global_load_u16 v10, v[14:15], off
	s_mov_b32 s0, 0
	s_mov_b32 s6, -1
	s_wait_loadcnt 0x0
	v_lshlrev_b32_e32 v10, 16, v10
	s_delay_alu instid0(VALU_DEP_1) | instskip(NEXT) | instid1(VALU_DEP_1)
	v_trunc_f32_e32 v10, v10
	v_mul_f32_e64 v11, 0x2f800000, |v10|
	s_delay_alu instid0(VALU_DEP_1) | instskip(NEXT) | instid1(VALU_DEP_1)
	v_floor_f32_e32 v11, v11
	v_fma_f32 v13, 0xcf800000, v11, |v10|
	v_ashrrev_i32_e32 v10, 31, v10
	v_cvt_u32_f32_e32 v16, v11
	s_delay_alu instid0(VALU_DEP_3) | instskip(NEXT) | instid1(VALU_DEP_2)
	v_cvt_u32_f32_e32 v13, v13
	v_dual_mov_b32 v11, v10 :: v_dual_bitop2_b32 v17, v16, v10 bitop3:0x14
	s_delay_alu instid0(VALU_DEP_2) | instskip(NEXT) | instid1(VALU_DEP_1)
	v_xor_b32_e32 v16, v13, v10
	v_sub_nc_u64_e32 v[10:11], v[16:17], v[10:11]
	s_branch .LBB94_5459
.LBB94_5454:
	s_mov_b32 s5, -1
	s_branch .LBB94_5458
.LBB94_5455:
	s_and_not1_saveexec_b32 s5, s5
	s_cbranch_execz .LBB94_5436
.LBB94_5456:
	v_cmp_ne_u16_e32 vcc_lo, 0, v13
	s_and_not1_b32 s6, s6, exec_lo
	s_and_b32 s7, vcc_lo, exec_lo
	s_delay_alu instid0(SALU_CYCLE_1)
	s_or_b32 s6, s6, s7
	s_or_b32 exec_lo, exec_lo, s5
	v_mov_b64_e32 v[10:11], 0
	s_and_saveexec_b32 s5, s6
	s_cbranch_execnz .LBB94_5437
	s_branch .LBB94_5438
.LBB94_5457:
	s_mov_b32 s0, -1
.LBB94_5458:
                                        ; implicit-def: $vgpr10_vgpr11
.LBB94_5459:
	s_and_b32 vcc_lo, exec_lo, s5
	s_mov_b32 s5, 0
	s_cbranch_vccz .LBB94_5461
; %bb.5460:
	s_cmp_lg_u32 s59, 11
	s_mov_b32 s5, -1
	s_cselect_b32 s0, -1, 0
.LBB94_5461:
	s_delay_alu instid0(SALU_CYCLE_1)
	s_and_b32 vcc_lo, exec_lo, s0
	s_cbranch_vccnz .LBB94_5526
; %bb.5462:
	s_and_not1_b32 vcc_lo, exec_lo, s5
	s_cbranch_vccnz .LBB94_5464
.LBB94_5463:
	s_wait_loadcnt 0x0
	global_load_u8 v10, v[14:15], off
	s_mov_b32 s0, 0
	s_mov_b32 s6, -1
	v_mov_b32_e32 v11, s0
	s_wait_loadcnt 0x0
	v_cmp_ne_u16_e32 vcc_lo, 0, v10
	v_cndmask_b32_e64 v10, 0, 1, vcc_lo
.LBB94_5464:
	s_mov_b32 s0, 0
.LBB94_5465:
	s_delay_alu instid0(SALU_CYCLE_1)
	s_and_b32 vcc_lo, exec_lo, s0
	s_cbranch_vccz .LBB94_5514
; %bb.5466:
	s_cmp_lt_i32 s59, 5
	s_cbranch_scc1 .LBB94_5471
; %bb.5467:
	s_cmp_lt_i32 s59, 8
	s_cbranch_scc1 .LBB94_5472
	;; [unrolled: 3-line block ×3, first 2 shown]
; %bb.5469:
	s_cmp_gt_i32 s59, 9
	s_cbranch_scc0 .LBB94_5474
; %bb.5470:
	s_wait_loadcnt 0x0
	global_load_b64 v[10:11], v[14:15], off
	s_mov_b32 s0, 0
	s_wait_loadcnt 0x0
	v_trunc_f64_e32 v[10:11], v[10:11]
	s_delay_alu instid0(VALU_DEP_1) | instskip(NEXT) | instid1(VALU_DEP_1)
	v_ldexp_f64 v[16:17], v[10:11], 0xffffffe0
	v_floor_f64_e32 v[16:17], v[16:17]
	s_delay_alu instid0(VALU_DEP_1) | instskip(SKIP_1) | instid1(VALU_DEP_2)
	v_fmamk_f64 v[18:19], v[16:17], 0xc1f00000, v[10:11]
	v_cvt_i32_f64_e32 v11, v[16:17]
	v_cvt_u32_f64_e32 v10, v[18:19]
	s_branch .LBB94_5475
.LBB94_5471:
	s_mov_b32 s0, -1
                                        ; implicit-def: $vgpr10_vgpr11
	s_branch .LBB94_5493
.LBB94_5472:
	s_mov_b32 s0, -1
                                        ; implicit-def: $vgpr10_vgpr11
	s_branch .LBB94_5481
.LBB94_5473:
	s_mov_b32 s0, -1
                                        ; implicit-def: $vgpr10_vgpr11
	s_branch .LBB94_5478
.LBB94_5474:
	s_mov_b32 s0, -1
                                        ; implicit-def: $vgpr10_vgpr11
.LBB94_5475:
	s_delay_alu instid0(SALU_CYCLE_1)
	s_and_not1_b32 vcc_lo, exec_lo, s0
	s_cbranch_vccnz .LBB94_5477
; %bb.5476:
	s_wait_loadcnt 0x0
	global_load_b32 v10, v[14:15], off
	s_wait_loadcnt 0x0
	v_trunc_f32_e32 v10, v10
	s_delay_alu instid0(VALU_DEP_1) | instskip(NEXT) | instid1(VALU_DEP_1)
	v_mul_f32_e64 v11, 0x2f800000, |v10|
	v_floor_f32_e32 v11, v11
	s_delay_alu instid0(VALU_DEP_1) | instskip(SKIP_2) | instid1(VALU_DEP_3)
	v_fma_f32 v13, 0xcf800000, v11, |v10|
	v_ashrrev_i32_e32 v10, 31, v10
	v_cvt_u32_f32_e32 v16, v11
	v_cvt_u32_f32_e32 v13, v13
	s_delay_alu instid0(VALU_DEP_2) | instskip(NEXT) | instid1(VALU_DEP_2)
	v_dual_mov_b32 v11, v10 :: v_dual_bitop2_b32 v17, v16, v10 bitop3:0x14
	v_xor_b32_e32 v16, v13, v10
	s_delay_alu instid0(VALU_DEP_1)
	v_sub_nc_u64_e32 v[10:11], v[16:17], v[10:11]
.LBB94_5477:
	s_mov_b32 s0, 0
.LBB94_5478:
	s_delay_alu instid0(SALU_CYCLE_1)
	s_and_not1_b32 vcc_lo, exec_lo, s0
	s_cbranch_vccnz .LBB94_5480
; %bb.5479:
	s_wait_loadcnt 0x0
	global_load_b32 v10, v[14:15], off
	s_wait_loadcnt 0x0
	v_cvt_f32_f16_e32 v10, v10
	s_delay_alu instid0(VALU_DEP_1) | instskip(NEXT) | instid1(VALU_DEP_1)
	v_cvt_i32_f32_e32 v10, v10
	v_ashrrev_i32_e32 v11, 31, v10
.LBB94_5480:
	s_mov_b32 s0, 0
.LBB94_5481:
	s_delay_alu instid0(SALU_CYCLE_1)
	s_and_not1_b32 vcc_lo, exec_lo, s0
	s_cbranch_vccnz .LBB94_5492
; %bb.5482:
	s_cmp_lt_i32 s59, 6
	s_cbranch_scc1 .LBB94_5485
; %bb.5483:
	s_cmp_gt_i32 s59, 6
	s_cbranch_scc0 .LBB94_5486
; %bb.5484:
	s_wait_loadcnt 0x0
	global_load_b64 v[10:11], v[14:15], off
	s_mov_b32 s0, 0
	s_wait_loadcnt 0x0
	v_trunc_f64_e32 v[10:11], v[10:11]
	s_delay_alu instid0(VALU_DEP_1) | instskip(NEXT) | instid1(VALU_DEP_1)
	v_ldexp_f64 v[16:17], v[10:11], 0xffffffe0
	v_floor_f64_e32 v[16:17], v[16:17]
	s_delay_alu instid0(VALU_DEP_1) | instskip(SKIP_1) | instid1(VALU_DEP_2)
	v_fmamk_f64 v[18:19], v[16:17], 0xc1f00000, v[10:11]
	v_cvt_i32_f64_e32 v11, v[16:17]
	v_cvt_u32_f64_e32 v10, v[18:19]
	s_branch .LBB94_5487
.LBB94_5485:
	s_mov_b32 s0, -1
                                        ; implicit-def: $vgpr10_vgpr11
	s_branch .LBB94_5490
.LBB94_5486:
	s_mov_b32 s0, -1
                                        ; implicit-def: $vgpr10_vgpr11
.LBB94_5487:
	s_delay_alu instid0(SALU_CYCLE_1)
	s_and_not1_b32 vcc_lo, exec_lo, s0
	s_cbranch_vccnz .LBB94_5489
; %bb.5488:
	s_wait_loadcnt 0x0
	global_load_b32 v10, v[14:15], off
	s_wait_loadcnt 0x0
	v_trunc_f32_e32 v10, v10
	s_delay_alu instid0(VALU_DEP_1) | instskip(NEXT) | instid1(VALU_DEP_1)
	v_mul_f32_e64 v11, 0x2f800000, |v10|
	v_floor_f32_e32 v11, v11
	s_delay_alu instid0(VALU_DEP_1) | instskip(SKIP_2) | instid1(VALU_DEP_3)
	v_fma_f32 v13, 0xcf800000, v11, |v10|
	v_ashrrev_i32_e32 v10, 31, v10
	v_cvt_u32_f32_e32 v16, v11
	v_cvt_u32_f32_e32 v13, v13
	s_delay_alu instid0(VALU_DEP_2) | instskip(NEXT) | instid1(VALU_DEP_2)
	v_dual_mov_b32 v11, v10 :: v_dual_bitop2_b32 v17, v16, v10 bitop3:0x14
	v_xor_b32_e32 v16, v13, v10
	s_delay_alu instid0(VALU_DEP_1)
	v_sub_nc_u64_e32 v[10:11], v[16:17], v[10:11]
.LBB94_5489:
	s_mov_b32 s0, 0
.LBB94_5490:
	s_delay_alu instid0(SALU_CYCLE_1)
	s_and_not1_b32 vcc_lo, exec_lo, s0
	s_cbranch_vccnz .LBB94_5492
; %bb.5491:
	s_wait_loadcnt 0x0
	global_load_u16 v10, v[14:15], off
	s_wait_loadcnt 0x0
	v_cvt_f32_f16_e32 v10, v10
	s_delay_alu instid0(VALU_DEP_1) | instskip(NEXT) | instid1(VALU_DEP_1)
	v_cvt_i32_f32_e32 v10, v10
	v_ashrrev_i32_e32 v11, 31, v10
.LBB94_5492:
	s_mov_b32 s0, 0
.LBB94_5493:
	s_delay_alu instid0(SALU_CYCLE_1)
	s_and_not1_b32 vcc_lo, exec_lo, s0
	s_cbranch_vccnz .LBB94_5513
; %bb.5494:
	s_cmp_lt_i32 s59, 2
	s_cbranch_scc1 .LBB94_5498
; %bb.5495:
	s_cmp_lt_i32 s59, 3
	s_cbranch_scc1 .LBB94_5499
; %bb.5496:
	s_cmp_gt_i32 s59, 3
	s_cbranch_scc0 .LBB94_5500
; %bb.5497:
	s_wait_loadcnt 0x0
	global_load_b64 v[10:11], v[14:15], off
	s_mov_b32 s0, 0
	s_branch .LBB94_5501
.LBB94_5498:
	s_mov_b32 s0, -1
                                        ; implicit-def: $vgpr10_vgpr11
	s_branch .LBB94_5507
.LBB94_5499:
	s_mov_b32 s0, -1
                                        ; implicit-def: $vgpr10_vgpr11
	s_branch .LBB94_5504
.LBB94_5500:
	s_mov_b32 s0, -1
                                        ; implicit-def: $vgpr10_vgpr11
.LBB94_5501:
	s_delay_alu instid0(SALU_CYCLE_1)
	s_and_not1_b32 vcc_lo, exec_lo, s0
	s_cbranch_vccnz .LBB94_5503
; %bb.5502:
	s_wait_loadcnt 0x0
	global_load_b32 v10, v[14:15], off
	s_wait_loadcnt 0x0
	v_ashrrev_i32_e32 v11, 31, v10
.LBB94_5503:
	s_mov_b32 s0, 0
.LBB94_5504:
	s_delay_alu instid0(SALU_CYCLE_1)
	s_and_not1_b32 vcc_lo, exec_lo, s0
	s_cbranch_vccnz .LBB94_5506
; %bb.5505:
	s_wait_loadcnt 0x0
	global_load_u16 v10, v[14:15], off
	s_wait_loadcnt 0x0
	v_bfe_i32 v10, v10, 0, 16
	s_delay_alu instid0(VALU_DEP_1)
	v_ashrrev_i32_e32 v11, 31, v10
.LBB94_5506:
	s_mov_b32 s0, 0
.LBB94_5507:
	s_delay_alu instid0(SALU_CYCLE_1)
	s_and_not1_b32 vcc_lo, exec_lo, s0
	s_cbranch_vccnz .LBB94_5513
; %bb.5508:
	s_cmp_gt_i32 s59, 0
	s_mov_b32 s0, 0
	s_cbranch_scc0 .LBB94_5510
; %bb.5509:
	s_wait_loadcnt 0x0
	global_load_i8 v10, v[14:15], off
	s_wait_loadcnt 0x0
	v_bfe_i32 v10, v10, 0, 16
	s_delay_alu instid0(VALU_DEP_1)
	v_ashrrev_i32_e32 v11, 31, v10
	s_branch .LBB94_5511
.LBB94_5510:
	s_mov_b32 s0, -1
                                        ; implicit-def: $vgpr10_vgpr11
.LBB94_5511:
	s_delay_alu instid0(SALU_CYCLE_1)
	s_and_not1_b32 vcc_lo, exec_lo, s0
	s_cbranch_vccnz .LBB94_5513
; %bb.5512:
	s_wait_loadcnt 0x0
	global_load_u8 v10, v[14:15], off
	s_mov_b32 s0, 0
	s_delay_alu instid0(SALU_CYCLE_1)
	v_mov_b32_e32 v11, s0
	s_wait_loadcnt 0x0
	v_and_b32_e32 v10, 0xffff, v10
.LBB94_5513:
	s_mov_b32 s6, -1
.LBB94_5514:
	s_delay_alu instid0(SALU_CYCLE_1)
	s_and_not1_b32 vcc_lo, exec_lo, s6
	s_cbranch_vccnz .LBB94_5650
; %bb.5515:
	v_add_nc_u32_e32 v12, s64, v12
	s_cmp_lt_i32 s60, 11
	s_delay_alu instid0(VALU_DEP_1) | instskip(NEXT) | instid1(VALU_DEP_1)
	v_ashrrev_i32_e32 v13, 31, v12
	v_add_nc_u64_e32 v[12:13], s[14:15], v[12:13]
	s_cbranch_scc1 .LBB94_5522
; %bb.5516:
	s_cmp_gt_i32 s60, 25
	s_mov_b32 s5, 0
	s_cbranch_scc0 .LBB94_5523
; %bb.5517:
	s_cmp_gt_i32 s60, 28
	s_cbranch_scc0 .LBB94_5524
; %bb.5518:
	s_cmp_gt_i32 s60, 43
	;; [unrolled: 3-line block ×3, first 2 shown]
	s_cbranch_scc0 .LBB94_5527
; %bb.5520:
	s_cmp_eq_u32 s60, 46
	s_mov_b32 s7, 0
	s_cbranch_scc0 .LBB94_5528
; %bb.5521:
	global_load_b32 v14, v[12:13], off
	s_mov_b32 s0, 0
	s_mov_b32 s6, -1
	s_wait_loadcnt 0x0
	v_lshlrev_b32_e32 v14, 16, v14
	s_delay_alu instid0(VALU_DEP_1) | instskip(NEXT) | instid1(VALU_DEP_1)
	v_trunc_f32_e32 v14, v14
	v_mul_f32_e64 v15, 0x2f800000, |v14|
	s_delay_alu instid0(VALU_DEP_1) | instskip(NEXT) | instid1(VALU_DEP_1)
	v_floor_f32_e32 v15, v15
	v_fma_f32 v16, 0xcf800000, v15, |v14|
	v_ashrrev_i32_e32 v14, 31, v14
	v_cvt_u32_f32_e32 v17, v15
	s_delay_alu instid0(VALU_DEP_3) | instskip(NEXT) | instid1(VALU_DEP_2)
	v_cvt_u32_f32_e32 v16, v16
	v_dual_mov_b32 v15, v14 :: v_dual_bitop2_b32 v17, v17, v14 bitop3:0x14
	s_delay_alu instid0(VALU_DEP_2) | instskip(NEXT) | instid1(VALU_DEP_1)
	v_xor_b32_e32 v16, v16, v14
	v_sub_nc_u64_e32 v[14:15], v[16:17], v[14:15]
	s_branch .LBB94_5530
.LBB94_5522:
	s_mov_b32 s0, -1
	s_mov_b32 s6, 0
                                        ; implicit-def: $vgpr14_vgpr15
	s_branch .LBB94_5592
.LBB94_5523:
	s_mov_b32 s7, -1
	s_mov_b32 s6, 0
	s_mov_b32 s0, 0
                                        ; implicit-def: $vgpr14_vgpr15
	s_branch .LBB94_5557
.LBB94_5524:
	s_mov_b32 s7, -1
	s_mov_b32 s6, 0
	s_mov_b32 s0, 0
                                        ; implicit-def: $vgpr14_vgpr15
	s_branch .LBB94_5540
.LBB94_5525:
	s_mov_b32 s7, -1
	s_mov_b32 s6, 0
	s_mov_b32 s0, 0
                                        ; implicit-def: $vgpr14_vgpr15
	s_branch .LBB94_5535
.LBB94_5526:
	s_or_b32 s21, s21, exec_lo
	s_trap 2
	s_cbranch_execz .LBB94_5463
	s_branch .LBB94_5464
.LBB94_5527:
	s_mov_b32 s7, -1
	s_mov_b32 s6, 0
	s_mov_b32 s0, 0
	s_branch .LBB94_5529
.LBB94_5528:
	s_mov_b32 s0, -1
	s_mov_b32 s6, 0
.LBB94_5529:
                                        ; implicit-def: $vgpr14_vgpr15
.LBB94_5530:
	s_and_b32 vcc_lo, exec_lo, s7
	s_cbranch_vccz .LBB94_5534
; %bb.5531:
	s_cmp_eq_u32 s60, 44
	s_cbranch_scc0 .LBB94_5533
; %bb.5532:
	global_load_u8 v18, v[12:13], off
	s_mov_b32 s0, 0
	s_mov_b32 s6, -1
	s_wait_loadcnt 0x0
	v_cmp_ne_u32_e32 vcc_lo, 0, v18
	s_wait_xcnt 0x1
	v_lshlrev_b32_e32 v14, 23, v18
	s_delay_alu instid0(VALU_DEP_1) | instskip(NEXT) | instid1(VALU_DEP_1)
	v_trunc_f32_e32 v14, v14
	v_mul_f32_e64 v15, 0x2f800000, |v14|
	s_delay_alu instid0(VALU_DEP_1) | instskip(NEXT) | instid1(VALU_DEP_1)
	v_floor_f32_e32 v15, v15
	v_fma_f32 v16, 0xcf800000, v15, |v14|
	v_ashrrev_i32_e32 v14, 31, v14
	v_cvt_u32_f32_e32 v17, v15
	s_delay_alu instid0(VALU_DEP_3) | instskip(NEXT) | instid1(VALU_DEP_2)
	v_cvt_u32_f32_e32 v16, v16
	v_dual_mov_b32 v15, v14 :: v_dual_bitop2_b32 v17, v17, v14 bitop3:0x14
	s_delay_alu instid0(VALU_DEP_2) | instskip(NEXT) | instid1(VALU_DEP_1)
	v_xor_b32_e32 v16, v16, v14
	v_sub_nc_u64_e32 v[14:15], v[16:17], v[14:15]
	s_delay_alu instid0(VALU_DEP_1)
	v_dual_cndmask_b32 v15, 0, v15 :: v_dual_cndmask_b32 v14, 0, v14
	s_branch .LBB94_5534
.LBB94_5533:
	s_mov_b32 s0, -1
                                        ; implicit-def: $vgpr14_vgpr15
.LBB94_5534:
	s_mov_b32 s7, 0
.LBB94_5535:
	s_delay_alu instid0(SALU_CYCLE_1)
	s_and_b32 vcc_lo, exec_lo, s7
	s_cbranch_vccz .LBB94_5539
; %bb.5536:
	s_cmp_eq_u32 s60, 29
	s_cbranch_scc0 .LBB94_5538
; %bb.5537:
	global_load_b64 v[14:15], v[12:13], off
	s_mov_b32 s0, 0
	s_mov_b32 s6, -1
	s_branch .LBB94_5539
.LBB94_5538:
	s_mov_b32 s0, -1
                                        ; implicit-def: $vgpr14_vgpr15
.LBB94_5539:
	s_mov_b32 s7, 0
.LBB94_5540:
	s_delay_alu instid0(SALU_CYCLE_1)
	s_and_b32 vcc_lo, exec_lo, s7
	s_cbranch_vccz .LBB94_5556
; %bb.5541:
	s_cmp_lt_i32 s60, 27
	s_cbranch_scc1 .LBB94_5544
; %bb.5542:
	s_cmp_gt_i32 s60, 27
	s_cbranch_scc0 .LBB94_5545
; %bb.5543:
	s_wait_loadcnt 0x0
	global_load_b32 v14, v[12:13], off
	v_mov_b32_e32 v15, 0
	s_mov_b32 s6, 0
	s_branch .LBB94_5546
.LBB94_5544:
	s_mov_b32 s6, -1
                                        ; implicit-def: $vgpr14_vgpr15
	s_branch .LBB94_5549
.LBB94_5545:
	s_mov_b32 s6, -1
                                        ; implicit-def: $vgpr14_vgpr15
.LBB94_5546:
	s_delay_alu instid0(SALU_CYCLE_1)
	s_and_not1_b32 vcc_lo, exec_lo, s6
	s_cbranch_vccnz .LBB94_5548
; %bb.5547:
	s_wait_loadcnt 0x0
	global_load_u16 v14, v[12:13], off
	s_mov_b32 s6, 0
	s_delay_alu instid0(SALU_CYCLE_1)
	v_mov_b32_e32 v15, s6
	s_wait_loadcnt 0x0
	v_and_b32_e32 v14, 0xffff, v14
.LBB94_5548:
	s_mov_b32 s6, 0
.LBB94_5549:
	s_delay_alu instid0(SALU_CYCLE_1)
	s_and_not1_b32 vcc_lo, exec_lo, s6
	s_cbranch_vccnz .LBB94_5555
; %bb.5550:
	global_load_u8 v16, v[12:13], off
	s_mov_b32 s7, 0
	s_mov_b32 s6, exec_lo
	s_wait_loadcnt 0x0
	v_cmpx_lt_i16_e32 0x7f, v16
	s_xor_b32 s6, exec_lo, s6
	s_cbranch_execz .LBB94_5567
; %bb.5551:
	v_cmp_ne_u16_e32 vcc_lo, 0x80, v16
	s_and_b32 s7, vcc_lo, exec_lo
	s_and_not1_saveexec_b32 s6, s6
	s_cbranch_execnz .LBB94_5568
.LBB94_5552:
	s_or_b32 exec_lo, exec_lo, s6
	v_mov_b64_e32 v[14:15], 0
	s_and_saveexec_b32 s6, s7
	s_cbranch_execz .LBB94_5554
.LBB94_5553:
	v_and_b32_e32 v14, 0xffff, v16
	s_delay_alu instid0(VALU_DEP_1) | instskip(SKIP_1) | instid1(VALU_DEP_2)
	v_and_b32_e32 v15, 7, v14
	v_bfe_u32 v19, v14, 3, 4
	v_clz_i32_u32_e32 v17, v15
	s_delay_alu instid0(VALU_DEP_2) | instskip(NEXT) | instid1(VALU_DEP_2)
	v_cmp_eq_u32_e32 vcc_lo, 0, v19
	v_min_u32_e32 v17, 32, v17
	s_delay_alu instid0(VALU_DEP_1) | instskip(NEXT) | instid1(VALU_DEP_1)
	v_subrev_nc_u32_e32 v18, 28, v17
	v_dual_lshlrev_b32 v14, v18, v14 :: v_dual_sub_nc_u32 v17, 29, v17
	s_delay_alu instid0(VALU_DEP_1) | instskip(NEXT) | instid1(VALU_DEP_2)
	v_dual_lshlrev_b32 v16, 24, v16 :: v_dual_bitop2_b32 v14, 7, v14 bitop3:0x40
	v_cndmask_b32_e32 v17, v19, v17, vcc_lo
	s_delay_alu instid0(VALU_DEP_2) | instskip(NEXT) | instid1(VALU_DEP_3)
	v_cndmask_b32_e32 v14, v15, v14, vcc_lo
	v_and_b32_e32 v15, 0x80000000, v16
	s_delay_alu instid0(VALU_DEP_3) | instskip(NEXT) | instid1(VALU_DEP_3)
	v_lshl_add_u32 v16, v17, 23, 0x3b800000
	v_lshlrev_b32_e32 v14, 20, v14
	s_delay_alu instid0(VALU_DEP_1) | instskip(NEXT) | instid1(VALU_DEP_1)
	v_or3_b32 v14, v15, v16, v14
	v_trunc_f32_e32 v14, v14
	s_delay_alu instid0(VALU_DEP_1) | instskip(NEXT) | instid1(VALU_DEP_1)
	v_mul_f32_e64 v15, 0x2f800000, |v14|
	v_floor_f32_e32 v15, v15
	s_delay_alu instid0(VALU_DEP_1) | instskip(SKIP_2) | instid1(VALU_DEP_3)
	v_fma_f32 v16, 0xcf800000, v15, |v14|
	v_ashrrev_i32_e32 v14, 31, v14
	v_cvt_u32_f32_e32 v17, v15
	v_cvt_u32_f32_e32 v16, v16
	s_delay_alu instid0(VALU_DEP_2) | instskip(NEXT) | instid1(VALU_DEP_2)
	v_dual_mov_b32 v15, v14 :: v_dual_bitop2_b32 v17, v17, v14 bitop3:0x14
	v_xor_b32_e32 v16, v16, v14
	s_delay_alu instid0(VALU_DEP_1)
	v_sub_nc_u64_e32 v[14:15], v[16:17], v[14:15]
.LBB94_5554:
	s_or_b32 exec_lo, exec_lo, s6
.LBB94_5555:
	s_mov_b32 s6, -1
.LBB94_5556:
	s_mov_b32 s7, 0
.LBB94_5557:
	s_delay_alu instid0(SALU_CYCLE_1)
	s_and_b32 vcc_lo, exec_lo, s7
	s_cbranch_vccz .LBB94_5588
; %bb.5558:
	s_cmp_gt_i32 s60, 22
	s_cbranch_scc0 .LBB94_5566
; %bb.5559:
	s_cmp_lt_i32 s60, 24
	s_cbranch_scc1 .LBB94_5569
; %bb.5560:
	s_cmp_gt_i32 s60, 24
	s_cbranch_scc0 .LBB94_5570
; %bb.5561:
	global_load_u8 v16, v[12:13], off
	s_mov_b32 s6, 0
	s_mov_b32 s5, exec_lo
	s_wait_loadcnt 0x0
	v_cmpx_lt_i16_e32 0x7f, v16
	s_xor_b32 s5, exec_lo, s5
	s_cbranch_execz .LBB94_5582
; %bb.5562:
	v_cmp_ne_u16_e32 vcc_lo, 0x80, v16
	s_and_b32 s6, vcc_lo, exec_lo
	s_and_not1_saveexec_b32 s5, s5
	s_cbranch_execnz .LBB94_5583
.LBB94_5563:
	s_or_b32 exec_lo, exec_lo, s5
	v_mov_b64_e32 v[14:15], 0
	s_and_saveexec_b32 s5, s6
	s_cbranch_execz .LBB94_5565
.LBB94_5564:
	v_and_b32_e32 v14, 0xffff, v16
	s_delay_alu instid0(VALU_DEP_1) | instskip(SKIP_1) | instid1(VALU_DEP_2)
	v_and_b32_e32 v15, 3, v14
	v_bfe_u32 v19, v14, 2, 5
	v_clz_i32_u32_e32 v17, v15
	s_delay_alu instid0(VALU_DEP_2) | instskip(NEXT) | instid1(VALU_DEP_2)
	v_cmp_eq_u32_e32 vcc_lo, 0, v19
	v_min_u32_e32 v17, 32, v17
	s_delay_alu instid0(VALU_DEP_1) | instskip(NEXT) | instid1(VALU_DEP_1)
	v_subrev_nc_u32_e32 v18, 29, v17
	v_dual_lshlrev_b32 v14, v18, v14 :: v_dual_sub_nc_u32 v17, 30, v17
	s_delay_alu instid0(VALU_DEP_1) | instskip(NEXT) | instid1(VALU_DEP_2)
	v_dual_lshlrev_b32 v16, 24, v16 :: v_dual_bitop2_b32 v14, 3, v14 bitop3:0x40
	v_cndmask_b32_e32 v17, v19, v17, vcc_lo
	s_delay_alu instid0(VALU_DEP_2) | instskip(NEXT) | instid1(VALU_DEP_3)
	v_cndmask_b32_e32 v14, v15, v14, vcc_lo
	v_and_b32_e32 v15, 0x80000000, v16
	s_delay_alu instid0(VALU_DEP_3) | instskip(NEXT) | instid1(VALU_DEP_3)
	v_lshl_add_u32 v16, v17, 23, 0x37800000
	v_lshlrev_b32_e32 v14, 21, v14
	s_delay_alu instid0(VALU_DEP_1) | instskip(NEXT) | instid1(VALU_DEP_1)
	v_or3_b32 v14, v15, v16, v14
	v_trunc_f32_e32 v14, v14
	s_delay_alu instid0(VALU_DEP_1) | instskip(NEXT) | instid1(VALU_DEP_1)
	v_mul_f32_e64 v15, 0x2f800000, |v14|
	v_floor_f32_e32 v15, v15
	s_delay_alu instid0(VALU_DEP_1) | instskip(SKIP_2) | instid1(VALU_DEP_3)
	v_fma_f32 v16, 0xcf800000, v15, |v14|
	v_ashrrev_i32_e32 v14, 31, v14
	v_cvt_u32_f32_e32 v17, v15
	v_cvt_u32_f32_e32 v16, v16
	s_delay_alu instid0(VALU_DEP_2) | instskip(NEXT) | instid1(VALU_DEP_2)
	v_dual_mov_b32 v15, v14 :: v_dual_bitop2_b32 v17, v17, v14 bitop3:0x14
	v_xor_b32_e32 v16, v16, v14
	s_delay_alu instid0(VALU_DEP_1)
	v_sub_nc_u64_e32 v[14:15], v[16:17], v[14:15]
.LBB94_5565:
	s_or_b32 exec_lo, exec_lo, s5
	s_mov_b32 s5, 0
	s_branch .LBB94_5571
.LBB94_5566:
	s_mov_b32 s5, -1
                                        ; implicit-def: $vgpr14_vgpr15
	s_branch .LBB94_5577
.LBB94_5567:
	s_and_not1_saveexec_b32 s6, s6
	s_cbranch_execz .LBB94_5552
.LBB94_5568:
	v_cmp_ne_u16_e32 vcc_lo, 0, v16
	s_and_not1_b32 s7, s7, exec_lo
	s_and_b32 s8, vcc_lo, exec_lo
	s_delay_alu instid0(SALU_CYCLE_1)
	s_or_b32 s7, s7, s8
	s_or_b32 exec_lo, exec_lo, s6
	v_mov_b64_e32 v[14:15], 0
	s_and_saveexec_b32 s6, s7
	s_cbranch_execnz .LBB94_5553
	s_branch .LBB94_5554
.LBB94_5569:
	s_mov_b32 s5, -1
                                        ; implicit-def: $vgpr14_vgpr15
	s_branch .LBB94_5574
.LBB94_5570:
	s_mov_b32 s5, -1
                                        ; implicit-def: $vgpr14_vgpr15
.LBB94_5571:
	s_delay_alu instid0(SALU_CYCLE_1)
	s_and_b32 vcc_lo, exec_lo, s5
	s_cbranch_vccz .LBB94_5573
; %bb.5572:
	s_wait_loadcnt 0x0
	global_load_u8 v14, v[12:13], off
	s_wait_loadcnt 0x0
	v_lshlrev_b32_e32 v14, 24, v14
	s_delay_alu instid0(VALU_DEP_1) | instskip(NEXT) | instid1(VALU_DEP_1)
	v_and_b32_e32 v15, 0x7f000000, v14
	v_clz_i32_u32_e32 v16, v15
	v_cmp_ne_u32_e32 vcc_lo, 0, v15
	v_add_nc_u32_e32 v18, 0x1000000, v15
	s_delay_alu instid0(VALU_DEP_3) | instskip(NEXT) | instid1(VALU_DEP_1)
	v_min_u32_e32 v16, 32, v16
	v_sub_nc_u32_e64 v16, v16, 4 clamp
	s_delay_alu instid0(VALU_DEP_1) | instskip(NEXT) | instid1(VALU_DEP_1)
	v_dual_lshlrev_b32 v17, v16, v15 :: v_dual_lshlrev_b32 v16, 23, v16
	v_lshrrev_b32_e32 v17, 4, v17
	s_delay_alu instid0(VALU_DEP_1) | instskip(NEXT) | instid1(VALU_DEP_1)
	v_dual_sub_nc_u32 v16, v17, v16 :: v_dual_ashrrev_i32 v17, 8, v18
	v_add_nc_u32_e32 v16, 0x3c000000, v16
	s_delay_alu instid0(VALU_DEP_1) | instskip(NEXT) | instid1(VALU_DEP_1)
	v_and_or_b32 v16, 0x7f800000, v17, v16
	v_cndmask_b32_e32 v15, 0, v16, vcc_lo
	s_delay_alu instid0(VALU_DEP_1) | instskip(NEXT) | instid1(VALU_DEP_1)
	v_and_or_b32 v14, 0x80000000, v14, v15
	v_trunc_f32_e32 v14, v14
	s_delay_alu instid0(VALU_DEP_1) | instskip(NEXT) | instid1(VALU_DEP_1)
	v_mul_f32_e64 v15, 0x2f800000, |v14|
	v_floor_f32_e32 v15, v15
	s_delay_alu instid0(VALU_DEP_1) | instskip(SKIP_2) | instid1(VALU_DEP_3)
	v_fma_f32 v16, 0xcf800000, v15, |v14|
	v_ashrrev_i32_e32 v14, 31, v14
	v_cvt_u32_f32_e32 v17, v15
	v_cvt_u32_f32_e32 v16, v16
	s_delay_alu instid0(VALU_DEP_2) | instskip(NEXT) | instid1(VALU_DEP_2)
	v_dual_mov_b32 v15, v14 :: v_dual_bitop2_b32 v17, v17, v14 bitop3:0x14
	v_xor_b32_e32 v16, v16, v14
	s_delay_alu instid0(VALU_DEP_1)
	v_sub_nc_u64_e32 v[14:15], v[16:17], v[14:15]
.LBB94_5573:
	s_mov_b32 s5, 0
.LBB94_5574:
	s_delay_alu instid0(SALU_CYCLE_1)
	s_and_not1_b32 vcc_lo, exec_lo, s5
	s_cbranch_vccnz .LBB94_5576
; %bb.5575:
	s_wait_loadcnt 0x0
	global_load_u8 v14, v[12:13], off
	s_wait_loadcnt 0x0
	v_lshlrev_b32_e32 v15, 25, v14
	v_lshlrev_b16 v14, 8, v14
	s_delay_alu instid0(VALU_DEP_1) | instskip(SKIP_1) | instid1(VALU_DEP_2)
	v_and_or_b32 v17, 0x7f00, v14, 0.5
	v_bfe_i32 v14, v14, 0, 16
	v_dual_add_f32 v17, -0.5, v17 :: v_dual_lshrrev_b32 v16, 4, v15
	v_cmp_gt_u32_e32 vcc_lo, 0x8000000, v15
	s_delay_alu instid0(VALU_DEP_2) | instskip(NEXT) | instid1(VALU_DEP_1)
	v_or_b32_e32 v16, 0x70000000, v16
	v_mul_f32_e32 v16, 0x7800000, v16
	s_delay_alu instid0(VALU_DEP_1) | instskip(NEXT) | instid1(VALU_DEP_1)
	v_cndmask_b32_e32 v15, v16, v17, vcc_lo
	v_and_or_b32 v14, 0x80000000, v14, v15
	s_delay_alu instid0(VALU_DEP_1) | instskip(NEXT) | instid1(VALU_DEP_1)
	v_trunc_f32_e32 v14, v14
	v_mul_f32_e64 v15, 0x2f800000, |v14|
	s_delay_alu instid0(VALU_DEP_1) | instskip(NEXT) | instid1(VALU_DEP_1)
	v_floor_f32_e32 v15, v15
	v_fma_f32 v16, 0xcf800000, v15, |v14|
	v_ashrrev_i32_e32 v14, 31, v14
	v_cvt_u32_f32_e32 v17, v15
	s_delay_alu instid0(VALU_DEP_3) | instskip(NEXT) | instid1(VALU_DEP_2)
	v_cvt_u32_f32_e32 v16, v16
	v_dual_mov_b32 v15, v14 :: v_dual_bitop2_b32 v17, v17, v14 bitop3:0x14
	s_delay_alu instid0(VALU_DEP_2) | instskip(NEXT) | instid1(VALU_DEP_1)
	v_xor_b32_e32 v16, v16, v14
	v_sub_nc_u64_e32 v[14:15], v[16:17], v[14:15]
.LBB94_5576:
	s_mov_b32 s5, 0
	s_mov_b32 s6, -1
.LBB94_5577:
	s_and_not1_b32 vcc_lo, exec_lo, s5
	s_mov_b32 s5, 0
	s_cbranch_vccnz .LBB94_5588
; %bb.5578:
	s_cmp_gt_i32 s60, 14
	s_cbranch_scc0 .LBB94_5581
; %bb.5579:
	s_cmp_eq_u32 s60, 15
	s_cbranch_scc0 .LBB94_5584
; %bb.5580:
	s_wait_loadcnt 0x0
	global_load_u16 v14, v[12:13], off
	s_mov_b32 s0, 0
	s_mov_b32 s6, -1
	s_wait_loadcnt 0x0
	v_lshlrev_b32_e32 v14, 16, v14
	s_delay_alu instid0(VALU_DEP_1) | instskip(NEXT) | instid1(VALU_DEP_1)
	v_trunc_f32_e32 v14, v14
	v_mul_f32_e64 v15, 0x2f800000, |v14|
	s_delay_alu instid0(VALU_DEP_1) | instskip(NEXT) | instid1(VALU_DEP_1)
	v_floor_f32_e32 v15, v15
	v_fma_f32 v16, 0xcf800000, v15, |v14|
	v_ashrrev_i32_e32 v14, 31, v14
	v_cvt_u32_f32_e32 v17, v15
	s_delay_alu instid0(VALU_DEP_3) | instskip(NEXT) | instid1(VALU_DEP_2)
	v_cvt_u32_f32_e32 v16, v16
	v_dual_mov_b32 v15, v14 :: v_dual_bitop2_b32 v17, v17, v14 bitop3:0x14
	s_delay_alu instid0(VALU_DEP_2) | instskip(NEXT) | instid1(VALU_DEP_1)
	v_xor_b32_e32 v16, v16, v14
	v_sub_nc_u64_e32 v[14:15], v[16:17], v[14:15]
	s_branch .LBB94_5586
.LBB94_5581:
	s_mov_b32 s5, -1
	s_branch .LBB94_5585
.LBB94_5582:
	s_and_not1_saveexec_b32 s5, s5
	s_cbranch_execz .LBB94_5563
.LBB94_5583:
	v_cmp_ne_u16_e32 vcc_lo, 0, v16
	s_and_not1_b32 s6, s6, exec_lo
	s_and_b32 s7, vcc_lo, exec_lo
	s_delay_alu instid0(SALU_CYCLE_1)
	s_or_b32 s6, s6, s7
	s_or_b32 exec_lo, exec_lo, s5
	v_mov_b64_e32 v[14:15], 0
	s_and_saveexec_b32 s5, s6
	s_cbranch_execnz .LBB94_5564
	s_branch .LBB94_5565
.LBB94_5584:
	s_mov_b32 s0, -1
.LBB94_5585:
                                        ; implicit-def: $vgpr14_vgpr15
.LBB94_5586:
	s_and_b32 vcc_lo, exec_lo, s5
	s_mov_b32 s5, 0
	s_cbranch_vccz .LBB94_5588
; %bb.5587:
	s_cmp_lg_u32 s60, 11
	s_mov_b32 s5, -1
	s_cselect_b32 s0, -1, 0
.LBB94_5588:
	s_delay_alu instid0(SALU_CYCLE_1)
	s_and_b32 vcc_lo, exec_lo, s0
	s_cbranch_vccnz .LBB94_5717
; %bb.5589:
	s_and_not1_b32 vcc_lo, exec_lo, s5
	s_cbranch_vccnz .LBB94_5591
.LBB94_5590:
	s_wait_loadcnt 0x0
	global_load_u8 v14, v[12:13], off
	s_mov_b32 s0, 0
	s_mov_b32 s6, -1
	v_mov_b32_e32 v15, s0
	s_wait_loadcnt 0x0
	v_cmp_ne_u16_e32 vcc_lo, 0, v14
	v_cndmask_b32_e64 v14, 0, 1, vcc_lo
.LBB94_5591:
	s_mov_b32 s0, 0
.LBB94_5592:
	s_delay_alu instid0(SALU_CYCLE_1)
	s_and_b32 vcc_lo, exec_lo, s0
	s_cbranch_vccz .LBB94_5641
; %bb.5593:
	s_cmp_lt_i32 s60, 5
	s_cbranch_scc1 .LBB94_5598
; %bb.5594:
	s_cmp_lt_i32 s60, 8
	s_cbranch_scc1 .LBB94_5599
	;; [unrolled: 3-line block ×3, first 2 shown]
; %bb.5596:
	s_cmp_gt_i32 s60, 9
	s_cbranch_scc0 .LBB94_5601
; %bb.5597:
	s_wait_loadcnt 0x0
	global_load_b64 v[14:15], v[12:13], off
	s_mov_b32 s0, 0
	s_wait_loadcnt 0x0
	v_trunc_f64_e32 v[14:15], v[14:15]
	s_delay_alu instid0(VALU_DEP_1) | instskip(NEXT) | instid1(VALU_DEP_1)
	v_ldexp_f64 v[16:17], v[14:15], 0xffffffe0
	v_floor_f64_e32 v[16:17], v[16:17]
	s_delay_alu instid0(VALU_DEP_1) | instskip(SKIP_1) | instid1(VALU_DEP_2)
	v_fmamk_f64 v[18:19], v[16:17], 0xc1f00000, v[14:15]
	v_cvt_i32_f64_e32 v15, v[16:17]
	v_cvt_u32_f64_e32 v14, v[18:19]
	s_branch .LBB94_5602
.LBB94_5598:
	s_mov_b32 s0, -1
                                        ; implicit-def: $vgpr14_vgpr15
	s_branch .LBB94_5620
.LBB94_5599:
	s_mov_b32 s0, -1
                                        ; implicit-def: $vgpr14_vgpr15
	s_branch .LBB94_5608
.LBB94_5600:
	s_mov_b32 s0, -1
                                        ; implicit-def: $vgpr14_vgpr15
	s_branch .LBB94_5605
.LBB94_5601:
	s_mov_b32 s0, -1
                                        ; implicit-def: $vgpr14_vgpr15
.LBB94_5602:
	s_delay_alu instid0(SALU_CYCLE_1)
	s_and_not1_b32 vcc_lo, exec_lo, s0
	s_cbranch_vccnz .LBB94_5604
; %bb.5603:
	s_wait_loadcnt 0x0
	global_load_b32 v14, v[12:13], off
	s_wait_loadcnt 0x0
	v_trunc_f32_e32 v14, v14
	s_delay_alu instid0(VALU_DEP_1) | instskip(NEXT) | instid1(VALU_DEP_1)
	v_mul_f32_e64 v15, 0x2f800000, |v14|
	v_floor_f32_e32 v15, v15
	s_delay_alu instid0(VALU_DEP_1) | instskip(SKIP_2) | instid1(VALU_DEP_3)
	v_fma_f32 v16, 0xcf800000, v15, |v14|
	v_ashrrev_i32_e32 v14, 31, v14
	v_cvt_u32_f32_e32 v17, v15
	v_cvt_u32_f32_e32 v16, v16
	s_delay_alu instid0(VALU_DEP_2) | instskip(NEXT) | instid1(VALU_DEP_2)
	v_dual_mov_b32 v15, v14 :: v_dual_bitop2_b32 v17, v17, v14 bitop3:0x14
	v_xor_b32_e32 v16, v16, v14
	s_delay_alu instid0(VALU_DEP_1)
	v_sub_nc_u64_e32 v[14:15], v[16:17], v[14:15]
.LBB94_5604:
	s_mov_b32 s0, 0
.LBB94_5605:
	s_delay_alu instid0(SALU_CYCLE_1)
	s_and_not1_b32 vcc_lo, exec_lo, s0
	s_cbranch_vccnz .LBB94_5607
; %bb.5606:
	s_wait_loadcnt 0x0
	global_load_b32 v14, v[12:13], off
	s_wait_loadcnt 0x0
	v_cvt_f32_f16_e32 v14, v14
	s_delay_alu instid0(VALU_DEP_1) | instskip(NEXT) | instid1(VALU_DEP_1)
	v_cvt_i32_f32_e32 v14, v14
	v_ashrrev_i32_e32 v15, 31, v14
.LBB94_5607:
	s_mov_b32 s0, 0
.LBB94_5608:
	s_delay_alu instid0(SALU_CYCLE_1)
	s_and_not1_b32 vcc_lo, exec_lo, s0
	s_cbranch_vccnz .LBB94_5619
; %bb.5609:
	s_cmp_lt_i32 s60, 6
	s_cbranch_scc1 .LBB94_5612
; %bb.5610:
	s_cmp_gt_i32 s60, 6
	s_cbranch_scc0 .LBB94_5613
; %bb.5611:
	s_wait_loadcnt 0x0
	global_load_b64 v[14:15], v[12:13], off
	s_mov_b32 s0, 0
	s_wait_loadcnt 0x0
	v_trunc_f64_e32 v[14:15], v[14:15]
	s_delay_alu instid0(VALU_DEP_1) | instskip(NEXT) | instid1(VALU_DEP_1)
	v_ldexp_f64 v[16:17], v[14:15], 0xffffffe0
	v_floor_f64_e32 v[16:17], v[16:17]
	s_delay_alu instid0(VALU_DEP_1) | instskip(SKIP_1) | instid1(VALU_DEP_2)
	v_fmamk_f64 v[18:19], v[16:17], 0xc1f00000, v[14:15]
	v_cvt_i32_f64_e32 v15, v[16:17]
	v_cvt_u32_f64_e32 v14, v[18:19]
	s_branch .LBB94_5614
.LBB94_5612:
	s_mov_b32 s0, -1
                                        ; implicit-def: $vgpr14_vgpr15
	s_branch .LBB94_5617
.LBB94_5613:
	s_mov_b32 s0, -1
                                        ; implicit-def: $vgpr14_vgpr15
.LBB94_5614:
	s_delay_alu instid0(SALU_CYCLE_1)
	s_and_not1_b32 vcc_lo, exec_lo, s0
	s_cbranch_vccnz .LBB94_5616
; %bb.5615:
	s_wait_loadcnt 0x0
	global_load_b32 v14, v[12:13], off
	s_wait_loadcnt 0x0
	v_trunc_f32_e32 v14, v14
	s_delay_alu instid0(VALU_DEP_1) | instskip(NEXT) | instid1(VALU_DEP_1)
	v_mul_f32_e64 v15, 0x2f800000, |v14|
	v_floor_f32_e32 v15, v15
	s_delay_alu instid0(VALU_DEP_1) | instskip(SKIP_2) | instid1(VALU_DEP_3)
	v_fma_f32 v16, 0xcf800000, v15, |v14|
	v_ashrrev_i32_e32 v14, 31, v14
	v_cvt_u32_f32_e32 v17, v15
	v_cvt_u32_f32_e32 v16, v16
	s_delay_alu instid0(VALU_DEP_2) | instskip(NEXT) | instid1(VALU_DEP_2)
	v_dual_mov_b32 v15, v14 :: v_dual_bitop2_b32 v17, v17, v14 bitop3:0x14
	v_xor_b32_e32 v16, v16, v14
	s_delay_alu instid0(VALU_DEP_1)
	v_sub_nc_u64_e32 v[14:15], v[16:17], v[14:15]
.LBB94_5616:
	s_mov_b32 s0, 0
.LBB94_5617:
	s_delay_alu instid0(SALU_CYCLE_1)
	s_and_not1_b32 vcc_lo, exec_lo, s0
	s_cbranch_vccnz .LBB94_5619
; %bb.5618:
	s_wait_loadcnt 0x0
	global_load_u16 v14, v[12:13], off
	s_wait_loadcnt 0x0
	v_cvt_f32_f16_e32 v14, v14
	s_delay_alu instid0(VALU_DEP_1) | instskip(NEXT) | instid1(VALU_DEP_1)
	v_cvt_i32_f32_e32 v14, v14
	v_ashrrev_i32_e32 v15, 31, v14
.LBB94_5619:
	s_mov_b32 s0, 0
.LBB94_5620:
	s_delay_alu instid0(SALU_CYCLE_1)
	s_and_not1_b32 vcc_lo, exec_lo, s0
	s_cbranch_vccnz .LBB94_5640
; %bb.5621:
	s_cmp_lt_i32 s60, 2
	s_cbranch_scc1 .LBB94_5625
; %bb.5622:
	s_cmp_lt_i32 s60, 3
	s_cbranch_scc1 .LBB94_5626
; %bb.5623:
	s_cmp_gt_i32 s60, 3
	s_cbranch_scc0 .LBB94_5627
; %bb.5624:
	s_wait_loadcnt 0x0
	global_load_b64 v[14:15], v[12:13], off
	s_mov_b32 s0, 0
	s_branch .LBB94_5628
.LBB94_5625:
	s_mov_b32 s0, -1
                                        ; implicit-def: $vgpr14_vgpr15
	s_branch .LBB94_5634
.LBB94_5626:
	s_mov_b32 s0, -1
                                        ; implicit-def: $vgpr14_vgpr15
	s_branch .LBB94_5631
.LBB94_5627:
	s_mov_b32 s0, -1
                                        ; implicit-def: $vgpr14_vgpr15
.LBB94_5628:
	s_delay_alu instid0(SALU_CYCLE_1)
	s_and_not1_b32 vcc_lo, exec_lo, s0
	s_cbranch_vccnz .LBB94_5630
; %bb.5629:
	s_wait_loadcnt 0x0
	global_load_b32 v14, v[12:13], off
	s_wait_loadcnt 0x0
	v_ashrrev_i32_e32 v15, 31, v14
.LBB94_5630:
	s_mov_b32 s0, 0
.LBB94_5631:
	s_delay_alu instid0(SALU_CYCLE_1)
	s_and_not1_b32 vcc_lo, exec_lo, s0
	s_cbranch_vccnz .LBB94_5633
; %bb.5632:
	s_wait_loadcnt 0x0
	global_load_u16 v14, v[12:13], off
	s_wait_loadcnt 0x0
	v_bfe_i32 v14, v14, 0, 16
	s_delay_alu instid0(VALU_DEP_1)
	v_ashrrev_i32_e32 v15, 31, v14
.LBB94_5633:
	s_mov_b32 s0, 0
.LBB94_5634:
	s_delay_alu instid0(SALU_CYCLE_1)
	s_and_not1_b32 vcc_lo, exec_lo, s0
	s_cbranch_vccnz .LBB94_5640
; %bb.5635:
	s_cmp_gt_i32 s60, 0
	s_mov_b32 s0, 0
	s_cbranch_scc0 .LBB94_5637
; %bb.5636:
	s_wait_loadcnt 0x0
	global_load_i8 v14, v[12:13], off
	s_wait_loadcnt 0x0
	v_bfe_i32 v14, v14, 0, 16
	s_delay_alu instid0(VALU_DEP_1)
	v_ashrrev_i32_e32 v15, 31, v14
	s_branch .LBB94_5638
.LBB94_5637:
	s_mov_b32 s0, -1
                                        ; implicit-def: $vgpr14_vgpr15
.LBB94_5638:
	s_delay_alu instid0(SALU_CYCLE_1)
	s_and_not1_b32 vcc_lo, exec_lo, s0
	s_cbranch_vccnz .LBB94_5640
; %bb.5639:
	global_load_u8 v12, v[12:13], off
	s_mov_b32 s0, 0
	s_wait_loadcnt 0x1
	v_mov_b32_e32 v15, s0
	s_wait_loadcnt 0x0
	v_and_b32_e32 v14, 0xffff, v12
.LBB94_5640:
	s_mov_b32 s6, -1
.LBB94_5641:
	s_delay_alu instid0(SALU_CYCLE_1)
	s_and_not1_b32 vcc_lo, exec_lo, s6
	s_cbranch_vccnz .LBB94_5650
; %bb.5642:
	s_mov_b32 s0, exec_lo
	s_wait_loadcnt 0x0
	v_cmpx_ne_u64_e64 v[4:5], v[0:1]
	s_xor_b32 s0, exec_lo, s0
	s_cbranch_execnz .LBB94_5993
.LBB94_5643:
	s_or_saveexec_b32 s22, s0
	s_mov_b32 s5, 0
	s_mov_b32 s6, 0
                                        ; implicit-def: $vgpr20_vgpr21
                                        ; implicit-def: $sgpr0
	s_xor_b32 exec_lo, exec_lo, s22
	s_cbranch_execz .LBB94_5988
; %bb.5644:
	s_mov_b32 s23, s21
	s_mov_b32 s0, exec_lo
	v_cmpx_ne_u64_e64 v[6:7], v[2:3]
	s_xor_b32 s0, exec_lo, s0
	s_cbranch_execnz .LBB94_5995
; %bb.5645:
	s_or_saveexec_b32 s24, s0
                                        ; implicit-def: $vgpr20_vgpr21
                                        ; implicit-def: $sgpr0
	s_delay_alu instid0(SALU_CYCLE_1)
	s_xor_b32 exec_lo, exec_lo, s24
	s_cbranch_execz .LBB94_5987
.LBB94_5646:
	v_sub_nc_u64_e32 v[4:5], v[10:11], v[8:9]
	s_delay_alu instid0(VALU_DEP_1) | instskip(SKIP_3) | instid1(SALU_CYCLE_1)
	v_cmp_gt_i64_e32 vcc_lo, v[0:1], v[4:5]
	v_cmp_lt_i64_e64 s0, s[16:17], v[4:5]
	s_mov_b32 s16, s23
	s_or_b32 s0, vcc_lo, s0
	s_and_saveexec_b32 s5, s0
	s_delay_alu instid0(SALU_CYCLE_1)
	s_xor_b32 s0, exec_lo, s5
	s_cbranch_execnz .LBB94_5997
.LBB94_5647:
	s_or_saveexec_b32 s17, s0
	s_mov_b32 s5, 0
	s_mov_b32 s7, 0
                                        ; implicit-def: $vgpr20_vgpr21
                                        ; implicit-def: $sgpr0
	s_xor_b32 exec_lo, exec_lo, s17
	s_cbranch_execz .LBB94_5986
; %bb.5648:
	v_mov_b64_e32 v[0:1], 0
	s_and_saveexec_b32 s25, s47
	s_cbranch_execz .LBB94_5661
; %bb.5649:
	v_mul_u64_e32 v[4:5], v[14:15], v[2:3]
	v_mov_b64_e32 v[0:1], 0
	s_lshl_b64 s[8:9], s[4:5], 3
	v_mov_b32_e32 v2, 0
	s_add_nc_u64 s[8:9], s[28:29], s[8:9]
	s_mov_b64 s[6:7], 0xffffffff
	s_add_nc_u64 s[8:9], s[8:9], 0x68
	s_branch .LBB94_5657
.LBB94_5650:
	s_mov_b32 s5, 0
	s_mov_b32 s6, 0
                                        ; implicit-def: $vgpr20_vgpr21
                                        ; implicit-def: $sgpr0
.LBB94_5651:
	s_and_not1_b32 s1, s1, exec_lo
	s_and_b32 s2, s21, exec_lo
	s_and_b32 s22, s6, exec_lo
	;; [unrolled: 1-line block ×3, first 2 shown]
	s_or_b32 s1, s1, s2
.LBB94_5652:
	s_wait_xcnt 0x0
	s_or_b32 exec_lo, exec_lo, s20
	s_delay_alu instid0(SALU_CYCLE_1)
	s_and_not1_b32 s2, s67, exec_lo
	s_and_b32 s3, s1, exec_lo
	s_and_b32 s20, s22, exec_lo
	s_and_b32 s1, s5, exec_lo
	s_or_b32 s67, s2, s3
.LBB94_5653:
	s_or_b32 exec_lo, exec_lo, s68
	s_delay_alu instid0(SALU_CYCLE_1)
	s_and_not1_b32 s2, s65, exec_lo
	s_and_b32 s3, s67, exec_lo
	s_and_b32 s5, s20, exec_lo
	;; [unrolled: 1-line block ×3, first 2 shown]
	s_or_b32 s65, s2, s3
.LBB94_5654:
	s_or_b32 exec_lo, exec_lo, s66
	s_delay_alu instid0(SALU_CYCLE_1)
	s_and_not1_b32 s2, s55, exec_lo
	s_and_b32 s3, s65, exec_lo
	s_and_b32 s5, s5, exec_lo
	;; [unrolled: 1-line block ×3, first 2 shown]
	s_or_b32 s55, s2, s3
.LBB94_5655:
	s_or_b32 exec_lo, exec_lo, s61
	s_branch .LBB94_4985
.LBB94_5656:                            ;   in Loop: Header=BB94_5657 Depth=1
	s_or_b32 exec_lo, exec_lo, s0
	s_delay_alu instid0(VALU_DEP_1)
	v_mul_u64_e32 v[12:13], s[10:11], v[6:7]
	s_load_b64 s[10:11], s[8:9], 0x40
	s_add_co_i32 s45, s45, -1
	s_wait_xcnt 0x0
	s_add_nc_u64 s[8:9], s[8:9], -8
	s_cmp_eq_u32 s45, 0
	s_delay_alu instid0(VALU_DEP_1) | instskip(SKIP_1) | instid1(VALU_DEP_1)
	v_sub_nc_u64_e32 v[4:5], v[4:5], v[12:13]
	s_wait_kmcnt 0x0
	v_mad_nc_u64_u32 v[0:1], v4, s10, v[0:1]
	s_delay_alu instid0(VALU_DEP_1) | instskip(NEXT) | instid1(VALU_DEP_1)
	v_mad_u32 v1, v5, s10, v1
	v_mad_u32 v1, v4, s11, v1
	v_mov_b64_e32 v[4:5], v[6:7]
	s_cbranch_scc1 .LBB94_5661
.LBB94_5657:                            ; =>This Inner Loop Header: Depth=1
	s_load_b64 s[10:11], s[8:9], 0x0
                                        ; implicit-def: $vgpr6_vgpr7
	s_mov_b32 s0, exec_lo
	s_wait_kmcnt 0x0
	s_delay_alu instid0(VALU_DEP_1) | instskip(NEXT) | instid1(VALU_DEP_1)
	v_or_b32_e32 v3, s11, v5
	v_cmpx_ne_u64_e32 0, v[2:3]
	s_xor_b32 s26, exec_lo, s0
	s_cbranch_execz .LBB94_5659
; %bb.5658:                             ;   in Loop: Header=BB94_5657 Depth=1
	s_ashr_i32 s12, s11, 31
	v_dual_mov_b32 v15, v2 :: v_dual_ashrrev_i32 v6, 31, v5
	s_mov_b32 s13, s12
	v_mov_b32_e32 v23, v2
	s_add_nc_u64 s[14:15], s[10:11], s[12:13]
	s_delay_alu instid0(VALU_DEP_2) | instskip(SKIP_1) | instid1(SALU_CYCLE_1)
	v_mov_b32_e32 v7, v6
	s_xor_b64 s[14:15], s[14:15], s[12:13]
	s_cvt_f32_u32 s0, s14
	s_cvt_f32_u32 s4, s15
	s_sub_nc_u64 s[56:57], 0, s[14:15]
	v_add_nc_u64_e32 v[12:13], v[4:5], v[6:7]
	v_mov_b32_e32 v19, v2
	s_fmamk_f32 s0, s4, 0x4f800000, s0
	s_delay_alu instid0(SALU_CYCLE_3) | instskip(NEXT) | instid1(VALU_DEP_2)
	v_s_rcp_f32 s0, s0
	v_xor_b32_e32 v14, v12, v6
	s_delay_alu instid0(VALU_DEP_3) | instskip(NEXT) | instid1(TRANS32_DEP_1)
	v_xor_b32_e32 v18, v13, v6
	s_mul_f32 s0, s0, 0x5f7ffffc
	s_delay_alu instid0(SALU_CYCLE_3) | instskip(NEXT) | instid1(SALU_CYCLE_3)
	s_mul_f32 s4, s0, 0x2f800000
	s_trunc_f32 s4, s4
	s_delay_alu instid0(SALU_CYCLE_3) | instskip(SKIP_1) | instid1(SALU_CYCLE_2)
	s_fmamk_f32 s0, s4, 0xcf800000, s0
	s_cvt_u32_f32 s31, s4
	s_cvt_u32_f32 s30, s0
	s_delay_alu instid0(SALU_CYCLE_3) | instskip(NEXT) | instid1(SALU_CYCLE_1)
	s_mul_u64 s[58:59], s[56:57], s[30:31]
	s_mul_hi_u32 s63, s30, s59
	s_mul_i32 s62, s30, s59
	s_mul_hi_u32 s4, s30, s58
	s_mul_i32 s13, s31, s58
	s_add_nc_u64 s[62:63], s[4:5], s[62:63]
	s_mul_hi_u32 s0, s31, s58
	s_mul_hi_u32 s27, s31, s59
	s_add_co_u32 s4, s62, s13
	s_add_co_ci_u32 s4, s63, s0
	s_mul_i32 s58, s31, s59
	s_add_co_ci_u32 s59, s27, 0
	s_delay_alu instid0(SALU_CYCLE_1) | instskip(NEXT) | instid1(SALU_CYCLE_1)
	s_add_nc_u64 s[58:59], s[4:5], s[58:59]
	s_add_co_u32 s30, s30, s58
	s_cselect_b32 s0, -1, 0
	s_delay_alu instid0(SALU_CYCLE_1) | instskip(SKIP_1) | instid1(SALU_CYCLE_1)
	s_cmp_lg_u32 s0, 0
	s_add_co_ci_u32 s31, s31, s59
	s_mul_u64 s[56:57], s[56:57], s[30:31]
	s_delay_alu instid0(SALU_CYCLE_1)
	s_mul_hi_u32 s59, s30, s57
	s_mul_i32 s58, s30, s57
	s_mul_hi_u32 s4, s30, s56
	s_mul_i32 s13, s31, s56
	s_add_nc_u64 s[58:59], s[4:5], s[58:59]
	s_mul_hi_u32 s0, s31, s56
	s_mul_hi_u32 s27, s31, s57
	s_add_co_u32 s4, s58, s13
	s_add_co_ci_u32 s4, s59, s0
	s_mul_i32 s56, s31, s57
	s_add_co_ci_u32 s57, s27, 0
	s_delay_alu instid0(SALU_CYCLE_1) | instskip(NEXT) | instid1(SALU_CYCLE_1)
	s_add_nc_u64 s[56:57], s[4:5], s[56:57]
	s_add_co_u32 s0, s30, s56
	s_cselect_b32 s4, -1, 0
	v_mul_hi_u32 v22, v14, s0
	s_cmp_lg_u32 s4, 0
	s_add_co_ci_u32 s4, s31, s57
	s_and_b64 s[30:31], s[0:1], s[6:7]
	v_mul_u64_e32 v[16:17], s[4:5], v[14:15]
	v_mul_u64_e32 v[12:13], s[30:31], v[18:19]
	;; [unrolled: 1-line block ×3, first 2 shown]
	s_delay_alu instid0(VALU_DEP_3) | instskip(NEXT) | instid1(VALU_DEP_1)
	v_add_nc_u64_e32 v[16:17], v[22:23], v[16:17]
	v_add_co_u32 v3, vcc_lo, v16, v12
	s_delay_alu instid0(VALU_DEP_2) | instskip(NEXT) | instid1(VALU_DEP_4)
	v_add_co_ci_u32_e32 v22, vcc_lo, v17, v13, vcc_lo
	v_add_co_ci_u32_e32 v21, vcc_lo, 0, v21, vcc_lo
	s_delay_alu instid0(VALU_DEP_1) | instskip(NEXT) | instid1(VALU_DEP_1)
	v_add_nc_u64_e32 v[12:13], v[22:23], v[20:21]
	v_mul_u64_e32 v[16:17], s[14:15], v[12:13]
	s_delay_alu instid0(VALU_DEP_1) | instskip(NEXT) | instid1(VALU_DEP_2)
	v_sub_nc_u32_e32 v3, v18, v17
	v_sub_co_u32 v7, vcc_lo, v14, v16
	s_delay_alu instid0(VALU_DEP_1) | instskip(NEXT) | instid1(VALU_DEP_3)
	v_sub_co_ci_u32_e64 v18, null, v18, v17, vcc_lo
	v_subrev_co_ci_u32_e64 v3, null, s15, v3, vcc_lo
	s_delay_alu instid0(VALU_DEP_3) | instskip(SKIP_1) | instid1(VALU_DEP_3)
	v_sub_co_u32 v14, s0, v7, s14
	v_add_nc_u64_e32 v[16:17], 1, v[12:13]
	v_subrev_co_ci_u32_e64 v3, null, 0, v3, s0
	s_delay_alu instid0(VALU_DEP_3) | instskip(SKIP_1) | instid1(VALU_DEP_3)
	v_cmp_le_u32_e32 vcc_lo, s14, v14
	v_cndmask_b32_e64 v14, 0, -1, vcc_lo
	v_cmp_le_u32_e32 vcc_lo, s15, v3
	v_cndmask_b32_e64 v15, 0, -1, vcc_lo
	;; [unrolled: 2-line block ×4, first 2 shown]
	v_cmp_eq_u32_e32 vcc_lo, s15, v3
	v_cndmask_b32_e32 v3, v15, v14, vcc_lo
	v_cmp_eq_u32_e32 vcc_lo, s15, v18
	v_add_nc_u64_e32 v[14:15], 2, v[12:13]
	v_cndmask_b32_e32 v7, v19, v7, vcc_lo
	s_delay_alu instid0(VALU_DEP_4) | instskip(NEXT) | instid1(VALU_DEP_2)
	v_cmp_ne_u32_e32 vcc_lo, 0, v3
	v_cmp_ne_u32_e64 s0, 0, v7
	s_delay_alu instid0(VALU_DEP_4) | instskip(NEXT) | instid1(VALU_DEP_1)
	v_dual_cndmask_b32 v3, v17, v15, vcc_lo :: v_dual_cndmask_b32 v7, v16, v14, vcc_lo
	v_dual_cndmask_b32 v3, v13, v3, s0 :: v_dual_bitop2_b32 v6, s12, v6 bitop3:0x14
	s_delay_alu instid0(VALU_DEP_1) | instskip(NEXT) | instid1(VALU_DEP_2)
	v_dual_cndmask_b32 v12, v12, v7, s0 :: v_dual_mov_b32 v7, v6
	v_xor_b32_e32 v13, v3, v6
	s_delay_alu instid0(VALU_DEP_2) | instskip(NEXT) | instid1(VALU_DEP_1)
	v_xor_b32_e32 v12, v12, v6
	v_sub_nc_u64_e32 v[6:7], v[12:13], v[6:7]
.LBB94_5659:                            ;   in Loop: Header=BB94_5657 Depth=1
	s_and_not1_saveexec_b32 s0, s26
	s_cbranch_execz .LBB94_5656
; %bb.5660:                             ;   in Loop: Header=BB94_5657 Depth=1
	v_cvt_f32_u32_e32 v3, s10
	s_sub_co_i32 s4, 0, s10
	s_delay_alu instid0(VALU_DEP_1) | instskip(SKIP_1) | instid1(TRANS32_DEP_1)
	v_rcp_iflag_f32_e32 v3, v3
	v_nop
	v_mul_f32_e32 v3, 0x4f7ffffe, v3
	s_delay_alu instid0(VALU_DEP_1) | instskip(NEXT) | instid1(VALU_DEP_1)
	v_cvt_u32_f32_e32 v3, v3
	v_mul_lo_u32 v6, s4, v3
	s_delay_alu instid0(VALU_DEP_1) | instskip(NEXT) | instid1(VALU_DEP_1)
	v_mul_hi_u32 v6, v3, v6
	v_add_nc_u32_e32 v3, v3, v6
	s_delay_alu instid0(VALU_DEP_1) | instskip(NEXT) | instid1(VALU_DEP_1)
	v_mul_hi_u32 v3, v4, v3
	v_mul_lo_u32 v6, v3, s10
	s_delay_alu instid0(VALU_DEP_1) | instskip(NEXT) | instid1(VALU_DEP_1)
	v_dual_add_nc_u32 v7, 1, v3 :: v_dual_sub_nc_u32 v6, v4, v6
	v_subrev_nc_u32_e32 v12, s10, v6
	v_cmp_le_u32_e32 vcc_lo, s10, v6
	s_delay_alu instid0(VALU_DEP_2) | instskip(NEXT) | instid1(VALU_DEP_1)
	v_dual_cndmask_b32 v6, v6, v12 :: v_dual_cndmask_b32 v3, v3, v7
	v_cmp_le_u32_e32 vcc_lo, s10, v6
	s_delay_alu instid0(VALU_DEP_2) | instskip(NEXT) | instid1(VALU_DEP_1)
	v_add_nc_u32_e32 v7, 1, v3
	v_dual_cndmask_b32 v6, v3, v7 :: v_dual_mov_b32 v7, v2
	s_branch .LBB94_5656
.LBB94_5661:
	s_or_b32 exec_lo, exec_lo, s25
	s_mov_b32 s8, -1
	s_mov_b32 s4, s16
	s_mov_b32 s0, exec_lo
	v_cmpx_gt_i64_e64 v[10:11], v[8:9]
	s_cbranch_execz .LBB94_5668
; %bb.5662:
	s_delay_alu instid0(VALU_DEP_2) | instskip(SKIP_2) | instid1(VALU_DEP_1)
	v_lshlrev_b64_e32 v[0:1], 3, v[0:1]
	s_mov_b32 s5, 0
	s_xor_b32 s6, s46, -1
                                        ; implicit-def: $sgpr4
                                        ; implicit-def: $sgpr8
                                        ; implicit-def: $sgpr7
	v_lshl_add_u64 v[2:3], v[8:9], 3, v[0:1]
	s_wait_kmcnt 0x0
	v_add_nc_u64_e32 v[4:5], s[18:19], v[0:1]
	s_delay_alu instid0(VALU_DEP_2) | instskip(NEXT) | instid1(VALU_DEP_1)
	v_add_nc_u64_e32 v[2:3], s[18:19], v[2:3]
	v_add_nc_u64_e32 v[0:1], 8, v[2:3]
	s_delay_alu instid0(VALU_DEP_3)
	v_lshl_add_u64 v[2:3], v[10:11], 3, v[4:5]
	s_branch .LBB94_5664
.LBB94_5663:                            ;   in Loop: Header=BB94_5664 Depth=1
	s_or_b32 exec_lo, exec_lo, s9
	s_xor_b32 s9, s7, -1
	s_and_b32 s10, exec_lo, s8
	s_delay_alu instid0(SALU_CYCLE_1) | instskip(SKIP_2) | instid1(SALU_CYCLE_1)
	s_or_b32 s5, s10, s5
	s_and_not1_b32 s4, s4, exec_lo
	s_and_b32 s9, s9, exec_lo
	s_or_b32 s4, s4, s9
	s_and_not1_b32 exec_lo, exec_lo, s5
	s_cbranch_execz .LBB94_5666
.LBB94_5664:                            ; =>This Inner Loop Header: Depth=1
	s_or_b32 s7, s7, exec_lo
	s_or_b32 s8, s8, exec_lo
	s_mov_b32 s9, exec_lo
	s_delay_alu instid0(VALU_DEP_2)
	v_cmpx_lt_u64_e64 v[0:1], v[2:3]
	s_cbranch_execz .LBB94_5663
; %bb.5665:                             ;   in Loop: Header=BB94_5664 Depth=1
	global_load_b128 v[4:7], v[0:1], off offset:-8
	s_wait_xcnt 0x0
	v_add_nc_u64_e32 v[0:1], 8, v[0:1]
	s_and_not1_b32 s8, s8, exec_lo
	s_and_not1_b32 s7, s7, exec_lo
	s_wait_loadcnt 0x0
	v_cmp_ge_i64_e32 vcc_lo, v[4:5], v[6:7]
	s_or_b32 s10, s6, vcc_lo
	s_delay_alu instid0(SALU_CYCLE_1) | instskip(NEXT) | instid1(SALU_CYCLE_1)
	s_and_b32 s10, s10, exec_lo
	s_or_b32 s8, s8, s10
	s_branch .LBB94_5663
.LBB94_5666:
	s_or_b32 exec_lo, exec_lo, s5
	s_mov_b32 s5, -1
	s_mov_b32 s6, s16
	s_and_saveexec_b32 s7, s4
	s_delay_alu instid0(SALU_CYCLE_1)
	s_xor_b32 s4, exec_lo, s7
	s_cbranch_execnz .LBB94_5990
.LBB94_5667:
	s_or_b32 exec_lo, exec_lo, s4
	s_delay_alu instid0(SALU_CYCLE_1)
	s_and_not1_b32 s4, s16, exec_lo
	s_and_b32 s6, s6, exec_lo
	s_or_not1_b32 s8, s5, exec_lo
	s_or_b32 s4, s4, s6
.LBB94_5668:
	s_or_b32 exec_lo, exec_lo, s0
	s_mov_b32 s6, 0
	s_mov_b32 s7, 0
                                        ; implicit-def: $vgpr20_vgpr21
                                        ; implicit-def: $sgpr0
	s_and_saveexec_b32 s5, s8
	s_cbranch_execz .LBB94_5985
; %bb.5669:
	s_load_b32 s0, s[28:29], 0xf0
	v_mul_lo_u32 v0, s33, v26
	s_delay_alu instid0(VALU_DEP_1) | instskip(NEXT) | instid1(VALU_DEP_1)
	v_ashrrev_i32_e32 v1, 31, v0
	v_add_nc_u64_e32 v[2:3], s[2:3], v[0:1]
	s_wait_kmcnt 0x0
	s_and_b32 s0, s0, 0xff
	s_delay_alu instid0(SALU_CYCLE_1)
	s_cmp_lt_i32 s0, 11
	s_cbranch_scc1 .LBB94_5718
; %bb.5670:
	s_and_b32 s6, 0xffff, s0
	s_mov_b32 s10, -1
	s_mov_b32 s9, 0
	s_cmp_gt_i32 s6, 25
	s_mov_b32 s8, 0
	s_cbranch_scc0 .LBB94_5695
; %bb.5671:
	s_cmp_gt_i32 s6, 28
	s_cbranch_scc0 .LBB94_5684
; %bb.5672:
	s_cmp_gt_i32 s6, 43
	;; [unrolled: 3-line block ×3, first 2 shown]
	s_cbranch_scc0 .LBB94_5676
; %bb.5674:
	s_mov_b32 s7, -1
	s_mov_b32 s10, 0
	s_cmp_eq_u32 s6, 46
	s_cbranch_scc0 .LBB94_5676
; %bb.5675:
	v_mov_b32_e32 v1, 0
	s_mov_b32 s7, 0
	s_mov_b32 s8, -1
	global_store_b32 v[2:3], v1, off
.LBB94_5676:
	s_and_b32 vcc_lo, exec_lo, s10
	s_cbranch_vccz .LBB94_5679
; %bb.5677:
	s_cmp_eq_u32 s6, 44
	s_mov_b32 s7, -1
	s_cbranch_scc0 .LBB94_5679
; %bb.5678:
	s_wait_xcnt 0x0
	v_mov_b32_e32 v1, 0
	s_mov_b32 s7, 0
	s_mov_b32 s8, -1
	global_store_b8 v[2:3], v1, off
.LBB94_5679:
	s_mov_b32 s10, 0
.LBB94_5680:
	s_delay_alu instid0(SALU_CYCLE_1)
	s_and_b32 vcc_lo, exec_lo, s10
	s_cbranch_vccz .LBB94_5683
; %bb.5681:
	s_cmp_eq_u32 s6, 29
	s_mov_b32 s7, -1
	s_cbranch_scc0 .LBB94_5683
; %bb.5682:
	v_mov_b64_e32 v[4:5], 0
	s_mov_b32 s7, 0
	s_mov_b32 s8, -1
	global_store_b64 v[2:3], v[4:5], off
.LBB94_5683:
	s_mov_b32 s10, 0
.LBB94_5684:
	s_delay_alu instid0(SALU_CYCLE_1)
	s_and_b32 vcc_lo, exec_lo, s10
	s_cbranch_vccz .LBB94_5694
; %bb.5685:
	s_cmp_lt_i32 s6, 27
	s_mov_b32 s8, -1
	s_cbranch_scc1 .LBB94_5691
; %bb.5686:
	s_cmp_gt_i32 s6, 27
	s_cbranch_scc0 .LBB94_5688
; %bb.5687:
	s_wait_xcnt 0x0
	v_mov_b32_e32 v1, 0
	s_mov_b32 s8, 0
	global_store_b32 v[2:3], v1, off
.LBB94_5688:
	s_and_not1_b32 vcc_lo, exec_lo, s8
	s_cbranch_vccnz .LBB94_5690
; %bb.5689:
	s_wait_xcnt 0x0
	v_mov_b32_e32 v1, 0
	global_store_b16 v[2:3], v1, off
.LBB94_5690:
	s_mov_b32 s8, 0
.LBB94_5691:
	s_delay_alu instid0(SALU_CYCLE_1)
	s_and_not1_b32 vcc_lo, exec_lo, s8
	s_cbranch_vccnz .LBB94_5693
; %bb.5692:
	s_wait_xcnt 0x0
	v_mov_b32_e32 v1, 0
	global_store_b8 v[2:3], v1, off
.LBB94_5693:
	s_mov_b32 s8, -1
.LBB94_5694:
	s_mov_b32 s10, 0
.LBB94_5695:
	s_delay_alu instid0(SALU_CYCLE_1)
	s_and_b32 vcc_lo, exec_lo, s10
	s_cbranch_vccz .LBB94_5713
; %bb.5696:
	s_cmp_gt_i32 s6, 22
	s_mov_b32 s9, -1
	s_cbranch_scc0 .LBB94_5706
; %bb.5697:
	s_cmp_lt_i32 s6, 24
	s_mov_b32 s8, -1
	s_cbranch_scc1 .LBB94_5703
; %bb.5698:
	s_cmp_gt_i32 s6, 24
	s_cbranch_scc0 .LBB94_5700
; %bb.5699:
	s_wait_xcnt 0x0
	v_mov_b32_e32 v1, 0
	s_mov_b32 s8, 0
	global_store_b8 v[2:3], v1, off
.LBB94_5700:
	s_and_not1_b32 vcc_lo, exec_lo, s8
	s_cbranch_vccnz .LBB94_5702
; %bb.5701:
	s_wait_xcnt 0x0
	v_mov_b32_e32 v1, 0
	global_store_b8 v[2:3], v1, off
.LBB94_5702:
	s_mov_b32 s8, 0
.LBB94_5703:
	s_delay_alu instid0(SALU_CYCLE_1)
	s_and_not1_b32 vcc_lo, exec_lo, s8
	s_cbranch_vccnz .LBB94_5705
; %bb.5704:
	s_wait_xcnt 0x0
	v_mov_b32_e32 v1, 0
	global_store_b8 v[2:3], v1, off
.LBB94_5705:
	s_mov_b32 s9, 0
	s_mov_b32 s8, -1
.LBB94_5706:
	s_and_not1_b32 vcc_lo, exec_lo, s9
	s_mov_b32 s9, 0
	s_cbranch_vccnz .LBB94_5713
; %bb.5707:
	s_cmp_gt_i32 s6, 14
	s_mov_b32 s9, -1
	s_cbranch_scc0 .LBB94_5711
; %bb.5708:
	s_cmp_eq_u32 s6, 15
	s_mov_b32 s7, -1
	s_cbranch_scc0 .LBB94_5710
; %bb.5709:
	s_wait_xcnt 0x0
	v_mov_b32_e32 v1, 0
	s_mov_b32 s7, 0
	s_mov_b32 s8, -1
	global_store_b16 v[2:3], v1, off
.LBB94_5710:
	s_mov_b32 s9, 0
.LBB94_5711:
	s_delay_alu instid0(SALU_CYCLE_1)
	s_and_b32 vcc_lo, exec_lo, s9
	s_mov_b32 s9, 0
	s_cbranch_vccz .LBB94_5713
; %bb.5712:
	s_cmp_lg_u32 s6, 11
	s_mov_b32 s9, -1
	s_cselect_b32 s7, -1, 0
.LBB94_5713:
	s_delay_alu instid0(SALU_CYCLE_1)
	s_and_b32 vcc_lo, exec_lo, s7
	s_mov_b32 s6, s4
	s_cbranch_vccnz .LBB94_5991
; %bb.5714:
	s_and_not1_b32 vcc_lo, exec_lo, s9
	s_cbranch_vccnz .LBB94_5716
.LBB94_5715:
	s_wait_xcnt 0x0
	v_mov_b32_e32 v1, 0
	s_mov_b32 s8, -1
	global_store_b8 v[2:3], v1, off
.LBB94_5716:
	s_mov_b32 s7, 0
	s_branch .LBB94_5719
.LBB94_5717:
	s_or_b32 s21, s21, exec_lo
	s_trap 2
	s_cbranch_execz .LBB94_5590
	s_branch .LBB94_5591
.LBB94_5718:
	s_mov_b32 s7, -1
	s_mov_b32 s8, 0
	s_mov_b32 s6, s4
.LBB94_5719:
	s_and_b32 vcc_lo, exec_lo, s7
	s_cbranch_vccz .LBB94_5758
; %bb.5720:
	s_and_b32 s7, 0xffff, s0
	s_mov_b32 s8, -1
	s_cmp_lt_i32 s7, 5
	s_cbranch_scc1 .LBB94_5741
; %bb.5721:
	s_cmp_lt_i32 s7, 8
	s_cbranch_scc1 .LBB94_5731
; %bb.5722:
	s_cmp_lt_i32 s7, 9
	s_cbranch_scc1 .LBB94_5728
; %bb.5723:
	s_cmp_gt_i32 s7, 9
	s_cbranch_scc0 .LBB94_5725
; %bb.5724:
	s_wait_xcnt 0x0
	v_mov_b32_e32 v4, 0
	s_mov_b32 s8, 0
	s_delay_alu instid0(VALU_DEP_1)
	v_dual_mov_b32 v5, v4 :: v_dual_mov_b32 v6, v4
	v_mov_b32_e32 v7, v4
	global_store_b128 v[2:3], v[4:7], off
.LBB94_5725:
	s_and_not1_b32 vcc_lo, exec_lo, s8
	s_cbranch_vccnz .LBB94_5727
; %bb.5726:
	s_wait_xcnt 0x0
	v_mov_b64_e32 v[4:5], 0
	global_store_b64 v[2:3], v[4:5], off
.LBB94_5727:
	s_mov_b32 s8, 0
.LBB94_5728:
	s_delay_alu instid0(SALU_CYCLE_1)
	s_and_not1_b32 vcc_lo, exec_lo, s8
	s_cbranch_vccnz .LBB94_5730
; %bb.5729:
	s_wait_xcnt 0x0
	v_mov_b32_e32 v1, 0
	global_store_b32 v[2:3], v1, off
.LBB94_5730:
	s_mov_b32 s8, 0
.LBB94_5731:
	s_delay_alu instid0(SALU_CYCLE_1)
	s_and_not1_b32 vcc_lo, exec_lo, s8
	s_cbranch_vccnz .LBB94_5740
; %bb.5732:
	s_cmp_lt_i32 s7, 6
	s_mov_b32 s8, -1
	s_cbranch_scc1 .LBB94_5738
; %bb.5733:
	s_cmp_gt_i32 s7, 6
	s_cbranch_scc0 .LBB94_5735
; %bb.5734:
	s_wait_xcnt 0x0
	v_mov_b64_e32 v[4:5], 0
	s_mov_b32 s8, 0
	global_store_b64 v[2:3], v[4:5], off
.LBB94_5735:
	s_and_not1_b32 vcc_lo, exec_lo, s8
	s_cbranch_vccnz .LBB94_5737
; %bb.5736:
	s_wait_xcnt 0x0
	v_mov_b32_e32 v1, 0
	global_store_b32 v[2:3], v1, off
.LBB94_5737:
	s_mov_b32 s8, 0
.LBB94_5738:
	s_delay_alu instid0(SALU_CYCLE_1)
	s_and_not1_b32 vcc_lo, exec_lo, s8
	s_cbranch_vccnz .LBB94_5740
; %bb.5739:
	s_wait_xcnt 0x0
	v_mov_b32_e32 v1, 0
	global_store_b16 v[2:3], v1, off
.LBB94_5740:
	s_mov_b32 s8, 0
.LBB94_5741:
	s_delay_alu instid0(SALU_CYCLE_1)
	s_and_not1_b32 vcc_lo, exec_lo, s8
	s_cbranch_vccnz .LBB94_5757
; %bb.5742:
	s_cmp_lt_i32 s7, 2
	s_mov_b32 s8, -1
	s_cbranch_scc1 .LBB94_5752
; %bb.5743:
	s_cmp_lt_i32 s7, 3
	s_cbranch_scc1 .LBB94_5749
; %bb.5744:
	s_cmp_gt_i32 s7, 3
	s_cbranch_scc0 .LBB94_5746
; %bb.5745:
	s_wait_xcnt 0x0
	v_mov_b64_e32 v[4:5], 0
	s_mov_b32 s8, 0
	global_store_b64 v[2:3], v[4:5], off
.LBB94_5746:
	s_and_not1_b32 vcc_lo, exec_lo, s8
	s_cbranch_vccnz .LBB94_5748
; %bb.5747:
	s_wait_xcnt 0x0
	v_mov_b32_e32 v1, 0
	global_store_b32 v[2:3], v1, off
.LBB94_5748:
	s_mov_b32 s8, 0
.LBB94_5749:
	s_delay_alu instid0(SALU_CYCLE_1)
	s_and_not1_b32 vcc_lo, exec_lo, s8
	s_cbranch_vccnz .LBB94_5751
; %bb.5750:
	s_wait_xcnt 0x0
	v_mov_b32_e32 v1, 0
	global_store_b16 v[2:3], v1, off
.LBB94_5751:
	s_mov_b32 s8, 0
.LBB94_5752:
	s_delay_alu instid0(SALU_CYCLE_1)
	s_and_not1_b32 vcc_lo, exec_lo, s8
	s_cbranch_vccnz .LBB94_5757
; %bb.5753:
	s_cmp_gt_i32 s7, 0
	s_mov_b32 s7, -1
	s_cbranch_scc0 .LBB94_5755
; %bb.5754:
	s_wait_xcnt 0x0
	v_mov_b32_e32 v1, 0
	s_mov_b32 s7, 0
	global_store_b8 v[2:3], v1, off
.LBB94_5755:
	s_and_not1_b32 vcc_lo, exec_lo, s7
	s_cbranch_vccnz .LBB94_5757
; %bb.5756:
	s_wait_xcnt 0x0
	v_mov_b32_e32 v1, 0
	global_store_b8 v[2:3], v1, off
.LBB94_5757:
	s_mov_b32 s8, -1
.LBB94_5758:
	s_delay_alu instid0(SALU_CYCLE_1)
	s_and_not1_b32 vcc_lo, exec_lo, s8
	s_cbranch_vccnz .LBB94_5983
; %bb.5759:
	s_lshl_b32 s8, s33, 7
	s_and_b32 s7, 0xffff, s0
	v_add_nc_u32_e32 v0, s8, v0
	s_cmp_lt_i32 s7, 11
	s_wait_xcnt 0x0
	s_delay_alu instid0(VALU_DEP_1) | instskip(NEXT) | instid1(VALU_DEP_1)
	v_ashrrev_i32_e32 v1, 31, v0
	v_add_nc_u64_e32 v[2:3], s[2:3], v[0:1]
	s_cbranch_scc1 .LBB94_5807
; %bb.5760:
	s_mov_b32 s12, -1
	s_mov_b32 s11, 0
	s_cmp_gt_i32 s7, 25
	s_mov_b32 s10, 0
	s_mov_b32 s9, 0
	s_cbranch_scc0 .LBB94_5785
; %bb.5761:
	s_cmp_gt_i32 s7, 28
	s_cbranch_scc0 .LBB94_5774
; %bb.5762:
	s_cmp_gt_i32 s7, 43
	s_cbranch_scc0 .LBB94_5770
; %bb.5763:
	s_cmp_gt_i32 s7, 45
	s_cbranch_scc0 .LBB94_5766
; %bb.5764:
	s_mov_b32 s9, -1
	s_mov_b32 s12, 0
	s_cmp_eq_u32 s7, 46
	s_cbranch_scc0 .LBB94_5766
; %bb.5765:
	v_mov_b32_e32 v1, 0
	s_mov_b32 s9, 0
	s_mov_b32 s10, -1
	global_store_b32 v[2:3], v1, off
.LBB94_5766:
	s_and_b32 vcc_lo, exec_lo, s12
	s_cbranch_vccz .LBB94_5769
; %bb.5767:
	s_cmp_eq_u32 s7, 44
	s_mov_b32 s9, -1
	s_cbranch_scc0 .LBB94_5769
; %bb.5768:
	s_wait_xcnt 0x0
	v_mov_b32_e32 v1, 0
	s_mov_b32 s9, 0
	s_mov_b32 s10, -1
	global_store_b8 v[2:3], v1, off
.LBB94_5769:
	s_mov_b32 s12, 0
.LBB94_5770:
	s_delay_alu instid0(SALU_CYCLE_1)
	s_and_b32 vcc_lo, exec_lo, s12
	s_cbranch_vccz .LBB94_5773
; %bb.5771:
	s_cmp_eq_u32 s7, 29
	s_mov_b32 s9, -1
	s_cbranch_scc0 .LBB94_5773
; %bb.5772:
	v_mov_b64_e32 v[4:5], 0
	s_mov_b32 s9, 0
	s_mov_b32 s10, -1
	global_store_b64 v[2:3], v[4:5], off
.LBB94_5773:
	s_mov_b32 s12, 0
.LBB94_5774:
	s_delay_alu instid0(SALU_CYCLE_1)
	s_and_b32 vcc_lo, exec_lo, s12
	s_cbranch_vccz .LBB94_5784
; %bb.5775:
	s_cmp_lt_i32 s7, 27
	s_mov_b32 s10, -1
	s_cbranch_scc1 .LBB94_5781
; %bb.5776:
	s_cmp_gt_i32 s7, 27
	s_cbranch_scc0 .LBB94_5778
; %bb.5777:
	s_wait_xcnt 0x0
	v_mov_b32_e32 v1, 0
	s_mov_b32 s10, 0
	global_store_b32 v[2:3], v1, off
.LBB94_5778:
	s_and_not1_b32 vcc_lo, exec_lo, s10
	s_cbranch_vccnz .LBB94_5780
; %bb.5779:
	s_wait_xcnt 0x0
	v_mov_b32_e32 v1, 0
	global_store_b16 v[2:3], v1, off
.LBB94_5780:
	s_mov_b32 s10, 0
.LBB94_5781:
	s_delay_alu instid0(SALU_CYCLE_1)
	s_and_not1_b32 vcc_lo, exec_lo, s10
	s_cbranch_vccnz .LBB94_5783
; %bb.5782:
	s_wait_xcnt 0x0
	v_mov_b32_e32 v1, 0
	global_store_b8 v[2:3], v1, off
.LBB94_5783:
	s_mov_b32 s10, -1
.LBB94_5784:
	s_mov_b32 s12, 0
.LBB94_5785:
	s_delay_alu instid0(SALU_CYCLE_1)
	s_and_b32 vcc_lo, exec_lo, s12
	s_cbranch_vccz .LBB94_5803
; %bb.5786:
	s_cmp_gt_i32 s7, 22
	s_mov_b32 s11, -1
	s_cbranch_scc0 .LBB94_5796
; %bb.5787:
	s_cmp_lt_i32 s7, 24
	s_mov_b32 s10, -1
	s_cbranch_scc1 .LBB94_5793
; %bb.5788:
	s_cmp_gt_i32 s7, 24
	s_cbranch_scc0 .LBB94_5790
; %bb.5789:
	s_wait_xcnt 0x0
	v_mov_b32_e32 v1, 0
	s_mov_b32 s10, 0
	global_store_b8 v[2:3], v1, off
.LBB94_5790:
	s_and_not1_b32 vcc_lo, exec_lo, s10
	s_cbranch_vccnz .LBB94_5792
; %bb.5791:
	s_wait_xcnt 0x0
	v_mov_b32_e32 v1, 0
	global_store_b8 v[2:3], v1, off
.LBB94_5792:
	s_mov_b32 s10, 0
.LBB94_5793:
	s_delay_alu instid0(SALU_CYCLE_1)
	s_and_not1_b32 vcc_lo, exec_lo, s10
	s_cbranch_vccnz .LBB94_5795
; %bb.5794:
	s_wait_xcnt 0x0
	v_mov_b32_e32 v1, 0
	global_store_b8 v[2:3], v1, off
.LBB94_5795:
	s_mov_b32 s11, 0
	s_mov_b32 s10, -1
.LBB94_5796:
	s_and_not1_b32 vcc_lo, exec_lo, s11
	s_mov_b32 s11, 0
	s_cbranch_vccnz .LBB94_5803
; %bb.5797:
	s_cmp_gt_i32 s7, 14
	s_mov_b32 s11, -1
	s_cbranch_scc0 .LBB94_5801
; %bb.5798:
	s_cmp_eq_u32 s7, 15
	s_mov_b32 s9, -1
	s_cbranch_scc0 .LBB94_5800
; %bb.5799:
	s_wait_xcnt 0x0
	v_mov_b32_e32 v1, 0
	s_mov_b32 s9, 0
	s_mov_b32 s10, -1
	global_store_b16 v[2:3], v1, off
.LBB94_5800:
	s_mov_b32 s11, 0
.LBB94_5801:
	s_delay_alu instid0(SALU_CYCLE_1)
	s_and_b32 vcc_lo, exec_lo, s11
	s_mov_b32 s11, 0
	s_cbranch_vccz .LBB94_5803
; %bb.5802:
	s_cmp_lg_u32 s7, 11
	s_mov_b32 s11, -1
	s_cselect_b32 s9, -1, 0
.LBB94_5803:
	s_delay_alu instid0(SALU_CYCLE_1)
	s_and_b32 vcc_lo, exec_lo, s9
	s_cbranch_vccnz .LBB94_5992
; %bb.5804:
	s_and_not1_b32 vcc_lo, exec_lo, s11
	s_cbranch_vccnz .LBB94_5806
.LBB94_5805:
	s_wait_xcnt 0x0
	v_mov_b32_e32 v1, 0
	s_mov_b32 s10, -1
	global_store_b8 v[2:3], v1, off
.LBB94_5806:
	s_mov_b32 s9, 0
	s_branch .LBB94_5808
.LBB94_5807:
	s_mov_b32 s9, -1
	s_mov_b32 s10, 0
.LBB94_5808:
	s_and_b32 vcc_lo, exec_lo, s9
	s_cbranch_vccz .LBB94_5847
; %bb.5809:
	s_cmp_lt_i32 s7, 5
	s_mov_b32 s9, -1
	s_cbranch_scc1 .LBB94_5830
; %bb.5810:
	s_cmp_lt_i32 s7, 8
	s_cbranch_scc1 .LBB94_5820
; %bb.5811:
	s_cmp_lt_i32 s7, 9
	s_cbranch_scc1 .LBB94_5817
; %bb.5812:
	s_cmp_gt_i32 s7, 9
	s_cbranch_scc0 .LBB94_5814
; %bb.5813:
	s_wait_xcnt 0x0
	v_mov_b32_e32 v4, 0
	s_mov_b32 s9, 0
	s_delay_alu instid0(VALU_DEP_1)
	v_dual_mov_b32 v5, v4 :: v_dual_mov_b32 v6, v4
	v_mov_b32_e32 v7, v4
	global_store_b128 v[2:3], v[4:7], off
.LBB94_5814:
	s_and_not1_b32 vcc_lo, exec_lo, s9
	s_cbranch_vccnz .LBB94_5816
; %bb.5815:
	s_wait_xcnt 0x0
	v_mov_b64_e32 v[4:5], 0
	global_store_b64 v[2:3], v[4:5], off
.LBB94_5816:
	s_mov_b32 s9, 0
.LBB94_5817:
	s_delay_alu instid0(SALU_CYCLE_1)
	s_and_not1_b32 vcc_lo, exec_lo, s9
	s_cbranch_vccnz .LBB94_5819
; %bb.5818:
	s_wait_xcnt 0x0
	v_mov_b32_e32 v1, 0
	global_store_b32 v[2:3], v1, off
.LBB94_5819:
	s_mov_b32 s9, 0
.LBB94_5820:
	s_delay_alu instid0(SALU_CYCLE_1)
	s_and_not1_b32 vcc_lo, exec_lo, s9
	s_cbranch_vccnz .LBB94_5829
; %bb.5821:
	s_cmp_lt_i32 s7, 6
	s_mov_b32 s9, -1
	s_cbranch_scc1 .LBB94_5827
; %bb.5822:
	s_cmp_gt_i32 s7, 6
	s_cbranch_scc0 .LBB94_5824
; %bb.5823:
	s_wait_xcnt 0x0
	v_mov_b64_e32 v[4:5], 0
	s_mov_b32 s9, 0
	global_store_b64 v[2:3], v[4:5], off
.LBB94_5824:
	s_and_not1_b32 vcc_lo, exec_lo, s9
	s_cbranch_vccnz .LBB94_5826
; %bb.5825:
	s_wait_xcnt 0x0
	v_mov_b32_e32 v1, 0
	global_store_b32 v[2:3], v1, off
.LBB94_5826:
	s_mov_b32 s9, 0
.LBB94_5827:
	s_delay_alu instid0(SALU_CYCLE_1)
	s_and_not1_b32 vcc_lo, exec_lo, s9
	s_cbranch_vccnz .LBB94_5829
; %bb.5828:
	s_wait_xcnt 0x0
	v_mov_b32_e32 v1, 0
	global_store_b16 v[2:3], v1, off
.LBB94_5829:
	s_mov_b32 s9, 0
.LBB94_5830:
	s_delay_alu instid0(SALU_CYCLE_1)
	s_and_not1_b32 vcc_lo, exec_lo, s9
	s_cbranch_vccnz .LBB94_5846
; %bb.5831:
	s_cmp_lt_i32 s7, 2
	s_mov_b32 s9, -1
	s_cbranch_scc1 .LBB94_5841
; %bb.5832:
	s_cmp_lt_i32 s7, 3
	s_cbranch_scc1 .LBB94_5838
; %bb.5833:
	s_cmp_gt_i32 s7, 3
	s_cbranch_scc0 .LBB94_5835
; %bb.5834:
	s_wait_xcnt 0x0
	v_mov_b64_e32 v[4:5], 0
	s_mov_b32 s9, 0
	global_store_b64 v[2:3], v[4:5], off
.LBB94_5835:
	s_and_not1_b32 vcc_lo, exec_lo, s9
	s_cbranch_vccnz .LBB94_5837
; %bb.5836:
	s_wait_xcnt 0x0
	v_mov_b32_e32 v1, 0
	global_store_b32 v[2:3], v1, off
.LBB94_5837:
	s_mov_b32 s9, 0
.LBB94_5838:
	s_delay_alu instid0(SALU_CYCLE_1)
	s_and_not1_b32 vcc_lo, exec_lo, s9
	s_cbranch_vccnz .LBB94_5840
; %bb.5839:
	s_wait_xcnt 0x0
	v_mov_b32_e32 v1, 0
	global_store_b16 v[2:3], v1, off
.LBB94_5840:
	s_mov_b32 s9, 0
.LBB94_5841:
	s_delay_alu instid0(SALU_CYCLE_1)
	s_and_not1_b32 vcc_lo, exec_lo, s9
	s_cbranch_vccnz .LBB94_5846
; %bb.5842:
	s_cmp_gt_i32 s7, 0
	s_mov_b32 s9, -1
	s_cbranch_scc0 .LBB94_5844
; %bb.5843:
	s_wait_xcnt 0x0
	v_mov_b32_e32 v1, 0
	s_mov_b32 s9, 0
	global_store_b8 v[2:3], v1, off
.LBB94_5844:
	s_and_not1_b32 vcc_lo, exec_lo, s9
	s_cbranch_vccnz .LBB94_5846
; %bb.5845:
	s_wait_xcnt 0x0
	v_mov_b32_e32 v1, 0
	global_store_b8 v[2:3], v1, off
.LBB94_5846:
	s_mov_b32 s10, -1
.LBB94_5847:
	s_delay_alu instid0(SALU_CYCLE_1)
	s_and_not1_b32 vcc_lo, exec_lo, s10
	s_cbranch_vccnz .LBB94_5983
; %bb.5848:
	v_add_nc_u32_e32 v0, s8, v0
	s_cmp_lt_i32 s7, 11
	s_wait_xcnt 0x0
	s_delay_alu instid0(VALU_DEP_1) | instskip(NEXT) | instid1(VALU_DEP_1)
	v_ashrrev_i32_e32 v1, 31, v0
	v_add_nc_u64_e32 v[2:3], s[2:3], v[0:1]
	s_cbranch_scc1 .LBB94_5896
; %bb.5849:
	s_mov_b32 s12, -1
	s_mov_b32 s11, 0
	s_cmp_gt_i32 s7, 25
	s_mov_b32 s10, 0
	s_mov_b32 s9, 0
	s_cbranch_scc0 .LBB94_5874
; %bb.5850:
	s_cmp_gt_i32 s7, 28
	s_cbranch_scc0 .LBB94_5863
; %bb.5851:
	s_cmp_gt_i32 s7, 43
	;; [unrolled: 3-line block ×3, first 2 shown]
	s_cbranch_scc0 .LBB94_5855
; %bb.5853:
	s_mov_b32 s9, -1
	s_mov_b32 s12, 0
	s_cmp_eq_u32 s7, 46
	s_cbranch_scc0 .LBB94_5855
; %bb.5854:
	v_mov_b32_e32 v1, 0
	s_mov_b32 s9, 0
	s_mov_b32 s10, -1
	global_store_b32 v[2:3], v1, off
.LBB94_5855:
	s_and_b32 vcc_lo, exec_lo, s12
	s_cbranch_vccz .LBB94_5858
; %bb.5856:
	s_cmp_eq_u32 s7, 44
	s_mov_b32 s9, -1
	s_cbranch_scc0 .LBB94_5858
; %bb.5857:
	s_wait_xcnt 0x0
	v_mov_b32_e32 v1, 0
	s_mov_b32 s9, 0
	s_mov_b32 s10, -1
	global_store_b8 v[2:3], v1, off
.LBB94_5858:
	s_mov_b32 s12, 0
.LBB94_5859:
	s_delay_alu instid0(SALU_CYCLE_1)
	s_and_b32 vcc_lo, exec_lo, s12
	s_cbranch_vccz .LBB94_5862
; %bb.5860:
	s_cmp_eq_u32 s7, 29
	s_mov_b32 s9, -1
	s_cbranch_scc0 .LBB94_5862
; %bb.5861:
	v_mov_b64_e32 v[4:5], 0
	s_mov_b32 s9, 0
	s_mov_b32 s10, -1
	global_store_b64 v[2:3], v[4:5], off
.LBB94_5862:
	s_mov_b32 s12, 0
.LBB94_5863:
	s_delay_alu instid0(SALU_CYCLE_1)
	s_and_b32 vcc_lo, exec_lo, s12
	s_cbranch_vccz .LBB94_5873
; %bb.5864:
	s_cmp_lt_i32 s7, 27
	s_mov_b32 s10, -1
	s_cbranch_scc1 .LBB94_5870
; %bb.5865:
	s_cmp_gt_i32 s7, 27
	s_cbranch_scc0 .LBB94_5867
; %bb.5866:
	s_wait_xcnt 0x0
	v_mov_b32_e32 v1, 0
	s_mov_b32 s10, 0
	global_store_b32 v[2:3], v1, off
.LBB94_5867:
	s_and_not1_b32 vcc_lo, exec_lo, s10
	s_cbranch_vccnz .LBB94_5869
; %bb.5868:
	s_wait_xcnt 0x0
	v_mov_b32_e32 v1, 0
	global_store_b16 v[2:3], v1, off
.LBB94_5869:
	s_mov_b32 s10, 0
.LBB94_5870:
	s_delay_alu instid0(SALU_CYCLE_1)
	s_and_not1_b32 vcc_lo, exec_lo, s10
	s_cbranch_vccnz .LBB94_5872
; %bb.5871:
	s_wait_xcnt 0x0
	v_mov_b32_e32 v1, 0
	global_store_b8 v[2:3], v1, off
.LBB94_5872:
	s_mov_b32 s10, -1
.LBB94_5873:
	s_mov_b32 s12, 0
.LBB94_5874:
	s_delay_alu instid0(SALU_CYCLE_1)
	s_and_b32 vcc_lo, exec_lo, s12
	s_cbranch_vccz .LBB94_5892
; %bb.5875:
	s_cmp_gt_i32 s7, 22
	s_mov_b32 s11, -1
	s_cbranch_scc0 .LBB94_5885
; %bb.5876:
	s_cmp_lt_i32 s7, 24
	s_mov_b32 s10, -1
	s_cbranch_scc1 .LBB94_5882
; %bb.5877:
	s_cmp_gt_i32 s7, 24
	s_cbranch_scc0 .LBB94_5879
; %bb.5878:
	s_wait_xcnt 0x0
	v_mov_b32_e32 v1, 0
	s_mov_b32 s10, 0
	global_store_b8 v[2:3], v1, off
.LBB94_5879:
	s_and_not1_b32 vcc_lo, exec_lo, s10
	s_cbranch_vccnz .LBB94_5881
; %bb.5880:
	s_wait_xcnt 0x0
	v_mov_b32_e32 v1, 0
	global_store_b8 v[2:3], v1, off
.LBB94_5881:
	s_mov_b32 s10, 0
.LBB94_5882:
	s_delay_alu instid0(SALU_CYCLE_1)
	s_and_not1_b32 vcc_lo, exec_lo, s10
	s_cbranch_vccnz .LBB94_5884
; %bb.5883:
	s_wait_xcnt 0x0
	v_mov_b32_e32 v1, 0
	global_store_b8 v[2:3], v1, off
.LBB94_5884:
	s_mov_b32 s11, 0
	s_mov_b32 s10, -1
.LBB94_5885:
	s_and_not1_b32 vcc_lo, exec_lo, s11
	s_mov_b32 s11, 0
	s_cbranch_vccnz .LBB94_5892
; %bb.5886:
	s_cmp_gt_i32 s7, 14
	s_mov_b32 s11, -1
	s_cbranch_scc0 .LBB94_5890
; %bb.5887:
	s_cmp_eq_u32 s7, 15
	s_mov_b32 s9, -1
	s_cbranch_scc0 .LBB94_5889
; %bb.5888:
	s_wait_xcnt 0x0
	v_mov_b32_e32 v1, 0
	s_mov_b32 s9, 0
	s_mov_b32 s10, -1
	global_store_b16 v[2:3], v1, off
.LBB94_5889:
	s_mov_b32 s11, 0
.LBB94_5890:
	s_delay_alu instid0(SALU_CYCLE_1)
	s_and_b32 vcc_lo, exec_lo, s11
	s_mov_b32 s11, 0
	s_cbranch_vccz .LBB94_5892
; %bb.5891:
	s_cmp_lg_u32 s7, 11
	s_mov_b32 s11, -1
	s_cselect_b32 s9, -1, 0
.LBB94_5892:
	s_delay_alu instid0(SALU_CYCLE_1)
	s_and_b32 vcc_lo, exec_lo, s9
	s_cbranch_vccnz .LBB94_5994
; %bb.5893:
	s_and_not1_b32 vcc_lo, exec_lo, s11
	s_cbranch_vccnz .LBB94_5895
.LBB94_5894:
	s_wait_xcnt 0x0
	v_mov_b32_e32 v1, 0
	s_mov_b32 s10, -1
	global_store_b8 v[2:3], v1, off
.LBB94_5895:
	s_mov_b32 s9, 0
	s_branch .LBB94_5897
.LBB94_5896:
	s_mov_b32 s9, -1
	s_mov_b32 s10, 0
.LBB94_5897:
	s_and_b32 vcc_lo, exec_lo, s9
	s_cbranch_vccz .LBB94_5936
; %bb.5898:
	s_cmp_lt_i32 s7, 5
	s_mov_b32 s9, -1
	s_cbranch_scc1 .LBB94_5919
; %bb.5899:
	s_cmp_lt_i32 s7, 8
	s_cbranch_scc1 .LBB94_5909
; %bb.5900:
	s_cmp_lt_i32 s7, 9
	s_cbranch_scc1 .LBB94_5906
; %bb.5901:
	s_cmp_gt_i32 s7, 9
	s_cbranch_scc0 .LBB94_5903
; %bb.5902:
	s_wait_xcnt 0x0
	v_mov_b32_e32 v4, 0
	s_mov_b32 s9, 0
	s_delay_alu instid0(VALU_DEP_1)
	v_dual_mov_b32 v5, v4 :: v_dual_mov_b32 v6, v4
	v_mov_b32_e32 v7, v4
	global_store_b128 v[2:3], v[4:7], off
.LBB94_5903:
	s_and_not1_b32 vcc_lo, exec_lo, s9
	s_cbranch_vccnz .LBB94_5905
; %bb.5904:
	s_wait_xcnt 0x0
	v_mov_b64_e32 v[4:5], 0
	global_store_b64 v[2:3], v[4:5], off
.LBB94_5905:
	s_mov_b32 s9, 0
.LBB94_5906:
	s_delay_alu instid0(SALU_CYCLE_1)
	s_and_not1_b32 vcc_lo, exec_lo, s9
	s_cbranch_vccnz .LBB94_5908
; %bb.5907:
	s_wait_xcnt 0x0
	v_mov_b32_e32 v1, 0
	global_store_b32 v[2:3], v1, off
.LBB94_5908:
	s_mov_b32 s9, 0
.LBB94_5909:
	s_delay_alu instid0(SALU_CYCLE_1)
	s_and_not1_b32 vcc_lo, exec_lo, s9
	s_cbranch_vccnz .LBB94_5918
; %bb.5910:
	s_cmp_lt_i32 s7, 6
	s_mov_b32 s9, -1
	s_cbranch_scc1 .LBB94_5916
; %bb.5911:
	s_cmp_gt_i32 s7, 6
	s_cbranch_scc0 .LBB94_5913
; %bb.5912:
	s_wait_xcnt 0x0
	v_mov_b64_e32 v[4:5], 0
	s_mov_b32 s9, 0
	global_store_b64 v[2:3], v[4:5], off
.LBB94_5913:
	s_and_not1_b32 vcc_lo, exec_lo, s9
	s_cbranch_vccnz .LBB94_5915
; %bb.5914:
	s_wait_xcnt 0x0
	v_mov_b32_e32 v1, 0
	global_store_b32 v[2:3], v1, off
.LBB94_5915:
	s_mov_b32 s9, 0
.LBB94_5916:
	s_delay_alu instid0(SALU_CYCLE_1)
	s_and_not1_b32 vcc_lo, exec_lo, s9
	s_cbranch_vccnz .LBB94_5918
; %bb.5917:
	s_wait_xcnt 0x0
	v_mov_b32_e32 v1, 0
	global_store_b16 v[2:3], v1, off
.LBB94_5918:
	s_mov_b32 s9, 0
.LBB94_5919:
	s_delay_alu instid0(SALU_CYCLE_1)
	s_and_not1_b32 vcc_lo, exec_lo, s9
	s_cbranch_vccnz .LBB94_5935
; %bb.5920:
	s_cmp_lt_i32 s7, 2
	s_mov_b32 s9, -1
	s_cbranch_scc1 .LBB94_5930
; %bb.5921:
	s_cmp_lt_i32 s7, 3
	s_cbranch_scc1 .LBB94_5927
; %bb.5922:
	s_cmp_gt_i32 s7, 3
	s_cbranch_scc0 .LBB94_5924
; %bb.5923:
	s_wait_xcnt 0x0
	v_mov_b64_e32 v[4:5], 0
	s_mov_b32 s9, 0
	global_store_b64 v[2:3], v[4:5], off
.LBB94_5924:
	s_and_not1_b32 vcc_lo, exec_lo, s9
	s_cbranch_vccnz .LBB94_5926
; %bb.5925:
	s_wait_xcnt 0x0
	v_mov_b32_e32 v1, 0
	global_store_b32 v[2:3], v1, off
.LBB94_5926:
	s_mov_b32 s9, 0
.LBB94_5927:
	s_delay_alu instid0(SALU_CYCLE_1)
	s_and_not1_b32 vcc_lo, exec_lo, s9
	s_cbranch_vccnz .LBB94_5929
; %bb.5928:
	s_wait_xcnt 0x0
	v_mov_b32_e32 v1, 0
	global_store_b16 v[2:3], v1, off
.LBB94_5929:
	s_mov_b32 s9, 0
.LBB94_5930:
	s_delay_alu instid0(SALU_CYCLE_1)
	s_and_not1_b32 vcc_lo, exec_lo, s9
	s_cbranch_vccnz .LBB94_5935
; %bb.5931:
	s_cmp_gt_i32 s7, 0
	s_mov_b32 s9, -1
	s_cbranch_scc0 .LBB94_5933
; %bb.5932:
	s_wait_xcnt 0x0
	v_mov_b32_e32 v1, 0
	s_mov_b32 s9, 0
	global_store_b8 v[2:3], v1, off
.LBB94_5933:
	s_and_not1_b32 vcc_lo, exec_lo, s9
	s_cbranch_vccnz .LBB94_5935
; %bb.5934:
	s_wait_xcnt 0x0
	v_mov_b32_e32 v1, 0
	global_store_b8 v[2:3], v1, off
.LBB94_5935:
	s_mov_b32 s10, -1
.LBB94_5936:
	s_delay_alu instid0(SALU_CYCLE_1)
	s_and_not1_b32 vcc_lo, exec_lo, s10
	s_cbranch_vccnz .LBB94_5983
; %bb.5937:
	v_add_nc_u32_e32 v0, s8, v0
	s_cmp_lt_i32 s7, 11
	s_wait_xcnt 0x0
	s_delay_alu instid0(VALU_DEP_1) | instskip(NEXT) | instid1(VALU_DEP_1)
	v_ashrrev_i32_e32 v1, 31, v0
	v_add_nc_u64_e32 v[20:21], s[2:3], v[0:1]
	s_cbranch_scc1 .LBB94_5989
; %bb.5938:
	s_mov_b32 s8, -1
	s_mov_b32 s2, 0
	s_cmp_gt_i32 s7, 25
	s_mov_b32 s3, 0
	s_cbranch_scc0 .LBB94_5963
; %bb.5939:
	s_cmp_gt_i32 s7, 28
	s_cbranch_scc0 .LBB94_5953
; %bb.5940:
	s_cmp_gt_i32 s7, 43
	s_cbranch_scc0 .LBB94_5949
; %bb.5941:
	s_cmp_gt_i32 s7, 45
	s_cbranch_scc0 .LBB94_5945
; %bb.5942:
	s_cmp_eq_u32 s7, 46
	s_mov_b32 s3, -1
	s_cbranch_scc0 .LBB94_5944
; %bb.5943:
	v_mov_b32_e32 v0, 0
	s_mov_b32 s3, 0
	global_store_b32 v[20:21], v0, off
.LBB94_5944:
	s_mov_b32 s8, 0
.LBB94_5945:
	s_delay_alu instid0(SALU_CYCLE_1)
	s_and_b32 vcc_lo, exec_lo, s8
	s_cbranch_vccz .LBB94_5948
; %bb.5946:
	s_cmp_eq_u32 s7, 44
	s_mov_b32 s3, -1
	s_cbranch_scc0 .LBB94_5948
; %bb.5947:
	s_wait_xcnt 0x0
	v_mov_b32_e32 v0, 0
	s_mov_b32 s3, 0
	global_store_b8 v[20:21], v0, off
.LBB94_5948:
	s_mov_b32 s8, 0
.LBB94_5949:
	s_delay_alu instid0(SALU_CYCLE_1)
	s_and_b32 vcc_lo, exec_lo, s8
	s_cbranch_vccz .LBB94_5952
; %bb.5950:
	s_cmp_eq_u32 s7, 29
	s_mov_b32 s3, -1
	s_cbranch_scc0 .LBB94_5952
; %bb.5951:
	s_wait_xcnt 0x0
	v_mov_b64_e32 v[0:1], 0
	s_mov_b32 s3, 0
	global_store_b64 v[20:21], v[0:1], off
.LBB94_5952:
	s_mov_b32 s8, 0
.LBB94_5953:
	s_delay_alu instid0(SALU_CYCLE_1)
	s_and_b32 vcc_lo, exec_lo, s8
	s_cbranch_vccz .LBB94_5962
; %bb.5954:
	s_cmp_lt_i32 s7, 27
	s_mov_b32 s8, -1
	s_cbranch_scc1 .LBB94_5960
; %bb.5955:
	s_cmp_gt_i32 s7, 27
	s_cbranch_scc0 .LBB94_5957
; %bb.5956:
	s_wait_xcnt 0x0
	v_mov_b32_e32 v0, 0
	s_mov_b32 s8, 0
	global_store_b32 v[20:21], v0, off
.LBB94_5957:
	s_and_not1_b32 vcc_lo, exec_lo, s8
	s_cbranch_vccnz .LBB94_5959
; %bb.5958:
	s_wait_xcnt 0x0
	v_mov_b32_e32 v0, 0
	global_store_b16 v[20:21], v0, off
.LBB94_5959:
	s_mov_b32 s8, 0
.LBB94_5960:
	s_delay_alu instid0(SALU_CYCLE_1)
	s_and_not1_b32 vcc_lo, exec_lo, s8
	s_cbranch_vccnz .LBB94_5962
; %bb.5961:
	s_wait_xcnt 0x0
	v_mov_b32_e32 v0, 0
	global_store_b8 v[20:21], v0, off
.LBB94_5962:
	s_mov_b32 s8, 0
.LBB94_5963:
	s_delay_alu instid0(SALU_CYCLE_1)
	s_and_b32 vcc_lo, exec_lo, s8
	s_cbranch_vccz .LBB94_5981
; %bb.5964:
	s_cmp_gt_i32 s7, 22
	s_mov_b32 s2, -1
	s_cbranch_scc0 .LBB94_5974
; %bb.5965:
	s_cmp_lt_i32 s7, 24
	s_cbranch_scc1 .LBB94_5971
; %bb.5966:
	s_cmp_gt_i32 s7, 24
	s_cbranch_scc0 .LBB94_5968
; %bb.5967:
	s_wait_xcnt 0x0
	v_mov_b32_e32 v0, 0
	s_mov_b32 s2, 0
	global_store_b8 v[20:21], v0, off
.LBB94_5968:
	s_and_not1_b32 vcc_lo, exec_lo, s2
	s_cbranch_vccnz .LBB94_5970
; %bb.5969:
	s_wait_xcnt 0x0
	v_mov_b32_e32 v0, 0
	global_store_b8 v[20:21], v0, off
.LBB94_5970:
	s_mov_b32 s2, 0
.LBB94_5971:
	s_delay_alu instid0(SALU_CYCLE_1)
	s_and_not1_b32 vcc_lo, exec_lo, s2
	s_cbranch_vccnz .LBB94_5973
; %bb.5972:
	s_wait_xcnt 0x0
	v_mov_b32_e32 v0, 0
	global_store_b8 v[20:21], v0, off
.LBB94_5973:
	s_mov_b32 s2, 0
.LBB94_5974:
	s_delay_alu instid0(SALU_CYCLE_1)
	s_and_not1_b32 vcc_lo, exec_lo, s2
	s_mov_b32 s2, 0
	s_cbranch_vccnz .LBB94_5981
; %bb.5975:
	s_cmp_gt_i32 s7, 14
	s_mov_b32 s2, -1
	s_cbranch_scc0 .LBB94_5979
; %bb.5976:
	s_cmp_eq_u32 s7, 15
	s_mov_b32 s3, -1
	s_cbranch_scc0 .LBB94_5978
; %bb.5977:
	s_wait_xcnt 0x0
	v_mov_b32_e32 v0, 0
	s_mov_b32 s3, 0
	global_store_b16 v[20:21], v0, off
.LBB94_5978:
	s_mov_b32 s2, 0
.LBB94_5979:
	s_delay_alu instid0(SALU_CYCLE_1)
	s_and_b32 vcc_lo, exec_lo, s2
	s_mov_b32 s2, 0
	s_cbranch_vccz .LBB94_5981
; %bb.5980:
	s_cmp_lg_u32 s7, 11
	s_mov_b32 s2, -1
	s_cselect_b32 s3, -1, 0
.LBB94_5981:
	s_delay_alu instid0(SALU_CYCLE_1)
	s_and_b32 vcc_lo, exec_lo, s3
	s_cbranch_vccnz .LBB94_5996
.LBB94_5982:
	s_mov_b32 s3, 0
	s_branch .LBB94_5984
.LBB94_5983:
	s_mov_b32 s3, 0
	s_mov_b32 s2, 0
                                        ; implicit-def: $vgpr20_vgpr21
                                        ; implicit-def: $sgpr0
.LBB94_5984:
	s_and_b32 s7, s3, exec_lo
	s_and_not1_b32 s3, s4, exec_lo
	s_and_b32 s4, s6, exec_lo
	s_and_b32 s6, s2, exec_lo
	s_or_b32 s4, s3, s4
.LBB94_5985:
	s_wait_xcnt 0x0
	s_or_b32 exec_lo, exec_lo, s5
	s_delay_alu instid0(SALU_CYCLE_1)
	s_and_not1_b32 s2, s16, exec_lo
	s_and_b32 s3, s4, exec_lo
	s_and_b32 s7, s7, exec_lo
	;; [unrolled: 1-line block ×3, first 2 shown]
	s_or_b32 s16, s2, s3
.LBB94_5986:
	s_or_b32 exec_lo, exec_lo, s17
	s_delay_alu instid0(SALU_CYCLE_1)
	s_and_not1_b32 s2, s23, exec_lo
	s_and_b32 s3, s16, exec_lo
	s_and_b32 s6, s7, exec_lo
	;; [unrolled: 1-line block ×3, first 2 shown]
	s_or_b32 s23, s2, s3
.LBB94_5987:
	s_or_b32 exec_lo, exec_lo, s24
	s_delay_alu instid0(SALU_CYCLE_1)
	s_and_not1_b32 s2, s21, exec_lo
	s_and_b32 s3, s23, exec_lo
	s_and_b32 s6, s6, exec_lo
	;; [unrolled: 1-line block ×3, first 2 shown]
	s_or_b32 s21, s2, s3
.LBB94_5988:
	s_or_b32 exec_lo, exec_lo, s22
	s_branch .LBB94_5651
.LBB94_5989:
	s_mov_b32 s2, 0
	s_mov_b32 s3, -1
	s_branch .LBB94_5984
.LBB94_5990:
	s_or_b32 s6, s16, exec_lo
	s_xor_b32 s5, exec_lo, -1
	s_trap 2
	s_branch .LBB94_5667
.LBB94_5991:
	s_or_b32 s6, s4, exec_lo
	s_trap 2
	s_cbranch_execz .LBB94_5715
	s_branch .LBB94_5716
.LBB94_5992:
	s_or_b32 s6, s6, exec_lo
	s_trap 2
	s_cbranch_execz .LBB94_5805
	s_branch .LBB94_5806
.LBB94_5993:
	s_or_b32 s21, s21, exec_lo
	s_trap 2
                                        ; implicit-def: $vgpr6_vgpr7
                                        ; implicit-def: $vgpr2_vgpr3
                                        ; implicit-def: $vgpr10_vgpr11
                                        ; implicit-def: $vgpr8_vgpr9
                                        ; implicit-def: $vgpr0_vgpr1
                                        ; implicit-def: $vgpr26
                                        ; implicit-def: $vgpr14_vgpr15
	s_branch .LBB94_5643
.LBB94_5994:
	s_or_b32 s6, s6, exec_lo
	s_trap 2
	s_cbranch_execz .LBB94_5894
	s_branch .LBB94_5895
.LBB94_5995:
	s_or_b32 s23, s21, exec_lo
	s_trap 2
                                        ; implicit-def: $vgpr10_vgpr11
                                        ; implicit-def: $vgpr8_vgpr9
                                        ; implicit-def: $vgpr0_vgpr1
                                        ; implicit-def: $vgpr26
                                        ; implicit-def: $vgpr14_vgpr15
                                        ; implicit-def: $vgpr2_vgpr3
	s_or_saveexec_b32 s24, s0
                                        ; implicit-def: $vgpr20_vgpr21
                                        ; implicit-def: $sgpr0
	s_delay_alu instid0(SALU_CYCLE_1)
	s_xor_b32 exec_lo, exec_lo, s24
	s_cbranch_execz .LBB94_5987
	s_branch .LBB94_5646
.LBB94_5996:
	s_mov_b32 s2, 0
	s_or_b32 s6, s6, exec_lo
	s_trap 2
	s_branch .LBB94_5982
.LBB94_5997:
	s_or_b32 s16, s23, exec_lo
	s_trap 2
                                        ; implicit-def: $vgpr10_vgpr11
                                        ; implicit-def: $vgpr8_vgpr9
                                        ; implicit-def: $vgpr26
                                        ; implicit-def: $vgpr14_vgpr15
                                        ; implicit-def: $vgpr2_vgpr3
	s_branch .LBB94_5647
	.section	.rodata,"a",@progbits
	.p2align	6, 0x0
	.amdhsa_kernel _ZN2at6native32elementwise_kernel_manual_unrollILi128ELi4EZNS0_15gpu_kernel_implIZZZNS0_12_GLOBAL__N_142_validate_compressed_sparse_indices_kernelILNS3_8CDimNameE1ENS3_18CUDAKernelLauncherENS3_14EmptyVecKernelENS3_8DummyVecELm8EEEvRKNS_6TensorESB_lllENKUlvE1_clEvENKUlvE0_clEvEUllllllE_EEvRNS_18TensorIteratorBaseERKT_EUlibE_EEviT1_
		.amdhsa_group_segment_fixed_size 0
		.amdhsa_private_segment_fixed_size 0
		.amdhsa_kernarg_size 256
		.amdhsa_user_sgpr_count 2
		.amdhsa_user_sgpr_dispatch_ptr 0
		.amdhsa_user_sgpr_queue_ptr 0
		.amdhsa_user_sgpr_kernarg_segment_ptr 1
		.amdhsa_user_sgpr_dispatch_id 0
		.amdhsa_user_sgpr_kernarg_preload_length 0
		.amdhsa_user_sgpr_kernarg_preload_offset 0
		.amdhsa_user_sgpr_private_segment_size 0
		.amdhsa_wavefront_size32 1
		.amdhsa_uses_dynamic_stack 0
		.amdhsa_enable_private_segment 0
		.amdhsa_system_sgpr_workgroup_id_x 1
		.amdhsa_system_sgpr_workgroup_id_y 0
		.amdhsa_system_sgpr_workgroup_id_z 0
		.amdhsa_system_sgpr_workgroup_info 0
		.amdhsa_system_vgpr_workitem_id 0
		.amdhsa_next_free_vgpr 40
		.amdhsa_next_free_sgpr 100
		.amdhsa_named_barrier_count 0
		.amdhsa_reserve_vcc 1
		.amdhsa_float_round_mode_32 0
		.amdhsa_float_round_mode_16_64 0
		.amdhsa_float_denorm_mode_32 3
		.amdhsa_float_denorm_mode_16_64 3
		.amdhsa_fp16_overflow 0
		.amdhsa_memory_ordered 1
		.amdhsa_forward_progress 1
		.amdhsa_inst_pref_size 255
		.amdhsa_round_robin_scheduling 0
		.amdhsa_exception_fp_ieee_invalid_op 0
		.amdhsa_exception_fp_denorm_src 0
		.amdhsa_exception_fp_ieee_div_zero 0
		.amdhsa_exception_fp_ieee_overflow 0
		.amdhsa_exception_fp_ieee_underflow 0
		.amdhsa_exception_fp_ieee_inexact 0
		.amdhsa_exception_int_div_zero 0
	.end_amdhsa_kernel
	.section	.text._ZN2at6native32elementwise_kernel_manual_unrollILi128ELi4EZNS0_15gpu_kernel_implIZZZNS0_12_GLOBAL__N_142_validate_compressed_sparse_indices_kernelILNS3_8CDimNameE1ENS3_18CUDAKernelLauncherENS3_14EmptyVecKernelENS3_8DummyVecELm8EEEvRKNS_6TensorESB_lllENKUlvE1_clEvENKUlvE0_clEvEUllllllE_EEvRNS_18TensorIteratorBaseERKT_EUlibE_EEviT1_,"axG",@progbits,_ZN2at6native32elementwise_kernel_manual_unrollILi128ELi4EZNS0_15gpu_kernel_implIZZZNS0_12_GLOBAL__N_142_validate_compressed_sparse_indices_kernelILNS3_8CDimNameE1ENS3_18CUDAKernelLauncherENS3_14EmptyVecKernelENS3_8DummyVecELm8EEEvRKNS_6TensorESB_lllENKUlvE1_clEvENKUlvE0_clEvEUllllllE_EEvRNS_18TensorIteratorBaseERKT_EUlibE_EEviT1_,comdat
.Lfunc_end94:
	.size	_ZN2at6native32elementwise_kernel_manual_unrollILi128ELi4EZNS0_15gpu_kernel_implIZZZNS0_12_GLOBAL__N_142_validate_compressed_sparse_indices_kernelILNS3_8CDimNameE1ENS3_18CUDAKernelLauncherENS3_14EmptyVecKernelENS3_8DummyVecELm8EEEvRKNS_6TensorESB_lllENKUlvE1_clEvENKUlvE0_clEvEUllllllE_EEvRNS_18TensorIteratorBaseERKT_EUlibE_EEviT1_, .Lfunc_end94-_ZN2at6native32elementwise_kernel_manual_unrollILi128ELi4EZNS0_15gpu_kernel_implIZZZNS0_12_GLOBAL__N_142_validate_compressed_sparse_indices_kernelILNS3_8CDimNameE1ENS3_18CUDAKernelLauncherENS3_14EmptyVecKernelENS3_8DummyVecELm8EEEvRKNS_6TensorESB_lllENKUlvE1_clEvENKUlvE0_clEvEUllllllE_EEvRNS_18TensorIteratorBaseERKT_EUlibE_EEviT1_
                                        ; -- End function
	.set _ZN2at6native32elementwise_kernel_manual_unrollILi128ELi4EZNS0_15gpu_kernel_implIZZZNS0_12_GLOBAL__N_142_validate_compressed_sparse_indices_kernelILNS3_8CDimNameE1ENS3_18CUDAKernelLauncherENS3_14EmptyVecKernelENS3_8DummyVecELm8EEEvRKNS_6TensorESB_lllENKUlvE1_clEvENKUlvE0_clEvEUllllllE_EEvRNS_18TensorIteratorBaseERKT_EUlibE_EEviT1_.num_vgpr, 40
	.set _ZN2at6native32elementwise_kernel_manual_unrollILi128ELi4EZNS0_15gpu_kernel_implIZZZNS0_12_GLOBAL__N_142_validate_compressed_sparse_indices_kernelILNS3_8CDimNameE1ENS3_18CUDAKernelLauncherENS3_14EmptyVecKernelENS3_8DummyVecELm8EEEvRKNS_6TensorESB_lllENKUlvE1_clEvENKUlvE0_clEvEUllllllE_EEvRNS_18TensorIteratorBaseERKT_EUlibE_EEviT1_.num_agpr, 0
	.set _ZN2at6native32elementwise_kernel_manual_unrollILi128ELi4EZNS0_15gpu_kernel_implIZZZNS0_12_GLOBAL__N_142_validate_compressed_sparse_indices_kernelILNS3_8CDimNameE1ENS3_18CUDAKernelLauncherENS3_14EmptyVecKernelENS3_8DummyVecELm8EEEvRKNS_6TensorESB_lllENKUlvE1_clEvENKUlvE0_clEvEUllllllE_EEvRNS_18TensorIteratorBaseERKT_EUlibE_EEviT1_.numbered_sgpr, 100
	.set _ZN2at6native32elementwise_kernel_manual_unrollILi128ELi4EZNS0_15gpu_kernel_implIZZZNS0_12_GLOBAL__N_142_validate_compressed_sparse_indices_kernelILNS3_8CDimNameE1ENS3_18CUDAKernelLauncherENS3_14EmptyVecKernelENS3_8DummyVecELm8EEEvRKNS_6TensorESB_lllENKUlvE1_clEvENKUlvE0_clEvEUllllllE_EEvRNS_18TensorIteratorBaseERKT_EUlibE_EEviT1_.num_named_barrier, 0
	.set _ZN2at6native32elementwise_kernel_manual_unrollILi128ELi4EZNS0_15gpu_kernel_implIZZZNS0_12_GLOBAL__N_142_validate_compressed_sparse_indices_kernelILNS3_8CDimNameE1ENS3_18CUDAKernelLauncherENS3_14EmptyVecKernelENS3_8DummyVecELm8EEEvRKNS_6TensorESB_lllENKUlvE1_clEvENKUlvE0_clEvEUllllllE_EEvRNS_18TensorIteratorBaseERKT_EUlibE_EEviT1_.private_seg_size, 0
	.set _ZN2at6native32elementwise_kernel_manual_unrollILi128ELi4EZNS0_15gpu_kernel_implIZZZNS0_12_GLOBAL__N_142_validate_compressed_sparse_indices_kernelILNS3_8CDimNameE1ENS3_18CUDAKernelLauncherENS3_14EmptyVecKernelENS3_8DummyVecELm8EEEvRKNS_6TensorESB_lllENKUlvE1_clEvENKUlvE0_clEvEUllllllE_EEvRNS_18TensorIteratorBaseERKT_EUlibE_EEviT1_.uses_vcc, 1
	.set _ZN2at6native32elementwise_kernel_manual_unrollILi128ELi4EZNS0_15gpu_kernel_implIZZZNS0_12_GLOBAL__N_142_validate_compressed_sparse_indices_kernelILNS3_8CDimNameE1ENS3_18CUDAKernelLauncherENS3_14EmptyVecKernelENS3_8DummyVecELm8EEEvRKNS_6TensorESB_lllENKUlvE1_clEvENKUlvE0_clEvEUllllllE_EEvRNS_18TensorIteratorBaseERKT_EUlibE_EEviT1_.uses_flat_scratch, 0
	.set _ZN2at6native32elementwise_kernel_manual_unrollILi128ELi4EZNS0_15gpu_kernel_implIZZZNS0_12_GLOBAL__N_142_validate_compressed_sparse_indices_kernelILNS3_8CDimNameE1ENS3_18CUDAKernelLauncherENS3_14EmptyVecKernelENS3_8DummyVecELm8EEEvRKNS_6TensorESB_lllENKUlvE1_clEvENKUlvE0_clEvEUllllllE_EEvRNS_18TensorIteratorBaseERKT_EUlibE_EEviT1_.has_dyn_sized_stack, 0
	.set _ZN2at6native32elementwise_kernel_manual_unrollILi128ELi4EZNS0_15gpu_kernel_implIZZZNS0_12_GLOBAL__N_142_validate_compressed_sparse_indices_kernelILNS3_8CDimNameE1ENS3_18CUDAKernelLauncherENS3_14EmptyVecKernelENS3_8DummyVecELm8EEEvRKNS_6TensorESB_lllENKUlvE1_clEvENKUlvE0_clEvEUllllllE_EEvRNS_18TensorIteratorBaseERKT_EUlibE_EEviT1_.has_recursion, 0
	.set _ZN2at6native32elementwise_kernel_manual_unrollILi128ELi4EZNS0_15gpu_kernel_implIZZZNS0_12_GLOBAL__N_142_validate_compressed_sparse_indices_kernelILNS3_8CDimNameE1ENS3_18CUDAKernelLauncherENS3_14EmptyVecKernelENS3_8DummyVecELm8EEEvRKNS_6TensorESB_lllENKUlvE1_clEvENKUlvE0_clEvEUllllllE_EEvRNS_18TensorIteratorBaseERKT_EUlibE_EEviT1_.has_indirect_call, 0
	.section	.AMDGPU.csdata,"",@progbits
; Kernel info:
; codeLenInByte = 142604
; TotalNumSgprs: 102
; NumVgprs: 40
; ScratchSize: 0
; MemoryBound: 1
; FloatMode: 240
; IeeeMode: 1
; LDSByteSize: 0 bytes/workgroup (compile time only)
; SGPRBlocks: 0
; VGPRBlocks: 2
; NumSGPRsForWavesPerEU: 102
; NumVGPRsForWavesPerEU: 40
; NamedBarCnt: 0
; Occupancy: 16
; WaveLimiterHint : 1
; COMPUTE_PGM_RSRC2:SCRATCH_EN: 0
; COMPUTE_PGM_RSRC2:USER_SGPR: 2
; COMPUTE_PGM_RSRC2:TRAP_HANDLER: 0
; COMPUTE_PGM_RSRC2:TGID_X_EN: 1
; COMPUTE_PGM_RSRC2:TGID_Y_EN: 0
; COMPUTE_PGM_RSRC2:TGID_Z_EN: 0
; COMPUTE_PGM_RSRC2:TIDIG_COMP_CNT: 0
	.section	.text._ZN2at6native32elementwise_kernel_manual_unrollILi128ELi4EZNS0_15gpu_kernel_implIZZZNS0_12_GLOBAL__N_142_validate_compressed_sparse_indices_kernelILNS3_8CDimNameE1ENS3_18CUDAKernelLauncherENS3_14EmptyVecKernelENS3_8DummyVecELm8EEEvRKNS_6TensorESB_lllENKUlvE1_clEvENKUlvE0_clEvEUllllllE_EEvRNS_18TensorIteratorBaseERKT_EUlibE0_EEviT1_,"axG",@progbits,_ZN2at6native32elementwise_kernel_manual_unrollILi128ELi4EZNS0_15gpu_kernel_implIZZZNS0_12_GLOBAL__N_142_validate_compressed_sparse_indices_kernelILNS3_8CDimNameE1ENS3_18CUDAKernelLauncherENS3_14EmptyVecKernelENS3_8DummyVecELm8EEEvRKNS_6TensorESB_lllENKUlvE1_clEvENKUlvE0_clEvEUllllllE_EEvRNS_18TensorIteratorBaseERKT_EUlibE0_EEviT1_,comdat
	.globl	_ZN2at6native32elementwise_kernel_manual_unrollILi128ELi4EZNS0_15gpu_kernel_implIZZZNS0_12_GLOBAL__N_142_validate_compressed_sparse_indices_kernelILNS3_8CDimNameE1ENS3_18CUDAKernelLauncherENS3_14EmptyVecKernelENS3_8DummyVecELm8EEEvRKNS_6TensorESB_lllENKUlvE1_clEvENKUlvE0_clEvEUllllllE_EEvRNS_18TensorIteratorBaseERKT_EUlibE0_EEviT1_ ; -- Begin function _ZN2at6native32elementwise_kernel_manual_unrollILi128ELi4EZNS0_15gpu_kernel_implIZZZNS0_12_GLOBAL__N_142_validate_compressed_sparse_indices_kernelILNS3_8CDimNameE1ENS3_18CUDAKernelLauncherENS3_14EmptyVecKernelENS3_8DummyVecELm8EEEvRKNS_6TensorESB_lllENKUlvE1_clEvENKUlvE0_clEvEUllllllE_EEvRNS_18TensorIteratorBaseERKT_EUlibE0_EEviT1_
	.p2align	8
	.type	_ZN2at6native32elementwise_kernel_manual_unrollILi128ELi4EZNS0_15gpu_kernel_implIZZZNS0_12_GLOBAL__N_142_validate_compressed_sparse_indices_kernelILNS3_8CDimNameE1ENS3_18CUDAKernelLauncherENS3_14EmptyVecKernelENS3_8DummyVecELm8EEEvRKNS_6TensorESB_lllENKUlvE1_clEvENKUlvE0_clEvEUllllllE_EEvRNS_18TensorIteratorBaseERKT_EUlibE0_EEviT1_,@function
_ZN2at6native32elementwise_kernel_manual_unrollILi128ELi4EZNS0_15gpu_kernel_implIZZZNS0_12_GLOBAL__N_142_validate_compressed_sparse_indices_kernelILNS3_8CDimNameE1ENS3_18CUDAKernelLauncherENS3_14EmptyVecKernelENS3_8DummyVecELm8EEEvRKNS_6TensorESB_lllENKUlvE1_clEvENKUlvE0_clEvEUllllllE_EEvRNS_18TensorIteratorBaseERKT_EUlibE0_EEviT1_: ; @_ZN2at6native32elementwise_kernel_manual_unrollILi128ELi4EZNS0_15gpu_kernel_implIZZZNS0_12_GLOBAL__N_142_validate_compressed_sparse_indices_kernelILNS3_8CDimNameE1ENS3_18CUDAKernelLauncherENS3_14EmptyVecKernelENS3_8DummyVecELm8EEEvRKNS_6TensorESB_lllENKUlvE1_clEvENKUlvE0_clEvEUllllllE_EEvRNS_18TensorIteratorBaseERKT_EUlibE0_EEviT1_
; %bb.0:
	s_clause 0x1
	s_load_b32 s33, s[0:1], 0x8
	s_load_b32 s77, s[0:1], 0x0
	s_bfe_u32 s2, ttmp6, 0x4000c
	s_and_b32 s3, ttmp6, 15
	s_add_co_i32 s2, s2, 1
	s_getreg_b32 s4, hwreg(HW_REG_IB_STS2, 6, 4)
	s_mul_i32 s2, ttmp9, s2
	s_mov_b32 s67, 0
	s_add_co_i32 s3, s3, s2
	s_cmp_eq_u32 s4, 0
	s_mov_b32 s40, -1
	s_cselect_b32 s2, ttmp9, s3
	s_mov_b32 s34, 0
	v_lshl_or_b32 v0, s2, 9, v0
	s_add_nc_u64 s[2:3], s[0:1], 8
	s_wait_xcnt 0x0
	s_mov_b32 s0, exec_lo
	s_delay_alu instid0(VALU_DEP_1) | instskip(SKIP_2) | instid1(SALU_CYCLE_1)
	v_or_b32_e32 v1, 0x180, v0
	s_wait_kmcnt 0x0
	s_add_co_i32 s66, s33, -1
	s_cmp_gt_u32 s66, 1
	s_cselect_b32 s68, -1, 0
	v_cmpx_le_i32_e64 s77, v1
	s_xor_b32 s69, exec_lo, s0
	s_cbranch_execz .LBB95_2857
; %bb.1:
	s_clause 0x5
	s_load_b128 s[72:75], s[2:3], 0x318
	s_load_b128 s[96:99], s[2:3], 0x4
	s_load_b64 s[30:31], s[2:3], 0x14
	s_load_b128 s[44:47], s[2:3], 0xe4
	s_load_b256 s[8:15], s[2:3], 0xc4
	s_load_b128 s[36:39], s[2:3], 0x288
	s_cmp_lg_u32 s33, 0
	s_get_pc_i64 s[4:5]
	s_add_nc_u64 s[4:5], s[4:5], .str.6@rel64+4
	s_cselect_b32 s25, -1, 0
	s_min_u32 s76, s66, 15
	s_cmp_gt_u32 s33, 1
	s_get_pc_i64 s[6:7]
	s_add_nc_u64 s[6:7], s[6:7], .str.7@rel64+4
	s_cselect_b32 s48, -1, 0
	s_get_pc_i64 s[20:21]
	s_add_nc_u64 s[20:21], s[20:21], .str.8@rel64+4
	s_mov_b32 s51, 0
	s_mov_b32 s87, exec_lo
	s_mov_b32 s53, s51
	s_mov_b32 s86, s51
	;; [unrolled: 1-line block ×5, first 2 shown]
	s_wait_kmcnt 0x0
	s_mov_b32 s50, s97
	s_mov_b32 s52, s30
	;; [unrolled: 1-line block ×3, first 2 shown]
	s_lshr_b32 s1, s74, 8
	s_lshr_b32 s70, s74, 16
	s_lshr_b64 s[28:29], s[74:75], 24
	s_lshr_b32 s78, s75, 8
	s_cmp_lg_u64 s[4:5], 0
	s_mov_b32 s81, s51
	s_cselect_b32 s101, -1, 0
	s_cmp_lg_u64 s[6:7], 0
	s_mov_b32 s80, s51
	s_cselect_b32 vcc_hi, -1, 0
	s_cmp_lg_u64 s[20:21], 0
	s_get_pc_i64 s[20:21]
	s_add_nc_u64 s[20:21], s[20:21], .str.9@rel64+4
	s_cselect_b32 s104, -1, 0
	s_add_co_i32 s34, s38, -1
	s_mov_b32 s39, s51
	s_cmp_gt_i32 s34, -1
	s_mov_b32 s65, s51
	s_cselect_b32 s49, -1, 0
	s_cmp_lg_u64 s[20:21], 0
	s_mov_b32 s64, s51
	s_cselect_b32 s71, -1, 0
	v_cmpx_gt_i32_e64 s77, v0
	s_cbranch_execz .LBB95_651
; %bb.2:
	s_and_not1_b32 vcc_lo, exec_lo, s68
	s_cbranch_vccnz .LBB95_9
; %bb.3:
	s_and_not1_b32 vcc_lo, exec_lo, s25
	s_cbranch_vccnz .LBB95_10
; %bb.4:
	v_dual_mov_b32 v10, 0 :: v_dual_mov_b32 v1, v0
	v_dual_mov_b32 v6, 0 :: v_dual_mov_b32 v8, 0
	;; [unrolled: 1-line block ×3, first 2 shown]
	v_mov_b32_e32 v4, 0
	s_add_co_i32 s0, s76, 1
	s_mov_b64 s[20:21], 0xffffffffffffffd0
	s_mov_b32 s4, s25
	s_and_b32 s0, s0, 30
	s_add_nc_u64 s[54:55], s[2:3], s[20:21]
	s_mov_b64 s[56:57], s[2:3]
.LBB95_5:                               ; =>This Inner Loop Header: Depth=1
	s_clause 0x1
	s_load_b128 s[20:23], s[56:57], 0x4
	s_load_b64 s[40:41], s[56:57], 0x14
	s_clause 0x1
	s_load_b256 s[88:95], s[54:55], 0xf4
	s_load_b128 s[24:27], s[54:55], 0x114
	s_add_co_i32 s0, s0, -2
	s_wait_xcnt 0x0
	s_add_nc_u64 s[56:57], s[56:57], 24
	s_cmp_lg_u32 s0, 0
	s_add_nc_u64 s[54:55], s[54:55], 48
	s_wait_kmcnt 0x0
	v_mul_hi_u32 v3, s21, v1
	s_delay_alu instid0(VALU_DEP_1) | instskip(NEXT) | instid1(VALU_DEP_1)
	v_add_nc_u32_e32 v3, v1, v3
	v_lshrrev_b32_e32 v3, s22, v3
	s_delay_alu instid0(VALU_DEP_1) | instskip(SKIP_1) | instid1(VALU_DEP_1)
	v_mul_hi_u32 v5, s40, v3
	v_mul_lo_u32 v7, v3, s20
	v_dual_add_nc_u32 v5, v3, v5 :: v_dual_sub_nc_u32 v7, v1, v7
	s_delay_alu instid0(VALU_DEP_1) | instskip(NEXT) | instid1(VALU_DEP_2)
	v_lshrrev_b32_e32 v1, s41, v5
	v_mad_u32 v4, v7, s89, v4
	v_mad_u32 v2, v7, s88, v2
	;; [unrolled: 1-line block ×4, first 2 shown]
	v_mul_lo_u32 v5, v1, s23
	v_mad_u32 v6, s93, v7, v6
	v_mad_u32 v7, s92, v7, v10
	s_delay_alu instid0(VALU_DEP_3) | instskip(NEXT) | instid1(VALU_DEP_1)
	v_sub_nc_u32_e32 v3, v3, v5
	v_mad_u32 v4, v3, s95, v4
	v_mad_u32 v2, v3, s94, v2
	;; [unrolled: 1-line block ×6, first 2 shown]
	s_cbranch_scc1 .LBB95_5
; %bb.6:
	s_bitcmp1_b32 s76, 0
	s_cselect_b32 s0, -1, 0
	s_delay_alu instid0(SALU_CYCLE_1)
	s_and_b32 vcc_lo, exec_lo, s0
	s_cbranch_vccnz .LBB95_8
; %bb.7:
	s_load_b96 s[24:26], s[56:57], 0x4
	s_wait_kmcnt 0x0
	v_mul_hi_u32 v3, s25, v1
	s_delay_alu instid0(VALU_DEP_1) | instskip(NEXT) | instid1(VALU_DEP_1)
	v_add_nc_u32_e32 v3, v1, v3
	v_lshrrev_b32_e32 v3, s26, v3
	s_clause 0x1
	s_load_b128 s[20:23], s[54:55], 0xf4
	s_load_b64 s[26:27], s[54:55], 0x104
	s_delay_alu instid0(VALU_DEP_1) | instskip(NEXT) | instid1(VALU_DEP_1)
	v_mul_lo_u32 v3, v3, s24
	v_sub_nc_u32_e32 v1, v1, v3
	s_wait_kmcnt 0x0
	s_delay_alu instid0(VALU_DEP_1)
	v_mad_u32 v2, v1, s20, v2
	v_mad_u32 v4, v1, s21, v4
	;; [unrolled: 1-line block ×6, first 2 shown]
.LBB95_8:
	s_mov_b32 s25, s4
	s_cbranch_execz .LBB95_11
	s_branch .LBB95_13
.LBB95_9:
                                        ; implicit-def: $vgpr4
                                        ; implicit-def: $vgpr2
                                        ; implicit-def: $vgpr12
                                        ; implicit-def: $vgpr8
                                        ; implicit-def: $vgpr6
                                        ; implicit-def: $vgpr10
	s_branch .LBB95_11
.LBB95_10:
	v_dual_mov_b32 v4, 0 :: v_dual_mov_b32 v2, 0
	v_dual_mov_b32 v12, 0 :: v_dual_mov_b32 v8, 0
	;; [unrolled: 1-line block ×3, first 2 shown]
	s_cbranch_execnz .LBB95_13
.LBB95_11:
	v_mov_b32_e32 v1, 0
	s_and_not1_b32 vcc_lo, exec_lo, s48
	s_delay_alu instid0(VALU_DEP_1) | instskip(NEXT) | instid1(VALU_DEP_1)
	v_mul_u64_e32 v[2:3], s[50:51], v[0:1]
	v_add_nc_u32_e32 v2, v0, v3
	s_delay_alu instid0(VALU_DEP_1) | instskip(NEXT) | instid1(VALU_DEP_1)
	v_lshrrev_b32_e32 v14, s98, v2
	v_mul_lo_u32 v2, v14, s96
	s_delay_alu instid0(VALU_DEP_1) | instskip(NEXT) | instid1(VALU_DEP_1)
	v_sub_nc_u32_e32 v3, v0, v2
	v_mul_lo_u32 v4, v3, s9
	v_mul_lo_u32 v2, v3, s8
	;; [unrolled: 1-line block ×6, first 2 shown]
	s_cbranch_vccnz .LBB95_13
; %bb.12:
	v_mov_b32_e32 v15, v1
	s_delay_alu instid0(VALU_DEP_1) | instskip(NEXT) | instid1(VALU_DEP_1)
	v_mul_u64_e32 v[16:17], s[52:53], v[14:15]
	v_add_nc_u32_e32 v1, v14, v17
	s_delay_alu instid0(VALU_DEP_1) | instskip(NEXT) | instid1(VALU_DEP_1)
	v_lshrrev_b32_e32 v1, s31, v1
	v_mul_lo_u32 v1, v1, s99
	s_delay_alu instid0(VALU_DEP_1) | instskip(NEXT) | instid1(VALU_DEP_1)
	v_sub_nc_u32_e32 v1, v14, v1
	v_mad_u32 v2, v1, s14, v2
	v_mad_u32 v4, v1, s15, v4
	;; [unrolled: 1-line block ×6, first 2 shown]
.LBB95_13:
	s_load_b512 s[4:19], s[2:3], 0x248
	v_mov_b32_e32 v5, 0
	s_and_b32 s0, s1, 0xff
	s_delay_alu instid0(SALU_CYCLE_1) | instskip(SKIP_1) | instid1(VALU_DEP_1)
	s_cmp_lt_i32 s0, 11
	s_wait_kmcnt 0x0
	v_add_nc_u64_e32 v[14:15], s[6:7], v[4:5]
	s_cbranch_scc1 .LBB95_20
; %bb.14:
	s_and_b32 s35, 0xffff, s0
	s_delay_alu instid0(SALU_CYCLE_1)
	s_cmp_gt_i32 s35, 25
	s_cbranch_scc0 .LBB95_29
; %bb.15:
	s_cmp_gt_i32 s35, 28
	s_cbranch_scc0 .LBB95_39
; %bb.16:
	;; [unrolled: 3-line block ×4, first 2 shown]
	s_cmp_eq_u32 s35, 46
	s_mov_b32 s40, 0
	s_cbranch_scc0 .LBB95_48
; %bb.19:
	global_load_b32 v1, v[14:15], off
	s_mov_b32 s39, -1
	s_mov_b32 s86, 0
	s_wait_loadcnt 0x0
	v_lshlrev_b32_e32 v1, 16, v1
	s_delay_alu instid0(VALU_DEP_1) | instskip(NEXT) | instid1(VALU_DEP_1)
	v_trunc_f32_e32 v1, v1
	v_mul_f32_e64 v3, 0x2f800000, |v1|
	v_ashrrev_i32_e32 v4, 31, v1
	s_delay_alu instid0(VALU_DEP_2) | instskip(NEXT) | instid1(VALU_DEP_1)
	v_floor_f32_e32 v3, v3
	v_fma_f32 v5, 0xcf800000, v3, |v1|
	v_cvt_u32_f32_e32 v1, v3
	s_delay_alu instid0(VALU_DEP_2) | instskip(NEXT) | instid1(VALU_DEP_2)
	v_cvt_u32_f32_e32 v3, v5
	v_dual_mov_b32 v5, v4 :: v_dual_bitop2_b32 v17, v1, v4 bitop3:0x14
	s_delay_alu instid0(VALU_DEP_2) | instskip(NEXT) | instid1(VALU_DEP_1)
	v_xor_b32_e32 v16, v3, v4
	v_sub_nc_u64_e32 v[4:5], v[16:17], v[4:5]
	s_branch .LBB95_50
.LBB95_20:
	s_mov_b32 s86, 0
	s_mov_b32 s39, 0
                                        ; implicit-def: $vgpr4_vgpr5
	s_cbranch_execnz .LBB95_112
.LBB95_21:
	s_and_not1_b32 vcc_lo, exec_lo, s39
	s_cbranch_vccnz .LBB95_159
.LBB95_22:
	s_load_b512 s[4:19], s[2:3], 0x248
	v_mov_b32_e32 v9, 0
	s_and_b32 s0, s70, 0xff
	s_delay_alu instid0(SALU_CYCLE_1) | instskip(SKIP_1) | instid1(VALU_DEP_1)
	s_cmp_lt_i32 s0, 11
	s_wait_kmcnt 0x0
	v_add_nc_u64_e32 v[14:15], s[8:9], v[8:9]
	s_cbranch_scc1 .LBB95_30
; %bb.23:
	s_and_b32 s35, 0xffff, s0
	s_delay_alu instid0(SALU_CYCLE_1)
	s_cmp_gt_i32 s35, 25
	s_cbranch_scc0 .LBB95_40
; %bb.24:
	s_cmp_gt_i32 s35, 28
	s_cbranch_scc0 .LBB95_43
; %bb.25:
	;; [unrolled: 3-line block ×4, first 2 shown]
	s_cmp_eq_u32 s35, 46
	s_mov_b32 s40, 0
	s_cbranch_scc0 .LBB95_160
; %bb.28:
	global_load_b32 v1, v[14:15], off
	s_mov_b32 s39, -1
	s_mov_b32 s85, 0
	s_wait_loadcnt 0x0
	v_lshlrev_b32_e32 v1, 16, v1
	s_delay_alu instid0(VALU_DEP_1) | instskip(NEXT) | instid1(VALU_DEP_1)
	v_trunc_f32_e32 v1, v1
	v_mul_f32_e64 v3, 0x2f800000, |v1|
	v_ashrrev_i32_e32 v8, 31, v1
	s_delay_alu instid0(VALU_DEP_2) | instskip(NEXT) | instid1(VALU_DEP_2)
	v_floor_f32_e32 v3, v3
	v_mov_b32_e32 v9, v8
	s_delay_alu instid0(VALU_DEP_2) | instskip(SKIP_1) | instid1(VALU_DEP_2)
	v_fma_f32 v7, 0xcf800000, v3, |v1|
	v_cvt_u32_f32_e32 v1, v3
	v_cvt_u32_f32_e32 v3, v7
	s_delay_alu instid0(VALU_DEP_2) | instskip(NEXT) | instid1(VALU_DEP_2)
	v_xor_b32_e32 v17, v1, v8
	v_xor_b32_e32 v16, v3, v8
	s_delay_alu instid0(VALU_DEP_1)
	v_sub_nc_u64_e32 v[8:9], v[16:17], v[8:9]
	s_branch .LBB95_162
.LBB95_29:
	s_mov_b32 s86, 0
	s_mov_b32 s39, 0
                                        ; implicit-def: $vgpr4_vgpr5
	s_cbranch_execnz .LBB95_79
	s_branch .LBB95_111
.LBB95_30:
	s_mov_b32 s85, 0
	s_mov_b32 s39, 0
                                        ; implicit-def: $vgpr8_vgpr9
	s_cbranch_execnz .LBB95_224
.LBB95_31:
	s_and_not1_b32 vcc_lo, exec_lo, s39
	s_cbranch_vccnz .LBB95_272
.LBB95_32:
	s_load_b512 s[4:19], s[2:3], 0x248
	v_mov_b32_e32 v13, 0
	s_and_b32 s0, s28, 0xff
	s_delay_alu instid0(SALU_CYCLE_1) | instskip(SKIP_1) | instid1(VALU_DEP_1)
	s_cmp_lt_i32 s0, 11
	s_wait_kmcnt 0x0
	v_add_nc_u64_e32 v[14:15], s[10:11], v[12:13]
	s_cbranch_scc1 .LBB95_41
; %bb.33:
	s_and_b32 s35, 0xffff, s0
	s_delay_alu instid0(SALU_CYCLE_1)
	s_cmp_gt_i32 s35, 25
	s_cbranch_scc0 .LBB95_44
; %bb.34:
	s_cmp_gt_i32 s35, 28
	s_cbranch_scc0 .LBB95_47
; %bb.35:
	s_cmp_gt_i32 s35, 43
	s_cbranch_scc0 .LBB95_54
; %bb.36:
	s_cmp_gt_i32 s35, 45
	s_cbranch_scc0 .LBB95_165
; %bb.37:
	s_cmp_eq_u32 s35, 46
	s_mov_b32 s40, 0
	s_cbranch_scc0 .LBB95_273
; %bb.38:
	global_load_b32 v1, v[14:15], off
	s_mov_b32 s39, -1
	s_mov_b32 s84, 0
	s_wait_loadcnt 0x0
	v_lshlrev_b32_e32 v1, 16, v1
	s_delay_alu instid0(VALU_DEP_1) | instskip(NEXT) | instid1(VALU_DEP_1)
	v_trunc_f32_e32 v1, v1
	v_mul_f32_e64 v3, 0x2f800000, |v1|
	v_ashrrev_i32_e32 v12, 31, v1
	s_delay_alu instid0(VALU_DEP_2) | instskip(NEXT) | instid1(VALU_DEP_2)
	v_floor_f32_e32 v3, v3
	v_mov_b32_e32 v13, v12
	s_delay_alu instid0(VALU_DEP_2) | instskip(SKIP_1) | instid1(VALU_DEP_2)
	v_fma_f32 v7, 0xcf800000, v3, |v1|
	v_cvt_u32_f32_e32 v1, v3
	v_cvt_u32_f32_e32 v3, v7
	s_delay_alu instid0(VALU_DEP_2) | instskip(NEXT) | instid1(VALU_DEP_2)
	v_xor_b32_e32 v17, v1, v12
	v_xor_b32_e32 v16, v3, v12
	s_delay_alu instid0(VALU_DEP_1)
	v_sub_nc_u64_e32 v[12:13], v[16:17], v[12:13]
	s_branch .LBB95_275
.LBB95_39:
	s_mov_b32 s40, -1
	s_mov_b32 s86, 0
	s_mov_b32 s39, 0
                                        ; implicit-def: $vgpr4_vgpr5
	s_branch .LBB95_62
.LBB95_40:
	s_mov_b32 s40, -1
	s_mov_b32 s85, 0
	s_mov_b32 s39, 0
                                        ; implicit-def: $vgpr8_vgpr9
	s_branch .LBB95_190
.LBB95_41:
	s_mov_b32 s35, -1
	s_mov_b32 s84, 0
	s_mov_b32 s39, 0
                                        ; implicit-def: $vgpr12_vgpr13
	s_branch .LBB95_336
.LBB95_42:
	s_mov_b32 s40, -1
	s_mov_b32 s86, 0
	s_mov_b32 s39, 0
                                        ; implicit-def: $vgpr4_vgpr5
	s_branch .LBB95_57
.LBB95_43:
	s_mov_b32 s40, -1
	s_mov_b32 s85, 0
	s_mov_b32 s39, 0
                                        ; implicit-def: $vgpr8_vgpr9
	s_branch .LBB95_173
.LBB95_44:
	s_mov_b32 s40, -1
	s_mov_b32 s84, 0
	s_mov_b32 s39, 0
                                        ; implicit-def: $vgpr12_vgpr13
	s_branch .LBB95_302
.LBB95_45:
	s_mov_b32 s40, -1
	s_mov_b32 s86, 0
	s_branch .LBB95_49
.LBB95_46:
	s_mov_b32 s40, -1
	s_mov_b32 s85, 0
	s_mov_b32 s39, 0
                                        ; implicit-def: $vgpr8_vgpr9
	s_branch .LBB95_168
.LBB95_47:
	s_mov_b32 s40, -1
	s_mov_b32 s84, 0
	s_mov_b32 s39, 0
                                        ; implicit-def: $vgpr12_vgpr13
	s_branch .LBB95_285
.LBB95_48:
	s_mov_b32 s86, -1
.LBB95_49:
	s_mov_b32 s39, 0
                                        ; implicit-def: $vgpr4_vgpr5
.LBB95_50:
	s_and_b32 vcc_lo, exec_lo, s40
	s_cbranch_vccz .LBB95_56
; %bb.51:
	s_cmp_eq_u32 s35, 44
	s_cbranch_scc0 .LBB95_55
; %bb.52:
	global_load_u8 v1, v[14:15], off
	s_mov_b32 s86, 0
	s_mov_b32 s39, -1
	s_wait_loadcnt 0x0
	v_lshlrev_b32_e32 v3, 23, v1
	v_cmp_ne_u32_e32 vcc_lo, 0, v1
	s_delay_alu instid0(VALU_DEP_2) | instskip(NEXT) | instid1(VALU_DEP_1)
	v_trunc_f32_e32 v3, v3
	v_mul_f32_e64 v4, 0x2f800000, |v3|
	s_delay_alu instid0(VALU_DEP_1) | instskip(SKIP_1) | instid1(VALU_DEP_2)
	v_floor_f32_e32 v5, v4
	v_ashrrev_i32_e32 v4, 31, v3
	v_fma_f32 v7, 0xcf800000, v5, |v3|
	v_cvt_u32_f32_e32 v3, v5
	s_delay_alu instid0(VALU_DEP_3) | instskip(NEXT) | instid1(VALU_DEP_3)
	v_mov_b32_e32 v5, v4
	v_cvt_u32_f32_e32 v7, v7
	s_delay_alu instid0(VALU_DEP_3) | instskip(NEXT) | instid1(VALU_DEP_2)
	v_xor_b32_e32 v17, v3, v4
	v_xor_b32_e32 v16, v7, v4
	s_delay_alu instid0(VALU_DEP_1) | instskip(NEXT) | instid1(VALU_DEP_1)
	v_sub_nc_u64_e32 v[4:5], v[16:17], v[4:5]
	v_dual_cndmask_b32 v5, 0, v5 :: v_dual_cndmask_b32 v4, 0, v4
	s_branch .LBB95_56
.LBB95_53:
	s_mov_b32 s40, -1
	s_mov_b32 s85, 0
	s_branch .LBB95_161
.LBB95_54:
	s_mov_b32 s40, -1
	s_mov_b32 s84, 0
	s_mov_b32 s39, 0
                                        ; implicit-def: $vgpr12_vgpr13
	s_branch .LBB95_280
.LBB95_55:
	s_mov_b32 s86, -1
                                        ; implicit-def: $vgpr4_vgpr5
.LBB95_56:
	s_mov_b32 s40, 0
.LBB95_57:
	s_delay_alu instid0(SALU_CYCLE_1)
	s_and_b32 vcc_lo, exec_lo, s40
	s_cbranch_vccz .LBB95_61
; %bb.58:
	s_cmp_eq_u32 s35, 29
	s_cbranch_scc0 .LBB95_60
; %bb.59:
	global_load_b64 v[4:5], v[14:15], off
	s_mov_b32 s39, -1
	s_mov_b32 s86, 0
	s_branch .LBB95_61
.LBB95_60:
	s_mov_b32 s86, -1
                                        ; implicit-def: $vgpr4_vgpr5
.LBB95_61:
	s_mov_b32 s40, 0
.LBB95_62:
	s_delay_alu instid0(SALU_CYCLE_1)
	s_and_b32 vcc_lo, exec_lo, s40
	s_cbranch_vccz .LBB95_78
; %bb.63:
	s_cmp_lt_i32 s35, 27
	s_cbranch_scc1 .LBB95_66
; %bb.64:
	s_cmp_gt_i32 s35, 27
	s_cbranch_scc0 .LBB95_67
; %bb.65:
	s_wait_loadcnt 0x0
	global_load_b32 v4, v[14:15], off
	v_mov_b32_e32 v5, 0
	s_mov_b32 s39, 0
	s_branch .LBB95_68
.LBB95_66:
	s_mov_b32 s39, -1
                                        ; implicit-def: $vgpr4_vgpr5
	s_branch .LBB95_71
.LBB95_67:
	s_mov_b32 s39, -1
                                        ; implicit-def: $vgpr4_vgpr5
.LBB95_68:
	s_delay_alu instid0(SALU_CYCLE_1)
	s_and_not1_b32 vcc_lo, exec_lo, s39
	s_cbranch_vccnz .LBB95_70
; %bb.69:
	global_load_u16 v1, v[14:15], off
	s_mov_b32 s20, 0
	s_wait_loadcnt 0x1
	v_mov_b32_e32 v5, s20
	s_wait_loadcnt 0x0
	v_and_b32_e32 v4, 0xffff, v1
.LBB95_70:
	s_mov_b32 s39, 0
.LBB95_71:
	s_delay_alu instid0(SALU_CYCLE_1)
	s_and_not1_b32 vcc_lo, exec_lo, s39
	s_cbranch_vccnz .LBB95_77
; %bb.72:
	global_load_u8 v1, v[14:15], off
	s_mov_b32 s40, 0
	s_mov_b32 s20, exec_lo
	s_wait_loadcnt 0x0
	v_cmpx_lt_i16_e32 0x7f, v1
	s_xor_b32 s39, exec_lo, s20
	s_cbranch_execz .LBB95_88
; %bb.73:
	v_cmp_ne_u16_e32 vcc_lo, 0x80, v1
	s_and_b32 s40, vcc_lo, exec_lo
	s_and_not1_saveexec_b32 s39, s39
	s_cbranch_execnz .LBB95_89
.LBB95_74:
	s_or_b32 exec_lo, exec_lo, s39
	v_mov_b64_e32 v[4:5], 0
	s_and_saveexec_b32 s39, s40
	s_cbranch_execz .LBB95_76
.LBB95_75:
	v_and_b32_e32 v3, 0xffff, v1
	s_delay_alu instid0(VALU_DEP_1) | instskip(SKIP_1) | instid1(VALU_DEP_2)
	v_and_b32_e32 v4, 7, v3
	v_bfe_u32 v9, v3, 3, 4
	v_clz_i32_u32_e32 v5, v4
	s_delay_alu instid0(VALU_DEP_2) | instskip(NEXT) | instid1(VALU_DEP_2)
	v_cmp_eq_u32_e32 vcc_lo, 0, v9
	v_min_u32_e32 v5, 32, v5
	s_delay_alu instid0(VALU_DEP_1) | instskip(NEXT) | instid1(VALU_DEP_1)
	v_subrev_nc_u32_e32 v7, 28, v5
	v_dual_lshlrev_b32 v3, v7, v3 :: v_dual_sub_nc_u32 v5, 29, v5
	s_delay_alu instid0(VALU_DEP_1) | instskip(NEXT) | instid1(VALU_DEP_1)
	v_dual_lshlrev_b32 v1, 24, v1 :: v_dual_bitop2_b32 v3, 7, v3 bitop3:0x40
	v_dual_cndmask_b32 v3, v4, v3, vcc_lo :: v_dual_cndmask_b32 v5, v9, v5, vcc_lo
	s_delay_alu instid0(VALU_DEP_2) | instskip(NEXT) | instid1(VALU_DEP_2)
	v_and_b32_e32 v1, 0x80000000, v1
	v_lshlrev_b32_e32 v3, 20, v3
	s_delay_alu instid0(VALU_DEP_3) | instskip(NEXT) | instid1(VALU_DEP_1)
	v_lshl_add_u32 v4, v5, 23, 0x3b800000
	v_or3_b32 v1, v1, v4, v3
	s_delay_alu instid0(VALU_DEP_1) | instskip(NEXT) | instid1(VALU_DEP_1)
	v_trunc_f32_e32 v1, v1
	v_mul_f32_e64 v3, 0x2f800000, |v1|
	v_ashrrev_i32_e32 v4, 31, v1
	s_delay_alu instid0(VALU_DEP_2) | instskip(NEXT) | instid1(VALU_DEP_1)
	v_floor_f32_e32 v3, v3
	v_fma_f32 v5, 0xcf800000, v3, |v1|
	v_cvt_u32_f32_e32 v1, v3
	s_delay_alu instid0(VALU_DEP_2) | instskip(NEXT) | instid1(VALU_DEP_2)
	v_cvt_u32_f32_e32 v3, v5
	v_dual_mov_b32 v5, v4 :: v_dual_bitop2_b32 v17, v1, v4 bitop3:0x14
	s_delay_alu instid0(VALU_DEP_2) | instskip(NEXT) | instid1(VALU_DEP_1)
	v_xor_b32_e32 v16, v3, v4
	v_sub_nc_u64_e32 v[4:5], v[16:17], v[4:5]
.LBB95_76:
	s_or_b32 exec_lo, exec_lo, s39
.LBB95_77:
	s_mov_b32 s39, -1
.LBB95_78:
	s_branch .LBB95_111
.LBB95_79:
	s_cmp_gt_i32 s35, 22
	s_cbranch_scc0 .LBB95_87
; %bb.80:
	s_cmp_lt_i32 s35, 24
	s_cbranch_scc1 .LBB95_90
; %bb.81:
	s_cmp_gt_i32 s35, 24
	s_cbranch_scc0 .LBB95_91
; %bb.82:
	global_load_u8 v1, v[14:15], off
	s_mov_b32 s40, 0
	s_mov_b32 s20, exec_lo
	s_wait_loadcnt 0x0
	v_cmpx_lt_i16_e32 0x7f, v1
	s_xor_b32 s39, exec_lo, s20
	s_cbranch_execz .LBB95_103
; %bb.83:
	v_cmp_ne_u16_e32 vcc_lo, 0x80, v1
	s_and_b32 s40, vcc_lo, exec_lo
	s_and_not1_saveexec_b32 s39, s39
	s_cbranch_execnz .LBB95_104
.LBB95_84:
	s_or_b32 exec_lo, exec_lo, s39
	v_mov_b64_e32 v[4:5], 0
	s_and_saveexec_b32 s39, s40
	s_cbranch_execz .LBB95_86
.LBB95_85:
	v_and_b32_e32 v3, 0xffff, v1
	s_delay_alu instid0(VALU_DEP_1) | instskip(SKIP_1) | instid1(VALU_DEP_2)
	v_and_b32_e32 v4, 3, v3
	v_bfe_u32 v9, v3, 2, 5
	v_clz_i32_u32_e32 v5, v4
	s_delay_alu instid0(VALU_DEP_2) | instskip(NEXT) | instid1(VALU_DEP_2)
	v_cmp_eq_u32_e32 vcc_lo, 0, v9
	v_min_u32_e32 v5, 32, v5
	s_delay_alu instid0(VALU_DEP_1) | instskip(NEXT) | instid1(VALU_DEP_1)
	v_subrev_nc_u32_e32 v7, 29, v5
	v_dual_lshlrev_b32 v3, v7, v3 :: v_dual_sub_nc_u32 v5, 30, v5
	s_delay_alu instid0(VALU_DEP_1) | instskip(NEXT) | instid1(VALU_DEP_1)
	v_dual_lshlrev_b32 v1, 24, v1 :: v_dual_bitop2_b32 v3, 3, v3 bitop3:0x40
	v_dual_cndmask_b32 v3, v4, v3, vcc_lo :: v_dual_cndmask_b32 v5, v9, v5, vcc_lo
	s_delay_alu instid0(VALU_DEP_2) | instskip(NEXT) | instid1(VALU_DEP_2)
	v_and_b32_e32 v1, 0x80000000, v1
	v_lshlrev_b32_e32 v3, 21, v3
	s_delay_alu instid0(VALU_DEP_3) | instskip(NEXT) | instid1(VALU_DEP_1)
	v_lshl_add_u32 v4, v5, 23, 0x37800000
	v_or3_b32 v1, v1, v4, v3
	s_delay_alu instid0(VALU_DEP_1) | instskip(NEXT) | instid1(VALU_DEP_1)
	v_trunc_f32_e32 v1, v1
	v_mul_f32_e64 v3, 0x2f800000, |v1|
	v_ashrrev_i32_e32 v4, 31, v1
	s_delay_alu instid0(VALU_DEP_2) | instskip(NEXT) | instid1(VALU_DEP_1)
	v_floor_f32_e32 v3, v3
	v_fma_f32 v5, 0xcf800000, v3, |v1|
	v_cvt_u32_f32_e32 v1, v3
	s_delay_alu instid0(VALU_DEP_2) | instskip(NEXT) | instid1(VALU_DEP_2)
	v_cvt_u32_f32_e32 v3, v5
	v_dual_mov_b32 v5, v4 :: v_dual_bitop2_b32 v17, v1, v4 bitop3:0x14
	s_delay_alu instid0(VALU_DEP_2) | instskip(NEXT) | instid1(VALU_DEP_1)
	v_xor_b32_e32 v16, v3, v4
	v_sub_nc_u64_e32 v[4:5], v[16:17], v[4:5]
.LBB95_86:
	s_or_b32 exec_lo, exec_lo, s39
	s_mov_b32 s39, 0
	s_branch .LBB95_92
.LBB95_87:
	s_mov_b32 s40, -1
                                        ; implicit-def: $vgpr4_vgpr5
	s_branch .LBB95_98
.LBB95_88:
	s_and_not1_saveexec_b32 s39, s39
	s_cbranch_execz .LBB95_74
.LBB95_89:
	v_cmp_ne_u16_e32 vcc_lo, 0, v1
	s_and_not1_b32 s20, s40, exec_lo
	s_and_b32 s21, vcc_lo, exec_lo
	s_delay_alu instid0(SALU_CYCLE_1)
	s_or_b32 s40, s20, s21
	s_or_b32 exec_lo, exec_lo, s39
	v_mov_b64_e32 v[4:5], 0
	s_and_saveexec_b32 s39, s40
	s_cbranch_execnz .LBB95_75
	s_branch .LBB95_76
.LBB95_90:
	s_mov_b32 s39, -1
                                        ; implicit-def: $vgpr4_vgpr5
	s_branch .LBB95_95
.LBB95_91:
	s_mov_b32 s39, -1
                                        ; implicit-def: $vgpr4_vgpr5
.LBB95_92:
	s_delay_alu instid0(SALU_CYCLE_1)
	s_and_b32 vcc_lo, exec_lo, s39
	s_cbranch_vccz .LBB95_94
; %bb.93:
	global_load_u8 v1, v[14:15], off
	s_wait_loadcnt 0x0
	v_lshlrev_b32_e32 v1, 24, v1
	s_delay_alu instid0(VALU_DEP_1) | instskip(NEXT) | instid1(VALU_DEP_1)
	v_and_b32_e32 v3, 0x7f000000, v1
	v_clz_i32_u32_e32 v4, v3
	v_add_nc_u32_e32 v7, 0x1000000, v3
	v_cmp_ne_u32_e32 vcc_lo, 0, v3
	s_delay_alu instid0(VALU_DEP_3) | instskip(NEXT) | instid1(VALU_DEP_1)
	v_min_u32_e32 v4, 32, v4
	v_sub_nc_u32_e64 v4, v4, 4 clamp
	s_delay_alu instid0(VALU_DEP_1) | instskip(NEXT) | instid1(VALU_DEP_1)
	v_dual_lshlrev_b32 v5, v4, v3 :: v_dual_lshlrev_b32 v4, 23, v4
	v_lshrrev_b32_e32 v5, 4, v5
	s_delay_alu instid0(VALU_DEP_1) | instskip(NEXT) | instid1(VALU_DEP_1)
	v_dual_sub_nc_u32 v4, v5, v4 :: v_dual_ashrrev_i32 v5, 8, v7
	v_add_nc_u32_e32 v4, 0x3c000000, v4
	s_delay_alu instid0(VALU_DEP_1) | instskip(NEXT) | instid1(VALU_DEP_1)
	v_and_or_b32 v4, 0x7f800000, v5, v4
	v_cndmask_b32_e32 v3, 0, v4, vcc_lo
	s_delay_alu instid0(VALU_DEP_1) | instskip(NEXT) | instid1(VALU_DEP_1)
	v_and_or_b32 v1, 0x80000000, v1, v3
	v_trunc_f32_e32 v1, v1
	s_delay_alu instid0(VALU_DEP_1) | instskip(SKIP_1) | instid1(VALU_DEP_2)
	v_mul_f32_e64 v3, 0x2f800000, |v1|
	v_ashrrev_i32_e32 v4, 31, v1
	v_floor_f32_e32 v3, v3
	s_delay_alu instid0(VALU_DEP_1) | instskip(SKIP_1) | instid1(VALU_DEP_2)
	v_fma_f32 v5, 0xcf800000, v3, |v1|
	v_cvt_u32_f32_e32 v1, v3
	v_cvt_u32_f32_e32 v3, v5
	s_delay_alu instid0(VALU_DEP_2) | instskip(NEXT) | instid1(VALU_DEP_2)
	v_dual_mov_b32 v5, v4 :: v_dual_bitop2_b32 v17, v1, v4 bitop3:0x14
	v_xor_b32_e32 v16, v3, v4
	s_delay_alu instid0(VALU_DEP_1)
	v_sub_nc_u64_e32 v[4:5], v[16:17], v[4:5]
.LBB95_94:
	s_mov_b32 s39, 0
.LBB95_95:
	s_delay_alu instid0(SALU_CYCLE_1)
	s_and_not1_b32 vcc_lo, exec_lo, s39
	s_cbranch_vccnz .LBB95_97
; %bb.96:
	global_load_u8 v1, v[14:15], off
	s_wait_loadcnt 0x0
	v_lshlrev_b32_e32 v3, 25, v1
	v_lshlrev_b16 v1, 8, v1
	s_delay_alu instid0(VALU_DEP_1) | instskip(NEXT) | instid1(VALU_DEP_3)
	v_and_or_b32 v5, 0x7f00, v1, 0.5
	v_lshrrev_b32_e32 v4, 4, v3
	v_bfe_i32 v1, v1, 0, 16
	s_delay_alu instid0(VALU_DEP_3) | instskip(NEXT) | instid1(VALU_DEP_3)
	v_add_f32_e32 v5, -0.5, v5
	v_or_b32_e32 v4, 0x70000000, v4
	s_delay_alu instid0(VALU_DEP_1) | instskip(SKIP_1) | instid1(VALU_DEP_2)
	v_mul_f32_e32 v4, 0x7800000, v4
	v_cmp_gt_u32_e32 vcc_lo, 0x8000000, v3
	v_cndmask_b32_e32 v3, v4, v5, vcc_lo
	s_delay_alu instid0(VALU_DEP_1) | instskip(NEXT) | instid1(VALU_DEP_1)
	v_and_or_b32 v1, 0x80000000, v1, v3
	v_trunc_f32_e32 v1, v1
	s_delay_alu instid0(VALU_DEP_1) | instskip(SKIP_1) | instid1(VALU_DEP_2)
	v_mul_f32_e64 v3, 0x2f800000, |v1|
	v_ashrrev_i32_e32 v4, 31, v1
	v_floor_f32_e32 v3, v3
	s_delay_alu instid0(VALU_DEP_1) | instskip(SKIP_1) | instid1(VALU_DEP_2)
	v_fma_f32 v5, 0xcf800000, v3, |v1|
	v_cvt_u32_f32_e32 v1, v3
	v_cvt_u32_f32_e32 v3, v5
	s_delay_alu instid0(VALU_DEP_2) | instskip(NEXT) | instid1(VALU_DEP_2)
	v_dual_mov_b32 v5, v4 :: v_dual_bitop2_b32 v17, v1, v4 bitop3:0x14
	v_xor_b32_e32 v16, v3, v4
	s_delay_alu instid0(VALU_DEP_1)
	v_sub_nc_u64_e32 v[4:5], v[16:17], v[4:5]
.LBB95_97:
	s_mov_b32 s40, 0
	s_mov_b32 s39, -1
.LBB95_98:
	s_and_not1_b32 vcc_lo, exec_lo, s40
	s_cbranch_vccnz .LBB95_111
; %bb.99:
	s_cmp_gt_i32 s35, 14
	s_cbranch_scc0 .LBB95_102
; %bb.100:
	s_cmp_eq_u32 s35, 15
	s_cbranch_scc0 .LBB95_105
; %bb.101:
	global_load_u16 v1, v[14:15], off
	s_mov_b32 s39, -1
	s_mov_b32 s86, 0
	s_wait_loadcnt 0x0
	v_lshlrev_b32_e32 v1, 16, v1
	s_delay_alu instid0(VALU_DEP_1) | instskip(NEXT) | instid1(VALU_DEP_1)
	v_trunc_f32_e32 v1, v1
	v_mul_f32_e64 v3, 0x2f800000, |v1|
	v_ashrrev_i32_e32 v4, 31, v1
	s_delay_alu instid0(VALU_DEP_2) | instskip(NEXT) | instid1(VALU_DEP_1)
	v_floor_f32_e32 v3, v3
	v_fma_f32 v5, 0xcf800000, v3, |v1|
	v_cvt_u32_f32_e32 v1, v3
	s_delay_alu instid0(VALU_DEP_2) | instskip(NEXT) | instid1(VALU_DEP_2)
	v_cvt_u32_f32_e32 v3, v5
	v_dual_mov_b32 v5, v4 :: v_dual_bitop2_b32 v17, v1, v4 bitop3:0x14
	s_delay_alu instid0(VALU_DEP_2) | instskip(NEXT) | instid1(VALU_DEP_1)
	v_xor_b32_e32 v16, v3, v4
	v_sub_nc_u64_e32 v[4:5], v[16:17], v[4:5]
	s_branch .LBB95_106
.LBB95_102:
	s_mov_b32 s40, -1
                                        ; implicit-def: $vgpr4_vgpr5
	s_branch .LBB95_107
.LBB95_103:
	s_and_not1_saveexec_b32 s39, s39
	s_cbranch_execz .LBB95_84
.LBB95_104:
	v_cmp_ne_u16_e32 vcc_lo, 0, v1
	s_and_not1_b32 s20, s40, exec_lo
	s_and_b32 s21, vcc_lo, exec_lo
	s_delay_alu instid0(SALU_CYCLE_1)
	s_or_b32 s40, s20, s21
	s_or_b32 exec_lo, exec_lo, s39
	v_mov_b64_e32 v[4:5], 0
	s_and_saveexec_b32 s39, s40
	s_cbranch_execnz .LBB95_85
	s_branch .LBB95_86
.LBB95_105:
	s_mov_b32 s86, -1
                                        ; implicit-def: $vgpr4_vgpr5
.LBB95_106:
	s_mov_b32 s40, 0
.LBB95_107:
	s_delay_alu instid0(SALU_CYCLE_1)
	s_and_b32 vcc_lo, exec_lo, s40
	s_cbranch_vccz .LBB95_111
; %bb.108:
	s_cmp_eq_u32 s35, 11
	s_cbranch_scc0 .LBB95_110
; %bb.109:
	global_load_u8 v1, v[14:15], off
	s_mov_b32 s86, 0
	s_mov_b32 s39, -1
	s_wait_loadcnt 0x1
	v_mov_b32_e32 v5, s86
	s_wait_loadcnt 0x0
	v_cmp_ne_u16_e32 vcc_lo, 0, v1
	v_cndmask_b32_e64 v4, 0, 1, vcc_lo
	s_branch .LBB95_111
.LBB95_110:
	s_mov_b32 s86, -1
                                        ; implicit-def: $vgpr4_vgpr5
.LBB95_111:
	s_branch .LBB95_21
.LBB95_112:
	s_and_b32 s0, 0xffff, s0
	s_delay_alu instid0(SALU_CYCLE_1)
	s_cmp_lt_i32 s0, 5
	s_cbranch_scc1 .LBB95_117
; %bb.113:
	s_cmp_lt_i32 s0, 8
	s_cbranch_scc1 .LBB95_118
; %bb.114:
	;; [unrolled: 3-line block ×3, first 2 shown]
	s_cmp_gt_i32 s0, 9
	s_cbranch_scc0 .LBB95_120
; %bb.116:
	s_wait_loadcnt 0x0
	global_load_b64 v[4:5], v[14:15], off
	s_mov_b32 s35, 0
	s_wait_loadcnt 0x0
	v_trunc_f64_e32 v[4:5], v[4:5]
	s_delay_alu instid0(VALU_DEP_1) | instskip(NEXT) | instid1(VALU_DEP_1)
	v_ldexp_f64 v[16:17], v[4:5], 0xffffffe0
	v_floor_f64_e32 v[16:17], v[16:17]
	s_delay_alu instid0(VALU_DEP_1) | instskip(SKIP_1) | instid1(VALU_DEP_2)
	v_fmamk_f64 v[18:19], v[16:17], 0xc1f00000, v[4:5]
	v_cvt_i32_f64_e32 v5, v[16:17]
	v_cvt_u32_f64_e32 v4, v[18:19]
	s_branch .LBB95_121
.LBB95_117:
                                        ; implicit-def: $vgpr4_vgpr5
	s_branch .LBB95_139
.LBB95_118:
	s_mov_b32 s35, -1
                                        ; implicit-def: $vgpr4_vgpr5
	s_branch .LBB95_127
.LBB95_119:
	s_mov_b32 s35, -1
                                        ; implicit-def: $vgpr4_vgpr5
	s_branch .LBB95_124
.LBB95_120:
	s_mov_b32 s35, -1
                                        ; implicit-def: $vgpr4_vgpr5
.LBB95_121:
	s_delay_alu instid0(SALU_CYCLE_1)
	s_and_not1_b32 vcc_lo, exec_lo, s35
	s_cbranch_vccnz .LBB95_123
; %bb.122:
	global_load_b32 v1, v[14:15], off
	s_wait_loadcnt 0x0
	v_trunc_f32_e32 v1, v1
	s_delay_alu instid0(VALU_DEP_1) | instskip(SKIP_1) | instid1(VALU_DEP_2)
	v_mul_f32_e64 v3, 0x2f800000, |v1|
	v_ashrrev_i32_e32 v4, 31, v1
	v_floor_f32_e32 v3, v3
	s_delay_alu instid0(VALU_DEP_1) | instskip(SKIP_1) | instid1(VALU_DEP_2)
	v_fma_f32 v5, 0xcf800000, v3, |v1|
	v_cvt_u32_f32_e32 v1, v3
	v_cvt_u32_f32_e32 v3, v5
	s_delay_alu instid0(VALU_DEP_2) | instskip(NEXT) | instid1(VALU_DEP_2)
	v_dual_mov_b32 v5, v4 :: v_dual_bitop2_b32 v17, v1, v4 bitop3:0x14
	v_xor_b32_e32 v16, v3, v4
	s_delay_alu instid0(VALU_DEP_1)
	v_sub_nc_u64_e32 v[4:5], v[16:17], v[4:5]
.LBB95_123:
	s_mov_b32 s35, 0
.LBB95_124:
	s_delay_alu instid0(SALU_CYCLE_1)
	s_and_not1_b32 vcc_lo, exec_lo, s35
	s_cbranch_vccnz .LBB95_126
; %bb.125:
	global_load_b32 v1, v[14:15], off
	s_wait_loadcnt 0x0
	v_cvt_f32_f16_e32 v1, v1
	s_delay_alu instid0(VALU_DEP_1) | instskip(NEXT) | instid1(VALU_DEP_1)
	v_cvt_i32_f32_e32 v4, v1
	v_ashrrev_i32_e32 v5, 31, v4
.LBB95_126:
	s_mov_b32 s35, 0
.LBB95_127:
	s_delay_alu instid0(SALU_CYCLE_1)
	s_and_not1_b32 vcc_lo, exec_lo, s35
	s_cbranch_vccnz .LBB95_138
; %bb.128:
	s_cmp_lt_i32 s0, 6
	s_cbranch_scc1 .LBB95_131
; %bb.129:
	s_cmp_gt_i32 s0, 6
	s_cbranch_scc0 .LBB95_132
; %bb.130:
	s_wait_loadcnt 0x0
	global_load_b64 v[4:5], v[14:15], off
	s_mov_b32 s35, 0
	s_wait_loadcnt 0x0
	v_trunc_f64_e32 v[4:5], v[4:5]
	s_delay_alu instid0(VALU_DEP_1) | instskip(NEXT) | instid1(VALU_DEP_1)
	v_ldexp_f64 v[16:17], v[4:5], 0xffffffe0
	v_floor_f64_e32 v[16:17], v[16:17]
	s_delay_alu instid0(VALU_DEP_1) | instskip(SKIP_1) | instid1(VALU_DEP_2)
	v_fmamk_f64 v[18:19], v[16:17], 0xc1f00000, v[4:5]
	v_cvt_i32_f64_e32 v5, v[16:17]
	v_cvt_u32_f64_e32 v4, v[18:19]
	s_branch .LBB95_133
.LBB95_131:
	s_mov_b32 s35, -1
                                        ; implicit-def: $vgpr4_vgpr5
	s_branch .LBB95_136
.LBB95_132:
	s_mov_b32 s35, -1
                                        ; implicit-def: $vgpr4_vgpr5
.LBB95_133:
	s_delay_alu instid0(SALU_CYCLE_1)
	s_and_not1_b32 vcc_lo, exec_lo, s35
	s_cbranch_vccnz .LBB95_135
; %bb.134:
	global_load_b32 v1, v[14:15], off
	s_wait_loadcnt 0x0
	v_trunc_f32_e32 v1, v1
	s_delay_alu instid0(VALU_DEP_1) | instskip(SKIP_1) | instid1(VALU_DEP_2)
	v_mul_f32_e64 v3, 0x2f800000, |v1|
	v_ashrrev_i32_e32 v4, 31, v1
	v_floor_f32_e32 v3, v3
	s_delay_alu instid0(VALU_DEP_1) | instskip(SKIP_1) | instid1(VALU_DEP_2)
	v_fma_f32 v5, 0xcf800000, v3, |v1|
	v_cvt_u32_f32_e32 v1, v3
	v_cvt_u32_f32_e32 v3, v5
	s_delay_alu instid0(VALU_DEP_2) | instskip(NEXT) | instid1(VALU_DEP_2)
	v_dual_mov_b32 v5, v4 :: v_dual_bitop2_b32 v17, v1, v4 bitop3:0x14
	v_xor_b32_e32 v16, v3, v4
	s_delay_alu instid0(VALU_DEP_1)
	v_sub_nc_u64_e32 v[4:5], v[16:17], v[4:5]
.LBB95_135:
	s_mov_b32 s35, 0
.LBB95_136:
	s_delay_alu instid0(SALU_CYCLE_1)
	s_and_not1_b32 vcc_lo, exec_lo, s35
	s_cbranch_vccnz .LBB95_138
; %bb.137:
	global_load_u16 v1, v[14:15], off
	s_wait_loadcnt 0x0
	v_cvt_f32_f16_e32 v1, v1
	s_delay_alu instid0(VALU_DEP_1) | instskip(NEXT) | instid1(VALU_DEP_1)
	v_cvt_i32_f32_e32 v4, v1
	v_ashrrev_i32_e32 v5, 31, v4
.LBB95_138:
	s_cbranch_execnz .LBB95_158
.LBB95_139:
	s_cmp_lt_i32 s0, 2
	s_cbranch_scc1 .LBB95_143
; %bb.140:
	s_cmp_lt_i32 s0, 3
	s_cbranch_scc1 .LBB95_144
; %bb.141:
	s_cmp_gt_i32 s0, 3
	s_cbranch_scc0 .LBB95_145
; %bb.142:
	s_wait_loadcnt 0x0
	global_load_b64 v[4:5], v[14:15], off
	s_mov_b32 s35, 0
	s_branch .LBB95_146
.LBB95_143:
	s_mov_b32 s35, -1
                                        ; implicit-def: $vgpr4_vgpr5
	s_branch .LBB95_152
.LBB95_144:
	s_mov_b32 s35, -1
                                        ; implicit-def: $vgpr4_vgpr5
	s_branch .LBB95_149
.LBB95_145:
	s_mov_b32 s35, -1
                                        ; implicit-def: $vgpr4_vgpr5
.LBB95_146:
	s_delay_alu instid0(SALU_CYCLE_1)
	s_and_not1_b32 vcc_lo, exec_lo, s35
	s_cbranch_vccnz .LBB95_148
; %bb.147:
	s_wait_loadcnt 0x0
	global_load_b32 v4, v[14:15], off
	s_wait_loadcnt 0x0
	v_ashrrev_i32_e32 v5, 31, v4
.LBB95_148:
	s_mov_b32 s35, 0
.LBB95_149:
	s_delay_alu instid0(SALU_CYCLE_1)
	s_and_not1_b32 vcc_lo, exec_lo, s35
	s_cbranch_vccnz .LBB95_151
; %bb.150:
	global_load_u16 v1, v[14:15], off
	s_wait_loadcnt 0x0
	v_bfe_i32 v4, v1, 0, 16
	s_delay_alu instid0(VALU_DEP_1)
	v_ashrrev_i32_e32 v5, 31, v4
.LBB95_151:
	s_mov_b32 s35, 0
.LBB95_152:
	s_delay_alu instid0(SALU_CYCLE_1)
	s_and_not1_b32 vcc_lo, exec_lo, s35
	s_cbranch_vccnz .LBB95_158
; %bb.153:
	s_cmp_gt_i32 s0, 0
	s_mov_b32 s0, 0
	s_cbranch_scc0 .LBB95_155
; %bb.154:
	global_load_i8 v1, v[14:15], off
	s_wait_loadcnt 0x0
	v_bfe_i32 v4, v1, 0, 16
	s_delay_alu instid0(VALU_DEP_1)
	v_ashrrev_i32_e32 v5, 31, v4
	s_branch .LBB95_156
.LBB95_155:
	s_mov_b32 s0, -1
                                        ; implicit-def: $vgpr4_vgpr5
.LBB95_156:
	s_delay_alu instid0(SALU_CYCLE_1)
	s_and_not1_b32 vcc_lo, exec_lo, s0
	s_cbranch_vccnz .LBB95_158
; %bb.157:
	global_load_u8 v1, v[14:15], off
	s_mov_b32 s0, 0
	s_wait_loadcnt 0x1
	v_mov_b32_e32 v5, s0
	s_wait_loadcnt 0x0
	v_and_b32_e32 v4, 0xffff, v1
.LBB95_158:
	s_branch .LBB95_22
.LBB95_159:
	s_mov_b32 s0, 0
	s_mov_b32 s35, 0
	;; [unrolled: 1-line block ×10, first 2 shown]
	s_branch .LBB95_649
.LBB95_160:
	s_mov_b32 s85, -1
.LBB95_161:
	s_mov_b32 s39, 0
                                        ; implicit-def: $vgpr8_vgpr9
.LBB95_162:
	s_and_b32 vcc_lo, exec_lo, s40
	s_cbranch_vccz .LBB95_167
; %bb.163:
	s_cmp_eq_u32 s35, 44
	s_cbranch_scc0 .LBB95_166
; %bb.164:
	global_load_u8 v1, v[14:15], off
	s_mov_b32 s85, 0
	s_mov_b32 s39, -1
	s_wait_loadcnt 0x0
	v_lshlrev_b32_e32 v3, 23, v1
	v_cmp_ne_u32_e32 vcc_lo, 0, v1
	s_delay_alu instid0(VALU_DEP_2) | instskip(NEXT) | instid1(VALU_DEP_1)
	v_trunc_f32_e32 v3, v3
	v_mul_f32_e64 v7, 0x2f800000, |v3|
	v_ashrrev_i32_e32 v8, 31, v3
	s_delay_alu instid0(VALU_DEP_2) | instskip(NEXT) | instid1(VALU_DEP_1)
	v_floor_f32_e32 v7, v7
	v_fma_f32 v9, 0xcf800000, v7, |v3|
	v_cvt_u32_f32_e32 v3, v7
	s_delay_alu instid0(VALU_DEP_2) | instskip(NEXT) | instid1(VALU_DEP_2)
	v_cvt_u32_f32_e32 v7, v9
	v_dual_mov_b32 v9, v8 :: v_dual_bitop2_b32 v17, v3, v8 bitop3:0x14
	s_delay_alu instid0(VALU_DEP_2) | instskip(NEXT) | instid1(VALU_DEP_1)
	v_xor_b32_e32 v16, v7, v8
	v_sub_nc_u64_e32 v[8:9], v[16:17], v[8:9]
	s_delay_alu instid0(VALU_DEP_1)
	v_dual_cndmask_b32 v9, 0, v9 :: v_dual_cndmask_b32 v8, 0, v8
	s_branch .LBB95_167
.LBB95_165:
	s_mov_b32 s40, -1
	s_mov_b32 s84, 0
	s_branch .LBB95_274
.LBB95_166:
	s_mov_b32 s85, -1
                                        ; implicit-def: $vgpr8_vgpr9
.LBB95_167:
	s_mov_b32 s40, 0
.LBB95_168:
	s_delay_alu instid0(SALU_CYCLE_1)
	s_and_b32 vcc_lo, exec_lo, s40
	s_cbranch_vccz .LBB95_172
; %bb.169:
	s_cmp_eq_u32 s35, 29
	s_cbranch_scc0 .LBB95_171
; %bb.170:
	global_load_b64 v[8:9], v[14:15], off
	s_mov_b32 s39, -1
	s_mov_b32 s85, 0
	s_branch .LBB95_172
.LBB95_171:
	s_mov_b32 s85, -1
                                        ; implicit-def: $vgpr8_vgpr9
.LBB95_172:
	s_mov_b32 s40, 0
.LBB95_173:
	s_delay_alu instid0(SALU_CYCLE_1)
	s_and_b32 vcc_lo, exec_lo, s40
	s_cbranch_vccz .LBB95_189
; %bb.174:
	s_cmp_lt_i32 s35, 27
	s_cbranch_scc1 .LBB95_177
; %bb.175:
	s_cmp_gt_i32 s35, 27
	s_cbranch_scc0 .LBB95_178
; %bb.176:
	s_wait_loadcnt 0x0
	global_load_b32 v8, v[14:15], off
	v_mov_b32_e32 v9, 0
	s_mov_b32 s39, 0
	s_branch .LBB95_179
.LBB95_177:
	s_mov_b32 s39, -1
                                        ; implicit-def: $vgpr8_vgpr9
	s_branch .LBB95_182
.LBB95_178:
	s_mov_b32 s39, -1
                                        ; implicit-def: $vgpr8_vgpr9
.LBB95_179:
	s_delay_alu instid0(SALU_CYCLE_1)
	s_and_not1_b32 vcc_lo, exec_lo, s39
	s_cbranch_vccnz .LBB95_181
; %bb.180:
	global_load_u16 v1, v[14:15], off
	s_mov_b32 s20, 0
	s_wait_loadcnt 0x1
	v_mov_b32_e32 v9, s20
	s_wait_loadcnt 0x0
	v_and_b32_e32 v8, 0xffff, v1
.LBB95_181:
	s_mov_b32 s39, 0
.LBB95_182:
	s_delay_alu instid0(SALU_CYCLE_1)
	s_and_not1_b32 vcc_lo, exec_lo, s39
	s_cbranch_vccnz .LBB95_188
; %bb.183:
	global_load_u8 v1, v[14:15], off
	s_mov_b32 s40, 0
	s_mov_b32 s20, exec_lo
	s_wait_loadcnt 0x0
	v_cmpx_lt_i16_e32 0x7f, v1
	s_xor_b32 s39, exec_lo, s20
	s_cbranch_execz .LBB95_200
; %bb.184:
	v_cmp_ne_u16_e32 vcc_lo, 0x80, v1
	s_and_b32 s40, vcc_lo, exec_lo
	s_and_not1_saveexec_b32 s39, s39
	s_cbranch_execnz .LBB95_201
.LBB95_185:
	s_or_b32 exec_lo, exec_lo, s39
	v_mov_b64_e32 v[8:9], 0
	s_and_saveexec_b32 s39, s40
	s_cbranch_execz .LBB95_187
.LBB95_186:
	v_and_b32_e32 v3, 0xffff, v1
	s_delay_alu instid0(VALU_DEP_1) | instskip(SKIP_1) | instid1(VALU_DEP_2)
	v_and_b32_e32 v7, 7, v3
	v_bfe_u32 v11, v3, 3, 4
	v_clz_i32_u32_e32 v8, v7
	s_delay_alu instid0(VALU_DEP_2) | instskip(NEXT) | instid1(VALU_DEP_2)
	v_cmp_eq_u32_e32 vcc_lo, 0, v11
	v_min_u32_e32 v8, 32, v8
	s_delay_alu instid0(VALU_DEP_1) | instskip(NEXT) | instid1(VALU_DEP_1)
	v_subrev_nc_u32_e32 v9, 28, v8
	v_dual_lshlrev_b32 v3, v9, v3 :: v_dual_sub_nc_u32 v8, 29, v8
	s_delay_alu instid0(VALU_DEP_1) | instskip(NEXT) | instid1(VALU_DEP_2)
	v_dual_lshlrev_b32 v1, 24, v1 :: v_dual_bitop2_b32 v3, 7, v3 bitop3:0x40
	v_cndmask_b32_e32 v8, v11, v8, vcc_lo
	s_delay_alu instid0(VALU_DEP_2) | instskip(NEXT) | instid1(VALU_DEP_3)
	v_cndmask_b32_e32 v3, v7, v3, vcc_lo
	v_and_b32_e32 v1, 0x80000000, v1
	s_delay_alu instid0(VALU_DEP_3) | instskip(NEXT) | instid1(VALU_DEP_3)
	v_lshl_add_u32 v7, v8, 23, 0x3b800000
	v_lshlrev_b32_e32 v3, 20, v3
	s_delay_alu instid0(VALU_DEP_1) | instskip(NEXT) | instid1(VALU_DEP_1)
	v_or3_b32 v1, v1, v7, v3
	v_trunc_f32_e32 v1, v1
	s_delay_alu instid0(VALU_DEP_1) | instskip(SKIP_1) | instid1(VALU_DEP_2)
	v_mul_f32_e64 v3, 0x2f800000, |v1|
	v_ashrrev_i32_e32 v8, 31, v1
	v_floor_f32_e32 v3, v3
	s_delay_alu instid0(VALU_DEP_2) | instskip(NEXT) | instid1(VALU_DEP_2)
	v_mov_b32_e32 v9, v8
	v_fma_f32 v7, 0xcf800000, v3, |v1|
	v_cvt_u32_f32_e32 v1, v3
	s_delay_alu instid0(VALU_DEP_2) | instskip(NEXT) | instid1(VALU_DEP_2)
	v_cvt_u32_f32_e32 v3, v7
	v_xor_b32_e32 v17, v1, v8
	s_delay_alu instid0(VALU_DEP_2) | instskip(NEXT) | instid1(VALU_DEP_1)
	v_xor_b32_e32 v16, v3, v8
	v_sub_nc_u64_e32 v[8:9], v[16:17], v[8:9]
.LBB95_187:
	s_or_b32 exec_lo, exec_lo, s39
.LBB95_188:
	s_mov_b32 s39, -1
.LBB95_189:
	s_mov_b32 s40, 0
.LBB95_190:
	s_delay_alu instid0(SALU_CYCLE_1)
	s_and_b32 vcc_lo, exec_lo, s40
	s_cbranch_vccz .LBB95_223
; %bb.191:
	s_cmp_gt_i32 s35, 22
	s_cbranch_scc0 .LBB95_199
; %bb.192:
	s_cmp_lt_i32 s35, 24
	s_cbranch_scc1 .LBB95_202
; %bb.193:
	s_cmp_gt_i32 s35, 24
	s_cbranch_scc0 .LBB95_203
; %bb.194:
	global_load_u8 v1, v[14:15], off
	s_mov_b32 s40, 0
	s_mov_b32 s20, exec_lo
	s_wait_loadcnt 0x0
	v_cmpx_lt_i16_e32 0x7f, v1
	s_xor_b32 s39, exec_lo, s20
	s_cbranch_execz .LBB95_215
; %bb.195:
	v_cmp_ne_u16_e32 vcc_lo, 0x80, v1
	s_and_b32 s40, vcc_lo, exec_lo
	s_and_not1_saveexec_b32 s39, s39
	s_cbranch_execnz .LBB95_216
.LBB95_196:
	s_or_b32 exec_lo, exec_lo, s39
	v_mov_b64_e32 v[8:9], 0
	s_and_saveexec_b32 s39, s40
	s_cbranch_execz .LBB95_198
.LBB95_197:
	v_and_b32_e32 v3, 0xffff, v1
	s_delay_alu instid0(VALU_DEP_1) | instskip(SKIP_1) | instid1(VALU_DEP_2)
	v_and_b32_e32 v7, 3, v3
	v_bfe_u32 v11, v3, 2, 5
	v_clz_i32_u32_e32 v8, v7
	s_delay_alu instid0(VALU_DEP_2) | instskip(NEXT) | instid1(VALU_DEP_2)
	v_cmp_eq_u32_e32 vcc_lo, 0, v11
	v_min_u32_e32 v8, 32, v8
	s_delay_alu instid0(VALU_DEP_1) | instskip(NEXT) | instid1(VALU_DEP_1)
	v_subrev_nc_u32_e32 v9, 29, v8
	v_dual_lshlrev_b32 v3, v9, v3 :: v_dual_sub_nc_u32 v8, 30, v8
	s_delay_alu instid0(VALU_DEP_1) | instskip(NEXT) | instid1(VALU_DEP_2)
	v_dual_lshlrev_b32 v1, 24, v1 :: v_dual_bitop2_b32 v3, 3, v3 bitop3:0x40
	v_cndmask_b32_e32 v8, v11, v8, vcc_lo
	s_delay_alu instid0(VALU_DEP_2) | instskip(NEXT) | instid1(VALU_DEP_3)
	v_cndmask_b32_e32 v3, v7, v3, vcc_lo
	v_and_b32_e32 v1, 0x80000000, v1
	s_delay_alu instid0(VALU_DEP_3) | instskip(NEXT) | instid1(VALU_DEP_3)
	v_lshl_add_u32 v7, v8, 23, 0x37800000
	v_lshlrev_b32_e32 v3, 21, v3
	s_delay_alu instid0(VALU_DEP_1) | instskip(NEXT) | instid1(VALU_DEP_1)
	v_or3_b32 v1, v1, v7, v3
	v_trunc_f32_e32 v1, v1
	s_delay_alu instid0(VALU_DEP_1) | instskip(SKIP_1) | instid1(VALU_DEP_2)
	v_mul_f32_e64 v3, 0x2f800000, |v1|
	v_ashrrev_i32_e32 v8, 31, v1
	v_floor_f32_e32 v3, v3
	s_delay_alu instid0(VALU_DEP_2) | instskip(NEXT) | instid1(VALU_DEP_2)
	v_mov_b32_e32 v9, v8
	v_fma_f32 v7, 0xcf800000, v3, |v1|
	v_cvt_u32_f32_e32 v1, v3
	s_delay_alu instid0(VALU_DEP_2) | instskip(NEXT) | instid1(VALU_DEP_2)
	v_cvt_u32_f32_e32 v3, v7
	v_xor_b32_e32 v17, v1, v8
	s_delay_alu instid0(VALU_DEP_2) | instskip(NEXT) | instid1(VALU_DEP_1)
	v_xor_b32_e32 v16, v3, v8
	v_sub_nc_u64_e32 v[8:9], v[16:17], v[8:9]
.LBB95_198:
	s_or_b32 exec_lo, exec_lo, s39
	s_mov_b32 s39, 0
	s_branch .LBB95_204
.LBB95_199:
	s_mov_b32 s40, -1
                                        ; implicit-def: $vgpr8_vgpr9
	s_branch .LBB95_210
.LBB95_200:
	s_and_not1_saveexec_b32 s39, s39
	s_cbranch_execz .LBB95_185
.LBB95_201:
	v_cmp_ne_u16_e32 vcc_lo, 0, v1
	s_and_not1_b32 s20, s40, exec_lo
	s_and_b32 s21, vcc_lo, exec_lo
	s_delay_alu instid0(SALU_CYCLE_1)
	s_or_b32 s40, s20, s21
	s_or_b32 exec_lo, exec_lo, s39
	v_mov_b64_e32 v[8:9], 0
	s_and_saveexec_b32 s39, s40
	s_cbranch_execnz .LBB95_186
	s_branch .LBB95_187
.LBB95_202:
	s_mov_b32 s39, -1
                                        ; implicit-def: $vgpr8_vgpr9
	s_branch .LBB95_207
.LBB95_203:
	s_mov_b32 s39, -1
                                        ; implicit-def: $vgpr8_vgpr9
.LBB95_204:
	s_delay_alu instid0(SALU_CYCLE_1)
	s_and_b32 vcc_lo, exec_lo, s39
	s_cbranch_vccz .LBB95_206
; %bb.205:
	global_load_u8 v1, v[14:15], off
	s_wait_loadcnt 0x0
	v_lshlrev_b32_e32 v1, 24, v1
	s_delay_alu instid0(VALU_DEP_1) | instskip(NEXT) | instid1(VALU_DEP_1)
	v_and_b32_e32 v3, 0x7f000000, v1
	v_clz_i32_u32_e32 v7, v3
	v_add_nc_u32_e32 v9, 0x1000000, v3
	v_cmp_ne_u32_e32 vcc_lo, 0, v3
	s_delay_alu instid0(VALU_DEP_3) | instskip(NEXT) | instid1(VALU_DEP_1)
	v_min_u32_e32 v7, 32, v7
	v_sub_nc_u32_e64 v7, v7, 4 clamp
	s_delay_alu instid0(VALU_DEP_1) | instskip(NEXT) | instid1(VALU_DEP_1)
	v_lshlrev_b32_e32 v8, v7, v3
	v_dual_lshlrev_b32 v7, 23, v7 :: v_dual_lshrrev_b32 v8, 4, v8
	s_delay_alu instid0(VALU_DEP_1) | instskip(NEXT) | instid1(VALU_DEP_1)
	v_dual_sub_nc_u32 v7, v8, v7 :: v_dual_ashrrev_i32 v8, 8, v9
	v_add_nc_u32_e32 v7, 0x3c000000, v7
	s_delay_alu instid0(VALU_DEP_1) | instskip(NEXT) | instid1(VALU_DEP_1)
	v_and_or_b32 v7, 0x7f800000, v8, v7
	v_cndmask_b32_e32 v3, 0, v7, vcc_lo
	s_delay_alu instid0(VALU_DEP_1) | instskip(NEXT) | instid1(VALU_DEP_1)
	v_and_or_b32 v1, 0x80000000, v1, v3
	v_trunc_f32_e32 v1, v1
	s_delay_alu instid0(VALU_DEP_1) | instskip(SKIP_1) | instid1(VALU_DEP_2)
	v_mul_f32_e64 v3, 0x2f800000, |v1|
	v_ashrrev_i32_e32 v8, 31, v1
	v_floor_f32_e32 v3, v3
	s_delay_alu instid0(VALU_DEP_1) | instskip(SKIP_1) | instid1(VALU_DEP_4)
	v_fma_f32 v7, 0xcf800000, v3, |v1|
	v_cvt_u32_f32_e32 v1, v3
	v_mov_b32_e32 v9, v8
	s_delay_alu instid0(VALU_DEP_3) | instskip(NEXT) | instid1(VALU_DEP_3)
	v_cvt_u32_f32_e32 v3, v7
	v_xor_b32_e32 v17, v1, v8
	s_delay_alu instid0(VALU_DEP_2) | instskip(NEXT) | instid1(VALU_DEP_1)
	v_xor_b32_e32 v16, v3, v8
	v_sub_nc_u64_e32 v[8:9], v[16:17], v[8:9]
.LBB95_206:
	s_mov_b32 s39, 0
.LBB95_207:
	s_delay_alu instid0(SALU_CYCLE_1)
	s_and_not1_b32 vcc_lo, exec_lo, s39
	s_cbranch_vccnz .LBB95_209
; %bb.208:
	global_load_u8 v1, v[14:15], off
	s_wait_loadcnt 0x0
	v_lshlrev_b32_e32 v3, 25, v1
	v_lshlrev_b16 v1, 8, v1
	s_delay_alu instid0(VALU_DEP_1) | instskip(SKIP_1) | instid1(VALU_DEP_2)
	v_and_or_b32 v8, 0x7f00, v1, 0.5
	v_bfe_i32 v1, v1, 0, 16
	v_dual_add_f32 v8, -0.5, v8 :: v_dual_lshrrev_b32 v7, 4, v3
	v_cmp_gt_u32_e32 vcc_lo, 0x8000000, v3
	s_delay_alu instid0(VALU_DEP_2) | instskip(NEXT) | instid1(VALU_DEP_1)
	v_or_b32_e32 v7, 0x70000000, v7
	v_mul_f32_e32 v7, 0x7800000, v7
	s_delay_alu instid0(VALU_DEP_1) | instskip(NEXT) | instid1(VALU_DEP_1)
	v_cndmask_b32_e32 v3, v7, v8, vcc_lo
	v_and_or_b32 v1, 0x80000000, v1, v3
	s_delay_alu instid0(VALU_DEP_1) | instskip(NEXT) | instid1(VALU_DEP_1)
	v_trunc_f32_e32 v1, v1
	v_mul_f32_e64 v3, 0x2f800000, |v1|
	v_ashrrev_i32_e32 v8, 31, v1
	s_delay_alu instid0(VALU_DEP_2) | instskip(NEXT) | instid1(VALU_DEP_2)
	v_floor_f32_e32 v3, v3
	v_mov_b32_e32 v9, v8
	s_delay_alu instid0(VALU_DEP_2) | instskip(SKIP_1) | instid1(VALU_DEP_2)
	v_fma_f32 v7, 0xcf800000, v3, |v1|
	v_cvt_u32_f32_e32 v1, v3
	v_cvt_u32_f32_e32 v3, v7
	s_delay_alu instid0(VALU_DEP_2) | instskip(NEXT) | instid1(VALU_DEP_2)
	v_xor_b32_e32 v17, v1, v8
	v_xor_b32_e32 v16, v3, v8
	s_delay_alu instid0(VALU_DEP_1)
	v_sub_nc_u64_e32 v[8:9], v[16:17], v[8:9]
.LBB95_209:
	s_mov_b32 s40, 0
	s_mov_b32 s39, -1
.LBB95_210:
	s_and_not1_b32 vcc_lo, exec_lo, s40
	s_cbranch_vccnz .LBB95_223
; %bb.211:
	s_cmp_gt_i32 s35, 14
	s_cbranch_scc0 .LBB95_214
; %bb.212:
	s_cmp_eq_u32 s35, 15
	s_cbranch_scc0 .LBB95_217
; %bb.213:
	global_load_u16 v1, v[14:15], off
	s_mov_b32 s39, -1
	s_mov_b32 s85, 0
	s_wait_loadcnt 0x0
	v_lshlrev_b32_e32 v1, 16, v1
	s_delay_alu instid0(VALU_DEP_1) | instskip(NEXT) | instid1(VALU_DEP_1)
	v_trunc_f32_e32 v1, v1
	v_mul_f32_e64 v3, 0x2f800000, |v1|
	v_ashrrev_i32_e32 v8, 31, v1
	s_delay_alu instid0(VALU_DEP_2) | instskip(NEXT) | instid1(VALU_DEP_2)
	v_floor_f32_e32 v3, v3
	v_mov_b32_e32 v9, v8
	s_delay_alu instid0(VALU_DEP_2) | instskip(SKIP_1) | instid1(VALU_DEP_2)
	v_fma_f32 v7, 0xcf800000, v3, |v1|
	v_cvt_u32_f32_e32 v1, v3
	v_cvt_u32_f32_e32 v3, v7
	s_delay_alu instid0(VALU_DEP_2) | instskip(NEXT) | instid1(VALU_DEP_2)
	v_xor_b32_e32 v17, v1, v8
	v_xor_b32_e32 v16, v3, v8
	s_delay_alu instid0(VALU_DEP_1)
	v_sub_nc_u64_e32 v[8:9], v[16:17], v[8:9]
	s_branch .LBB95_218
.LBB95_214:
	s_mov_b32 s40, -1
                                        ; implicit-def: $vgpr8_vgpr9
	s_branch .LBB95_219
.LBB95_215:
	s_and_not1_saveexec_b32 s39, s39
	s_cbranch_execz .LBB95_196
.LBB95_216:
	v_cmp_ne_u16_e32 vcc_lo, 0, v1
	s_and_not1_b32 s20, s40, exec_lo
	s_and_b32 s21, vcc_lo, exec_lo
	s_delay_alu instid0(SALU_CYCLE_1)
	s_or_b32 s40, s20, s21
	s_or_b32 exec_lo, exec_lo, s39
	v_mov_b64_e32 v[8:9], 0
	s_and_saveexec_b32 s39, s40
	s_cbranch_execnz .LBB95_197
	s_branch .LBB95_198
.LBB95_217:
	s_mov_b32 s85, -1
                                        ; implicit-def: $vgpr8_vgpr9
.LBB95_218:
	s_mov_b32 s40, 0
.LBB95_219:
	s_delay_alu instid0(SALU_CYCLE_1)
	s_and_b32 vcc_lo, exec_lo, s40
	s_cbranch_vccz .LBB95_223
; %bb.220:
	s_cmp_eq_u32 s35, 11
	s_cbranch_scc0 .LBB95_222
; %bb.221:
	global_load_u8 v1, v[14:15], off
	s_mov_b32 s85, 0
	s_mov_b32 s39, -1
	s_wait_loadcnt 0x1
	v_mov_b32_e32 v9, s85
	s_wait_loadcnt 0x0
	v_cmp_ne_u16_e32 vcc_lo, 0, v1
	v_cndmask_b32_e64 v8, 0, 1, vcc_lo
	s_branch .LBB95_223
.LBB95_222:
	s_mov_b32 s85, -1
                                        ; implicit-def: $vgpr8_vgpr9
.LBB95_223:
	s_branch .LBB95_31
.LBB95_224:
	s_and_b32 s0, 0xffff, s0
	s_delay_alu instid0(SALU_CYCLE_1)
	s_cmp_lt_i32 s0, 5
	s_cbranch_scc1 .LBB95_229
; %bb.225:
	s_cmp_lt_i32 s0, 8
	s_cbranch_scc1 .LBB95_230
; %bb.226:
	;; [unrolled: 3-line block ×3, first 2 shown]
	s_cmp_gt_i32 s0, 9
	s_cbranch_scc0 .LBB95_232
; %bb.228:
	s_wait_loadcnt 0x0
	global_load_b64 v[8:9], v[14:15], off
	s_mov_b32 s35, 0
	s_wait_loadcnt 0x0
	v_trunc_f64_e32 v[8:9], v[8:9]
	s_delay_alu instid0(VALU_DEP_1) | instskip(NEXT) | instid1(VALU_DEP_1)
	v_ldexp_f64 v[16:17], v[8:9], 0xffffffe0
	v_floor_f64_e32 v[16:17], v[16:17]
	s_delay_alu instid0(VALU_DEP_1) | instskip(SKIP_1) | instid1(VALU_DEP_2)
	v_fmamk_f64 v[18:19], v[16:17], 0xc1f00000, v[8:9]
	v_cvt_i32_f64_e32 v9, v[16:17]
	v_cvt_u32_f64_e32 v8, v[18:19]
	s_branch .LBB95_233
.LBB95_229:
	s_mov_b32 s35, -1
                                        ; implicit-def: $vgpr8_vgpr9
	s_branch .LBB95_251
.LBB95_230:
	s_mov_b32 s35, -1
                                        ; implicit-def: $vgpr8_vgpr9
	s_branch .LBB95_239
.LBB95_231:
	s_mov_b32 s35, -1
                                        ; implicit-def: $vgpr8_vgpr9
	s_branch .LBB95_236
.LBB95_232:
	s_mov_b32 s35, -1
                                        ; implicit-def: $vgpr8_vgpr9
.LBB95_233:
	s_delay_alu instid0(SALU_CYCLE_1)
	s_and_not1_b32 vcc_lo, exec_lo, s35
	s_cbranch_vccnz .LBB95_235
; %bb.234:
	global_load_b32 v1, v[14:15], off
	s_wait_loadcnt 0x0
	v_trunc_f32_e32 v1, v1
	s_delay_alu instid0(VALU_DEP_1) | instskip(SKIP_1) | instid1(VALU_DEP_2)
	v_mul_f32_e64 v3, 0x2f800000, |v1|
	v_ashrrev_i32_e32 v8, 31, v1
	v_floor_f32_e32 v3, v3
	s_delay_alu instid0(VALU_DEP_1) | instskip(SKIP_1) | instid1(VALU_DEP_4)
	v_fma_f32 v7, 0xcf800000, v3, |v1|
	v_cvt_u32_f32_e32 v1, v3
	v_mov_b32_e32 v9, v8
	s_delay_alu instid0(VALU_DEP_3) | instskip(NEXT) | instid1(VALU_DEP_3)
	v_cvt_u32_f32_e32 v3, v7
	v_xor_b32_e32 v17, v1, v8
	s_delay_alu instid0(VALU_DEP_2) | instskip(NEXT) | instid1(VALU_DEP_1)
	v_xor_b32_e32 v16, v3, v8
	v_sub_nc_u64_e32 v[8:9], v[16:17], v[8:9]
.LBB95_235:
	s_mov_b32 s35, 0
.LBB95_236:
	s_delay_alu instid0(SALU_CYCLE_1)
	s_and_not1_b32 vcc_lo, exec_lo, s35
	s_cbranch_vccnz .LBB95_238
; %bb.237:
	global_load_b32 v1, v[14:15], off
	s_wait_loadcnt 0x0
	v_cvt_f32_f16_e32 v1, v1
	s_delay_alu instid0(VALU_DEP_1) | instskip(NEXT) | instid1(VALU_DEP_1)
	v_cvt_i32_f32_e32 v8, v1
	v_ashrrev_i32_e32 v9, 31, v8
.LBB95_238:
	s_mov_b32 s35, 0
.LBB95_239:
	s_delay_alu instid0(SALU_CYCLE_1)
	s_and_not1_b32 vcc_lo, exec_lo, s35
	s_cbranch_vccnz .LBB95_250
; %bb.240:
	s_cmp_lt_i32 s0, 6
	s_cbranch_scc1 .LBB95_243
; %bb.241:
	s_cmp_gt_i32 s0, 6
	s_cbranch_scc0 .LBB95_244
; %bb.242:
	s_wait_loadcnt 0x0
	global_load_b64 v[8:9], v[14:15], off
	s_mov_b32 s35, 0
	s_wait_loadcnt 0x0
	v_trunc_f64_e32 v[8:9], v[8:9]
	s_delay_alu instid0(VALU_DEP_1) | instskip(NEXT) | instid1(VALU_DEP_1)
	v_ldexp_f64 v[16:17], v[8:9], 0xffffffe0
	v_floor_f64_e32 v[16:17], v[16:17]
	s_delay_alu instid0(VALU_DEP_1) | instskip(SKIP_1) | instid1(VALU_DEP_2)
	v_fmamk_f64 v[18:19], v[16:17], 0xc1f00000, v[8:9]
	v_cvt_i32_f64_e32 v9, v[16:17]
	v_cvt_u32_f64_e32 v8, v[18:19]
	s_branch .LBB95_245
.LBB95_243:
	s_mov_b32 s35, -1
                                        ; implicit-def: $vgpr8_vgpr9
	s_branch .LBB95_248
.LBB95_244:
	s_mov_b32 s35, -1
                                        ; implicit-def: $vgpr8_vgpr9
.LBB95_245:
	s_delay_alu instid0(SALU_CYCLE_1)
	s_and_not1_b32 vcc_lo, exec_lo, s35
	s_cbranch_vccnz .LBB95_247
; %bb.246:
	global_load_b32 v1, v[14:15], off
	s_wait_loadcnt 0x0
	v_trunc_f32_e32 v1, v1
	s_delay_alu instid0(VALU_DEP_1) | instskip(SKIP_1) | instid1(VALU_DEP_2)
	v_mul_f32_e64 v3, 0x2f800000, |v1|
	v_ashrrev_i32_e32 v8, 31, v1
	v_floor_f32_e32 v3, v3
	s_delay_alu instid0(VALU_DEP_1) | instskip(SKIP_1) | instid1(VALU_DEP_4)
	v_fma_f32 v7, 0xcf800000, v3, |v1|
	v_cvt_u32_f32_e32 v1, v3
	v_mov_b32_e32 v9, v8
	s_delay_alu instid0(VALU_DEP_3) | instskip(NEXT) | instid1(VALU_DEP_3)
	v_cvt_u32_f32_e32 v3, v7
	v_xor_b32_e32 v17, v1, v8
	s_delay_alu instid0(VALU_DEP_2) | instskip(NEXT) | instid1(VALU_DEP_1)
	v_xor_b32_e32 v16, v3, v8
	v_sub_nc_u64_e32 v[8:9], v[16:17], v[8:9]
.LBB95_247:
	s_mov_b32 s35, 0
.LBB95_248:
	s_delay_alu instid0(SALU_CYCLE_1)
	s_and_not1_b32 vcc_lo, exec_lo, s35
	s_cbranch_vccnz .LBB95_250
; %bb.249:
	global_load_u16 v1, v[14:15], off
	s_wait_loadcnt 0x0
	v_cvt_f32_f16_e32 v1, v1
	s_delay_alu instid0(VALU_DEP_1) | instskip(NEXT) | instid1(VALU_DEP_1)
	v_cvt_i32_f32_e32 v8, v1
	v_ashrrev_i32_e32 v9, 31, v8
.LBB95_250:
	s_mov_b32 s35, 0
.LBB95_251:
	s_delay_alu instid0(SALU_CYCLE_1)
	s_and_not1_b32 vcc_lo, exec_lo, s35
	s_cbranch_vccnz .LBB95_271
; %bb.252:
	s_cmp_lt_i32 s0, 2
	s_cbranch_scc1 .LBB95_256
; %bb.253:
	s_cmp_lt_i32 s0, 3
	s_cbranch_scc1 .LBB95_257
; %bb.254:
	s_cmp_gt_i32 s0, 3
	s_cbranch_scc0 .LBB95_258
; %bb.255:
	s_wait_loadcnt 0x0
	global_load_b64 v[8:9], v[14:15], off
	s_mov_b32 s35, 0
	s_branch .LBB95_259
.LBB95_256:
	s_mov_b32 s35, -1
                                        ; implicit-def: $vgpr8_vgpr9
	s_branch .LBB95_265
.LBB95_257:
	s_mov_b32 s35, -1
                                        ; implicit-def: $vgpr8_vgpr9
	s_branch .LBB95_262
.LBB95_258:
	s_mov_b32 s35, -1
                                        ; implicit-def: $vgpr8_vgpr9
.LBB95_259:
	s_delay_alu instid0(SALU_CYCLE_1)
	s_and_not1_b32 vcc_lo, exec_lo, s35
	s_cbranch_vccnz .LBB95_261
; %bb.260:
	s_wait_loadcnt 0x0
	global_load_b32 v8, v[14:15], off
	s_wait_loadcnt 0x0
	v_ashrrev_i32_e32 v9, 31, v8
.LBB95_261:
	s_mov_b32 s35, 0
.LBB95_262:
	s_delay_alu instid0(SALU_CYCLE_1)
	s_and_not1_b32 vcc_lo, exec_lo, s35
	s_cbranch_vccnz .LBB95_264
; %bb.263:
	global_load_u16 v1, v[14:15], off
	s_wait_loadcnt 0x0
	v_bfe_i32 v8, v1, 0, 16
	s_delay_alu instid0(VALU_DEP_1)
	v_ashrrev_i32_e32 v9, 31, v8
.LBB95_264:
	s_mov_b32 s35, 0
.LBB95_265:
	s_delay_alu instid0(SALU_CYCLE_1)
	s_and_not1_b32 vcc_lo, exec_lo, s35
	s_cbranch_vccnz .LBB95_271
; %bb.266:
	s_cmp_gt_i32 s0, 0
	s_mov_b32 s0, 0
	s_cbranch_scc0 .LBB95_268
; %bb.267:
	global_load_i8 v1, v[14:15], off
	s_wait_loadcnt 0x0
	v_bfe_i32 v8, v1, 0, 16
	s_delay_alu instid0(VALU_DEP_1)
	v_ashrrev_i32_e32 v9, 31, v8
	s_branch .LBB95_269
.LBB95_268:
	s_mov_b32 s0, -1
                                        ; implicit-def: $vgpr8_vgpr9
.LBB95_269:
	s_delay_alu instid0(SALU_CYCLE_1)
	s_and_not1_b32 vcc_lo, exec_lo, s0
	s_cbranch_vccnz .LBB95_271
; %bb.270:
	global_load_u8 v1, v[14:15], off
	s_mov_b32 s0, 0
	s_wait_loadcnt 0x1
	v_mov_b32_e32 v9, s0
	s_wait_loadcnt 0x0
	v_and_b32_e32 v8, 0xffff, v1
.LBB95_271:
	s_branch .LBB95_32
.LBB95_272:
	s_mov_b32 s0, 0
	s_mov_b32 s35, 0
	;; [unrolled: 1-line block ×9, first 2 shown]
	s_branch .LBB95_649
.LBB95_273:
	s_mov_b32 s84, -1
.LBB95_274:
	s_mov_b32 s39, 0
                                        ; implicit-def: $vgpr12_vgpr13
.LBB95_275:
	s_and_b32 vcc_lo, exec_lo, s40
	s_cbranch_vccz .LBB95_279
; %bb.276:
	s_cmp_eq_u32 s35, 44
	s_cbranch_scc0 .LBB95_278
; %bb.277:
	global_load_u8 v1, v[14:15], off
	s_mov_b32 s84, 0
	s_mov_b32 s39, -1
	s_wait_loadcnt 0x0
	v_lshlrev_b32_e32 v3, 23, v1
	v_cmp_ne_u32_e32 vcc_lo, 0, v1
	s_delay_alu instid0(VALU_DEP_2) | instskip(NEXT) | instid1(VALU_DEP_1)
	v_trunc_f32_e32 v3, v3
	v_mul_f32_e64 v7, 0x2f800000, |v3|
	v_ashrrev_i32_e32 v12, 31, v3
	s_delay_alu instid0(VALU_DEP_2) | instskip(NEXT) | instid1(VALU_DEP_2)
	v_floor_f32_e32 v7, v7
	v_mov_b32_e32 v13, v12
	s_delay_alu instid0(VALU_DEP_2) | instskip(SKIP_1) | instid1(VALU_DEP_2)
	v_fma_f32 v11, 0xcf800000, v7, |v3|
	v_cvt_u32_f32_e32 v3, v7
	v_cvt_u32_f32_e32 v7, v11
	s_delay_alu instid0(VALU_DEP_2) | instskip(NEXT) | instid1(VALU_DEP_2)
	v_xor_b32_e32 v17, v3, v12
	v_xor_b32_e32 v16, v7, v12
	s_delay_alu instid0(VALU_DEP_1) | instskip(NEXT) | instid1(VALU_DEP_1)
	v_sub_nc_u64_e32 v[12:13], v[16:17], v[12:13]
	v_dual_cndmask_b32 v13, 0, v13 :: v_dual_cndmask_b32 v12, 0, v12
	s_branch .LBB95_279
.LBB95_278:
	s_mov_b32 s84, -1
                                        ; implicit-def: $vgpr12_vgpr13
.LBB95_279:
	s_mov_b32 s40, 0
.LBB95_280:
	s_delay_alu instid0(SALU_CYCLE_1)
	s_and_b32 vcc_lo, exec_lo, s40
	s_cbranch_vccz .LBB95_284
; %bb.281:
	s_cmp_eq_u32 s35, 29
	s_cbranch_scc0 .LBB95_283
; %bb.282:
	global_load_b64 v[12:13], v[14:15], off
	s_mov_b32 s39, -1
	s_mov_b32 s84, 0
	s_branch .LBB95_284
.LBB95_283:
	s_mov_b32 s84, -1
                                        ; implicit-def: $vgpr12_vgpr13
.LBB95_284:
	s_mov_b32 s40, 0
.LBB95_285:
	s_delay_alu instid0(SALU_CYCLE_1)
	s_and_b32 vcc_lo, exec_lo, s40
	s_cbranch_vccz .LBB95_301
; %bb.286:
	s_cmp_lt_i32 s35, 27
	s_cbranch_scc1 .LBB95_289
; %bb.287:
	s_cmp_gt_i32 s35, 27
	s_cbranch_scc0 .LBB95_290
; %bb.288:
	s_wait_loadcnt 0x0
	global_load_b32 v12, v[14:15], off
	v_mov_b32_e32 v13, 0
	s_mov_b32 s39, 0
	s_branch .LBB95_291
.LBB95_289:
	s_mov_b32 s39, -1
                                        ; implicit-def: $vgpr12_vgpr13
	s_branch .LBB95_294
.LBB95_290:
	s_mov_b32 s39, -1
                                        ; implicit-def: $vgpr12_vgpr13
.LBB95_291:
	s_delay_alu instid0(SALU_CYCLE_1)
	s_and_not1_b32 vcc_lo, exec_lo, s39
	s_cbranch_vccnz .LBB95_293
; %bb.292:
	global_load_u16 v1, v[14:15], off
	s_mov_b32 s20, 0
	s_wait_loadcnt 0x1
	v_mov_b32_e32 v13, s20
	s_wait_loadcnt 0x0
	v_and_b32_e32 v12, 0xffff, v1
.LBB95_293:
	s_mov_b32 s39, 0
.LBB95_294:
	s_delay_alu instid0(SALU_CYCLE_1)
	s_and_not1_b32 vcc_lo, exec_lo, s39
	s_cbranch_vccnz .LBB95_300
; %bb.295:
	global_load_u8 v1, v[14:15], off
	s_mov_b32 s40, 0
	s_mov_b32 s20, exec_lo
	s_wait_loadcnt 0x0
	v_cmpx_lt_i16_e32 0x7f, v1
	s_xor_b32 s39, exec_lo, s20
	s_cbranch_execz .LBB95_312
; %bb.296:
	v_cmp_ne_u16_e32 vcc_lo, 0x80, v1
	s_and_b32 s40, vcc_lo, exec_lo
	s_and_not1_saveexec_b32 s39, s39
	s_cbranch_execnz .LBB95_313
.LBB95_297:
	s_or_b32 exec_lo, exec_lo, s39
	v_mov_b64_e32 v[12:13], 0
	s_and_saveexec_b32 s39, s40
	s_cbranch_execz .LBB95_299
.LBB95_298:
	v_and_b32_e32 v3, 0xffff, v1
	s_delay_alu instid0(VALU_DEP_1) | instskip(SKIP_1) | instid1(VALU_DEP_2)
	v_dual_lshlrev_b32 v1, 24, v1 :: v_dual_bitop2_b32 v7, 7, v3 bitop3:0x40
	v_bfe_u32 v13, v3, 3, 4
	v_and_b32_e32 v1, 0x80000000, v1
	s_delay_alu instid0(VALU_DEP_3) | instskip(NEXT) | instid1(VALU_DEP_3)
	v_clz_i32_u32_e32 v11, v7
	v_cmp_eq_u32_e32 vcc_lo, 0, v13
	s_delay_alu instid0(VALU_DEP_2) | instskip(NEXT) | instid1(VALU_DEP_1)
	v_min_u32_e32 v11, 32, v11
	v_subrev_nc_u32_e32 v12, 28, v11
	v_sub_nc_u32_e32 v11, 29, v11
	s_delay_alu instid0(VALU_DEP_2) | instskip(NEXT) | instid1(VALU_DEP_2)
	v_lshlrev_b32_e32 v3, v12, v3
	v_cndmask_b32_e32 v11, v13, v11, vcc_lo
	s_delay_alu instid0(VALU_DEP_2) | instskip(NEXT) | instid1(VALU_DEP_1)
	v_and_b32_e32 v3, 7, v3
	v_cndmask_b32_e32 v3, v7, v3, vcc_lo
	s_delay_alu instid0(VALU_DEP_3) | instskip(NEXT) | instid1(VALU_DEP_2)
	v_lshl_add_u32 v7, v11, 23, 0x3b800000
	v_lshlrev_b32_e32 v3, 20, v3
	s_delay_alu instid0(VALU_DEP_1) | instskip(NEXT) | instid1(VALU_DEP_1)
	v_or3_b32 v1, v1, v7, v3
	v_trunc_f32_e32 v1, v1
	s_delay_alu instid0(VALU_DEP_1) | instskip(SKIP_1) | instid1(VALU_DEP_2)
	v_mul_f32_e64 v3, 0x2f800000, |v1|
	v_ashrrev_i32_e32 v12, 31, v1
	v_floor_f32_e32 v3, v3
	s_delay_alu instid0(VALU_DEP_2) | instskip(NEXT) | instid1(VALU_DEP_2)
	v_mov_b32_e32 v13, v12
	v_fma_f32 v7, 0xcf800000, v3, |v1|
	v_cvt_u32_f32_e32 v1, v3
	s_delay_alu instid0(VALU_DEP_2) | instskip(NEXT) | instid1(VALU_DEP_2)
	v_cvt_u32_f32_e32 v3, v7
	v_xor_b32_e32 v17, v1, v12
	s_delay_alu instid0(VALU_DEP_2) | instskip(NEXT) | instid1(VALU_DEP_1)
	v_xor_b32_e32 v16, v3, v12
	v_sub_nc_u64_e32 v[12:13], v[16:17], v[12:13]
.LBB95_299:
	s_or_b32 exec_lo, exec_lo, s39
.LBB95_300:
	s_mov_b32 s39, -1
.LBB95_301:
	s_mov_b32 s40, 0
.LBB95_302:
	s_delay_alu instid0(SALU_CYCLE_1)
	s_and_b32 vcc_lo, exec_lo, s40
	s_cbranch_vccz .LBB95_335
; %bb.303:
	s_cmp_gt_i32 s35, 22
	s_cbranch_scc0 .LBB95_311
; %bb.304:
	s_cmp_lt_i32 s35, 24
	s_cbranch_scc1 .LBB95_314
; %bb.305:
	s_cmp_gt_i32 s35, 24
	s_cbranch_scc0 .LBB95_315
; %bb.306:
	global_load_u8 v1, v[14:15], off
	s_mov_b32 s40, 0
	s_mov_b32 s20, exec_lo
	s_wait_loadcnt 0x0
	v_cmpx_lt_i16_e32 0x7f, v1
	s_xor_b32 s39, exec_lo, s20
	s_cbranch_execz .LBB95_327
; %bb.307:
	v_cmp_ne_u16_e32 vcc_lo, 0x80, v1
	s_and_b32 s40, vcc_lo, exec_lo
	s_and_not1_saveexec_b32 s39, s39
	s_cbranch_execnz .LBB95_328
.LBB95_308:
	s_or_b32 exec_lo, exec_lo, s39
	v_mov_b64_e32 v[12:13], 0
	s_and_saveexec_b32 s39, s40
	s_cbranch_execz .LBB95_310
.LBB95_309:
	v_and_b32_e32 v3, 0xffff, v1
	s_delay_alu instid0(VALU_DEP_1) | instskip(SKIP_1) | instid1(VALU_DEP_2)
	v_dual_lshlrev_b32 v1, 24, v1 :: v_dual_bitop2_b32 v7, 3, v3 bitop3:0x40
	v_bfe_u32 v13, v3, 2, 5
	v_and_b32_e32 v1, 0x80000000, v1
	s_delay_alu instid0(VALU_DEP_3) | instskip(NEXT) | instid1(VALU_DEP_3)
	v_clz_i32_u32_e32 v11, v7
	v_cmp_eq_u32_e32 vcc_lo, 0, v13
	s_delay_alu instid0(VALU_DEP_2) | instskip(NEXT) | instid1(VALU_DEP_1)
	v_min_u32_e32 v11, 32, v11
	v_subrev_nc_u32_e32 v12, 29, v11
	v_sub_nc_u32_e32 v11, 30, v11
	s_delay_alu instid0(VALU_DEP_2) | instskip(NEXT) | instid1(VALU_DEP_2)
	v_lshlrev_b32_e32 v3, v12, v3
	v_cndmask_b32_e32 v11, v13, v11, vcc_lo
	s_delay_alu instid0(VALU_DEP_2) | instskip(NEXT) | instid1(VALU_DEP_1)
	v_and_b32_e32 v3, 3, v3
	v_cndmask_b32_e32 v3, v7, v3, vcc_lo
	s_delay_alu instid0(VALU_DEP_3) | instskip(NEXT) | instid1(VALU_DEP_2)
	v_lshl_add_u32 v7, v11, 23, 0x37800000
	v_lshlrev_b32_e32 v3, 21, v3
	s_delay_alu instid0(VALU_DEP_1) | instskip(NEXT) | instid1(VALU_DEP_1)
	v_or3_b32 v1, v1, v7, v3
	v_trunc_f32_e32 v1, v1
	s_delay_alu instid0(VALU_DEP_1) | instskip(SKIP_1) | instid1(VALU_DEP_2)
	v_mul_f32_e64 v3, 0x2f800000, |v1|
	v_ashrrev_i32_e32 v12, 31, v1
	v_floor_f32_e32 v3, v3
	s_delay_alu instid0(VALU_DEP_2) | instskip(NEXT) | instid1(VALU_DEP_2)
	v_mov_b32_e32 v13, v12
	v_fma_f32 v7, 0xcf800000, v3, |v1|
	v_cvt_u32_f32_e32 v1, v3
	s_delay_alu instid0(VALU_DEP_2) | instskip(NEXT) | instid1(VALU_DEP_2)
	v_cvt_u32_f32_e32 v3, v7
	v_xor_b32_e32 v17, v1, v12
	s_delay_alu instid0(VALU_DEP_2) | instskip(NEXT) | instid1(VALU_DEP_1)
	v_xor_b32_e32 v16, v3, v12
	v_sub_nc_u64_e32 v[12:13], v[16:17], v[12:13]
.LBB95_310:
	s_or_b32 exec_lo, exec_lo, s39
	s_mov_b32 s39, 0
	s_branch .LBB95_316
.LBB95_311:
	s_mov_b32 s40, -1
                                        ; implicit-def: $vgpr12_vgpr13
	s_branch .LBB95_322
.LBB95_312:
	s_and_not1_saveexec_b32 s39, s39
	s_cbranch_execz .LBB95_297
.LBB95_313:
	v_cmp_ne_u16_e32 vcc_lo, 0, v1
	s_and_not1_b32 s20, s40, exec_lo
	s_and_b32 s21, vcc_lo, exec_lo
	s_delay_alu instid0(SALU_CYCLE_1)
	s_or_b32 s40, s20, s21
	s_or_b32 exec_lo, exec_lo, s39
	v_mov_b64_e32 v[12:13], 0
	s_and_saveexec_b32 s39, s40
	s_cbranch_execnz .LBB95_298
	s_branch .LBB95_299
.LBB95_314:
	s_mov_b32 s39, -1
                                        ; implicit-def: $vgpr12_vgpr13
	s_branch .LBB95_319
.LBB95_315:
	s_mov_b32 s39, -1
                                        ; implicit-def: $vgpr12_vgpr13
.LBB95_316:
	s_delay_alu instid0(SALU_CYCLE_1)
	s_and_b32 vcc_lo, exec_lo, s39
	s_cbranch_vccz .LBB95_318
; %bb.317:
	global_load_u8 v1, v[14:15], off
	s_wait_loadcnt 0x0
	v_lshlrev_b32_e32 v1, 24, v1
	s_delay_alu instid0(VALU_DEP_1) | instskip(NEXT) | instid1(VALU_DEP_1)
	v_and_b32_e32 v3, 0x7f000000, v1
	v_clz_i32_u32_e32 v7, v3
	v_add_nc_u32_e32 v12, 0x1000000, v3
	v_cmp_ne_u32_e32 vcc_lo, 0, v3
	s_delay_alu instid0(VALU_DEP_3) | instskip(NEXT) | instid1(VALU_DEP_1)
	v_min_u32_e32 v7, 32, v7
	v_sub_nc_u32_e64 v7, v7, 4 clamp
	s_delay_alu instid0(VALU_DEP_1) | instskip(SKIP_1) | instid1(VALU_DEP_2)
	v_lshlrev_b32_e32 v11, v7, v3
	v_lshlrev_b32_e32 v7, 23, v7
	v_lshrrev_b32_e32 v11, 4, v11
	s_delay_alu instid0(VALU_DEP_1) | instskip(NEXT) | instid1(VALU_DEP_1)
	v_dual_sub_nc_u32 v7, v11, v7 :: v_dual_ashrrev_i32 v11, 8, v12
	v_add_nc_u32_e32 v7, 0x3c000000, v7
	s_delay_alu instid0(VALU_DEP_1) | instskip(NEXT) | instid1(VALU_DEP_1)
	v_and_or_b32 v7, 0x7f800000, v11, v7
	v_cndmask_b32_e32 v3, 0, v7, vcc_lo
	s_delay_alu instid0(VALU_DEP_1) | instskip(NEXT) | instid1(VALU_DEP_1)
	v_and_or_b32 v1, 0x80000000, v1, v3
	v_trunc_f32_e32 v1, v1
	s_delay_alu instid0(VALU_DEP_1) | instskip(SKIP_1) | instid1(VALU_DEP_2)
	v_mul_f32_e64 v3, 0x2f800000, |v1|
	v_ashrrev_i32_e32 v12, 31, v1
	v_floor_f32_e32 v3, v3
	s_delay_alu instid0(VALU_DEP_2) | instskip(NEXT) | instid1(VALU_DEP_2)
	v_mov_b32_e32 v13, v12
	v_fma_f32 v7, 0xcf800000, v3, |v1|
	v_cvt_u32_f32_e32 v1, v3
	s_delay_alu instid0(VALU_DEP_2) | instskip(NEXT) | instid1(VALU_DEP_2)
	v_cvt_u32_f32_e32 v3, v7
	v_xor_b32_e32 v17, v1, v12
	s_delay_alu instid0(VALU_DEP_2) | instskip(NEXT) | instid1(VALU_DEP_1)
	v_xor_b32_e32 v16, v3, v12
	v_sub_nc_u64_e32 v[12:13], v[16:17], v[12:13]
.LBB95_318:
	s_mov_b32 s39, 0
.LBB95_319:
	s_delay_alu instid0(SALU_CYCLE_1)
	s_and_not1_b32 vcc_lo, exec_lo, s39
	s_cbranch_vccnz .LBB95_321
; %bb.320:
	global_load_u8 v1, v[14:15], off
	s_wait_loadcnt 0x0
	v_lshlrev_b32_e32 v3, 25, v1
	v_lshlrev_b16 v1, 8, v1
	s_delay_alu instid0(VALU_DEP_1) | instskip(SKIP_1) | instid1(VALU_DEP_2)
	v_and_or_b32 v11, 0x7f00, v1, 0.5
	v_bfe_i32 v1, v1, 0, 16
	v_add_f32_e32 v11, -0.5, v11
	v_lshrrev_b32_e32 v7, 4, v3
	v_cmp_gt_u32_e32 vcc_lo, 0x8000000, v3
	s_delay_alu instid0(VALU_DEP_2) | instskip(NEXT) | instid1(VALU_DEP_1)
	v_or_b32_e32 v7, 0x70000000, v7
	v_mul_f32_e32 v7, 0x7800000, v7
	s_delay_alu instid0(VALU_DEP_1) | instskip(NEXT) | instid1(VALU_DEP_1)
	v_cndmask_b32_e32 v3, v7, v11, vcc_lo
	v_and_or_b32 v1, 0x80000000, v1, v3
	s_delay_alu instid0(VALU_DEP_1) | instskip(NEXT) | instid1(VALU_DEP_1)
	v_trunc_f32_e32 v1, v1
	v_mul_f32_e64 v3, 0x2f800000, |v1|
	v_ashrrev_i32_e32 v12, 31, v1
	s_delay_alu instid0(VALU_DEP_2) | instskip(NEXT) | instid1(VALU_DEP_2)
	v_floor_f32_e32 v3, v3
	v_mov_b32_e32 v13, v12
	s_delay_alu instid0(VALU_DEP_2) | instskip(SKIP_1) | instid1(VALU_DEP_2)
	v_fma_f32 v7, 0xcf800000, v3, |v1|
	v_cvt_u32_f32_e32 v1, v3
	v_cvt_u32_f32_e32 v3, v7
	s_delay_alu instid0(VALU_DEP_2) | instskip(NEXT) | instid1(VALU_DEP_2)
	v_xor_b32_e32 v17, v1, v12
	v_xor_b32_e32 v16, v3, v12
	s_delay_alu instid0(VALU_DEP_1)
	v_sub_nc_u64_e32 v[12:13], v[16:17], v[12:13]
.LBB95_321:
	s_mov_b32 s40, 0
	s_mov_b32 s39, -1
.LBB95_322:
	s_and_not1_b32 vcc_lo, exec_lo, s40
	s_cbranch_vccnz .LBB95_335
; %bb.323:
	s_cmp_gt_i32 s35, 14
	s_cbranch_scc0 .LBB95_326
; %bb.324:
	s_cmp_eq_u32 s35, 15
	s_cbranch_scc0 .LBB95_329
; %bb.325:
	global_load_u16 v1, v[14:15], off
	s_mov_b32 s39, -1
	s_mov_b32 s84, 0
	s_wait_loadcnt 0x0
	v_lshlrev_b32_e32 v1, 16, v1
	s_delay_alu instid0(VALU_DEP_1) | instskip(NEXT) | instid1(VALU_DEP_1)
	v_trunc_f32_e32 v1, v1
	v_mul_f32_e64 v3, 0x2f800000, |v1|
	v_ashrrev_i32_e32 v12, 31, v1
	s_delay_alu instid0(VALU_DEP_2) | instskip(NEXT) | instid1(VALU_DEP_2)
	v_floor_f32_e32 v3, v3
	v_mov_b32_e32 v13, v12
	s_delay_alu instid0(VALU_DEP_2) | instskip(SKIP_1) | instid1(VALU_DEP_2)
	v_fma_f32 v7, 0xcf800000, v3, |v1|
	v_cvt_u32_f32_e32 v1, v3
	v_cvt_u32_f32_e32 v3, v7
	s_delay_alu instid0(VALU_DEP_2) | instskip(NEXT) | instid1(VALU_DEP_2)
	v_xor_b32_e32 v17, v1, v12
	v_xor_b32_e32 v16, v3, v12
	s_delay_alu instid0(VALU_DEP_1)
	v_sub_nc_u64_e32 v[12:13], v[16:17], v[12:13]
	s_branch .LBB95_330
.LBB95_326:
	s_mov_b32 s40, -1
                                        ; implicit-def: $vgpr12_vgpr13
	s_branch .LBB95_331
.LBB95_327:
	s_and_not1_saveexec_b32 s39, s39
	s_cbranch_execz .LBB95_308
.LBB95_328:
	v_cmp_ne_u16_e32 vcc_lo, 0, v1
	s_and_not1_b32 s20, s40, exec_lo
	s_and_b32 s21, vcc_lo, exec_lo
	s_delay_alu instid0(SALU_CYCLE_1)
	s_or_b32 s40, s20, s21
	s_or_b32 exec_lo, exec_lo, s39
	v_mov_b64_e32 v[12:13], 0
	s_and_saveexec_b32 s39, s40
	s_cbranch_execnz .LBB95_309
	s_branch .LBB95_310
.LBB95_329:
	s_mov_b32 s84, -1
                                        ; implicit-def: $vgpr12_vgpr13
.LBB95_330:
	s_mov_b32 s40, 0
.LBB95_331:
	s_delay_alu instid0(SALU_CYCLE_1)
	s_and_b32 vcc_lo, exec_lo, s40
	s_cbranch_vccz .LBB95_335
; %bb.332:
	s_cmp_eq_u32 s35, 11
	s_cbranch_scc0 .LBB95_334
; %bb.333:
	global_load_u8 v1, v[14:15], off
	s_mov_b32 s84, 0
	s_mov_b32 s39, -1
	s_wait_loadcnt 0x1
	v_mov_b32_e32 v13, s84
	s_wait_loadcnt 0x0
	v_cmp_ne_u16_e32 vcc_lo, 0, v1
	v_cndmask_b32_e64 v12, 0, 1, vcc_lo
	s_branch .LBB95_335
.LBB95_334:
	s_mov_b32 s84, -1
                                        ; implicit-def: $vgpr12_vgpr13
.LBB95_335:
	s_mov_b32 s35, 0
.LBB95_336:
	s_delay_alu instid0(SALU_CYCLE_1)
	s_and_b32 vcc_lo, exec_lo, s35
	s_cbranch_vccz .LBB95_385
; %bb.337:
	s_and_b32 s0, 0xffff, s0
	s_delay_alu instid0(SALU_CYCLE_1)
	s_cmp_lt_i32 s0, 5
	s_cbranch_scc1 .LBB95_342
; %bb.338:
	s_cmp_lt_i32 s0, 8
	s_cbranch_scc1 .LBB95_343
; %bb.339:
	;; [unrolled: 3-line block ×3, first 2 shown]
	s_cmp_gt_i32 s0, 9
	s_cbranch_scc0 .LBB95_345
; %bb.341:
	s_wait_loadcnt 0x0
	global_load_b64 v[12:13], v[14:15], off
	s_mov_b32 s35, 0
	s_wait_loadcnt 0x0
	v_trunc_f64_e32 v[12:13], v[12:13]
	s_delay_alu instid0(VALU_DEP_1) | instskip(NEXT) | instid1(VALU_DEP_1)
	v_ldexp_f64 v[16:17], v[12:13], 0xffffffe0
	v_floor_f64_e32 v[16:17], v[16:17]
	s_delay_alu instid0(VALU_DEP_1) | instskip(SKIP_1) | instid1(VALU_DEP_2)
	v_fmamk_f64 v[18:19], v[16:17], 0xc1f00000, v[12:13]
	v_cvt_i32_f64_e32 v13, v[16:17]
	v_cvt_u32_f64_e32 v12, v[18:19]
	s_branch .LBB95_346
.LBB95_342:
	s_mov_b32 s35, -1
                                        ; implicit-def: $vgpr12_vgpr13
	s_branch .LBB95_364
.LBB95_343:
	s_mov_b32 s35, -1
                                        ; implicit-def: $vgpr12_vgpr13
	s_branch .LBB95_352
.LBB95_344:
	s_mov_b32 s35, -1
                                        ; implicit-def: $vgpr12_vgpr13
	s_branch .LBB95_349
.LBB95_345:
	s_mov_b32 s35, -1
                                        ; implicit-def: $vgpr12_vgpr13
.LBB95_346:
	s_delay_alu instid0(SALU_CYCLE_1)
	s_and_not1_b32 vcc_lo, exec_lo, s35
	s_cbranch_vccnz .LBB95_348
; %bb.347:
	global_load_b32 v1, v[14:15], off
	s_wait_loadcnt 0x0
	v_trunc_f32_e32 v1, v1
	s_delay_alu instid0(VALU_DEP_1) | instskip(SKIP_1) | instid1(VALU_DEP_2)
	v_mul_f32_e64 v3, 0x2f800000, |v1|
	v_ashrrev_i32_e32 v12, 31, v1
	v_floor_f32_e32 v3, v3
	s_delay_alu instid0(VALU_DEP_1) | instskip(SKIP_1) | instid1(VALU_DEP_4)
	v_fma_f32 v7, 0xcf800000, v3, |v1|
	v_cvt_u32_f32_e32 v1, v3
	v_mov_b32_e32 v13, v12
	s_delay_alu instid0(VALU_DEP_3) | instskip(NEXT) | instid1(VALU_DEP_3)
	v_cvt_u32_f32_e32 v3, v7
	v_xor_b32_e32 v17, v1, v12
	s_delay_alu instid0(VALU_DEP_2) | instskip(NEXT) | instid1(VALU_DEP_1)
	v_xor_b32_e32 v16, v3, v12
	v_sub_nc_u64_e32 v[12:13], v[16:17], v[12:13]
.LBB95_348:
	s_mov_b32 s35, 0
.LBB95_349:
	s_delay_alu instid0(SALU_CYCLE_1)
	s_and_not1_b32 vcc_lo, exec_lo, s35
	s_cbranch_vccnz .LBB95_351
; %bb.350:
	global_load_b32 v1, v[14:15], off
	s_wait_loadcnt 0x0
	v_cvt_f32_f16_e32 v1, v1
	s_delay_alu instid0(VALU_DEP_1) | instskip(NEXT) | instid1(VALU_DEP_1)
	v_cvt_i32_f32_e32 v12, v1
	v_ashrrev_i32_e32 v13, 31, v12
.LBB95_351:
	s_mov_b32 s35, 0
.LBB95_352:
	s_delay_alu instid0(SALU_CYCLE_1)
	s_and_not1_b32 vcc_lo, exec_lo, s35
	s_cbranch_vccnz .LBB95_363
; %bb.353:
	s_cmp_lt_i32 s0, 6
	s_cbranch_scc1 .LBB95_356
; %bb.354:
	s_cmp_gt_i32 s0, 6
	s_cbranch_scc0 .LBB95_357
; %bb.355:
	s_wait_loadcnt 0x0
	global_load_b64 v[12:13], v[14:15], off
	s_mov_b32 s35, 0
	s_wait_loadcnt 0x0
	v_trunc_f64_e32 v[12:13], v[12:13]
	s_delay_alu instid0(VALU_DEP_1) | instskip(NEXT) | instid1(VALU_DEP_1)
	v_ldexp_f64 v[16:17], v[12:13], 0xffffffe0
	v_floor_f64_e32 v[16:17], v[16:17]
	s_delay_alu instid0(VALU_DEP_1) | instskip(SKIP_1) | instid1(VALU_DEP_2)
	v_fmamk_f64 v[18:19], v[16:17], 0xc1f00000, v[12:13]
	v_cvt_i32_f64_e32 v13, v[16:17]
	v_cvt_u32_f64_e32 v12, v[18:19]
	s_branch .LBB95_358
.LBB95_356:
	s_mov_b32 s35, -1
                                        ; implicit-def: $vgpr12_vgpr13
	s_branch .LBB95_361
.LBB95_357:
	s_mov_b32 s35, -1
                                        ; implicit-def: $vgpr12_vgpr13
.LBB95_358:
	s_delay_alu instid0(SALU_CYCLE_1)
	s_and_not1_b32 vcc_lo, exec_lo, s35
	s_cbranch_vccnz .LBB95_360
; %bb.359:
	global_load_b32 v1, v[14:15], off
	s_wait_loadcnt 0x0
	v_trunc_f32_e32 v1, v1
	s_delay_alu instid0(VALU_DEP_1) | instskip(SKIP_1) | instid1(VALU_DEP_2)
	v_mul_f32_e64 v3, 0x2f800000, |v1|
	v_ashrrev_i32_e32 v12, 31, v1
	v_floor_f32_e32 v3, v3
	s_delay_alu instid0(VALU_DEP_1) | instskip(SKIP_1) | instid1(VALU_DEP_4)
	v_fma_f32 v7, 0xcf800000, v3, |v1|
	v_cvt_u32_f32_e32 v1, v3
	v_mov_b32_e32 v13, v12
	s_delay_alu instid0(VALU_DEP_3) | instskip(NEXT) | instid1(VALU_DEP_3)
	v_cvt_u32_f32_e32 v3, v7
	v_xor_b32_e32 v17, v1, v12
	s_delay_alu instid0(VALU_DEP_2) | instskip(NEXT) | instid1(VALU_DEP_1)
	v_xor_b32_e32 v16, v3, v12
	v_sub_nc_u64_e32 v[12:13], v[16:17], v[12:13]
.LBB95_360:
	s_mov_b32 s35, 0
.LBB95_361:
	s_delay_alu instid0(SALU_CYCLE_1)
	s_and_not1_b32 vcc_lo, exec_lo, s35
	s_cbranch_vccnz .LBB95_363
; %bb.362:
	global_load_u16 v1, v[14:15], off
	s_wait_loadcnt 0x0
	v_cvt_f32_f16_e32 v1, v1
	s_delay_alu instid0(VALU_DEP_1) | instskip(NEXT) | instid1(VALU_DEP_1)
	v_cvt_i32_f32_e32 v12, v1
	v_ashrrev_i32_e32 v13, 31, v12
.LBB95_363:
	s_mov_b32 s35, 0
.LBB95_364:
	s_delay_alu instid0(SALU_CYCLE_1)
	s_and_not1_b32 vcc_lo, exec_lo, s35
	s_cbranch_vccnz .LBB95_384
; %bb.365:
	s_cmp_lt_i32 s0, 2
	s_cbranch_scc1 .LBB95_369
; %bb.366:
	s_cmp_lt_i32 s0, 3
	s_cbranch_scc1 .LBB95_370
; %bb.367:
	s_cmp_gt_i32 s0, 3
	s_cbranch_scc0 .LBB95_371
; %bb.368:
	s_wait_loadcnt 0x0
	global_load_b64 v[12:13], v[14:15], off
	s_mov_b32 s35, 0
	s_branch .LBB95_372
.LBB95_369:
	s_mov_b32 s35, -1
                                        ; implicit-def: $vgpr12_vgpr13
	s_branch .LBB95_378
.LBB95_370:
	s_mov_b32 s35, -1
                                        ; implicit-def: $vgpr12_vgpr13
	s_branch .LBB95_375
.LBB95_371:
	s_mov_b32 s35, -1
                                        ; implicit-def: $vgpr12_vgpr13
.LBB95_372:
	s_delay_alu instid0(SALU_CYCLE_1)
	s_and_not1_b32 vcc_lo, exec_lo, s35
	s_cbranch_vccnz .LBB95_374
; %bb.373:
	s_wait_loadcnt 0x0
	global_load_b32 v12, v[14:15], off
	s_wait_loadcnt 0x0
	v_ashrrev_i32_e32 v13, 31, v12
.LBB95_374:
	s_mov_b32 s35, 0
.LBB95_375:
	s_delay_alu instid0(SALU_CYCLE_1)
	s_and_not1_b32 vcc_lo, exec_lo, s35
	s_cbranch_vccnz .LBB95_377
; %bb.376:
	global_load_u16 v1, v[14:15], off
	s_wait_loadcnt 0x0
	v_bfe_i32 v12, v1, 0, 16
	s_delay_alu instid0(VALU_DEP_1)
	v_ashrrev_i32_e32 v13, 31, v12
.LBB95_377:
	s_mov_b32 s35, 0
.LBB95_378:
	s_delay_alu instid0(SALU_CYCLE_1)
	s_and_not1_b32 vcc_lo, exec_lo, s35
	s_cbranch_vccnz .LBB95_384
; %bb.379:
	s_cmp_gt_i32 s0, 0
	s_mov_b32 s0, 0
	s_cbranch_scc0 .LBB95_381
; %bb.380:
	global_load_i8 v1, v[14:15], off
	s_wait_loadcnt 0x0
	v_bfe_i32 v12, v1, 0, 16
	s_delay_alu instid0(VALU_DEP_1)
	v_ashrrev_i32_e32 v13, 31, v12
	s_branch .LBB95_382
.LBB95_381:
	s_mov_b32 s0, -1
                                        ; implicit-def: $vgpr12_vgpr13
.LBB95_382:
	s_delay_alu instid0(SALU_CYCLE_1)
	s_and_not1_b32 vcc_lo, exec_lo, s0
	s_cbranch_vccnz .LBB95_384
; %bb.383:
	global_load_u8 v1, v[14:15], off
	s_mov_b32 s0, 0
	s_wait_loadcnt 0x1
	v_mov_b32_e32 v13, s0
	s_wait_loadcnt 0x0
	v_and_b32_e32 v12, 0xffff, v1
.LBB95_384:
	s_mov_b32 s39, -1
.LBB95_385:
	s_delay_alu instid0(SALU_CYCLE_1)
	s_and_not1_b32 vcc_lo, exec_lo, s39
	s_cbranch_vccnz .LBB95_393
; %bb.386:
	s_load_b512 s[4:19], s[2:3], 0x248
	v_mov_b32_e32 v11, 0
	s_and_b32 s0, s75, 0xff
	s_delay_alu instid0(SALU_CYCLE_1) | instskip(SKIP_1) | instid1(VALU_DEP_1)
	s_cmp_lt_i32 s0, 11
	s_wait_kmcnt 0x0
	v_add_nc_u64_e32 v[14:15], s[12:13], v[10:11]
	s_cbranch_scc1 .LBB95_394
; %bb.387:
	s_and_b32 s35, 0xffff, s0
	s_delay_alu instid0(SALU_CYCLE_1)
	s_cmp_gt_i32 s35, 25
	s_cbranch_scc0 .LBB95_395
; %bb.388:
	s_cmp_gt_i32 s35, 28
	s_cbranch_scc0 .LBB95_396
; %bb.389:
	;; [unrolled: 3-line block ×4, first 2 shown]
	s_cmp_eq_u32 s35, 46
	s_mov_b32 s40, 0
	s_cbranch_scc0 .LBB95_399
; %bb.392:
	global_load_b32 v1, v[14:15], off
	s_mov_b32 s39, -1
	s_mov_b32 s83, 0
	s_wait_loadcnt 0x0
	v_lshlrev_b32_e32 v1, 16, v1
	s_delay_alu instid0(VALU_DEP_1) | instskip(NEXT) | instid1(VALU_DEP_1)
	v_trunc_f32_e32 v1, v1
	v_mul_f32_e64 v3, 0x2f800000, |v1|
	v_ashrrev_i32_e32 v10, 31, v1
	s_delay_alu instid0(VALU_DEP_2) | instskip(NEXT) | instid1(VALU_DEP_2)
	v_floor_f32_e32 v3, v3
	v_mov_b32_e32 v11, v10
	s_delay_alu instid0(VALU_DEP_2) | instskip(SKIP_1) | instid1(VALU_DEP_2)
	v_fma_f32 v7, 0xcf800000, v3, |v1|
	v_cvt_u32_f32_e32 v1, v3
	v_cvt_u32_f32_e32 v3, v7
	s_delay_alu instid0(VALU_DEP_2) | instskip(NEXT) | instid1(VALU_DEP_2)
	v_xor_b32_e32 v17, v1, v10
	v_xor_b32_e32 v16, v3, v10
	s_delay_alu instid0(VALU_DEP_1)
	v_sub_nc_u64_e32 v[10:11], v[16:17], v[10:11]
	s_branch .LBB95_401
.LBB95_393:
	s_mov_b32 s0, 0
	s_mov_b32 s35, 0
	;; [unrolled: 1-line block ×8, first 2 shown]
	s_branch .LBB95_649
.LBB95_394:
	s_mov_b32 s35, -1
	s_mov_b32 s83, 0
	s_mov_b32 s39, 0
                                        ; implicit-def: $vgpr10_vgpr11
	s_branch .LBB95_462
.LBB95_395:
	s_mov_b32 s40, -1
	s_mov_b32 s83, 0
	s_mov_b32 s39, 0
                                        ; implicit-def: $vgpr10_vgpr11
	s_branch .LBB95_428
.LBB95_396:
	s_mov_b32 s40, -1
	s_mov_b32 s83, 0
	s_mov_b32 s39, 0
                                        ; implicit-def: $vgpr10_vgpr11
	s_branch .LBB95_411
.LBB95_397:
	s_mov_b32 s40, -1
	s_mov_b32 s83, 0
	s_mov_b32 s39, 0
                                        ; implicit-def: $vgpr10_vgpr11
	s_branch .LBB95_406
.LBB95_398:
	s_mov_b32 s40, -1
	s_mov_b32 s83, 0
	s_branch .LBB95_400
.LBB95_399:
	s_mov_b32 s83, -1
.LBB95_400:
	s_mov_b32 s39, 0
                                        ; implicit-def: $vgpr10_vgpr11
.LBB95_401:
	s_and_b32 vcc_lo, exec_lo, s40
	s_cbranch_vccz .LBB95_405
; %bb.402:
	s_cmp_eq_u32 s35, 44
	s_cbranch_scc0 .LBB95_404
; %bb.403:
	global_load_u8 v1, v[14:15], off
	s_mov_b32 s83, 0
	s_mov_b32 s39, -1
	s_wait_loadcnt 0x0
	v_lshlrev_b32_e32 v3, 23, v1
	v_cmp_ne_u32_e32 vcc_lo, 0, v1
	s_delay_alu instid0(VALU_DEP_2) | instskip(NEXT) | instid1(VALU_DEP_1)
	v_trunc_f32_e32 v3, v3
	v_mul_f32_e64 v7, 0x2f800000, |v3|
	v_ashrrev_i32_e32 v10, 31, v3
	s_delay_alu instid0(VALU_DEP_2) | instskip(NEXT) | instid1(VALU_DEP_1)
	v_floor_f32_e32 v7, v7
	v_fma_f32 v11, 0xcf800000, v7, |v3|
	v_cvt_u32_f32_e32 v3, v7
	s_delay_alu instid0(VALU_DEP_2) | instskip(NEXT) | instid1(VALU_DEP_2)
	v_cvt_u32_f32_e32 v7, v11
	v_dual_mov_b32 v11, v10 :: v_dual_bitop2_b32 v17, v3, v10 bitop3:0x14
	s_delay_alu instid0(VALU_DEP_2) | instskip(NEXT) | instid1(VALU_DEP_1)
	v_xor_b32_e32 v16, v7, v10
	v_sub_nc_u64_e32 v[10:11], v[16:17], v[10:11]
	s_delay_alu instid0(VALU_DEP_1)
	v_dual_cndmask_b32 v11, 0, v11 :: v_dual_cndmask_b32 v10, 0, v10
	s_branch .LBB95_405
.LBB95_404:
	s_mov_b32 s83, -1
                                        ; implicit-def: $vgpr10_vgpr11
.LBB95_405:
	s_mov_b32 s40, 0
.LBB95_406:
	s_delay_alu instid0(SALU_CYCLE_1)
	s_and_b32 vcc_lo, exec_lo, s40
	s_cbranch_vccz .LBB95_410
; %bb.407:
	s_cmp_eq_u32 s35, 29
	s_cbranch_scc0 .LBB95_409
; %bb.408:
	global_load_b64 v[10:11], v[14:15], off
	s_mov_b32 s39, -1
	s_mov_b32 s83, 0
	s_branch .LBB95_410
.LBB95_409:
	s_mov_b32 s83, -1
                                        ; implicit-def: $vgpr10_vgpr11
.LBB95_410:
	s_mov_b32 s40, 0
.LBB95_411:
	s_delay_alu instid0(SALU_CYCLE_1)
	s_and_b32 vcc_lo, exec_lo, s40
	s_cbranch_vccz .LBB95_427
; %bb.412:
	s_cmp_lt_i32 s35, 27
	s_cbranch_scc1 .LBB95_415
; %bb.413:
	s_cmp_gt_i32 s35, 27
	s_cbranch_scc0 .LBB95_416
; %bb.414:
	s_wait_loadcnt 0x0
	global_load_b32 v10, v[14:15], off
	v_mov_b32_e32 v11, 0
	s_mov_b32 s39, 0
	s_branch .LBB95_417
.LBB95_415:
	s_mov_b32 s39, -1
                                        ; implicit-def: $vgpr10_vgpr11
	s_branch .LBB95_420
.LBB95_416:
	s_mov_b32 s39, -1
                                        ; implicit-def: $vgpr10_vgpr11
.LBB95_417:
	s_delay_alu instid0(SALU_CYCLE_1)
	s_and_not1_b32 vcc_lo, exec_lo, s39
	s_cbranch_vccnz .LBB95_419
; %bb.418:
	global_load_u16 v1, v[14:15], off
	s_mov_b32 s20, 0
	s_wait_loadcnt 0x1
	v_mov_b32_e32 v11, s20
	s_wait_loadcnt 0x0
	v_and_b32_e32 v10, 0xffff, v1
.LBB95_419:
	s_mov_b32 s39, 0
.LBB95_420:
	s_delay_alu instid0(SALU_CYCLE_1)
	s_and_not1_b32 vcc_lo, exec_lo, s39
	s_cbranch_vccnz .LBB95_426
; %bb.421:
	global_load_u8 v1, v[14:15], off
	s_mov_b32 s40, 0
	s_mov_b32 s20, exec_lo
	s_wait_loadcnt 0x0
	v_cmpx_lt_i16_e32 0x7f, v1
	s_xor_b32 s39, exec_lo, s20
	s_cbranch_execz .LBB95_438
; %bb.422:
	v_cmp_ne_u16_e32 vcc_lo, 0x80, v1
	s_and_b32 s40, vcc_lo, exec_lo
	s_and_not1_saveexec_b32 s39, s39
	s_cbranch_execnz .LBB95_439
.LBB95_423:
	s_or_b32 exec_lo, exec_lo, s39
	v_mov_b64_e32 v[10:11], 0
	s_and_saveexec_b32 s39, s40
	s_cbranch_execz .LBB95_425
.LBB95_424:
	v_and_b32_e32 v3, 0xffff, v1
	s_delay_alu instid0(VALU_DEP_1) | instskip(SKIP_1) | instid1(VALU_DEP_2)
	v_and_b32_e32 v7, 7, v3
	v_bfe_u32 v16, v3, 3, 4
	v_clz_i32_u32_e32 v10, v7
	s_delay_alu instid0(VALU_DEP_2) | instskip(NEXT) | instid1(VALU_DEP_2)
	v_cmp_eq_u32_e32 vcc_lo, 0, v16
	v_min_u32_e32 v10, 32, v10
	s_delay_alu instid0(VALU_DEP_1) | instskip(NEXT) | instid1(VALU_DEP_1)
	v_subrev_nc_u32_e32 v11, 28, v10
	v_dual_lshlrev_b32 v3, v11, v3 :: v_dual_sub_nc_u32 v10, 29, v10
	s_delay_alu instid0(VALU_DEP_1) | instskip(NEXT) | instid1(VALU_DEP_1)
	v_dual_lshlrev_b32 v1, 24, v1 :: v_dual_bitop2_b32 v3, 7, v3 bitop3:0x40
	v_dual_cndmask_b32 v10, v16, v10 :: v_dual_cndmask_b32 v3, v7, v3
	s_delay_alu instid0(VALU_DEP_2) | instskip(NEXT) | instid1(VALU_DEP_2)
	v_and_b32_e32 v1, 0x80000000, v1
	v_lshl_add_u32 v7, v10, 23, 0x3b800000
	s_delay_alu instid0(VALU_DEP_3) | instskip(NEXT) | instid1(VALU_DEP_1)
	v_lshlrev_b32_e32 v3, 20, v3
	v_or3_b32 v1, v1, v7, v3
	s_delay_alu instid0(VALU_DEP_1) | instskip(NEXT) | instid1(VALU_DEP_1)
	v_trunc_f32_e32 v1, v1
	v_mul_f32_e64 v3, 0x2f800000, |v1|
	v_ashrrev_i32_e32 v10, 31, v1
	s_delay_alu instid0(VALU_DEP_2) | instskip(NEXT) | instid1(VALU_DEP_2)
	v_floor_f32_e32 v3, v3
	v_mov_b32_e32 v11, v10
	s_delay_alu instid0(VALU_DEP_2) | instskip(SKIP_1) | instid1(VALU_DEP_2)
	v_fma_f32 v7, 0xcf800000, v3, |v1|
	v_cvt_u32_f32_e32 v1, v3
	v_cvt_u32_f32_e32 v3, v7
	s_delay_alu instid0(VALU_DEP_2) | instskip(NEXT) | instid1(VALU_DEP_2)
	v_xor_b32_e32 v17, v1, v10
	v_xor_b32_e32 v16, v3, v10
	s_delay_alu instid0(VALU_DEP_1)
	v_sub_nc_u64_e32 v[10:11], v[16:17], v[10:11]
.LBB95_425:
	s_or_b32 exec_lo, exec_lo, s39
.LBB95_426:
	s_mov_b32 s39, -1
.LBB95_427:
	s_mov_b32 s40, 0
.LBB95_428:
	s_delay_alu instid0(SALU_CYCLE_1)
	s_and_b32 vcc_lo, exec_lo, s40
	s_cbranch_vccz .LBB95_461
; %bb.429:
	s_cmp_gt_i32 s35, 22
	s_cbranch_scc0 .LBB95_437
; %bb.430:
	s_cmp_lt_i32 s35, 24
	s_cbranch_scc1 .LBB95_440
; %bb.431:
	s_cmp_gt_i32 s35, 24
	s_cbranch_scc0 .LBB95_441
; %bb.432:
	global_load_u8 v1, v[14:15], off
	s_mov_b32 s40, 0
	s_mov_b32 s20, exec_lo
	s_wait_loadcnt 0x0
	v_cmpx_lt_i16_e32 0x7f, v1
	s_xor_b32 s39, exec_lo, s20
	s_cbranch_execz .LBB95_453
; %bb.433:
	v_cmp_ne_u16_e32 vcc_lo, 0x80, v1
	s_and_b32 s40, vcc_lo, exec_lo
	s_and_not1_saveexec_b32 s39, s39
	s_cbranch_execnz .LBB95_454
.LBB95_434:
	s_or_b32 exec_lo, exec_lo, s39
	v_mov_b64_e32 v[10:11], 0
	s_and_saveexec_b32 s39, s40
	s_cbranch_execz .LBB95_436
.LBB95_435:
	v_and_b32_e32 v3, 0xffff, v1
	s_delay_alu instid0(VALU_DEP_1) | instskip(SKIP_1) | instid1(VALU_DEP_2)
	v_and_b32_e32 v7, 3, v3
	v_bfe_u32 v16, v3, 2, 5
	v_clz_i32_u32_e32 v10, v7
	s_delay_alu instid0(VALU_DEP_2) | instskip(NEXT) | instid1(VALU_DEP_2)
	v_cmp_eq_u32_e32 vcc_lo, 0, v16
	v_min_u32_e32 v10, 32, v10
	s_delay_alu instid0(VALU_DEP_1) | instskip(NEXT) | instid1(VALU_DEP_1)
	v_subrev_nc_u32_e32 v11, 29, v10
	v_dual_lshlrev_b32 v3, v11, v3 :: v_dual_sub_nc_u32 v10, 30, v10
	s_delay_alu instid0(VALU_DEP_1) | instskip(NEXT) | instid1(VALU_DEP_1)
	v_dual_lshlrev_b32 v1, 24, v1 :: v_dual_bitop2_b32 v3, 3, v3 bitop3:0x40
	v_dual_cndmask_b32 v10, v16, v10 :: v_dual_cndmask_b32 v3, v7, v3
	s_delay_alu instid0(VALU_DEP_2) | instskip(NEXT) | instid1(VALU_DEP_2)
	v_and_b32_e32 v1, 0x80000000, v1
	v_lshl_add_u32 v7, v10, 23, 0x37800000
	s_delay_alu instid0(VALU_DEP_3) | instskip(NEXT) | instid1(VALU_DEP_1)
	v_lshlrev_b32_e32 v3, 21, v3
	v_or3_b32 v1, v1, v7, v3
	s_delay_alu instid0(VALU_DEP_1) | instskip(NEXT) | instid1(VALU_DEP_1)
	v_trunc_f32_e32 v1, v1
	v_mul_f32_e64 v3, 0x2f800000, |v1|
	v_ashrrev_i32_e32 v10, 31, v1
	s_delay_alu instid0(VALU_DEP_2) | instskip(NEXT) | instid1(VALU_DEP_2)
	v_floor_f32_e32 v3, v3
	v_mov_b32_e32 v11, v10
	s_delay_alu instid0(VALU_DEP_2) | instskip(SKIP_1) | instid1(VALU_DEP_2)
	v_fma_f32 v7, 0xcf800000, v3, |v1|
	v_cvt_u32_f32_e32 v1, v3
	v_cvt_u32_f32_e32 v3, v7
	s_delay_alu instid0(VALU_DEP_2) | instskip(NEXT) | instid1(VALU_DEP_2)
	v_xor_b32_e32 v17, v1, v10
	v_xor_b32_e32 v16, v3, v10
	s_delay_alu instid0(VALU_DEP_1)
	v_sub_nc_u64_e32 v[10:11], v[16:17], v[10:11]
.LBB95_436:
	s_or_b32 exec_lo, exec_lo, s39
	s_mov_b32 s39, 0
	s_branch .LBB95_442
.LBB95_437:
	s_mov_b32 s40, -1
                                        ; implicit-def: $vgpr10_vgpr11
	s_branch .LBB95_448
.LBB95_438:
	s_and_not1_saveexec_b32 s39, s39
	s_cbranch_execz .LBB95_423
.LBB95_439:
	v_cmp_ne_u16_e32 vcc_lo, 0, v1
	s_and_not1_b32 s20, s40, exec_lo
	s_and_b32 s21, vcc_lo, exec_lo
	s_delay_alu instid0(SALU_CYCLE_1)
	s_or_b32 s40, s20, s21
	s_or_b32 exec_lo, exec_lo, s39
	v_mov_b64_e32 v[10:11], 0
	s_and_saveexec_b32 s39, s40
	s_cbranch_execnz .LBB95_424
	s_branch .LBB95_425
.LBB95_440:
	s_mov_b32 s39, -1
                                        ; implicit-def: $vgpr10_vgpr11
	s_branch .LBB95_445
.LBB95_441:
	s_mov_b32 s39, -1
                                        ; implicit-def: $vgpr10_vgpr11
.LBB95_442:
	s_delay_alu instid0(SALU_CYCLE_1)
	s_and_b32 vcc_lo, exec_lo, s39
	s_cbranch_vccz .LBB95_444
; %bb.443:
	global_load_u8 v1, v[14:15], off
	s_wait_loadcnt 0x0
	v_lshlrev_b32_e32 v1, 24, v1
	s_delay_alu instid0(VALU_DEP_1) | instskip(NEXT) | instid1(VALU_DEP_1)
	v_and_b32_e32 v3, 0x7f000000, v1
	v_clz_i32_u32_e32 v7, v3
	v_add_nc_u32_e32 v11, 0x1000000, v3
	v_cmp_ne_u32_e32 vcc_lo, 0, v3
	s_delay_alu instid0(VALU_DEP_3) | instskip(NEXT) | instid1(VALU_DEP_1)
	v_min_u32_e32 v7, 32, v7
	v_sub_nc_u32_e64 v7, v7, 4 clamp
	s_delay_alu instid0(VALU_DEP_1) | instskip(NEXT) | instid1(VALU_DEP_1)
	v_lshlrev_b32_e32 v10, v7, v3
	v_dual_lshlrev_b32 v7, 23, v7 :: v_dual_lshrrev_b32 v10, 4, v10
	s_delay_alu instid0(VALU_DEP_1) | instskip(SKIP_1) | instid1(VALU_DEP_2)
	v_sub_nc_u32_e32 v7, v10, v7
	v_ashrrev_i32_e32 v10, 8, v11
	v_add_nc_u32_e32 v7, 0x3c000000, v7
	s_delay_alu instid0(VALU_DEP_1) | instskip(NEXT) | instid1(VALU_DEP_1)
	v_and_or_b32 v7, 0x7f800000, v10, v7
	v_cndmask_b32_e32 v3, 0, v7, vcc_lo
	s_delay_alu instid0(VALU_DEP_1) | instskip(NEXT) | instid1(VALU_DEP_1)
	v_and_or_b32 v1, 0x80000000, v1, v3
	v_trunc_f32_e32 v1, v1
	s_delay_alu instid0(VALU_DEP_1) | instskip(SKIP_1) | instid1(VALU_DEP_2)
	v_mul_f32_e64 v3, 0x2f800000, |v1|
	v_ashrrev_i32_e32 v10, 31, v1
	v_floor_f32_e32 v3, v3
	s_delay_alu instid0(VALU_DEP_2) | instskip(NEXT) | instid1(VALU_DEP_2)
	v_mov_b32_e32 v11, v10
	v_fma_f32 v7, 0xcf800000, v3, |v1|
	v_cvt_u32_f32_e32 v1, v3
	s_delay_alu instid0(VALU_DEP_2) | instskip(NEXT) | instid1(VALU_DEP_2)
	v_cvt_u32_f32_e32 v3, v7
	v_xor_b32_e32 v17, v1, v10
	s_delay_alu instid0(VALU_DEP_2) | instskip(NEXT) | instid1(VALU_DEP_1)
	v_xor_b32_e32 v16, v3, v10
	v_sub_nc_u64_e32 v[10:11], v[16:17], v[10:11]
.LBB95_444:
	s_mov_b32 s39, 0
.LBB95_445:
	s_delay_alu instid0(SALU_CYCLE_1)
	s_and_not1_b32 vcc_lo, exec_lo, s39
	s_cbranch_vccnz .LBB95_447
; %bb.446:
	global_load_u8 v1, v[14:15], off
	s_wait_loadcnt 0x0
	v_lshlrev_b32_e32 v3, 25, v1
	v_lshlrev_b16 v1, 8, v1
	s_delay_alu instid0(VALU_DEP_1) | instskip(SKIP_1) | instid1(VALU_DEP_2)
	v_and_or_b32 v10, 0x7f00, v1, 0.5
	v_bfe_i32 v1, v1, 0, 16
	v_dual_add_f32 v10, -0.5, v10 :: v_dual_lshrrev_b32 v7, 4, v3
	v_cmp_gt_u32_e32 vcc_lo, 0x8000000, v3
	s_delay_alu instid0(VALU_DEP_2) | instskip(NEXT) | instid1(VALU_DEP_1)
	v_or_b32_e32 v7, 0x70000000, v7
	v_mul_f32_e32 v7, 0x7800000, v7
	s_delay_alu instid0(VALU_DEP_1) | instskip(NEXT) | instid1(VALU_DEP_1)
	v_cndmask_b32_e32 v3, v7, v10, vcc_lo
	v_and_or_b32 v1, 0x80000000, v1, v3
	s_delay_alu instid0(VALU_DEP_1) | instskip(NEXT) | instid1(VALU_DEP_1)
	v_trunc_f32_e32 v1, v1
	v_mul_f32_e64 v3, 0x2f800000, |v1|
	v_ashrrev_i32_e32 v10, 31, v1
	s_delay_alu instid0(VALU_DEP_2) | instskip(NEXT) | instid1(VALU_DEP_2)
	v_floor_f32_e32 v3, v3
	v_mov_b32_e32 v11, v10
	s_delay_alu instid0(VALU_DEP_2) | instskip(SKIP_1) | instid1(VALU_DEP_2)
	v_fma_f32 v7, 0xcf800000, v3, |v1|
	v_cvt_u32_f32_e32 v1, v3
	v_cvt_u32_f32_e32 v3, v7
	s_delay_alu instid0(VALU_DEP_2) | instskip(NEXT) | instid1(VALU_DEP_2)
	v_xor_b32_e32 v17, v1, v10
	v_xor_b32_e32 v16, v3, v10
	s_delay_alu instid0(VALU_DEP_1)
	v_sub_nc_u64_e32 v[10:11], v[16:17], v[10:11]
.LBB95_447:
	s_mov_b32 s40, 0
	s_mov_b32 s39, -1
.LBB95_448:
	s_and_not1_b32 vcc_lo, exec_lo, s40
	s_cbranch_vccnz .LBB95_461
; %bb.449:
	s_cmp_gt_i32 s35, 14
	s_cbranch_scc0 .LBB95_452
; %bb.450:
	s_cmp_eq_u32 s35, 15
	s_cbranch_scc0 .LBB95_455
; %bb.451:
	global_load_u16 v1, v[14:15], off
	s_mov_b32 s39, -1
	s_mov_b32 s83, 0
	s_wait_loadcnt 0x0
	v_lshlrev_b32_e32 v1, 16, v1
	s_delay_alu instid0(VALU_DEP_1) | instskip(NEXT) | instid1(VALU_DEP_1)
	v_trunc_f32_e32 v1, v1
	v_mul_f32_e64 v3, 0x2f800000, |v1|
	v_ashrrev_i32_e32 v10, 31, v1
	s_delay_alu instid0(VALU_DEP_2) | instskip(NEXT) | instid1(VALU_DEP_2)
	v_floor_f32_e32 v3, v3
	v_mov_b32_e32 v11, v10
	s_delay_alu instid0(VALU_DEP_2) | instskip(SKIP_1) | instid1(VALU_DEP_2)
	v_fma_f32 v7, 0xcf800000, v3, |v1|
	v_cvt_u32_f32_e32 v1, v3
	v_cvt_u32_f32_e32 v3, v7
	s_delay_alu instid0(VALU_DEP_2) | instskip(NEXT) | instid1(VALU_DEP_2)
	v_xor_b32_e32 v17, v1, v10
	v_xor_b32_e32 v16, v3, v10
	s_delay_alu instid0(VALU_DEP_1)
	v_sub_nc_u64_e32 v[10:11], v[16:17], v[10:11]
	s_branch .LBB95_456
.LBB95_452:
	s_mov_b32 s40, -1
                                        ; implicit-def: $vgpr10_vgpr11
	s_branch .LBB95_457
.LBB95_453:
	s_and_not1_saveexec_b32 s39, s39
	s_cbranch_execz .LBB95_434
.LBB95_454:
	v_cmp_ne_u16_e32 vcc_lo, 0, v1
	s_and_not1_b32 s20, s40, exec_lo
	s_and_b32 s21, vcc_lo, exec_lo
	s_delay_alu instid0(SALU_CYCLE_1)
	s_or_b32 s40, s20, s21
	s_or_b32 exec_lo, exec_lo, s39
	v_mov_b64_e32 v[10:11], 0
	s_and_saveexec_b32 s39, s40
	s_cbranch_execnz .LBB95_435
	s_branch .LBB95_436
.LBB95_455:
	s_mov_b32 s83, -1
                                        ; implicit-def: $vgpr10_vgpr11
.LBB95_456:
	s_mov_b32 s40, 0
.LBB95_457:
	s_delay_alu instid0(SALU_CYCLE_1)
	s_and_b32 vcc_lo, exec_lo, s40
	s_cbranch_vccz .LBB95_461
; %bb.458:
	s_cmp_eq_u32 s35, 11
	s_cbranch_scc0 .LBB95_460
; %bb.459:
	global_load_u8 v1, v[14:15], off
	s_mov_b32 s83, 0
	s_mov_b32 s39, -1
	s_wait_loadcnt 0x1
	v_mov_b32_e32 v11, s83
	s_wait_loadcnt 0x0
	v_cmp_ne_u16_e32 vcc_lo, 0, v1
	v_cndmask_b32_e64 v10, 0, 1, vcc_lo
	s_branch .LBB95_461
.LBB95_460:
	s_mov_b32 s83, -1
                                        ; implicit-def: $vgpr10_vgpr11
.LBB95_461:
	s_mov_b32 s35, 0
.LBB95_462:
	s_delay_alu instid0(SALU_CYCLE_1)
	s_and_b32 vcc_lo, exec_lo, s35
	s_cbranch_vccz .LBB95_511
; %bb.463:
	s_and_b32 s0, 0xffff, s0
	s_delay_alu instid0(SALU_CYCLE_1)
	s_cmp_lt_i32 s0, 5
	s_cbranch_scc1 .LBB95_468
; %bb.464:
	s_cmp_lt_i32 s0, 8
	s_cbranch_scc1 .LBB95_469
; %bb.465:
	;; [unrolled: 3-line block ×3, first 2 shown]
	s_cmp_gt_i32 s0, 9
	s_cbranch_scc0 .LBB95_471
; %bb.467:
	s_wait_loadcnt 0x0
	global_load_b64 v[10:11], v[14:15], off
	s_mov_b32 s35, 0
	s_wait_loadcnt 0x0
	v_trunc_f64_e32 v[10:11], v[10:11]
	s_delay_alu instid0(VALU_DEP_1) | instskip(NEXT) | instid1(VALU_DEP_1)
	v_ldexp_f64 v[16:17], v[10:11], 0xffffffe0
	v_floor_f64_e32 v[16:17], v[16:17]
	s_delay_alu instid0(VALU_DEP_1) | instskip(SKIP_1) | instid1(VALU_DEP_2)
	v_fmamk_f64 v[18:19], v[16:17], 0xc1f00000, v[10:11]
	v_cvt_i32_f64_e32 v11, v[16:17]
	v_cvt_u32_f64_e32 v10, v[18:19]
	s_branch .LBB95_472
.LBB95_468:
	s_mov_b32 s35, -1
                                        ; implicit-def: $vgpr10_vgpr11
	s_branch .LBB95_490
.LBB95_469:
	s_mov_b32 s35, -1
                                        ; implicit-def: $vgpr10_vgpr11
	s_branch .LBB95_478
.LBB95_470:
	s_mov_b32 s35, -1
                                        ; implicit-def: $vgpr10_vgpr11
	s_branch .LBB95_475
.LBB95_471:
	s_mov_b32 s35, -1
                                        ; implicit-def: $vgpr10_vgpr11
.LBB95_472:
	s_delay_alu instid0(SALU_CYCLE_1)
	s_and_not1_b32 vcc_lo, exec_lo, s35
	s_cbranch_vccnz .LBB95_474
; %bb.473:
	global_load_b32 v1, v[14:15], off
	s_wait_loadcnt 0x0
	v_trunc_f32_e32 v1, v1
	s_delay_alu instid0(VALU_DEP_1) | instskip(SKIP_1) | instid1(VALU_DEP_2)
	v_mul_f32_e64 v3, 0x2f800000, |v1|
	v_ashrrev_i32_e32 v10, 31, v1
	v_floor_f32_e32 v3, v3
	s_delay_alu instid0(VALU_DEP_1) | instskip(SKIP_1) | instid1(VALU_DEP_4)
	v_fma_f32 v7, 0xcf800000, v3, |v1|
	v_cvt_u32_f32_e32 v1, v3
	v_mov_b32_e32 v11, v10
	s_delay_alu instid0(VALU_DEP_3) | instskip(NEXT) | instid1(VALU_DEP_3)
	v_cvt_u32_f32_e32 v3, v7
	v_xor_b32_e32 v17, v1, v10
	s_delay_alu instid0(VALU_DEP_2) | instskip(NEXT) | instid1(VALU_DEP_1)
	v_xor_b32_e32 v16, v3, v10
	v_sub_nc_u64_e32 v[10:11], v[16:17], v[10:11]
.LBB95_474:
	s_mov_b32 s35, 0
.LBB95_475:
	s_delay_alu instid0(SALU_CYCLE_1)
	s_and_not1_b32 vcc_lo, exec_lo, s35
	s_cbranch_vccnz .LBB95_477
; %bb.476:
	global_load_b32 v1, v[14:15], off
	s_wait_loadcnt 0x0
	v_cvt_f32_f16_e32 v1, v1
	s_delay_alu instid0(VALU_DEP_1) | instskip(NEXT) | instid1(VALU_DEP_1)
	v_cvt_i32_f32_e32 v10, v1
	v_ashrrev_i32_e32 v11, 31, v10
.LBB95_477:
	s_mov_b32 s35, 0
.LBB95_478:
	s_delay_alu instid0(SALU_CYCLE_1)
	s_and_not1_b32 vcc_lo, exec_lo, s35
	s_cbranch_vccnz .LBB95_489
; %bb.479:
	s_cmp_lt_i32 s0, 6
	s_cbranch_scc1 .LBB95_482
; %bb.480:
	s_cmp_gt_i32 s0, 6
	s_cbranch_scc0 .LBB95_483
; %bb.481:
	s_wait_loadcnt 0x0
	global_load_b64 v[10:11], v[14:15], off
	s_mov_b32 s35, 0
	s_wait_loadcnt 0x0
	v_trunc_f64_e32 v[10:11], v[10:11]
	s_delay_alu instid0(VALU_DEP_1) | instskip(NEXT) | instid1(VALU_DEP_1)
	v_ldexp_f64 v[16:17], v[10:11], 0xffffffe0
	v_floor_f64_e32 v[16:17], v[16:17]
	s_delay_alu instid0(VALU_DEP_1) | instskip(SKIP_1) | instid1(VALU_DEP_2)
	v_fmamk_f64 v[18:19], v[16:17], 0xc1f00000, v[10:11]
	v_cvt_i32_f64_e32 v11, v[16:17]
	v_cvt_u32_f64_e32 v10, v[18:19]
	s_branch .LBB95_484
.LBB95_482:
	s_mov_b32 s35, -1
                                        ; implicit-def: $vgpr10_vgpr11
	s_branch .LBB95_487
.LBB95_483:
	s_mov_b32 s35, -1
                                        ; implicit-def: $vgpr10_vgpr11
.LBB95_484:
	s_delay_alu instid0(SALU_CYCLE_1)
	s_and_not1_b32 vcc_lo, exec_lo, s35
	s_cbranch_vccnz .LBB95_486
; %bb.485:
	global_load_b32 v1, v[14:15], off
	s_wait_loadcnt 0x0
	v_trunc_f32_e32 v1, v1
	s_delay_alu instid0(VALU_DEP_1) | instskip(SKIP_1) | instid1(VALU_DEP_2)
	v_mul_f32_e64 v3, 0x2f800000, |v1|
	v_ashrrev_i32_e32 v10, 31, v1
	v_floor_f32_e32 v3, v3
	s_delay_alu instid0(VALU_DEP_1) | instskip(SKIP_1) | instid1(VALU_DEP_4)
	v_fma_f32 v7, 0xcf800000, v3, |v1|
	v_cvt_u32_f32_e32 v1, v3
	v_mov_b32_e32 v11, v10
	s_delay_alu instid0(VALU_DEP_3) | instskip(NEXT) | instid1(VALU_DEP_3)
	v_cvt_u32_f32_e32 v3, v7
	v_xor_b32_e32 v17, v1, v10
	s_delay_alu instid0(VALU_DEP_2) | instskip(NEXT) | instid1(VALU_DEP_1)
	v_xor_b32_e32 v16, v3, v10
	v_sub_nc_u64_e32 v[10:11], v[16:17], v[10:11]
.LBB95_486:
	s_mov_b32 s35, 0
.LBB95_487:
	s_delay_alu instid0(SALU_CYCLE_1)
	s_and_not1_b32 vcc_lo, exec_lo, s35
	s_cbranch_vccnz .LBB95_489
; %bb.488:
	global_load_u16 v1, v[14:15], off
	s_wait_loadcnt 0x0
	v_cvt_f32_f16_e32 v1, v1
	s_delay_alu instid0(VALU_DEP_1) | instskip(NEXT) | instid1(VALU_DEP_1)
	v_cvt_i32_f32_e32 v10, v1
	v_ashrrev_i32_e32 v11, 31, v10
.LBB95_489:
	s_mov_b32 s35, 0
.LBB95_490:
	s_delay_alu instid0(SALU_CYCLE_1)
	s_and_not1_b32 vcc_lo, exec_lo, s35
	s_cbranch_vccnz .LBB95_510
; %bb.491:
	s_cmp_lt_i32 s0, 2
	s_cbranch_scc1 .LBB95_495
; %bb.492:
	s_cmp_lt_i32 s0, 3
	s_cbranch_scc1 .LBB95_496
; %bb.493:
	s_cmp_gt_i32 s0, 3
	s_cbranch_scc0 .LBB95_497
; %bb.494:
	s_wait_loadcnt 0x0
	global_load_b64 v[10:11], v[14:15], off
	s_mov_b32 s35, 0
	s_branch .LBB95_498
.LBB95_495:
	s_mov_b32 s35, -1
                                        ; implicit-def: $vgpr10_vgpr11
	s_branch .LBB95_504
.LBB95_496:
	s_mov_b32 s35, -1
                                        ; implicit-def: $vgpr10_vgpr11
	s_branch .LBB95_501
.LBB95_497:
	s_mov_b32 s35, -1
                                        ; implicit-def: $vgpr10_vgpr11
.LBB95_498:
	s_delay_alu instid0(SALU_CYCLE_1)
	s_and_not1_b32 vcc_lo, exec_lo, s35
	s_cbranch_vccnz .LBB95_500
; %bb.499:
	s_wait_loadcnt 0x0
	global_load_b32 v10, v[14:15], off
	s_wait_loadcnt 0x0
	v_ashrrev_i32_e32 v11, 31, v10
.LBB95_500:
	s_mov_b32 s35, 0
.LBB95_501:
	s_delay_alu instid0(SALU_CYCLE_1)
	s_and_not1_b32 vcc_lo, exec_lo, s35
	s_cbranch_vccnz .LBB95_503
; %bb.502:
	global_load_u16 v1, v[14:15], off
	s_wait_loadcnt 0x0
	v_bfe_i32 v10, v1, 0, 16
	s_delay_alu instid0(VALU_DEP_1)
	v_ashrrev_i32_e32 v11, 31, v10
.LBB95_503:
	s_mov_b32 s35, 0
.LBB95_504:
	s_delay_alu instid0(SALU_CYCLE_1)
	s_and_not1_b32 vcc_lo, exec_lo, s35
	s_cbranch_vccnz .LBB95_510
; %bb.505:
	s_cmp_gt_i32 s0, 0
	s_mov_b32 s0, 0
	s_cbranch_scc0 .LBB95_507
; %bb.506:
	global_load_i8 v1, v[14:15], off
	s_wait_loadcnt 0x0
	v_bfe_i32 v10, v1, 0, 16
	s_delay_alu instid0(VALU_DEP_1)
	v_ashrrev_i32_e32 v11, 31, v10
	s_branch .LBB95_508
.LBB95_507:
	s_mov_b32 s0, -1
                                        ; implicit-def: $vgpr10_vgpr11
.LBB95_508:
	s_delay_alu instid0(SALU_CYCLE_1)
	s_and_not1_b32 vcc_lo, exec_lo, s0
	s_cbranch_vccnz .LBB95_510
; %bb.509:
	global_load_u8 v1, v[14:15], off
	s_mov_b32 s0, 0
	s_wait_loadcnt 0x1
	v_mov_b32_e32 v11, s0
	s_wait_loadcnt 0x0
	v_and_b32_e32 v10, 0xffff, v1
.LBB95_510:
	s_mov_b32 s39, -1
.LBB95_511:
	s_delay_alu instid0(SALU_CYCLE_1)
	s_and_not1_b32 vcc_lo, exec_lo, s39
	s_cbranch_vccnz .LBB95_519
; %bb.512:
	s_load_b512 s[4:19], s[2:3], 0x248
	v_mov_b32_e32 v7, 0
	s_and_b32 s0, s78, 0xff
	s_delay_alu instid0(SALU_CYCLE_1) | instskip(SKIP_1) | instid1(VALU_DEP_1)
	s_cmp_lt_i32 s0, 11
	s_wait_kmcnt 0x0
	v_add_nc_u64_e32 v[6:7], s[14:15], v[6:7]
	s_cbranch_scc1 .LBB95_520
; %bb.513:
	s_and_b32 s35, 0xffff, s0
	s_delay_alu instid0(SALU_CYCLE_1)
	s_cmp_gt_i32 s35, 25
	s_cbranch_scc0 .LBB95_521
; %bb.514:
	s_cmp_gt_i32 s35, 28
	s_cbranch_scc0 .LBB95_522
; %bb.515:
	;; [unrolled: 3-line block ×4, first 2 shown]
	s_cmp_eq_u32 s35, 46
	s_mov_b32 s40, 0
	s_cbranch_scc0 .LBB95_525
; %bb.518:
	global_load_b32 v1, v[6:7], off
	s_mov_b32 s39, -1
	s_mov_b32 s82, 0
	s_wait_loadcnt 0x0
	v_lshlrev_b32_e32 v1, 16, v1
	s_delay_alu instid0(VALU_DEP_1) | instskip(NEXT) | instid1(VALU_DEP_1)
	v_trunc_f32_e32 v1, v1
	v_mul_f32_e64 v3, 0x2f800000, |v1|
	v_ashrrev_i32_e32 v14, 31, v1
	s_delay_alu instid0(VALU_DEP_2) | instskip(NEXT) | instid1(VALU_DEP_1)
	v_floor_f32_e32 v3, v3
	v_fma_f32 v15, 0xcf800000, v3, |v1|
	v_cvt_u32_f32_e32 v1, v3
	s_delay_alu instid0(VALU_DEP_2) | instskip(NEXT) | instid1(VALU_DEP_2)
	v_cvt_u32_f32_e32 v3, v15
	v_dual_mov_b32 v15, v14 :: v_dual_bitop2_b32 v17, v1, v14 bitop3:0x14
	s_delay_alu instid0(VALU_DEP_2) | instskip(NEXT) | instid1(VALU_DEP_1)
	v_xor_b32_e32 v16, v3, v14
	v_sub_nc_u64_e32 v[14:15], v[16:17], v[14:15]
	s_branch .LBB95_527
.LBB95_519:
	s_mov_b32 s0, 0
	s_mov_b32 s35, 0
	;; [unrolled: 1-line block ×7, first 2 shown]
	s_branch .LBB95_649
.LBB95_520:
	s_mov_b32 s35, -1
	s_mov_b32 s82, 0
	s_mov_b32 s39, 0
                                        ; implicit-def: $vgpr14_vgpr15
	s_branch .LBB95_588
.LBB95_521:
	s_mov_b32 s40, -1
	s_mov_b32 s82, 0
	s_mov_b32 s39, 0
                                        ; implicit-def: $vgpr14_vgpr15
	s_branch .LBB95_554
.LBB95_522:
	s_mov_b32 s40, -1
	s_mov_b32 s82, 0
	s_mov_b32 s39, 0
                                        ; implicit-def: $vgpr14_vgpr15
	s_branch .LBB95_537
.LBB95_523:
	s_mov_b32 s40, -1
	s_mov_b32 s82, 0
	s_mov_b32 s39, 0
                                        ; implicit-def: $vgpr14_vgpr15
	s_branch .LBB95_532
.LBB95_524:
	s_mov_b32 s40, -1
	s_mov_b32 s82, 0
	s_branch .LBB95_526
.LBB95_525:
	s_mov_b32 s82, -1
.LBB95_526:
	s_mov_b32 s39, 0
                                        ; implicit-def: $vgpr14_vgpr15
.LBB95_527:
	s_and_b32 vcc_lo, exec_lo, s40
	s_cbranch_vccz .LBB95_531
; %bb.528:
	s_cmp_eq_u32 s35, 44
	s_cbranch_scc0 .LBB95_530
; %bb.529:
	global_load_u8 v1, v[6:7], off
	s_mov_b32 s82, 0
	s_mov_b32 s39, -1
	s_wait_loadcnt 0x0
	v_lshlrev_b32_e32 v3, 23, v1
	v_cmp_ne_u32_e32 vcc_lo, 0, v1
	s_delay_alu instid0(VALU_DEP_2) | instskip(NEXT) | instid1(VALU_DEP_1)
	v_trunc_f32_e32 v3, v3
	v_mul_f32_e64 v14, 0x2f800000, |v3|
	s_delay_alu instid0(VALU_DEP_1) | instskip(SKIP_1) | instid1(VALU_DEP_2)
	v_floor_f32_e32 v15, v14
	v_ashrrev_i32_e32 v14, 31, v3
	v_fma_f32 v16, 0xcf800000, v15, |v3|
	v_cvt_u32_f32_e32 v3, v15
	s_delay_alu instid0(VALU_DEP_3) | instskip(NEXT) | instid1(VALU_DEP_3)
	v_mov_b32_e32 v15, v14
	v_cvt_u32_f32_e32 v16, v16
	s_delay_alu instid0(VALU_DEP_3) | instskip(NEXT) | instid1(VALU_DEP_2)
	v_xor_b32_e32 v17, v3, v14
	v_xor_b32_e32 v16, v16, v14
	s_delay_alu instid0(VALU_DEP_1) | instskip(NEXT) | instid1(VALU_DEP_1)
	v_sub_nc_u64_e32 v[14:15], v[16:17], v[14:15]
	v_dual_cndmask_b32 v15, 0, v15 :: v_dual_cndmask_b32 v14, 0, v14
	s_branch .LBB95_531
.LBB95_530:
	s_mov_b32 s82, -1
                                        ; implicit-def: $vgpr14_vgpr15
.LBB95_531:
	s_mov_b32 s40, 0
.LBB95_532:
	s_delay_alu instid0(SALU_CYCLE_1)
	s_and_b32 vcc_lo, exec_lo, s40
	s_cbranch_vccz .LBB95_536
; %bb.533:
	s_cmp_eq_u32 s35, 29
	s_cbranch_scc0 .LBB95_535
; %bb.534:
	global_load_b64 v[14:15], v[6:7], off
	s_mov_b32 s39, -1
	s_mov_b32 s82, 0
	s_branch .LBB95_536
.LBB95_535:
	s_mov_b32 s82, -1
                                        ; implicit-def: $vgpr14_vgpr15
.LBB95_536:
	s_mov_b32 s40, 0
.LBB95_537:
	s_delay_alu instid0(SALU_CYCLE_1)
	s_and_b32 vcc_lo, exec_lo, s40
	s_cbranch_vccz .LBB95_553
; %bb.538:
	s_cmp_lt_i32 s35, 27
	s_cbranch_scc1 .LBB95_541
; %bb.539:
	s_cmp_gt_i32 s35, 27
	s_cbranch_scc0 .LBB95_542
; %bb.540:
	s_wait_loadcnt 0x0
	global_load_b32 v14, v[6:7], off
	v_mov_b32_e32 v15, 0
	s_mov_b32 s39, 0
	s_branch .LBB95_543
.LBB95_541:
	s_mov_b32 s39, -1
                                        ; implicit-def: $vgpr14_vgpr15
	s_branch .LBB95_546
.LBB95_542:
	s_mov_b32 s39, -1
                                        ; implicit-def: $vgpr14_vgpr15
.LBB95_543:
	s_delay_alu instid0(SALU_CYCLE_1)
	s_and_not1_b32 vcc_lo, exec_lo, s39
	s_cbranch_vccnz .LBB95_545
; %bb.544:
	global_load_u16 v1, v[6:7], off
	s_mov_b32 s20, 0
	s_wait_loadcnt 0x1
	v_mov_b32_e32 v15, s20
	s_wait_loadcnt 0x0
	v_and_b32_e32 v14, 0xffff, v1
.LBB95_545:
	s_mov_b32 s39, 0
.LBB95_546:
	s_delay_alu instid0(SALU_CYCLE_1)
	s_and_not1_b32 vcc_lo, exec_lo, s39
	s_cbranch_vccnz .LBB95_552
; %bb.547:
	global_load_u8 v1, v[6:7], off
	s_mov_b32 s40, 0
	s_mov_b32 s20, exec_lo
	s_wait_loadcnt 0x0
	v_cmpx_lt_i16_e32 0x7f, v1
	s_xor_b32 s39, exec_lo, s20
	s_cbranch_execz .LBB95_564
; %bb.548:
	v_cmp_ne_u16_e32 vcc_lo, 0x80, v1
	s_and_b32 s40, vcc_lo, exec_lo
	s_and_not1_saveexec_b32 s39, s39
	s_cbranch_execnz .LBB95_565
.LBB95_549:
	s_or_b32 exec_lo, exec_lo, s39
	v_mov_b64_e32 v[14:15], 0
	s_and_saveexec_b32 s39, s40
	s_cbranch_execz .LBB95_551
.LBB95_550:
	v_and_b32_e32 v3, 0xffff, v1
	s_delay_alu instid0(VALU_DEP_1) | instskip(SKIP_1) | instid1(VALU_DEP_2)
	v_dual_lshlrev_b32 v1, 24, v1 :: v_dual_bitop2_b32 v14, 7, v3 bitop3:0x40
	v_bfe_u32 v17, v3, 3, 4
	v_and_b32_e32 v1, 0x80000000, v1
	s_delay_alu instid0(VALU_DEP_3) | instskip(NEXT) | instid1(VALU_DEP_3)
	v_clz_i32_u32_e32 v15, v14
	v_cmp_eq_u32_e32 vcc_lo, 0, v17
	s_delay_alu instid0(VALU_DEP_2) | instskip(NEXT) | instid1(VALU_DEP_1)
	v_min_u32_e32 v15, 32, v15
	v_subrev_nc_u32_e32 v16, 28, v15
	v_sub_nc_u32_e32 v15, 29, v15
	s_delay_alu instid0(VALU_DEP_2) | instskip(NEXT) | instid1(VALU_DEP_2)
	v_lshlrev_b32_e32 v3, v16, v3
	v_cndmask_b32_e32 v15, v17, v15, vcc_lo
	s_delay_alu instid0(VALU_DEP_2) | instskip(NEXT) | instid1(VALU_DEP_1)
	v_and_b32_e32 v3, 7, v3
	v_cndmask_b32_e32 v3, v14, v3, vcc_lo
	s_delay_alu instid0(VALU_DEP_3) | instskip(NEXT) | instid1(VALU_DEP_2)
	v_lshl_add_u32 v14, v15, 23, 0x3b800000
	v_lshlrev_b32_e32 v3, 20, v3
	s_delay_alu instid0(VALU_DEP_1) | instskip(NEXT) | instid1(VALU_DEP_1)
	v_or3_b32 v1, v1, v14, v3
	v_trunc_f32_e32 v1, v1
	s_delay_alu instid0(VALU_DEP_1) | instskip(SKIP_1) | instid1(VALU_DEP_2)
	v_mul_f32_e64 v3, 0x2f800000, |v1|
	v_ashrrev_i32_e32 v14, 31, v1
	v_floor_f32_e32 v3, v3
	s_delay_alu instid0(VALU_DEP_1) | instskip(SKIP_1) | instid1(VALU_DEP_2)
	v_fma_f32 v15, 0xcf800000, v3, |v1|
	v_cvt_u32_f32_e32 v1, v3
	v_cvt_u32_f32_e32 v3, v15
	s_delay_alu instid0(VALU_DEP_2) | instskip(NEXT) | instid1(VALU_DEP_2)
	v_dual_mov_b32 v15, v14 :: v_dual_bitop2_b32 v17, v1, v14 bitop3:0x14
	v_xor_b32_e32 v16, v3, v14
	s_delay_alu instid0(VALU_DEP_1)
	v_sub_nc_u64_e32 v[14:15], v[16:17], v[14:15]
.LBB95_551:
	s_or_b32 exec_lo, exec_lo, s39
.LBB95_552:
	s_mov_b32 s39, -1
.LBB95_553:
	s_mov_b32 s40, 0
.LBB95_554:
	s_delay_alu instid0(SALU_CYCLE_1)
	s_and_b32 vcc_lo, exec_lo, s40
	s_cbranch_vccz .LBB95_587
; %bb.555:
	s_cmp_gt_i32 s35, 22
	s_cbranch_scc0 .LBB95_563
; %bb.556:
	s_cmp_lt_i32 s35, 24
	s_cbranch_scc1 .LBB95_566
; %bb.557:
	s_cmp_gt_i32 s35, 24
	s_cbranch_scc0 .LBB95_567
; %bb.558:
	global_load_u8 v1, v[6:7], off
	s_mov_b32 s40, 0
	s_mov_b32 s20, exec_lo
	s_wait_loadcnt 0x0
	v_cmpx_lt_i16_e32 0x7f, v1
	s_xor_b32 s39, exec_lo, s20
	s_cbranch_execz .LBB95_579
; %bb.559:
	v_cmp_ne_u16_e32 vcc_lo, 0x80, v1
	s_and_b32 s40, vcc_lo, exec_lo
	s_and_not1_saveexec_b32 s39, s39
	s_cbranch_execnz .LBB95_580
.LBB95_560:
	s_or_b32 exec_lo, exec_lo, s39
	v_mov_b64_e32 v[14:15], 0
	s_and_saveexec_b32 s39, s40
	s_cbranch_execz .LBB95_562
.LBB95_561:
	v_and_b32_e32 v3, 0xffff, v1
	s_delay_alu instid0(VALU_DEP_1) | instskip(SKIP_1) | instid1(VALU_DEP_2)
	v_dual_lshlrev_b32 v1, 24, v1 :: v_dual_bitop2_b32 v14, 3, v3 bitop3:0x40
	v_bfe_u32 v17, v3, 2, 5
	v_and_b32_e32 v1, 0x80000000, v1
	s_delay_alu instid0(VALU_DEP_3) | instskip(NEXT) | instid1(VALU_DEP_3)
	v_clz_i32_u32_e32 v15, v14
	v_cmp_eq_u32_e32 vcc_lo, 0, v17
	s_delay_alu instid0(VALU_DEP_2) | instskip(NEXT) | instid1(VALU_DEP_1)
	v_min_u32_e32 v15, 32, v15
	v_subrev_nc_u32_e32 v16, 29, v15
	v_sub_nc_u32_e32 v15, 30, v15
	s_delay_alu instid0(VALU_DEP_2) | instskip(NEXT) | instid1(VALU_DEP_2)
	v_lshlrev_b32_e32 v3, v16, v3
	v_cndmask_b32_e32 v15, v17, v15, vcc_lo
	s_delay_alu instid0(VALU_DEP_2) | instskip(NEXT) | instid1(VALU_DEP_1)
	v_and_b32_e32 v3, 3, v3
	v_cndmask_b32_e32 v3, v14, v3, vcc_lo
	s_delay_alu instid0(VALU_DEP_3) | instskip(NEXT) | instid1(VALU_DEP_2)
	v_lshl_add_u32 v14, v15, 23, 0x37800000
	v_lshlrev_b32_e32 v3, 21, v3
	s_delay_alu instid0(VALU_DEP_1) | instskip(NEXT) | instid1(VALU_DEP_1)
	v_or3_b32 v1, v1, v14, v3
	v_trunc_f32_e32 v1, v1
	s_delay_alu instid0(VALU_DEP_1) | instskip(SKIP_1) | instid1(VALU_DEP_2)
	v_mul_f32_e64 v3, 0x2f800000, |v1|
	v_ashrrev_i32_e32 v14, 31, v1
	v_floor_f32_e32 v3, v3
	s_delay_alu instid0(VALU_DEP_1) | instskip(SKIP_1) | instid1(VALU_DEP_2)
	v_fma_f32 v15, 0xcf800000, v3, |v1|
	v_cvt_u32_f32_e32 v1, v3
	v_cvt_u32_f32_e32 v3, v15
	s_delay_alu instid0(VALU_DEP_2) | instskip(NEXT) | instid1(VALU_DEP_2)
	v_dual_mov_b32 v15, v14 :: v_dual_bitop2_b32 v17, v1, v14 bitop3:0x14
	v_xor_b32_e32 v16, v3, v14
	s_delay_alu instid0(VALU_DEP_1)
	v_sub_nc_u64_e32 v[14:15], v[16:17], v[14:15]
.LBB95_562:
	s_or_b32 exec_lo, exec_lo, s39
	s_mov_b32 s39, 0
	s_branch .LBB95_568
.LBB95_563:
	s_mov_b32 s40, -1
                                        ; implicit-def: $vgpr14_vgpr15
	s_branch .LBB95_574
.LBB95_564:
	s_and_not1_saveexec_b32 s39, s39
	s_cbranch_execz .LBB95_549
.LBB95_565:
	v_cmp_ne_u16_e32 vcc_lo, 0, v1
	s_and_not1_b32 s20, s40, exec_lo
	s_and_b32 s21, vcc_lo, exec_lo
	s_delay_alu instid0(SALU_CYCLE_1)
	s_or_b32 s40, s20, s21
	s_or_b32 exec_lo, exec_lo, s39
	v_mov_b64_e32 v[14:15], 0
	s_and_saveexec_b32 s39, s40
	s_cbranch_execnz .LBB95_550
	s_branch .LBB95_551
.LBB95_566:
	s_mov_b32 s39, -1
                                        ; implicit-def: $vgpr14_vgpr15
	s_branch .LBB95_571
.LBB95_567:
	s_mov_b32 s39, -1
                                        ; implicit-def: $vgpr14_vgpr15
.LBB95_568:
	s_delay_alu instid0(SALU_CYCLE_1)
	s_and_b32 vcc_lo, exec_lo, s39
	s_cbranch_vccz .LBB95_570
; %bb.569:
	global_load_u8 v1, v[6:7], off
	s_wait_loadcnt 0x0
	v_lshlrev_b32_e32 v1, 24, v1
	s_delay_alu instid0(VALU_DEP_1) | instskip(NEXT) | instid1(VALU_DEP_1)
	v_and_b32_e32 v3, 0x7f000000, v1
	v_clz_i32_u32_e32 v14, v3
	v_cmp_ne_u32_e32 vcc_lo, 0, v3
	v_add_nc_u32_e32 v16, 0x1000000, v3
	s_delay_alu instid0(VALU_DEP_3) | instskip(NEXT) | instid1(VALU_DEP_1)
	v_min_u32_e32 v14, 32, v14
	v_sub_nc_u32_e64 v14, v14, 4 clamp
	s_delay_alu instid0(VALU_DEP_1) | instskip(NEXT) | instid1(VALU_DEP_1)
	v_dual_lshlrev_b32 v15, v14, v3 :: v_dual_lshlrev_b32 v14, 23, v14
	v_lshrrev_b32_e32 v15, 4, v15
	s_delay_alu instid0(VALU_DEP_1) | instskip(NEXT) | instid1(VALU_DEP_1)
	v_dual_sub_nc_u32 v14, v15, v14 :: v_dual_ashrrev_i32 v15, 8, v16
	v_add_nc_u32_e32 v14, 0x3c000000, v14
	s_delay_alu instid0(VALU_DEP_1) | instskip(NEXT) | instid1(VALU_DEP_1)
	v_and_or_b32 v14, 0x7f800000, v15, v14
	v_cndmask_b32_e32 v3, 0, v14, vcc_lo
	s_delay_alu instid0(VALU_DEP_1) | instskip(NEXT) | instid1(VALU_DEP_1)
	v_and_or_b32 v1, 0x80000000, v1, v3
	v_trunc_f32_e32 v1, v1
	s_delay_alu instid0(VALU_DEP_1) | instskip(SKIP_1) | instid1(VALU_DEP_2)
	v_mul_f32_e64 v3, 0x2f800000, |v1|
	v_ashrrev_i32_e32 v14, 31, v1
	v_floor_f32_e32 v3, v3
	s_delay_alu instid0(VALU_DEP_1) | instskip(SKIP_1) | instid1(VALU_DEP_2)
	v_fma_f32 v15, 0xcf800000, v3, |v1|
	v_cvt_u32_f32_e32 v1, v3
	v_cvt_u32_f32_e32 v3, v15
	s_delay_alu instid0(VALU_DEP_2) | instskip(NEXT) | instid1(VALU_DEP_2)
	v_dual_mov_b32 v15, v14 :: v_dual_bitop2_b32 v17, v1, v14 bitop3:0x14
	v_xor_b32_e32 v16, v3, v14
	s_delay_alu instid0(VALU_DEP_1)
	v_sub_nc_u64_e32 v[14:15], v[16:17], v[14:15]
.LBB95_570:
	s_mov_b32 s39, 0
.LBB95_571:
	s_delay_alu instid0(SALU_CYCLE_1)
	s_and_not1_b32 vcc_lo, exec_lo, s39
	s_cbranch_vccnz .LBB95_573
; %bb.572:
	global_load_u8 v1, v[6:7], off
	s_wait_loadcnt 0x0
	v_lshlrev_b32_e32 v3, 25, v1
	v_lshlrev_b16 v1, 8, v1
	s_delay_alu instid0(VALU_DEP_1) | instskip(SKIP_1) | instid1(VALU_DEP_2)
	v_and_or_b32 v15, 0x7f00, v1, 0.5
	v_bfe_i32 v1, v1, 0, 16
	v_add_f32_e32 v15, -0.5, v15
	v_lshrrev_b32_e32 v14, 4, v3
	v_cmp_gt_u32_e32 vcc_lo, 0x8000000, v3
	s_delay_alu instid0(VALU_DEP_2) | instskip(NEXT) | instid1(VALU_DEP_1)
	v_or_b32_e32 v14, 0x70000000, v14
	v_mul_f32_e32 v14, 0x7800000, v14
	s_delay_alu instid0(VALU_DEP_1) | instskip(NEXT) | instid1(VALU_DEP_1)
	v_cndmask_b32_e32 v3, v14, v15, vcc_lo
	v_and_or_b32 v1, 0x80000000, v1, v3
	s_delay_alu instid0(VALU_DEP_1) | instskip(NEXT) | instid1(VALU_DEP_1)
	v_trunc_f32_e32 v1, v1
	v_mul_f32_e64 v3, 0x2f800000, |v1|
	v_ashrrev_i32_e32 v14, 31, v1
	s_delay_alu instid0(VALU_DEP_2) | instskip(NEXT) | instid1(VALU_DEP_1)
	v_floor_f32_e32 v3, v3
	v_fma_f32 v15, 0xcf800000, v3, |v1|
	v_cvt_u32_f32_e32 v1, v3
	s_delay_alu instid0(VALU_DEP_2) | instskip(NEXT) | instid1(VALU_DEP_2)
	v_cvt_u32_f32_e32 v3, v15
	v_dual_mov_b32 v15, v14 :: v_dual_bitop2_b32 v17, v1, v14 bitop3:0x14
	s_delay_alu instid0(VALU_DEP_2) | instskip(NEXT) | instid1(VALU_DEP_1)
	v_xor_b32_e32 v16, v3, v14
	v_sub_nc_u64_e32 v[14:15], v[16:17], v[14:15]
.LBB95_573:
	s_mov_b32 s40, 0
	s_mov_b32 s39, -1
.LBB95_574:
	s_and_not1_b32 vcc_lo, exec_lo, s40
	s_cbranch_vccnz .LBB95_587
; %bb.575:
	s_cmp_gt_i32 s35, 14
	s_cbranch_scc0 .LBB95_578
; %bb.576:
	s_cmp_eq_u32 s35, 15
	s_cbranch_scc0 .LBB95_581
; %bb.577:
	global_load_u16 v1, v[6:7], off
	s_mov_b32 s39, -1
	s_mov_b32 s82, 0
	s_wait_loadcnt 0x0
	v_lshlrev_b32_e32 v1, 16, v1
	s_delay_alu instid0(VALU_DEP_1) | instskip(NEXT) | instid1(VALU_DEP_1)
	v_trunc_f32_e32 v1, v1
	v_mul_f32_e64 v3, 0x2f800000, |v1|
	v_ashrrev_i32_e32 v14, 31, v1
	s_delay_alu instid0(VALU_DEP_2) | instskip(NEXT) | instid1(VALU_DEP_1)
	v_floor_f32_e32 v3, v3
	v_fma_f32 v15, 0xcf800000, v3, |v1|
	v_cvt_u32_f32_e32 v1, v3
	s_delay_alu instid0(VALU_DEP_2) | instskip(NEXT) | instid1(VALU_DEP_2)
	v_cvt_u32_f32_e32 v3, v15
	v_dual_mov_b32 v15, v14 :: v_dual_bitop2_b32 v17, v1, v14 bitop3:0x14
	s_delay_alu instid0(VALU_DEP_2) | instskip(NEXT) | instid1(VALU_DEP_1)
	v_xor_b32_e32 v16, v3, v14
	v_sub_nc_u64_e32 v[14:15], v[16:17], v[14:15]
	s_branch .LBB95_582
.LBB95_578:
	s_mov_b32 s40, -1
                                        ; implicit-def: $vgpr14_vgpr15
	s_branch .LBB95_583
.LBB95_579:
	s_and_not1_saveexec_b32 s39, s39
	s_cbranch_execz .LBB95_560
.LBB95_580:
	v_cmp_ne_u16_e32 vcc_lo, 0, v1
	s_and_not1_b32 s20, s40, exec_lo
	s_and_b32 s21, vcc_lo, exec_lo
	s_delay_alu instid0(SALU_CYCLE_1)
	s_or_b32 s40, s20, s21
	s_or_b32 exec_lo, exec_lo, s39
	v_mov_b64_e32 v[14:15], 0
	s_and_saveexec_b32 s39, s40
	s_cbranch_execnz .LBB95_561
	s_branch .LBB95_562
.LBB95_581:
	s_mov_b32 s82, -1
                                        ; implicit-def: $vgpr14_vgpr15
.LBB95_582:
	s_mov_b32 s40, 0
.LBB95_583:
	s_delay_alu instid0(SALU_CYCLE_1)
	s_and_b32 vcc_lo, exec_lo, s40
	s_cbranch_vccz .LBB95_587
; %bb.584:
	s_cmp_eq_u32 s35, 11
	s_cbranch_scc0 .LBB95_586
; %bb.585:
	global_load_u8 v1, v[6:7], off
	s_mov_b32 s82, 0
	s_mov_b32 s39, -1
	s_wait_loadcnt 0x1
	v_mov_b32_e32 v15, s82
	s_wait_loadcnt 0x0
	v_cmp_ne_u16_e32 vcc_lo, 0, v1
	v_cndmask_b32_e64 v14, 0, 1, vcc_lo
	s_branch .LBB95_587
.LBB95_586:
	s_mov_b32 s82, -1
                                        ; implicit-def: $vgpr14_vgpr15
.LBB95_587:
	s_mov_b32 s35, 0
.LBB95_588:
	s_delay_alu instid0(SALU_CYCLE_1)
	s_and_b32 vcc_lo, exec_lo, s35
	s_cbranch_vccz .LBB95_637
; %bb.589:
	s_and_b32 s0, 0xffff, s0
	s_delay_alu instid0(SALU_CYCLE_1)
	s_cmp_lt_i32 s0, 5
	s_cbranch_scc1 .LBB95_594
; %bb.590:
	s_cmp_lt_i32 s0, 8
	s_cbranch_scc1 .LBB95_595
; %bb.591:
	;; [unrolled: 3-line block ×3, first 2 shown]
	s_cmp_gt_i32 s0, 9
	s_cbranch_scc0 .LBB95_597
; %bb.593:
	s_wait_loadcnt 0x0
	global_load_b64 v[14:15], v[6:7], off
	s_mov_b32 s35, 0
	s_wait_loadcnt 0x0
	v_trunc_f64_e32 v[14:15], v[14:15]
	s_delay_alu instid0(VALU_DEP_1) | instskip(NEXT) | instid1(VALU_DEP_1)
	v_ldexp_f64 v[16:17], v[14:15], 0xffffffe0
	v_floor_f64_e32 v[16:17], v[16:17]
	s_delay_alu instid0(VALU_DEP_1) | instskip(SKIP_1) | instid1(VALU_DEP_2)
	v_fmamk_f64 v[18:19], v[16:17], 0xc1f00000, v[14:15]
	v_cvt_i32_f64_e32 v15, v[16:17]
	v_cvt_u32_f64_e32 v14, v[18:19]
	s_branch .LBB95_598
.LBB95_594:
	s_mov_b32 s35, -1
                                        ; implicit-def: $vgpr14_vgpr15
	s_branch .LBB95_616
.LBB95_595:
	s_mov_b32 s35, -1
                                        ; implicit-def: $vgpr14_vgpr15
	s_branch .LBB95_604
.LBB95_596:
	s_mov_b32 s35, -1
                                        ; implicit-def: $vgpr14_vgpr15
	s_branch .LBB95_601
.LBB95_597:
	s_mov_b32 s35, -1
                                        ; implicit-def: $vgpr14_vgpr15
.LBB95_598:
	s_delay_alu instid0(SALU_CYCLE_1)
	s_and_not1_b32 vcc_lo, exec_lo, s35
	s_cbranch_vccnz .LBB95_600
; %bb.599:
	global_load_b32 v1, v[6:7], off
	s_wait_loadcnt 0x0
	v_trunc_f32_e32 v1, v1
	s_delay_alu instid0(VALU_DEP_1) | instskip(SKIP_1) | instid1(VALU_DEP_2)
	v_mul_f32_e64 v3, 0x2f800000, |v1|
	v_ashrrev_i32_e32 v14, 31, v1
	v_floor_f32_e32 v3, v3
	s_delay_alu instid0(VALU_DEP_1) | instskip(SKIP_1) | instid1(VALU_DEP_2)
	v_fma_f32 v15, 0xcf800000, v3, |v1|
	v_cvt_u32_f32_e32 v1, v3
	v_cvt_u32_f32_e32 v3, v15
	s_delay_alu instid0(VALU_DEP_2) | instskip(NEXT) | instid1(VALU_DEP_2)
	v_dual_mov_b32 v15, v14 :: v_dual_bitop2_b32 v17, v1, v14 bitop3:0x14
	v_xor_b32_e32 v16, v3, v14
	s_delay_alu instid0(VALU_DEP_1)
	v_sub_nc_u64_e32 v[14:15], v[16:17], v[14:15]
.LBB95_600:
	s_mov_b32 s35, 0
.LBB95_601:
	s_delay_alu instid0(SALU_CYCLE_1)
	s_and_not1_b32 vcc_lo, exec_lo, s35
	s_cbranch_vccnz .LBB95_603
; %bb.602:
	global_load_b32 v1, v[6:7], off
	s_wait_loadcnt 0x0
	v_cvt_f32_f16_e32 v1, v1
	s_delay_alu instid0(VALU_DEP_1) | instskip(NEXT) | instid1(VALU_DEP_1)
	v_cvt_i32_f32_e32 v14, v1
	v_ashrrev_i32_e32 v15, 31, v14
.LBB95_603:
	s_mov_b32 s35, 0
.LBB95_604:
	s_delay_alu instid0(SALU_CYCLE_1)
	s_and_not1_b32 vcc_lo, exec_lo, s35
	s_cbranch_vccnz .LBB95_615
; %bb.605:
	s_cmp_lt_i32 s0, 6
	s_cbranch_scc1 .LBB95_608
; %bb.606:
	s_cmp_gt_i32 s0, 6
	s_cbranch_scc0 .LBB95_609
; %bb.607:
	s_wait_loadcnt 0x0
	global_load_b64 v[14:15], v[6:7], off
	s_mov_b32 s35, 0
	s_wait_loadcnt 0x0
	v_trunc_f64_e32 v[14:15], v[14:15]
	s_delay_alu instid0(VALU_DEP_1) | instskip(NEXT) | instid1(VALU_DEP_1)
	v_ldexp_f64 v[16:17], v[14:15], 0xffffffe0
	v_floor_f64_e32 v[16:17], v[16:17]
	s_delay_alu instid0(VALU_DEP_1) | instskip(SKIP_1) | instid1(VALU_DEP_2)
	v_fmamk_f64 v[18:19], v[16:17], 0xc1f00000, v[14:15]
	v_cvt_i32_f64_e32 v15, v[16:17]
	v_cvt_u32_f64_e32 v14, v[18:19]
	s_branch .LBB95_610
.LBB95_608:
	s_mov_b32 s35, -1
                                        ; implicit-def: $vgpr14_vgpr15
	s_branch .LBB95_613
.LBB95_609:
	s_mov_b32 s35, -1
                                        ; implicit-def: $vgpr14_vgpr15
.LBB95_610:
	s_delay_alu instid0(SALU_CYCLE_1)
	s_and_not1_b32 vcc_lo, exec_lo, s35
	s_cbranch_vccnz .LBB95_612
; %bb.611:
	global_load_b32 v1, v[6:7], off
	s_wait_loadcnt 0x0
	v_trunc_f32_e32 v1, v1
	s_delay_alu instid0(VALU_DEP_1) | instskip(SKIP_1) | instid1(VALU_DEP_2)
	v_mul_f32_e64 v3, 0x2f800000, |v1|
	v_ashrrev_i32_e32 v14, 31, v1
	v_floor_f32_e32 v3, v3
	s_delay_alu instid0(VALU_DEP_1) | instskip(SKIP_1) | instid1(VALU_DEP_2)
	v_fma_f32 v15, 0xcf800000, v3, |v1|
	v_cvt_u32_f32_e32 v1, v3
	v_cvt_u32_f32_e32 v3, v15
	s_delay_alu instid0(VALU_DEP_2) | instskip(NEXT) | instid1(VALU_DEP_2)
	v_dual_mov_b32 v15, v14 :: v_dual_bitop2_b32 v17, v1, v14 bitop3:0x14
	v_xor_b32_e32 v16, v3, v14
	s_delay_alu instid0(VALU_DEP_1)
	v_sub_nc_u64_e32 v[14:15], v[16:17], v[14:15]
.LBB95_612:
	s_mov_b32 s35, 0
.LBB95_613:
	s_delay_alu instid0(SALU_CYCLE_1)
	s_and_not1_b32 vcc_lo, exec_lo, s35
	s_cbranch_vccnz .LBB95_615
; %bb.614:
	global_load_u16 v1, v[6:7], off
	s_wait_loadcnt 0x0
	v_cvt_f32_f16_e32 v1, v1
	s_delay_alu instid0(VALU_DEP_1) | instskip(NEXT) | instid1(VALU_DEP_1)
	v_cvt_i32_f32_e32 v14, v1
	v_ashrrev_i32_e32 v15, 31, v14
.LBB95_615:
	s_mov_b32 s35, 0
.LBB95_616:
	s_delay_alu instid0(SALU_CYCLE_1)
	s_and_not1_b32 vcc_lo, exec_lo, s35
	s_cbranch_vccnz .LBB95_636
; %bb.617:
	s_cmp_lt_i32 s0, 2
	s_cbranch_scc1 .LBB95_621
; %bb.618:
	s_cmp_lt_i32 s0, 3
	s_cbranch_scc1 .LBB95_622
; %bb.619:
	s_cmp_gt_i32 s0, 3
	s_cbranch_scc0 .LBB95_623
; %bb.620:
	s_wait_loadcnt 0x0
	global_load_b64 v[14:15], v[6:7], off
	s_mov_b32 s35, 0
	s_branch .LBB95_624
.LBB95_621:
	s_mov_b32 s35, -1
                                        ; implicit-def: $vgpr14_vgpr15
	s_branch .LBB95_630
.LBB95_622:
	s_mov_b32 s35, -1
                                        ; implicit-def: $vgpr14_vgpr15
	s_branch .LBB95_627
.LBB95_623:
	s_mov_b32 s35, -1
                                        ; implicit-def: $vgpr14_vgpr15
.LBB95_624:
	s_delay_alu instid0(SALU_CYCLE_1)
	s_and_not1_b32 vcc_lo, exec_lo, s35
	s_cbranch_vccnz .LBB95_626
; %bb.625:
	s_wait_loadcnt 0x0
	global_load_b32 v14, v[6:7], off
	s_wait_loadcnt 0x0
	v_ashrrev_i32_e32 v15, 31, v14
.LBB95_626:
	s_mov_b32 s35, 0
.LBB95_627:
	s_delay_alu instid0(SALU_CYCLE_1)
	s_and_not1_b32 vcc_lo, exec_lo, s35
	s_cbranch_vccnz .LBB95_629
; %bb.628:
	global_load_u16 v1, v[6:7], off
	s_wait_loadcnt 0x0
	v_bfe_i32 v14, v1, 0, 16
	s_delay_alu instid0(VALU_DEP_1)
	v_ashrrev_i32_e32 v15, 31, v14
.LBB95_629:
	s_mov_b32 s35, 0
.LBB95_630:
	s_delay_alu instid0(SALU_CYCLE_1)
	s_and_not1_b32 vcc_lo, exec_lo, s35
	s_cbranch_vccnz .LBB95_636
; %bb.631:
	s_cmp_gt_i32 s0, 0
	s_mov_b32 s0, 0
	s_cbranch_scc0 .LBB95_633
; %bb.632:
	global_load_i8 v1, v[6:7], off
	s_wait_loadcnt 0x0
	v_bfe_i32 v14, v1, 0, 16
	s_delay_alu instid0(VALU_DEP_1)
	v_ashrrev_i32_e32 v15, 31, v14
	s_branch .LBB95_634
.LBB95_633:
	s_mov_b32 s0, -1
                                        ; implicit-def: $vgpr14_vgpr15
.LBB95_634:
	s_delay_alu instid0(SALU_CYCLE_1)
	s_and_not1_b32 vcc_lo, exec_lo, s0
	s_cbranch_vccnz .LBB95_636
; %bb.635:
	global_load_u8 v1, v[6:7], off
	s_mov_b32 s0, 0
	s_wait_loadcnt 0x1
	v_mov_b32_e32 v15, s0
	s_wait_loadcnt 0x0
	v_and_b32_e32 v14, 0xffff, v1
.LBB95_636:
	s_mov_b32 s39, -1
.LBB95_637:
	s_delay_alu instid0(SALU_CYCLE_1)
	s_and_not1_b32 vcc_lo, exec_lo, s39
	s_cbranch_vccnz .LBB95_648
; %bb.638:
	s_load_b512 s[4:19], s[2:3], 0x248
	s_mov_b32 s35, -1
	s_mov_b32 s0, 0
	s_mov_b32 s40, 0
	;; [unrolled: 1-line block ×5, first 2 shown]
	s_wait_loadcnt 0x0
	s_wait_kmcnt 0x0
	v_cmp_eq_u64_e32 vcc_lo, s[16:17], v[4:5]
	s_and_b32 s20, s101, vcc_lo
	s_delay_alu instid0(SALU_CYCLE_1)
	s_and_saveexec_b32 s39, s20
	s_cbranch_execz .LBB95_4036
; %bb.639:
	v_cmp_eq_u64_e32 vcc_lo, s[36:37], v[8:9]
	s_mov_b32 s54, 0
	s_and_b32 s20, vcc_hi, vcc_lo
	s_delay_alu instid0(SALU_CYCLE_1)
	s_and_saveexec_b32 s40, s20
	s_cbranch_execz .LBB95_1959
; %bb.640:
	s_load_b512 s[4:19], s[2:3], 0x248
	v_sub_nc_u64_e32 v[4:5], v[10:11], v[12:13]
	s_wait_kmcnt 0x0
	s_delay_alu instid0(VALU_DEP_1) | instskip(SKIP_4) | instid1(SALU_CYCLE_1)
	v_cmp_le_i64_e32 vcc_lo, s[16:17], v[4:5]
	v_cmp_ge_i64_e64 s0, s[18:19], v[4:5]
	s_and_b32 s20, vcc_lo, s0
	s_mov_b32 s0, 0
	s_and_b32 s20, s104, s20
	s_and_saveexec_b32 s41, s20
	s_cbranch_execz .LBB95_1958
; %bb.641:
	v_cmp_lt_i64_e64 s0, s[36:37], 1
	v_mov_b64_e32 v[4:5], 0
	s_xor_b32 s20, s49, -1
	s_delay_alu instid0(SALU_CYCLE_1) | instskip(NEXT) | instid1(SALU_CYCLE_1)
	s_or_b32 s0, s0, s20
	s_and_b32 vcc_lo, exec_lo, s0
	s_cbranch_vccnz .LBB95_689
; %bb.642:
	v_mul_u64_e32 v[8:9], s[36:37], v[14:15]
	s_mov_b32 s55, 0
	v_mov_b64_e32 v[4:5], 0
	s_mov_b32 s35, s55
	v_mov_b32_e32 v6, 0
	s_lshl_b64 s[20:21], s[34:35], 3
	s_mov_b64 s[56:57], 0xffffffff
	s_add_nc_u64 s[20:21], s[2:3], s[20:21]
	s_mov_b32 s35, s38
	s_add_nc_u64 s[58:59], s[20:21], 0x298
	s_branch .LBB95_644
.LBB95_643:                             ;   in Loop: Header=BB95_644 Depth=1
	s_or_b32 exec_lo, exec_lo, s0
	s_delay_alu instid0(VALU_DEP_1)
	v_mul_u64_e32 v[16:17], s[60:61], v[14:15]
	s_load_b64 s[20:21], s[58:59], 0x40
	s_add_co_i32 s35, s35, -1
	s_wait_xcnt 0x0
	s_add_nc_u64 s[58:59], s[58:59], -8
	s_cmp_eq_u32 s35, 0
	s_delay_alu instid0(VALU_DEP_1) | instskip(SKIP_1) | instid1(VALU_DEP_1)
	v_sub_nc_u64_e32 v[8:9], v[8:9], v[16:17]
	s_wait_kmcnt 0x0
	v_mad_nc_u64_u32 v[4:5], v8, s20, v[4:5]
	s_delay_alu instid0(VALU_DEP_1) | instskip(NEXT) | instid1(VALU_DEP_1)
	v_mad_u32 v1, v9, s20, v5
	v_mad_u32 v5, v8, s21, v1
	v_mov_b64_e32 v[8:9], v[14:15]
	s_cbranch_scc1 .LBB95_689
.LBB95_644:                             ; =>This Inner Loop Header: Depth=1
	s_load_b64 s[60:61], s[58:59], 0x0
                                        ; implicit-def: $vgpr14_vgpr15
	s_mov_b32 s0, exec_lo
	s_wait_kmcnt 0x0
	s_delay_alu instid0(VALU_DEP_1) | instskip(NEXT) | instid1(VALU_DEP_1)
	v_or_b32_e32 v7, s61, v9
	v_cmpx_ne_u64_e32 0, v[6:7]
	s_xor_b32 s42, exec_lo, s0
	s_cbranch_execz .LBB95_646
; %bb.645:                              ;   in Loop: Header=BB95_644 Depth=1
	s_ashr_i32 s62, s61, 31
	s_mov_b32 s6, s25
	s_mov_b32 s63, s62
	;; [unrolled: 1-line block ×3, first 2 shown]
	s_add_nc_u64 s[20:21], s[60:61], s[62:63]
	s_mov_b32 s5, s31
	s_xor_b64 s[64:65], s[20:21], s[62:63]
	s_mov_b64 s[28:29], s[44:45]
	s_cvt_f32_u32 s0, s64
	s_cvt_f32_u32 s20, s65
	s_sub_nc_u64 s[22:23], 0, s[64:65]
	s_mov_b64 s[30:31], s[46:47]
	v_dual_mov_b32 v19, v6 :: v_dual_ashrrev_i32 v14, 31, v9
	s_fmamk_f32 s0, s20, 0x4f800000, s0
	s_delay_alu instid0(VALU_DEP_1) | instskip(NEXT) | instid1(SALU_CYCLE_2)
	v_dual_mov_b32 v27, v6 :: v_dual_mov_b32 v15, v14
	v_s_rcp_f32 s0, s0
	s_delay_alu instid0(VALU_DEP_1) | instskip(SKIP_1) | instid1(TRANS32_DEP_1)
	v_add_nc_u64_e32 v[16:17], v[8:9], v[14:15]
	v_mov_b32_e32 v23, v6
	s_mul_f32 s0, s0, 0x5f7ffffc
	s_delay_alu instid0(VALU_DEP_2) | instskip(NEXT) | instid1(SALU_CYCLE_2)
	v_xor_b32_e32 v18, v16, v14
	s_mul_f32 s20, s0, 0x2f800000
	s_delay_alu instid0(VALU_DEP_3) | instskip(NEXT) | instid1(SALU_CYCLE_2)
	v_xor_b32_e32 v22, v17, v14
	s_trunc_f32 s20, s20
	s_delay_alu instid0(SALU_CYCLE_3) | instskip(SKIP_1) | instid1(SALU_CYCLE_2)
	s_fmamk_f32 s0, s20, 0xcf800000, s0
	s_cvt_u32_f32 s21, s20
	s_cvt_u32_f32 s20, s0
	s_delay_alu instid0(SALU_CYCLE_3) | instskip(NEXT) | instid1(SALU_CYCLE_1)
	s_mul_u64 s[24:25], s[22:23], s[20:21]
	s_mul_hi_u32 s27, s20, s25
	s_mul_i32 s26, s20, s25
	s_mul_hi_u32 s54, s20, s24
	s_mul_i32 s43, s21, s24
	s_add_nc_u64 s[26:27], s[54:55], s[26:27]
	s_mul_hi_u32 s0, s21, s24
	s_mul_hi_u32 s44, s21, s25
	s_mul_i32 s24, s21, s25
	s_add_co_u32 s25, s26, s43
	s_add_co_ci_u32 s54, s27, s0
	s_add_co_ci_u32 s25, s44, 0
	s_mov_b64 s[46:47], s[30:31]
	s_add_nc_u64 s[24:25], s[54:55], s[24:25]
	s_mov_b64 s[44:45], s[28:29]
	s_add_co_u32 s20, s20, s24
	s_cselect_b32 s0, -1, 0
	s_mov_b32 s31, s5
	s_cmp_lg_u32 s0, 0
	s_mov_b32 s28, s4
	s_add_co_ci_u32 s21, s21, s25
	s_delay_alu instid0(SALU_CYCLE_1) | instskip(NEXT) | instid1(SALU_CYCLE_1)
	s_mul_u64 s[22:23], s[22:23], s[20:21]
	s_mul_hi_u32 s25, s20, s23
	s_mul_i32 s24, s20, s23
	s_mul_hi_u32 s54, s20, s22
	s_mul_i32 s26, s21, s22
	s_add_nc_u64 s[24:25], s[54:55], s[24:25]
	s_mul_hi_u32 s0, s21, s22
	s_mul_hi_u32 s27, s21, s23
	s_mul_i32 s22, s21, s23
	s_add_co_u32 s23, s24, s26
	s_add_co_ci_u32 s54, s25, s0
	s_add_co_ci_u32 s23, s27, 0
	s_mov_b32 s25, s6
	s_add_nc_u64 s[22:23], s[54:55], s[22:23]
	s_delay_alu instid0(SALU_CYCLE_1)
	s_add_co_u32 s0, s20, s22
	s_cselect_b32 s20, -1, 0
	v_mul_hi_u32 v26, v18, s0
	s_cmp_lg_u32 s20, 0
	s_add_co_ci_u32 s54, s21, s23
	s_and_b64 s[20:21], s[0:1], s[56:57]
	v_mul_u64_e32 v[20:21], s[54:55], v[18:19]
	v_mul_u64_e32 v[16:17], s[20:21], v[22:23]
	;; [unrolled: 1-line block ×3, first 2 shown]
	s_delay_alu instid0(VALU_DEP_3) | instskip(NEXT) | instid1(VALU_DEP_1)
	v_add_nc_u64_e32 v[20:21], v[26:27], v[20:21]
	v_add_co_u32 v1, vcc_lo, v20, v16
	s_delay_alu instid0(VALU_DEP_2) | instskip(NEXT) | instid1(VALU_DEP_4)
	v_add_co_ci_u32_e32 v26, vcc_lo, v21, v17, vcc_lo
	v_add_co_ci_u32_e32 v25, vcc_lo, 0, v25, vcc_lo
	s_delay_alu instid0(VALU_DEP_1) | instskip(NEXT) | instid1(VALU_DEP_1)
	v_add_nc_u64_e32 v[16:17], v[26:27], v[24:25]
	v_mul_u64_e32 v[20:21], s[64:65], v[16:17]
	s_delay_alu instid0(VALU_DEP_1) | instskip(NEXT) | instid1(VALU_DEP_2)
	v_sub_nc_u32_e32 v1, v22, v21
	v_sub_co_u32 v3, vcc_lo, v18, v20
	s_delay_alu instid0(VALU_DEP_1) | instskip(NEXT) | instid1(VALU_DEP_3)
	v_sub_co_ci_u32_e64 v15, null, v22, v21, vcc_lo
	v_subrev_co_ci_u32_e64 v1, null, s65, v1, vcc_lo
	s_delay_alu instid0(VALU_DEP_3) | instskip(SKIP_1) | instid1(VALU_DEP_3)
	v_sub_co_u32 v7, s0, v3, s64
	v_add_nc_u64_e32 v[20:21], 1, v[16:17]
	v_subrev_co_ci_u32_e64 v1, null, 0, v1, s0
	s_delay_alu instid0(VALU_DEP_3) | instskip(SKIP_1) | instid1(VALU_DEP_3)
	v_cmp_le_u32_e32 vcc_lo, s64, v7
	v_cndmask_b32_e64 v7, 0, -1, vcc_lo
	v_cmp_le_u32_e32 vcc_lo, s65, v1
	v_cndmask_b32_e64 v18, 0, -1, vcc_lo
	v_cmp_le_u32_e32 vcc_lo, s64, v3
	v_cndmask_b32_e64 v3, 0, -1, vcc_lo
	v_cmp_le_u32_e32 vcc_lo, s65, v15
	v_cndmask_b32_e64 v22, 0, -1, vcc_lo
	v_cmp_eq_u32_e32 vcc_lo, s65, v1
	v_cndmask_b32_e32 v1, v18, v7, vcc_lo
	v_cmp_eq_u32_e32 vcc_lo, s65, v15
	v_add_nc_u64_e32 v[18:19], 2, v[16:17]
	v_cndmask_b32_e32 v3, v22, v3, vcc_lo
	s_delay_alu instid0(VALU_DEP_4) | instskip(NEXT) | instid1(VALU_DEP_2)
	v_cmp_ne_u32_e32 vcc_lo, 0, v1
	v_cmp_ne_u32_e64 s0, 0, v3
	s_delay_alu instid0(VALU_DEP_4) | instskip(NEXT) | instid1(VALU_DEP_1)
	v_dual_cndmask_b32 v1, v21, v19, vcc_lo :: v_dual_cndmask_b32 v3, v20, v18, vcc_lo
	v_dual_cndmask_b32 v1, v17, v1, s0 :: v_dual_bitop2_b32 v14, s62, v14 bitop3:0x14
	s_delay_alu instid0(VALU_DEP_1) | instskip(NEXT) | instid1(VALU_DEP_2)
	v_dual_cndmask_b32 v3, v16, v3, s0 :: v_dual_mov_b32 v15, v14
	v_xor_b32_e32 v17, v1, v14
	s_delay_alu instid0(VALU_DEP_2) | instskip(NEXT) | instid1(VALU_DEP_1)
	v_xor_b32_e32 v16, v3, v14
	v_sub_nc_u64_e32 v[14:15], v[16:17], v[14:15]
.LBB95_646:                             ;   in Loop: Header=BB95_644 Depth=1
	s_and_not1_saveexec_b32 s0, s42
	s_cbranch_execz .LBB95_643
; %bb.647:                              ;   in Loop: Header=BB95_644 Depth=1
	v_cvt_f32_u32_e32 v1, s60
	s_sub_co_i32 s20, 0, s60
	v_mov_b32_e32 v15, v6
	s_delay_alu instid0(VALU_DEP_2) | instskip(SKIP_1) | instid1(TRANS32_DEP_1)
	v_rcp_iflag_f32_e32 v1, v1
	v_nop
	v_mul_f32_e32 v1, 0x4f7ffffe, v1
	s_delay_alu instid0(VALU_DEP_1) | instskip(NEXT) | instid1(VALU_DEP_1)
	v_cvt_u32_f32_e32 v1, v1
	v_mul_lo_u32 v3, s20, v1
	s_delay_alu instid0(VALU_DEP_1) | instskip(NEXT) | instid1(VALU_DEP_1)
	v_mul_hi_u32 v3, v1, v3
	v_add_nc_u32_e32 v1, v1, v3
	s_delay_alu instid0(VALU_DEP_1) | instskip(NEXT) | instid1(VALU_DEP_1)
	v_mul_hi_u32 v1, v8, v1
	v_mul_lo_u32 v3, v1, s60
	s_delay_alu instid0(VALU_DEP_1) | instskip(NEXT) | instid1(VALU_DEP_1)
	v_sub_nc_u32_e32 v3, v8, v3
	v_subrev_nc_u32_e32 v14, s60, v3
	v_cmp_le_u32_e32 vcc_lo, s60, v3
	s_delay_alu instid0(VALU_DEP_2) | instskip(NEXT) | instid1(VALU_DEP_1)
	v_dual_add_nc_u32 v7, 1, v1 :: v_dual_cndmask_b32 v3, v3, v14, vcc_lo
	v_cndmask_b32_e32 v1, v1, v7, vcc_lo
	s_delay_alu instid0(VALU_DEP_2) | instskip(NEXT) | instid1(VALU_DEP_2)
	v_cmp_le_u32_e32 vcc_lo, s60, v3
	v_add_nc_u32_e32 v7, 1, v1
	s_delay_alu instid0(VALU_DEP_1)
	v_cndmask_b32_e32 v14, v1, v7, vcc_lo
	s_branch .LBB95_643
.LBB95_648:
	s_mov_b32 s0, 0
	s_mov_b32 s35, 0
	;; [unrolled: 1-line block ×6, first 2 shown]
.LBB95_649:
                                        ; implicit-def: $vgpr0
.LBB95_650:
	s_delay_alu instid0(SALU_CYCLE_1)
	s_and_b32 s64, s43, exec_lo
	s_and_b32 s65, s42, exec_lo
	;; [unrolled: 1-line block ×10, first 2 shown]
	s_or_not1_b32 s40, s0, exec_lo
.LBB95_651:
	s_wait_xcnt 0x0
	s_or_b32 exec_lo, exec_lo, s87
	s_mov_b32 s41, 0
	s_mov_b32 s35, 0
                                        ; implicit-def: $sgpr0
                                        ; implicit-def: $vgpr14_vgpr15
                                        ; implicit-def: $vgpr2
                                        ; implicit-def: $vgpr12
                                        ; implicit-def: $vgpr10
                                        ; implicit-def: $vgpr6
                                        ; implicit-def: $vgpr8
                                        ; implicit-def: $vgpr4_vgpr5
	s_and_saveexec_b32 s87, s40
	s_cbranch_execz .LBB95_660
; %bb.652:
	s_mov_b32 s35, -1
	s_mov_b32 s88, s86
	s_mov_b32 s90, s85
	;; [unrolled: 1-line block ×10, first 2 shown]
	s_mov_b32 s98, exec_lo
	v_cmpx_gt_i32_e64 s77, v0
	s_cbranch_execz .LBB95_1326
; %bb.653:
	s_and_not1_b32 vcc_lo, exec_lo, s68
	s_cbranch_vccnz .LBB95_663
; %bb.654:
	s_and_not1_b32 vcc_lo, exec_lo, s25
	s_cbranch_vccnz .LBB95_664
; %bb.655:
	s_wait_loadcnt 0x0
	v_dual_mov_b32 v10, 0 :: v_dual_mov_b32 v1, v0
	v_dual_mov_b32 v6, 0 :: v_dual_mov_b32 v8, 0
	;; [unrolled: 1-line block ×3, first 2 shown]
	v_mov_b32_e32 v4, 0
	s_add_co_i32 s0, s76, 1
	s_mov_b64 s[20:21], 0xffffffffffffffd0
	s_mov_b32 s4, s25
	s_and_b32 s0, s0, 30
	s_add_nc_u64 s[54:55], s[2:3], s[20:21]
	s_mov_b64 s[56:57], s[2:3]
.LBB95_656:                             ; =>This Inner Loop Header: Depth=1
	s_clause 0x1
	s_load_b128 s[20:23], s[56:57], 0x4
	s_load_b64 s[40:41], s[56:57], 0x14
	s_clause 0x1
	s_load_b256 s[88:95], s[54:55], 0xf4
	s_load_b128 s[24:27], s[54:55], 0x114
	s_add_co_i32 s0, s0, -2
	s_wait_xcnt 0x0
	s_add_nc_u64 s[56:57], s[56:57], 24
	s_cmp_eq_u32 s0, 0
	s_add_nc_u64 s[54:55], s[54:55], 48
	s_wait_kmcnt 0x0
	v_mul_hi_u32 v3, s21, v1
	s_delay_alu instid0(VALU_DEP_1) | instskip(NEXT) | instid1(VALU_DEP_1)
	v_add_nc_u32_e32 v3, v1, v3
	v_lshrrev_b32_e32 v3, s22, v3
	s_delay_alu instid0(VALU_DEP_1) | instskip(SKIP_1) | instid1(VALU_DEP_1)
	v_mul_hi_u32 v5, s40, v3
	v_mul_lo_u32 v7, v3, s20
	v_dual_add_nc_u32 v5, v3, v5 :: v_dual_sub_nc_u32 v7, v1, v7
	s_delay_alu instid0(VALU_DEP_1) | instskip(NEXT) | instid1(VALU_DEP_2)
	v_lshrrev_b32_e32 v1, s41, v5
	v_mad_u32 v4, v7, s89, v4
	v_mad_u32 v2, v7, s88, v2
	;; [unrolled: 1-line block ×4, first 2 shown]
	v_mul_lo_u32 v5, v1, s23
	v_mad_u32 v6, s93, v7, v6
	v_mad_u32 v7, s92, v7, v10
	s_delay_alu instid0(VALU_DEP_3) | instskip(NEXT) | instid1(VALU_DEP_1)
	v_sub_nc_u32_e32 v3, v3, v5
	v_mad_u32 v4, v3, s95, v4
	v_mad_u32 v2, v3, s94, v2
	;; [unrolled: 1-line block ×6, first 2 shown]
	s_cbranch_scc0 .LBB95_656
; %bb.657:
	s_bitcmp1_b32 s76, 0
	s_cselect_b32 s0, -1, 0
	s_delay_alu instid0(SALU_CYCLE_1)
	s_and_b32 vcc_lo, exec_lo, s0
	s_cbranch_vccnz .LBB95_659
; %bb.658:
	s_load_b96 s[24:26], s[56:57], 0x4
	s_wait_kmcnt 0x0
	v_mul_hi_u32 v3, s25, v1
	s_delay_alu instid0(VALU_DEP_1) | instskip(NEXT) | instid1(VALU_DEP_1)
	v_add_nc_u32_e32 v3, v1, v3
	v_lshrrev_b32_e32 v3, s26, v3
	s_clause 0x1
	s_load_b128 s[20:23], s[54:55], 0xf4
	s_load_b64 s[26:27], s[54:55], 0x104
	s_delay_alu instid0(VALU_DEP_1) | instskip(NEXT) | instid1(VALU_DEP_1)
	v_mul_lo_u32 v3, v3, s24
	v_sub_nc_u32_e32 v1, v1, v3
	s_wait_kmcnt 0x0
	s_delay_alu instid0(VALU_DEP_1)
	v_mad_u32 v2, v1, s20, v2
	v_mad_u32 v4, v1, s21, v4
	;; [unrolled: 1-line block ×6, first 2 shown]
.LBB95_659:
	s_load_b256 s[8:15], s[2:3], 0xc4
	s_mov_b32 s25, s4
	s_cbranch_execnz .LBB95_667
	s_branch .LBB95_665
.LBB95_660:
	s_or_b32 exec_lo, exec_lo, s87
	s_mov_b32 s1, 0
	s_and_saveexec_b32 s6, s86
	s_cbranch_execnz .LBB95_2194
.LBB95_661:
	s_or_b32 exec_lo, exec_lo, s6
	s_and_saveexec_b32 s6, s51
	s_delay_alu instid0(SALU_CYCLE_1)
	s_xor_b32 s6, exec_lo, s6
	s_cbranch_execz .LBB95_2195
.LBB95_662:
	s_wait_loadcnt 0x0
	global_load_u8 v0, v[14:15], off
	s_mov_b32 s7, 0
	s_or_b32 s35, s35, exec_lo
	v_mov_b32_e32 v5, s7
	s_wait_loadcnt 0x0
	v_cmp_ne_u16_e32 vcc_lo, 0, v0
	v_cndmask_b32_e64 v4, 0, 1, vcc_lo
	s_wait_xcnt 0x0
	s_or_b32 exec_lo, exec_lo, s6
	s_and_saveexec_b32 s6, s41
	s_cbranch_execz .LBB95_2241
	s_branch .LBB95_2196
.LBB95_663:
	s_load_b256 s[8:15], s[2:3], 0xc4
                                        ; implicit-def: $vgpr4
                                        ; implicit-def: $vgpr2
                                        ; implicit-def: $vgpr12
                                        ; implicit-def: $vgpr8
                                        ; implicit-def: $vgpr6
                                        ; implicit-def: $vgpr10
	s_branch .LBB95_665
.LBB95_664:
	s_load_b256 s[8:15], s[2:3], 0xc4
	s_wait_loadcnt 0x0
	v_dual_mov_b32 v4, 0 :: v_dual_mov_b32 v2, 0
	v_dual_mov_b32 v12, 0 :: v_dual_mov_b32 v8, 0
	v_dual_mov_b32 v6, 0 :: v_dual_mov_b32 v10, 0
	s_cbranch_execnz .LBB95_667
.LBB95_665:
	v_mov_b32_e32 v1, 0
	s_load_b128 s[4:7], s[2:3], 0x4
	s_and_not1_b32 vcc_lo, exec_lo, s48
	s_delay_alu instid0(VALU_DEP_1) | instskip(NEXT) | instid1(VALU_DEP_1)
	v_mul_u64_e32 v[2:3], s[50:51], v[0:1]
	v_add_nc_u32_e32 v2, v0, v3
	s_wait_loadcnt 0x0
	s_wait_kmcnt 0x0
	s_delay_alu instid0(VALU_DEP_1) | instskip(NEXT) | instid1(VALU_DEP_1)
	v_lshrrev_b32_e32 v14, s6, v2
	v_mul_lo_u32 v2, v14, s4
	s_delay_alu instid0(VALU_DEP_1) | instskip(NEXT) | instid1(VALU_DEP_1)
	v_sub_nc_u32_e32 v3, v0, v2
	v_mul_lo_u32 v4, v3, s9
	v_mul_lo_u32 v2, v3, s8
	v_mul_lo_u32 v12, v3, s11
	v_mul_lo_u32 v8, v3, s10
	v_mul_lo_u32 v6, s13, v3
	v_mul_lo_u32 v10, s12, v3
	s_cbranch_vccnz .LBB95_667
; %bb.666:
	v_mov_b32_e32 v15, v1
	s_delay_alu instid0(VALU_DEP_1) | instskip(NEXT) | instid1(VALU_DEP_1)
	v_mul_u64_e32 v[16:17], s[52:53], v[14:15]
	v_add_nc_u32_e32 v1, v14, v17
	s_delay_alu instid0(VALU_DEP_1) | instskip(NEXT) | instid1(VALU_DEP_1)
	v_lshrrev_b32_e32 v1, s31, v1
	v_mul_lo_u32 v1, v1, s7
	s_delay_alu instid0(VALU_DEP_1) | instskip(NEXT) | instid1(VALU_DEP_1)
	v_sub_nc_u32_e32 v1, v14, v1
	v_mad_u32 v2, v1, s14, v2
	v_mad_u32 v4, v1, s15, v4
	;; [unrolled: 1-line block ×6, first 2 shown]
.LBB95_667:
	s_wait_kmcnt 0x0
	s_load_b512 s[4:19], s[2:3], 0x248
	s_wait_loadcnt 0x0
	v_mov_b32_e32 v5, 0
	s_and_b32 s0, s1, 0xff
	s_delay_alu instid0(SALU_CYCLE_1) | instskip(SKIP_1) | instid1(VALU_DEP_1)
	s_cmp_lt_i32 s0, 11
	s_wait_kmcnt 0x0
	v_add_nc_u64_e32 v[14:15], s[6:7], v[4:5]
	s_cbranch_scc1 .LBB95_674
; %bb.668:
	s_and_b32 s35, 0xffff, s0
	s_delay_alu instid0(SALU_CYCLE_1)
	s_cmp_gt_i32 s35, 25
	s_cbranch_scc0 .LBB95_683
; %bb.669:
	s_cmp_gt_i32 s35, 28
	s_cbranch_scc0 .LBB95_685
; %bb.670:
	;; [unrolled: 3-line block ×4, first 2 shown]
	s_cmp_eq_u32 s35, 46
	s_mov_b32 s41, 0
	s_cbranch_scc0 .LBB95_705
; %bb.673:
	global_load_b32 v1, v[14:15], off
	s_mov_b32 s40, -1
	s_mov_b32 s88, 0
	s_wait_loadcnt 0x0
	v_lshlrev_b32_e32 v1, 16, v1
	s_delay_alu instid0(VALU_DEP_1) | instskip(NEXT) | instid1(VALU_DEP_1)
	v_trunc_f32_e32 v1, v1
	v_mul_f32_e64 v3, 0x2f800000, |v1|
	v_ashrrev_i32_e32 v4, 31, v1
	s_delay_alu instid0(VALU_DEP_2) | instskip(NEXT) | instid1(VALU_DEP_1)
	v_floor_f32_e32 v3, v3
	v_fma_f32 v5, 0xcf800000, v3, |v1|
	v_cvt_u32_f32_e32 v1, v3
	s_delay_alu instid0(VALU_DEP_2) | instskip(NEXT) | instid1(VALU_DEP_2)
	v_cvt_u32_f32_e32 v3, v5
	v_dual_mov_b32 v5, v4 :: v_dual_bitop2_b32 v17, v1, v4 bitop3:0x14
	s_delay_alu instid0(VALU_DEP_2) | instskip(NEXT) | instid1(VALU_DEP_1)
	v_xor_b32_e32 v16, v3, v4
	v_sub_nc_u64_e32 v[4:5], v[16:17], v[4:5]
	s_branch .LBB95_707
.LBB95_674:
	s_mov_b32 s40, 0
	s_mov_b32 s88, s86
                                        ; implicit-def: $vgpr4_vgpr5
	s_cbranch_execnz .LBB95_769
.LBB95_675:
	s_and_not1_b32 vcc_lo, exec_lo, s40
	s_cbranch_vccnz .LBB95_817
.LBB95_676:
	s_load_b512 s[4:19], s[2:3], 0x248
	v_mov_b32_e32 v9, 0
	s_and_b32 s0, s70, 0xff
	s_delay_alu instid0(SALU_CYCLE_1) | instskip(SKIP_1) | instid1(VALU_DEP_1)
	s_cmp_lt_i32 s0, 11
	s_wait_kmcnt 0x0
	v_add_nc_u64_e32 v[14:15], s[8:9], v[8:9]
	s_cbranch_scc1 .LBB95_684
; %bb.677:
	s_and_b32 s35, 0xffff, s0
	s_delay_alu instid0(SALU_CYCLE_1)
	s_cmp_gt_i32 s35, 25
	s_cbranch_scc0 .LBB95_686
; %bb.678:
	s_cmp_gt_i32 s35, 28
	s_cbranch_scc0 .LBB95_688
; %bb.679:
	;; [unrolled: 3-line block ×4, first 2 shown]
	s_cmp_eq_u32 s35, 46
	s_mov_b32 s41, 0
	s_cbranch_scc0 .LBB95_819
; %bb.682:
	global_load_b32 v1, v[14:15], off
	s_mov_b32 s40, -1
	s_mov_b32 s90, 0
	s_wait_loadcnt 0x0
	v_lshlrev_b32_e32 v1, 16, v1
	s_delay_alu instid0(VALU_DEP_1) | instskip(NEXT) | instid1(VALU_DEP_1)
	v_trunc_f32_e32 v1, v1
	v_mul_f32_e64 v3, 0x2f800000, |v1|
	v_ashrrev_i32_e32 v8, 31, v1
	s_delay_alu instid0(VALU_DEP_2) | instskip(NEXT) | instid1(VALU_DEP_2)
	v_floor_f32_e32 v3, v3
	v_mov_b32_e32 v9, v8
	s_delay_alu instid0(VALU_DEP_2) | instskip(SKIP_1) | instid1(VALU_DEP_2)
	v_fma_f32 v7, 0xcf800000, v3, |v1|
	v_cvt_u32_f32_e32 v1, v3
	v_cvt_u32_f32_e32 v3, v7
	s_delay_alu instid0(VALU_DEP_2) | instskip(NEXT) | instid1(VALU_DEP_2)
	v_xor_b32_e32 v17, v1, v8
	v_xor_b32_e32 v16, v3, v8
	s_delay_alu instid0(VALU_DEP_1)
	v_sub_nc_u64_e32 v[8:9], v[16:17], v[8:9]
	s_branch .LBB95_821
.LBB95_683:
	s_mov_b32 s41, -1
	s_mov_b32 s40, 0
	s_mov_b32 s88, s86
                                        ; implicit-def: $vgpr4_vgpr5
	s_branch .LBB95_735
.LBB95_684:
	s_mov_b32 s35, -1
	s_mov_b32 s40, 0
	s_mov_b32 s90, s85
                                        ; implicit-def: $vgpr8_vgpr9
	s_branch .LBB95_882
.LBB95_685:
	s_mov_b32 s41, -1
	s_mov_b32 s40, 0
	s_mov_b32 s88, s86
                                        ; implicit-def: $vgpr4_vgpr5
	s_branch .LBB95_718
.LBB95_686:
	s_mov_b32 s41, -1
	s_mov_b32 s40, 0
	s_mov_b32 s90, s85
                                        ; implicit-def: $vgpr8_vgpr9
	s_branch .LBB95_848
.LBB95_687:
	s_mov_b32 s41, -1
	s_mov_b32 s40, 0
	s_mov_b32 s88, s86
                                        ; implicit-def: $vgpr4_vgpr5
	s_branch .LBB95_713
.LBB95_688:
	s_mov_b32 s41, -1
	s_mov_b32 s40, 0
	s_mov_b32 s90, s85
                                        ; implicit-def: $vgpr8_vgpr9
	s_branch .LBB95_831
.LBB95_689:
	s_mov_b32 s54, -1
	s_mov_b32 s42, 0
	s_mov_b32 s0, 0
	s_mov_b32 s35, exec_lo
	v_cmpx_gt_i64_e64 v[10:11], v[12:13]
	s_cbranch_execz .LBB95_697
; %bb.690:
	s_delay_alu instid0(VALU_DEP_2) | instskip(SKIP_1) | instid1(VALU_DEP_1)
	v_lshlrev_b64_e32 v[4:5], 3, v[4:5]
	s_xor_b32 s54, s71, -1
                                        ; implicit-def: $sgpr43
                                        ; implicit-def: $sgpr56
                                        ; implicit-def: $sgpr55
	v_lshl_add_u64 v[6:7], v[12:13], 3, v[4:5]
	v_add_nc_u64_e32 v[8:9], s[72:73], v[4:5]
	s_delay_alu instid0(VALU_DEP_2) | instskip(NEXT) | instid1(VALU_DEP_1)
	v_add_nc_u64_e32 v[6:7], s[72:73], v[6:7]
	v_add_nc_u64_e32 v[4:5], 8, v[6:7]
	s_delay_alu instid0(VALU_DEP_3)
	v_lshl_add_u64 v[6:7], v[10:11], 3, v[8:9]
	s_branch .LBB95_692
.LBB95_691:                             ;   in Loop: Header=BB95_692 Depth=1
	s_or_b32 exec_lo, exec_lo, s57
	s_delay_alu instid0(SALU_CYCLE_1) | instskip(NEXT) | instid1(SALU_CYCLE_1)
	s_and_b32 s20, exec_lo, s56
	s_or_b32 s0, s20, s0
	s_and_not1_b32 s20, s43, exec_lo
	s_and_b32 s21, s55, exec_lo
	s_delay_alu instid0(SALU_CYCLE_1)
	s_or_b32 s43, s20, s21
	s_and_not1_b32 exec_lo, exec_lo, s0
	s_cbranch_execz .LBB95_696
.LBB95_692:                             ; =>This Inner Loop Header: Depth=1
	s_or_b32 s55, s55, exec_lo
	s_or_b32 s56, s56, exec_lo
	s_mov_b32 s57, exec_lo
	s_delay_alu instid0(VALU_DEP_2)
	v_cmpx_lt_u64_e64 v[4:5], v[6:7]
	s_cbranch_execz .LBB95_691
; %bb.693:                              ;   in Loop: Header=BB95_692 Depth=1
	global_load_b128 v[8:11], v[4:5], off offset:-8
	s_wait_xcnt 0x0
	v_add_nc_u64_e32 v[4:5], 8, v[4:5]
	s_and_not1_b32 s21, s56, exec_lo
	s_and_not1_b32 s55, s55, exec_lo
	s_wait_loadcnt 0x0
	v_cmp_ge_i64_e32 vcc_lo, v[8:9], v[10:11]
	s_or_b32 s20, s54, vcc_lo
	s_delay_alu instid0(SALU_CYCLE_1) | instskip(NEXT) | instid1(SALU_CYCLE_1)
	s_and_b32 s20, s20, exec_lo
	s_or_b32 s56, s21, s20
	s_branch .LBB95_691
.LBB95_694:
	s_mov_b32 s41, -1
	s_mov_b32 s40, 0
	s_mov_b32 s88, s86
	s_branch .LBB95_706
.LBB95_695:
	s_mov_b32 s41, -1
	s_mov_b32 s40, 0
	s_mov_b32 s90, s85
                                        ; implicit-def: $vgpr8_vgpr9
	s_branch .LBB95_826
.LBB95_696:
	s_or_b32 exec_lo, exec_lo, s0
	s_delay_alu instid0(SALU_CYCLE_1)
	s_mov_b32 s0, exec_lo
	s_or_not1_b32 s54, s43, exec_lo
.LBB95_697:
	s_or_b32 exec_lo, exec_lo, s35
	s_mov_b32 s43, 0
	s_and_saveexec_b32 s35, s54
	s_cbranch_execz .LBB95_1957
; %bb.698:
	s_load_b512 s[4:19], s[2:3], 0x248
	v_mov_b32_e32 v3, 0
	s_and_b32 s43, s74, 0xff
	s_delay_alu instid0(SALU_CYCLE_1) | instskip(SKIP_1) | instid1(VALU_DEP_1)
	s_cmp_lt_i32 s43, 11
	s_wait_kmcnt 0x0
	v_add_nc_u64_e32 v[2:3], s[4:5], v[2:3]
	s_cbranch_scc1 .LBB95_818
; %bb.699:
	s_and_b32 s54, 0xffff, s43
	s_delay_alu instid0(SALU_CYCLE_1)
	s_cmp_gt_i32 s54, 25
	s_cbranch_scc0 .LBB95_945
; %bb.700:
	s_cmp_gt_i32 s54, 28
	s_cbranch_scc0 .LBB95_1072
; %bb.701:
	;; [unrolled: 3-line block ×3, first 2 shown]
	s_mov_b64 s[4:5], s[72:73]
	s_mov_b64 s[6:7], s[74:75]
	s_cmp_gt_i32 s54, 45
	s_cbranch_scc0 .LBB95_1874
; %bb.703:
	s_mov_b32 s56, 0
	s_mov_b32 s42, -1
	s_cmp_eq_u32 s54, 46
	s_mov_b32 s55, 0
	s_cbranch_scc0 .LBB95_1875
; %bb.704:
	v_mov_b32_e32 v1, 0
	s_mov_b32 s55, -1
	s_mov_b32 s42, 0
	global_store_b32 v[2:3], v1, off
	s_branch .LBB95_1875
.LBB95_705:
	s_mov_b32 s88, -1
	s_mov_b32 s40, 0
.LBB95_706:
                                        ; implicit-def: $vgpr4_vgpr5
.LBB95_707:
	s_and_b32 vcc_lo, exec_lo, s41
	s_cbranch_vccz .LBB95_712
; %bb.708:
	s_cmp_eq_u32 s35, 44
	s_cbranch_scc0 .LBB95_711
; %bb.709:
	global_load_u8 v1, v[14:15], off
	s_mov_b32 s88, 0
	s_mov_b32 s40, -1
	s_wait_loadcnt 0x0
	v_lshlrev_b32_e32 v3, 23, v1
	v_cmp_ne_u32_e32 vcc_lo, 0, v1
	s_delay_alu instid0(VALU_DEP_2) | instskip(NEXT) | instid1(VALU_DEP_1)
	v_trunc_f32_e32 v3, v3
	v_mul_f32_e64 v4, 0x2f800000, |v3|
	s_delay_alu instid0(VALU_DEP_1) | instskip(SKIP_1) | instid1(VALU_DEP_2)
	v_floor_f32_e32 v5, v4
	v_ashrrev_i32_e32 v4, 31, v3
	v_fma_f32 v7, 0xcf800000, v5, |v3|
	v_cvt_u32_f32_e32 v3, v5
	s_delay_alu instid0(VALU_DEP_3) | instskip(NEXT) | instid1(VALU_DEP_3)
	v_mov_b32_e32 v5, v4
	v_cvt_u32_f32_e32 v7, v7
	s_delay_alu instid0(VALU_DEP_3) | instskip(NEXT) | instid1(VALU_DEP_2)
	v_xor_b32_e32 v17, v3, v4
	v_xor_b32_e32 v16, v7, v4
	s_delay_alu instid0(VALU_DEP_1) | instskip(NEXT) | instid1(VALU_DEP_1)
	v_sub_nc_u64_e32 v[4:5], v[16:17], v[4:5]
	v_dual_cndmask_b32 v5, 0, v5 :: v_dual_cndmask_b32 v4, 0, v4
	s_branch .LBB95_712
.LBB95_710:
	s_mov_b32 s41, -1
	s_mov_b32 s40, 0
	s_mov_b32 s90, s85
	s_branch .LBB95_820
.LBB95_711:
	s_mov_b32 s88, -1
                                        ; implicit-def: $vgpr4_vgpr5
.LBB95_712:
	s_mov_b32 s41, 0
.LBB95_713:
	s_delay_alu instid0(SALU_CYCLE_1)
	s_and_b32 vcc_lo, exec_lo, s41
	s_cbranch_vccz .LBB95_717
; %bb.714:
	s_cmp_eq_u32 s35, 29
	s_cbranch_scc0 .LBB95_716
; %bb.715:
	global_load_b64 v[4:5], v[14:15], off
	s_mov_b32 s40, -1
	s_mov_b32 s88, 0
	s_branch .LBB95_717
.LBB95_716:
	s_mov_b32 s88, -1
                                        ; implicit-def: $vgpr4_vgpr5
.LBB95_717:
	s_mov_b32 s41, 0
.LBB95_718:
	s_delay_alu instid0(SALU_CYCLE_1)
	s_and_b32 vcc_lo, exec_lo, s41
	s_cbranch_vccz .LBB95_734
; %bb.719:
	s_cmp_lt_i32 s35, 27
	s_cbranch_scc1 .LBB95_722
; %bb.720:
	s_cmp_gt_i32 s35, 27
	s_cbranch_scc0 .LBB95_723
; %bb.721:
	s_wait_loadcnt 0x0
	global_load_b32 v4, v[14:15], off
	v_mov_b32_e32 v5, 0
	s_mov_b32 s40, 0
	s_branch .LBB95_724
.LBB95_722:
	s_mov_b32 s40, -1
                                        ; implicit-def: $vgpr4_vgpr5
	s_branch .LBB95_727
.LBB95_723:
	s_mov_b32 s40, -1
                                        ; implicit-def: $vgpr4_vgpr5
.LBB95_724:
	s_delay_alu instid0(SALU_CYCLE_1)
	s_and_not1_b32 vcc_lo, exec_lo, s40
	s_cbranch_vccnz .LBB95_726
; %bb.725:
	global_load_u16 v1, v[14:15], off
	s_mov_b32 s20, 0
	s_wait_loadcnt 0x1
	v_mov_b32_e32 v5, s20
	s_wait_loadcnt 0x0
	v_and_b32_e32 v4, 0xffff, v1
.LBB95_726:
	s_mov_b32 s40, 0
.LBB95_727:
	s_delay_alu instid0(SALU_CYCLE_1)
	s_and_not1_b32 vcc_lo, exec_lo, s40
	s_cbranch_vccnz .LBB95_733
; %bb.728:
	global_load_u8 v1, v[14:15], off
	s_mov_b32 s41, 0
	s_mov_b32 s20, exec_lo
	s_wait_loadcnt 0x0
	v_cmpx_lt_i16_e32 0x7f, v1
	s_xor_b32 s40, exec_lo, s20
	s_cbranch_execz .LBB95_745
; %bb.729:
	v_cmp_ne_u16_e32 vcc_lo, 0x80, v1
	s_and_b32 s41, vcc_lo, exec_lo
	s_and_not1_saveexec_b32 s40, s40
	s_cbranch_execnz .LBB95_746
.LBB95_730:
	s_or_b32 exec_lo, exec_lo, s40
	v_mov_b64_e32 v[4:5], 0
	s_and_saveexec_b32 s40, s41
	s_cbranch_execz .LBB95_732
.LBB95_731:
	v_and_b32_e32 v3, 0xffff, v1
	s_delay_alu instid0(VALU_DEP_1) | instskip(SKIP_1) | instid1(VALU_DEP_2)
	v_and_b32_e32 v4, 7, v3
	v_bfe_u32 v9, v3, 3, 4
	v_clz_i32_u32_e32 v5, v4
	s_delay_alu instid0(VALU_DEP_2) | instskip(NEXT) | instid1(VALU_DEP_2)
	v_cmp_eq_u32_e32 vcc_lo, 0, v9
	v_min_u32_e32 v5, 32, v5
	s_delay_alu instid0(VALU_DEP_1) | instskip(NEXT) | instid1(VALU_DEP_1)
	v_subrev_nc_u32_e32 v7, 28, v5
	v_dual_lshlrev_b32 v3, v7, v3 :: v_dual_sub_nc_u32 v5, 29, v5
	s_delay_alu instid0(VALU_DEP_1) | instskip(NEXT) | instid1(VALU_DEP_1)
	v_dual_lshlrev_b32 v1, 24, v1 :: v_dual_bitop2_b32 v3, 7, v3 bitop3:0x40
	v_dual_cndmask_b32 v3, v4, v3, vcc_lo :: v_dual_cndmask_b32 v5, v9, v5, vcc_lo
	s_delay_alu instid0(VALU_DEP_2) | instskip(NEXT) | instid1(VALU_DEP_2)
	v_and_b32_e32 v1, 0x80000000, v1
	v_lshlrev_b32_e32 v3, 20, v3
	s_delay_alu instid0(VALU_DEP_3) | instskip(NEXT) | instid1(VALU_DEP_1)
	v_lshl_add_u32 v4, v5, 23, 0x3b800000
	v_or3_b32 v1, v1, v4, v3
	s_delay_alu instid0(VALU_DEP_1) | instskip(NEXT) | instid1(VALU_DEP_1)
	v_trunc_f32_e32 v1, v1
	v_mul_f32_e64 v3, 0x2f800000, |v1|
	v_ashrrev_i32_e32 v4, 31, v1
	s_delay_alu instid0(VALU_DEP_2) | instskip(NEXT) | instid1(VALU_DEP_1)
	v_floor_f32_e32 v3, v3
	v_fma_f32 v5, 0xcf800000, v3, |v1|
	v_cvt_u32_f32_e32 v1, v3
	s_delay_alu instid0(VALU_DEP_2) | instskip(NEXT) | instid1(VALU_DEP_2)
	v_cvt_u32_f32_e32 v3, v5
	v_dual_mov_b32 v5, v4 :: v_dual_bitop2_b32 v17, v1, v4 bitop3:0x14
	s_delay_alu instid0(VALU_DEP_2) | instskip(NEXT) | instid1(VALU_DEP_1)
	v_xor_b32_e32 v16, v3, v4
	v_sub_nc_u64_e32 v[4:5], v[16:17], v[4:5]
.LBB95_732:
	s_or_b32 exec_lo, exec_lo, s40
.LBB95_733:
	s_mov_b32 s40, -1
.LBB95_734:
	s_mov_b32 s41, 0
.LBB95_735:
	s_delay_alu instid0(SALU_CYCLE_1)
	s_and_b32 vcc_lo, exec_lo, s41
	s_cbranch_vccz .LBB95_768
; %bb.736:
	s_cmp_gt_i32 s35, 22
	s_cbranch_scc0 .LBB95_744
; %bb.737:
	s_cmp_lt_i32 s35, 24
	s_cbranch_scc1 .LBB95_747
; %bb.738:
	s_cmp_gt_i32 s35, 24
	s_cbranch_scc0 .LBB95_748
; %bb.739:
	global_load_u8 v1, v[14:15], off
	s_mov_b32 s41, 0
	s_mov_b32 s20, exec_lo
	s_wait_loadcnt 0x0
	v_cmpx_lt_i16_e32 0x7f, v1
	s_xor_b32 s40, exec_lo, s20
	s_cbranch_execz .LBB95_760
; %bb.740:
	v_cmp_ne_u16_e32 vcc_lo, 0x80, v1
	s_and_b32 s41, vcc_lo, exec_lo
	s_and_not1_saveexec_b32 s40, s40
	s_cbranch_execnz .LBB95_761
.LBB95_741:
	s_or_b32 exec_lo, exec_lo, s40
	v_mov_b64_e32 v[4:5], 0
	s_and_saveexec_b32 s40, s41
	s_cbranch_execz .LBB95_743
.LBB95_742:
	v_and_b32_e32 v3, 0xffff, v1
	s_delay_alu instid0(VALU_DEP_1) | instskip(SKIP_1) | instid1(VALU_DEP_2)
	v_and_b32_e32 v4, 3, v3
	v_bfe_u32 v9, v3, 2, 5
	v_clz_i32_u32_e32 v5, v4
	s_delay_alu instid0(VALU_DEP_2) | instskip(NEXT) | instid1(VALU_DEP_2)
	v_cmp_eq_u32_e32 vcc_lo, 0, v9
	v_min_u32_e32 v5, 32, v5
	s_delay_alu instid0(VALU_DEP_1) | instskip(NEXT) | instid1(VALU_DEP_1)
	v_subrev_nc_u32_e32 v7, 29, v5
	v_dual_lshlrev_b32 v3, v7, v3 :: v_dual_sub_nc_u32 v5, 30, v5
	s_delay_alu instid0(VALU_DEP_1) | instskip(NEXT) | instid1(VALU_DEP_1)
	v_dual_lshlrev_b32 v1, 24, v1 :: v_dual_bitop2_b32 v3, 3, v3 bitop3:0x40
	v_dual_cndmask_b32 v3, v4, v3, vcc_lo :: v_dual_cndmask_b32 v5, v9, v5, vcc_lo
	s_delay_alu instid0(VALU_DEP_2) | instskip(NEXT) | instid1(VALU_DEP_2)
	v_and_b32_e32 v1, 0x80000000, v1
	v_lshlrev_b32_e32 v3, 21, v3
	s_delay_alu instid0(VALU_DEP_3) | instskip(NEXT) | instid1(VALU_DEP_1)
	v_lshl_add_u32 v4, v5, 23, 0x37800000
	v_or3_b32 v1, v1, v4, v3
	s_delay_alu instid0(VALU_DEP_1) | instskip(NEXT) | instid1(VALU_DEP_1)
	v_trunc_f32_e32 v1, v1
	v_mul_f32_e64 v3, 0x2f800000, |v1|
	v_ashrrev_i32_e32 v4, 31, v1
	s_delay_alu instid0(VALU_DEP_2) | instskip(NEXT) | instid1(VALU_DEP_1)
	v_floor_f32_e32 v3, v3
	v_fma_f32 v5, 0xcf800000, v3, |v1|
	v_cvt_u32_f32_e32 v1, v3
	s_delay_alu instid0(VALU_DEP_2) | instskip(NEXT) | instid1(VALU_DEP_2)
	v_cvt_u32_f32_e32 v3, v5
	v_dual_mov_b32 v5, v4 :: v_dual_bitop2_b32 v17, v1, v4 bitop3:0x14
	s_delay_alu instid0(VALU_DEP_2) | instskip(NEXT) | instid1(VALU_DEP_1)
	v_xor_b32_e32 v16, v3, v4
	v_sub_nc_u64_e32 v[4:5], v[16:17], v[4:5]
.LBB95_743:
	s_or_b32 exec_lo, exec_lo, s40
	s_mov_b32 s40, 0
	s_branch .LBB95_749
.LBB95_744:
	s_mov_b32 s41, -1
                                        ; implicit-def: $vgpr4_vgpr5
	s_branch .LBB95_755
.LBB95_745:
	s_and_not1_saveexec_b32 s40, s40
	s_cbranch_execz .LBB95_730
.LBB95_746:
	v_cmp_ne_u16_e32 vcc_lo, 0, v1
	s_and_not1_b32 s20, s41, exec_lo
	s_and_b32 s21, vcc_lo, exec_lo
	s_delay_alu instid0(SALU_CYCLE_1)
	s_or_b32 s41, s20, s21
	s_or_b32 exec_lo, exec_lo, s40
	v_mov_b64_e32 v[4:5], 0
	s_and_saveexec_b32 s40, s41
	s_cbranch_execnz .LBB95_731
	s_branch .LBB95_732
.LBB95_747:
	s_mov_b32 s40, -1
                                        ; implicit-def: $vgpr4_vgpr5
	s_branch .LBB95_752
.LBB95_748:
	s_mov_b32 s40, -1
                                        ; implicit-def: $vgpr4_vgpr5
.LBB95_749:
	s_delay_alu instid0(SALU_CYCLE_1)
	s_and_b32 vcc_lo, exec_lo, s40
	s_cbranch_vccz .LBB95_751
; %bb.750:
	global_load_u8 v1, v[14:15], off
	s_wait_loadcnt 0x0
	v_lshlrev_b32_e32 v1, 24, v1
	s_delay_alu instid0(VALU_DEP_1) | instskip(NEXT) | instid1(VALU_DEP_1)
	v_and_b32_e32 v3, 0x7f000000, v1
	v_clz_i32_u32_e32 v4, v3
	v_add_nc_u32_e32 v7, 0x1000000, v3
	v_cmp_ne_u32_e32 vcc_lo, 0, v3
	s_delay_alu instid0(VALU_DEP_3) | instskip(NEXT) | instid1(VALU_DEP_1)
	v_min_u32_e32 v4, 32, v4
	v_sub_nc_u32_e64 v4, v4, 4 clamp
	s_delay_alu instid0(VALU_DEP_1) | instskip(NEXT) | instid1(VALU_DEP_1)
	v_dual_lshlrev_b32 v5, v4, v3 :: v_dual_lshlrev_b32 v4, 23, v4
	v_lshrrev_b32_e32 v5, 4, v5
	s_delay_alu instid0(VALU_DEP_1) | instskip(NEXT) | instid1(VALU_DEP_1)
	v_dual_sub_nc_u32 v4, v5, v4 :: v_dual_ashrrev_i32 v5, 8, v7
	v_add_nc_u32_e32 v4, 0x3c000000, v4
	s_delay_alu instid0(VALU_DEP_1) | instskip(NEXT) | instid1(VALU_DEP_1)
	v_and_or_b32 v4, 0x7f800000, v5, v4
	v_cndmask_b32_e32 v3, 0, v4, vcc_lo
	s_delay_alu instid0(VALU_DEP_1) | instskip(NEXT) | instid1(VALU_DEP_1)
	v_and_or_b32 v1, 0x80000000, v1, v3
	v_trunc_f32_e32 v1, v1
	s_delay_alu instid0(VALU_DEP_1) | instskip(SKIP_1) | instid1(VALU_DEP_2)
	v_mul_f32_e64 v3, 0x2f800000, |v1|
	v_ashrrev_i32_e32 v4, 31, v1
	v_floor_f32_e32 v3, v3
	s_delay_alu instid0(VALU_DEP_1) | instskip(SKIP_1) | instid1(VALU_DEP_2)
	v_fma_f32 v5, 0xcf800000, v3, |v1|
	v_cvt_u32_f32_e32 v1, v3
	v_cvt_u32_f32_e32 v3, v5
	s_delay_alu instid0(VALU_DEP_2) | instskip(NEXT) | instid1(VALU_DEP_2)
	v_dual_mov_b32 v5, v4 :: v_dual_bitop2_b32 v17, v1, v4 bitop3:0x14
	v_xor_b32_e32 v16, v3, v4
	s_delay_alu instid0(VALU_DEP_1)
	v_sub_nc_u64_e32 v[4:5], v[16:17], v[4:5]
.LBB95_751:
	s_mov_b32 s40, 0
.LBB95_752:
	s_delay_alu instid0(SALU_CYCLE_1)
	s_and_not1_b32 vcc_lo, exec_lo, s40
	s_cbranch_vccnz .LBB95_754
; %bb.753:
	global_load_u8 v1, v[14:15], off
	s_wait_loadcnt 0x0
	v_lshlrev_b32_e32 v3, 25, v1
	v_lshlrev_b16 v1, 8, v1
	s_delay_alu instid0(VALU_DEP_1) | instskip(NEXT) | instid1(VALU_DEP_3)
	v_and_or_b32 v5, 0x7f00, v1, 0.5
	v_lshrrev_b32_e32 v4, 4, v3
	v_bfe_i32 v1, v1, 0, 16
	s_delay_alu instid0(VALU_DEP_3) | instskip(NEXT) | instid1(VALU_DEP_3)
	v_add_f32_e32 v5, -0.5, v5
	v_or_b32_e32 v4, 0x70000000, v4
	s_delay_alu instid0(VALU_DEP_1) | instskip(SKIP_1) | instid1(VALU_DEP_2)
	v_mul_f32_e32 v4, 0x7800000, v4
	v_cmp_gt_u32_e32 vcc_lo, 0x8000000, v3
	v_cndmask_b32_e32 v3, v4, v5, vcc_lo
	s_delay_alu instid0(VALU_DEP_1) | instskip(NEXT) | instid1(VALU_DEP_1)
	v_and_or_b32 v1, 0x80000000, v1, v3
	v_trunc_f32_e32 v1, v1
	s_delay_alu instid0(VALU_DEP_1) | instskip(SKIP_1) | instid1(VALU_DEP_2)
	v_mul_f32_e64 v3, 0x2f800000, |v1|
	v_ashrrev_i32_e32 v4, 31, v1
	v_floor_f32_e32 v3, v3
	s_delay_alu instid0(VALU_DEP_1) | instskip(SKIP_1) | instid1(VALU_DEP_2)
	v_fma_f32 v5, 0xcf800000, v3, |v1|
	v_cvt_u32_f32_e32 v1, v3
	v_cvt_u32_f32_e32 v3, v5
	s_delay_alu instid0(VALU_DEP_2) | instskip(NEXT) | instid1(VALU_DEP_2)
	v_dual_mov_b32 v5, v4 :: v_dual_bitop2_b32 v17, v1, v4 bitop3:0x14
	v_xor_b32_e32 v16, v3, v4
	s_delay_alu instid0(VALU_DEP_1)
	v_sub_nc_u64_e32 v[4:5], v[16:17], v[4:5]
.LBB95_754:
	s_mov_b32 s41, 0
	s_mov_b32 s40, -1
.LBB95_755:
	s_and_not1_b32 vcc_lo, exec_lo, s41
	s_cbranch_vccnz .LBB95_768
; %bb.756:
	s_cmp_gt_i32 s35, 14
	s_cbranch_scc0 .LBB95_759
; %bb.757:
	s_cmp_eq_u32 s35, 15
	s_cbranch_scc0 .LBB95_762
; %bb.758:
	global_load_u16 v1, v[14:15], off
	s_mov_b32 s40, -1
	s_mov_b32 s88, 0
	s_wait_loadcnt 0x0
	v_lshlrev_b32_e32 v1, 16, v1
	s_delay_alu instid0(VALU_DEP_1) | instskip(NEXT) | instid1(VALU_DEP_1)
	v_trunc_f32_e32 v1, v1
	v_mul_f32_e64 v3, 0x2f800000, |v1|
	v_ashrrev_i32_e32 v4, 31, v1
	s_delay_alu instid0(VALU_DEP_2) | instskip(NEXT) | instid1(VALU_DEP_1)
	v_floor_f32_e32 v3, v3
	v_fma_f32 v5, 0xcf800000, v3, |v1|
	v_cvt_u32_f32_e32 v1, v3
	s_delay_alu instid0(VALU_DEP_2) | instskip(NEXT) | instid1(VALU_DEP_2)
	v_cvt_u32_f32_e32 v3, v5
	v_dual_mov_b32 v5, v4 :: v_dual_bitop2_b32 v17, v1, v4 bitop3:0x14
	s_delay_alu instid0(VALU_DEP_2) | instskip(NEXT) | instid1(VALU_DEP_1)
	v_xor_b32_e32 v16, v3, v4
	v_sub_nc_u64_e32 v[4:5], v[16:17], v[4:5]
	s_branch .LBB95_763
.LBB95_759:
	s_mov_b32 s41, -1
                                        ; implicit-def: $vgpr4_vgpr5
	s_branch .LBB95_764
.LBB95_760:
	s_and_not1_saveexec_b32 s40, s40
	s_cbranch_execz .LBB95_741
.LBB95_761:
	v_cmp_ne_u16_e32 vcc_lo, 0, v1
	s_and_not1_b32 s20, s41, exec_lo
	s_and_b32 s21, vcc_lo, exec_lo
	s_delay_alu instid0(SALU_CYCLE_1)
	s_or_b32 s41, s20, s21
	s_or_b32 exec_lo, exec_lo, s40
	v_mov_b64_e32 v[4:5], 0
	s_and_saveexec_b32 s40, s41
	s_cbranch_execnz .LBB95_742
	s_branch .LBB95_743
.LBB95_762:
	s_mov_b32 s88, -1
                                        ; implicit-def: $vgpr4_vgpr5
.LBB95_763:
	s_mov_b32 s41, 0
.LBB95_764:
	s_delay_alu instid0(SALU_CYCLE_1)
	s_and_b32 vcc_lo, exec_lo, s41
	s_cbranch_vccz .LBB95_768
; %bb.765:
	s_cmp_eq_u32 s35, 11
	s_cbranch_scc0 .LBB95_767
; %bb.766:
	global_load_u8 v1, v[14:15], off
	s_mov_b32 s88, 0
	s_mov_b32 s40, -1
	s_wait_loadcnt 0x1
	v_mov_b32_e32 v5, s88
	s_wait_loadcnt 0x0
	v_cmp_ne_u16_e32 vcc_lo, 0, v1
	v_cndmask_b32_e64 v4, 0, 1, vcc_lo
	s_branch .LBB95_768
.LBB95_767:
	s_mov_b32 s88, -1
                                        ; implicit-def: $vgpr4_vgpr5
.LBB95_768:
	s_branch .LBB95_675
.LBB95_769:
	s_and_b32 s0, 0xffff, s0
	s_delay_alu instid0(SALU_CYCLE_1)
	s_cmp_lt_i32 s0, 5
	s_cbranch_scc1 .LBB95_774
; %bb.770:
	s_cmp_lt_i32 s0, 8
	s_cbranch_scc1 .LBB95_775
; %bb.771:
	;; [unrolled: 3-line block ×3, first 2 shown]
	s_cmp_gt_i32 s0, 9
	s_cbranch_scc0 .LBB95_777
; %bb.773:
	s_wait_loadcnt 0x0
	global_load_b64 v[4:5], v[14:15], off
	s_mov_b32 s35, 0
	s_wait_loadcnt 0x0
	v_trunc_f64_e32 v[4:5], v[4:5]
	s_delay_alu instid0(VALU_DEP_1) | instskip(NEXT) | instid1(VALU_DEP_1)
	v_ldexp_f64 v[16:17], v[4:5], 0xffffffe0
	v_floor_f64_e32 v[16:17], v[16:17]
	s_delay_alu instid0(VALU_DEP_1) | instskip(SKIP_1) | instid1(VALU_DEP_2)
	v_fmamk_f64 v[18:19], v[16:17], 0xc1f00000, v[4:5]
	v_cvt_i32_f64_e32 v5, v[16:17]
	v_cvt_u32_f64_e32 v4, v[18:19]
	s_branch .LBB95_778
.LBB95_774:
	s_mov_b32 s35, -1
                                        ; implicit-def: $vgpr4_vgpr5
	s_branch .LBB95_796
.LBB95_775:
	s_mov_b32 s35, -1
                                        ; implicit-def: $vgpr4_vgpr5
	s_branch .LBB95_784
.LBB95_776:
	s_mov_b32 s35, -1
                                        ; implicit-def: $vgpr4_vgpr5
	s_branch .LBB95_781
.LBB95_777:
	s_mov_b32 s35, -1
                                        ; implicit-def: $vgpr4_vgpr5
.LBB95_778:
	s_delay_alu instid0(SALU_CYCLE_1)
	s_and_not1_b32 vcc_lo, exec_lo, s35
	s_cbranch_vccnz .LBB95_780
; %bb.779:
	global_load_b32 v1, v[14:15], off
	s_wait_loadcnt 0x0
	v_trunc_f32_e32 v1, v1
	s_delay_alu instid0(VALU_DEP_1) | instskip(SKIP_1) | instid1(VALU_DEP_2)
	v_mul_f32_e64 v3, 0x2f800000, |v1|
	v_ashrrev_i32_e32 v4, 31, v1
	v_floor_f32_e32 v3, v3
	s_delay_alu instid0(VALU_DEP_1) | instskip(SKIP_1) | instid1(VALU_DEP_2)
	v_fma_f32 v5, 0xcf800000, v3, |v1|
	v_cvt_u32_f32_e32 v1, v3
	v_cvt_u32_f32_e32 v3, v5
	s_delay_alu instid0(VALU_DEP_2) | instskip(NEXT) | instid1(VALU_DEP_2)
	v_dual_mov_b32 v5, v4 :: v_dual_bitop2_b32 v17, v1, v4 bitop3:0x14
	v_xor_b32_e32 v16, v3, v4
	s_delay_alu instid0(VALU_DEP_1)
	v_sub_nc_u64_e32 v[4:5], v[16:17], v[4:5]
.LBB95_780:
	s_mov_b32 s35, 0
.LBB95_781:
	s_delay_alu instid0(SALU_CYCLE_1)
	s_and_not1_b32 vcc_lo, exec_lo, s35
	s_cbranch_vccnz .LBB95_783
; %bb.782:
	global_load_b32 v1, v[14:15], off
	s_wait_loadcnt 0x0
	v_cvt_f32_f16_e32 v1, v1
	s_delay_alu instid0(VALU_DEP_1) | instskip(NEXT) | instid1(VALU_DEP_1)
	v_cvt_i32_f32_e32 v4, v1
	v_ashrrev_i32_e32 v5, 31, v4
.LBB95_783:
	s_mov_b32 s35, 0
.LBB95_784:
	s_delay_alu instid0(SALU_CYCLE_1)
	s_and_not1_b32 vcc_lo, exec_lo, s35
	s_cbranch_vccnz .LBB95_795
; %bb.785:
	s_cmp_lt_i32 s0, 6
	s_cbranch_scc1 .LBB95_788
; %bb.786:
	s_cmp_gt_i32 s0, 6
	s_cbranch_scc0 .LBB95_789
; %bb.787:
	s_wait_loadcnt 0x0
	global_load_b64 v[4:5], v[14:15], off
	s_mov_b32 s35, 0
	s_wait_loadcnt 0x0
	v_trunc_f64_e32 v[4:5], v[4:5]
	s_delay_alu instid0(VALU_DEP_1) | instskip(NEXT) | instid1(VALU_DEP_1)
	v_ldexp_f64 v[16:17], v[4:5], 0xffffffe0
	v_floor_f64_e32 v[16:17], v[16:17]
	s_delay_alu instid0(VALU_DEP_1) | instskip(SKIP_1) | instid1(VALU_DEP_2)
	v_fmamk_f64 v[18:19], v[16:17], 0xc1f00000, v[4:5]
	v_cvt_i32_f64_e32 v5, v[16:17]
	v_cvt_u32_f64_e32 v4, v[18:19]
	s_branch .LBB95_790
.LBB95_788:
	s_mov_b32 s35, -1
                                        ; implicit-def: $vgpr4_vgpr5
	s_branch .LBB95_793
.LBB95_789:
	s_mov_b32 s35, -1
                                        ; implicit-def: $vgpr4_vgpr5
.LBB95_790:
	s_delay_alu instid0(SALU_CYCLE_1)
	s_and_not1_b32 vcc_lo, exec_lo, s35
	s_cbranch_vccnz .LBB95_792
; %bb.791:
	global_load_b32 v1, v[14:15], off
	s_wait_loadcnt 0x0
	v_trunc_f32_e32 v1, v1
	s_delay_alu instid0(VALU_DEP_1) | instskip(SKIP_1) | instid1(VALU_DEP_2)
	v_mul_f32_e64 v3, 0x2f800000, |v1|
	v_ashrrev_i32_e32 v4, 31, v1
	v_floor_f32_e32 v3, v3
	s_delay_alu instid0(VALU_DEP_1) | instskip(SKIP_1) | instid1(VALU_DEP_2)
	v_fma_f32 v5, 0xcf800000, v3, |v1|
	v_cvt_u32_f32_e32 v1, v3
	v_cvt_u32_f32_e32 v3, v5
	s_delay_alu instid0(VALU_DEP_2) | instskip(NEXT) | instid1(VALU_DEP_2)
	v_dual_mov_b32 v5, v4 :: v_dual_bitop2_b32 v17, v1, v4 bitop3:0x14
	v_xor_b32_e32 v16, v3, v4
	s_delay_alu instid0(VALU_DEP_1)
	v_sub_nc_u64_e32 v[4:5], v[16:17], v[4:5]
.LBB95_792:
	s_mov_b32 s35, 0
.LBB95_793:
	s_delay_alu instid0(SALU_CYCLE_1)
	s_and_not1_b32 vcc_lo, exec_lo, s35
	s_cbranch_vccnz .LBB95_795
; %bb.794:
	global_load_u16 v1, v[14:15], off
	s_wait_loadcnt 0x0
	v_cvt_f32_f16_e32 v1, v1
	s_delay_alu instid0(VALU_DEP_1) | instskip(NEXT) | instid1(VALU_DEP_1)
	v_cvt_i32_f32_e32 v4, v1
	v_ashrrev_i32_e32 v5, 31, v4
.LBB95_795:
	s_mov_b32 s35, 0
.LBB95_796:
	s_delay_alu instid0(SALU_CYCLE_1)
	s_and_not1_b32 vcc_lo, exec_lo, s35
	s_cbranch_vccnz .LBB95_816
; %bb.797:
	s_cmp_lt_i32 s0, 2
	s_cbranch_scc1 .LBB95_801
; %bb.798:
	s_cmp_lt_i32 s0, 3
	s_cbranch_scc1 .LBB95_802
; %bb.799:
	s_cmp_gt_i32 s0, 3
	s_cbranch_scc0 .LBB95_803
; %bb.800:
	s_wait_loadcnt 0x0
	global_load_b64 v[4:5], v[14:15], off
	s_mov_b32 s35, 0
	s_branch .LBB95_804
.LBB95_801:
	s_mov_b32 s35, -1
                                        ; implicit-def: $vgpr4_vgpr5
	s_branch .LBB95_810
.LBB95_802:
	s_mov_b32 s35, -1
                                        ; implicit-def: $vgpr4_vgpr5
	s_branch .LBB95_807
.LBB95_803:
	s_mov_b32 s35, -1
                                        ; implicit-def: $vgpr4_vgpr5
.LBB95_804:
	s_delay_alu instid0(SALU_CYCLE_1)
	s_and_not1_b32 vcc_lo, exec_lo, s35
	s_cbranch_vccnz .LBB95_806
; %bb.805:
	s_wait_loadcnt 0x0
	global_load_b32 v4, v[14:15], off
	s_wait_loadcnt 0x0
	v_ashrrev_i32_e32 v5, 31, v4
.LBB95_806:
	s_mov_b32 s35, 0
.LBB95_807:
	s_delay_alu instid0(SALU_CYCLE_1)
	s_and_not1_b32 vcc_lo, exec_lo, s35
	s_cbranch_vccnz .LBB95_809
; %bb.808:
	global_load_u16 v1, v[14:15], off
	s_wait_loadcnt 0x0
	v_bfe_i32 v4, v1, 0, 16
	s_delay_alu instid0(VALU_DEP_1)
	v_ashrrev_i32_e32 v5, 31, v4
.LBB95_809:
	s_mov_b32 s35, 0
.LBB95_810:
	s_delay_alu instid0(SALU_CYCLE_1)
	s_and_not1_b32 vcc_lo, exec_lo, s35
	s_cbranch_vccnz .LBB95_816
; %bb.811:
	s_cmp_gt_i32 s0, 0
	s_mov_b32 s0, 0
	s_cbranch_scc0 .LBB95_813
; %bb.812:
	global_load_i8 v1, v[14:15], off
	s_wait_loadcnt 0x0
	v_bfe_i32 v4, v1, 0, 16
	s_delay_alu instid0(VALU_DEP_1)
	v_ashrrev_i32_e32 v5, 31, v4
	s_branch .LBB95_814
.LBB95_813:
	s_mov_b32 s0, -1
                                        ; implicit-def: $vgpr4_vgpr5
.LBB95_814:
	s_delay_alu instid0(SALU_CYCLE_1)
	s_and_not1_b32 vcc_lo, exec_lo, s0
	s_cbranch_vccnz .LBB95_816
; %bb.815:
	global_load_u8 v1, v[14:15], off
	s_mov_b32 s0, 0
	s_wait_loadcnt 0x1
	v_mov_b32_e32 v5, s0
	s_wait_loadcnt 0x0
	v_and_b32_e32 v4, 0xffff, v1
.LBB95_816:
	s_branch .LBB95_676
.LBB95_817:
	s_mov_b32 s0, 0
	s_mov_b32 s35, s64
	;; [unrolled: 1-line block ×10, first 2 shown]
	s_branch .LBB95_1324
.LBB95_818:
	s_mov_b32 s54, -1
	s_mov_b32 s42, 0
	s_mov_b32 s55, 0
	s_branch .LBB95_1914
.LBB95_819:
	s_mov_b32 s90, -1
	s_mov_b32 s40, 0
.LBB95_820:
                                        ; implicit-def: $vgpr8_vgpr9
.LBB95_821:
	s_and_b32 vcc_lo, exec_lo, s41
	s_cbranch_vccz .LBB95_825
; %bb.822:
	s_cmp_eq_u32 s35, 44
	s_cbranch_scc0 .LBB95_824
; %bb.823:
	global_load_u8 v1, v[14:15], off
	s_mov_b32 s90, 0
	s_mov_b32 s40, -1
	s_wait_loadcnt 0x0
	v_lshlrev_b32_e32 v3, 23, v1
	v_cmp_ne_u32_e32 vcc_lo, 0, v1
	s_delay_alu instid0(VALU_DEP_2) | instskip(NEXT) | instid1(VALU_DEP_1)
	v_trunc_f32_e32 v3, v3
	v_mul_f32_e64 v7, 0x2f800000, |v3|
	v_ashrrev_i32_e32 v8, 31, v3
	s_delay_alu instid0(VALU_DEP_2) | instskip(NEXT) | instid1(VALU_DEP_1)
	v_floor_f32_e32 v7, v7
	v_fma_f32 v9, 0xcf800000, v7, |v3|
	v_cvt_u32_f32_e32 v3, v7
	s_delay_alu instid0(VALU_DEP_2) | instskip(NEXT) | instid1(VALU_DEP_2)
	v_cvt_u32_f32_e32 v7, v9
	v_dual_mov_b32 v9, v8 :: v_dual_bitop2_b32 v17, v3, v8 bitop3:0x14
	s_delay_alu instid0(VALU_DEP_2) | instskip(NEXT) | instid1(VALU_DEP_1)
	v_xor_b32_e32 v16, v7, v8
	v_sub_nc_u64_e32 v[8:9], v[16:17], v[8:9]
	s_delay_alu instid0(VALU_DEP_1)
	v_dual_cndmask_b32 v9, 0, v9 :: v_dual_cndmask_b32 v8, 0, v8
	s_branch .LBB95_825
.LBB95_824:
	s_mov_b32 s90, -1
                                        ; implicit-def: $vgpr8_vgpr9
.LBB95_825:
	s_mov_b32 s41, 0
.LBB95_826:
	s_delay_alu instid0(SALU_CYCLE_1)
	s_and_b32 vcc_lo, exec_lo, s41
	s_cbranch_vccz .LBB95_830
; %bb.827:
	s_cmp_eq_u32 s35, 29
	s_cbranch_scc0 .LBB95_829
; %bb.828:
	global_load_b64 v[8:9], v[14:15], off
	s_mov_b32 s40, -1
	s_mov_b32 s90, 0
	s_branch .LBB95_830
.LBB95_829:
	s_mov_b32 s90, -1
                                        ; implicit-def: $vgpr8_vgpr9
.LBB95_830:
	s_mov_b32 s41, 0
.LBB95_831:
	s_delay_alu instid0(SALU_CYCLE_1)
	s_and_b32 vcc_lo, exec_lo, s41
	s_cbranch_vccz .LBB95_847
; %bb.832:
	s_cmp_lt_i32 s35, 27
	s_cbranch_scc1 .LBB95_835
; %bb.833:
	s_cmp_gt_i32 s35, 27
	s_cbranch_scc0 .LBB95_836
; %bb.834:
	s_wait_loadcnt 0x0
	global_load_b32 v8, v[14:15], off
	v_mov_b32_e32 v9, 0
	s_mov_b32 s40, 0
	s_branch .LBB95_837
.LBB95_835:
	s_mov_b32 s40, -1
                                        ; implicit-def: $vgpr8_vgpr9
	s_branch .LBB95_840
.LBB95_836:
	s_mov_b32 s40, -1
                                        ; implicit-def: $vgpr8_vgpr9
.LBB95_837:
	s_delay_alu instid0(SALU_CYCLE_1)
	s_and_not1_b32 vcc_lo, exec_lo, s40
	s_cbranch_vccnz .LBB95_839
; %bb.838:
	global_load_u16 v1, v[14:15], off
	s_mov_b32 s20, 0
	s_wait_loadcnt 0x1
	v_mov_b32_e32 v9, s20
	s_wait_loadcnt 0x0
	v_and_b32_e32 v8, 0xffff, v1
.LBB95_839:
	s_mov_b32 s40, 0
.LBB95_840:
	s_delay_alu instid0(SALU_CYCLE_1)
	s_and_not1_b32 vcc_lo, exec_lo, s40
	s_cbranch_vccnz .LBB95_846
; %bb.841:
	global_load_u8 v1, v[14:15], off
	s_mov_b32 s41, 0
	s_mov_b32 s20, exec_lo
	s_wait_loadcnt 0x0
	v_cmpx_lt_i16_e32 0x7f, v1
	s_xor_b32 s40, exec_lo, s20
	s_cbranch_execz .LBB95_858
; %bb.842:
	v_cmp_ne_u16_e32 vcc_lo, 0x80, v1
	s_and_b32 s41, vcc_lo, exec_lo
	s_and_not1_saveexec_b32 s40, s40
	s_cbranch_execnz .LBB95_859
.LBB95_843:
	s_or_b32 exec_lo, exec_lo, s40
	v_mov_b64_e32 v[8:9], 0
	s_and_saveexec_b32 s40, s41
	s_cbranch_execz .LBB95_845
.LBB95_844:
	v_and_b32_e32 v3, 0xffff, v1
	s_delay_alu instid0(VALU_DEP_1) | instskip(SKIP_1) | instid1(VALU_DEP_2)
	v_and_b32_e32 v7, 7, v3
	v_bfe_u32 v11, v3, 3, 4
	v_clz_i32_u32_e32 v8, v7
	s_delay_alu instid0(VALU_DEP_2) | instskip(NEXT) | instid1(VALU_DEP_2)
	v_cmp_eq_u32_e32 vcc_lo, 0, v11
	v_min_u32_e32 v8, 32, v8
	s_delay_alu instid0(VALU_DEP_1) | instskip(NEXT) | instid1(VALU_DEP_1)
	v_subrev_nc_u32_e32 v9, 28, v8
	v_dual_lshlrev_b32 v3, v9, v3 :: v_dual_sub_nc_u32 v8, 29, v8
	s_delay_alu instid0(VALU_DEP_1) | instskip(NEXT) | instid1(VALU_DEP_2)
	v_dual_lshlrev_b32 v1, 24, v1 :: v_dual_bitop2_b32 v3, 7, v3 bitop3:0x40
	v_cndmask_b32_e32 v8, v11, v8, vcc_lo
	s_delay_alu instid0(VALU_DEP_2) | instskip(NEXT) | instid1(VALU_DEP_3)
	v_cndmask_b32_e32 v3, v7, v3, vcc_lo
	v_and_b32_e32 v1, 0x80000000, v1
	s_delay_alu instid0(VALU_DEP_3) | instskip(NEXT) | instid1(VALU_DEP_3)
	v_lshl_add_u32 v7, v8, 23, 0x3b800000
	v_lshlrev_b32_e32 v3, 20, v3
	s_delay_alu instid0(VALU_DEP_1) | instskip(NEXT) | instid1(VALU_DEP_1)
	v_or3_b32 v1, v1, v7, v3
	v_trunc_f32_e32 v1, v1
	s_delay_alu instid0(VALU_DEP_1) | instskip(SKIP_1) | instid1(VALU_DEP_2)
	v_mul_f32_e64 v3, 0x2f800000, |v1|
	v_ashrrev_i32_e32 v8, 31, v1
	v_floor_f32_e32 v3, v3
	s_delay_alu instid0(VALU_DEP_2) | instskip(NEXT) | instid1(VALU_DEP_2)
	v_mov_b32_e32 v9, v8
	v_fma_f32 v7, 0xcf800000, v3, |v1|
	v_cvt_u32_f32_e32 v1, v3
	s_delay_alu instid0(VALU_DEP_2) | instskip(NEXT) | instid1(VALU_DEP_2)
	v_cvt_u32_f32_e32 v3, v7
	v_xor_b32_e32 v17, v1, v8
	s_delay_alu instid0(VALU_DEP_2) | instskip(NEXT) | instid1(VALU_DEP_1)
	v_xor_b32_e32 v16, v3, v8
	v_sub_nc_u64_e32 v[8:9], v[16:17], v[8:9]
.LBB95_845:
	s_or_b32 exec_lo, exec_lo, s40
.LBB95_846:
	s_mov_b32 s40, -1
.LBB95_847:
	s_mov_b32 s41, 0
.LBB95_848:
	s_delay_alu instid0(SALU_CYCLE_1)
	s_and_b32 vcc_lo, exec_lo, s41
	s_cbranch_vccz .LBB95_881
; %bb.849:
	s_cmp_gt_i32 s35, 22
	s_cbranch_scc0 .LBB95_857
; %bb.850:
	s_cmp_lt_i32 s35, 24
	s_cbranch_scc1 .LBB95_860
; %bb.851:
	s_cmp_gt_i32 s35, 24
	s_cbranch_scc0 .LBB95_861
; %bb.852:
	global_load_u8 v1, v[14:15], off
	s_mov_b32 s41, 0
	s_mov_b32 s20, exec_lo
	s_wait_loadcnt 0x0
	v_cmpx_lt_i16_e32 0x7f, v1
	s_xor_b32 s40, exec_lo, s20
	s_cbranch_execz .LBB95_873
; %bb.853:
	v_cmp_ne_u16_e32 vcc_lo, 0x80, v1
	s_and_b32 s41, vcc_lo, exec_lo
	s_and_not1_saveexec_b32 s40, s40
	s_cbranch_execnz .LBB95_874
.LBB95_854:
	s_or_b32 exec_lo, exec_lo, s40
	v_mov_b64_e32 v[8:9], 0
	s_and_saveexec_b32 s40, s41
	s_cbranch_execz .LBB95_856
.LBB95_855:
	v_and_b32_e32 v3, 0xffff, v1
	s_delay_alu instid0(VALU_DEP_1) | instskip(SKIP_1) | instid1(VALU_DEP_2)
	v_and_b32_e32 v7, 3, v3
	v_bfe_u32 v11, v3, 2, 5
	v_clz_i32_u32_e32 v8, v7
	s_delay_alu instid0(VALU_DEP_2) | instskip(NEXT) | instid1(VALU_DEP_2)
	v_cmp_eq_u32_e32 vcc_lo, 0, v11
	v_min_u32_e32 v8, 32, v8
	s_delay_alu instid0(VALU_DEP_1) | instskip(NEXT) | instid1(VALU_DEP_1)
	v_subrev_nc_u32_e32 v9, 29, v8
	v_dual_lshlrev_b32 v3, v9, v3 :: v_dual_sub_nc_u32 v8, 30, v8
	s_delay_alu instid0(VALU_DEP_1) | instskip(NEXT) | instid1(VALU_DEP_2)
	v_dual_lshlrev_b32 v1, 24, v1 :: v_dual_bitop2_b32 v3, 3, v3 bitop3:0x40
	v_cndmask_b32_e32 v8, v11, v8, vcc_lo
	s_delay_alu instid0(VALU_DEP_2) | instskip(NEXT) | instid1(VALU_DEP_3)
	v_cndmask_b32_e32 v3, v7, v3, vcc_lo
	v_and_b32_e32 v1, 0x80000000, v1
	s_delay_alu instid0(VALU_DEP_3) | instskip(NEXT) | instid1(VALU_DEP_3)
	v_lshl_add_u32 v7, v8, 23, 0x37800000
	v_lshlrev_b32_e32 v3, 21, v3
	s_delay_alu instid0(VALU_DEP_1) | instskip(NEXT) | instid1(VALU_DEP_1)
	v_or3_b32 v1, v1, v7, v3
	v_trunc_f32_e32 v1, v1
	s_delay_alu instid0(VALU_DEP_1) | instskip(SKIP_1) | instid1(VALU_DEP_2)
	v_mul_f32_e64 v3, 0x2f800000, |v1|
	v_ashrrev_i32_e32 v8, 31, v1
	v_floor_f32_e32 v3, v3
	s_delay_alu instid0(VALU_DEP_2) | instskip(NEXT) | instid1(VALU_DEP_2)
	v_mov_b32_e32 v9, v8
	v_fma_f32 v7, 0xcf800000, v3, |v1|
	v_cvt_u32_f32_e32 v1, v3
	s_delay_alu instid0(VALU_DEP_2) | instskip(NEXT) | instid1(VALU_DEP_2)
	v_cvt_u32_f32_e32 v3, v7
	v_xor_b32_e32 v17, v1, v8
	s_delay_alu instid0(VALU_DEP_2) | instskip(NEXT) | instid1(VALU_DEP_1)
	v_xor_b32_e32 v16, v3, v8
	v_sub_nc_u64_e32 v[8:9], v[16:17], v[8:9]
.LBB95_856:
	s_or_b32 exec_lo, exec_lo, s40
	s_mov_b32 s40, 0
	s_branch .LBB95_862
.LBB95_857:
	s_mov_b32 s41, -1
                                        ; implicit-def: $vgpr8_vgpr9
	s_branch .LBB95_868
.LBB95_858:
	s_and_not1_saveexec_b32 s40, s40
	s_cbranch_execz .LBB95_843
.LBB95_859:
	v_cmp_ne_u16_e32 vcc_lo, 0, v1
	s_and_not1_b32 s20, s41, exec_lo
	s_and_b32 s21, vcc_lo, exec_lo
	s_delay_alu instid0(SALU_CYCLE_1)
	s_or_b32 s41, s20, s21
	s_or_b32 exec_lo, exec_lo, s40
	v_mov_b64_e32 v[8:9], 0
	s_and_saveexec_b32 s40, s41
	s_cbranch_execnz .LBB95_844
	s_branch .LBB95_845
.LBB95_860:
	s_mov_b32 s40, -1
                                        ; implicit-def: $vgpr8_vgpr9
	s_branch .LBB95_865
.LBB95_861:
	s_mov_b32 s40, -1
                                        ; implicit-def: $vgpr8_vgpr9
.LBB95_862:
	s_delay_alu instid0(SALU_CYCLE_1)
	s_and_b32 vcc_lo, exec_lo, s40
	s_cbranch_vccz .LBB95_864
; %bb.863:
	global_load_u8 v1, v[14:15], off
	s_wait_loadcnt 0x0
	v_lshlrev_b32_e32 v1, 24, v1
	s_delay_alu instid0(VALU_DEP_1) | instskip(NEXT) | instid1(VALU_DEP_1)
	v_and_b32_e32 v3, 0x7f000000, v1
	v_clz_i32_u32_e32 v7, v3
	v_add_nc_u32_e32 v9, 0x1000000, v3
	v_cmp_ne_u32_e32 vcc_lo, 0, v3
	s_delay_alu instid0(VALU_DEP_3) | instskip(NEXT) | instid1(VALU_DEP_1)
	v_min_u32_e32 v7, 32, v7
	v_sub_nc_u32_e64 v7, v7, 4 clamp
	s_delay_alu instid0(VALU_DEP_1) | instskip(NEXT) | instid1(VALU_DEP_1)
	v_lshlrev_b32_e32 v8, v7, v3
	v_dual_lshlrev_b32 v7, 23, v7 :: v_dual_lshrrev_b32 v8, 4, v8
	s_delay_alu instid0(VALU_DEP_1) | instskip(NEXT) | instid1(VALU_DEP_1)
	v_dual_sub_nc_u32 v7, v8, v7 :: v_dual_ashrrev_i32 v8, 8, v9
	v_add_nc_u32_e32 v7, 0x3c000000, v7
	s_delay_alu instid0(VALU_DEP_1) | instskip(NEXT) | instid1(VALU_DEP_1)
	v_and_or_b32 v7, 0x7f800000, v8, v7
	v_cndmask_b32_e32 v3, 0, v7, vcc_lo
	s_delay_alu instid0(VALU_DEP_1) | instskip(NEXT) | instid1(VALU_DEP_1)
	v_and_or_b32 v1, 0x80000000, v1, v3
	v_trunc_f32_e32 v1, v1
	s_delay_alu instid0(VALU_DEP_1) | instskip(SKIP_1) | instid1(VALU_DEP_2)
	v_mul_f32_e64 v3, 0x2f800000, |v1|
	v_ashrrev_i32_e32 v8, 31, v1
	v_floor_f32_e32 v3, v3
	s_delay_alu instid0(VALU_DEP_1) | instskip(SKIP_1) | instid1(VALU_DEP_4)
	v_fma_f32 v7, 0xcf800000, v3, |v1|
	v_cvt_u32_f32_e32 v1, v3
	v_mov_b32_e32 v9, v8
	s_delay_alu instid0(VALU_DEP_3) | instskip(NEXT) | instid1(VALU_DEP_3)
	v_cvt_u32_f32_e32 v3, v7
	v_xor_b32_e32 v17, v1, v8
	s_delay_alu instid0(VALU_DEP_2) | instskip(NEXT) | instid1(VALU_DEP_1)
	v_xor_b32_e32 v16, v3, v8
	v_sub_nc_u64_e32 v[8:9], v[16:17], v[8:9]
.LBB95_864:
	s_mov_b32 s40, 0
.LBB95_865:
	s_delay_alu instid0(SALU_CYCLE_1)
	s_and_not1_b32 vcc_lo, exec_lo, s40
	s_cbranch_vccnz .LBB95_867
; %bb.866:
	global_load_u8 v1, v[14:15], off
	s_wait_loadcnt 0x0
	v_lshlrev_b32_e32 v3, 25, v1
	v_lshlrev_b16 v1, 8, v1
	s_delay_alu instid0(VALU_DEP_1) | instskip(SKIP_1) | instid1(VALU_DEP_2)
	v_and_or_b32 v8, 0x7f00, v1, 0.5
	v_bfe_i32 v1, v1, 0, 16
	v_dual_add_f32 v8, -0.5, v8 :: v_dual_lshrrev_b32 v7, 4, v3
	v_cmp_gt_u32_e32 vcc_lo, 0x8000000, v3
	s_delay_alu instid0(VALU_DEP_2) | instskip(NEXT) | instid1(VALU_DEP_1)
	v_or_b32_e32 v7, 0x70000000, v7
	v_mul_f32_e32 v7, 0x7800000, v7
	s_delay_alu instid0(VALU_DEP_1) | instskip(NEXT) | instid1(VALU_DEP_1)
	v_cndmask_b32_e32 v3, v7, v8, vcc_lo
	v_and_or_b32 v1, 0x80000000, v1, v3
	s_delay_alu instid0(VALU_DEP_1) | instskip(NEXT) | instid1(VALU_DEP_1)
	v_trunc_f32_e32 v1, v1
	v_mul_f32_e64 v3, 0x2f800000, |v1|
	v_ashrrev_i32_e32 v8, 31, v1
	s_delay_alu instid0(VALU_DEP_2) | instskip(NEXT) | instid1(VALU_DEP_2)
	v_floor_f32_e32 v3, v3
	v_mov_b32_e32 v9, v8
	s_delay_alu instid0(VALU_DEP_2) | instskip(SKIP_1) | instid1(VALU_DEP_2)
	v_fma_f32 v7, 0xcf800000, v3, |v1|
	v_cvt_u32_f32_e32 v1, v3
	v_cvt_u32_f32_e32 v3, v7
	s_delay_alu instid0(VALU_DEP_2) | instskip(NEXT) | instid1(VALU_DEP_2)
	v_xor_b32_e32 v17, v1, v8
	v_xor_b32_e32 v16, v3, v8
	s_delay_alu instid0(VALU_DEP_1)
	v_sub_nc_u64_e32 v[8:9], v[16:17], v[8:9]
.LBB95_867:
	s_mov_b32 s41, 0
	s_mov_b32 s40, -1
.LBB95_868:
	s_and_not1_b32 vcc_lo, exec_lo, s41
	s_cbranch_vccnz .LBB95_881
; %bb.869:
	s_cmp_gt_i32 s35, 14
	s_cbranch_scc0 .LBB95_872
; %bb.870:
	s_cmp_eq_u32 s35, 15
	s_cbranch_scc0 .LBB95_875
; %bb.871:
	global_load_u16 v1, v[14:15], off
	s_mov_b32 s40, -1
	s_mov_b32 s90, 0
	s_wait_loadcnt 0x0
	v_lshlrev_b32_e32 v1, 16, v1
	s_delay_alu instid0(VALU_DEP_1) | instskip(NEXT) | instid1(VALU_DEP_1)
	v_trunc_f32_e32 v1, v1
	v_mul_f32_e64 v3, 0x2f800000, |v1|
	v_ashrrev_i32_e32 v8, 31, v1
	s_delay_alu instid0(VALU_DEP_2) | instskip(NEXT) | instid1(VALU_DEP_2)
	v_floor_f32_e32 v3, v3
	v_mov_b32_e32 v9, v8
	s_delay_alu instid0(VALU_DEP_2) | instskip(SKIP_1) | instid1(VALU_DEP_2)
	v_fma_f32 v7, 0xcf800000, v3, |v1|
	v_cvt_u32_f32_e32 v1, v3
	v_cvt_u32_f32_e32 v3, v7
	s_delay_alu instid0(VALU_DEP_2) | instskip(NEXT) | instid1(VALU_DEP_2)
	v_xor_b32_e32 v17, v1, v8
	v_xor_b32_e32 v16, v3, v8
	s_delay_alu instid0(VALU_DEP_1)
	v_sub_nc_u64_e32 v[8:9], v[16:17], v[8:9]
	s_branch .LBB95_876
.LBB95_872:
	s_mov_b32 s41, -1
                                        ; implicit-def: $vgpr8_vgpr9
	s_branch .LBB95_877
.LBB95_873:
	s_and_not1_saveexec_b32 s40, s40
	s_cbranch_execz .LBB95_854
.LBB95_874:
	v_cmp_ne_u16_e32 vcc_lo, 0, v1
	s_and_not1_b32 s20, s41, exec_lo
	s_and_b32 s21, vcc_lo, exec_lo
	s_delay_alu instid0(SALU_CYCLE_1)
	s_or_b32 s41, s20, s21
	s_or_b32 exec_lo, exec_lo, s40
	v_mov_b64_e32 v[8:9], 0
	s_and_saveexec_b32 s40, s41
	s_cbranch_execnz .LBB95_855
	s_branch .LBB95_856
.LBB95_875:
	s_mov_b32 s90, -1
                                        ; implicit-def: $vgpr8_vgpr9
.LBB95_876:
	s_mov_b32 s41, 0
.LBB95_877:
	s_delay_alu instid0(SALU_CYCLE_1)
	s_and_b32 vcc_lo, exec_lo, s41
	s_cbranch_vccz .LBB95_881
; %bb.878:
	s_cmp_eq_u32 s35, 11
	s_cbranch_scc0 .LBB95_880
; %bb.879:
	global_load_u8 v1, v[14:15], off
	s_mov_b32 s90, 0
	s_mov_b32 s40, -1
	s_wait_loadcnt 0x1
	v_mov_b32_e32 v9, s90
	s_wait_loadcnt 0x0
	v_cmp_ne_u16_e32 vcc_lo, 0, v1
	v_cndmask_b32_e64 v8, 0, 1, vcc_lo
	s_branch .LBB95_881
.LBB95_880:
	s_mov_b32 s90, -1
                                        ; implicit-def: $vgpr8_vgpr9
.LBB95_881:
	s_mov_b32 s35, 0
.LBB95_882:
	s_delay_alu instid0(SALU_CYCLE_1)
	s_and_b32 vcc_lo, exec_lo, s35
	s_cbranch_vccz .LBB95_931
; %bb.883:
	s_and_b32 s0, 0xffff, s0
	s_delay_alu instid0(SALU_CYCLE_1)
	s_cmp_lt_i32 s0, 5
	s_cbranch_scc1 .LBB95_888
; %bb.884:
	s_cmp_lt_i32 s0, 8
	s_cbranch_scc1 .LBB95_889
; %bb.885:
	;; [unrolled: 3-line block ×3, first 2 shown]
	s_cmp_gt_i32 s0, 9
	s_cbranch_scc0 .LBB95_891
; %bb.887:
	s_wait_loadcnt 0x0
	global_load_b64 v[8:9], v[14:15], off
	s_mov_b32 s35, 0
	s_wait_loadcnt 0x0
	v_trunc_f64_e32 v[8:9], v[8:9]
	s_delay_alu instid0(VALU_DEP_1) | instskip(NEXT) | instid1(VALU_DEP_1)
	v_ldexp_f64 v[16:17], v[8:9], 0xffffffe0
	v_floor_f64_e32 v[16:17], v[16:17]
	s_delay_alu instid0(VALU_DEP_1) | instskip(SKIP_1) | instid1(VALU_DEP_2)
	v_fmamk_f64 v[18:19], v[16:17], 0xc1f00000, v[8:9]
	v_cvt_i32_f64_e32 v9, v[16:17]
	v_cvt_u32_f64_e32 v8, v[18:19]
	s_branch .LBB95_892
.LBB95_888:
	s_mov_b32 s35, -1
                                        ; implicit-def: $vgpr8_vgpr9
	s_branch .LBB95_910
.LBB95_889:
	s_mov_b32 s35, -1
                                        ; implicit-def: $vgpr8_vgpr9
	s_branch .LBB95_898
.LBB95_890:
	s_mov_b32 s35, -1
                                        ; implicit-def: $vgpr8_vgpr9
	s_branch .LBB95_895
.LBB95_891:
	s_mov_b32 s35, -1
                                        ; implicit-def: $vgpr8_vgpr9
.LBB95_892:
	s_delay_alu instid0(SALU_CYCLE_1)
	s_and_not1_b32 vcc_lo, exec_lo, s35
	s_cbranch_vccnz .LBB95_894
; %bb.893:
	global_load_b32 v1, v[14:15], off
	s_wait_loadcnt 0x0
	v_trunc_f32_e32 v1, v1
	s_delay_alu instid0(VALU_DEP_1) | instskip(SKIP_1) | instid1(VALU_DEP_2)
	v_mul_f32_e64 v3, 0x2f800000, |v1|
	v_ashrrev_i32_e32 v8, 31, v1
	v_floor_f32_e32 v3, v3
	s_delay_alu instid0(VALU_DEP_1) | instskip(SKIP_1) | instid1(VALU_DEP_4)
	v_fma_f32 v7, 0xcf800000, v3, |v1|
	v_cvt_u32_f32_e32 v1, v3
	v_mov_b32_e32 v9, v8
	s_delay_alu instid0(VALU_DEP_3) | instskip(NEXT) | instid1(VALU_DEP_3)
	v_cvt_u32_f32_e32 v3, v7
	v_xor_b32_e32 v17, v1, v8
	s_delay_alu instid0(VALU_DEP_2) | instskip(NEXT) | instid1(VALU_DEP_1)
	v_xor_b32_e32 v16, v3, v8
	v_sub_nc_u64_e32 v[8:9], v[16:17], v[8:9]
.LBB95_894:
	s_mov_b32 s35, 0
.LBB95_895:
	s_delay_alu instid0(SALU_CYCLE_1)
	s_and_not1_b32 vcc_lo, exec_lo, s35
	s_cbranch_vccnz .LBB95_897
; %bb.896:
	global_load_b32 v1, v[14:15], off
	s_wait_loadcnt 0x0
	v_cvt_f32_f16_e32 v1, v1
	s_delay_alu instid0(VALU_DEP_1) | instskip(NEXT) | instid1(VALU_DEP_1)
	v_cvt_i32_f32_e32 v8, v1
	v_ashrrev_i32_e32 v9, 31, v8
.LBB95_897:
	s_mov_b32 s35, 0
.LBB95_898:
	s_delay_alu instid0(SALU_CYCLE_1)
	s_and_not1_b32 vcc_lo, exec_lo, s35
	s_cbranch_vccnz .LBB95_909
; %bb.899:
	s_cmp_lt_i32 s0, 6
	s_cbranch_scc1 .LBB95_902
; %bb.900:
	s_cmp_gt_i32 s0, 6
	s_cbranch_scc0 .LBB95_903
; %bb.901:
	s_wait_loadcnt 0x0
	global_load_b64 v[8:9], v[14:15], off
	s_mov_b32 s35, 0
	s_wait_loadcnt 0x0
	v_trunc_f64_e32 v[8:9], v[8:9]
	s_delay_alu instid0(VALU_DEP_1) | instskip(NEXT) | instid1(VALU_DEP_1)
	v_ldexp_f64 v[16:17], v[8:9], 0xffffffe0
	v_floor_f64_e32 v[16:17], v[16:17]
	s_delay_alu instid0(VALU_DEP_1) | instskip(SKIP_1) | instid1(VALU_DEP_2)
	v_fmamk_f64 v[18:19], v[16:17], 0xc1f00000, v[8:9]
	v_cvt_i32_f64_e32 v9, v[16:17]
	v_cvt_u32_f64_e32 v8, v[18:19]
	s_branch .LBB95_904
.LBB95_902:
	s_mov_b32 s35, -1
                                        ; implicit-def: $vgpr8_vgpr9
	s_branch .LBB95_907
.LBB95_903:
	s_mov_b32 s35, -1
                                        ; implicit-def: $vgpr8_vgpr9
.LBB95_904:
	s_delay_alu instid0(SALU_CYCLE_1)
	s_and_not1_b32 vcc_lo, exec_lo, s35
	s_cbranch_vccnz .LBB95_906
; %bb.905:
	global_load_b32 v1, v[14:15], off
	s_wait_loadcnt 0x0
	v_trunc_f32_e32 v1, v1
	s_delay_alu instid0(VALU_DEP_1) | instskip(SKIP_1) | instid1(VALU_DEP_2)
	v_mul_f32_e64 v3, 0x2f800000, |v1|
	v_ashrrev_i32_e32 v8, 31, v1
	v_floor_f32_e32 v3, v3
	s_delay_alu instid0(VALU_DEP_1) | instskip(SKIP_1) | instid1(VALU_DEP_4)
	v_fma_f32 v7, 0xcf800000, v3, |v1|
	v_cvt_u32_f32_e32 v1, v3
	v_mov_b32_e32 v9, v8
	s_delay_alu instid0(VALU_DEP_3) | instskip(NEXT) | instid1(VALU_DEP_3)
	v_cvt_u32_f32_e32 v3, v7
	v_xor_b32_e32 v17, v1, v8
	s_delay_alu instid0(VALU_DEP_2) | instskip(NEXT) | instid1(VALU_DEP_1)
	v_xor_b32_e32 v16, v3, v8
	v_sub_nc_u64_e32 v[8:9], v[16:17], v[8:9]
.LBB95_906:
	s_mov_b32 s35, 0
.LBB95_907:
	s_delay_alu instid0(SALU_CYCLE_1)
	s_and_not1_b32 vcc_lo, exec_lo, s35
	s_cbranch_vccnz .LBB95_909
; %bb.908:
	global_load_u16 v1, v[14:15], off
	s_wait_loadcnt 0x0
	v_cvt_f32_f16_e32 v1, v1
	s_delay_alu instid0(VALU_DEP_1) | instskip(NEXT) | instid1(VALU_DEP_1)
	v_cvt_i32_f32_e32 v8, v1
	v_ashrrev_i32_e32 v9, 31, v8
.LBB95_909:
	s_mov_b32 s35, 0
.LBB95_910:
	s_delay_alu instid0(SALU_CYCLE_1)
	s_and_not1_b32 vcc_lo, exec_lo, s35
	s_cbranch_vccnz .LBB95_930
; %bb.911:
	s_cmp_lt_i32 s0, 2
	s_cbranch_scc1 .LBB95_915
; %bb.912:
	s_cmp_lt_i32 s0, 3
	s_cbranch_scc1 .LBB95_916
; %bb.913:
	s_cmp_gt_i32 s0, 3
	s_cbranch_scc0 .LBB95_917
; %bb.914:
	s_wait_loadcnt 0x0
	global_load_b64 v[8:9], v[14:15], off
	s_mov_b32 s35, 0
	s_branch .LBB95_918
.LBB95_915:
	s_mov_b32 s35, -1
                                        ; implicit-def: $vgpr8_vgpr9
	s_branch .LBB95_924
.LBB95_916:
	s_mov_b32 s35, -1
                                        ; implicit-def: $vgpr8_vgpr9
	s_branch .LBB95_921
.LBB95_917:
	s_mov_b32 s35, -1
                                        ; implicit-def: $vgpr8_vgpr9
.LBB95_918:
	s_delay_alu instid0(SALU_CYCLE_1)
	s_and_not1_b32 vcc_lo, exec_lo, s35
	s_cbranch_vccnz .LBB95_920
; %bb.919:
	s_wait_loadcnt 0x0
	global_load_b32 v8, v[14:15], off
	s_wait_loadcnt 0x0
	v_ashrrev_i32_e32 v9, 31, v8
.LBB95_920:
	s_mov_b32 s35, 0
.LBB95_921:
	s_delay_alu instid0(SALU_CYCLE_1)
	s_and_not1_b32 vcc_lo, exec_lo, s35
	s_cbranch_vccnz .LBB95_923
; %bb.922:
	global_load_u16 v1, v[14:15], off
	s_wait_loadcnt 0x0
	v_bfe_i32 v8, v1, 0, 16
	s_delay_alu instid0(VALU_DEP_1)
	v_ashrrev_i32_e32 v9, 31, v8
.LBB95_923:
	s_mov_b32 s35, 0
.LBB95_924:
	s_delay_alu instid0(SALU_CYCLE_1)
	s_and_not1_b32 vcc_lo, exec_lo, s35
	s_cbranch_vccnz .LBB95_930
; %bb.925:
	s_cmp_gt_i32 s0, 0
	s_mov_b32 s0, 0
	s_cbranch_scc0 .LBB95_927
; %bb.926:
	global_load_i8 v1, v[14:15], off
	s_wait_loadcnt 0x0
	v_bfe_i32 v8, v1, 0, 16
	s_delay_alu instid0(VALU_DEP_1)
	v_ashrrev_i32_e32 v9, 31, v8
	s_branch .LBB95_928
.LBB95_927:
	s_mov_b32 s0, -1
                                        ; implicit-def: $vgpr8_vgpr9
.LBB95_928:
	s_delay_alu instid0(SALU_CYCLE_1)
	s_and_not1_b32 vcc_lo, exec_lo, s0
	s_cbranch_vccnz .LBB95_930
; %bb.929:
	global_load_u8 v1, v[14:15], off
	s_mov_b32 s0, 0
	s_wait_loadcnt 0x1
	v_mov_b32_e32 v9, s0
	s_wait_loadcnt 0x0
	v_and_b32_e32 v8, 0xffff, v1
.LBB95_930:
	s_mov_b32 s40, -1
.LBB95_931:
	s_delay_alu instid0(SALU_CYCLE_1)
	s_and_not1_b32 vcc_lo, exec_lo, s40
	s_cbranch_vccnz .LBB95_939
; %bb.932:
	s_load_b512 s[4:19], s[2:3], 0x248
	v_mov_b32_e32 v13, 0
	s_and_b32 s0, s28, 0xff
	s_delay_alu instid0(SALU_CYCLE_1) | instskip(SKIP_1) | instid1(VALU_DEP_1)
	s_cmp_lt_i32 s0, 11
	s_wait_kmcnt 0x0
	v_add_nc_u64_e32 v[14:15], s[10:11], v[12:13]
	s_cbranch_scc1 .LBB95_940
; %bb.933:
	s_and_b32 s35, 0xffff, s0
	s_delay_alu instid0(SALU_CYCLE_1)
	s_cmp_gt_i32 s35, 25
	s_cbranch_scc0 .LBB95_941
; %bb.934:
	s_cmp_gt_i32 s35, 28
	s_cbranch_scc0 .LBB95_942
; %bb.935:
	;; [unrolled: 3-line block ×4, first 2 shown]
	s_cmp_eq_u32 s35, 46
	s_mov_b32 s41, 0
	s_cbranch_scc0 .LBB95_946
; %bb.938:
	global_load_b32 v1, v[14:15], off
	s_mov_b32 s40, -1
	s_mov_b32 s89, 0
	s_wait_loadcnt 0x0
	v_lshlrev_b32_e32 v1, 16, v1
	s_delay_alu instid0(VALU_DEP_1) | instskip(NEXT) | instid1(VALU_DEP_1)
	v_trunc_f32_e32 v1, v1
	v_mul_f32_e64 v3, 0x2f800000, |v1|
	v_ashrrev_i32_e32 v12, 31, v1
	s_delay_alu instid0(VALU_DEP_2) | instskip(NEXT) | instid1(VALU_DEP_2)
	v_floor_f32_e32 v3, v3
	v_mov_b32_e32 v13, v12
	s_delay_alu instid0(VALU_DEP_2) | instskip(SKIP_1) | instid1(VALU_DEP_2)
	v_fma_f32 v7, 0xcf800000, v3, |v1|
	v_cvt_u32_f32_e32 v1, v3
	v_cvt_u32_f32_e32 v3, v7
	s_delay_alu instid0(VALU_DEP_2) | instskip(NEXT) | instid1(VALU_DEP_2)
	v_xor_b32_e32 v17, v1, v12
	v_xor_b32_e32 v16, v3, v12
	s_delay_alu instid0(VALU_DEP_1)
	v_sub_nc_u64_e32 v[12:13], v[16:17], v[12:13]
	s_branch .LBB95_948
.LBB95_939:
	s_mov_b32 s0, 0
	s_mov_b32 s35, s64
	;; [unrolled: 1-line block ×9, first 2 shown]
	s_branch .LBB95_1324
.LBB95_940:
	s_mov_b32 s35, -1
	s_mov_b32 s40, 0
	s_mov_b32 s89, s84
                                        ; implicit-def: $vgpr12_vgpr13
	s_branch .LBB95_1009
.LBB95_941:
	s_mov_b32 s41, -1
	s_mov_b32 s40, 0
	s_mov_b32 s89, s84
                                        ; implicit-def: $vgpr12_vgpr13
	s_branch .LBB95_975
.LBB95_942:
	s_mov_b32 s41, -1
	s_mov_b32 s40, 0
	s_mov_b32 s89, s84
                                        ; implicit-def: $vgpr12_vgpr13
	s_branch .LBB95_958
.LBB95_943:
	s_mov_b32 s41, -1
	s_mov_b32 s40, 0
	s_mov_b32 s89, s84
                                        ; implicit-def: $vgpr12_vgpr13
	s_branch .LBB95_953
.LBB95_944:
	s_mov_b32 s41, -1
	s_mov_b32 s40, 0
	s_mov_b32 s89, s84
	s_branch .LBB95_947
.LBB95_945:
	s_mov_b32 s56, -1
	s_mov_b32 s42, 0
	s_mov_b32 s55, 0
	s_branch .LBB95_1894
.LBB95_946:
	s_mov_b32 s89, -1
	s_mov_b32 s40, 0
.LBB95_947:
                                        ; implicit-def: $vgpr12_vgpr13
.LBB95_948:
	s_and_b32 vcc_lo, exec_lo, s41
	s_cbranch_vccz .LBB95_952
; %bb.949:
	s_cmp_eq_u32 s35, 44
	s_cbranch_scc0 .LBB95_951
; %bb.950:
	global_load_u8 v1, v[14:15], off
	s_mov_b32 s89, 0
	s_mov_b32 s40, -1
	s_wait_loadcnt 0x0
	v_lshlrev_b32_e32 v3, 23, v1
	v_cmp_ne_u32_e32 vcc_lo, 0, v1
	s_delay_alu instid0(VALU_DEP_2) | instskip(NEXT) | instid1(VALU_DEP_1)
	v_trunc_f32_e32 v3, v3
	v_mul_f32_e64 v7, 0x2f800000, |v3|
	v_ashrrev_i32_e32 v12, 31, v3
	s_delay_alu instid0(VALU_DEP_2) | instskip(NEXT) | instid1(VALU_DEP_2)
	v_floor_f32_e32 v7, v7
	v_mov_b32_e32 v13, v12
	s_delay_alu instid0(VALU_DEP_2) | instskip(SKIP_1) | instid1(VALU_DEP_2)
	v_fma_f32 v11, 0xcf800000, v7, |v3|
	v_cvt_u32_f32_e32 v3, v7
	v_cvt_u32_f32_e32 v7, v11
	s_delay_alu instid0(VALU_DEP_2) | instskip(NEXT) | instid1(VALU_DEP_2)
	v_xor_b32_e32 v17, v3, v12
	v_xor_b32_e32 v16, v7, v12
	s_delay_alu instid0(VALU_DEP_1) | instskip(NEXT) | instid1(VALU_DEP_1)
	v_sub_nc_u64_e32 v[12:13], v[16:17], v[12:13]
	v_dual_cndmask_b32 v13, 0, v13 :: v_dual_cndmask_b32 v12, 0, v12
	s_branch .LBB95_952
.LBB95_951:
	s_mov_b32 s89, -1
                                        ; implicit-def: $vgpr12_vgpr13
.LBB95_952:
	s_mov_b32 s41, 0
.LBB95_953:
	s_delay_alu instid0(SALU_CYCLE_1)
	s_and_b32 vcc_lo, exec_lo, s41
	s_cbranch_vccz .LBB95_957
; %bb.954:
	s_cmp_eq_u32 s35, 29
	s_cbranch_scc0 .LBB95_956
; %bb.955:
	global_load_b64 v[12:13], v[14:15], off
	s_mov_b32 s40, -1
	s_mov_b32 s89, 0
	s_branch .LBB95_957
.LBB95_956:
	s_mov_b32 s89, -1
                                        ; implicit-def: $vgpr12_vgpr13
.LBB95_957:
	s_mov_b32 s41, 0
.LBB95_958:
	s_delay_alu instid0(SALU_CYCLE_1)
	s_and_b32 vcc_lo, exec_lo, s41
	s_cbranch_vccz .LBB95_974
; %bb.959:
	s_cmp_lt_i32 s35, 27
	s_cbranch_scc1 .LBB95_962
; %bb.960:
	s_cmp_gt_i32 s35, 27
	s_cbranch_scc0 .LBB95_963
; %bb.961:
	s_wait_loadcnt 0x0
	global_load_b32 v12, v[14:15], off
	v_mov_b32_e32 v13, 0
	s_mov_b32 s40, 0
	s_branch .LBB95_964
.LBB95_962:
	s_mov_b32 s40, -1
                                        ; implicit-def: $vgpr12_vgpr13
	s_branch .LBB95_967
.LBB95_963:
	s_mov_b32 s40, -1
                                        ; implicit-def: $vgpr12_vgpr13
.LBB95_964:
	s_delay_alu instid0(SALU_CYCLE_1)
	s_and_not1_b32 vcc_lo, exec_lo, s40
	s_cbranch_vccnz .LBB95_966
; %bb.965:
	global_load_u16 v1, v[14:15], off
	s_mov_b32 s20, 0
	s_wait_loadcnt 0x1
	v_mov_b32_e32 v13, s20
	s_wait_loadcnt 0x0
	v_and_b32_e32 v12, 0xffff, v1
.LBB95_966:
	s_mov_b32 s40, 0
.LBB95_967:
	s_delay_alu instid0(SALU_CYCLE_1)
	s_and_not1_b32 vcc_lo, exec_lo, s40
	s_cbranch_vccnz .LBB95_973
; %bb.968:
	global_load_u8 v1, v[14:15], off
	s_mov_b32 s41, 0
	s_mov_b32 s20, exec_lo
	s_wait_loadcnt 0x0
	v_cmpx_lt_i16_e32 0x7f, v1
	s_xor_b32 s40, exec_lo, s20
	s_cbranch_execz .LBB95_985
; %bb.969:
	v_cmp_ne_u16_e32 vcc_lo, 0x80, v1
	s_and_b32 s41, vcc_lo, exec_lo
	s_and_not1_saveexec_b32 s40, s40
	s_cbranch_execnz .LBB95_986
.LBB95_970:
	s_or_b32 exec_lo, exec_lo, s40
	v_mov_b64_e32 v[12:13], 0
	s_and_saveexec_b32 s40, s41
	s_cbranch_execz .LBB95_972
.LBB95_971:
	v_and_b32_e32 v3, 0xffff, v1
	s_delay_alu instid0(VALU_DEP_1) | instskip(SKIP_1) | instid1(VALU_DEP_2)
	v_dual_lshlrev_b32 v1, 24, v1 :: v_dual_bitop2_b32 v7, 7, v3 bitop3:0x40
	v_bfe_u32 v13, v3, 3, 4
	v_and_b32_e32 v1, 0x80000000, v1
	s_delay_alu instid0(VALU_DEP_3) | instskip(NEXT) | instid1(VALU_DEP_3)
	v_clz_i32_u32_e32 v11, v7
	v_cmp_eq_u32_e32 vcc_lo, 0, v13
	s_delay_alu instid0(VALU_DEP_2) | instskip(NEXT) | instid1(VALU_DEP_1)
	v_min_u32_e32 v11, 32, v11
	v_subrev_nc_u32_e32 v12, 28, v11
	v_sub_nc_u32_e32 v11, 29, v11
	s_delay_alu instid0(VALU_DEP_2) | instskip(NEXT) | instid1(VALU_DEP_2)
	v_lshlrev_b32_e32 v3, v12, v3
	v_cndmask_b32_e32 v11, v13, v11, vcc_lo
	s_delay_alu instid0(VALU_DEP_2) | instskip(NEXT) | instid1(VALU_DEP_1)
	v_and_b32_e32 v3, 7, v3
	v_cndmask_b32_e32 v3, v7, v3, vcc_lo
	s_delay_alu instid0(VALU_DEP_3) | instskip(NEXT) | instid1(VALU_DEP_2)
	v_lshl_add_u32 v7, v11, 23, 0x3b800000
	v_lshlrev_b32_e32 v3, 20, v3
	s_delay_alu instid0(VALU_DEP_1) | instskip(NEXT) | instid1(VALU_DEP_1)
	v_or3_b32 v1, v1, v7, v3
	v_trunc_f32_e32 v1, v1
	s_delay_alu instid0(VALU_DEP_1) | instskip(SKIP_1) | instid1(VALU_DEP_2)
	v_mul_f32_e64 v3, 0x2f800000, |v1|
	v_ashrrev_i32_e32 v12, 31, v1
	v_floor_f32_e32 v3, v3
	s_delay_alu instid0(VALU_DEP_2) | instskip(NEXT) | instid1(VALU_DEP_2)
	v_mov_b32_e32 v13, v12
	v_fma_f32 v7, 0xcf800000, v3, |v1|
	v_cvt_u32_f32_e32 v1, v3
	s_delay_alu instid0(VALU_DEP_2) | instskip(NEXT) | instid1(VALU_DEP_2)
	v_cvt_u32_f32_e32 v3, v7
	v_xor_b32_e32 v17, v1, v12
	s_delay_alu instid0(VALU_DEP_2) | instskip(NEXT) | instid1(VALU_DEP_1)
	v_xor_b32_e32 v16, v3, v12
	v_sub_nc_u64_e32 v[12:13], v[16:17], v[12:13]
.LBB95_972:
	s_or_b32 exec_lo, exec_lo, s40
.LBB95_973:
	s_mov_b32 s40, -1
.LBB95_974:
	s_mov_b32 s41, 0
.LBB95_975:
	s_delay_alu instid0(SALU_CYCLE_1)
	s_and_b32 vcc_lo, exec_lo, s41
	s_cbranch_vccz .LBB95_1008
; %bb.976:
	s_cmp_gt_i32 s35, 22
	s_cbranch_scc0 .LBB95_984
; %bb.977:
	s_cmp_lt_i32 s35, 24
	s_cbranch_scc1 .LBB95_987
; %bb.978:
	s_cmp_gt_i32 s35, 24
	s_cbranch_scc0 .LBB95_988
; %bb.979:
	global_load_u8 v1, v[14:15], off
	s_mov_b32 s41, 0
	s_mov_b32 s20, exec_lo
	s_wait_loadcnt 0x0
	v_cmpx_lt_i16_e32 0x7f, v1
	s_xor_b32 s40, exec_lo, s20
	s_cbranch_execz .LBB95_1000
; %bb.980:
	v_cmp_ne_u16_e32 vcc_lo, 0x80, v1
	s_and_b32 s41, vcc_lo, exec_lo
	s_and_not1_saveexec_b32 s40, s40
	s_cbranch_execnz .LBB95_1001
.LBB95_981:
	s_or_b32 exec_lo, exec_lo, s40
	v_mov_b64_e32 v[12:13], 0
	s_and_saveexec_b32 s40, s41
	s_cbranch_execz .LBB95_983
.LBB95_982:
	v_and_b32_e32 v3, 0xffff, v1
	s_delay_alu instid0(VALU_DEP_1) | instskip(SKIP_1) | instid1(VALU_DEP_2)
	v_dual_lshlrev_b32 v1, 24, v1 :: v_dual_bitop2_b32 v7, 3, v3 bitop3:0x40
	v_bfe_u32 v13, v3, 2, 5
	v_and_b32_e32 v1, 0x80000000, v1
	s_delay_alu instid0(VALU_DEP_3) | instskip(NEXT) | instid1(VALU_DEP_3)
	v_clz_i32_u32_e32 v11, v7
	v_cmp_eq_u32_e32 vcc_lo, 0, v13
	s_delay_alu instid0(VALU_DEP_2) | instskip(NEXT) | instid1(VALU_DEP_1)
	v_min_u32_e32 v11, 32, v11
	v_subrev_nc_u32_e32 v12, 29, v11
	v_sub_nc_u32_e32 v11, 30, v11
	s_delay_alu instid0(VALU_DEP_2) | instskip(NEXT) | instid1(VALU_DEP_2)
	v_lshlrev_b32_e32 v3, v12, v3
	v_cndmask_b32_e32 v11, v13, v11, vcc_lo
	s_delay_alu instid0(VALU_DEP_2) | instskip(NEXT) | instid1(VALU_DEP_1)
	v_and_b32_e32 v3, 3, v3
	v_cndmask_b32_e32 v3, v7, v3, vcc_lo
	s_delay_alu instid0(VALU_DEP_3) | instskip(NEXT) | instid1(VALU_DEP_2)
	v_lshl_add_u32 v7, v11, 23, 0x37800000
	v_lshlrev_b32_e32 v3, 21, v3
	s_delay_alu instid0(VALU_DEP_1) | instskip(NEXT) | instid1(VALU_DEP_1)
	v_or3_b32 v1, v1, v7, v3
	v_trunc_f32_e32 v1, v1
	s_delay_alu instid0(VALU_DEP_1) | instskip(SKIP_1) | instid1(VALU_DEP_2)
	v_mul_f32_e64 v3, 0x2f800000, |v1|
	v_ashrrev_i32_e32 v12, 31, v1
	v_floor_f32_e32 v3, v3
	s_delay_alu instid0(VALU_DEP_2) | instskip(NEXT) | instid1(VALU_DEP_2)
	v_mov_b32_e32 v13, v12
	v_fma_f32 v7, 0xcf800000, v3, |v1|
	v_cvt_u32_f32_e32 v1, v3
	s_delay_alu instid0(VALU_DEP_2) | instskip(NEXT) | instid1(VALU_DEP_2)
	v_cvt_u32_f32_e32 v3, v7
	v_xor_b32_e32 v17, v1, v12
	s_delay_alu instid0(VALU_DEP_2) | instskip(NEXT) | instid1(VALU_DEP_1)
	v_xor_b32_e32 v16, v3, v12
	v_sub_nc_u64_e32 v[12:13], v[16:17], v[12:13]
.LBB95_983:
	s_or_b32 exec_lo, exec_lo, s40
	s_mov_b32 s40, 0
	s_branch .LBB95_989
.LBB95_984:
	s_mov_b32 s41, -1
                                        ; implicit-def: $vgpr12_vgpr13
	s_branch .LBB95_995
.LBB95_985:
	s_and_not1_saveexec_b32 s40, s40
	s_cbranch_execz .LBB95_970
.LBB95_986:
	v_cmp_ne_u16_e32 vcc_lo, 0, v1
	s_and_not1_b32 s20, s41, exec_lo
	s_and_b32 s21, vcc_lo, exec_lo
	s_delay_alu instid0(SALU_CYCLE_1)
	s_or_b32 s41, s20, s21
	s_or_b32 exec_lo, exec_lo, s40
	v_mov_b64_e32 v[12:13], 0
	s_and_saveexec_b32 s40, s41
	s_cbranch_execnz .LBB95_971
	s_branch .LBB95_972
.LBB95_987:
	s_mov_b32 s40, -1
                                        ; implicit-def: $vgpr12_vgpr13
	s_branch .LBB95_992
.LBB95_988:
	s_mov_b32 s40, -1
                                        ; implicit-def: $vgpr12_vgpr13
.LBB95_989:
	s_delay_alu instid0(SALU_CYCLE_1)
	s_and_b32 vcc_lo, exec_lo, s40
	s_cbranch_vccz .LBB95_991
; %bb.990:
	global_load_u8 v1, v[14:15], off
	s_wait_loadcnt 0x0
	v_lshlrev_b32_e32 v1, 24, v1
	s_delay_alu instid0(VALU_DEP_1) | instskip(NEXT) | instid1(VALU_DEP_1)
	v_and_b32_e32 v3, 0x7f000000, v1
	v_clz_i32_u32_e32 v7, v3
	v_add_nc_u32_e32 v12, 0x1000000, v3
	v_cmp_ne_u32_e32 vcc_lo, 0, v3
	s_delay_alu instid0(VALU_DEP_3) | instskip(NEXT) | instid1(VALU_DEP_1)
	v_min_u32_e32 v7, 32, v7
	v_sub_nc_u32_e64 v7, v7, 4 clamp
	s_delay_alu instid0(VALU_DEP_1) | instskip(SKIP_1) | instid1(VALU_DEP_2)
	v_lshlrev_b32_e32 v11, v7, v3
	v_lshlrev_b32_e32 v7, 23, v7
	v_lshrrev_b32_e32 v11, 4, v11
	s_delay_alu instid0(VALU_DEP_1) | instskip(NEXT) | instid1(VALU_DEP_1)
	v_dual_sub_nc_u32 v7, v11, v7 :: v_dual_ashrrev_i32 v11, 8, v12
	v_add_nc_u32_e32 v7, 0x3c000000, v7
	s_delay_alu instid0(VALU_DEP_1) | instskip(NEXT) | instid1(VALU_DEP_1)
	v_and_or_b32 v7, 0x7f800000, v11, v7
	v_cndmask_b32_e32 v3, 0, v7, vcc_lo
	s_delay_alu instid0(VALU_DEP_1) | instskip(NEXT) | instid1(VALU_DEP_1)
	v_and_or_b32 v1, 0x80000000, v1, v3
	v_trunc_f32_e32 v1, v1
	s_delay_alu instid0(VALU_DEP_1) | instskip(SKIP_1) | instid1(VALU_DEP_2)
	v_mul_f32_e64 v3, 0x2f800000, |v1|
	v_ashrrev_i32_e32 v12, 31, v1
	v_floor_f32_e32 v3, v3
	s_delay_alu instid0(VALU_DEP_2) | instskip(NEXT) | instid1(VALU_DEP_2)
	v_mov_b32_e32 v13, v12
	v_fma_f32 v7, 0xcf800000, v3, |v1|
	v_cvt_u32_f32_e32 v1, v3
	s_delay_alu instid0(VALU_DEP_2) | instskip(NEXT) | instid1(VALU_DEP_2)
	v_cvt_u32_f32_e32 v3, v7
	v_xor_b32_e32 v17, v1, v12
	s_delay_alu instid0(VALU_DEP_2) | instskip(NEXT) | instid1(VALU_DEP_1)
	v_xor_b32_e32 v16, v3, v12
	v_sub_nc_u64_e32 v[12:13], v[16:17], v[12:13]
.LBB95_991:
	s_mov_b32 s40, 0
.LBB95_992:
	s_delay_alu instid0(SALU_CYCLE_1)
	s_and_not1_b32 vcc_lo, exec_lo, s40
	s_cbranch_vccnz .LBB95_994
; %bb.993:
	global_load_u8 v1, v[14:15], off
	s_wait_loadcnt 0x0
	v_lshlrev_b32_e32 v3, 25, v1
	v_lshlrev_b16 v1, 8, v1
	s_delay_alu instid0(VALU_DEP_1) | instskip(SKIP_1) | instid1(VALU_DEP_2)
	v_and_or_b32 v11, 0x7f00, v1, 0.5
	v_bfe_i32 v1, v1, 0, 16
	v_add_f32_e32 v11, -0.5, v11
	v_lshrrev_b32_e32 v7, 4, v3
	v_cmp_gt_u32_e32 vcc_lo, 0x8000000, v3
	s_delay_alu instid0(VALU_DEP_2) | instskip(NEXT) | instid1(VALU_DEP_1)
	v_or_b32_e32 v7, 0x70000000, v7
	v_mul_f32_e32 v7, 0x7800000, v7
	s_delay_alu instid0(VALU_DEP_1) | instskip(NEXT) | instid1(VALU_DEP_1)
	v_cndmask_b32_e32 v3, v7, v11, vcc_lo
	v_and_or_b32 v1, 0x80000000, v1, v3
	s_delay_alu instid0(VALU_DEP_1) | instskip(NEXT) | instid1(VALU_DEP_1)
	v_trunc_f32_e32 v1, v1
	v_mul_f32_e64 v3, 0x2f800000, |v1|
	v_ashrrev_i32_e32 v12, 31, v1
	s_delay_alu instid0(VALU_DEP_2) | instskip(NEXT) | instid1(VALU_DEP_2)
	v_floor_f32_e32 v3, v3
	v_mov_b32_e32 v13, v12
	s_delay_alu instid0(VALU_DEP_2) | instskip(SKIP_1) | instid1(VALU_DEP_2)
	v_fma_f32 v7, 0xcf800000, v3, |v1|
	v_cvt_u32_f32_e32 v1, v3
	v_cvt_u32_f32_e32 v3, v7
	s_delay_alu instid0(VALU_DEP_2) | instskip(NEXT) | instid1(VALU_DEP_2)
	v_xor_b32_e32 v17, v1, v12
	v_xor_b32_e32 v16, v3, v12
	s_delay_alu instid0(VALU_DEP_1)
	v_sub_nc_u64_e32 v[12:13], v[16:17], v[12:13]
.LBB95_994:
	s_mov_b32 s41, 0
	s_mov_b32 s40, -1
.LBB95_995:
	s_and_not1_b32 vcc_lo, exec_lo, s41
	s_cbranch_vccnz .LBB95_1008
; %bb.996:
	s_cmp_gt_i32 s35, 14
	s_cbranch_scc0 .LBB95_999
; %bb.997:
	s_cmp_eq_u32 s35, 15
	s_cbranch_scc0 .LBB95_1002
; %bb.998:
	global_load_u16 v1, v[14:15], off
	s_mov_b32 s40, -1
	s_mov_b32 s89, 0
	s_wait_loadcnt 0x0
	v_lshlrev_b32_e32 v1, 16, v1
	s_delay_alu instid0(VALU_DEP_1) | instskip(NEXT) | instid1(VALU_DEP_1)
	v_trunc_f32_e32 v1, v1
	v_mul_f32_e64 v3, 0x2f800000, |v1|
	v_ashrrev_i32_e32 v12, 31, v1
	s_delay_alu instid0(VALU_DEP_2) | instskip(NEXT) | instid1(VALU_DEP_2)
	v_floor_f32_e32 v3, v3
	v_mov_b32_e32 v13, v12
	s_delay_alu instid0(VALU_DEP_2) | instskip(SKIP_1) | instid1(VALU_DEP_2)
	v_fma_f32 v7, 0xcf800000, v3, |v1|
	v_cvt_u32_f32_e32 v1, v3
	v_cvt_u32_f32_e32 v3, v7
	s_delay_alu instid0(VALU_DEP_2) | instskip(NEXT) | instid1(VALU_DEP_2)
	v_xor_b32_e32 v17, v1, v12
	v_xor_b32_e32 v16, v3, v12
	s_delay_alu instid0(VALU_DEP_1)
	v_sub_nc_u64_e32 v[12:13], v[16:17], v[12:13]
	s_branch .LBB95_1003
.LBB95_999:
	s_mov_b32 s41, -1
                                        ; implicit-def: $vgpr12_vgpr13
	s_branch .LBB95_1004
.LBB95_1000:
	s_and_not1_saveexec_b32 s40, s40
	s_cbranch_execz .LBB95_981
.LBB95_1001:
	v_cmp_ne_u16_e32 vcc_lo, 0, v1
	s_and_not1_b32 s20, s41, exec_lo
	s_and_b32 s21, vcc_lo, exec_lo
	s_delay_alu instid0(SALU_CYCLE_1)
	s_or_b32 s41, s20, s21
	s_or_b32 exec_lo, exec_lo, s40
	v_mov_b64_e32 v[12:13], 0
	s_and_saveexec_b32 s40, s41
	s_cbranch_execnz .LBB95_982
	s_branch .LBB95_983
.LBB95_1002:
	s_mov_b32 s89, -1
                                        ; implicit-def: $vgpr12_vgpr13
.LBB95_1003:
	s_mov_b32 s41, 0
.LBB95_1004:
	s_delay_alu instid0(SALU_CYCLE_1)
	s_and_b32 vcc_lo, exec_lo, s41
	s_cbranch_vccz .LBB95_1008
; %bb.1005:
	s_cmp_eq_u32 s35, 11
	s_cbranch_scc0 .LBB95_1007
; %bb.1006:
	global_load_u8 v1, v[14:15], off
	s_mov_b32 s89, 0
	s_mov_b32 s40, -1
	s_wait_loadcnt 0x1
	v_mov_b32_e32 v13, s89
	s_wait_loadcnt 0x0
	v_cmp_ne_u16_e32 vcc_lo, 0, v1
	v_cndmask_b32_e64 v12, 0, 1, vcc_lo
	s_branch .LBB95_1008
.LBB95_1007:
	s_mov_b32 s89, -1
                                        ; implicit-def: $vgpr12_vgpr13
.LBB95_1008:
	s_mov_b32 s35, 0
.LBB95_1009:
	s_delay_alu instid0(SALU_CYCLE_1)
	s_and_b32 vcc_lo, exec_lo, s35
	s_cbranch_vccz .LBB95_1058
; %bb.1010:
	s_and_b32 s0, 0xffff, s0
	s_delay_alu instid0(SALU_CYCLE_1)
	s_cmp_lt_i32 s0, 5
	s_cbranch_scc1 .LBB95_1015
; %bb.1011:
	s_cmp_lt_i32 s0, 8
	s_cbranch_scc1 .LBB95_1016
; %bb.1012:
	;; [unrolled: 3-line block ×3, first 2 shown]
	s_cmp_gt_i32 s0, 9
	s_cbranch_scc0 .LBB95_1018
; %bb.1014:
	s_wait_loadcnt 0x0
	global_load_b64 v[12:13], v[14:15], off
	s_mov_b32 s35, 0
	s_wait_loadcnt 0x0
	v_trunc_f64_e32 v[12:13], v[12:13]
	s_delay_alu instid0(VALU_DEP_1) | instskip(NEXT) | instid1(VALU_DEP_1)
	v_ldexp_f64 v[16:17], v[12:13], 0xffffffe0
	v_floor_f64_e32 v[16:17], v[16:17]
	s_delay_alu instid0(VALU_DEP_1) | instskip(SKIP_1) | instid1(VALU_DEP_2)
	v_fmamk_f64 v[18:19], v[16:17], 0xc1f00000, v[12:13]
	v_cvt_i32_f64_e32 v13, v[16:17]
	v_cvt_u32_f64_e32 v12, v[18:19]
	s_branch .LBB95_1019
.LBB95_1015:
	s_mov_b32 s35, -1
                                        ; implicit-def: $vgpr12_vgpr13
	s_branch .LBB95_1037
.LBB95_1016:
	s_mov_b32 s35, -1
                                        ; implicit-def: $vgpr12_vgpr13
	s_branch .LBB95_1025
.LBB95_1017:
	s_mov_b32 s35, -1
                                        ; implicit-def: $vgpr12_vgpr13
	s_branch .LBB95_1022
.LBB95_1018:
	s_mov_b32 s35, -1
                                        ; implicit-def: $vgpr12_vgpr13
.LBB95_1019:
	s_delay_alu instid0(SALU_CYCLE_1)
	s_and_not1_b32 vcc_lo, exec_lo, s35
	s_cbranch_vccnz .LBB95_1021
; %bb.1020:
	global_load_b32 v1, v[14:15], off
	s_wait_loadcnt 0x0
	v_trunc_f32_e32 v1, v1
	s_delay_alu instid0(VALU_DEP_1) | instskip(SKIP_1) | instid1(VALU_DEP_2)
	v_mul_f32_e64 v3, 0x2f800000, |v1|
	v_ashrrev_i32_e32 v12, 31, v1
	v_floor_f32_e32 v3, v3
	s_delay_alu instid0(VALU_DEP_1) | instskip(SKIP_1) | instid1(VALU_DEP_4)
	v_fma_f32 v7, 0xcf800000, v3, |v1|
	v_cvt_u32_f32_e32 v1, v3
	v_mov_b32_e32 v13, v12
	s_delay_alu instid0(VALU_DEP_3) | instskip(NEXT) | instid1(VALU_DEP_3)
	v_cvt_u32_f32_e32 v3, v7
	v_xor_b32_e32 v17, v1, v12
	s_delay_alu instid0(VALU_DEP_2) | instskip(NEXT) | instid1(VALU_DEP_1)
	v_xor_b32_e32 v16, v3, v12
	v_sub_nc_u64_e32 v[12:13], v[16:17], v[12:13]
.LBB95_1021:
	s_mov_b32 s35, 0
.LBB95_1022:
	s_delay_alu instid0(SALU_CYCLE_1)
	s_and_not1_b32 vcc_lo, exec_lo, s35
	s_cbranch_vccnz .LBB95_1024
; %bb.1023:
	global_load_b32 v1, v[14:15], off
	s_wait_loadcnt 0x0
	v_cvt_f32_f16_e32 v1, v1
	s_delay_alu instid0(VALU_DEP_1) | instskip(NEXT) | instid1(VALU_DEP_1)
	v_cvt_i32_f32_e32 v12, v1
	v_ashrrev_i32_e32 v13, 31, v12
.LBB95_1024:
	s_mov_b32 s35, 0
.LBB95_1025:
	s_delay_alu instid0(SALU_CYCLE_1)
	s_and_not1_b32 vcc_lo, exec_lo, s35
	s_cbranch_vccnz .LBB95_1036
; %bb.1026:
	s_cmp_lt_i32 s0, 6
	s_cbranch_scc1 .LBB95_1029
; %bb.1027:
	s_cmp_gt_i32 s0, 6
	s_cbranch_scc0 .LBB95_1030
; %bb.1028:
	s_wait_loadcnt 0x0
	global_load_b64 v[12:13], v[14:15], off
	s_mov_b32 s35, 0
	s_wait_loadcnt 0x0
	v_trunc_f64_e32 v[12:13], v[12:13]
	s_delay_alu instid0(VALU_DEP_1) | instskip(NEXT) | instid1(VALU_DEP_1)
	v_ldexp_f64 v[16:17], v[12:13], 0xffffffe0
	v_floor_f64_e32 v[16:17], v[16:17]
	s_delay_alu instid0(VALU_DEP_1) | instskip(SKIP_1) | instid1(VALU_DEP_2)
	v_fmamk_f64 v[18:19], v[16:17], 0xc1f00000, v[12:13]
	v_cvt_i32_f64_e32 v13, v[16:17]
	v_cvt_u32_f64_e32 v12, v[18:19]
	s_branch .LBB95_1031
.LBB95_1029:
	s_mov_b32 s35, -1
                                        ; implicit-def: $vgpr12_vgpr13
	s_branch .LBB95_1034
.LBB95_1030:
	s_mov_b32 s35, -1
                                        ; implicit-def: $vgpr12_vgpr13
.LBB95_1031:
	s_delay_alu instid0(SALU_CYCLE_1)
	s_and_not1_b32 vcc_lo, exec_lo, s35
	s_cbranch_vccnz .LBB95_1033
; %bb.1032:
	global_load_b32 v1, v[14:15], off
	s_wait_loadcnt 0x0
	v_trunc_f32_e32 v1, v1
	s_delay_alu instid0(VALU_DEP_1) | instskip(SKIP_1) | instid1(VALU_DEP_2)
	v_mul_f32_e64 v3, 0x2f800000, |v1|
	v_ashrrev_i32_e32 v12, 31, v1
	v_floor_f32_e32 v3, v3
	s_delay_alu instid0(VALU_DEP_1) | instskip(SKIP_1) | instid1(VALU_DEP_4)
	v_fma_f32 v7, 0xcf800000, v3, |v1|
	v_cvt_u32_f32_e32 v1, v3
	v_mov_b32_e32 v13, v12
	s_delay_alu instid0(VALU_DEP_3) | instskip(NEXT) | instid1(VALU_DEP_3)
	v_cvt_u32_f32_e32 v3, v7
	v_xor_b32_e32 v17, v1, v12
	s_delay_alu instid0(VALU_DEP_2) | instskip(NEXT) | instid1(VALU_DEP_1)
	v_xor_b32_e32 v16, v3, v12
	v_sub_nc_u64_e32 v[12:13], v[16:17], v[12:13]
.LBB95_1033:
	s_mov_b32 s35, 0
.LBB95_1034:
	s_delay_alu instid0(SALU_CYCLE_1)
	s_and_not1_b32 vcc_lo, exec_lo, s35
	s_cbranch_vccnz .LBB95_1036
; %bb.1035:
	global_load_u16 v1, v[14:15], off
	s_wait_loadcnt 0x0
	v_cvt_f32_f16_e32 v1, v1
	s_delay_alu instid0(VALU_DEP_1) | instskip(NEXT) | instid1(VALU_DEP_1)
	v_cvt_i32_f32_e32 v12, v1
	v_ashrrev_i32_e32 v13, 31, v12
.LBB95_1036:
	s_mov_b32 s35, 0
.LBB95_1037:
	s_delay_alu instid0(SALU_CYCLE_1)
	s_and_not1_b32 vcc_lo, exec_lo, s35
	s_cbranch_vccnz .LBB95_1057
; %bb.1038:
	s_cmp_lt_i32 s0, 2
	s_cbranch_scc1 .LBB95_1042
; %bb.1039:
	s_cmp_lt_i32 s0, 3
	s_cbranch_scc1 .LBB95_1043
; %bb.1040:
	s_cmp_gt_i32 s0, 3
	s_cbranch_scc0 .LBB95_1044
; %bb.1041:
	s_wait_loadcnt 0x0
	global_load_b64 v[12:13], v[14:15], off
	s_mov_b32 s35, 0
	s_branch .LBB95_1045
.LBB95_1042:
	s_mov_b32 s35, -1
                                        ; implicit-def: $vgpr12_vgpr13
	s_branch .LBB95_1051
.LBB95_1043:
	s_mov_b32 s35, -1
                                        ; implicit-def: $vgpr12_vgpr13
	s_branch .LBB95_1048
.LBB95_1044:
	s_mov_b32 s35, -1
                                        ; implicit-def: $vgpr12_vgpr13
.LBB95_1045:
	s_delay_alu instid0(SALU_CYCLE_1)
	s_and_not1_b32 vcc_lo, exec_lo, s35
	s_cbranch_vccnz .LBB95_1047
; %bb.1046:
	s_wait_loadcnt 0x0
	global_load_b32 v12, v[14:15], off
	s_wait_loadcnt 0x0
	v_ashrrev_i32_e32 v13, 31, v12
.LBB95_1047:
	s_mov_b32 s35, 0
.LBB95_1048:
	s_delay_alu instid0(SALU_CYCLE_1)
	s_and_not1_b32 vcc_lo, exec_lo, s35
	s_cbranch_vccnz .LBB95_1050
; %bb.1049:
	global_load_u16 v1, v[14:15], off
	s_wait_loadcnt 0x0
	v_bfe_i32 v12, v1, 0, 16
	s_delay_alu instid0(VALU_DEP_1)
	v_ashrrev_i32_e32 v13, 31, v12
.LBB95_1050:
	s_mov_b32 s35, 0
.LBB95_1051:
	s_delay_alu instid0(SALU_CYCLE_1)
	s_and_not1_b32 vcc_lo, exec_lo, s35
	s_cbranch_vccnz .LBB95_1057
; %bb.1052:
	s_cmp_gt_i32 s0, 0
	s_mov_b32 s0, 0
	s_cbranch_scc0 .LBB95_1054
; %bb.1053:
	global_load_i8 v1, v[14:15], off
	s_wait_loadcnt 0x0
	v_bfe_i32 v12, v1, 0, 16
	s_delay_alu instid0(VALU_DEP_1)
	v_ashrrev_i32_e32 v13, 31, v12
	s_branch .LBB95_1055
.LBB95_1054:
	s_mov_b32 s0, -1
                                        ; implicit-def: $vgpr12_vgpr13
.LBB95_1055:
	s_delay_alu instid0(SALU_CYCLE_1)
	s_and_not1_b32 vcc_lo, exec_lo, s0
	s_cbranch_vccnz .LBB95_1057
; %bb.1056:
	global_load_u8 v1, v[14:15], off
	s_mov_b32 s0, 0
	s_wait_loadcnt 0x1
	v_mov_b32_e32 v13, s0
	s_wait_loadcnt 0x0
	v_and_b32_e32 v12, 0xffff, v1
.LBB95_1057:
	s_mov_b32 s40, -1
.LBB95_1058:
	s_delay_alu instid0(SALU_CYCLE_1)
	s_and_not1_b32 vcc_lo, exec_lo, s40
	s_cbranch_vccnz .LBB95_1066
; %bb.1059:
	s_load_b512 s[4:19], s[2:3], 0x248
	v_mov_b32_e32 v11, 0
	s_and_b32 s0, s75, 0xff
	s_delay_alu instid0(SALU_CYCLE_1) | instskip(SKIP_1) | instid1(VALU_DEP_1)
	s_cmp_lt_i32 s0, 11
	s_wait_kmcnt 0x0
	v_add_nc_u64_e32 v[14:15], s[12:13], v[10:11]
	s_cbranch_scc1 .LBB95_1067
; %bb.1060:
	s_and_b32 s35, 0xffff, s0
	s_delay_alu instid0(SALU_CYCLE_1)
	s_cmp_gt_i32 s35, 25
	s_cbranch_scc0 .LBB95_1068
; %bb.1061:
	s_cmp_gt_i32 s35, 28
	s_cbranch_scc0 .LBB95_1069
; %bb.1062:
	;; [unrolled: 3-line block ×4, first 2 shown]
	s_cmp_eq_u32 s35, 46
	s_mov_b32 s41, 0
	s_cbranch_scc0 .LBB95_1073
; %bb.1065:
	global_load_b32 v1, v[14:15], off
	s_mov_b32 s40, -1
	s_mov_b32 s92, 0
	s_wait_loadcnt 0x0
	v_lshlrev_b32_e32 v1, 16, v1
	s_delay_alu instid0(VALU_DEP_1) | instskip(NEXT) | instid1(VALU_DEP_1)
	v_trunc_f32_e32 v1, v1
	v_mul_f32_e64 v3, 0x2f800000, |v1|
	v_ashrrev_i32_e32 v10, 31, v1
	s_delay_alu instid0(VALU_DEP_2) | instskip(NEXT) | instid1(VALU_DEP_2)
	v_floor_f32_e32 v3, v3
	v_mov_b32_e32 v11, v10
	s_delay_alu instid0(VALU_DEP_2) | instskip(SKIP_1) | instid1(VALU_DEP_2)
	v_fma_f32 v7, 0xcf800000, v3, |v1|
	v_cvt_u32_f32_e32 v1, v3
	v_cvt_u32_f32_e32 v3, v7
	s_delay_alu instid0(VALU_DEP_2) | instskip(NEXT) | instid1(VALU_DEP_2)
	v_xor_b32_e32 v17, v1, v10
	v_xor_b32_e32 v16, v3, v10
	s_delay_alu instid0(VALU_DEP_1)
	v_sub_nc_u64_e32 v[10:11], v[16:17], v[10:11]
	s_branch .LBB95_1075
.LBB95_1066:
	s_mov_b32 s0, 0
	s_mov_b32 s35, s64
	;; [unrolled: 1-line block ×8, first 2 shown]
	s_branch .LBB95_1324
.LBB95_1067:
	s_mov_b32 s35, -1
	s_mov_b32 s40, 0
	s_mov_b32 s92, s83
                                        ; implicit-def: $vgpr10_vgpr11
	s_branch .LBB95_1136
.LBB95_1068:
	s_mov_b32 s41, -1
	s_mov_b32 s40, 0
	s_mov_b32 s92, s83
                                        ; implicit-def: $vgpr10_vgpr11
	s_branch .LBB95_1102
.LBB95_1069:
	s_mov_b32 s41, -1
	s_mov_b32 s40, 0
	s_mov_b32 s92, s83
                                        ; implicit-def: $vgpr10_vgpr11
	s_branch .LBB95_1085
.LBB95_1070:
	s_mov_b32 s41, -1
	s_mov_b32 s40, 0
	s_mov_b32 s92, s83
                                        ; implicit-def: $vgpr10_vgpr11
	s_branch .LBB95_1080
.LBB95_1071:
	s_mov_b32 s41, -1
	s_mov_b32 s40, 0
	s_mov_b32 s92, s83
	s_branch .LBB95_1074
.LBB95_1072:
	s_mov_b32 s56, -1
	s_mov_b32 s42, 0
	s_mov_b32 s55, 0
	s_branch .LBB95_1883
.LBB95_1073:
	s_mov_b32 s92, -1
	s_mov_b32 s40, 0
.LBB95_1074:
                                        ; implicit-def: $vgpr10_vgpr11
.LBB95_1075:
	s_and_b32 vcc_lo, exec_lo, s41
	s_cbranch_vccz .LBB95_1079
; %bb.1076:
	s_cmp_eq_u32 s35, 44
	s_cbranch_scc0 .LBB95_1078
; %bb.1077:
	global_load_u8 v1, v[14:15], off
	s_mov_b32 s92, 0
	s_mov_b32 s40, -1
	s_wait_loadcnt 0x0
	v_lshlrev_b32_e32 v3, 23, v1
	v_cmp_ne_u32_e32 vcc_lo, 0, v1
	s_delay_alu instid0(VALU_DEP_2) | instskip(NEXT) | instid1(VALU_DEP_1)
	v_trunc_f32_e32 v3, v3
	v_mul_f32_e64 v7, 0x2f800000, |v3|
	v_ashrrev_i32_e32 v10, 31, v3
	s_delay_alu instid0(VALU_DEP_2) | instskip(NEXT) | instid1(VALU_DEP_1)
	v_floor_f32_e32 v7, v7
	v_fma_f32 v11, 0xcf800000, v7, |v3|
	v_cvt_u32_f32_e32 v3, v7
	s_delay_alu instid0(VALU_DEP_2) | instskip(NEXT) | instid1(VALU_DEP_2)
	v_cvt_u32_f32_e32 v7, v11
	v_dual_mov_b32 v11, v10 :: v_dual_bitop2_b32 v17, v3, v10 bitop3:0x14
	s_delay_alu instid0(VALU_DEP_2) | instskip(NEXT) | instid1(VALU_DEP_1)
	v_xor_b32_e32 v16, v7, v10
	v_sub_nc_u64_e32 v[10:11], v[16:17], v[10:11]
	s_delay_alu instid0(VALU_DEP_1)
	v_dual_cndmask_b32 v11, 0, v11 :: v_dual_cndmask_b32 v10, 0, v10
	s_branch .LBB95_1079
.LBB95_1078:
	s_mov_b32 s92, -1
                                        ; implicit-def: $vgpr10_vgpr11
.LBB95_1079:
	s_mov_b32 s41, 0
.LBB95_1080:
	s_delay_alu instid0(SALU_CYCLE_1)
	s_and_b32 vcc_lo, exec_lo, s41
	s_cbranch_vccz .LBB95_1084
; %bb.1081:
	s_cmp_eq_u32 s35, 29
	s_cbranch_scc0 .LBB95_1083
; %bb.1082:
	global_load_b64 v[10:11], v[14:15], off
	s_mov_b32 s40, -1
	s_mov_b32 s92, 0
	s_branch .LBB95_1084
.LBB95_1083:
	s_mov_b32 s92, -1
                                        ; implicit-def: $vgpr10_vgpr11
.LBB95_1084:
	s_mov_b32 s41, 0
.LBB95_1085:
	s_delay_alu instid0(SALU_CYCLE_1)
	s_and_b32 vcc_lo, exec_lo, s41
	s_cbranch_vccz .LBB95_1101
; %bb.1086:
	s_cmp_lt_i32 s35, 27
	s_cbranch_scc1 .LBB95_1089
; %bb.1087:
	s_cmp_gt_i32 s35, 27
	s_cbranch_scc0 .LBB95_1090
; %bb.1088:
	s_wait_loadcnt 0x0
	global_load_b32 v10, v[14:15], off
	v_mov_b32_e32 v11, 0
	s_mov_b32 s40, 0
	s_branch .LBB95_1091
.LBB95_1089:
	s_mov_b32 s40, -1
                                        ; implicit-def: $vgpr10_vgpr11
	s_branch .LBB95_1094
.LBB95_1090:
	s_mov_b32 s40, -1
                                        ; implicit-def: $vgpr10_vgpr11
.LBB95_1091:
	s_delay_alu instid0(SALU_CYCLE_1)
	s_and_not1_b32 vcc_lo, exec_lo, s40
	s_cbranch_vccnz .LBB95_1093
; %bb.1092:
	global_load_u16 v1, v[14:15], off
	s_mov_b32 s20, 0
	s_wait_loadcnt 0x1
	v_mov_b32_e32 v11, s20
	s_wait_loadcnt 0x0
	v_and_b32_e32 v10, 0xffff, v1
.LBB95_1093:
	s_mov_b32 s40, 0
.LBB95_1094:
	s_delay_alu instid0(SALU_CYCLE_1)
	s_and_not1_b32 vcc_lo, exec_lo, s40
	s_cbranch_vccnz .LBB95_1100
; %bb.1095:
	global_load_u8 v1, v[14:15], off
	s_mov_b32 s41, 0
	s_mov_b32 s20, exec_lo
	s_wait_loadcnt 0x0
	v_cmpx_lt_i16_e32 0x7f, v1
	s_xor_b32 s40, exec_lo, s20
	s_cbranch_execz .LBB95_1112
; %bb.1096:
	v_cmp_ne_u16_e32 vcc_lo, 0x80, v1
	s_and_b32 s41, vcc_lo, exec_lo
	s_and_not1_saveexec_b32 s40, s40
	s_cbranch_execnz .LBB95_1113
.LBB95_1097:
	s_or_b32 exec_lo, exec_lo, s40
	v_mov_b64_e32 v[10:11], 0
	s_and_saveexec_b32 s40, s41
	s_cbranch_execz .LBB95_1099
.LBB95_1098:
	v_and_b32_e32 v3, 0xffff, v1
	s_delay_alu instid0(VALU_DEP_1) | instskip(SKIP_1) | instid1(VALU_DEP_2)
	v_and_b32_e32 v7, 7, v3
	v_bfe_u32 v16, v3, 3, 4
	v_clz_i32_u32_e32 v10, v7
	s_delay_alu instid0(VALU_DEP_2) | instskip(NEXT) | instid1(VALU_DEP_2)
	v_cmp_eq_u32_e32 vcc_lo, 0, v16
	v_min_u32_e32 v10, 32, v10
	s_delay_alu instid0(VALU_DEP_1) | instskip(NEXT) | instid1(VALU_DEP_1)
	v_subrev_nc_u32_e32 v11, 28, v10
	v_dual_lshlrev_b32 v3, v11, v3 :: v_dual_sub_nc_u32 v10, 29, v10
	s_delay_alu instid0(VALU_DEP_1) | instskip(NEXT) | instid1(VALU_DEP_1)
	v_dual_lshlrev_b32 v1, 24, v1 :: v_dual_bitop2_b32 v3, 7, v3 bitop3:0x40
	v_dual_cndmask_b32 v10, v16, v10 :: v_dual_cndmask_b32 v3, v7, v3
	s_delay_alu instid0(VALU_DEP_2) | instskip(NEXT) | instid1(VALU_DEP_2)
	v_and_b32_e32 v1, 0x80000000, v1
	v_lshl_add_u32 v7, v10, 23, 0x3b800000
	s_delay_alu instid0(VALU_DEP_3) | instskip(NEXT) | instid1(VALU_DEP_1)
	v_lshlrev_b32_e32 v3, 20, v3
	v_or3_b32 v1, v1, v7, v3
	s_delay_alu instid0(VALU_DEP_1) | instskip(NEXT) | instid1(VALU_DEP_1)
	v_trunc_f32_e32 v1, v1
	v_mul_f32_e64 v3, 0x2f800000, |v1|
	v_ashrrev_i32_e32 v10, 31, v1
	s_delay_alu instid0(VALU_DEP_2) | instskip(NEXT) | instid1(VALU_DEP_2)
	v_floor_f32_e32 v3, v3
	v_mov_b32_e32 v11, v10
	s_delay_alu instid0(VALU_DEP_2) | instskip(SKIP_1) | instid1(VALU_DEP_2)
	v_fma_f32 v7, 0xcf800000, v3, |v1|
	v_cvt_u32_f32_e32 v1, v3
	v_cvt_u32_f32_e32 v3, v7
	s_delay_alu instid0(VALU_DEP_2) | instskip(NEXT) | instid1(VALU_DEP_2)
	v_xor_b32_e32 v17, v1, v10
	v_xor_b32_e32 v16, v3, v10
	s_delay_alu instid0(VALU_DEP_1)
	v_sub_nc_u64_e32 v[10:11], v[16:17], v[10:11]
.LBB95_1099:
	s_or_b32 exec_lo, exec_lo, s40
.LBB95_1100:
	s_mov_b32 s40, -1
.LBB95_1101:
	s_mov_b32 s41, 0
.LBB95_1102:
	s_delay_alu instid0(SALU_CYCLE_1)
	s_and_b32 vcc_lo, exec_lo, s41
	s_cbranch_vccz .LBB95_1135
; %bb.1103:
	s_cmp_gt_i32 s35, 22
	s_cbranch_scc0 .LBB95_1111
; %bb.1104:
	s_cmp_lt_i32 s35, 24
	s_cbranch_scc1 .LBB95_1114
; %bb.1105:
	s_cmp_gt_i32 s35, 24
	s_cbranch_scc0 .LBB95_1115
; %bb.1106:
	global_load_u8 v1, v[14:15], off
	s_mov_b32 s41, 0
	s_mov_b32 s20, exec_lo
	s_wait_loadcnt 0x0
	v_cmpx_lt_i16_e32 0x7f, v1
	s_xor_b32 s40, exec_lo, s20
	s_cbranch_execz .LBB95_1127
; %bb.1107:
	v_cmp_ne_u16_e32 vcc_lo, 0x80, v1
	s_and_b32 s41, vcc_lo, exec_lo
	s_and_not1_saveexec_b32 s40, s40
	s_cbranch_execnz .LBB95_1128
.LBB95_1108:
	s_or_b32 exec_lo, exec_lo, s40
	v_mov_b64_e32 v[10:11], 0
	s_and_saveexec_b32 s40, s41
	s_cbranch_execz .LBB95_1110
.LBB95_1109:
	v_and_b32_e32 v3, 0xffff, v1
	s_delay_alu instid0(VALU_DEP_1) | instskip(SKIP_1) | instid1(VALU_DEP_2)
	v_and_b32_e32 v7, 3, v3
	v_bfe_u32 v16, v3, 2, 5
	v_clz_i32_u32_e32 v10, v7
	s_delay_alu instid0(VALU_DEP_2) | instskip(NEXT) | instid1(VALU_DEP_2)
	v_cmp_eq_u32_e32 vcc_lo, 0, v16
	v_min_u32_e32 v10, 32, v10
	s_delay_alu instid0(VALU_DEP_1) | instskip(NEXT) | instid1(VALU_DEP_1)
	v_subrev_nc_u32_e32 v11, 29, v10
	v_dual_lshlrev_b32 v3, v11, v3 :: v_dual_sub_nc_u32 v10, 30, v10
	s_delay_alu instid0(VALU_DEP_1) | instskip(NEXT) | instid1(VALU_DEP_1)
	v_dual_lshlrev_b32 v1, 24, v1 :: v_dual_bitop2_b32 v3, 3, v3 bitop3:0x40
	v_dual_cndmask_b32 v10, v16, v10 :: v_dual_cndmask_b32 v3, v7, v3
	s_delay_alu instid0(VALU_DEP_2) | instskip(NEXT) | instid1(VALU_DEP_2)
	v_and_b32_e32 v1, 0x80000000, v1
	v_lshl_add_u32 v7, v10, 23, 0x37800000
	s_delay_alu instid0(VALU_DEP_3) | instskip(NEXT) | instid1(VALU_DEP_1)
	v_lshlrev_b32_e32 v3, 21, v3
	v_or3_b32 v1, v1, v7, v3
	s_delay_alu instid0(VALU_DEP_1) | instskip(NEXT) | instid1(VALU_DEP_1)
	v_trunc_f32_e32 v1, v1
	v_mul_f32_e64 v3, 0x2f800000, |v1|
	v_ashrrev_i32_e32 v10, 31, v1
	s_delay_alu instid0(VALU_DEP_2) | instskip(NEXT) | instid1(VALU_DEP_2)
	v_floor_f32_e32 v3, v3
	v_mov_b32_e32 v11, v10
	s_delay_alu instid0(VALU_DEP_2) | instskip(SKIP_1) | instid1(VALU_DEP_2)
	v_fma_f32 v7, 0xcf800000, v3, |v1|
	v_cvt_u32_f32_e32 v1, v3
	v_cvt_u32_f32_e32 v3, v7
	s_delay_alu instid0(VALU_DEP_2) | instskip(NEXT) | instid1(VALU_DEP_2)
	v_xor_b32_e32 v17, v1, v10
	v_xor_b32_e32 v16, v3, v10
	s_delay_alu instid0(VALU_DEP_1)
	v_sub_nc_u64_e32 v[10:11], v[16:17], v[10:11]
.LBB95_1110:
	s_or_b32 exec_lo, exec_lo, s40
	s_mov_b32 s40, 0
	s_branch .LBB95_1116
.LBB95_1111:
	s_mov_b32 s41, -1
                                        ; implicit-def: $vgpr10_vgpr11
	s_branch .LBB95_1122
.LBB95_1112:
	s_and_not1_saveexec_b32 s40, s40
	s_cbranch_execz .LBB95_1097
.LBB95_1113:
	v_cmp_ne_u16_e32 vcc_lo, 0, v1
	s_and_not1_b32 s20, s41, exec_lo
	s_and_b32 s21, vcc_lo, exec_lo
	s_delay_alu instid0(SALU_CYCLE_1)
	s_or_b32 s41, s20, s21
	s_or_b32 exec_lo, exec_lo, s40
	v_mov_b64_e32 v[10:11], 0
	s_and_saveexec_b32 s40, s41
	s_cbranch_execnz .LBB95_1098
	s_branch .LBB95_1099
.LBB95_1114:
	s_mov_b32 s40, -1
                                        ; implicit-def: $vgpr10_vgpr11
	s_branch .LBB95_1119
.LBB95_1115:
	s_mov_b32 s40, -1
                                        ; implicit-def: $vgpr10_vgpr11
.LBB95_1116:
	s_delay_alu instid0(SALU_CYCLE_1)
	s_and_b32 vcc_lo, exec_lo, s40
	s_cbranch_vccz .LBB95_1118
; %bb.1117:
	global_load_u8 v1, v[14:15], off
	s_wait_loadcnt 0x0
	v_lshlrev_b32_e32 v1, 24, v1
	s_delay_alu instid0(VALU_DEP_1) | instskip(NEXT) | instid1(VALU_DEP_1)
	v_and_b32_e32 v3, 0x7f000000, v1
	v_clz_i32_u32_e32 v7, v3
	v_add_nc_u32_e32 v11, 0x1000000, v3
	v_cmp_ne_u32_e32 vcc_lo, 0, v3
	s_delay_alu instid0(VALU_DEP_3) | instskip(NEXT) | instid1(VALU_DEP_1)
	v_min_u32_e32 v7, 32, v7
	v_sub_nc_u32_e64 v7, v7, 4 clamp
	s_delay_alu instid0(VALU_DEP_1) | instskip(NEXT) | instid1(VALU_DEP_1)
	v_lshlrev_b32_e32 v10, v7, v3
	v_dual_lshlrev_b32 v7, 23, v7 :: v_dual_lshrrev_b32 v10, 4, v10
	s_delay_alu instid0(VALU_DEP_1) | instskip(SKIP_1) | instid1(VALU_DEP_2)
	v_sub_nc_u32_e32 v7, v10, v7
	v_ashrrev_i32_e32 v10, 8, v11
	v_add_nc_u32_e32 v7, 0x3c000000, v7
	s_delay_alu instid0(VALU_DEP_1) | instskip(NEXT) | instid1(VALU_DEP_1)
	v_and_or_b32 v7, 0x7f800000, v10, v7
	v_cndmask_b32_e32 v3, 0, v7, vcc_lo
	s_delay_alu instid0(VALU_DEP_1) | instskip(NEXT) | instid1(VALU_DEP_1)
	v_and_or_b32 v1, 0x80000000, v1, v3
	v_trunc_f32_e32 v1, v1
	s_delay_alu instid0(VALU_DEP_1) | instskip(SKIP_1) | instid1(VALU_DEP_2)
	v_mul_f32_e64 v3, 0x2f800000, |v1|
	v_ashrrev_i32_e32 v10, 31, v1
	v_floor_f32_e32 v3, v3
	s_delay_alu instid0(VALU_DEP_2) | instskip(NEXT) | instid1(VALU_DEP_2)
	v_mov_b32_e32 v11, v10
	v_fma_f32 v7, 0xcf800000, v3, |v1|
	v_cvt_u32_f32_e32 v1, v3
	s_delay_alu instid0(VALU_DEP_2) | instskip(NEXT) | instid1(VALU_DEP_2)
	v_cvt_u32_f32_e32 v3, v7
	v_xor_b32_e32 v17, v1, v10
	s_delay_alu instid0(VALU_DEP_2) | instskip(NEXT) | instid1(VALU_DEP_1)
	v_xor_b32_e32 v16, v3, v10
	v_sub_nc_u64_e32 v[10:11], v[16:17], v[10:11]
.LBB95_1118:
	s_mov_b32 s40, 0
.LBB95_1119:
	s_delay_alu instid0(SALU_CYCLE_1)
	s_and_not1_b32 vcc_lo, exec_lo, s40
	s_cbranch_vccnz .LBB95_1121
; %bb.1120:
	global_load_u8 v1, v[14:15], off
	s_wait_loadcnt 0x0
	v_lshlrev_b32_e32 v3, 25, v1
	v_lshlrev_b16 v1, 8, v1
	s_delay_alu instid0(VALU_DEP_1) | instskip(SKIP_1) | instid1(VALU_DEP_2)
	v_and_or_b32 v10, 0x7f00, v1, 0.5
	v_bfe_i32 v1, v1, 0, 16
	v_dual_add_f32 v10, -0.5, v10 :: v_dual_lshrrev_b32 v7, 4, v3
	v_cmp_gt_u32_e32 vcc_lo, 0x8000000, v3
	s_delay_alu instid0(VALU_DEP_2) | instskip(NEXT) | instid1(VALU_DEP_1)
	v_or_b32_e32 v7, 0x70000000, v7
	v_mul_f32_e32 v7, 0x7800000, v7
	s_delay_alu instid0(VALU_DEP_1) | instskip(NEXT) | instid1(VALU_DEP_1)
	v_cndmask_b32_e32 v3, v7, v10, vcc_lo
	v_and_or_b32 v1, 0x80000000, v1, v3
	s_delay_alu instid0(VALU_DEP_1) | instskip(NEXT) | instid1(VALU_DEP_1)
	v_trunc_f32_e32 v1, v1
	v_mul_f32_e64 v3, 0x2f800000, |v1|
	v_ashrrev_i32_e32 v10, 31, v1
	s_delay_alu instid0(VALU_DEP_2) | instskip(NEXT) | instid1(VALU_DEP_2)
	v_floor_f32_e32 v3, v3
	v_mov_b32_e32 v11, v10
	s_delay_alu instid0(VALU_DEP_2) | instskip(SKIP_1) | instid1(VALU_DEP_2)
	v_fma_f32 v7, 0xcf800000, v3, |v1|
	v_cvt_u32_f32_e32 v1, v3
	v_cvt_u32_f32_e32 v3, v7
	s_delay_alu instid0(VALU_DEP_2) | instskip(NEXT) | instid1(VALU_DEP_2)
	v_xor_b32_e32 v17, v1, v10
	v_xor_b32_e32 v16, v3, v10
	s_delay_alu instid0(VALU_DEP_1)
	v_sub_nc_u64_e32 v[10:11], v[16:17], v[10:11]
.LBB95_1121:
	s_mov_b32 s41, 0
	s_mov_b32 s40, -1
.LBB95_1122:
	s_and_not1_b32 vcc_lo, exec_lo, s41
	s_cbranch_vccnz .LBB95_1135
; %bb.1123:
	s_cmp_gt_i32 s35, 14
	s_cbranch_scc0 .LBB95_1126
; %bb.1124:
	s_cmp_eq_u32 s35, 15
	s_cbranch_scc0 .LBB95_1129
; %bb.1125:
	global_load_u16 v1, v[14:15], off
	s_mov_b32 s40, -1
	s_mov_b32 s92, 0
	s_wait_loadcnt 0x0
	v_lshlrev_b32_e32 v1, 16, v1
	s_delay_alu instid0(VALU_DEP_1) | instskip(NEXT) | instid1(VALU_DEP_1)
	v_trunc_f32_e32 v1, v1
	v_mul_f32_e64 v3, 0x2f800000, |v1|
	v_ashrrev_i32_e32 v10, 31, v1
	s_delay_alu instid0(VALU_DEP_2) | instskip(NEXT) | instid1(VALU_DEP_2)
	v_floor_f32_e32 v3, v3
	v_mov_b32_e32 v11, v10
	s_delay_alu instid0(VALU_DEP_2) | instskip(SKIP_1) | instid1(VALU_DEP_2)
	v_fma_f32 v7, 0xcf800000, v3, |v1|
	v_cvt_u32_f32_e32 v1, v3
	v_cvt_u32_f32_e32 v3, v7
	s_delay_alu instid0(VALU_DEP_2) | instskip(NEXT) | instid1(VALU_DEP_2)
	v_xor_b32_e32 v17, v1, v10
	v_xor_b32_e32 v16, v3, v10
	s_delay_alu instid0(VALU_DEP_1)
	v_sub_nc_u64_e32 v[10:11], v[16:17], v[10:11]
	s_branch .LBB95_1130
.LBB95_1126:
	s_mov_b32 s41, -1
                                        ; implicit-def: $vgpr10_vgpr11
	s_branch .LBB95_1131
.LBB95_1127:
	s_and_not1_saveexec_b32 s40, s40
	s_cbranch_execz .LBB95_1108
.LBB95_1128:
	v_cmp_ne_u16_e32 vcc_lo, 0, v1
	s_and_not1_b32 s20, s41, exec_lo
	s_and_b32 s21, vcc_lo, exec_lo
	s_delay_alu instid0(SALU_CYCLE_1)
	s_or_b32 s41, s20, s21
	s_or_b32 exec_lo, exec_lo, s40
	v_mov_b64_e32 v[10:11], 0
	s_and_saveexec_b32 s40, s41
	s_cbranch_execnz .LBB95_1109
	s_branch .LBB95_1110
.LBB95_1129:
	s_mov_b32 s92, -1
                                        ; implicit-def: $vgpr10_vgpr11
.LBB95_1130:
	s_mov_b32 s41, 0
.LBB95_1131:
	s_delay_alu instid0(SALU_CYCLE_1)
	s_and_b32 vcc_lo, exec_lo, s41
	s_cbranch_vccz .LBB95_1135
; %bb.1132:
	s_cmp_eq_u32 s35, 11
	s_cbranch_scc0 .LBB95_1134
; %bb.1133:
	global_load_u8 v1, v[14:15], off
	s_mov_b32 s92, 0
	s_mov_b32 s40, -1
	s_wait_loadcnt 0x1
	v_mov_b32_e32 v11, s92
	s_wait_loadcnt 0x0
	v_cmp_ne_u16_e32 vcc_lo, 0, v1
	v_cndmask_b32_e64 v10, 0, 1, vcc_lo
	s_branch .LBB95_1135
.LBB95_1134:
	s_mov_b32 s92, -1
                                        ; implicit-def: $vgpr10_vgpr11
.LBB95_1135:
	s_mov_b32 s35, 0
.LBB95_1136:
	s_delay_alu instid0(SALU_CYCLE_1)
	s_and_b32 vcc_lo, exec_lo, s35
	s_cbranch_vccz .LBB95_1185
; %bb.1137:
	s_and_b32 s0, 0xffff, s0
	s_delay_alu instid0(SALU_CYCLE_1)
	s_cmp_lt_i32 s0, 5
	s_cbranch_scc1 .LBB95_1142
; %bb.1138:
	s_cmp_lt_i32 s0, 8
	s_cbranch_scc1 .LBB95_1143
; %bb.1139:
	;; [unrolled: 3-line block ×3, first 2 shown]
	s_cmp_gt_i32 s0, 9
	s_cbranch_scc0 .LBB95_1145
; %bb.1141:
	s_wait_loadcnt 0x0
	global_load_b64 v[10:11], v[14:15], off
	s_mov_b32 s35, 0
	s_wait_loadcnt 0x0
	v_trunc_f64_e32 v[10:11], v[10:11]
	s_delay_alu instid0(VALU_DEP_1) | instskip(NEXT) | instid1(VALU_DEP_1)
	v_ldexp_f64 v[16:17], v[10:11], 0xffffffe0
	v_floor_f64_e32 v[16:17], v[16:17]
	s_delay_alu instid0(VALU_DEP_1) | instskip(SKIP_1) | instid1(VALU_DEP_2)
	v_fmamk_f64 v[18:19], v[16:17], 0xc1f00000, v[10:11]
	v_cvt_i32_f64_e32 v11, v[16:17]
	v_cvt_u32_f64_e32 v10, v[18:19]
	s_branch .LBB95_1146
.LBB95_1142:
	s_mov_b32 s35, -1
                                        ; implicit-def: $vgpr10_vgpr11
	s_branch .LBB95_1164
.LBB95_1143:
	s_mov_b32 s35, -1
                                        ; implicit-def: $vgpr10_vgpr11
	s_branch .LBB95_1152
.LBB95_1144:
	s_mov_b32 s35, -1
                                        ; implicit-def: $vgpr10_vgpr11
	s_branch .LBB95_1149
.LBB95_1145:
	s_mov_b32 s35, -1
                                        ; implicit-def: $vgpr10_vgpr11
.LBB95_1146:
	s_delay_alu instid0(SALU_CYCLE_1)
	s_and_not1_b32 vcc_lo, exec_lo, s35
	s_cbranch_vccnz .LBB95_1148
; %bb.1147:
	global_load_b32 v1, v[14:15], off
	s_wait_loadcnt 0x0
	v_trunc_f32_e32 v1, v1
	s_delay_alu instid0(VALU_DEP_1) | instskip(SKIP_1) | instid1(VALU_DEP_2)
	v_mul_f32_e64 v3, 0x2f800000, |v1|
	v_ashrrev_i32_e32 v10, 31, v1
	v_floor_f32_e32 v3, v3
	s_delay_alu instid0(VALU_DEP_1) | instskip(SKIP_1) | instid1(VALU_DEP_4)
	v_fma_f32 v7, 0xcf800000, v3, |v1|
	v_cvt_u32_f32_e32 v1, v3
	v_mov_b32_e32 v11, v10
	s_delay_alu instid0(VALU_DEP_3) | instskip(NEXT) | instid1(VALU_DEP_3)
	v_cvt_u32_f32_e32 v3, v7
	v_xor_b32_e32 v17, v1, v10
	s_delay_alu instid0(VALU_DEP_2) | instskip(NEXT) | instid1(VALU_DEP_1)
	v_xor_b32_e32 v16, v3, v10
	v_sub_nc_u64_e32 v[10:11], v[16:17], v[10:11]
.LBB95_1148:
	s_mov_b32 s35, 0
.LBB95_1149:
	s_delay_alu instid0(SALU_CYCLE_1)
	s_and_not1_b32 vcc_lo, exec_lo, s35
	s_cbranch_vccnz .LBB95_1151
; %bb.1150:
	global_load_b32 v1, v[14:15], off
	s_wait_loadcnt 0x0
	v_cvt_f32_f16_e32 v1, v1
	s_delay_alu instid0(VALU_DEP_1) | instskip(NEXT) | instid1(VALU_DEP_1)
	v_cvt_i32_f32_e32 v10, v1
	v_ashrrev_i32_e32 v11, 31, v10
.LBB95_1151:
	s_mov_b32 s35, 0
.LBB95_1152:
	s_delay_alu instid0(SALU_CYCLE_1)
	s_and_not1_b32 vcc_lo, exec_lo, s35
	s_cbranch_vccnz .LBB95_1163
; %bb.1153:
	s_cmp_lt_i32 s0, 6
	s_cbranch_scc1 .LBB95_1156
; %bb.1154:
	s_cmp_gt_i32 s0, 6
	s_cbranch_scc0 .LBB95_1157
; %bb.1155:
	s_wait_loadcnt 0x0
	global_load_b64 v[10:11], v[14:15], off
	s_mov_b32 s35, 0
	s_wait_loadcnt 0x0
	v_trunc_f64_e32 v[10:11], v[10:11]
	s_delay_alu instid0(VALU_DEP_1) | instskip(NEXT) | instid1(VALU_DEP_1)
	v_ldexp_f64 v[16:17], v[10:11], 0xffffffe0
	v_floor_f64_e32 v[16:17], v[16:17]
	s_delay_alu instid0(VALU_DEP_1) | instskip(SKIP_1) | instid1(VALU_DEP_2)
	v_fmamk_f64 v[18:19], v[16:17], 0xc1f00000, v[10:11]
	v_cvt_i32_f64_e32 v11, v[16:17]
	v_cvt_u32_f64_e32 v10, v[18:19]
	s_branch .LBB95_1158
.LBB95_1156:
	s_mov_b32 s35, -1
                                        ; implicit-def: $vgpr10_vgpr11
	s_branch .LBB95_1161
.LBB95_1157:
	s_mov_b32 s35, -1
                                        ; implicit-def: $vgpr10_vgpr11
.LBB95_1158:
	s_delay_alu instid0(SALU_CYCLE_1)
	s_and_not1_b32 vcc_lo, exec_lo, s35
	s_cbranch_vccnz .LBB95_1160
; %bb.1159:
	global_load_b32 v1, v[14:15], off
	s_wait_loadcnt 0x0
	v_trunc_f32_e32 v1, v1
	s_delay_alu instid0(VALU_DEP_1) | instskip(SKIP_1) | instid1(VALU_DEP_2)
	v_mul_f32_e64 v3, 0x2f800000, |v1|
	v_ashrrev_i32_e32 v10, 31, v1
	v_floor_f32_e32 v3, v3
	s_delay_alu instid0(VALU_DEP_1) | instskip(SKIP_1) | instid1(VALU_DEP_4)
	v_fma_f32 v7, 0xcf800000, v3, |v1|
	v_cvt_u32_f32_e32 v1, v3
	v_mov_b32_e32 v11, v10
	s_delay_alu instid0(VALU_DEP_3) | instskip(NEXT) | instid1(VALU_DEP_3)
	v_cvt_u32_f32_e32 v3, v7
	v_xor_b32_e32 v17, v1, v10
	s_delay_alu instid0(VALU_DEP_2) | instskip(NEXT) | instid1(VALU_DEP_1)
	v_xor_b32_e32 v16, v3, v10
	v_sub_nc_u64_e32 v[10:11], v[16:17], v[10:11]
.LBB95_1160:
	s_mov_b32 s35, 0
.LBB95_1161:
	s_delay_alu instid0(SALU_CYCLE_1)
	s_and_not1_b32 vcc_lo, exec_lo, s35
	s_cbranch_vccnz .LBB95_1163
; %bb.1162:
	global_load_u16 v1, v[14:15], off
	s_wait_loadcnt 0x0
	v_cvt_f32_f16_e32 v1, v1
	s_delay_alu instid0(VALU_DEP_1) | instskip(NEXT) | instid1(VALU_DEP_1)
	v_cvt_i32_f32_e32 v10, v1
	v_ashrrev_i32_e32 v11, 31, v10
.LBB95_1163:
	s_mov_b32 s35, 0
.LBB95_1164:
	s_delay_alu instid0(SALU_CYCLE_1)
	s_and_not1_b32 vcc_lo, exec_lo, s35
	s_cbranch_vccnz .LBB95_1184
; %bb.1165:
	s_cmp_lt_i32 s0, 2
	s_cbranch_scc1 .LBB95_1169
; %bb.1166:
	s_cmp_lt_i32 s0, 3
	s_cbranch_scc1 .LBB95_1170
; %bb.1167:
	s_cmp_gt_i32 s0, 3
	s_cbranch_scc0 .LBB95_1171
; %bb.1168:
	s_wait_loadcnt 0x0
	global_load_b64 v[10:11], v[14:15], off
	s_mov_b32 s35, 0
	s_branch .LBB95_1172
.LBB95_1169:
	s_mov_b32 s35, -1
                                        ; implicit-def: $vgpr10_vgpr11
	s_branch .LBB95_1178
.LBB95_1170:
	s_mov_b32 s35, -1
                                        ; implicit-def: $vgpr10_vgpr11
	s_branch .LBB95_1175
.LBB95_1171:
	s_mov_b32 s35, -1
                                        ; implicit-def: $vgpr10_vgpr11
.LBB95_1172:
	s_delay_alu instid0(SALU_CYCLE_1)
	s_and_not1_b32 vcc_lo, exec_lo, s35
	s_cbranch_vccnz .LBB95_1174
; %bb.1173:
	s_wait_loadcnt 0x0
	global_load_b32 v10, v[14:15], off
	s_wait_loadcnt 0x0
	v_ashrrev_i32_e32 v11, 31, v10
.LBB95_1174:
	s_mov_b32 s35, 0
.LBB95_1175:
	s_delay_alu instid0(SALU_CYCLE_1)
	s_and_not1_b32 vcc_lo, exec_lo, s35
	s_cbranch_vccnz .LBB95_1177
; %bb.1176:
	global_load_u16 v1, v[14:15], off
	s_wait_loadcnt 0x0
	v_bfe_i32 v10, v1, 0, 16
	s_delay_alu instid0(VALU_DEP_1)
	v_ashrrev_i32_e32 v11, 31, v10
.LBB95_1177:
	s_mov_b32 s35, 0
.LBB95_1178:
	s_delay_alu instid0(SALU_CYCLE_1)
	s_and_not1_b32 vcc_lo, exec_lo, s35
	s_cbranch_vccnz .LBB95_1184
; %bb.1179:
	s_cmp_gt_i32 s0, 0
	s_mov_b32 s0, 0
	s_cbranch_scc0 .LBB95_1181
; %bb.1180:
	global_load_i8 v1, v[14:15], off
	s_wait_loadcnt 0x0
	v_bfe_i32 v10, v1, 0, 16
	s_delay_alu instid0(VALU_DEP_1)
	v_ashrrev_i32_e32 v11, 31, v10
	s_branch .LBB95_1182
.LBB95_1181:
	s_mov_b32 s0, -1
                                        ; implicit-def: $vgpr10_vgpr11
.LBB95_1182:
	s_delay_alu instid0(SALU_CYCLE_1)
	s_and_not1_b32 vcc_lo, exec_lo, s0
	s_cbranch_vccnz .LBB95_1184
; %bb.1183:
	global_load_u8 v1, v[14:15], off
	s_mov_b32 s0, 0
	s_wait_loadcnt 0x1
	v_mov_b32_e32 v11, s0
	s_wait_loadcnt 0x0
	v_and_b32_e32 v10, 0xffff, v1
.LBB95_1184:
	s_mov_b32 s40, -1
.LBB95_1185:
	s_delay_alu instid0(SALU_CYCLE_1)
	s_and_not1_b32 vcc_lo, exec_lo, s40
	s_cbranch_vccnz .LBB95_1193
; %bb.1186:
	s_load_b512 s[4:19], s[2:3], 0x248
	v_mov_b32_e32 v7, 0
	s_and_b32 s0, s78, 0xff
	s_delay_alu instid0(SALU_CYCLE_1) | instskip(SKIP_1) | instid1(VALU_DEP_1)
	s_cmp_lt_i32 s0, 11
	s_wait_kmcnt 0x0
	v_add_nc_u64_e32 v[6:7], s[14:15], v[6:7]
	s_cbranch_scc1 .LBB95_1194
; %bb.1187:
	s_and_b32 s35, 0xffff, s0
	s_delay_alu instid0(SALU_CYCLE_1)
	s_cmp_gt_i32 s35, 25
	s_cbranch_scc0 .LBB95_1195
; %bb.1188:
	s_cmp_gt_i32 s35, 28
	s_cbranch_scc0 .LBB95_1196
; %bb.1189:
	;; [unrolled: 3-line block ×4, first 2 shown]
	s_cmp_eq_u32 s35, 46
	s_mov_b32 s41, 0
	s_cbranch_scc0 .LBB95_1200
; %bb.1192:
	global_load_b32 v1, v[6:7], off
	s_mov_b32 s40, -1
	s_mov_b32 s91, 0
	s_wait_loadcnt 0x0
	v_lshlrev_b32_e32 v1, 16, v1
	s_delay_alu instid0(VALU_DEP_1) | instskip(NEXT) | instid1(VALU_DEP_1)
	v_trunc_f32_e32 v1, v1
	v_mul_f32_e64 v3, 0x2f800000, |v1|
	v_ashrrev_i32_e32 v14, 31, v1
	s_delay_alu instid0(VALU_DEP_2) | instskip(NEXT) | instid1(VALU_DEP_1)
	v_floor_f32_e32 v3, v3
	v_fma_f32 v15, 0xcf800000, v3, |v1|
	v_cvt_u32_f32_e32 v1, v3
	s_delay_alu instid0(VALU_DEP_2) | instskip(NEXT) | instid1(VALU_DEP_2)
	v_cvt_u32_f32_e32 v3, v15
	v_dual_mov_b32 v15, v14 :: v_dual_bitop2_b32 v17, v1, v14 bitop3:0x14
	s_delay_alu instid0(VALU_DEP_2) | instskip(NEXT) | instid1(VALU_DEP_1)
	v_xor_b32_e32 v16, v3, v14
	v_sub_nc_u64_e32 v[14:15], v[16:17], v[14:15]
	s_branch .LBB95_1202
.LBB95_1193:
	s_mov_b32 s0, 0
	s_mov_b32 s35, s64
	;; [unrolled: 1-line block ×7, first 2 shown]
	s_branch .LBB95_1324
.LBB95_1194:
	s_mov_b32 s35, -1
	s_mov_b32 s40, 0
	s_mov_b32 s91, s82
                                        ; implicit-def: $vgpr14_vgpr15
	s_branch .LBB95_1263
.LBB95_1195:
	s_mov_b32 s41, -1
	s_mov_b32 s40, 0
	s_mov_b32 s91, s82
                                        ; implicit-def: $vgpr14_vgpr15
	s_branch .LBB95_1229
.LBB95_1196:
	s_mov_b32 s41, -1
	s_mov_b32 s40, 0
	s_mov_b32 s91, s82
                                        ; implicit-def: $vgpr14_vgpr15
	s_branch .LBB95_1212
.LBB95_1197:
	s_mov_b32 s41, -1
	s_mov_b32 s40, 0
	s_mov_b32 s91, s82
                                        ; implicit-def: $vgpr14_vgpr15
	s_branch .LBB95_1207
.LBB95_1198:
	s_mov_b32 s41, -1
	s_mov_b32 s40, 0
	s_mov_b32 s91, s82
	s_branch .LBB95_1201
.LBB95_1199:
	s_mov_b32 s56, -1
	s_mov_b32 s42, 0
	s_mov_b32 s55, 0
	s_branch .LBB95_1879
.LBB95_1200:
	s_mov_b32 s91, -1
	s_mov_b32 s40, 0
.LBB95_1201:
                                        ; implicit-def: $vgpr14_vgpr15
.LBB95_1202:
	s_and_b32 vcc_lo, exec_lo, s41
	s_cbranch_vccz .LBB95_1206
; %bb.1203:
	s_cmp_eq_u32 s35, 44
	s_cbranch_scc0 .LBB95_1205
; %bb.1204:
	global_load_u8 v1, v[6:7], off
	s_mov_b32 s91, 0
	s_mov_b32 s40, -1
	s_wait_loadcnt 0x0
	v_lshlrev_b32_e32 v3, 23, v1
	v_cmp_ne_u32_e32 vcc_lo, 0, v1
	s_delay_alu instid0(VALU_DEP_2) | instskip(NEXT) | instid1(VALU_DEP_1)
	v_trunc_f32_e32 v3, v3
	v_mul_f32_e64 v14, 0x2f800000, |v3|
	s_delay_alu instid0(VALU_DEP_1) | instskip(SKIP_1) | instid1(VALU_DEP_2)
	v_floor_f32_e32 v15, v14
	v_ashrrev_i32_e32 v14, 31, v3
	v_fma_f32 v16, 0xcf800000, v15, |v3|
	v_cvt_u32_f32_e32 v3, v15
	s_delay_alu instid0(VALU_DEP_3) | instskip(NEXT) | instid1(VALU_DEP_3)
	v_mov_b32_e32 v15, v14
	v_cvt_u32_f32_e32 v16, v16
	s_delay_alu instid0(VALU_DEP_3) | instskip(NEXT) | instid1(VALU_DEP_2)
	v_xor_b32_e32 v17, v3, v14
	v_xor_b32_e32 v16, v16, v14
	s_delay_alu instid0(VALU_DEP_1) | instskip(NEXT) | instid1(VALU_DEP_1)
	v_sub_nc_u64_e32 v[14:15], v[16:17], v[14:15]
	v_dual_cndmask_b32 v15, 0, v15 :: v_dual_cndmask_b32 v14, 0, v14
	s_branch .LBB95_1206
.LBB95_1205:
	s_mov_b32 s91, -1
                                        ; implicit-def: $vgpr14_vgpr15
.LBB95_1206:
	s_mov_b32 s41, 0
.LBB95_1207:
	s_delay_alu instid0(SALU_CYCLE_1)
	s_and_b32 vcc_lo, exec_lo, s41
	s_cbranch_vccz .LBB95_1211
; %bb.1208:
	s_cmp_eq_u32 s35, 29
	s_cbranch_scc0 .LBB95_1210
; %bb.1209:
	global_load_b64 v[14:15], v[6:7], off
	s_mov_b32 s40, -1
	s_mov_b32 s91, 0
	s_branch .LBB95_1211
.LBB95_1210:
	s_mov_b32 s91, -1
                                        ; implicit-def: $vgpr14_vgpr15
.LBB95_1211:
	s_mov_b32 s41, 0
.LBB95_1212:
	s_delay_alu instid0(SALU_CYCLE_1)
	s_and_b32 vcc_lo, exec_lo, s41
	s_cbranch_vccz .LBB95_1228
; %bb.1213:
	s_cmp_lt_i32 s35, 27
	s_cbranch_scc1 .LBB95_1216
; %bb.1214:
	s_cmp_gt_i32 s35, 27
	s_cbranch_scc0 .LBB95_1217
; %bb.1215:
	s_wait_loadcnt 0x0
	global_load_b32 v14, v[6:7], off
	v_mov_b32_e32 v15, 0
	s_mov_b32 s40, 0
	s_branch .LBB95_1218
.LBB95_1216:
	s_mov_b32 s40, -1
                                        ; implicit-def: $vgpr14_vgpr15
	s_branch .LBB95_1221
.LBB95_1217:
	s_mov_b32 s40, -1
                                        ; implicit-def: $vgpr14_vgpr15
.LBB95_1218:
	s_delay_alu instid0(SALU_CYCLE_1)
	s_and_not1_b32 vcc_lo, exec_lo, s40
	s_cbranch_vccnz .LBB95_1220
; %bb.1219:
	global_load_u16 v1, v[6:7], off
	s_mov_b32 s20, 0
	s_wait_loadcnt 0x1
	v_mov_b32_e32 v15, s20
	s_wait_loadcnt 0x0
	v_and_b32_e32 v14, 0xffff, v1
.LBB95_1220:
	s_mov_b32 s40, 0
.LBB95_1221:
	s_delay_alu instid0(SALU_CYCLE_1)
	s_and_not1_b32 vcc_lo, exec_lo, s40
	s_cbranch_vccnz .LBB95_1227
; %bb.1222:
	global_load_u8 v1, v[6:7], off
	s_mov_b32 s41, 0
	s_mov_b32 s20, exec_lo
	s_wait_loadcnt 0x0
	v_cmpx_lt_i16_e32 0x7f, v1
	s_xor_b32 s40, exec_lo, s20
	s_cbranch_execz .LBB95_1239
; %bb.1223:
	v_cmp_ne_u16_e32 vcc_lo, 0x80, v1
	s_and_b32 s41, vcc_lo, exec_lo
	s_and_not1_saveexec_b32 s40, s40
	s_cbranch_execnz .LBB95_1240
.LBB95_1224:
	s_or_b32 exec_lo, exec_lo, s40
	v_mov_b64_e32 v[14:15], 0
	s_and_saveexec_b32 s40, s41
	s_cbranch_execz .LBB95_1226
.LBB95_1225:
	v_and_b32_e32 v3, 0xffff, v1
	s_delay_alu instid0(VALU_DEP_1) | instskip(SKIP_1) | instid1(VALU_DEP_2)
	v_dual_lshlrev_b32 v1, 24, v1 :: v_dual_bitop2_b32 v14, 7, v3 bitop3:0x40
	v_bfe_u32 v17, v3, 3, 4
	v_and_b32_e32 v1, 0x80000000, v1
	s_delay_alu instid0(VALU_DEP_3) | instskip(NEXT) | instid1(VALU_DEP_3)
	v_clz_i32_u32_e32 v15, v14
	v_cmp_eq_u32_e32 vcc_lo, 0, v17
	s_delay_alu instid0(VALU_DEP_2) | instskip(NEXT) | instid1(VALU_DEP_1)
	v_min_u32_e32 v15, 32, v15
	v_subrev_nc_u32_e32 v16, 28, v15
	v_sub_nc_u32_e32 v15, 29, v15
	s_delay_alu instid0(VALU_DEP_2) | instskip(NEXT) | instid1(VALU_DEP_2)
	v_lshlrev_b32_e32 v3, v16, v3
	v_cndmask_b32_e32 v15, v17, v15, vcc_lo
	s_delay_alu instid0(VALU_DEP_2) | instskip(NEXT) | instid1(VALU_DEP_1)
	v_and_b32_e32 v3, 7, v3
	v_cndmask_b32_e32 v3, v14, v3, vcc_lo
	s_delay_alu instid0(VALU_DEP_3) | instskip(NEXT) | instid1(VALU_DEP_2)
	v_lshl_add_u32 v14, v15, 23, 0x3b800000
	v_lshlrev_b32_e32 v3, 20, v3
	s_delay_alu instid0(VALU_DEP_1) | instskip(NEXT) | instid1(VALU_DEP_1)
	v_or3_b32 v1, v1, v14, v3
	v_trunc_f32_e32 v1, v1
	s_delay_alu instid0(VALU_DEP_1) | instskip(SKIP_1) | instid1(VALU_DEP_2)
	v_mul_f32_e64 v3, 0x2f800000, |v1|
	v_ashrrev_i32_e32 v14, 31, v1
	v_floor_f32_e32 v3, v3
	s_delay_alu instid0(VALU_DEP_1) | instskip(SKIP_1) | instid1(VALU_DEP_2)
	v_fma_f32 v15, 0xcf800000, v3, |v1|
	v_cvt_u32_f32_e32 v1, v3
	v_cvt_u32_f32_e32 v3, v15
	s_delay_alu instid0(VALU_DEP_2) | instskip(NEXT) | instid1(VALU_DEP_2)
	v_dual_mov_b32 v15, v14 :: v_dual_bitop2_b32 v17, v1, v14 bitop3:0x14
	v_xor_b32_e32 v16, v3, v14
	s_delay_alu instid0(VALU_DEP_1)
	v_sub_nc_u64_e32 v[14:15], v[16:17], v[14:15]
.LBB95_1226:
	s_or_b32 exec_lo, exec_lo, s40
.LBB95_1227:
	s_mov_b32 s40, -1
.LBB95_1228:
	s_mov_b32 s41, 0
.LBB95_1229:
	s_delay_alu instid0(SALU_CYCLE_1)
	s_and_b32 vcc_lo, exec_lo, s41
	s_cbranch_vccz .LBB95_1262
; %bb.1230:
	s_cmp_gt_i32 s35, 22
	s_cbranch_scc0 .LBB95_1238
; %bb.1231:
	s_cmp_lt_i32 s35, 24
	s_cbranch_scc1 .LBB95_1241
; %bb.1232:
	s_cmp_gt_i32 s35, 24
	s_cbranch_scc0 .LBB95_1242
; %bb.1233:
	global_load_u8 v1, v[6:7], off
	s_mov_b32 s41, 0
	s_mov_b32 s20, exec_lo
	s_wait_loadcnt 0x0
	v_cmpx_lt_i16_e32 0x7f, v1
	s_xor_b32 s40, exec_lo, s20
	s_cbranch_execz .LBB95_1254
; %bb.1234:
	v_cmp_ne_u16_e32 vcc_lo, 0x80, v1
	s_and_b32 s41, vcc_lo, exec_lo
	s_and_not1_saveexec_b32 s40, s40
	s_cbranch_execnz .LBB95_1255
.LBB95_1235:
	s_or_b32 exec_lo, exec_lo, s40
	v_mov_b64_e32 v[14:15], 0
	s_and_saveexec_b32 s40, s41
	s_cbranch_execz .LBB95_1237
.LBB95_1236:
	v_and_b32_e32 v3, 0xffff, v1
	s_delay_alu instid0(VALU_DEP_1) | instskip(SKIP_1) | instid1(VALU_DEP_2)
	v_dual_lshlrev_b32 v1, 24, v1 :: v_dual_bitop2_b32 v14, 3, v3 bitop3:0x40
	v_bfe_u32 v17, v3, 2, 5
	v_and_b32_e32 v1, 0x80000000, v1
	s_delay_alu instid0(VALU_DEP_3) | instskip(NEXT) | instid1(VALU_DEP_3)
	v_clz_i32_u32_e32 v15, v14
	v_cmp_eq_u32_e32 vcc_lo, 0, v17
	s_delay_alu instid0(VALU_DEP_2) | instskip(NEXT) | instid1(VALU_DEP_1)
	v_min_u32_e32 v15, 32, v15
	v_subrev_nc_u32_e32 v16, 29, v15
	v_sub_nc_u32_e32 v15, 30, v15
	s_delay_alu instid0(VALU_DEP_2) | instskip(NEXT) | instid1(VALU_DEP_2)
	v_lshlrev_b32_e32 v3, v16, v3
	v_cndmask_b32_e32 v15, v17, v15, vcc_lo
	s_delay_alu instid0(VALU_DEP_2) | instskip(NEXT) | instid1(VALU_DEP_1)
	v_and_b32_e32 v3, 3, v3
	v_cndmask_b32_e32 v3, v14, v3, vcc_lo
	s_delay_alu instid0(VALU_DEP_3) | instskip(NEXT) | instid1(VALU_DEP_2)
	v_lshl_add_u32 v14, v15, 23, 0x37800000
	v_lshlrev_b32_e32 v3, 21, v3
	s_delay_alu instid0(VALU_DEP_1) | instskip(NEXT) | instid1(VALU_DEP_1)
	v_or3_b32 v1, v1, v14, v3
	v_trunc_f32_e32 v1, v1
	s_delay_alu instid0(VALU_DEP_1) | instskip(SKIP_1) | instid1(VALU_DEP_2)
	v_mul_f32_e64 v3, 0x2f800000, |v1|
	v_ashrrev_i32_e32 v14, 31, v1
	v_floor_f32_e32 v3, v3
	s_delay_alu instid0(VALU_DEP_1) | instskip(SKIP_1) | instid1(VALU_DEP_2)
	v_fma_f32 v15, 0xcf800000, v3, |v1|
	v_cvt_u32_f32_e32 v1, v3
	v_cvt_u32_f32_e32 v3, v15
	s_delay_alu instid0(VALU_DEP_2) | instskip(NEXT) | instid1(VALU_DEP_2)
	v_dual_mov_b32 v15, v14 :: v_dual_bitop2_b32 v17, v1, v14 bitop3:0x14
	v_xor_b32_e32 v16, v3, v14
	s_delay_alu instid0(VALU_DEP_1)
	v_sub_nc_u64_e32 v[14:15], v[16:17], v[14:15]
.LBB95_1237:
	s_or_b32 exec_lo, exec_lo, s40
	s_mov_b32 s40, 0
	s_branch .LBB95_1243
.LBB95_1238:
	s_mov_b32 s41, -1
                                        ; implicit-def: $vgpr14_vgpr15
	s_branch .LBB95_1249
.LBB95_1239:
	s_and_not1_saveexec_b32 s40, s40
	s_cbranch_execz .LBB95_1224
.LBB95_1240:
	v_cmp_ne_u16_e32 vcc_lo, 0, v1
	s_and_not1_b32 s20, s41, exec_lo
	s_and_b32 s21, vcc_lo, exec_lo
	s_delay_alu instid0(SALU_CYCLE_1)
	s_or_b32 s41, s20, s21
	s_or_b32 exec_lo, exec_lo, s40
	v_mov_b64_e32 v[14:15], 0
	s_and_saveexec_b32 s40, s41
	s_cbranch_execnz .LBB95_1225
	s_branch .LBB95_1226
.LBB95_1241:
	s_mov_b32 s40, -1
                                        ; implicit-def: $vgpr14_vgpr15
	s_branch .LBB95_1246
.LBB95_1242:
	s_mov_b32 s40, -1
                                        ; implicit-def: $vgpr14_vgpr15
.LBB95_1243:
	s_delay_alu instid0(SALU_CYCLE_1)
	s_and_b32 vcc_lo, exec_lo, s40
	s_cbranch_vccz .LBB95_1245
; %bb.1244:
	global_load_u8 v1, v[6:7], off
	s_wait_loadcnt 0x0
	v_lshlrev_b32_e32 v1, 24, v1
	s_delay_alu instid0(VALU_DEP_1) | instskip(NEXT) | instid1(VALU_DEP_1)
	v_and_b32_e32 v3, 0x7f000000, v1
	v_clz_i32_u32_e32 v14, v3
	v_cmp_ne_u32_e32 vcc_lo, 0, v3
	v_add_nc_u32_e32 v16, 0x1000000, v3
	s_delay_alu instid0(VALU_DEP_3) | instskip(NEXT) | instid1(VALU_DEP_1)
	v_min_u32_e32 v14, 32, v14
	v_sub_nc_u32_e64 v14, v14, 4 clamp
	s_delay_alu instid0(VALU_DEP_1) | instskip(NEXT) | instid1(VALU_DEP_1)
	v_dual_lshlrev_b32 v15, v14, v3 :: v_dual_lshlrev_b32 v14, 23, v14
	v_lshrrev_b32_e32 v15, 4, v15
	s_delay_alu instid0(VALU_DEP_1) | instskip(NEXT) | instid1(VALU_DEP_1)
	v_dual_sub_nc_u32 v14, v15, v14 :: v_dual_ashrrev_i32 v15, 8, v16
	v_add_nc_u32_e32 v14, 0x3c000000, v14
	s_delay_alu instid0(VALU_DEP_1) | instskip(NEXT) | instid1(VALU_DEP_1)
	v_and_or_b32 v14, 0x7f800000, v15, v14
	v_cndmask_b32_e32 v3, 0, v14, vcc_lo
	s_delay_alu instid0(VALU_DEP_1) | instskip(NEXT) | instid1(VALU_DEP_1)
	v_and_or_b32 v1, 0x80000000, v1, v3
	v_trunc_f32_e32 v1, v1
	s_delay_alu instid0(VALU_DEP_1) | instskip(SKIP_1) | instid1(VALU_DEP_2)
	v_mul_f32_e64 v3, 0x2f800000, |v1|
	v_ashrrev_i32_e32 v14, 31, v1
	v_floor_f32_e32 v3, v3
	s_delay_alu instid0(VALU_DEP_1) | instskip(SKIP_1) | instid1(VALU_DEP_2)
	v_fma_f32 v15, 0xcf800000, v3, |v1|
	v_cvt_u32_f32_e32 v1, v3
	v_cvt_u32_f32_e32 v3, v15
	s_delay_alu instid0(VALU_DEP_2) | instskip(NEXT) | instid1(VALU_DEP_2)
	v_dual_mov_b32 v15, v14 :: v_dual_bitop2_b32 v17, v1, v14 bitop3:0x14
	v_xor_b32_e32 v16, v3, v14
	s_delay_alu instid0(VALU_DEP_1)
	v_sub_nc_u64_e32 v[14:15], v[16:17], v[14:15]
.LBB95_1245:
	s_mov_b32 s40, 0
.LBB95_1246:
	s_delay_alu instid0(SALU_CYCLE_1)
	s_and_not1_b32 vcc_lo, exec_lo, s40
	s_cbranch_vccnz .LBB95_1248
; %bb.1247:
	global_load_u8 v1, v[6:7], off
	s_wait_loadcnt 0x0
	v_lshlrev_b32_e32 v3, 25, v1
	v_lshlrev_b16 v1, 8, v1
	s_delay_alu instid0(VALU_DEP_1) | instskip(SKIP_1) | instid1(VALU_DEP_2)
	v_and_or_b32 v15, 0x7f00, v1, 0.5
	v_bfe_i32 v1, v1, 0, 16
	v_add_f32_e32 v15, -0.5, v15
	v_lshrrev_b32_e32 v14, 4, v3
	v_cmp_gt_u32_e32 vcc_lo, 0x8000000, v3
	s_delay_alu instid0(VALU_DEP_2) | instskip(NEXT) | instid1(VALU_DEP_1)
	v_or_b32_e32 v14, 0x70000000, v14
	v_mul_f32_e32 v14, 0x7800000, v14
	s_delay_alu instid0(VALU_DEP_1) | instskip(NEXT) | instid1(VALU_DEP_1)
	v_cndmask_b32_e32 v3, v14, v15, vcc_lo
	v_and_or_b32 v1, 0x80000000, v1, v3
	s_delay_alu instid0(VALU_DEP_1) | instskip(NEXT) | instid1(VALU_DEP_1)
	v_trunc_f32_e32 v1, v1
	v_mul_f32_e64 v3, 0x2f800000, |v1|
	v_ashrrev_i32_e32 v14, 31, v1
	s_delay_alu instid0(VALU_DEP_2) | instskip(NEXT) | instid1(VALU_DEP_1)
	v_floor_f32_e32 v3, v3
	v_fma_f32 v15, 0xcf800000, v3, |v1|
	v_cvt_u32_f32_e32 v1, v3
	s_delay_alu instid0(VALU_DEP_2) | instskip(NEXT) | instid1(VALU_DEP_2)
	v_cvt_u32_f32_e32 v3, v15
	v_dual_mov_b32 v15, v14 :: v_dual_bitop2_b32 v17, v1, v14 bitop3:0x14
	s_delay_alu instid0(VALU_DEP_2) | instskip(NEXT) | instid1(VALU_DEP_1)
	v_xor_b32_e32 v16, v3, v14
	v_sub_nc_u64_e32 v[14:15], v[16:17], v[14:15]
.LBB95_1248:
	s_mov_b32 s41, 0
	s_mov_b32 s40, -1
.LBB95_1249:
	s_and_not1_b32 vcc_lo, exec_lo, s41
	s_cbranch_vccnz .LBB95_1262
; %bb.1250:
	s_cmp_gt_i32 s35, 14
	s_cbranch_scc0 .LBB95_1253
; %bb.1251:
	s_cmp_eq_u32 s35, 15
	s_cbranch_scc0 .LBB95_1256
; %bb.1252:
	global_load_u16 v1, v[6:7], off
	s_mov_b32 s40, -1
	s_mov_b32 s91, 0
	s_wait_loadcnt 0x0
	v_lshlrev_b32_e32 v1, 16, v1
	s_delay_alu instid0(VALU_DEP_1) | instskip(NEXT) | instid1(VALU_DEP_1)
	v_trunc_f32_e32 v1, v1
	v_mul_f32_e64 v3, 0x2f800000, |v1|
	v_ashrrev_i32_e32 v14, 31, v1
	s_delay_alu instid0(VALU_DEP_2) | instskip(NEXT) | instid1(VALU_DEP_1)
	v_floor_f32_e32 v3, v3
	v_fma_f32 v15, 0xcf800000, v3, |v1|
	v_cvt_u32_f32_e32 v1, v3
	s_delay_alu instid0(VALU_DEP_2) | instskip(NEXT) | instid1(VALU_DEP_2)
	v_cvt_u32_f32_e32 v3, v15
	v_dual_mov_b32 v15, v14 :: v_dual_bitop2_b32 v17, v1, v14 bitop3:0x14
	s_delay_alu instid0(VALU_DEP_2) | instskip(NEXT) | instid1(VALU_DEP_1)
	v_xor_b32_e32 v16, v3, v14
	v_sub_nc_u64_e32 v[14:15], v[16:17], v[14:15]
	s_branch .LBB95_1257
.LBB95_1253:
	s_mov_b32 s41, -1
                                        ; implicit-def: $vgpr14_vgpr15
	s_branch .LBB95_1258
.LBB95_1254:
	s_and_not1_saveexec_b32 s40, s40
	s_cbranch_execz .LBB95_1235
.LBB95_1255:
	v_cmp_ne_u16_e32 vcc_lo, 0, v1
	s_and_not1_b32 s20, s41, exec_lo
	s_and_b32 s21, vcc_lo, exec_lo
	s_delay_alu instid0(SALU_CYCLE_1)
	s_or_b32 s41, s20, s21
	s_or_b32 exec_lo, exec_lo, s40
	v_mov_b64_e32 v[14:15], 0
	s_and_saveexec_b32 s40, s41
	s_cbranch_execnz .LBB95_1236
	s_branch .LBB95_1237
.LBB95_1256:
	s_mov_b32 s91, -1
                                        ; implicit-def: $vgpr14_vgpr15
.LBB95_1257:
	s_mov_b32 s41, 0
.LBB95_1258:
	s_delay_alu instid0(SALU_CYCLE_1)
	s_and_b32 vcc_lo, exec_lo, s41
	s_cbranch_vccz .LBB95_1262
; %bb.1259:
	s_cmp_eq_u32 s35, 11
	s_cbranch_scc0 .LBB95_1261
; %bb.1260:
	global_load_u8 v1, v[6:7], off
	s_mov_b32 s91, 0
	s_mov_b32 s40, -1
	s_wait_loadcnt 0x1
	v_mov_b32_e32 v15, s91
	s_wait_loadcnt 0x0
	v_cmp_ne_u16_e32 vcc_lo, 0, v1
	v_cndmask_b32_e64 v14, 0, 1, vcc_lo
	s_branch .LBB95_1262
.LBB95_1261:
	s_mov_b32 s91, -1
                                        ; implicit-def: $vgpr14_vgpr15
.LBB95_1262:
	s_mov_b32 s35, 0
.LBB95_1263:
	s_delay_alu instid0(SALU_CYCLE_1)
	s_and_b32 vcc_lo, exec_lo, s35
	s_cbranch_vccz .LBB95_1312
; %bb.1264:
	s_and_b32 s0, 0xffff, s0
	s_delay_alu instid0(SALU_CYCLE_1)
	s_cmp_lt_i32 s0, 5
	s_cbranch_scc1 .LBB95_1269
; %bb.1265:
	s_cmp_lt_i32 s0, 8
	s_cbranch_scc1 .LBB95_1270
; %bb.1266:
	;; [unrolled: 3-line block ×3, first 2 shown]
	s_cmp_gt_i32 s0, 9
	s_cbranch_scc0 .LBB95_1272
; %bb.1268:
	s_wait_loadcnt 0x0
	global_load_b64 v[14:15], v[6:7], off
	s_mov_b32 s35, 0
	s_wait_loadcnt 0x0
	v_trunc_f64_e32 v[14:15], v[14:15]
	s_delay_alu instid0(VALU_DEP_1) | instskip(NEXT) | instid1(VALU_DEP_1)
	v_ldexp_f64 v[16:17], v[14:15], 0xffffffe0
	v_floor_f64_e32 v[16:17], v[16:17]
	s_delay_alu instid0(VALU_DEP_1) | instskip(SKIP_1) | instid1(VALU_DEP_2)
	v_fmamk_f64 v[18:19], v[16:17], 0xc1f00000, v[14:15]
	v_cvt_i32_f64_e32 v15, v[16:17]
	v_cvt_u32_f64_e32 v14, v[18:19]
	s_branch .LBB95_1273
.LBB95_1269:
	s_mov_b32 s35, -1
                                        ; implicit-def: $vgpr14_vgpr15
	s_branch .LBB95_1291
.LBB95_1270:
	s_mov_b32 s35, -1
                                        ; implicit-def: $vgpr14_vgpr15
	s_branch .LBB95_1279
.LBB95_1271:
	s_mov_b32 s35, -1
                                        ; implicit-def: $vgpr14_vgpr15
	s_branch .LBB95_1276
.LBB95_1272:
	s_mov_b32 s35, -1
                                        ; implicit-def: $vgpr14_vgpr15
.LBB95_1273:
	s_delay_alu instid0(SALU_CYCLE_1)
	s_and_not1_b32 vcc_lo, exec_lo, s35
	s_cbranch_vccnz .LBB95_1275
; %bb.1274:
	global_load_b32 v1, v[6:7], off
	s_wait_loadcnt 0x0
	v_trunc_f32_e32 v1, v1
	s_delay_alu instid0(VALU_DEP_1) | instskip(SKIP_1) | instid1(VALU_DEP_2)
	v_mul_f32_e64 v3, 0x2f800000, |v1|
	v_ashrrev_i32_e32 v14, 31, v1
	v_floor_f32_e32 v3, v3
	s_delay_alu instid0(VALU_DEP_1) | instskip(SKIP_1) | instid1(VALU_DEP_2)
	v_fma_f32 v15, 0xcf800000, v3, |v1|
	v_cvt_u32_f32_e32 v1, v3
	v_cvt_u32_f32_e32 v3, v15
	s_delay_alu instid0(VALU_DEP_2) | instskip(NEXT) | instid1(VALU_DEP_2)
	v_dual_mov_b32 v15, v14 :: v_dual_bitop2_b32 v17, v1, v14 bitop3:0x14
	v_xor_b32_e32 v16, v3, v14
	s_delay_alu instid0(VALU_DEP_1)
	v_sub_nc_u64_e32 v[14:15], v[16:17], v[14:15]
.LBB95_1275:
	s_mov_b32 s35, 0
.LBB95_1276:
	s_delay_alu instid0(SALU_CYCLE_1)
	s_and_not1_b32 vcc_lo, exec_lo, s35
	s_cbranch_vccnz .LBB95_1278
; %bb.1277:
	global_load_b32 v1, v[6:7], off
	s_wait_loadcnt 0x0
	v_cvt_f32_f16_e32 v1, v1
	s_delay_alu instid0(VALU_DEP_1) | instskip(NEXT) | instid1(VALU_DEP_1)
	v_cvt_i32_f32_e32 v14, v1
	v_ashrrev_i32_e32 v15, 31, v14
.LBB95_1278:
	s_mov_b32 s35, 0
.LBB95_1279:
	s_delay_alu instid0(SALU_CYCLE_1)
	s_and_not1_b32 vcc_lo, exec_lo, s35
	s_cbranch_vccnz .LBB95_1290
; %bb.1280:
	s_cmp_lt_i32 s0, 6
	s_cbranch_scc1 .LBB95_1283
; %bb.1281:
	s_cmp_gt_i32 s0, 6
	s_cbranch_scc0 .LBB95_1284
; %bb.1282:
	s_wait_loadcnt 0x0
	global_load_b64 v[14:15], v[6:7], off
	s_mov_b32 s35, 0
	s_wait_loadcnt 0x0
	v_trunc_f64_e32 v[14:15], v[14:15]
	s_delay_alu instid0(VALU_DEP_1) | instskip(NEXT) | instid1(VALU_DEP_1)
	v_ldexp_f64 v[16:17], v[14:15], 0xffffffe0
	v_floor_f64_e32 v[16:17], v[16:17]
	s_delay_alu instid0(VALU_DEP_1) | instskip(SKIP_1) | instid1(VALU_DEP_2)
	v_fmamk_f64 v[18:19], v[16:17], 0xc1f00000, v[14:15]
	v_cvt_i32_f64_e32 v15, v[16:17]
	v_cvt_u32_f64_e32 v14, v[18:19]
	s_branch .LBB95_1285
.LBB95_1283:
	s_mov_b32 s35, -1
                                        ; implicit-def: $vgpr14_vgpr15
	s_branch .LBB95_1288
.LBB95_1284:
	s_mov_b32 s35, -1
                                        ; implicit-def: $vgpr14_vgpr15
.LBB95_1285:
	s_delay_alu instid0(SALU_CYCLE_1)
	s_and_not1_b32 vcc_lo, exec_lo, s35
	s_cbranch_vccnz .LBB95_1287
; %bb.1286:
	global_load_b32 v1, v[6:7], off
	s_wait_loadcnt 0x0
	v_trunc_f32_e32 v1, v1
	s_delay_alu instid0(VALU_DEP_1) | instskip(SKIP_1) | instid1(VALU_DEP_2)
	v_mul_f32_e64 v3, 0x2f800000, |v1|
	v_ashrrev_i32_e32 v14, 31, v1
	v_floor_f32_e32 v3, v3
	s_delay_alu instid0(VALU_DEP_1) | instskip(SKIP_1) | instid1(VALU_DEP_2)
	v_fma_f32 v15, 0xcf800000, v3, |v1|
	v_cvt_u32_f32_e32 v1, v3
	v_cvt_u32_f32_e32 v3, v15
	s_delay_alu instid0(VALU_DEP_2) | instskip(NEXT) | instid1(VALU_DEP_2)
	v_dual_mov_b32 v15, v14 :: v_dual_bitop2_b32 v17, v1, v14 bitop3:0x14
	v_xor_b32_e32 v16, v3, v14
	s_delay_alu instid0(VALU_DEP_1)
	v_sub_nc_u64_e32 v[14:15], v[16:17], v[14:15]
.LBB95_1287:
	s_mov_b32 s35, 0
.LBB95_1288:
	s_delay_alu instid0(SALU_CYCLE_1)
	s_and_not1_b32 vcc_lo, exec_lo, s35
	s_cbranch_vccnz .LBB95_1290
; %bb.1289:
	global_load_u16 v1, v[6:7], off
	s_wait_loadcnt 0x0
	v_cvt_f32_f16_e32 v1, v1
	s_delay_alu instid0(VALU_DEP_1) | instskip(NEXT) | instid1(VALU_DEP_1)
	v_cvt_i32_f32_e32 v14, v1
	v_ashrrev_i32_e32 v15, 31, v14
.LBB95_1290:
	s_mov_b32 s35, 0
.LBB95_1291:
	s_delay_alu instid0(SALU_CYCLE_1)
	s_and_not1_b32 vcc_lo, exec_lo, s35
	s_cbranch_vccnz .LBB95_1311
; %bb.1292:
	s_cmp_lt_i32 s0, 2
	s_cbranch_scc1 .LBB95_1296
; %bb.1293:
	s_cmp_lt_i32 s0, 3
	s_cbranch_scc1 .LBB95_1297
; %bb.1294:
	s_cmp_gt_i32 s0, 3
	s_cbranch_scc0 .LBB95_1298
; %bb.1295:
	s_wait_loadcnt 0x0
	global_load_b64 v[14:15], v[6:7], off
	s_mov_b32 s35, 0
	s_branch .LBB95_1299
.LBB95_1296:
	s_mov_b32 s35, -1
                                        ; implicit-def: $vgpr14_vgpr15
	s_branch .LBB95_1305
.LBB95_1297:
	s_mov_b32 s35, -1
                                        ; implicit-def: $vgpr14_vgpr15
	s_branch .LBB95_1302
.LBB95_1298:
	s_mov_b32 s35, -1
                                        ; implicit-def: $vgpr14_vgpr15
.LBB95_1299:
	s_delay_alu instid0(SALU_CYCLE_1)
	s_and_not1_b32 vcc_lo, exec_lo, s35
	s_cbranch_vccnz .LBB95_1301
; %bb.1300:
	s_wait_loadcnt 0x0
	global_load_b32 v14, v[6:7], off
	s_wait_loadcnt 0x0
	v_ashrrev_i32_e32 v15, 31, v14
.LBB95_1301:
	s_mov_b32 s35, 0
.LBB95_1302:
	s_delay_alu instid0(SALU_CYCLE_1)
	s_and_not1_b32 vcc_lo, exec_lo, s35
	s_cbranch_vccnz .LBB95_1304
; %bb.1303:
	global_load_u16 v1, v[6:7], off
	s_wait_loadcnt 0x0
	v_bfe_i32 v14, v1, 0, 16
	s_delay_alu instid0(VALU_DEP_1)
	v_ashrrev_i32_e32 v15, 31, v14
.LBB95_1304:
	s_mov_b32 s35, 0
.LBB95_1305:
	s_delay_alu instid0(SALU_CYCLE_1)
	s_and_not1_b32 vcc_lo, exec_lo, s35
	s_cbranch_vccnz .LBB95_1311
; %bb.1306:
	s_cmp_gt_i32 s0, 0
	s_mov_b32 s0, 0
	s_cbranch_scc0 .LBB95_1308
; %bb.1307:
	global_load_i8 v1, v[6:7], off
	s_wait_loadcnt 0x0
	v_bfe_i32 v14, v1, 0, 16
	s_delay_alu instid0(VALU_DEP_1)
	v_ashrrev_i32_e32 v15, 31, v14
	s_branch .LBB95_1309
.LBB95_1308:
	s_mov_b32 s0, -1
                                        ; implicit-def: $vgpr14_vgpr15
.LBB95_1309:
	s_delay_alu instid0(SALU_CYCLE_1)
	s_and_not1_b32 vcc_lo, exec_lo, s0
	s_cbranch_vccnz .LBB95_1311
; %bb.1310:
	global_load_u8 v1, v[6:7], off
	s_mov_b32 s0, 0
	s_wait_loadcnt 0x1
	v_mov_b32_e32 v15, s0
	s_wait_loadcnt 0x0
	v_and_b32_e32 v14, 0xffff, v1
.LBB95_1311:
	s_mov_b32 s40, -1
.LBB95_1312:
	s_delay_alu instid0(SALU_CYCLE_1)
	s_and_not1_b32 vcc_lo, exec_lo, s40
	s_cbranch_vccnz .LBB95_1323
; %bb.1313:
	s_load_b512 s[4:19], s[2:3], 0x248
	s_mov_b32 s0, 0
	s_mov_b32 s42, -1
	s_mov_b32 s43, s80
	s_mov_b32 s41, s39
	;; [unrolled: 1-line block ×4, first 2 shown]
	s_wait_loadcnt 0x0
	s_wait_kmcnt 0x0
	v_cmp_eq_u64_e32 vcc_lo, s[16:17], v[4:5]
	s_and_b32 s20, s101, vcc_lo
	s_delay_alu instid0(SALU_CYCLE_1)
	s_and_saveexec_b32 s93, s20
	s_cbranch_execz .LBB95_4165
; %bb.1314:
	v_cmp_eq_u64_e32 vcc_lo, s[36:37], v[8:9]
	s_mov_b32 s41, -1
	s_mov_b32 s42, s39
	s_mov_b32 s54, s65
	;; [unrolled: 1-line block ×3, first 2 shown]
	s_and_b32 s20, vcc_hi, vcc_lo
	s_delay_alu instid0(SALU_CYCLE_1)
	s_and_saveexec_b32 s40, s20
	s_cbranch_execz .LBB95_3691
; %bb.1315:
	s_load_b512 s[4:19], s[2:3], 0x248
	v_sub_nc_u64_e32 v[4:5], v[10:11], v[12:13]
	s_mov_b32 s35, 0
	s_mov_b32 s42, -1
	s_mov_b32 s54, s64
	s_wait_kmcnt 0x0
	s_delay_alu instid0(VALU_DEP_1) | instskip(SKIP_4) | instid1(SALU_CYCLE_1)
	v_cmp_le_i64_e32 vcc_lo, s[16:17], v[4:5]
	v_cmp_ge_i64_e64 s0, s[18:19], v[4:5]
	s_and_b32 s20, vcc_lo, s0
	s_mov_b32 s0, s65
	s_and_b32 s20, s104, s20
	s_and_saveexec_b32 s41, s20
	s_cbranch_execz .LBB95_3690
; %bb.1316:
	v_cmp_lt_i64_e64 s0, s[36:37], 1
	v_mov_b64_e32 v[4:5], 0
	s_xor_b32 s20, s49, -1
	s_delay_alu instid0(SALU_CYCLE_1) | instskip(NEXT) | instid1(SALU_CYCLE_1)
	s_or_b32 s0, s0, s20
	s_and_b32 vcc_lo, exec_lo, s0
	s_cbranch_vccnz .LBB95_1352
; %bb.1317:
	v_mul_u64_e32 v[8:9], s[36:37], v[14:15]
	s_mov_b32 s55, 0
	v_mov_b64_e32 v[4:5], 0
	s_mov_b32 s35, s55
	v_mov_b32_e32 v6, 0
	s_lshl_b64 s[20:21], s[34:35], 3
	s_mov_b32 s35, s38
	s_add_nc_u64 s[20:21], s[2:3], s[20:21]
	s_delay_alu instid0(SALU_CYCLE_1)
	s_add_nc_u64 s[56:57], s[20:21], 0x298
	s_branch .LBB95_1319
.LBB95_1318:                            ;   in Loop: Header=BB95_1319 Depth=1
	s_or_b32 exec_lo, exec_lo, s0
	s_delay_alu instid0(VALU_DEP_1)
	v_mul_u64_e32 v[16:17], s[58:59], v[14:15]
	s_load_b64 s[20:21], s[56:57], 0x40
	s_add_co_i32 s35, s35, -1
	s_wait_xcnt 0x0
	s_add_nc_u64 s[56:57], s[56:57], -8
	s_cmp_lg_u32 s35, 0
	s_delay_alu instid0(VALU_DEP_1) | instskip(SKIP_1) | instid1(VALU_DEP_1)
	v_sub_nc_u64_e32 v[8:9], v[8:9], v[16:17]
	s_wait_kmcnt 0x0
	v_mad_nc_u64_u32 v[4:5], v8, s20, v[4:5]
	s_delay_alu instid0(VALU_DEP_1) | instskip(NEXT) | instid1(VALU_DEP_1)
	v_mad_u32 v1, v9, s20, v5
	v_mad_u32 v5, v8, s21, v1
	v_mov_b64_e32 v[8:9], v[14:15]
	s_cbranch_scc0 .LBB95_1352
.LBB95_1319:                            ; =>This Inner Loop Header: Depth=1
	s_load_b64 s[58:59], s[56:57], 0x0
                                        ; implicit-def: $vgpr14_vgpr15
	s_mov_b32 s0, exec_lo
	s_wait_kmcnt 0x0
	s_delay_alu instid0(VALU_DEP_1) | instskip(NEXT) | instid1(VALU_DEP_1)
	v_or_b32_e32 v7, s59, v9
	v_cmpx_ne_u64_e32 0, v[6:7]
	s_xor_b32 s42, exec_lo, s0
	s_cbranch_execz .LBB95_1321
; %bb.1320:                             ;   in Loop: Header=BB95_1319 Depth=1
	s_ashr_i32 s60, s59, 31
	s_mov_b32 s6, s25
	s_mov_b32 s61, s60
	;; [unrolled: 1-line block ×3, first 2 shown]
	s_add_nc_u64 s[20:21], s[58:59], s[60:61]
	s_mov_b32 s5, s31
	s_xor_b64 s[62:63], s[20:21], s[60:61]
	s_mov_b64 s[28:29], s[44:45]
	s_cvt_f32_u32 s0, s62
	s_cvt_f32_u32 s20, s63
	s_sub_nc_u64 s[22:23], 0, s[62:63]
	s_mov_b64 s[30:31], s[46:47]
	v_dual_mov_b32 v19, v6 :: v_dual_ashrrev_i32 v14, 31, v9
	s_fmamk_f32 s0, s20, 0x4f800000, s0
	s_delay_alu instid0(VALU_DEP_1) | instskip(NEXT) | instid1(SALU_CYCLE_2)
	v_mov_b32_e32 v15, v14
	v_s_rcp_f32 s0, s0
	s_delay_alu instid0(VALU_DEP_1) | instskip(SKIP_1) | instid1(TRANS32_DEP_1)
	v_add_nc_u64_e32 v[16:17], v[8:9], v[14:15]
	v_mov_b32_e32 v21, v6
	s_mul_f32 s0, s0, 0x5f7ffffc
	s_delay_alu instid0(VALU_DEP_2) | instskip(NEXT) | instid1(SALU_CYCLE_2)
	v_xor_b32_e32 v18, v16, v14
	s_mul_f32 s20, s0, 0x2f800000
	s_delay_alu instid0(VALU_DEP_3) | instskip(SKIP_1) | instid1(SALU_CYCLE_1)
	v_dual_mov_b32 v27, v6 :: v_dual_bitop2_b32 v20, v17, v14 bitop3:0x14
	v_xor_b32_e32 v14, s60, v14
	s_trunc_f32 s20, s20
	s_delay_alu instid0(SALU_CYCLE_3) | instskip(SKIP_1) | instid1(SALU_CYCLE_2)
	s_fmamk_f32 s0, s20, 0xcf800000, s0
	s_cvt_u32_f32 s21, s20
	s_cvt_u32_f32 s20, s0
	s_delay_alu instid0(SALU_CYCLE_3) | instskip(NEXT) | instid1(SALU_CYCLE_1)
	s_mul_u64 s[24:25], s[22:23], s[20:21]
	s_mul_hi_u32 s27, s20, s25
	s_mul_i32 s26, s20, s25
	s_mul_hi_u32 s54, s20, s24
	s_mul_i32 s43, s21, s24
	s_add_nc_u64 s[26:27], s[54:55], s[26:27]
	s_mul_hi_u32 s0, s21, s24
	s_mul_hi_u32 s44, s21, s25
	s_mul_i32 s24, s21, s25
	s_add_co_u32 s25, s26, s43
	s_add_co_ci_u32 s54, s27, s0
	s_add_co_ci_u32 s25, s44, 0
	s_mov_b64 s[46:47], s[30:31]
	s_add_nc_u64 s[24:25], s[54:55], s[24:25]
	s_mov_b64 s[44:45], s[28:29]
	s_add_co_u32 s20, s20, s24
	s_cselect_b32 s0, -1, 0
	s_mov_b32 s31, s5
	s_cmp_lg_u32 s0, 0
	s_mov_b32 s28, s4
	s_add_co_ci_u32 s21, s21, s25
	s_delay_alu instid0(SALU_CYCLE_1) | instskip(NEXT) | instid1(SALU_CYCLE_1)
	s_mul_u64 s[22:23], s[22:23], s[20:21]
	s_mul_hi_u32 s25, s20, s23
	s_mul_i32 s24, s20, s23
	s_mul_hi_u32 s54, s20, s22
	s_mul_i32 s26, s21, s22
	s_add_nc_u64 s[24:25], s[54:55], s[24:25]
	s_mul_hi_u32 s0, s21, s22
	s_mul_hi_u32 s27, s21, s23
	s_mul_i32 s22, s21, s23
	s_add_co_u32 s23, s24, s26
	s_add_co_ci_u32 s54, s25, s0
	s_add_co_ci_u32 s23, s27, 0
	s_mov_b32 s25, s6
	s_add_nc_u64 s[22:23], s[54:55], s[22:23]
	s_delay_alu instid0(SALU_CYCLE_1)
	s_add_co_u32 s0, s20, s22
	s_cselect_b32 s20, -1, 0
	v_mul_hi_u32 v26, v18, s0
	s_cmp_lg_u32 s20, 0
	s_add_co_ci_u32 s54, s21, s23
	s_mov_b64 s[20:21], 0xffffffff
	v_mul_u64_e32 v[22:23], s[54:55], v[18:19]
	s_and_b64 s[20:21], s[0:1], s[20:21]
	v_mul_u64_e32 v[24:25], s[54:55], v[20:21]
	v_mul_u64_e32 v[16:17], s[20:21], v[20:21]
	s_delay_alu instid0(VALU_DEP_3) | instskip(NEXT) | instid1(VALU_DEP_1)
	v_add_nc_u64_e32 v[22:23], v[26:27], v[22:23]
	v_add_co_u32 v1, vcc_lo, v22, v16
	s_delay_alu instid0(VALU_DEP_2) | instskip(SKIP_1) | instid1(VALU_DEP_1)
	v_add_co_ci_u32_e32 v26, vcc_lo, v23, v17, vcc_lo
	v_add_co_ci_u32_e32 v25, vcc_lo, 0, v25, vcc_lo
	v_add_nc_u64_e32 v[16:17], v[26:27], v[24:25]
	s_delay_alu instid0(VALU_DEP_1) | instskip(NEXT) | instid1(VALU_DEP_1)
	v_mul_u64_e32 v[22:23], s[62:63], v[16:17]
	v_sub_nc_u32_e32 v1, v20, v23
	s_delay_alu instid0(VALU_DEP_2) | instskip(NEXT) | instid1(VALU_DEP_1)
	v_sub_co_u32 v3, vcc_lo, v18, v22
	v_sub_co_ci_u32_e64 v15, null, v20, v23, vcc_lo
	s_delay_alu instid0(VALU_DEP_3) | instskip(NEXT) | instid1(VALU_DEP_3)
	v_subrev_co_ci_u32_e64 v1, null, s63, v1, vcc_lo
	v_sub_co_u32 v7, s0, v3, s62
	v_add_nc_u64_e32 v[20:21], 1, v[16:17]
	s_delay_alu instid0(VALU_DEP_3) | instskip(NEXT) | instid1(VALU_DEP_3)
	v_subrev_co_ci_u32_e64 v1, null, 0, v1, s0
	v_cmp_le_u32_e32 vcc_lo, s62, v7
	v_cndmask_b32_e64 v7, 0, -1, vcc_lo
	s_delay_alu instid0(VALU_DEP_3)
	v_cmp_le_u32_e32 vcc_lo, s63, v1
	v_cndmask_b32_e64 v18, 0, -1, vcc_lo
	v_cmp_le_u32_e32 vcc_lo, s62, v3
	v_cndmask_b32_e64 v3, 0, -1, vcc_lo
	;; [unrolled: 2-line block ×3, first 2 shown]
	v_cmp_eq_u32_e32 vcc_lo, s63, v1
	v_cndmask_b32_e32 v1, v18, v7, vcc_lo
	v_cmp_eq_u32_e32 vcc_lo, s63, v15
	v_add_nc_u64_e32 v[18:19], 2, v[16:17]
	v_mov_b32_e32 v15, v14
	v_cndmask_b32_e32 v3, v22, v3, vcc_lo
	v_cmp_ne_u32_e32 vcc_lo, 0, v1
	s_delay_alu instid0(VALU_DEP_2) | instskip(SKIP_1) | instid1(VALU_DEP_1)
	v_cmp_ne_u32_e64 s0, 0, v3
	v_dual_cndmask_b32 v1, v21, v19, vcc_lo :: v_dual_cndmask_b32 v3, v20, v18, vcc_lo
	v_dual_cndmask_b32 v1, v17, v1, s0 :: v_dual_cndmask_b32 v3, v16, v3, s0
	s_delay_alu instid0(VALU_DEP_1) | instskip(NEXT) | instid1(VALU_DEP_2)
	v_xor_b32_e32 v17, v1, v14
	v_xor_b32_e32 v16, v3, v14
	s_delay_alu instid0(VALU_DEP_1)
	v_sub_nc_u64_e32 v[14:15], v[16:17], v[14:15]
.LBB95_1321:                            ;   in Loop: Header=BB95_1319 Depth=1
	s_and_not1_saveexec_b32 s0, s42
	s_cbranch_execz .LBB95_1318
; %bb.1322:                             ;   in Loop: Header=BB95_1319 Depth=1
	v_cvt_f32_u32_e32 v1, s58
	s_sub_co_i32 s20, 0, s58
	v_mov_b32_e32 v15, v6
	s_delay_alu instid0(VALU_DEP_2) | instskip(SKIP_1) | instid1(TRANS32_DEP_1)
	v_rcp_iflag_f32_e32 v1, v1
	v_nop
	v_mul_f32_e32 v1, 0x4f7ffffe, v1
	s_delay_alu instid0(VALU_DEP_1) | instskip(NEXT) | instid1(VALU_DEP_1)
	v_cvt_u32_f32_e32 v1, v1
	v_mul_lo_u32 v3, s20, v1
	s_delay_alu instid0(VALU_DEP_1) | instskip(NEXT) | instid1(VALU_DEP_1)
	v_mul_hi_u32 v3, v1, v3
	v_add_nc_u32_e32 v1, v1, v3
	s_delay_alu instid0(VALU_DEP_1) | instskip(NEXT) | instid1(VALU_DEP_1)
	v_mul_hi_u32 v1, v8, v1
	v_mul_lo_u32 v3, v1, s58
	s_delay_alu instid0(VALU_DEP_1) | instskip(NEXT) | instid1(VALU_DEP_1)
	v_sub_nc_u32_e32 v3, v8, v3
	v_subrev_nc_u32_e32 v14, s58, v3
	v_cmp_le_u32_e32 vcc_lo, s58, v3
	s_delay_alu instid0(VALU_DEP_2) | instskip(NEXT) | instid1(VALU_DEP_1)
	v_dual_add_nc_u32 v7, 1, v1 :: v_dual_cndmask_b32 v3, v3, v14, vcc_lo
	v_cndmask_b32_e32 v1, v1, v7, vcc_lo
	s_delay_alu instid0(VALU_DEP_2) | instskip(NEXT) | instid1(VALU_DEP_2)
	v_cmp_le_u32_e32 vcc_lo, s58, v3
	v_add_nc_u32_e32 v7, 1, v1
	s_delay_alu instid0(VALU_DEP_1)
	v_cndmask_b32_e32 v14, v1, v7, vcc_lo
	s_branch .LBB95_1318
.LBB95_1323:
	s_mov_b32 s0, 0
	s_mov_b32 s35, s64
	;; [unrolled: 1-line block ×6, first 2 shown]
.LBB95_1324:
                                        ; implicit-def: $vgpr0
.LBB95_1325:
	s_and_not1_b32 s20, s64, exec_lo
	s_and_b32 s21, s35, exec_lo
	s_and_not1_b32 s22, s65, exec_lo
	s_and_b32 s23, s40, exec_lo
	s_or_b32 s40, s20, s21
	s_or_b32 s96, s22, s23
	s_and_not1_b32 s20, s39, exec_lo
	s_and_b32 s21, s41, exec_lo
	s_and_not1_b32 s22, s80, exec_lo
	s_and_b32 s23, s43, exec_lo
	s_or_b32 s79, s20, s21
	s_or_b32 s93, s22, s23
	s_and_not1_b32 s20, s81, exec_lo
	s_and_b32 s21, s42, exec_lo
	s_and_not1_b32 s22, s82, exec_lo
	s_and_b32 s23, s91, exec_lo
	s_or_b32 s94, s20, s21
	s_or_b32 s91, s22, s23
	s_and_not1_b32 s20, s83, exec_lo
	s_and_b32 s21, s92, exec_lo
	s_and_not1_b32 s22, s84, exec_lo
	s_and_b32 s23, s89, exec_lo
	s_or_b32 s92, s20, s21
	s_or_b32 s89, s22, s23
	s_and_not1_b32 s20, s85, exec_lo
	s_and_b32 s21, s90, exec_lo
	s_and_not1_b32 s22, s86, exec_lo
	s_and_b32 s23, s88, exec_lo
	s_or_b32 s90, s20, s21
	s_or_b32 s88, s22, s23
	s_or_not1_b32 s35, s0, exec_lo
.LBB95_1326:
	s_wait_xcnt 0x0
	s_or_b32 exec_lo, exec_lo, s98
	s_mov_b32 s42, 0
	s_mov_b32 s41, 0
	;; [unrolled: 1-line block ×3, first 2 shown]
                                        ; implicit-def: $sgpr0
                                        ; implicit-def: $vgpr14_vgpr15
                                        ; implicit-def: $vgpr2
                                        ; implicit-def: $vgpr12
                                        ; implicit-def: $vgpr10
                                        ; implicit-def: $vgpr6
                                        ; implicit-def: $vgpr8
                                        ; implicit-def: $vgpr4_vgpr5
	s_and_saveexec_b32 s98, s35
	s_cbranch_execz .LBB95_2193
; %bb.1327:
	s_mov_b32 s55, -1
	s_mov_b32 s35, s88
	s_mov_b32 s60, s90
	;; [unrolled: 1-line block ×10, first 2 shown]
	s_mov_b32 s99, exec_lo
	v_cmpx_gt_i32_e64 s77, v0
	s_cbranch_execz .LBB95_2087
; %bb.1328:
	s_and_not1_b32 vcc_lo, exec_lo, s68
	s_cbranch_vccnz .LBB95_1335
; %bb.1329:
	s_and_not1_b32 vcc_lo, exec_lo, s25
	s_cbranch_vccnz .LBB95_1336
; %bb.1330:
	s_wait_loadcnt 0x0
	v_dual_mov_b32 v10, 0 :: v_dual_mov_b32 v1, v0
	v_dual_mov_b32 v6, 0 :: v_dual_mov_b32 v8, 0
	;; [unrolled: 1-line block ×3, first 2 shown]
	v_mov_b32_e32 v4, 0
	s_mov_b64 s[4:5], s[72:73]
	s_add_co_i32 s0, s76, 1
	s_mov_b64 s[20:21], 0xffffffffffffffd0
	s_mov_b64 s[6:7], s[74:75]
	;; [unrolled: 1-line block ×3, first 2 shown]
	s_mov_b32 s8, s25
	s_mov_b64 s[72:73], s[44:45]
	s_and_b32 s0, s0, 30
	s_add_nc_u64 s[54:55], s[2:3], s[20:21]
	s_mov_b64 s[56:57], s[2:3]
.LBB95_1331:                            ; =>This Inner Loop Header: Depth=1
	s_clause 0x1
	s_load_b128 s[60:63], s[56:57], 0x4
	s_load_b64 s[42:43], s[56:57], 0x14
	s_clause 0x1
	s_load_b256 s[20:27], s[54:55], 0xf4
	s_load_b128 s[44:47], s[54:55], 0x114
	s_add_co_i32 s0, s0, -2
	s_wait_xcnt 0x0
	s_add_nc_u64 s[56:57], s[56:57], 24
	s_cmp_eq_u32 s0, 0
	s_add_nc_u64 s[54:55], s[54:55], 48
	s_wait_kmcnt 0x0
	v_mul_hi_u32 v3, s61, v1
	s_delay_alu instid0(VALU_DEP_1) | instskip(NEXT) | instid1(VALU_DEP_1)
	v_add_nc_u32_e32 v3, v1, v3
	v_lshrrev_b32_e32 v3, s62, v3
	s_delay_alu instid0(VALU_DEP_1) | instskip(SKIP_1) | instid1(VALU_DEP_1)
	v_mul_hi_u32 v5, s42, v3
	v_mul_lo_u32 v7, v3, s60
	v_dual_add_nc_u32 v5, v3, v5 :: v_dual_sub_nc_u32 v7, v1, v7
	s_delay_alu instid0(VALU_DEP_1) | instskip(NEXT) | instid1(VALU_DEP_2)
	v_lshrrev_b32_e32 v1, s43, v5
	v_mad_u32 v4, v7, s21, v4
	v_mad_u32 v2, v7, s20, v2
	;; [unrolled: 1-line block ×4, first 2 shown]
	v_mul_lo_u32 v5, v1, s63
	v_mad_u32 v6, s25, v7, v6
	v_mad_u32 v7, s24, v7, v10
	s_delay_alu instid0(VALU_DEP_3) | instskip(NEXT) | instid1(VALU_DEP_1)
	v_sub_nc_u32_e32 v3, v3, v5
	v_mad_u32 v4, v3, s27, v4
	v_mad_u32 v2, v3, s26, v2
	;; [unrolled: 1-line block ×6, first 2 shown]
	s_cbranch_scc0 .LBB95_1331
; %bb.1332:
	s_bitcmp1_b32 s76, 0
	s_cselect_b32 s0, -1, 0
	s_delay_alu instid0(SALU_CYCLE_1)
	s_and_b32 vcc_lo, exec_lo, s0
	s_cbranch_vccnz .LBB95_1334
; %bb.1333:
	s_load_b96 s[24:26], s[56:57], 0x4
	s_wait_kmcnt 0x0
	v_mul_hi_u32 v3, s25, v1
	s_delay_alu instid0(VALU_DEP_1) | instskip(NEXT) | instid1(VALU_DEP_1)
	v_add_nc_u32_e32 v3, v1, v3
	v_lshrrev_b32_e32 v3, s26, v3
	s_clause 0x1
	s_load_b128 s[20:23], s[54:55], 0xf4
	s_load_b64 s[26:27], s[54:55], 0x104
	s_delay_alu instid0(VALU_DEP_1) | instskip(NEXT) | instid1(VALU_DEP_1)
	v_mul_lo_u32 v3, v3, s24
	v_sub_nc_u32_e32 v1, v1, v3
	s_wait_kmcnt 0x0
	s_delay_alu instid0(VALU_DEP_1)
	v_mad_u32 v2, v1, s20, v2
	v_mad_u32 v4, v1, s21, v4
	;; [unrolled: 1-line block ×6, first 2 shown]
.LBB95_1334:
	s_mov_b64 s[44:45], s[72:73]
	s_mov_b64 s[46:47], s[74:75]
	;; [unrolled: 1-line block ×4, first 2 shown]
	s_mov_b32 s25, s8
	s_branch .LBB95_1337
.LBB95_1335:
	s_mov_b32 s0, -1
                                        ; implicit-def: $vgpr4
                                        ; implicit-def: $vgpr2
                                        ; implicit-def: $vgpr12
                                        ; implicit-def: $vgpr8
                                        ; implicit-def: $vgpr6
                                        ; implicit-def: $vgpr10
	s_branch .LBB95_1338
.LBB95_1336:
	s_wait_loadcnt 0x0
	v_dual_mov_b32 v4, 0 :: v_dual_mov_b32 v2, 0
	v_dual_mov_b32 v12, 0 :: v_dual_mov_b32 v8, 0
	;; [unrolled: 1-line block ×3, first 2 shown]
.LBB95_1337:
	s_mov_b32 s0, 0
.LBB95_1338:
	s_delay_alu instid0(SALU_CYCLE_1)
	s_and_not1_b32 vcc_lo, exec_lo, s0
	s_cbranch_vccnz .LBB95_1341
; %bb.1339:
	v_mov_b32_e32 v1, 0
	s_clause 0x1
	s_load_b128 s[4:7], s[2:3], 0x4
	s_load_b256 s[8:15], s[2:3], 0xc4
	s_and_not1_b32 vcc_lo, exec_lo, s48
	v_mul_u64_e32 v[2:3], s[50:51], v[0:1]
	s_delay_alu instid0(VALU_DEP_1) | instskip(SKIP_2) | instid1(VALU_DEP_1)
	v_add_nc_u32_e32 v2, v0, v3
	s_wait_loadcnt 0x0
	s_wait_kmcnt 0x0
	v_lshrrev_b32_e32 v14, s6, v2
	s_delay_alu instid0(VALU_DEP_1) | instskip(NEXT) | instid1(VALU_DEP_1)
	v_mul_lo_u32 v2, v14, s4
	v_sub_nc_u32_e32 v3, v0, v2
	s_delay_alu instid0(VALU_DEP_1)
	v_mul_lo_u32 v4, v3, s9
	v_mul_lo_u32 v2, v3, s8
	;; [unrolled: 1-line block ×6, first 2 shown]
	s_cbranch_vccnz .LBB95_1341
; %bb.1340:
	v_mov_b32_e32 v15, v1
	s_delay_alu instid0(VALU_DEP_1) | instskip(NEXT) | instid1(VALU_DEP_1)
	v_mul_u64_e32 v[16:17], s[52:53], v[14:15]
	v_add_nc_u32_e32 v1, v14, v17
	s_delay_alu instid0(VALU_DEP_1) | instskip(NEXT) | instid1(VALU_DEP_1)
	v_lshrrev_b32_e32 v1, s31, v1
	v_mul_lo_u32 v1, v1, s7
	s_delay_alu instid0(VALU_DEP_1) | instskip(NEXT) | instid1(VALU_DEP_1)
	v_sub_nc_u32_e32 v1, v14, v1
	v_mad_u32 v2, v1, s14, v2
	v_mad_u32 v4, v1, s15, v4
	;; [unrolled: 1-line block ×6, first 2 shown]
.LBB95_1341:
	s_load_b512 s[4:19], s[2:3], 0x248
	s_wait_loadcnt 0x0
	v_mov_b32_e32 v5, 0
	s_and_b32 s0, s1, 0xff
	s_delay_alu instid0(SALU_CYCLE_1) | instskip(SKIP_1) | instid1(VALU_DEP_1)
	s_cmp_lt_i32 s0, 11
	s_wait_kmcnt 0x0
	v_add_nc_u64_e32 v[14:15], s[6:7], v[4:5]
	s_cbranch_scc1 .LBB95_1348
; %bb.1342:
	s_and_b32 s35, 0xffff, s0
	s_delay_alu instid0(SALU_CYCLE_1)
	s_cmp_gt_i32 s35, 25
	s_cbranch_scc0 .LBB95_1349
; %bb.1343:
	s_cmp_gt_i32 s35, 28
	s_cbranch_scc0 .LBB95_1350
; %bb.1344:
	;; [unrolled: 3-line block ×4, first 2 shown]
	s_cmp_eq_u32 s35, 46
	s_mov_b32 s42, 0
	s_cbranch_scc0 .LBB95_1367
; %bb.1347:
	global_load_b32 v1, v[14:15], off
	s_mov_b32 s41, -1
	s_mov_b32 s26, 0
	s_wait_loadcnt 0x0
	v_lshlrev_b32_e32 v1, 16, v1
	s_delay_alu instid0(VALU_DEP_1) | instskip(NEXT) | instid1(VALU_DEP_1)
	v_trunc_f32_e32 v1, v1
	v_mul_f32_e64 v3, 0x2f800000, |v1|
	v_ashrrev_i32_e32 v4, 31, v1
	s_delay_alu instid0(VALU_DEP_2) | instskip(NEXT) | instid1(VALU_DEP_1)
	v_floor_f32_e32 v3, v3
	v_fma_f32 v5, 0xcf800000, v3, |v1|
	v_cvt_u32_f32_e32 v1, v3
	s_delay_alu instid0(VALU_DEP_2) | instskip(NEXT) | instid1(VALU_DEP_2)
	v_cvt_u32_f32_e32 v3, v5
	v_dual_mov_b32 v5, v4 :: v_dual_bitop2_b32 v17, v1, v4 bitop3:0x14
	s_delay_alu instid0(VALU_DEP_2) | instskip(NEXT) | instid1(VALU_DEP_1)
	v_xor_b32_e32 v16, v3, v4
	v_sub_nc_u64_e32 v[4:5], v[16:17], v[4:5]
	s_branch .LBB95_1369
.LBB95_1348:
	s_mov_b32 s35, -1
	s_mov_b32 s41, 0
	s_mov_b32 s26, s88
                                        ; implicit-def: $vgpr4_vgpr5
	s_branch .LBB95_1430
.LBB95_1349:
	s_mov_b32 s42, -1
	s_mov_b32 s41, 0
	s_mov_b32 s26, s88
                                        ; implicit-def: $vgpr4_vgpr5
	s_branch .LBB95_1396
.LBB95_1350:
	s_mov_b32 s42, -1
	s_mov_b32 s41, 0
	s_mov_b32 s26, s88
                                        ; implicit-def: $vgpr4_vgpr5
	s_branch .LBB95_1379
.LBB95_1351:
	s_mov_b32 s42, -1
	s_mov_b32 s41, 0
	s_mov_b32 s26, s88
                                        ; implicit-def: $vgpr4_vgpr5
	s_branch .LBB95_1374
.LBB95_1352:
	s_mov_b32 s54, -1
	s_mov_b32 s0, s65
	s_mov_b32 s35, exec_lo
	v_cmpx_gt_i64_e64 v[10:11], v[12:13]
	s_cbranch_execz .LBB95_1359
; %bb.1353:
	s_delay_alu instid0(VALU_DEP_2) | instskip(SKIP_2) | instid1(VALU_DEP_1)
	v_lshlrev_b64_e32 v[4:5], 3, v[4:5]
	s_mov_b32 s0, 0
	s_xor_b32 s43, s71, -1
                                        ; implicit-def: $sgpr42
                                        ; implicit-def: $sgpr55
                                        ; implicit-def: $sgpr54
	v_lshl_add_u64 v[6:7], v[12:13], 3, v[4:5]
	v_add_nc_u64_e32 v[8:9], s[72:73], v[4:5]
	s_delay_alu instid0(VALU_DEP_2) | instskip(NEXT) | instid1(VALU_DEP_1)
	v_add_nc_u64_e32 v[6:7], s[72:73], v[6:7]
	v_add_nc_u64_e32 v[4:5], 8, v[6:7]
	s_delay_alu instid0(VALU_DEP_3)
	v_lshl_add_u64 v[6:7], v[10:11], 3, v[8:9]
	s_branch .LBB95_1355
.LBB95_1354:                            ;   in Loop: Header=BB95_1355 Depth=1
	s_or_b32 exec_lo, exec_lo, s56
	s_delay_alu instid0(SALU_CYCLE_1) | instskip(NEXT) | instid1(SALU_CYCLE_1)
	s_and_b32 s20, exec_lo, s55
	s_or_b32 s0, s20, s0
	s_and_not1_b32 s20, s42, exec_lo
	s_and_b32 s21, s54, exec_lo
	s_delay_alu instid0(SALU_CYCLE_1)
	s_or_b32 s42, s20, s21
	s_and_not1_b32 exec_lo, exec_lo, s0
	s_cbranch_execz .LBB95_1358
.LBB95_1355:                            ; =>This Inner Loop Header: Depth=1
	s_or_b32 s54, s54, exec_lo
	s_or_b32 s55, s55, exec_lo
	s_mov_b32 s56, exec_lo
	s_delay_alu instid0(VALU_DEP_2)
	v_cmpx_lt_u64_e64 v[4:5], v[6:7]
	s_cbranch_execz .LBB95_1354
; %bb.1356:                             ;   in Loop: Header=BB95_1355 Depth=1
	global_load_b128 v[8:11], v[4:5], off offset:-8
	s_wait_xcnt 0x0
	v_add_nc_u64_e32 v[4:5], 8, v[4:5]
	s_and_not1_b32 s21, s55, exec_lo
	s_and_not1_b32 s54, s54, exec_lo
	s_wait_loadcnt 0x0
	v_cmp_ge_i64_e32 vcc_lo, v[8:9], v[10:11]
	s_or_b32 s20, s43, vcc_lo
	s_delay_alu instid0(SALU_CYCLE_1) | instskip(NEXT) | instid1(SALU_CYCLE_1)
	s_and_b32 s20, s20, exec_lo
	s_or_b32 s55, s21, s20
	s_branch .LBB95_1354
.LBB95_1357:
	s_mov_b32 s42, -1
	s_mov_b32 s41, 0
	s_mov_b32 s26, s88
	s_branch .LBB95_1368
.LBB95_1358:
	s_or_b32 exec_lo, exec_lo, s0
	s_delay_alu instid0(SALU_CYCLE_1)
	s_or_b32 s0, s65, exec_lo
	s_or_not1_b32 s54, s42, exec_lo
.LBB95_1359:
	s_or_b32 exec_lo, exec_lo, s35
	s_mov_b32 s43, 0
	s_mov_b32 s42, s64
	s_and_saveexec_b32 s35, s54
	s_cbranch_execz .LBB95_3689
; %bb.1360:
	s_load_b512 s[4:19], s[2:3], 0x248
	v_mov_b32_e32 v3, 0
	s_and_b32 s43, s74, 0xff
	s_delay_alu instid0(SALU_CYCLE_1) | instskip(SKIP_1) | instid1(VALU_DEP_1)
	s_cmp_lt_i32 s43, 11
	s_wait_kmcnt 0x0
	v_add_nc_u64_e32 v[2:3], s[4:5], v[2:3]
	s_cbranch_scc1 .LBB95_1493
; %bb.1361:
	s_and_b32 s54, 0xffff, s43
	s_delay_alu instid0(SALU_CYCLE_1)
	s_cmp_gt_i32 s54, 25
	s_cbranch_scc0 .LBB95_1620
; %bb.1362:
	s_cmp_gt_i32 s54, 28
	s_cbranch_scc0 .LBB95_1747
; %bb.1363:
	s_mov_b64 s[4:5], s[72:73]
	s_mov_b64 s[6:7], s[74:75]
	s_cmp_gt_i32 s54, 43
	s_cbranch_scc0 .LBB95_1960
; %bb.1364:
	s_cmp_gt_i32 s54, 45
	s_cbranch_scc0 .LBB95_3605
; %bb.1365:
	s_mov_b32 s56, 0
	s_mov_b32 s42, -1
	s_cmp_eq_u32 s54, 46
	s_mov_b32 s55, 0
	s_cbranch_scc0 .LBB95_3606
; %bb.1366:
	v_mov_b32_e32 v1, 0
	s_mov_b32 s55, -1
	s_mov_b32 s42, 0
	global_store_b32 v[2:3], v1, off
	s_branch .LBB95_3606
.LBB95_1367:
	s_mov_b32 s26, -1
	s_mov_b32 s41, 0
.LBB95_1368:
                                        ; implicit-def: $vgpr4_vgpr5
.LBB95_1369:
	s_and_b32 vcc_lo, exec_lo, s42
	s_cbranch_vccz .LBB95_1373
; %bb.1370:
	s_cmp_eq_u32 s35, 44
	s_cbranch_scc0 .LBB95_1372
; %bb.1371:
	global_load_u8 v1, v[14:15], off
	s_mov_b32 s26, 0
	s_mov_b32 s41, -1
	s_wait_loadcnt 0x0
	v_lshlrev_b32_e32 v3, 23, v1
	v_cmp_ne_u32_e32 vcc_lo, 0, v1
	s_delay_alu instid0(VALU_DEP_2) | instskip(NEXT) | instid1(VALU_DEP_1)
	v_trunc_f32_e32 v3, v3
	v_mul_f32_e64 v4, 0x2f800000, |v3|
	s_delay_alu instid0(VALU_DEP_1) | instskip(SKIP_1) | instid1(VALU_DEP_2)
	v_floor_f32_e32 v5, v4
	v_ashrrev_i32_e32 v4, 31, v3
	v_fma_f32 v7, 0xcf800000, v5, |v3|
	v_cvt_u32_f32_e32 v3, v5
	s_delay_alu instid0(VALU_DEP_3) | instskip(NEXT) | instid1(VALU_DEP_3)
	v_mov_b32_e32 v5, v4
	v_cvt_u32_f32_e32 v7, v7
	s_delay_alu instid0(VALU_DEP_3) | instskip(NEXT) | instid1(VALU_DEP_2)
	v_xor_b32_e32 v17, v3, v4
	v_xor_b32_e32 v16, v7, v4
	s_delay_alu instid0(VALU_DEP_1) | instskip(NEXT) | instid1(VALU_DEP_1)
	v_sub_nc_u64_e32 v[4:5], v[16:17], v[4:5]
	v_dual_cndmask_b32 v5, 0, v5 :: v_dual_cndmask_b32 v4, 0, v4
	s_branch .LBB95_1373
.LBB95_1372:
	s_mov_b32 s26, -1
                                        ; implicit-def: $vgpr4_vgpr5
.LBB95_1373:
	s_mov_b32 s42, 0
.LBB95_1374:
	s_delay_alu instid0(SALU_CYCLE_1)
	s_and_b32 vcc_lo, exec_lo, s42
	s_cbranch_vccz .LBB95_1378
; %bb.1375:
	s_cmp_eq_u32 s35, 29
	s_cbranch_scc0 .LBB95_1377
; %bb.1376:
	global_load_b64 v[4:5], v[14:15], off
	s_mov_b32 s41, -1
	s_mov_b32 s26, 0
	s_branch .LBB95_1378
.LBB95_1377:
	s_mov_b32 s26, -1
                                        ; implicit-def: $vgpr4_vgpr5
.LBB95_1378:
	s_mov_b32 s42, 0
.LBB95_1379:
	s_delay_alu instid0(SALU_CYCLE_1)
	s_and_b32 vcc_lo, exec_lo, s42
	s_cbranch_vccz .LBB95_1395
; %bb.1380:
	s_cmp_lt_i32 s35, 27
	s_cbranch_scc1 .LBB95_1383
; %bb.1381:
	s_cmp_gt_i32 s35, 27
	s_cbranch_scc0 .LBB95_1384
; %bb.1382:
	s_wait_loadcnt 0x0
	global_load_b32 v4, v[14:15], off
	v_mov_b32_e32 v5, 0
	s_mov_b32 s41, 0
	s_branch .LBB95_1385
.LBB95_1383:
	s_mov_b32 s41, -1
                                        ; implicit-def: $vgpr4_vgpr5
	s_branch .LBB95_1388
.LBB95_1384:
	s_mov_b32 s41, -1
                                        ; implicit-def: $vgpr4_vgpr5
.LBB95_1385:
	s_delay_alu instid0(SALU_CYCLE_1)
	s_and_not1_b32 vcc_lo, exec_lo, s41
	s_cbranch_vccnz .LBB95_1387
; %bb.1386:
	global_load_u16 v1, v[14:15], off
	s_mov_b32 s20, 0
	s_wait_loadcnt 0x1
	v_mov_b32_e32 v5, s20
	s_wait_loadcnt 0x0
	v_and_b32_e32 v4, 0xffff, v1
.LBB95_1387:
	s_mov_b32 s41, 0
.LBB95_1388:
	s_delay_alu instid0(SALU_CYCLE_1)
	s_and_not1_b32 vcc_lo, exec_lo, s41
	s_cbranch_vccnz .LBB95_1394
; %bb.1389:
	global_load_u8 v1, v[14:15], off
	s_mov_b32 s42, 0
	s_mov_b32 s20, exec_lo
	s_wait_loadcnt 0x0
	v_cmpx_lt_i16_e32 0x7f, v1
	s_xor_b32 s41, exec_lo, s20
	s_cbranch_execz .LBB95_1406
; %bb.1390:
	v_cmp_ne_u16_e32 vcc_lo, 0x80, v1
	s_and_b32 s42, vcc_lo, exec_lo
	s_and_not1_saveexec_b32 s41, s41
	s_cbranch_execnz .LBB95_1407
.LBB95_1391:
	s_or_b32 exec_lo, exec_lo, s41
	v_mov_b64_e32 v[4:5], 0
	s_and_saveexec_b32 s41, s42
	s_cbranch_execz .LBB95_1393
.LBB95_1392:
	v_and_b32_e32 v3, 0xffff, v1
	s_delay_alu instid0(VALU_DEP_1) | instskip(SKIP_1) | instid1(VALU_DEP_2)
	v_and_b32_e32 v4, 7, v3
	v_bfe_u32 v9, v3, 3, 4
	v_clz_i32_u32_e32 v5, v4
	s_delay_alu instid0(VALU_DEP_2) | instskip(NEXT) | instid1(VALU_DEP_2)
	v_cmp_eq_u32_e32 vcc_lo, 0, v9
	v_min_u32_e32 v5, 32, v5
	s_delay_alu instid0(VALU_DEP_1) | instskip(NEXT) | instid1(VALU_DEP_1)
	v_subrev_nc_u32_e32 v7, 28, v5
	v_dual_lshlrev_b32 v3, v7, v3 :: v_dual_sub_nc_u32 v5, 29, v5
	s_delay_alu instid0(VALU_DEP_1) | instskip(NEXT) | instid1(VALU_DEP_1)
	v_dual_lshlrev_b32 v1, 24, v1 :: v_dual_bitop2_b32 v3, 7, v3 bitop3:0x40
	v_dual_cndmask_b32 v3, v4, v3, vcc_lo :: v_dual_cndmask_b32 v5, v9, v5, vcc_lo
	s_delay_alu instid0(VALU_DEP_2) | instskip(NEXT) | instid1(VALU_DEP_2)
	v_and_b32_e32 v1, 0x80000000, v1
	v_lshlrev_b32_e32 v3, 20, v3
	s_delay_alu instid0(VALU_DEP_3) | instskip(NEXT) | instid1(VALU_DEP_1)
	v_lshl_add_u32 v4, v5, 23, 0x3b800000
	v_or3_b32 v1, v1, v4, v3
	s_delay_alu instid0(VALU_DEP_1) | instskip(NEXT) | instid1(VALU_DEP_1)
	v_trunc_f32_e32 v1, v1
	v_mul_f32_e64 v3, 0x2f800000, |v1|
	v_ashrrev_i32_e32 v4, 31, v1
	s_delay_alu instid0(VALU_DEP_2) | instskip(NEXT) | instid1(VALU_DEP_1)
	v_floor_f32_e32 v3, v3
	v_fma_f32 v5, 0xcf800000, v3, |v1|
	v_cvt_u32_f32_e32 v1, v3
	s_delay_alu instid0(VALU_DEP_2) | instskip(NEXT) | instid1(VALU_DEP_2)
	v_cvt_u32_f32_e32 v3, v5
	v_dual_mov_b32 v5, v4 :: v_dual_bitop2_b32 v17, v1, v4 bitop3:0x14
	s_delay_alu instid0(VALU_DEP_2) | instskip(NEXT) | instid1(VALU_DEP_1)
	v_xor_b32_e32 v16, v3, v4
	v_sub_nc_u64_e32 v[4:5], v[16:17], v[4:5]
.LBB95_1393:
	s_or_b32 exec_lo, exec_lo, s41
.LBB95_1394:
	s_mov_b32 s41, -1
.LBB95_1395:
	s_mov_b32 s42, 0
.LBB95_1396:
	s_delay_alu instid0(SALU_CYCLE_1)
	s_and_b32 vcc_lo, exec_lo, s42
	s_cbranch_vccz .LBB95_1429
; %bb.1397:
	s_cmp_gt_i32 s35, 22
	s_cbranch_scc0 .LBB95_1405
; %bb.1398:
	s_cmp_lt_i32 s35, 24
	s_cbranch_scc1 .LBB95_1408
; %bb.1399:
	s_cmp_gt_i32 s35, 24
	s_cbranch_scc0 .LBB95_1409
; %bb.1400:
	global_load_u8 v1, v[14:15], off
	s_mov_b32 s42, 0
	s_mov_b32 s20, exec_lo
	s_wait_loadcnt 0x0
	v_cmpx_lt_i16_e32 0x7f, v1
	s_xor_b32 s41, exec_lo, s20
	s_cbranch_execz .LBB95_1421
; %bb.1401:
	v_cmp_ne_u16_e32 vcc_lo, 0x80, v1
	s_and_b32 s42, vcc_lo, exec_lo
	s_and_not1_saveexec_b32 s41, s41
	s_cbranch_execnz .LBB95_1422
.LBB95_1402:
	s_or_b32 exec_lo, exec_lo, s41
	v_mov_b64_e32 v[4:5], 0
	s_and_saveexec_b32 s41, s42
	s_cbranch_execz .LBB95_1404
.LBB95_1403:
	v_and_b32_e32 v3, 0xffff, v1
	s_delay_alu instid0(VALU_DEP_1) | instskip(SKIP_1) | instid1(VALU_DEP_2)
	v_and_b32_e32 v4, 3, v3
	v_bfe_u32 v9, v3, 2, 5
	v_clz_i32_u32_e32 v5, v4
	s_delay_alu instid0(VALU_DEP_2) | instskip(NEXT) | instid1(VALU_DEP_2)
	v_cmp_eq_u32_e32 vcc_lo, 0, v9
	v_min_u32_e32 v5, 32, v5
	s_delay_alu instid0(VALU_DEP_1) | instskip(NEXT) | instid1(VALU_DEP_1)
	v_subrev_nc_u32_e32 v7, 29, v5
	v_dual_lshlrev_b32 v3, v7, v3 :: v_dual_sub_nc_u32 v5, 30, v5
	s_delay_alu instid0(VALU_DEP_1) | instskip(NEXT) | instid1(VALU_DEP_1)
	v_dual_lshlrev_b32 v1, 24, v1 :: v_dual_bitop2_b32 v3, 3, v3 bitop3:0x40
	v_dual_cndmask_b32 v3, v4, v3, vcc_lo :: v_dual_cndmask_b32 v5, v9, v5, vcc_lo
	s_delay_alu instid0(VALU_DEP_2) | instskip(NEXT) | instid1(VALU_DEP_2)
	v_and_b32_e32 v1, 0x80000000, v1
	v_lshlrev_b32_e32 v3, 21, v3
	s_delay_alu instid0(VALU_DEP_3) | instskip(NEXT) | instid1(VALU_DEP_1)
	v_lshl_add_u32 v4, v5, 23, 0x37800000
	v_or3_b32 v1, v1, v4, v3
	s_delay_alu instid0(VALU_DEP_1) | instskip(NEXT) | instid1(VALU_DEP_1)
	v_trunc_f32_e32 v1, v1
	v_mul_f32_e64 v3, 0x2f800000, |v1|
	v_ashrrev_i32_e32 v4, 31, v1
	s_delay_alu instid0(VALU_DEP_2) | instskip(NEXT) | instid1(VALU_DEP_1)
	v_floor_f32_e32 v3, v3
	v_fma_f32 v5, 0xcf800000, v3, |v1|
	v_cvt_u32_f32_e32 v1, v3
	s_delay_alu instid0(VALU_DEP_2) | instskip(NEXT) | instid1(VALU_DEP_2)
	v_cvt_u32_f32_e32 v3, v5
	v_dual_mov_b32 v5, v4 :: v_dual_bitop2_b32 v17, v1, v4 bitop3:0x14
	s_delay_alu instid0(VALU_DEP_2) | instskip(NEXT) | instid1(VALU_DEP_1)
	v_xor_b32_e32 v16, v3, v4
	v_sub_nc_u64_e32 v[4:5], v[16:17], v[4:5]
.LBB95_1404:
	s_or_b32 exec_lo, exec_lo, s41
	s_mov_b32 s41, 0
	s_branch .LBB95_1410
.LBB95_1405:
	s_mov_b32 s42, -1
                                        ; implicit-def: $vgpr4_vgpr5
	s_branch .LBB95_1416
.LBB95_1406:
	s_and_not1_saveexec_b32 s41, s41
	s_cbranch_execz .LBB95_1391
.LBB95_1407:
	v_cmp_ne_u16_e32 vcc_lo, 0, v1
	s_and_not1_b32 s20, s42, exec_lo
	s_and_b32 s21, vcc_lo, exec_lo
	s_delay_alu instid0(SALU_CYCLE_1)
	s_or_b32 s42, s20, s21
	s_or_b32 exec_lo, exec_lo, s41
	v_mov_b64_e32 v[4:5], 0
	s_and_saveexec_b32 s41, s42
	s_cbranch_execnz .LBB95_1392
	s_branch .LBB95_1393
.LBB95_1408:
	s_mov_b32 s41, -1
                                        ; implicit-def: $vgpr4_vgpr5
	s_branch .LBB95_1413
.LBB95_1409:
	s_mov_b32 s41, -1
                                        ; implicit-def: $vgpr4_vgpr5
.LBB95_1410:
	s_delay_alu instid0(SALU_CYCLE_1)
	s_and_b32 vcc_lo, exec_lo, s41
	s_cbranch_vccz .LBB95_1412
; %bb.1411:
	global_load_u8 v1, v[14:15], off
	s_wait_loadcnt 0x0
	v_lshlrev_b32_e32 v1, 24, v1
	s_delay_alu instid0(VALU_DEP_1) | instskip(NEXT) | instid1(VALU_DEP_1)
	v_and_b32_e32 v3, 0x7f000000, v1
	v_clz_i32_u32_e32 v4, v3
	v_add_nc_u32_e32 v7, 0x1000000, v3
	v_cmp_ne_u32_e32 vcc_lo, 0, v3
	s_delay_alu instid0(VALU_DEP_3) | instskip(NEXT) | instid1(VALU_DEP_1)
	v_min_u32_e32 v4, 32, v4
	v_sub_nc_u32_e64 v4, v4, 4 clamp
	s_delay_alu instid0(VALU_DEP_1) | instskip(NEXT) | instid1(VALU_DEP_1)
	v_dual_lshlrev_b32 v5, v4, v3 :: v_dual_lshlrev_b32 v4, 23, v4
	v_lshrrev_b32_e32 v5, 4, v5
	s_delay_alu instid0(VALU_DEP_1) | instskip(NEXT) | instid1(VALU_DEP_1)
	v_dual_sub_nc_u32 v4, v5, v4 :: v_dual_ashrrev_i32 v5, 8, v7
	v_add_nc_u32_e32 v4, 0x3c000000, v4
	s_delay_alu instid0(VALU_DEP_1) | instskip(NEXT) | instid1(VALU_DEP_1)
	v_and_or_b32 v4, 0x7f800000, v5, v4
	v_cndmask_b32_e32 v3, 0, v4, vcc_lo
	s_delay_alu instid0(VALU_DEP_1) | instskip(NEXT) | instid1(VALU_DEP_1)
	v_and_or_b32 v1, 0x80000000, v1, v3
	v_trunc_f32_e32 v1, v1
	s_delay_alu instid0(VALU_DEP_1) | instskip(SKIP_1) | instid1(VALU_DEP_2)
	v_mul_f32_e64 v3, 0x2f800000, |v1|
	v_ashrrev_i32_e32 v4, 31, v1
	v_floor_f32_e32 v3, v3
	s_delay_alu instid0(VALU_DEP_1) | instskip(SKIP_1) | instid1(VALU_DEP_2)
	v_fma_f32 v5, 0xcf800000, v3, |v1|
	v_cvt_u32_f32_e32 v1, v3
	v_cvt_u32_f32_e32 v3, v5
	s_delay_alu instid0(VALU_DEP_2) | instskip(NEXT) | instid1(VALU_DEP_2)
	v_dual_mov_b32 v5, v4 :: v_dual_bitop2_b32 v17, v1, v4 bitop3:0x14
	v_xor_b32_e32 v16, v3, v4
	s_delay_alu instid0(VALU_DEP_1)
	v_sub_nc_u64_e32 v[4:5], v[16:17], v[4:5]
.LBB95_1412:
	s_mov_b32 s41, 0
.LBB95_1413:
	s_delay_alu instid0(SALU_CYCLE_1)
	s_and_not1_b32 vcc_lo, exec_lo, s41
	s_cbranch_vccnz .LBB95_1415
; %bb.1414:
	global_load_u8 v1, v[14:15], off
	s_wait_loadcnt 0x0
	v_lshlrev_b32_e32 v3, 25, v1
	v_lshlrev_b16 v1, 8, v1
	s_delay_alu instid0(VALU_DEP_1) | instskip(NEXT) | instid1(VALU_DEP_3)
	v_and_or_b32 v5, 0x7f00, v1, 0.5
	v_lshrrev_b32_e32 v4, 4, v3
	v_bfe_i32 v1, v1, 0, 16
	s_delay_alu instid0(VALU_DEP_3) | instskip(NEXT) | instid1(VALU_DEP_3)
	v_add_f32_e32 v5, -0.5, v5
	v_or_b32_e32 v4, 0x70000000, v4
	s_delay_alu instid0(VALU_DEP_1) | instskip(SKIP_1) | instid1(VALU_DEP_2)
	v_mul_f32_e32 v4, 0x7800000, v4
	v_cmp_gt_u32_e32 vcc_lo, 0x8000000, v3
	v_cndmask_b32_e32 v3, v4, v5, vcc_lo
	s_delay_alu instid0(VALU_DEP_1) | instskip(NEXT) | instid1(VALU_DEP_1)
	v_and_or_b32 v1, 0x80000000, v1, v3
	v_trunc_f32_e32 v1, v1
	s_delay_alu instid0(VALU_DEP_1) | instskip(SKIP_1) | instid1(VALU_DEP_2)
	v_mul_f32_e64 v3, 0x2f800000, |v1|
	v_ashrrev_i32_e32 v4, 31, v1
	v_floor_f32_e32 v3, v3
	s_delay_alu instid0(VALU_DEP_1) | instskip(SKIP_1) | instid1(VALU_DEP_2)
	v_fma_f32 v5, 0xcf800000, v3, |v1|
	v_cvt_u32_f32_e32 v1, v3
	v_cvt_u32_f32_e32 v3, v5
	s_delay_alu instid0(VALU_DEP_2) | instskip(NEXT) | instid1(VALU_DEP_2)
	v_dual_mov_b32 v5, v4 :: v_dual_bitop2_b32 v17, v1, v4 bitop3:0x14
	v_xor_b32_e32 v16, v3, v4
	s_delay_alu instid0(VALU_DEP_1)
	v_sub_nc_u64_e32 v[4:5], v[16:17], v[4:5]
.LBB95_1415:
	s_mov_b32 s42, 0
	s_mov_b32 s41, -1
.LBB95_1416:
	s_and_not1_b32 vcc_lo, exec_lo, s42
	s_cbranch_vccnz .LBB95_1429
; %bb.1417:
	s_cmp_gt_i32 s35, 14
	s_cbranch_scc0 .LBB95_1420
; %bb.1418:
	s_cmp_eq_u32 s35, 15
	s_cbranch_scc0 .LBB95_1423
; %bb.1419:
	global_load_u16 v1, v[14:15], off
	s_mov_b32 s41, -1
	s_mov_b32 s26, 0
	s_wait_loadcnt 0x0
	v_lshlrev_b32_e32 v1, 16, v1
	s_delay_alu instid0(VALU_DEP_1) | instskip(NEXT) | instid1(VALU_DEP_1)
	v_trunc_f32_e32 v1, v1
	v_mul_f32_e64 v3, 0x2f800000, |v1|
	v_ashrrev_i32_e32 v4, 31, v1
	s_delay_alu instid0(VALU_DEP_2) | instskip(NEXT) | instid1(VALU_DEP_1)
	v_floor_f32_e32 v3, v3
	v_fma_f32 v5, 0xcf800000, v3, |v1|
	v_cvt_u32_f32_e32 v1, v3
	s_delay_alu instid0(VALU_DEP_2) | instskip(NEXT) | instid1(VALU_DEP_2)
	v_cvt_u32_f32_e32 v3, v5
	v_dual_mov_b32 v5, v4 :: v_dual_bitop2_b32 v17, v1, v4 bitop3:0x14
	s_delay_alu instid0(VALU_DEP_2) | instskip(NEXT) | instid1(VALU_DEP_1)
	v_xor_b32_e32 v16, v3, v4
	v_sub_nc_u64_e32 v[4:5], v[16:17], v[4:5]
	s_branch .LBB95_1424
.LBB95_1420:
	s_mov_b32 s42, -1
                                        ; implicit-def: $vgpr4_vgpr5
	s_branch .LBB95_1425
.LBB95_1421:
	s_and_not1_saveexec_b32 s41, s41
	s_cbranch_execz .LBB95_1402
.LBB95_1422:
	v_cmp_ne_u16_e32 vcc_lo, 0, v1
	s_and_not1_b32 s20, s42, exec_lo
	s_and_b32 s21, vcc_lo, exec_lo
	s_delay_alu instid0(SALU_CYCLE_1)
	s_or_b32 s42, s20, s21
	s_or_b32 exec_lo, exec_lo, s41
	v_mov_b64_e32 v[4:5], 0
	s_and_saveexec_b32 s41, s42
	s_cbranch_execnz .LBB95_1403
	s_branch .LBB95_1404
.LBB95_1423:
	s_mov_b32 s26, -1
                                        ; implicit-def: $vgpr4_vgpr5
.LBB95_1424:
	s_mov_b32 s42, 0
.LBB95_1425:
	s_delay_alu instid0(SALU_CYCLE_1)
	s_and_b32 vcc_lo, exec_lo, s42
	s_cbranch_vccz .LBB95_1429
; %bb.1426:
	s_cmp_eq_u32 s35, 11
	s_cbranch_scc0 .LBB95_1428
; %bb.1427:
	global_load_u8 v1, v[14:15], off
	s_mov_b32 s26, 0
	s_mov_b32 s41, -1
	s_wait_loadcnt 0x1
	v_mov_b32_e32 v5, s26
	s_wait_loadcnt 0x0
	v_cmp_ne_u16_e32 vcc_lo, 0, v1
	v_cndmask_b32_e64 v4, 0, 1, vcc_lo
	s_branch .LBB95_1429
.LBB95_1428:
	s_mov_b32 s26, -1
                                        ; implicit-def: $vgpr4_vgpr5
.LBB95_1429:
	s_mov_b32 s35, 0
.LBB95_1430:
	s_delay_alu instid0(SALU_CYCLE_1)
	s_and_b32 vcc_lo, exec_lo, s35
	s_cbranch_vccz .LBB95_1479
; %bb.1431:
	s_and_b32 s0, 0xffff, s0
	s_delay_alu instid0(SALU_CYCLE_1)
	s_cmp_lt_i32 s0, 5
	s_cbranch_scc1 .LBB95_1436
; %bb.1432:
	s_cmp_lt_i32 s0, 8
	s_cbranch_scc1 .LBB95_1437
; %bb.1433:
	;; [unrolled: 3-line block ×3, first 2 shown]
	s_cmp_gt_i32 s0, 9
	s_cbranch_scc0 .LBB95_1439
; %bb.1435:
	s_wait_loadcnt 0x0
	global_load_b64 v[4:5], v[14:15], off
	s_mov_b32 s35, 0
	s_wait_loadcnt 0x0
	v_trunc_f64_e32 v[4:5], v[4:5]
	s_delay_alu instid0(VALU_DEP_1) | instskip(NEXT) | instid1(VALU_DEP_1)
	v_ldexp_f64 v[16:17], v[4:5], 0xffffffe0
	v_floor_f64_e32 v[16:17], v[16:17]
	s_delay_alu instid0(VALU_DEP_1) | instskip(SKIP_1) | instid1(VALU_DEP_2)
	v_fmamk_f64 v[18:19], v[16:17], 0xc1f00000, v[4:5]
	v_cvt_i32_f64_e32 v5, v[16:17]
	v_cvt_u32_f64_e32 v4, v[18:19]
	s_branch .LBB95_1440
.LBB95_1436:
	s_mov_b32 s35, -1
                                        ; implicit-def: $vgpr4_vgpr5
	s_branch .LBB95_1458
.LBB95_1437:
	s_mov_b32 s35, -1
                                        ; implicit-def: $vgpr4_vgpr5
	s_branch .LBB95_1446
.LBB95_1438:
	s_mov_b32 s35, -1
                                        ; implicit-def: $vgpr4_vgpr5
	s_branch .LBB95_1443
.LBB95_1439:
	s_mov_b32 s35, -1
                                        ; implicit-def: $vgpr4_vgpr5
.LBB95_1440:
	s_delay_alu instid0(SALU_CYCLE_1)
	s_and_not1_b32 vcc_lo, exec_lo, s35
	s_cbranch_vccnz .LBB95_1442
; %bb.1441:
	global_load_b32 v1, v[14:15], off
	s_wait_loadcnt 0x0
	v_trunc_f32_e32 v1, v1
	s_delay_alu instid0(VALU_DEP_1) | instskip(SKIP_1) | instid1(VALU_DEP_2)
	v_mul_f32_e64 v3, 0x2f800000, |v1|
	v_ashrrev_i32_e32 v4, 31, v1
	v_floor_f32_e32 v3, v3
	s_delay_alu instid0(VALU_DEP_1) | instskip(SKIP_1) | instid1(VALU_DEP_2)
	v_fma_f32 v5, 0xcf800000, v3, |v1|
	v_cvt_u32_f32_e32 v1, v3
	v_cvt_u32_f32_e32 v3, v5
	s_delay_alu instid0(VALU_DEP_2) | instskip(NEXT) | instid1(VALU_DEP_2)
	v_dual_mov_b32 v5, v4 :: v_dual_bitop2_b32 v17, v1, v4 bitop3:0x14
	v_xor_b32_e32 v16, v3, v4
	s_delay_alu instid0(VALU_DEP_1)
	v_sub_nc_u64_e32 v[4:5], v[16:17], v[4:5]
.LBB95_1442:
	s_mov_b32 s35, 0
.LBB95_1443:
	s_delay_alu instid0(SALU_CYCLE_1)
	s_and_not1_b32 vcc_lo, exec_lo, s35
	s_cbranch_vccnz .LBB95_1445
; %bb.1444:
	global_load_b32 v1, v[14:15], off
	s_wait_loadcnt 0x0
	v_cvt_f32_f16_e32 v1, v1
	s_delay_alu instid0(VALU_DEP_1) | instskip(NEXT) | instid1(VALU_DEP_1)
	v_cvt_i32_f32_e32 v4, v1
	v_ashrrev_i32_e32 v5, 31, v4
.LBB95_1445:
	s_mov_b32 s35, 0
.LBB95_1446:
	s_delay_alu instid0(SALU_CYCLE_1)
	s_and_not1_b32 vcc_lo, exec_lo, s35
	s_cbranch_vccnz .LBB95_1457
; %bb.1447:
	s_cmp_lt_i32 s0, 6
	s_cbranch_scc1 .LBB95_1450
; %bb.1448:
	s_cmp_gt_i32 s0, 6
	s_cbranch_scc0 .LBB95_1451
; %bb.1449:
	s_wait_loadcnt 0x0
	global_load_b64 v[4:5], v[14:15], off
	s_mov_b32 s35, 0
	s_wait_loadcnt 0x0
	v_trunc_f64_e32 v[4:5], v[4:5]
	s_delay_alu instid0(VALU_DEP_1) | instskip(NEXT) | instid1(VALU_DEP_1)
	v_ldexp_f64 v[16:17], v[4:5], 0xffffffe0
	v_floor_f64_e32 v[16:17], v[16:17]
	s_delay_alu instid0(VALU_DEP_1) | instskip(SKIP_1) | instid1(VALU_DEP_2)
	v_fmamk_f64 v[18:19], v[16:17], 0xc1f00000, v[4:5]
	v_cvt_i32_f64_e32 v5, v[16:17]
	v_cvt_u32_f64_e32 v4, v[18:19]
	s_branch .LBB95_1452
.LBB95_1450:
	s_mov_b32 s35, -1
                                        ; implicit-def: $vgpr4_vgpr5
	s_branch .LBB95_1455
.LBB95_1451:
	s_mov_b32 s35, -1
                                        ; implicit-def: $vgpr4_vgpr5
.LBB95_1452:
	s_delay_alu instid0(SALU_CYCLE_1)
	s_and_not1_b32 vcc_lo, exec_lo, s35
	s_cbranch_vccnz .LBB95_1454
; %bb.1453:
	global_load_b32 v1, v[14:15], off
	s_wait_loadcnt 0x0
	v_trunc_f32_e32 v1, v1
	s_delay_alu instid0(VALU_DEP_1) | instskip(SKIP_1) | instid1(VALU_DEP_2)
	v_mul_f32_e64 v3, 0x2f800000, |v1|
	v_ashrrev_i32_e32 v4, 31, v1
	v_floor_f32_e32 v3, v3
	s_delay_alu instid0(VALU_DEP_1) | instskip(SKIP_1) | instid1(VALU_DEP_2)
	v_fma_f32 v5, 0xcf800000, v3, |v1|
	v_cvt_u32_f32_e32 v1, v3
	v_cvt_u32_f32_e32 v3, v5
	s_delay_alu instid0(VALU_DEP_2) | instskip(NEXT) | instid1(VALU_DEP_2)
	v_dual_mov_b32 v5, v4 :: v_dual_bitop2_b32 v17, v1, v4 bitop3:0x14
	v_xor_b32_e32 v16, v3, v4
	s_delay_alu instid0(VALU_DEP_1)
	v_sub_nc_u64_e32 v[4:5], v[16:17], v[4:5]
.LBB95_1454:
	s_mov_b32 s35, 0
.LBB95_1455:
	s_delay_alu instid0(SALU_CYCLE_1)
	s_and_not1_b32 vcc_lo, exec_lo, s35
	s_cbranch_vccnz .LBB95_1457
; %bb.1456:
	global_load_u16 v1, v[14:15], off
	s_wait_loadcnt 0x0
	v_cvt_f32_f16_e32 v1, v1
	s_delay_alu instid0(VALU_DEP_1) | instskip(NEXT) | instid1(VALU_DEP_1)
	v_cvt_i32_f32_e32 v4, v1
	v_ashrrev_i32_e32 v5, 31, v4
.LBB95_1457:
	s_mov_b32 s35, 0
.LBB95_1458:
	s_delay_alu instid0(SALU_CYCLE_1)
	s_and_not1_b32 vcc_lo, exec_lo, s35
	s_cbranch_vccnz .LBB95_1478
; %bb.1459:
	s_cmp_lt_i32 s0, 2
	s_cbranch_scc1 .LBB95_1463
; %bb.1460:
	s_cmp_lt_i32 s0, 3
	s_cbranch_scc1 .LBB95_1464
; %bb.1461:
	s_cmp_gt_i32 s0, 3
	s_cbranch_scc0 .LBB95_1465
; %bb.1462:
	s_wait_loadcnt 0x0
	global_load_b64 v[4:5], v[14:15], off
	s_mov_b32 s35, 0
	s_branch .LBB95_1466
.LBB95_1463:
	s_mov_b32 s35, -1
                                        ; implicit-def: $vgpr4_vgpr5
	s_branch .LBB95_1472
.LBB95_1464:
	s_mov_b32 s35, -1
                                        ; implicit-def: $vgpr4_vgpr5
	s_branch .LBB95_1469
.LBB95_1465:
	s_mov_b32 s35, -1
                                        ; implicit-def: $vgpr4_vgpr5
.LBB95_1466:
	s_delay_alu instid0(SALU_CYCLE_1)
	s_and_not1_b32 vcc_lo, exec_lo, s35
	s_cbranch_vccnz .LBB95_1468
; %bb.1467:
	s_wait_loadcnt 0x0
	global_load_b32 v4, v[14:15], off
	s_wait_loadcnt 0x0
	v_ashrrev_i32_e32 v5, 31, v4
.LBB95_1468:
	s_mov_b32 s35, 0
.LBB95_1469:
	s_delay_alu instid0(SALU_CYCLE_1)
	s_and_not1_b32 vcc_lo, exec_lo, s35
	s_cbranch_vccnz .LBB95_1471
; %bb.1470:
	global_load_u16 v1, v[14:15], off
	s_wait_loadcnt 0x0
	v_bfe_i32 v4, v1, 0, 16
	s_delay_alu instid0(VALU_DEP_1)
	v_ashrrev_i32_e32 v5, 31, v4
.LBB95_1471:
	s_mov_b32 s35, 0
.LBB95_1472:
	s_delay_alu instid0(SALU_CYCLE_1)
	s_and_not1_b32 vcc_lo, exec_lo, s35
	s_cbranch_vccnz .LBB95_1478
; %bb.1473:
	s_cmp_gt_i32 s0, 0
	s_mov_b32 s0, 0
	s_cbranch_scc0 .LBB95_1475
; %bb.1474:
	global_load_i8 v1, v[14:15], off
	s_wait_loadcnt 0x0
	v_bfe_i32 v4, v1, 0, 16
	s_delay_alu instid0(VALU_DEP_1)
	v_ashrrev_i32_e32 v5, 31, v4
	s_branch .LBB95_1476
.LBB95_1475:
	s_mov_b32 s0, -1
                                        ; implicit-def: $vgpr4_vgpr5
.LBB95_1476:
	s_delay_alu instid0(SALU_CYCLE_1)
	s_and_not1_b32 vcc_lo, exec_lo, s0
	s_cbranch_vccnz .LBB95_1478
; %bb.1477:
	global_load_u8 v1, v[14:15], off
	s_mov_b32 s0, 0
	s_wait_loadcnt 0x1
	v_mov_b32_e32 v5, s0
	s_wait_loadcnt 0x0
	v_and_b32_e32 v4, 0xffff, v1
.LBB95_1478:
	s_mov_b32 s41, -1
.LBB95_1479:
	s_delay_alu instid0(SALU_CYCLE_1)
	s_and_not1_b32 vcc_lo, exec_lo, s41
                                        ; implicit-def: $vgpr66 : SGPR spill to VGPR lane
	v_writelane_b32 v66, s48, 0
	s_cbranch_vccnz .LBB95_1487
; %bb.1480:
	s_load_b512 s[4:19], s[2:3], 0x248
	v_mov_b32_e32 v9, 0
	s_and_b32 s0, s70, 0xff
	s_delay_alu instid0(SALU_CYCLE_1) | instskip(SKIP_1) | instid1(VALU_DEP_1)
	s_cmp_lt_i32 s0, 11
	s_wait_kmcnt 0x0
	v_add_nc_u64_e32 v[14:15], s[8:9], v[8:9]
	s_cbranch_scc1 .LBB95_1488
; %bb.1481:
	s_and_b32 s35, 0xffff, s0
	s_delay_alu instid0(SALU_CYCLE_1)
	s_cmp_gt_i32 s35, 25
	s_cbranch_scc0 .LBB95_1489
; %bb.1482:
	s_cmp_gt_i32 s35, 28
	s_cbranch_scc0 .LBB95_1490
; %bb.1483:
	;; [unrolled: 3-line block ×4, first 2 shown]
	s_cmp_eq_u32 s35, 46
	s_mov_b32 s42, 0
	s_cbranch_scc0 .LBB95_1494
; %bb.1486:
	global_load_b32 v1, v[14:15], off
	s_mov_b32 s41, -1
	s_mov_b32 s27, 0
	s_wait_loadcnt 0x0
	v_lshlrev_b32_e32 v1, 16, v1
	s_delay_alu instid0(VALU_DEP_1) | instskip(NEXT) | instid1(VALU_DEP_1)
	v_trunc_f32_e32 v1, v1
	v_mul_f32_e64 v3, 0x2f800000, |v1|
	v_ashrrev_i32_e32 v8, 31, v1
	s_delay_alu instid0(VALU_DEP_2) | instskip(NEXT) | instid1(VALU_DEP_2)
	v_floor_f32_e32 v3, v3
	v_mov_b32_e32 v9, v8
	s_delay_alu instid0(VALU_DEP_2) | instskip(SKIP_1) | instid1(VALU_DEP_2)
	v_fma_f32 v7, 0xcf800000, v3, |v1|
	v_cvt_u32_f32_e32 v1, v3
	v_cvt_u32_f32_e32 v3, v7
	s_delay_alu instid0(VALU_DEP_2) | instskip(NEXT) | instid1(VALU_DEP_2)
	v_xor_b32_e32 v17, v1, v8
	v_xor_b32_e32 v16, v3, v8
	s_delay_alu instid0(VALU_DEP_1)
	v_sub_nc_u64_e32 v[8:9], v[16:17], v[8:9]
	s_branch .LBB95_1496
.LBB95_1487:
	s_mov_b32 s48, vcc_hi
	s_mov_b32 s0, 0
	s_mov_b32 s35, s40
	s_mov_b32 s41, s96
	s_mov_b32 s42, s79
	s_mov_b32 s54, s93
	s_mov_b32 s43, s94
	s_mov_b32 s100, s91
	s_mov_b32 vcc_hi, s92
	s_mov_b32 s20, s89
	s_mov_b32 s27, s90
	s_branch .LBB95_2085
.LBB95_1488:
	s_mov_b32 s35, -1
	s_mov_b32 s41, 0
	s_mov_b32 s27, s90
                                        ; implicit-def: $vgpr8_vgpr9
	s_branch .LBB95_1557
.LBB95_1489:
	s_mov_b32 s42, -1
	s_mov_b32 s41, 0
	s_mov_b32 s27, s90
                                        ; implicit-def: $vgpr8_vgpr9
	s_branch .LBB95_1523
.LBB95_1490:
	s_mov_b32 s42, -1
	s_mov_b32 s41, 0
	s_mov_b32 s27, s90
                                        ; implicit-def: $vgpr8_vgpr9
	s_branch .LBB95_1506
.LBB95_1491:
	s_mov_b32 s42, -1
	s_mov_b32 s41, 0
	s_mov_b32 s27, s90
                                        ; implicit-def: $vgpr8_vgpr9
	s_branch .LBB95_1501
.LBB95_1492:
	s_mov_b32 s42, -1
	s_mov_b32 s41, 0
	s_mov_b32 s27, s90
	s_branch .LBB95_1495
.LBB95_1493:
	s_mov_b32 s54, -1
	s_mov_b32 s55, 0
	s_mov_b32 s42, s64
	s_branch .LBB95_3646
.LBB95_1494:
	s_mov_b32 s27, -1
	s_mov_b32 s41, 0
.LBB95_1495:
                                        ; implicit-def: $vgpr8_vgpr9
.LBB95_1496:
	s_and_b32 vcc_lo, exec_lo, s42
	s_cbranch_vccz .LBB95_1500
; %bb.1497:
	s_cmp_eq_u32 s35, 44
	s_cbranch_scc0 .LBB95_1499
; %bb.1498:
	global_load_u8 v1, v[14:15], off
	s_mov_b32 s27, 0
	s_mov_b32 s41, -1
	s_wait_loadcnt 0x0
	v_lshlrev_b32_e32 v3, 23, v1
	v_cmp_ne_u32_e32 vcc_lo, 0, v1
	s_delay_alu instid0(VALU_DEP_2) | instskip(NEXT) | instid1(VALU_DEP_1)
	v_trunc_f32_e32 v3, v3
	v_mul_f32_e64 v7, 0x2f800000, |v3|
	v_ashrrev_i32_e32 v8, 31, v3
	s_delay_alu instid0(VALU_DEP_2) | instskip(NEXT) | instid1(VALU_DEP_1)
	v_floor_f32_e32 v7, v7
	v_fma_f32 v9, 0xcf800000, v7, |v3|
	v_cvt_u32_f32_e32 v3, v7
	s_delay_alu instid0(VALU_DEP_2) | instskip(NEXT) | instid1(VALU_DEP_2)
	v_cvt_u32_f32_e32 v7, v9
	v_dual_mov_b32 v9, v8 :: v_dual_bitop2_b32 v17, v3, v8 bitop3:0x14
	s_delay_alu instid0(VALU_DEP_2) | instskip(NEXT) | instid1(VALU_DEP_1)
	v_xor_b32_e32 v16, v7, v8
	v_sub_nc_u64_e32 v[8:9], v[16:17], v[8:9]
	s_delay_alu instid0(VALU_DEP_1)
	v_dual_cndmask_b32 v9, 0, v9 :: v_dual_cndmask_b32 v8, 0, v8
	s_branch .LBB95_1500
.LBB95_1499:
	s_mov_b32 s27, -1
                                        ; implicit-def: $vgpr8_vgpr9
.LBB95_1500:
	s_mov_b32 s42, 0
.LBB95_1501:
	s_delay_alu instid0(SALU_CYCLE_1)
	s_and_b32 vcc_lo, exec_lo, s42
	s_cbranch_vccz .LBB95_1505
; %bb.1502:
	s_cmp_eq_u32 s35, 29
	s_cbranch_scc0 .LBB95_1504
; %bb.1503:
	global_load_b64 v[8:9], v[14:15], off
	s_mov_b32 s41, -1
	s_mov_b32 s27, 0
	s_branch .LBB95_1505
.LBB95_1504:
	s_mov_b32 s27, -1
                                        ; implicit-def: $vgpr8_vgpr9
.LBB95_1505:
	s_mov_b32 s42, 0
.LBB95_1506:
	s_delay_alu instid0(SALU_CYCLE_1)
	s_and_b32 vcc_lo, exec_lo, s42
	s_cbranch_vccz .LBB95_1522
; %bb.1507:
	s_cmp_lt_i32 s35, 27
	s_cbranch_scc1 .LBB95_1510
; %bb.1508:
	s_cmp_gt_i32 s35, 27
	s_cbranch_scc0 .LBB95_1511
; %bb.1509:
	s_wait_loadcnt 0x0
	global_load_b32 v8, v[14:15], off
	v_mov_b32_e32 v9, 0
	s_mov_b32 s41, 0
	s_branch .LBB95_1512
.LBB95_1510:
	s_mov_b32 s41, -1
                                        ; implicit-def: $vgpr8_vgpr9
	s_branch .LBB95_1515
.LBB95_1511:
	s_mov_b32 s41, -1
                                        ; implicit-def: $vgpr8_vgpr9
.LBB95_1512:
	s_delay_alu instid0(SALU_CYCLE_1)
	s_and_not1_b32 vcc_lo, exec_lo, s41
	s_cbranch_vccnz .LBB95_1514
; %bb.1513:
	global_load_u16 v1, v[14:15], off
	s_mov_b32 s21, 0
	s_wait_loadcnt 0x1
	v_mov_b32_e32 v9, s21
	s_wait_loadcnt 0x0
	v_and_b32_e32 v8, 0xffff, v1
.LBB95_1514:
	s_mov_b32 s41, 0
.LBB95_1515:
	s_delay_alu instid0(SALU_CYCLE_1)
	s_and_not1_b32 vcc_lo, exec_lo, s41
	s_cbranch_vccnz .LBB95_1521
; %bb.1516:
	global_load_u8 v1, v[14:15], off
	s_mov_b32 s42, 0
	s_mov_b32 s21, exec_lo
	s_wait_loadcnt 0x0
	v_cmpx_lt_i16_e32 0x7f, v1
	s_xor_b32 s41, exec_lo, s21
	s_cbranch_execz .LBB95_1533
; %bb.1517:
	v_cmp_ne_u16_e32 vcc_lo, 0x80, v1
	s_and_b32 s42, vcc_lo, exec_lo
	s_and_not1_saveexec_b32 s41, s41
	s_cbranch_execnz .LBB95_1534
.LBB95_1518:
	s_or_b32 exec_lo, exec_lo, s41
	v_mov_b64_e32 v[8:9], 0
	s_and_saveexec_b32 s41, s42
	s_cbranch_execz .LBB95_1520
.LBB95_1519:
	v_and_b32_e32 v3, 0xffff, v1
	s_delay_alu instid0(VALU_DEP_1) | instskip(SKIP_1) | instid1(VALU_DEP_2)
	v_and_b32_e32 v7, 7, v3
	v_bfe_u32 v11, v3, 3, 4
	v_clz_i32_u32_e32 v8, v7
	s_delay_alu instid0(VALU_DEP_2) | instskip(NEXT) | instid1(VALU_DEP_2)
	v_cmp_eq_u32_e32 vcc_lo, 0, v11
	v_min_u32_e32 v8, 32, v8
	s_delay_alu instid0(VALU_DEP_1) | instskip(NEXT) | instid1(VALU_DEP_1)
	v_subrev_nc_u32_e32 v9, 28, v8
	v_dual_lshlrev_b32 v3, v9, v3 :: v_dual_sub_nc_u32 v8, 29, v8
	s_delay_alu instid0(VALU_DEP_1) | instskip(NEXT) | instid1(VALU_DEP_2)
	v_dual_lshlrev_b32 v1, 24, v1 :: v_dual_bitop2_b32 v3, 7, v3 bitop3:0x40
	v_cndmask_b32_e32 v8, v11, v8, vcc_lo
	s_delay_alu instid0(VALU_DEP_2) | instskip(NEXT) | instid1(VALU_DEP_3)
	v_cndmask_b32_e32 v3, v7, v3, vcc_lo
	v_and_b32_e32 v1, 0x80000000, v1
	s_delay_alu instid0(VALU_DEP_3) | instskip(NEXT) | instid1(VALU_DEP_3)
	v_lshl_add_u32 v7, v8, 23, 0x3b800000
	v_lshlrev_b32_e32 v3, 20, v3
	s_delay_alu instid0(VALU_DEP_1) | instskip(NEXT) | instid1(VALU_DEP_1)
	v_or3_b32 v1, v1, v7, v3
	v_trunc_f32_e32 v1, v1
	s_delay_alu instid0(VALU_DEP_1) | instskip(SKIP_1) | instid1(VALU_DEP_2)
	v_mul_f32_e64 v3, 0x2f800000, |v1|
	v_ashrrev_i32_e32 v8, 31, v1
	v_floor_f32_e32 v3, v3
	s_delay_alu instid0(VALU_DEP_2) | instskip(NEXT) | instid1(VALU_DEP_2)
	v_mov_b32_e32 v9, v8
	v_fma_f32 v7, 0xcf800000, v3, |v1|
	v_cvt_u32_f32_e32 v1, v3
	s_delay_alu instid0(VALU_DEP_2) | instskip(NEXT) | instid1(VALU_DEP_2)
	v_cvt_u32_f32_e32 v3, v7
	v_xor_b32_e32 v17, v1, v8
	s_delay_alu instid0(VALU_DEP_2) | instskip(NEXT) | instid1(VALU_DEP_1)
	v_xor_b32_e32 v16, v3, v8
	v_sub_nc_u64_e32 v[8:9], v[16:17], v[8:9]
.LBB95_1520:
	s_or_b32 exec_lo, exec_lo, s41
.LBB95_1521:
	s_mov_b32 s41, -1
.LBB95_1522:
	s_mov_b32 s42, 0
.LBB95_1523:
	s_delay_alu instid0(SALU_CYCLE_1)
	s_and_b32 vcc_lo, exec_lo, s42
	s_cbranch_vccz .LBB95_1556
; %bb.1524:
	s_cmp_gt_i32 s35, 22
	s_cbranch_scc0 .LBB95_1532
; %bb.1525:
	s_cmp_lt_i32 s35, 24
	s_cbranch_scc1 .LBB95_1535
; %bb.1526:
	s_cmp_gt_i32 s35, 24
	s_cbranch_scc0 .LBB95_1536
; %bb.1527:
	global_load_u8 v1, v[14:15], off
	s_mov_b32 s42, 0
	s_mov_b32 s21, exec_lo
	s_wait_loadcnt 0x0
	v_cmpx_lt_i16_e32 0x7f, v1
	s_xor_b32 s41, exec_lo, s21
	s_cbranch_execz .LBB95_1548
; %bb.1528:
	v_cmp_ne_u16_e32 vcc_lo, 0x80, v1
	s_and_b32 s42, vcc_lo, exec_lo
	s_and_not1_saveexec_b32 s41, s41
	s_cbranch_execnz .LBB95_1549
.LBB95_1529:
	s_or_b32 exec_lo, exec_lo, s41
	v_mov_b64_e32 v[8:9], 0
	s_and_saveexec_b32 s41, s42
	s_cbranch_execz .LBB95_1531
.LBB95_1530:
	v_and_b32_e32 v3, 0xffff, v1
	s_delay_alu instid0(VALU_DEP_1) | instskip(SKIP_1) | instid1(VALU_DEP_2)
	v_and_b32_e32 v7, 3, v3
	v_bfe_u32 v11, v3, 2, 5
	v_clz_i32_u32_e32 v8, v7
	s_delay_alu instid0(VALU_DEP_2) | instskip(NEXT) | instid1(VALU_DEP_2)
	v_cmp_eq_u32_e32 vcc_lo, 0, v11
	v_min_u32_e32 v8, 32, v8
	s_delay_alu instid0(VALU_DEP_1) | instskip(NEXT) | instid1(VALU_DEP_1)
	v_subrev_nc_u32_e32 v9, 29, v8
	v_dual_lshlrev_b32 v3, v9, v3 :: v_dual_sub_nc_u32 v8, 30, v8
	s_delay_alu instid0(VALU_DEP_1) | instskip(NEXT) | instid1(VALU_DEP_2)
	v_dual_lshlrev_b32 v1, 24, v1 :: v_dual_bitop2_b32 v3, 3, v3 bitop3:0x40
	v_cndmask_b32_e32 v8, v11, v8, vcc_lo
	s_delay_alu instid0(VALU_DEP_2) | instskip(NEXT) | instid1(VALU_DEP_3)
	v_cndmask_b32_e32 v3, v7, v3, vcc_lo
	v_and_b32_e32 v1, 0x80000000, v1
	s_delay_alu instid0(VALU_DEP_3) | instskip(NEXT) | instid1(VALU_DEP_3)
	v_lshl_add_u32 v7, v8, 23, 0x37800000
	v_lshlrev_b32_e32 v3, 21, v3
	s_delay_alu instid0(VALU_DEP_1) | instskip(NEXT) | instid1(VALU_DEP_1)
	v_or3_b32 v1, v1, v7, v3
	v_trunc_f32_e32 v1, v1
	s_delay_alu instid0(VALU_DEP_1) | instskip(SKIP_1) | instid1(VALU_DEP_2)
	v_mul_f32_e64 v3, 0x2f800000, |v1|
	v_ashrrev_i32_e32 v8, 31, v1
	v_floor_f32_e32 v3, v3
	s_delay_alu instid0(VALU_DEP_2) | instskip(NEXT) | instid1(VALU_DEP_2)
	v_mov_b32_e32 v9, v8
	v_fma_f32 v7, 0xcf800000, v3, |v1|
	v_cvt_u32_f32_e32 v1, v3
	s_delay_alu instid0(VALU_DEP_2) | instskip(NEXT) | instid1(VALU_DEP_2)
	v_cvt_u32_f32_e32 v3, v7
	v_xor_b32_e32 v17, v1, v8
	s_delay_alu instid0(VALU_DEP_2) | instskip(NEXT) | instid1(VALU_DEP_1)
	v_xor_b32_e32 v16, v3, v8
	v_sub_nc_u64_e32 v[8:9], v[16:17], v[8:9]
.LBB95_1531:
	s_or_b32 exec_lo, exec_lo, s41
	s_mov_b32 s41, 0
	s_branch .LBB95_1537
.LBB95_1532:
	s_mov_b32 s42, -1
                                        ; implicit-def: $vgpr8_vgpr9
	s_branch .LBB95_1543
.LBB95_1533:
	s_and_not1_saveexec_b32 s41, s41
	s_cbranch_execz .LBB95_1518
.LBB95_1534:
	v_cmp_ne_u16_e32 vcc_lo, 0, v1
	s_and_not1_b32 s21, s42, exec_lo
	s_and_b32 s22, vcc_lo, exec_lo
	s_delay_alu instid0(SALU_CYCLE_1)
	s_or_b32 s42, s21, s22
	s_or_b32 exec_lo, exec_lo, s41
	v_mov_b64_e32 v[8:9], 0
	s_and_saveexec_b32 s41, s42
	s_cbranch_execnz .LBB95_1519
	s_branch .LBB95_1520
.LBB95_1535:
	s_mov_b32 s41, -1
                                        ; implicit-def: $vgpr8_vgpr9
	s_branch .LBB95_1540
.LBB95_1536:
	s_mov_b32 s41, -1
                                        ; implicit-def: $vgpr8_vgpr9
.LBB95_1537:
	s_delay_alu instid0(SALU_CYCLE_1)
	s_and_b32 vcc_lo, exec_lo, s41
	s_cbranch_vccz .LBB95_1539
; %bb.1538:
	global_load_u8 v1, v[14:15], off
	s_wait_loadcnt 0x0
	v_lshlrev_b32_e32 v1, 24, v1
	s_delay_alu instid0(VALU_DEP_1) | instskip(NEXT) | instid1(VALU_DEP_1)
	v_and_b32_e32 v3, 0x7f000000, v1
	v_clz_i32_u32_e32 v7, v3
	v_add_nc_u32_e32 v9, 0x1000000, v3
	v_cmp_ne_u32_e32 vcc_lo, 0, v3
	s_delay_alu instid0(VALU_DEP_3) | instskip(NEXT) | instid1(VALU_DEP_1)
	v_min_u32_e32 v7, 32, v7
	v_sub_nc_u32_e64 v7, v7, 4 clamp
	s_delay_alu instid0(VALU_DEP_1) | instskip(NEXT) | instid1(VALU_DEP_1)
	v_lshlrev_b32_e32 v8, v7, v3
	v_dual_lshlrev_b32 v7, 23, v7 :: v_dual_lshrrev_b32 v8, 4, v8
	s_delay_alu instid0(VALU_DEP_1) | instskip(NEXT) | instid1(VALU_DEP_1)
	v_dual_sub_nc_u32 v7, v8, v7 :: v_dual_ashrrev_i32 v8, 8, v9
	v_add_nc_u32_e32 v7, 0x3c000000, v7
	s_delay_alu instid0(VALU_DEP_1) | instskip(NEXT) | instid1(VALU_DEP_1)
	v_and_or_b32 v7, 0x7f800000, v8, v7
	v_cndmask_b32_e32 v3, 0, v7, vcc_lo
	s_delay_alu instid0(VALU_DEP_1) | instskip(NEXT) | instid1(VALU_DEP_1)
	v_and_or_b32 v1, 0x80000000, v1, v3
	v_trunc_f32_e32 v1, v1
	s_delay_alu instid0(VALU_DEP_1) | instskip(SKIP_1) | instid1(VALU_DEP_2)
	v_mul_f32_e64 v3, 0x2f800000, |v1|
	v_ashrrev_i32_e32 v8, 31, v1
	v_floor_f32_e32 v3, v3
	s_delay_alu instid0(VALU_DEP_1) | instskip(SKIP_1) | instid1(VALU_DEP_4)
	v_fma_f32 v7, 0xcf800000, v3, |v1|
	v_cvt_u32_f32_e32 v1, v3
	v_mov_b32_e32 v9, v8
	s_delay_alu instid0(VALU_DEP_3) | instskip(NEXT) | instid1(VALU_DEP_3)
	v_cvt_u32_f32_e32 v3, v7
	v_xor_b32_e32 v17, v1, v8
	s_delay_alu instid0(VALU_DEP_2) | instskip(NEXT) | instid1(VALU_DEP_1)
	v_xor_b32_e32 v16, v3, v8
	v_sub_nc_u64_e32 v[8:9], v[16:17], v[8:9]
.LBB95_1539:
	s_mov_b32 s41, 0
.LBB95_1540:
	s_delay_alu instid0(SALU_CYCLE_1)
	s_and_not1_b32 vcc_lo, exec_lo, s41
	s_cbranch_vccnz .LBB95_1542
; %bb.1541:
	global_load_u8 v1, v[14:15], off
	s_wait_loadcnt 0x0
	v_lshlrev_b32_e32 v3, 25, v1
	v_lshlrev_b16 v1, 8, v1
	s_delay_alu instid0(VALU_DEP_1) | instskip(SKIP_1) | instid1(VALU_DEP_2)
	v_and_or_b32 v8, 0x7f00, v1, 0.5
	v_bfe_i32 v1, v1, 0, 16
	v_dual_add_f32 v8, -0.5, v8 :: v_dual_lshrrev_b32 v7, 4, v3
	v_cmp_gt_u32_e32 vcc_lo, 0x8000000, v3
	s_delay_alu instid0(VALU_DEP_2) | instskip(NEXT) | instid1(VALU_DEP_1)
	v_or_b32_e32 v7, 0x70000000, v7
	v_mul_f32_e32 v7, 0x7800000, v7
	s_delay_alu instid0(VALU_DEP_1) | instskip(NEXT) | instid1(VALU_DEP_1)
	v_cndmask_b32_e32 v3, v7, v8, vcc_lo
	v_and_or_b32 v1, 0x80000000, v1, v3
	s_delay_alu instid0(VALU_DEP_1) | instskip(NEXT) | instid1(VALU_DEP_1)
	v_trunc_f32_e32 v1, v1
	v_mul_f32_e64 v3, 0x2f800000, |v1|
	v_ashrrev_i32_e32 v8, 31, v1
	s_delay_alu instid0(VALU_DEP_2) | instskip(NEXT) | instid1(VALU_DEP_2)
	v_floor_f32_e32 v3, v3
	v_mov_b32_e32 v9, v8
	s_delay_alu instid0(VALU_DEP_2) | instskip(SKIP_1) | instid1(VALU_DEP_2)
	v_fma_f32 v7, 0xcf800000, v3, |v1|
	v_cvt_u32_f32_e32 v1, v3
	v_cvt_u32_f32_e32 v3, v7
	s_delay_alu instid0(VALU_DEP_2) | instskip(NEXT) | instid1(VALU_DEP_2)
	v_xor_b32_e32 v17, v1, v8
	v_xor_b32_e32 v16, v3, v8
	s_delay_alu instid0(VALU_DEP_1)
	v_sub_nc_u64_e32 v[8:9], v[16:17], v[8:9]
.LBB95_1542:
	s_mov_b32 s42, 0
	s_mov_b32 s41, -1
.LBB95_1543:
	s_and_not1_b32 vcc_lo, exec_lo, s42
	s_cbranch_vccnz .LBB95_1556
; %bb.1544:
	s_cmp_gt_i32 s35, 14
	s_cbranch_scc0 .LBB95_1547
; %bb.1545:
	s_cmp_eq_u32 s35, 15
	s_cbranch_scc0 .LBB95_1550
; %bb.1546:
	global_load_u16 v1, v[14:15], off
	s_mov_b32 s41, -1
	s_mov_b32 s27, 0
	s_wait_loadcnt 0x0
	v_lshlrev_b32_e32 v1, 16, v1
	s_delay_alu instid0(VALU_DEP_1) | instskip(NEXT) | instid1(VALU_DEP_1)
	v_trunc_f32_e32 v1, v1
	v_mul_f32_e64 v3, 0x2f800000, |v1|
	v_ashrrev_i32_e32 v8, 31, v1
	s_delay_alu instid0(VALU_DEP_2) | instskip(NEXT) | instid1(VALU_DEP_2)
	v_floor_f32_e32 v3, v3
	v_mov_b32_e32 v9, v8
	s_delay_alu instid0(VALU_DEP_2) | instskip(SKIP_1) | instid1(VALU_DEP_2)
	v_fma_f32 v7, 0xcf800000, v3, |v1|
	v_cvt_u32_f32_e32 v1, v3
	v_cvt_u32_f32_e32 v3, v7
	s_delay_alu instid0(VALU_DEP_2) | instskip(NEXT) | instid1(VALU_DEP_2)
	v_xor_b32_e32 v17, v1, v8
	v_xor_b32_e32 v16, v3, v8
	s_delay_alu instid0(VALU_DEP_1)
	v_sub_nc_u64_e32 v[8:9], v[16:17], v[8:9]
	s_branch .LBB95_1551
.LBB95_1547:
	s_mov_b32 s42, -1
                                        ; implicit-def: $vgpr8_vgpr9
	s_branch .LBB95_1552
.LBB95_1548:
	s_and_not1_saveexec_b32 s41, s41
	s_cbranch_execz .LBB95_1529
.LBB95_1549:
	v_cmp_ne_u16_e32 vcc_lo, 0, v1
	s_and_not1_b32 s21, s42, exec_lo
	s_and_b32 s22, vcc_lo, exec_lo
	s_delay_alu instid0(SALU_CYCLE_1)
	s_or_b32 s42, s21, s22
	s_or_b32 exec_lo, exec_lo, s41
	v_mov_b64_e32 v[8:9], 0
	s_and_saveexec_b32 s41, s42
	s_cbranch_execnz .LBB95_1530
	s_branch .LBB95_1531
.LBB95_1550:
	s_mov_b32 s27, -1
                                        ; implicit-def: $vgpr8_vgpr9
.LBB95_1551:
	s_mov_b32 s42, 0
.LBB95_1552:
	s_delay_alu instid0(SALU_CYCLE_1)
	s_and_b32 vcc_lo, exec_lo, s42
	s_cbranch_vccz .LBB95_1556
; %bb.1553:
	s_cmp_eq_u32 s35, 11
	s_cbranch_scc0 .LBB95_1555
; %bb.1554:
	global_load_u8 v1, v[14:15], off
	s_mov_b32 s27, 0
	s_mov_b32 s41, -1
	s_wait_loadcnt 0x1
	v_mov_b32_e32 v9, s27
	s_wait_loadcnt 0x0
	v_cmp_ne_u16_e32 vcc_lo, 0, v1
	v_cndmask_b32_e64 v8, 0, 1, vcc_lo
	s_branch .LBB95_1556
.LBB95_1555:
	s_mov_b32 s27, -1
                                        ; implicit-def: $vgpr8_vgpr9
.LBB95_1556:
	s_mov_b32 s35, 0
.LBB95_1557:
	s_delay_alu instid0(SALU_CYCLE_1)
	s_and_b32 vcc_lo, exec_lo, s35
	s_cbranch_vccz .LBB95_1606
; %bb.1558:
	s_and_b32 s0, 0xffff, s0
	s_delay_alu instid0(SALU_CYCLE_1)
	s_cmp_lt_i32 s0, 5
	s_cbranch_scc1 .LBB95_1563
; %bb.1559:
	s_cmp_lt_i32 s0, 8
	s_cbranch_scc1 .LBB95_1564
; %bb.1560:
	;; [unrolled: 3-line block ×3, first 2 shown]
	s_cmp_gt_i32 s0, 9
	s_cbranch_scc0 .LBB95_1566
; %bb.1562:
	s_wait_loadcnt 0x0
	global_load_b64 v[8:9], v[14:15], off
	s_mov_b32 s35, 0
	s_wait_loadcnt 0x0
	v_trunc_f64_e32 v[8:9], v[8:9]
	s_delay_alu instid0(VALU_DEP_1) | instskip(NEXT) | instid1(VALU_DEP_1)
	v_ldexp_f64 v[16:17], v[8:9], 0xffffffe0
	v_floor_f64_e32 v[16:17], v[16:17]
	s_delay_alu instid0(VALU_DEP_1) | instskip(SKIP_1) | instid1(VALU_DEP_2)
	v_fmamk_f64 v[18:19], v[16:17], 0xc1f00000, v[8:9]
	v_cvt_i32_f64_e32 v9, v[16:17]
	v_cvt_u32_f64_e32 v8, v[18:19]
	s_branch .LBB95_1567
.LBB95_1563:
	s_mov_b32 s35, -1
                                        ; implicit-def: $vgpr8_vgpr9
	s_branch .LBB95_1585
.LBB95_1564:
	s_mov_b32 s35, -1
                                        ; implicit-def: $vgpr8_vgpr9
	s_branch .LBB95_1573
.LBB95_1565:
	s_mov_b32 s35, -1
                                        ; implicit-def: $vgpr8_vgpr9
	s_branch .LBB95_1570
.LBB95_1566:
	s_mov_b32 s35, -1
                                        ; implicit-def: $vgpr8_vgpr9
.LBB95_1567:
	s_delay_alu instid0(SALU_CYCLE_1)
	s_and_not1_b32 vcc_lo, exec_lo, s35
	s_cbranch_vccnz .LBB95_1569
; %bb.1568:
	global_load_b32 v1, v[14:15], off
	s_wait_loadcnt 0x0
	v_trunc_f32_e32 v1, v1
	s_delay_alu instid0(VALU_DEP_1) | instskip(SKIP_1) | instid1(VALU_DEP_2)
	v_mul_f32_e64 v3, 0x2f800000, |v1|
	v_ashrrev_i32_e32 v8, 31, v1
	v_floor_f32_e32 v3, v3
	s_delay_alu instid0(VALU_DEP_1) | instskip(SKIP_1) | instid1(VALU_DEP_4)
	v_fma_f32 v7, 0xcf800000, v3, |v1|
	v_cvt_u32_f32_e32 v1, v3
	v_mov_b32_e32 v9, v8
	s_delay_alu instid0(VALU_DEP_3) | instskip(NEXT) | instid1(VALU_DEP_3)
	v_cvt_u32_f32_e32 v3, v7
	v_xor_b32_e32 v17, v1, v8
	s_delay_alu instid0(VALU_DEP_2) | instskip(NEXT) | instid1(VALU_DEP_1)
	v_xor_b32_e32 v16, v3, v8
	v_sub_nc_u64_e32 v[8:9], v[16:17], v[8:9]
.LBB95_1569:
	s_mov_b32 s35, 0
.LBB95_1570:
	s_delay_alu instid0(SALU_CYCLE_1)
	s_and_not1_b32 vcc_lo, exec_lo, s35
	s_cbranch_vccnz .LBB95_1572
; %bb.1571:
	global_load_b32 v1, v[14:15], off
	s_wait_loadcnt 0x0
	v_cvt_f32_f16_e32 v1, v1
	s_delay_alu instid0(VALU_DEP_1) | instskip(NEXT) | instid1(VALU_DEP_1)
	v_cvt_i32_f32_e32 v8, v1
	v_ashrrev_i32_e32 v9, 31, v8
.LBB95_1572:
	s_mov_b32 s35, 0
.LBB95_1573:
	s_delay_alu instid0(SALU_CYCLE_1)
	s_and_not1_b32 vcc_lo, exec_lo, s35
	s_cbranch_vccnz .LBB95_1584
; %bb.1574:
	s_cmp_lt_i32 s0, 6
	s_cbranch_scc1 .LBB95_1577
; %bb.1575:
	s_cmp_gt_i32 s0, 6
	s_cbranch_scc0 .LBB95_1578
; %bb.1576:
	s_wait_loadcnt 0x0
	global_load_b64 v[8:9], v[14:15], off
	s_mov_b32 s35, 0
	s_wait_loadcnt 0x0
	v_trunc_f64_e32 v[8:9], v[8:9]
	s_delay_alu instid0(VALU_DEP_1) | instskip(NEXT) | instid1(VALU_DEP_1)
	v_ldexp_f64 v[16:17], v[8:9], 0xffffffe0
	v_floor_f64_e32 v[16:17], v[16:17]
	s_delay_alu instid0(VALU_DEP_1) | instskip(SKIP_1) | instid1(VALU_DEP_2)
	v_fmamk_f64 v[18:19], v[16:17], 0xc1f00000, v[8:9]
	v_cvt_i32_f64_e32 v9, v[16:17]
	v_cvt_u32_f64_e32 v8, v[18:19]
	s_branch .LBB95_1579
.LBB95_1577:
	s_mov_b32 s35, -1
                                        ; implicit-def: $vgpr8_vgpr9
	s_branch .LBB95_1582
.LBB95_1578:
	s_mov_b32 s35, -1
                                        ; implicit-def: $vgpr8_vgpr9
.LBB95_1579:
	s_delay_alu instid0(SALU_CYCLE_1)
	s_and_not1_b32 vcc_lo, exec_lo, s35
	s_cbranch_vccnz .LBB95_1581
; %bb.1580:
	global_load_b32 v1, v[14:15], off
	s_wait_loadcnt 0x0
	v_trunc_f32_e32 v1, v1
	s_delay_alu instid0(VALU_DEP_1) | instskip(SKIP_1) | instid1(VALU_DEP_2)
	v_mul_f32_e64 v3, 0x2f800000, |v1|
	v_ashrrev_i32_e32 v8, 31, v1
	v_floor_f32_e32 v3, v3
	s_delay_alu instid0(VALU_DEP_1) | instskip(SKIP_1) | instid1(VALU_DEP_4)
	v_fma_f32 v7, 0xcf800000, v3, |v1|
	v_cvt_u32_f32_e32 v1, v3
	v_mov_b32_e32 v9, v8
	s_delay_alu instid0(VALU_DEP_3) | instskip(NEXT) | instid1(VALU_DEP_3)
	v_cvt_u32_f32_e32 v3, v7
	v_xor_b32_e32 v17, v1, v8
	s_delay_alu instid0(VALU_DEP_2) | instskip(NEXT) | instid1(VALU_DEP_1)
	v_xor_b32_e32 v16, v3, v8
	v_sub_nc_u64_e32 v[8:9], v[16:17], v[8:9]
.LBB95_1581:
	s_mov_b32 s35, 0
.LBB95_1582:
	s_delay_alu instid0(SALU_CYCLE_1)
	s_and_not1_b32 vcc_lo, exec_lo, s35
	s_cbranch_vccnz .LBB95_1584
; %bb.1583:
	global_load_u16 v1, v[14:15], off
	s_wait_loadcnt 0x0
	v_cvt_f32_f16_e32 v1, v1
	s_delay_alu instid0(VALU_DEP_1) | instskip(NEXT) | instid1(VALU_DEP_1)
	v_cvt_i32_f32_e32 v8, v1
	v_ashrrev_i32_e32 v9, 31, v8
.LBB95_1584:
	s_mov_b32 s35, 0
.LBB95_1585:
	s_delay_alu instid0(SALU_CYCLE_1)
	s_and_not1_b32 vcc_lo, exec_lo, s35
	s_cbranch_vccnz .LBB95_1605
; %bb.1586:
	s_cmp_lt_i32 s0, 2
	s_cbranch_scc1 .LBB95_1590
; %bb.1587:
	s_cmp_lt_i32 s0, 3
	s_cbranch_scc1 .LBB95_1591
; %bb.1588:
	s_cmp_gt_i32 s0, 3
	s_cbranch_scc0 .LBB95_1592
; %bb.1589:
	s_wait_loadcnt 0x0
	global_load_b64 v[8:9], v[14:15], off
	s_mov_b32 s35, 0
	s_branch .LBB95_1593
.LBB95_1590:
	s_mov_b32 s35, -1
                                        ; implicit-def: $vgpr8_vgpr9
	s_branch .LBB95_1599
.LBB95_1591:
	s_mov_b32 s35, -1
                                        ; implicit-def: $vgpr8_vgpr9
	s_branch .LBB95_1596
.LBB95_1592:
	s_mov_b32 s35, -1
                                        ; implicit-def: $vgpr8_vgpr9
.LBB95_1593:
	s_delay_alu instid0(SALU_CYCLE_1)
	s_and_not1_b32 vcc_lo, exec_lo, s35
	s_cbranch_vccnz .LBB95_1595
; %bb.1594:
	s_wait_loadcnt 0x0
	global_load_b32 v8, v[14:15], off
	s_wait_loadcnt 0x0
	v_ashrrev_i32_e32 v9, 31, v8
.LBB95_1595:
	s_mov_b32 s35, 0
.LBB95_1596:
	s_delay_alu instid0(SALU_CYCLE_1)
	s_and_not1_b32 vcc_lo, exec_lo, s35
	s_cbranch_vccnz .LBB95_1598
; %bb.1597:
	global_load_u16 v1, v[14:15], off
	s_wait_loadcnt 0x0
	v_bfe_i32 v8, v1, 0, 16
	s_delay_alu instid0(VALU_DEP_1)
	v_ashrrev_i32_e32 v9, 31, v8
.LBB95_1598:
	s_mov_b32 s35, 0
.LBB95_1599:
	s_delay_alu instid0(SALU_CYCLE_1)
	s_and_not1_b32 vcc_lo, exec_lo, s35
	s_cbranch_vccnz .LBB95_1605
; %bb.1600:
	s_cmp_gt_i32 s0, 0
	s_mov_b32 s0, 0
	s_cbranch_scc0 .LBB95_1602
; %bb.1601:
	global_load_i8 v1, v[14:15], off
	s_wait_loadcnt 0x0
	v_bfe_i32 v8, v1, 0, 16
	s_delay_alu instid0(VALU_DEP_1)
	v_ashrrev_i32_e32 v9, 31, v8
	s_branch .LBB95_1603
.LBB95_1602:
	s_mov_b32 s0, -1
                                        ; implicit-def: $vgpr8_vgpr9
.LBB95_1603:
	s_delay_alu instid0(SALU_CYCLE_1)
	s_and_not1_b32 vcc_lo, exec_lo, s0
	s_cbranch_vccnz .LBB95_1605
; %bb.1604:
	global_load_u8 v1, v[14:15], off
	s_mov_b32 s0, 0
	s_wait_loadcnt 0x1
	v_mov_b32_e32 v9, s0
	s_wait_loadcnt 0x0
	v_and_b32_e32 v8, 0xffff, v1
.LBB95_1605:
	s_mov_b32 s41, -1
.LBB95_1606:
	s_delay_alu instid0(SALU_CYCLE_1)
	s_and_not1_b32 vcc_lo, exec_lo, s41
	s_cbranch_vccnz .LBB95_1614
; %bb.1607:
	s_load_b512 s[4:19], s[2:3], 0x248
	v_mov_b32_e32 v13, 0
	s_and_b32 s0, s28, 0xff
	s_delay_alu instid0(SALU_CYCLE_1) | instskip(SKIP_1) | instid1(VALU_DEP_1)
	s_cmp_lt_i32 s0, 11
	s_wait_kmcnt 0x0
	v_add_nc_u64_e32 v[14:15], s[10:11], v[12:13]
	s_cbranch_scc1 .LBB95_1615
; %bb.1608:
	s_and_b32 s35, 0xffff, s0
	s_delay_alu instid0(SALU_CYCLE_1)
	s_cmp_gt_i32 s35, 25
	s_cbranch_scc0 .LBB95_1616
; %bb.1609:
	s_cmp_gt_i32 s35, 28
	s_cbranch_scc0 .LBB95_1617
; %bb.1610:
	;; [unrolled: 3-line block ×4, first 2 shown]
	s_cmp_eq_u32 s35, 46
	s_mov_b32 s42, 0
	s_cbranch_scc0 .LBB95_1621
; %bb.1613:
	global_load_b32 v1, v[14:15], off
	s_mov_b32 s41, -1
	s_mov_b32 s20, 0
	s_wait_loadcnt 0x0
	v_lshlrev_b32_e32 v1, 16, v1
	s_delay_alu instid0(VALU_DEP_1) | instskip(NEXT) | instid1(VALU_DEP_1)
	v_trunc_f32_e32 v1, v1
	v_mul_f32_e64 v3, 0x2f800000, |v1|
	v_ashrrev_i32_e32 v12, 31, v1
	s_delay_alu instid0(VALU_DEP_2) | instskip(NEXT) | instid1(VALU_DEP_2)
	v_floor_f32_e32 v3, v3
	v_mov_b32_e32 v13, v12
	s_delay_alu instid0(VALU_DEP_2) | instskip(SKIP_1) | instid1(VALU_DEP_2)
	v_fma_f32 v7, 0xcf800000, v3, |v1|
	v_cvt_u32_f32_e32 v1, v3
	v_cvt_u32_f32_e32 v3, v7
	s_delay_alu instid0(VALU_DEP_2) | instskip(NEXT) | instid1(VALU_DEP_2)
	v_xor_b32_e32 v17, v1, v12
	v_xor_b32_e32 v16, v3, v12
	s_delay_alu instid0(VALU_DEP_1)
	v_sub_nc_u64_e32 v[12:13], v[16:17], v[12:13]
	s_branch .LBB95_1623
.LBB95_1614:
	s_mov_b32 s48, vcc_hi
	s_mov_b32 s0, 0
	s_mov_b32 s35, s40
	;; [unrolled: 1-line block ×7, first 2 shown]
	s_mov_b32 vcc_hi, s92
	s_mov_b32 s20, s89
	s_branch .LBB95_2085
.LBB95_1615:
	s_mov_b32 s35, -1
	s_mov_b32 s41, 0
	s_mov_b32 s20, s89
                                        ; implicit-def: $vgpr12_vgpr13
	s_branch .LBB95_1684
.LBB95_1616:
	s_mov_b32 s42, -1
	s_mov_b32 s41, 0
	s_mov_b32 s20, s89
                                        ; implicit-def: $vgpr12_vgpr13
	s_branch .LBB95_1650
.LBB95_1617:
	s_mov_b32 s42, -1
	s_mov_b32 s41, 0
	s_mov_b32 s20, s89
                                        ; implicit-def: $vgpr12_vgpr13
	s_branch .LBB95_1633
.LBB95_1618:
	s_mov_b32 s42, -1
	s_mov_b32 s41, 0
	s_mov_b32 s20, s89
                                        ; implicit-def: $vgpr12_vgpr13
	s_branch .LBB95_1628
.LBB95_1619:
	s_mov_b32 s42, -1
	s_mov_b32 s41, 0
	s_mov_b32 s20, s89
	s_branch .LBB95_1622
.LBB95_1620:
	s_mov_b32 s56, -1
	s_mov_b32 s55, 0
	s_mov_b32 s42, s64
	s_branch .LBB95_3625
.LBB95_1621:
	s_mov_b32 s20, -1
	s_mov_b32 s41, 0
.LBB95_1622:
                                        ; implicit-def: $vgpr12_vgpr13
.LBB95_1623:
	s_and_b32 vcc_lo, exec_lo, s42
	s_cbranch_vccz .LBB95_1627
; %bb.1624:
	s_cmp_eq_u32 s35, 44
	s_cbranch_scc0 .LBB95_1626
; %bb.1625:
	global_load_u8 v1, v[14:15], off
	s_mov_b32 s20, 0
	s_mov_b32 s41, -1
	s_wait_loadcnt 0x0
	v_lshlrev_b32_e32 v3, 23, v1
	v_cmp_ne_u32_e32 vcc_lo, 0, v1
	s_delay_alu instid0(VALU_DEP_2) | instskip(NEXT) | instid1(VALU_DEP_1)
	v_trunc_f32_e32 v3, v3
	v_mul_f32_e64 v7, 0x2f800000, |v3|
	v_ashrrev_i32_e32 v12, 31, v3
	s_delay_alu instid0(VALU_DEP_2) | instskip(NEXT) | instid1(VALU_DEP_2)
	v_floor_f32_e32 v7, v7
	v_mov_b32_e32 v13, v12
	s_delay_alu instid0(VALU_DEP_2) | instskip(SKIP_1) | instid1(VALU_DEP_2)
	v_fma_f32 v11, 0xcf800000, v7, |v3|
	v_cvt_u32_f32_e32 v3, v7
	v_cvt_u32_f32_e32 v7, v11
	s_delay_alu instid0(VALU_DEP_2) | instskip(NEXT) | instid1(VALU_DEP_2)
	v_xor_b32_e32 v17, v3, v12
	v_xor_b32_e32 v16, v7, v12
	s_delay_alu instid0(VALU_DEP_1) | instskip(NEXT) | instid1(VALU_DEP_1)
	v_sub_nc_u64_e32 v[12:13], v[16:17], v[12:13]
	v_dual_cndmask_b32 v13, 0, v13 :: v_dual_cndmask_b32 v12, 0, v12
	s_branch .LBB95_1627
.LBB95_1626:
	s_mov_b32 s20, -1
                                        ; implicit-def: $vgpr12_vgpr13
.LBB95_1627:
	s_mov_b32 s42, 0
.LBB95_1628:
	s_delay_alu instid0(SALU_CYCLE_1)
	s_and_b32 vcc_lo, exec_lo, s42
	s_cbranch_vccz .LBB95_1632
; %bb.1629:
	s_cmp_eq_u32 s35, 29
	s_cbranch_scc0 .LBB95_1631
; %bb.1630:
	global_load_b64 v[12:13], v[14:15], off
	s_mov_b32 s41, -1
	s_mov_b32 s20, 0
	s_branch .LBB95_1632
.LBB95_1631:
	s_mov_b32 s20, -1
                                        ; implicit-def: $vgpr12_vgpr13
.LBB95_1632:
	s_mov_b32 s42, 0
.LBB95_1633:
	s_delay_alu instid0(SALU_CYCLE_1)
	s_and_b32 vcc_lo, exec_lo, s42
	s_cbranch_vccz .LBB95_1649
; %bb.1634:
	s_cmp_lt_i32 s35, 27
	s_cbranch_scc1 .LBB95_1637
; %bb.1635:
	s_cmp_gt_i32 s35, 27
	s_cbranch_scc0 .LBB95_1638
; %bb.1636:
	s_wait_loadcnt 0x0
	global_load_b32 v12, v[14:15], off
	v_mov_b32_e32 v13, 0
	s_mov_b32 s41, 0
	s_branch .LBB95_1639
.LBB95_1637:
	s_mov_b32 s41, -1
                                        ; implicit-def: $vgpr12_vgpr13
	s_branch .LBB95_1642
.LBB95_1638:
	s_mov_b32 s41, -1
                                        ; implicit-def: $vgpr12_vgpr13
.LBB95_1639:
	s_delay_alu instid0(SALU_CYCLE_1)
	s_and_not1_b32 vcc_lo, exec_lo, s41
	s_cbranch_vccnz .LBB95_1641
; %bb.1640:
	global_load_u16 v1, v[14:15], off
	s_mov_b32 s21, 0
	s_wait_loadcnt 0x1
	v_mov_b32_e32 v13, s21
	s_wait_loadcnt 0x0
	v_and_b32_e32 v12, 0xffff, v1
.LBB95_1641:
	s_mov_b32 s41, 0
.LBB95_1642:
	s_delay_alu instid0(SALU_CYCLE_1)
	s_and_not1_b32 vcc_lo, exec_lo, s41
	s_cbranch_vccnz .LBB95_1648
; %bb.1643:
	global_load_u8 v1, v[14:15], off
	s_mov_b32 s42, 0
	s_mov_b32 s21, exec_lo
	s_wait_loadcnt 0x0
	v_cmpx_lt_i16_e32 0x7f, v1
	s_xor_b32 s41, exec_lo, s21
	s_cbranch_execz .LBB95_1660
; %bb.1644:
	v_cmp_ne_u16_e32 vcc_lo, 0x80, v1
	s_and_b32 s42, vcc_lo, exec_lo
	s_and_not1_saveexec_b32 s41, s41
	s_cbranch_execnz .LBB95_1661
.LBB95_1645:
	s_or_b32 exec_lo, exec_lo, s41
	v_mov_b64_e32 v[12:13], 0
	s_and_saveexec_b32 s41, s42
	s_cbranch_execz .LBB95_1647
.LBB95_1646:
	v_and_b32_e32 v3, 0xffff, v1
	s_delay_alu instid0(VALU_DEP_1) | instskip(SKIP_1) | instid1(VALU_DEP_2)
	v_dual_lshlrev_b32 v1, 24, v1 :: v_dual_bitop2_b32 v7, 7, v3 bitop3:0x40
	v_bfe_u32 v13, v3, 3, 4
	v_and_b32_e32 v1, 0x80000000, v1
	s_delay_alu instid0(VALU_DEP_3) | instskip(NEXT) | instid1(VALU_DEP_3)
	v_clz_i32_u32_e32 v11, v7
	v_cmp_eq_u32_e32 vcc_lo, 0, v13
	s_delay_alu instid0(VALU_DEP_2) | instskip(NEXT) | instid1(VALU_DEP_1)
	v_min_u32_e32 v11, 32, v11
	v_subrev_nc_u32_e32 v12, 28, v11
	v_sub_nc_u32_e32 v11, 29, v11
	s_delay_alu instid0(VALU_DEP_2) | instskip(NEXT) | instid1(VALU_DEP_2)
	v_lshlrev_b32_e32 v3, v12, v3
	v_cndmask_b32_e32 v11, v13, v11, vcc_lo
	s_delay_alu instid0(VALU_DEP_2) | instskip(NEXT) | instid1(VALU_DEP_1)
	v_and_b32_e32 v3, 7, v3
	v_cndmask_b32_e32 v3, v7, v3, vcc_lo
	s_delay_alu instid0(VALU_DEP_3) | instskip(NEXT) | instid1(VALU_DEP_2)
	v_lshl_add_u32 v7, v11, 23, 0x3b800000
	v_lshlrev_b32_e32 v3, 20, v3
	s_delay_alu instid0(VALU_DEP_1) | instskip(NEXT) | instid1(VALU_DEP_1)
	v_or3_b32 v1, v1, v7, v3
	v_trunc_f32_e32 v1, v1
	s_delay_alu instid0(VALU_DEP_1) | instskip(SKIP_1) | instid1(VALU_DEP_2)
	v_mul_f32_e64 v3, 0x2f800000, |v1|
	v_ashrrev_i32_e32 v12, 31, v1
	v_floor_f32_e32 v3, v3
	s_delay_alu instid0(VALU_DEP_2) | instskip(NEXT) | instid1(VALU_DEP_2)
	v_mov_b32_e32 v13, v12
	v_fma_f32 v7, 0xcf800000, v3, |v1|
	v_cvt_u32_f32_e32 v1, v3
	s_delay_alu instid0(VALU_DEP_2) | instskip(NEXT) | instid1(VALU_DEP_2)
	v_cvt_u32_f32_e32 v3, v7
	v_xor_b32_e32 v17, v1, v12
	s_delay_alu instid0(VALU_DEP_2) | instskip(NEXT) | instid1(VALU_DEP_1)
	v_xor_b32_e32 v16, v3, v12
	v_sub_nc_u64_e32 v[12:13], v[16:17], v[12:13]
.LBB95_1647:
	s_or_b32 exec_lo, exec_lo, s41
.LBB95_1648:
	s_mov_b32 s41, -1
.LBB95_1649:
	s_mov_b32 s42, 0
.LBB95_1650:
	s_delay_alu instid0(SALU_CYCLE_1)
	s_and_b32 vcc_lo, exec_lo, s42
	s_cbranch_vccz .LBB95_1683
; %bb.1651:
	s_cmp_gt_i32 s35, 22
	s_cbranch_scc0 .LBB95_1659
; %bb.1652:
	s_cmp_lt_i32 s35, 24
	s_cbranch_scc1 .LBB95_1662
; %bb.1653:
	s_cmp_gt_i32 s35, 24
	s_cbranch_scc0 .LBB95_1663
; %bb.1654:
	global_load_u8 v1, v[14:15], off
	s_mov_b32 s42, 0
	s_mov_b32 s21, exec_lo
	s_wait_loadcnt 0x0
	v_cmpx_lt_i16_e32 0x7f, v1
	s_xor_b32 s41, exec_lo, s21
	s_cbranch_execz .LBB95_1675
; %bb.1655:
	v_cmp_ne_u16_e32 vcc_lo, 0x80, v1
	s_and_b32 s42, vcc_lo, exec_lo
	s_and_not1_saveexec_b32 s41, s41
	s_cbranch_execnz .LBB95_1676
.LBB95_1656:
	s_or_b32 exec_lo, exec_lo, s41
	v_mov_b64_e32 v[12:13], 0
	s_and_saveexec_b32 s41, s42
	s_cbranch_execz .LBB95_1658
.LBB95_1657:
	v_and_b32_e32 v3, 0xffff, v1
	s_delay_alu instid0(VALU_DEP_1) | instskip(SKIP_1) | instid1(VALU_DEP_2)
	v_dual_lshlrev_b32 v1, 24, v1 :: v_dual_bitop2_b32 v7, 3, v3 bitop3:0x40
	v_bfe_u32 v13, v3, 2, 5
	v_and_b32_e32 v1, 0x80000000, v1
	s_delay_alu instid0(VALU_DEP_3) | instskip(NEXT) | instid1(VALU_DEP_3)
	v_clz_i32_u32_e32 v11, v7
	v_cmp_eq_u32_e32 vcc_lo, 0, v13
	s_delay_alu instid0(VALU_DEP_2) | instskip(NEXT) | instid1(VALU_DEP_1)
	v_min_u32_e32 v11, 32, v11
	v_subrev_nc_u32_e32 v12, 29, v11
	v_sub_nc_u32_e32 v11, 30, v11
	s_delay_alu instid0(VALU_DEP_2) | instskip(NEXT) | instid1(VALU_DEP_2)
	v_lshlrev_b32_e32 v3, v12, v3
	v_cndmask_b32_e32 v11, v13, v11, vcc_lo
	s_delay_alu instid0(VALU_DEP_2) | instskip(NEXT) | instid1(VALU_DEP_1)
	v_and_b32_e32 v3, 3, v3
	v_cndmask_b32_e32 v3, v7, v3, vcc_lo
	s_delay_alu instid0(VALU_DEP_3) | instskip(NEXT) | instid1(VALU_DEP_2)
	v_lshl_add_u32 v7, v11, 23, 0x37800000
	v_lshlrev_b32_e32 v3, 21, v3
	s_delay_alu instid0(VALU_DEP_1) | instskip(NEXT) | instid1(VALU_DEP_1)
	v_or3_b32 v1, v1, v7, v3
	v_trunc_f32_e32 v1, v1
	s_delay_alu instid0(VALU_DEP_1) | instskip(SKIP_1) | instid1(VALU_DEP_2)
	v_mul_f32_e64 v3, 0x2f800000, |v1|
	v_ashrrev_i32_e32 v12, 31, v1
	v_floor_f32_e32 v3, v3
	s_delay_alu instid0(VALU_DEP_2) | instskip(NEXT) | instid1(VALU_DEP_2)
	v_mov_b32_e32 v13, v12
	v_fma_f32 v7, 0xcf800000, v3, |v1|
	v_cvt_u32_f32_e32 v1, v3
	s_delay_alu instid0(VALU_DEP_2) | instskip(NEXT) | instid1(VALU_DEP_2)
	v_cvt_u32_f32_e32 v3, v7
	v_xor_b32_e32 v17, v1, v12
	s_delay_alu instid0(VALU_DEP_2) | instskip(NEXT) | instid1(VALU_DEP_1)
	v_xor_b32_e32 v16, v3, v12
	v_sub_nc_u64_e32 v[12:13], v[16:17], v[12:13]
.LBB95_1658:
	s_or_b32 exec_lo, exec_lo, s41
	s_mov_b32 s41, 0
	s_branch .LBB95_1664
.LBB95_1659:
	s_mov_b32 s42, -1
                                        ; implicit-def: $vgpr12_vgpr13
	s_branch .LBB95_1670
.LBB95_1660:
	s_and_not1_saveexec_b32 s41, s41
	s_cbranch_execz .LBB95_1645
.LBB95_1661:
	v_cmp_ne_u16_e32 vcc_lo, 0, v1
	s_and_not1_b32 s21, s42, exec_lo
	s_and_b32 s22, vcc_lo, exec_lo
	s_delay_alu instid0(SALU_CYCLE_1)
	s_or_b32 s42, s21, s22
	s_or_b32 exec_lo, exec_lo, s41
	v_mov_b64_e32 v[12:13], 0
	s_and_saveexec_b32 s41, s42
	s_cbranch_execnz .LBB95_1646
	s_branch .LBB95_1647
.LBB95_1662:
	s_mov_b32 s41, -1
                                        ; implicit-def: $vgpr12_vgpr13
	s_branch .LBB95_1667
.LBB95_1663:
	s_mov_b32 s41, -1
                                        ; implicit-def: $vgpr12_vgpr13
.LBB95_1664:
	s_delay_alu instid0(SALU_CYCLE_1)
	s_and_b32 vcc_lo, exec_lo, s41
	s_cbranch_vccz .LBB95_1666
; %bb.1665:
	global_load_u8 v1, v[14:15], off
	s_wait_loadcnt 0x0
	v_lshlrev_b32_e32 v1, 24, v1
	s_delay_alu instid0(VALU_DEP_1) | instskip(NEXT) | instid1(VALU_DEP_1)
	v_and_b32_e32 v3, 0x7f000000, v1
	v_clz_i32_u32_e32 v7, v3
	v_add_nc_u32_e32 v12, 0x1000000, v3
	v_cmp_ne_u32_e32 vcc_lo, 0, v3
	s_delay_alu instid0(VALU_DEP_3) | instskip(NEXT) | instid1(VALU_DEP_1)
	v_min_u32_e32 v7, 32, v7
	v_sub_nc_u32_e64 v7, v7, 4 clamp
	s_delay_alu instid0(VALU_DEP_1) | instskip(SKIP_1) | instid1(VALU_DEP_2)
	v_lshlrev_b32_e32 v11, v7, v3
	v_lshlrev_b32_e32 v7, 23, v7
	v_lshrrev_b32_e32 v11, 4, v11
	s_delay_alu instid0(VALU_DEP_1) | instskip(NEXT) | instid1(VALU_DEP_1)
	v_dual_sub_nc_u32 v7, v11, v7 :: v_dual_ashrrev_i32 v11, 8, v12
	v_add_nc_u32_e32 v7, 0x3c000000, v7
	s_delay_alu instid0(VALU_DEP_1) | instskip(NEXT) | instid1(VALU_DEP_1)
	v_and_or_b32 v7, 0x7f800000, v11, v7
	v_cndmask_b32_e32 v3, 0, v7, vcc_lo
	s_delay_alu instid0(VALU_DEP_1) | instskip(NEXT) | instid1(VALU_DEP_1)
	v_and_or_b32 v1, 0x80000000, v1, v3
	v_trunc_f32_e32 v1, v1
	s_delay_alu instid0(VALU_DEP_1) | instskip(SKIP_1) | instid1(VALU_DEP_2)
	v_mul_f32_e64 v3, 0x2f800000, |v1|
	v_ashrrev_i32_e32 v12, 31, v1
	v_floor_f32_e32 v3, v3
	s_delay_alu instid0(VALU_DEP_2) | instskip(NEXT) | instid1(VALU_DEP_2)
	v_mov_b32_e32 v13, v12
	v_fma_f32 v7, 0xcf800000, v3, |v1|
	v_cvt_u32_f32_e32 v1, v3
	s_delay_alu instid0(VALU_DEP_2) | instskip(NEXT) | instid1(VALU_DEP_2)
	v_cvt_u32_f32_e32 v3, v7
	v_xor_b32_e32 v17, v1, v12
	s_delay_alu instid0(VALU_DEP_2) | instskip(NEXT) | instid1(VALU_DEP_1)
	v_xor_b32_e32 v16, v3, v12
	v_sub_nc_u64_e32 v[12:13], v[16:17], v[12:13]
.LBB95_1666:
	s_mov_b32 s41, 0
.LBB95_1667:
	s_delay_alu instid0(SALU_CYCLE_1)
	s_and_not1_b32 vcc_lo, exec_lo, s41
	s_cbranch_vccnz .LBB95_1669
; %bb.1668:
	global_load_u8 v1, v[14:15], off
	s_wait_loadcnt 0x0
	v_lshlrev_b32_e32 v3, 25, v1
	v_lshlrev_b16 v1, 8, v1
	s_delay_alu instid0(VALU_DEP_1) | instskip(SKIP_1) | instid1(VALU_DEP_2)
	v_and_or_b32 v11, 0x7f00, v1, 0.5
	v_bfe_i32 v1, v1, 0, 16
	v_add_f32_e32 v11, -0.5, v11
	v_lshrrev_b32_e32 v7, 4, v3
	v_cmp_gt_u32_e32 vcc_lo, 0x8000000, v3
	s_delay_alu instid0(VALU_DEP_2) | instskip(NEXT) | instid1(VALU_DEP_1)
	v_or_b32_e32 v7, 0x70000000, v7
	v_mul_f32_e32 v7, 0x7800000, v7
	s_delay_alu instid0(VALU_DEP_1) | instskip(NEXT) | instid1(VALU_DEP_1)
	v_cndmask_b32_e32 v3, v7, v11, vcc_lo
	v_and_or_b32 v1, 0x80000000, v1, v3
	s_delay_alu instid0(VALU_DEP_1) | instskip(NEXT) | instid1(VALU_DEP_1)
	v_trunc_f32_e32 v1, v1
	v_mul_f32_e64 v3, 0x2f800000, |v1|
	v_ashrrev_i32_e32 v12, 31, v1
	s_delay_alu instid0(VALU_DEP_2) | instskip(NEXT) | instid1(VALU_DEP_2)
	v_floor_f32_e32 v3, v3
	v_mov_b32_e32 v13, v12
	s_delay_alu instid0(VALU_DEP_2) | instskip(SKIP_1) | instid1(VALU_DEP_2)
	v_fma_f32 v7, 0xcf800000, v3, |v1|
	v_cvt_u32_f32_e32 v1, v3
	v_cvt_u32_f32_e32 v3, v7
	s_delay_alu instid0(VALU_DEP_2) | instskip(NEXT) | instid1(VALU_DEP_2)
	v_xor_b32_e32 v17, v1, v12
	v_xor_b32_e32 v16, v3, v12
	s_delay_alu instid0(VALU_DEP_1)
	v_sub_nc_u64_e32 v[12:13], v[16:17], v[12:13]
.LBB95_1669:
	s_mov_b32 s42, 0
	s_mov_b32 s41, -1
.LBB95_1670:
	s_and_not1_b32 vcc_lo, exec_lo, s42
	s_cbranch_vccnz .LBB95_1683
; %bb.1671:
	s_cmp_gt_i32 s35, 14
	s_cbranch_scc0 .LBB95_1674
; %bb.1672:
	s_cmp_eq_u32 s35, 15
	s_cbranch_scc0 .LBB95_1677
; %bb.1673:
	global_load_u16 v1, v[14:15], off
	s_mov_b32 s41, -1
	s_mov_b32 s20, 0
	s_wait_loadcnt 0x0
	v_lshlrev_b32_e32 v1, 16, v1
	s_delay_alu instid0(VALU_DEP_1) | instskip(NEXT) | instid1(VALU_DEP_1)
	v_trunc_f32_e32 v1, v1
	v_mul_f32_e64 v3, 0x2f800000, |v1|
	v_ashrrev_i32_e32 v12, 31, v1
	s_delay_alu instid0(VALU_DEP_2) | instskip(NEXT) | instid1(VALU_DEP_2)
	v_floor_f32_e32 v3, v3
	v_mov_b32_e32 v13, v12
	s_delay_alu instid0(VALU_DEP_2) | instskip(SKIP_1) | instid1(VALU_DEP_2)
	v_fma_f32 v7, 0xcf800000, v3, |v1|
	v_cvt_u32_f32_e32 v1, v3
	v_cvt_u32_f32_e32 v3, v7
	s_delay_alu instid0(VALU_DEP_2) | instskip(NEXT) | instid1(VALU_DEP_2)
	v_xor_b32_e32 v17, v1, v12
	v_xor_b32_e32 v16, v3, v12
	s_delay_alu instid0(VALU_DEP_1)
	v_sub_nc_u64_e32 v[12:13], v[16:17], v[12:13]
	s_branch .LBB95_1678
.LBB95_1674:
	s_mov_b32 s42, -1
                                        ; implicit-def: $vgpr12_vgpr13
	s_branch .LBB95_1679
.LBB95_1675:
	s_and_not1_saveexec_b32 s41, s41
	s_cbranch_execz .LBB95_1656
.LBB95_1676:
	v_cmp_ne_u16_e32 vcc_lo, 0, v1
	s_and_not1_b32 s21, s42, exec_lo
	s_and_b32 s22, vcc_lo, exec_lo
	s_delay_alu instid0(SALU_CYCLE_1)
	s_or_b32 s42, s21, s22
	s_or_b32 exec_lo, exec_lo, s41
	v_mov_b64_e32 v[12:13], 0
	s_and_saveexec_b32 s41, s42
	s_cbranch_execnz .LBB95_1657
	s_branch .LBB95_1658
.LBB95_1677:
	s_mov_b32 s20, -1
                                        ; implicit-def: $vgpr12_vgpr13
.LBB95_1678:
	s_mov_b32 s42, 0
.LBB95_1679:
	s_delay_alu instid0(SALU_CYCLE_1)
	s_and_b32 vcc_lo, exec_lo, s42
	s_cbranch_vccz .LBB95_1683
; %bb.1680:
	s_cmp_eq_u32 s35, 11
	s_cbranch_scc0 .LBB95_1682
; %bb.1681:
	global_load_u8 v1, v[14:15], off
	s_mov_b32 s20, 0
	s_mov_b32 s41, -1
	s_wait_loadcnt 0x1
	v_mov_b32_e32 v13, s20
	s_wait_loadcnt 0x0
	v_cmp_ne_u16_e32 vcc_lo, 0, v1
	v_cndmask_b32_e64 v12, 0, 1, vcc_lo
	s_branch .LBB95_1683
.LBB95_1682:
	s_mov_b32 s20, -1
                                        ; implicit-def: $vgpr12_vgpr13
.LBB95_1683:
	s_mov_b32 s35, 0
.LBB95_1684:
	s_delay_alu instid0(SALU_CYCLE_1)
	s_and_b32 vcc_lo, exec_lo, s35
	s_cbranch_vccz .LBB95_1733
; %bb.1685:
	s_and_b32 s0, 0xffff, s0
	s_delay_alu instid0(SALU_CYCLE_1)
	s_cmp_lt_i32 s0, 5
	s_cbranch_scc1 .LBB95_1690
; %bb.1686:
	s_cmp_lt_i32 s0, 8
	s_cbranch_scc1 .LBB95_1691
; %bb.1687:
	;; [unrolled: 3-line block ×3, first 2 shown]
	s_cmp_gt_i32 s0, 9
	s_cbranch_scc0 .LBB95_1693
; %bb.1689:
	s_wait_loadcnt 0x0
	global_load_b64 v[12:13], v[14:15], off
	s_mov_b32 s35, 0
	s_wait_loadcnt 0x0
	v_trunc_f64_e32 v[12:13], v[12:13]
	s_delay_alu instid0(VALU_DEP_1) | instskip(NEXT) | instid1(VALU_DEP_1)
	v_ldexp_f64 v[16:17], v[12:13], 0xffffffe0
	v_floor_f64_e32 v[16:17], v[16:17]
	s_delay_alu instid0(VALU_DEP_1) | instskip(SKIP_1) | instid1(VALU_DEP_2)
	v_fmamk_f64 v[18:19], v[16:17], 0xc1f00000, v[12:13]
	v_cvt_i32_f64_e32 v13, v[16:17]
	v_cvt_u32_f64_e32 v12, v[18:19]
	s_branch .LBB95_1694
.LBB95_1690:
	s_mov_b32 s35, -1
                                        ; implicit-def: $vgpr12_vgpr13
	s_branch .LBB95_1712
.LBB95_1691:
	s_mov_b32 s35, -1
                                        ; implicit-def: $vgpr12_vgpr13
	s_branch .LBB95_1700
.LBB95_1692:
	s_mov_b32 s35, -1
                                        ; implicit-def: $vgpr12_vgpr13
	s_branch .LBB95_1697
.LBB95_1693:
	s_mov_b32 s35, -1
                                        ; implicit-def: $vgpr12_vgpr13
.LBB95_1694:
	s_delay_alu instid0(SALU_CYCLE_1)
	s_and_not1_b32 vcc_lo, exec_lo, s35
	s_cbranch_vccnz .LBB95_1696
; %bb.1695:
	global_load_b32 v1, v[14:15], off
	s_wait_loadcnt 0x0
	v_trunc_f32_e32 v1, v1
	s_delay_alu instid0(VALU_DEP_1) | instskip(SKIP_1) | instid1(VALU_DEP_2)
	v_mul_f32_e64 v3, 0x2f800000, |v1|
	v_ashrrev_i32_e32 v12, 31, v1
	v_floor_f32_e32 v3, v3
	s_delay_alu instid0(VALU_DEP_1) | instskip(SKIP_1) | instid1(VALU_DEP_4)
	v_fma_f32 v7, 0xcf800000, v3, |v1|
	v_cvt_u32_f32_e32 v1, v3
	v_mov_b32_e32 v13, v12
	s_delay_alu instid0(VALU_DEP_3) | instskip(NEXT) | instid1(VALU_DEP_3)
	v_cvt_u32_f32_e32 v3, v7
	v_xor_b32_e32 v17, v1, v12
	s_delay_alu instid0(VALU_DEP_2) | instskip(NEXT) | instid1(VALU_DEP_1)
	v_xor_b32_e32 v16, v3, v12
	v_sub_nc_u64_e32 v[12:13], v[16:17], v[12:13]
.LBB95_1696:
	s_mov_b32 s35, 0
.LBB95_1697:
	s_delay_alu instid0(SALU_CYCLE_1)
	s_and_not1_b32 vcc_lo, exec_lo, s35
	s_cbranch_vccnz .LBB95_1699
; %bb.1698:
	global_load_b32 v1, v[14:15], off
	s_wait_loadcnt 0x0
	v_cvt_f32_f16_e32 v1, v1
	s_delay_alu instid0(VALU_DEP_1) | instskip(NEXT) | instid1(VALU_DEP_1)
	v_cvt_i32_f32_e32 v12, v1
	v_ashrrev_i32_e32 v13, 31, v12
.LBB95_1699:
	s_mov_b32 s35, 0
.LBB95_1700:
	s_delay_alu instid0(SALU_CYCLE_1)
	s_and_not1_b32 vcc_lo, exec_lo, s35
	s_cbranch_vccnz .LBB95_1711
; %bb.1701:
	s_cmp_lt_i32 s0, 6
	s_cbranch_scc1 .LBB95_1704
; %bb.1702:
	s_cmp_gt_i32 s0, 6
	s_cbranch_scc0 .LBB95_1705
; %bb.1703:
	s_wait_loadcnt 0x0
	global_load_b64 v[12:13], v[14:15], off
	s_mov_b32 s35, 0
	s_wait_loadcnt 0x0
	v_trunc_f64_e32 v[12:13], v[12:13]
	s_delay_alu instid0(VALU_DEP_1) | instskip(NEXT) | instid1(VALU_DEP_1)
	v_ldexp_f64 v[16:17], v[12:13], 0xffffffe0
	v_floor_f64_e32 v[16:17], v[16:17]
	s_delay_alu instid0(VALU_DEP_1) | instskip(SKIP_1) | instid1(VALU_DEP_2)
	v_fmamk_f64 v[18:19], v[16:17], 0xc1f00000, v[12:13]
	v_cvt_i32_f64_e32 v13, v[16:17]
	v_cvt_u32_f64_e32 v12, v[18:19]
	s_branch .LBB95_1706
.LBB95_1704:
	s_mov_b32 s35, -1
                                        ; implicit-def: $vgpr12_vgpr13
	s_branch .LBB95_1709
.LBB95_1705:
	s_mov_b32 s35, -1
                                        ; implicit-def: $vgpr12_vgpr13
.LBB95_1706:
	s_delay_alu instid0(SALU_CYCLE_1)
	s_and_not1_b32 vcc_lo, exec_lo, s35
	s_cbranch_vccnz .LBB95_1708
; %bb.1707:
	global_load_b32 v1, v[14:15], off
	s_wait_loadcnt 0x0
	v_trunc_f32_e32 v1, v1
	s_delay_alu instid0(VALU_DEP_1) | instskip(SKIP_1) | instid1(VALU_DEP_2)
	v_mul_f32_e64 v3, 0x2f800000, |v1|
	v_ashrrev_i32_e32 v12, 31, v1
	v_floor_f32_e32 v3, v3
	s_delay_alu instid0(VALU_DEP_1) | instskip(SKIP_1) | instid1(VALU_DEP_4)
	v_fma_f32 v7, 0xcf800000, v3, |v1|
	v_cvt_u32_f32_e32 v1, v3
	v_mov_b32_e32 v13, v12
	s_delay_alu instid0(VALU_DEP_3) | instskip(NEXT) | instid1(VALU_DEP_3)
	v_cvt_u32_f32_e32 v3, v7
	v_xor_b32_e32 v17, v1, v12
	s_delay_alu instid0(VALU_DEP_2) | instskip(NEXT) | instid1(VALU_DEP_1)
	v_xor_b32_e32 v16, v3, v12
	v_sub_nc_u64_e32 v[12:13], v[16:17], v[12:13]
.LBB95_1708:
	s_mov_b32 s35, 0
.LBB95_1709:
	s_delay_alu instid0(SALU_CYCLE_1)
	s_and_not1_b32 vcc_lo, exec_lo, s35
	s_cbranch_vccnz .LBB95_1711
; %bb.1710:
	global_load_u16 v1, v[14:15], off
	s_wait_loadcnt 0x0
	v_cvt_f32_f16_e32 v1, v1
	s_delay_alu instid0(VALU_DEP_1) | instskip(NEXT) | instid1(VALU_DEP_1)
	v_cvt_i32_f32_e32 v12, v1
	v_ashrrev_i32_e32 v13, 31, v12
.LBB95_1711:
	s_mov_b32 s35, 0
.LBB95_1712:
	s_delay_alu instid0(SALU_CYCLE_1)
	s_and_not1_b32 vcc_lo, exec_lo, s35
	s_cbranch_vccnz .LBB95_1732
; %bb.1713:
	s_cmp_lt_i32 s0, 2
	s_cbranch_scc1 .LBB95_1717
; %bb.1714:
	s_cmp_lt_i32 s0, 3
	s_cbranch_scc1 .LBB95_1718
; %bb.1715:
	s_cmp_gt_i32 s0, 3
	s_cbranch_scc0 .LBB95_1719
; %bb.1716:
	s_wait_loadcnt 0x0
	global_load_b64 v[12:13], v[14:15], off
	s_mov_b32 s35, 0
	s_branch .LBB95_1720
.LBB95_1717:
	s_mov_b32 s35, -1
                                        ; implicit-def: $vgpr12_vgpr13
	s_branch .LBB95_1726
.LBB95_1718:
	s_mov_b32 s35, -1
                                        ; implicit-def: $vgpr12_vgpr13
	s_branch .LBB95_1723
.LBB95_1719:
	s_mov_b32 s35, -1
                                        ; implicit-def: $vgpr12_vgpr13
.LBB95_1720:
	s_delay_alu instid0(SALU_CYCLE_1)
	s_and_not1_b32 vcc_lo, exec_lo, s35
	s_cbranch_vccnz .LBB95_1722
; %bb.1721:
	s_wait_loadcnt 0x0
	global_load_b32 v12, v[14:15], off
	s_wait_loadcnt 0x0
	v_ashrrev_i32_e32 v13, 31, v12
.LBB95_1722:
	s_mov_b32 s35, 0
.LBB95_1723:
	s_delay_alu instid0(SALU_CYCLE_1)
	s_and_not1_b32 vcc_lo, exec_lo, s35
	s_cbranch_vccnz .LBB95_1725
; %bb.1724:
	global_load_u16 v1, v[14:15], off
	s_wait_loadcnt 0x0
	v_bfe_i32 v12, v1, 0, 16
	s_delay_alu instid0(VALU_DEP_1)
	v_ashrrev_i32_e32 v13, 31, v12
.LBB95_1725:
	s_mov_b32 s35, 0
.LBB95_1726:
	s_delay_alu instid0(SALU_CYCLE_1)
	s_and_not1_b32 vcc_lo, exec_lo, s35
	s_cbranch_vccnz .LBB95_1732
; %bb.1727:
	s_cmp_gt_i32 s0, 0
	s_mov_b32 s0, 0
	s_cbranch_scc0 .LBB95_1729
; %bb.1728:
	global_load_i8 v1, v[14:15], off
	s_wait_loadcnt 0x0
	v_bfe_i32 v12, v1, 0, 16
	s_delay_alu instid0(VALU_DEP_1)
	v_ashrrev_i32_e32 v13, 31, v12
	s_branch .LBB95_1730
.LBB95_1729:
	s_mov_b32 s0, -1
                                        ; implicit-def: $vgpr12_vgpr13
.LBB95_1730:
	s_delay_alu instid0(SALU_CYCLE_1)
	s_and_not1_b32 vcc_lo, exec_lo, s0
	s_cbranch_vccnz .LBB95_1732
; %bb.1731:
	global_load_u8 v1, v[14:15], off
	s_mov_b32 s0, 0
	s_wait_loadcnt 0x1
	v_mov_b32_e32 v13, s0
	s_wait_loadcnt 0x0
	v_and_b32_e32 v12, 0xffff, v1
.LBB95_1732:
	s_mov_b32 s41, -1
.LBB95_1733:
	s_delay_alu instid0(SALU_CYCLE_1)
	s_and_not1_b32 vcc_lo, exec_lo, s41
	s_cbranch_vccnz .LBB95_1741
; %bb.1734:
	s_load_b512 s[4:19], s[2:3], 0x248
	v_mov_b32_e32 v11, 0
	s_and_b32 s0, s75, 0xff
	s_delay_alu instid0(SALU_CYCLE_1) | instskip(SKIP_1) | instid1(VALU_DEP_1)
	s_cmp_lt_i32 s0, 11
	s_wait_kmcnt 0x0
	v_add_nc_u64_e32 v[14:15], s[12:13], v[10:11]
	s_cbranch_scc1 .LBB95_1742
; %bb.1735:
	s_and_b32 s35, 0xffff, s0
	s_mov_b32 s48, vcc_hi
	s_cmp_gt_i32 s35, 25
	s_cbranch_scc0 .LBB95_1743
; %bb.1736:
	s_cmp_gt_i32 s35, 28
	s_cbranch_scc0 .LBB95_1744
; %bb.1737:
	;; [unrolled: 3-line block ×4, first 2 shown]
	s_cmp_eq_u32 s35, 46
	s_mov_b32 s42, 0
	s_cbranch_scc0 .LBB95_1748
; %bb.1740:
	global_load_b32 v1, v[14:15], off
	s_mov_b32 s41, -1
	s_mov_b32 vcc_hi, 0
	s_wait_loadcnt 0x0
	v_lshlrev_b32_e32 v1, 16, v1
	s_delay_alu instid0(VALU_DEP_1) | instskip(NEXT) | instid1(VALU_DEP_1)
	v_trunc_f32_e32 v1, v1
	v_mul_f32_e64 v3, 0x2f800000, |v1|
	v_ashrrev_i32_e32 v10, 31, v1
	s_delay_alu instid0(VALU_DEP_2) | instskip(NEXT) | instid1(VALU_DEP_2)
	v_floor_f32_e32 v3, v3
	v_mov_b32_e32 v11, v10
	s_delay_alu instid0(VALU_DEP_2) | instskip(SKIP_1) | instid1(VALU_DEP_2)
	v_fma_f32 v7, 0xcf800000, v3, |v1|
	v_cvt_u32_f32_e32 v1, v3
	v_cvt_u32_f32_e32 v3, v7
	s_delay_alu instid0(VALU_DEP_2) | instskip(NEXT) | instid1(VALU_DEP_2)
	v_xor_b32_e32 v17, v1, v10
	v_xor_b32_e32 v16, v3, v10
	s_delay_alu instid0(VALU_DEP_1)
	v_sub_nc_u64_e32 v[10:11], v[16:17], v[10:11]
	s_branch .LBB95_1750
.LBB95_1741:
	s_mov_b32 s48, vcc_hi
	s_mov_b32 s0, 0
	s_mov_b32 s35, s40
	;; [unrolled: 1-line block ×7, first 2 shown]
	s_mov_b32 vcc_hi, s92
	s_branch .LBB95_2085
.LBB95_1742:
	s_mov_b32 s48, vcc_hi
	s_mov_b32 s35, -1
	s_mov_b32 s41, 0
	s_mov_b32 vcc_hi, s92
                                        ; implicit-def: $vgpr10_vgpr11
	s_branch .LBB95_1811
.LBB95_1743:
	s_mov_b32 s42, -1
	s_mov_b32 s41, 0
	s_mov_b32 vcc_hi, s92
                                        ; implicit-def: $vgpr10_vgpr11
	s_branch .LBB95_1777
.LBB95_1744:
	s_mov_b32 s42, -1
	s_mov_b32 s41, 0
	s_mov_b32 vcc_hi, s92
                                        ; implicit-def: $vgpr10_vgpr11
	s_branch .LBB95_1760
.LBB95_1745:
	s_mov_b32 s42, -1
	s_mov_b32 s41, 0
	s_mov_b32 vcc_hi, s92
                                        ; implicit-def: $vgpr10_vgpr11
	s_branch .LBB95_1755
.LBB95_1746:
	s_mov_b32 s42, -1
	s_mov_b32 s41, 0
	s_mov_b32 vcc_hi, s92
	s_branch .LBB95_1749
.LBB95_1747:
	s_mov_b32 s56, -1
	s_mov_b32 s55, 0
	s_mov_b32 s42, s64
	s_branch .LBB95_3614
.LBB95_1748:
	s_mov_b32 vcc_hi, -1
	s_mov_b32 s41, 0
.LBB95_1749:
                                        ; implicit-def: $vgpr10_vgpr11
.LBB95_1750:
	s_and_b32 vcc_lo, exec_lo, s42
	s_cbranch_vccz .LBB95_1754
; %bb.1751:
	s_cmp_eq_u32 s35, 44
	s_cbranch_scc0 .LBB95_1753
; %bb.1752:
	global_load_u8 v1, v[14:15], off
	s_mov_b32 vcc_hi, 0
	s_mov_b32 s41, -1
	s_wait_loadcnt 0x0
	v_lshlrev_b32_e32 v3, 23, v1
	v_cmp_ne_u32_e32 vcc_lo, 0, v1
	s_delay_alu instid0(VALU_DEP_2) | instskip(NEXT) | instid1(VALU_DEP_1)
	v_trunc_f32_e32 v3, v3
	v_mul_f32_e64 v7, 0x2f800000, |v3|
	v_ashrrev_i32_e32 v10, 31, v3
	s_delay_alu instid0(VALU_DEP_2) | instskip(NEXT) | instid1(VALU_DEP_1)
	v_floor_f32_e32 v7, v7
	v_fma_f32 v11, 0xcf800000, v7, |v3|
	v_cvt_u32_f32_e32 v3, v7
	s_delay_alu instid0(VALU_DEP_2) | instskip(NEXT) | instid1(VALU_DEP_2)
	v_cvt_u32_f32_e32 v7, v11
	v_dual_mov_b32 v11, v10 :: v_dual_bitop2_b32 v17, v3, v10 bitop3:0x14
	s_delay_alu instid0(VALU_DEP_2) | instskip(NEXT) | instid1(VALU_DEP_1)
	v_xor_b32_e32 v16, v7, v10
	v_sub_nc_u64_e32 v[10:11], v[16:17], v[10:11]
	s_delay_alu instid0(VALU_DEP_1)
	v_dual_cndmask_b32 v11, 0, v11 :: v_dual_cndmask_b32 v10, 0, v10
	s_branch .LBB95_1754
.LBB95_1753:
	s_mov_b32 vcc_hi, -1
                                        ; implicit-def: $vgpr10_vgpr11
.LBB95_1754:
	s_mov_b32 s42, 0
.LBB95_1755:
	s_delay_alu instid0(SALU_CYCLE_1)
	s_and_b32 vcc_lo, exec_lo, s42
	s_cbranch_vccz .LBB95_1759
; %bb.1756:
	s_cmp_eq_u32 s35, 29
	s_cbranch_scc0 .LBB95_1758
; %bb.1757:
	global_load_b64 v[10:11], v[14:15], off
	s_mov_b32 s41, -1
	s_mov_b32 vcc_hi, 0
	s_branch .LBB95_1759
.LBB95_1758:
	s_mov_b32 vcc_hi, -1
                                        ; implicit-def: $vgpr10_vgpr11
.LBB95_1759:
	s_mov_b32 s42, 0
.LBB95_1760:
	s_delay_alu instid0(SALU_CYCLE_1)
	s_and_b32 vcc_lo, exec_lo, s42
	s_cbranch_vccz .LBB95_1776
; %bb.1761:
	s_cmp_lt_i32 s35, 27
	s_cbranch_scc1 .LBB95_1764
; %bb.1762:
	s_cmp_gt_i32 s35, 27
	s_cbranch_scc0 .LBB95_1765
; %bb.1763:
	s_wait_loadcnt 0x0
	global_load_b32 v10, v[14:15], off
	v_mov_b32_e32 v11, 0
	s_mov_b32 s41, 0
	s_branch .LBB95_1766
.LBB95_1764:
	s_mov_b32 s41, -1
                                        ; implicit-def: $vgpr10_vgpr11
	s_branch .LBB95_1769
.LBB95_1765:
	s_mov_b32 s41, -1
                                        ; implicit-def: $vgpr10_vgpr11
.LBB95_1766:
	s_delay_alu instid0(SALU_CYCLE_1)
	s_and_not1_b32 vcc_lo, exec_lo, s41
	s_cbranch_vccnz .LBB95_1768
; %bb.1767:
	global_load_u16 v1, v[14:15], off
	s_mov_b32 s21, 0
	s_wait_loadcnt 0x1
	v_mov_b32_e32 v11, s21
	s_wait_loadcnt 0x0
	v_and_b32_e32 v10, 0xffff, v1
.LBB95_1768:
	s_mov_b32 s41, 0
.LBB95_1769:
	s_delay_alu instid0(SALU_CYCLE_1)
	s_and_not1_b32 vcc_lo, exec_lo, s41
	s_cbranch_vccnz .LBB95_1775
; %bb.1770:
	global_load_u8 v1, v[14:15], off
	s_mov_b32 s42, 0
	s_mov_b32 s21, exec_lo
	s_wait_loadcnt 0x0
	v_cmpx_lt_i16_e32 0x7f, v1
	s_xor_b32 s41, exec_lo, s21
	s_cbranch_execz .LBB95_1787
; %bb.1771:
	v_cmp_ne_u16_e32 vcc_lo, 0x80, v1
	s_and_b32 s42, vcc_lo, exec_lo
	s_and_not1_saveexec_b32 s41, s41
	s_cbranch_execnz .LBB95_1788
.LBB95_1772:
	s_or_b32 exec_lo, exec_lo, s41
	v_mov_b64_e32 v[10:11], 0
	s_and_saveexec_b32 s41, s42
	s_cbranch_execz .LBB95_1774
.LBB95_1773:
	v_and_b32_e32 v3, 0xffff, v1
	s_delay_alu instid0(VALU_DEP_1) | instskip(SKIP_1) | instid1(VALU_DEP_2)
	v_and_b32_e32 v7, 7, v3
	v_bfe_u32 v16, v3, 3, 4
	v_clz_i32_u32_e32 v10, v7
	s_delay_alu instid0(VALU_DEP_2) | instskip(NEXT) | instid1(VALU_DEP_2)
	v_cmp_eq_u32_e32 vcc_lo, 0, v16
	v_min_u32_e32 v10, 32, v10
	s_delay_alu instid0(VALU_DEP_1) | instskip(NEXT) | instid1(VALU_DEP_1)
	v_subrev_nc_u32_e32 v11, 28, v10
	v_dual_lshlrev_b32 v3, v11, v3 :: v_dual_sub_nc_u32 v10, 29, v10
	s_delay_alu instid0(VALU_DEP_1) | instskip(NEXT) | instid1(VALU_DEP_1)
	v_dual_lshlrev_b32 v1, 24, v1 :: v_dual_bitop2_b32 v3, 7, v3 bitop3:0x40
	v_dual_cndmask_b32 v10, v16, v10 :: v_dual_cndmask_b32 v3, v7, v3
	s_delay_alu instid0(VALU_DEP_2) | instskip(NEXT) | instid1(VALU_DEP_2)
	v_and_b32_e32 v1, 0x80000000, v1
	v_lshl_add_u32 v7, v10, 23, 0x3b800000
	s_delay_alu instid0(VALU_DEP_3) | instskip(NEXT) | instid1(VALU_DEP_1)
	v_lshlrev_b32_e32 v3, 20, v3
	v_or3_b32 v1, v1, v7, v3
	s_delay_alu instid0(VALU_DEP_1) | instskip(NEXT) | instid1(VALU_DEP_1)
	v_trunc_f32_e32 v1, v1
	v_mul_f32_e64 v3, 0x2f800000, |v1|
	v_ashrrev_i32_e32 v10, 31, v1
	s_delay_alu instid0(VALU_DEP_2) | instskip(NEXT) | instid1(VALU_DEP_2)
	v_floor_f32_e32 v3, v3
	v_mov_b32_e32 v11, v10
	s_delay_alu instid0(VALU_DEP_2) | instskip(SKIP_1) | instid1(VALU_DEP_2)
	v_fma_f32 v7, 0xcf800000, v3, |v1|
	v_cvt_u32_f32_e32 v1, v3
	v_cvt_u32_f32_e32 v3, v7
	s_delay_alu instid0(VALU_DEP_2) | instskip(NEXT) | instid1(VALU_DEP_2)
	v_xor_b32_e32 v17, v1, v10
	v_xor_b32_e32 v16, v3, v10
	s_delay_alu instid0(VALU_DEP_1)
	v_sub_nc_u64_e32 v[10:11], v[16:17], v[10:11]
.LBB95_1774:
	s_or_b32 exec_lo, exec_lo, s41
.LBB95_1775:
	s_mov_b32 s41, -1
.LBB95_1776:
	s_mov_b32 s42, 0
.LBB95_1777:
	s_delay_alu instid0(SALU_CYCLE_1)
	s_and_b32 vcc_lo, exec_lo, s42
	s_cbranch_vccz .LBB95_1810
; %bb.1778:
	s_cmp_gt_i32 s35, 22
	s_cbranch_scc0 .LBB95_1786
; %bb.1779:
	s_cmp_lt_i32 s35, 24
	s_cbranch_scc1 .LBB95_1789
; %bb.1780:
	s_cmp_gt_i32 s35, 24
	s_cbranch_scc0 .LBB95_1790
; %bb.1781:
	global_load_u8 v1, v[14:15], off
	s_mov_b32 s42, 0
	s_mov_b32 s21, exec_lo
	s_wait_loadcnt 0x0
	v_cmpx_lt_i16_e32 0x7f, v1
	s_xor_b32 s41, exec_lo, s21
	s_cbranch_execz .LBB95_1802
; %bb.1782:
	v_cmp_ne_u16_e32 vcc_lo, 0x80, v1
	s_and_b32 s42, vcc_lo, exec_lo
	s_and_not1_saveexec_b32 s41, s41
	s_cbranch_execnz .LBB95_1803
.LBB95_1783:
	s_or_b32 exec_lo, exec_lo, s41
	v_mov_b64_e32 v[10:11], 0
	s_and_saveexec_b32 s41, s42
	s_cbranch_execz .LBB95_1785
.LBB95_1784:
	v_and_b32_e32 v3, 0xffff, v1
	s_delay_alu instid0(VALU_DEP_1) | instskip(SKIP_1) | instid1(VALU_DEP_2)
	v_and_b32_e32 v7, 3, v3
	v_bfe_u32 v16, v3, 2, 5
	v_clz_i32_u32_e32 v10, v7
	s_delay_alu instid0(VALU_DEP_2) | instskip(NEXT) | instid1(VALU_DEP_2)
	v_cmp_eq_u32_e32 vcc_lo, 0, v16
	v_min_u32_e32 v10, 32, v10
	s_delay_alu instid0(VALU_DEP_1) | instskip(NEXT) | instid1(VALU_DEP_1)
	v_subrev_nc_u32_e32 v11, 29, v10
	v_dual_lshlrev_b32 v3, v11, v3 :: v_dual_sub_nc_u32 v10, 30, v10
	s_delay_alu instid0(VALU_DEP_1) | instskip(NEXT) | instid1(VALU_DEP_1)
	v_dual_lshlrev_b32 v1, 24, v1 :: v_dual_bitop2_b32 v3, 3, v3 bitop3:0x40
	v_dual_cndmask_b32 v10, v16, v10 :: v_dual_cndmask_b32 v3, v7, v3
	s_delay_alu instid0(VALU_DEP_2) | instskip(NEXT) | instid1(VALU_DEP_2)
	v_and_b32_e32 v1, 0x80000000, v1
	v_lshl_add_u32 v7, v10, 23, 0x37800000
	s_delay_alu instid0(VALU_DEP_3) | instskip(NEXT) | instid1(VALU_DEP_1)
	v_lshlrev_b32_e32 v3, 21, v3
	v_or3_b32 v1, v1, v7, v3
	s_delay_alu instid0(VALU_DEP_1) | instskip(NEXT) | instid1(VALU_DEP_1)
	v_trunc_f32_e32 v1, v1
	v_mul_f32_e64 v3, 0x2f800000, |v1|
	v_ashrrev_i32_e32 v10, 31, v1
	s_delay_alu instid0(VALU_DEP_2) | instskip(NEXT) | instid1(VALU_DEP_2)
	v_floor_f32_e32 v3, v3
	v_mov_b32_e32 v11, v10
	s_delay_alu instid0(VALU_DEP_2) | instskip(SKIP_1) | instid1(VALU_DEP_2)
	v_fma_f32 v7, 0xcf800000, v3, |v1|
	v_cvt_u32_f32_e32 v1, v3
	v_cvt_u32_f32_e32 v3, v7
	s_delay_alu instid0(VALU_DEP_2) | instskip(NEXT) | instid1(VALU_DEP_2)
	v_xor_b32_e32 v17, v1, v10
	v_xor_b32_e32 v16, v3, v10
	s_delay_alu instid0(VALU_DEP_1)
	v_sub_nc_u64_e32 v[10:11], v[16:17], v[10:11]
.LBB95_1785:
	s_or_b32 exec_lo, exec_lo, s41
	s_mov_b32 s41, 0
	s_branch .LBB95_1791
.LBB95_1786:
	s_mov_b32 s42, -1
                                        ; implicit-def: $vgpr10_vgpr11
	s_branch .LBB95_1797
.LBB95_1787:
	s_and_not1_saveexec_b32 s41, s41
	s_cbranch_execz .LBB95_1772
.LBB95_1788:
	v_cmp_ne_u16_e32 vcc_lo, 0, v1
	s_and_not1_b32 s21, s42, exec_lo
	s_and_b32 s22, vcc_lo, exec_lo
	s_delay_alu instid0(SALU_CYCLE_1)
	s_or_b32 s42, s21, s22
	s_or_b32 exec_lo, exec_lo, s41
	v_mov_b64_e32 v[10:11], 0
	s_and_saveexec_b32 s41, s42
	s_cbranch_execnz .LBB95_1773
	s_branch .LBB95_1774
.LBB95_1789:
	s_mov_b32 s41, -1
                                        ; implicit-def: $vgpr10_vgpr11
	s_branch .LBB95_1794
.LBB95_1790:
	s_mov_b32 s41, -1
                                        ; implicit-def: $vgpr10_vgpr11
.LBB95_1791:
	s_delay_alu instid0(SALU_CYCLE_1)
	s_and_b32 vcc_lo, exec_lo, s41
	s_cbranch_vccz .LBB95_1793
; %bb.1792:
	global_load_u8 v1, v[14:15], off
	s_wait_loadcnt 0x0
	v_lshlrev_b32_e32 v1, 24, v1
	s_delay_alu instid0(VALU_DEP_1) | instskip(NEXT) | instid1(VALU_DEP_1)
	v_and_b32_e32 v3, 0x7f000000, v1
	v_clz_i32_u32_e32 v7, v3
	v_add_nc_u32_e32 v11, 0x1000000, v3
	v_cmp_ne_u32_e32 vcc_lo, 0, v3
	s_delay_alu instid0(VALU_DEP_3) | instskip(NEXT) | instid1(VALU_DEP_1)
	v_min_u32_e32 v7, 32, v7
	v_sub_nc_u32_e64 v7, v7, 4 clamp
	s_delay_alu instid0(VALU_DEP_1) | instskip(NEXT) | instid1(VALU_DEP_1)
	v_lshlrev_b32_e32 v10, v7, v3
	v_dual_lshlrev_b32 v7, 23, v7 :: v_dual_lshrrev_b32 v10, 4, v10
	s_delay_alu instid0(VALU_DEP_1) | instskip(SKIP_1) | instid1(VALU_DEP_2)
	v_sub_nc_u32_e32 v7, v10, v7
	v_ashrrev_i32_e32 v10, 8, v11
	v_add_nc_u32_e32 v7, 0x3c000000, v7
	s_delay_alu instid0(VALU_DEP_1) | instskip(NEXT) | instid1(VALU_DEP_1)
	v_and_or_b32 v7, 0x7f800000, v10, v7
	v_cndmask_b32_e32 v3, 0, v7, vcc_lo
	s_delay_alu instid0(VALU_DEP_1) | instskip(NEXT) | instid1(VALU_DEP_1)
	v_and_or_b32 v1, 0x80000000, v1, v3
	v_trunc_f32_e32 v1, v1
	s_delay_alu instid0(VALU_DEP_1) | instskip(SKIP_1) | instid1(VALU_DEP_2)
	v_mul_f32_e64 v3, 0x2f800000, |v1|
	v_ashrrev_i32_e32 v10, 31, v1
	v_floor_f32_e32 v3, v3
	s_delay_alu instid0(VALU_DEP_2) | instskip(NEXT) | instid1(VALU_DEP_2)
	v_mov_b32_e32 v11, v10
	v_fma_f32 v7, 0xcf800000, v3, |v1|
	v_cvt_u32_f32_e32 v1, v3
	s_delay_alu instid0(VALU_DEP_2) | instskip(NEXT) | instid1(VALU_DEP_2)
	v_cvt_u32_f32_e32 v3, v7
	v_xor_b32_e32 v17, v1, v10
	s_delay_alu instid0(VALU_DEP_2) | instskip(NEXT) | instid1(VALU_DEP_1)
	v_xor_b32_e32 v16, v3, v10
	v_sub_nc_u64_e32 v[10:11], v[16:17], v[10:11]
.LBB95_1793:
	s_mov_b32 s41, 0
.LBB95_1794:
	s_delay_alu instid0(SALU_CYCLE_1)
	s_and_not1_b32 vcc_lo, exec_lo, s41
	s_cbranch_vccnz .LBB95_1796
; %bb.1795:
	global_load_u8 v1, v[14:15], off
	s_wait_loadcnt 0x0
	v_lshlrev_b32_e32 v3, 25, v1
	v_lshlrev_b16 v1, 8, v1
	s_delay_alu instid0(VALU_DEP_1) | instskip(SKIP_1) | instid1(VALU_DEP_2)
	v_and_or_b32 v10, 0x7f00, v1, 0.5
	v_bfe_i32 v1, v1, 0, 16
	v_dual_add_f32 v10, -0.5, v10 :: v_dual_lshrrev_b32 v7, 4, v3
	v_cmp_gt_u32_e32 vcc_lo, 0x8000000, v3
	s_delay_alu instid0(VALU_DEP_2) | instskip(NEXT) | instid1(VALU_DEP_1)
	v_or_b32_e32 v7, 0x70000000, v7
	v_mul_f32_e32 v7, 0x7800000, v7
	s_delay_alu instid0(VALU_DEP_1) | instskip(NEXT) | instid1(VALU_DEP_1)
	v_cndmask_b32_e32 v3, v7, v10, vcc_lo
	v_and_or_b32 v1, 0x80000000, v1, v3
	s_delay_alu instid0(VALU_DEP_1) | instskip(NEXT) | instid1(VALU_DEP_1)
	v_trunc_f32_e32 v1, v1
	v_mul_f32_e64 v3, 0x2f800000, |v1|
	v_ashrrev_i32_e32 v10, 31, v1
	s_delay_alu instid0(VALU_DEP_2) | instskip(NEXT) | instid1(VALU_DEP_2)
	v_floor_f32_e32 v3, v3
	v_mov_b32_e32 v11, v10
	s_delay_alu instid0(VALU_DEP_2) | instskip(SKIP_1) | instid1(VALU_DEP_2)
	v_fma_f32 v7, 0xcf800000, v3, |v1|
	v_cvt_u32_f32_e32 v1, v3
	v_cvt_u32_f32_e32 v3, v7
	s_delay_alu instid0(VALU_DEP_2) | instskip(NEXT) | instid1(VALU_DEP_2)
	v_xor_b32_e32 v17, v1, v10
	v_xor_b32_e32 v16, v3, v10
	s_delay_alu instid0(VALU_DEP_1)
	v_sub_nc_u64_e32 v[10:11], v[16:17], v[10:11]
.LBB95_1796:
	s_mov_b32 s42, 0
	s_mov_b32 s41, -1
.LBB95_1797:
	s_and_not1_b32 vcc_lo, exec_lo, s42
	s_cbranch_vccnz .LBB95_1810
; %bb.1798:
	s_cmp_gt_i32 s35, 14
	s_cbranch_scc0 .LBB95_1801
; %bb.1799:
	s_cmp_eq_u32 s35, 15
	s_cbranch_scc0 .LBB95_1804
; %bb.1800:
	global_load_u16 v1, v[14:15], off
	s_mov_b32 s41, -1
	s_mov_b32 vcc_hi, 0
	s_wait_loadcnt 0x0
	v_lshlrev_b32_e32 v1, 16, v1
	s_delay_alu instid0(VALU_DEP_1) | instskip(NEXT) | instid1(VALU_DEP_1)
	v_trunc_f32_e32 v1, v1
	v_mul_f32_e64 v3, 0x2f800000, |v1|
	v_ashrrev_i32_e32 v10, 31, v1
	s_delay_alu instid0(VALU_DEP_2) | instskip(NEXT) | instid1(VALU_DEP_2)
	v_floor_f32_e32 v3, v3
	v_mov_b32_e32 v11, v10
	s_delay_alu instid0(VALU_DEP_2) | instskip(SKIP_1) | instid1(VALU_DEP_2)
	v_fma_f32 v7, 0xcf800000, v3, |v1|
	v_cvt_u32_f32_e32 v1, v3
	v_cvt_u32_f32_e32 v3, v7
	s_delay_alu instid0(VALU_DEP_2) | instskip(NEXT) | instid1(VALU_DEP_2)
	v_xor_b32_e32 v17, v1, v10
	v_xor_b32_e32 v16, v3, v10
	s_delay_alu instid0(VALU_DEP_1)
	v_sub_nc_u64_e32 v[10:11], v[16:17], v[10:11]
	s_branch .LBB95_1805
.LBB95_1801:
	s_mov_b32 s42, -1
                                        ; implicit-def: $vgpr10_vgpr11
	s_branch .LBB95_1806
.LBB95_1802:
	s_and_not1_saveexec_b32 s41, s41
	s_cbranch_execz .LBB95_1783
.LBB95_1803:
	v_cmp_ne_u16_e32 vcc_lo, 0, v1
	s_and_not1_b32 s21, s42, exec_lo
	s_and_b32 s22, vcc_lo, exec_lo
	s_delay_alu instid0(SALU_CYCLE_1)
	s_or_b32 s42, s21, s22
	s_or_b32 exec_lo, exec_lo, s41
	v_mov_b64_e32 v[10:11], 0
	s_and_saveexec_b32 s41, s42
	s_cbranch_execnz .LBB95_1784
	s_branch .LBB95_1785
.LBB95_1804:
	s_mov_b32 vcc_hi, -1
                                        ; implicit-def: $vgpr10_vgpr11
.LBB95_1805:
	s_mov_b32 s42, 0
.LBB95_1806:
	s_delay_alu instid0(SALU_CYCLE_1)
	s_and_b32 vcc_lo, exec_lo, s42
	s_cbranch_vccz .LBB95_1810
; %bb.1807:
	s_cmp_eq_u32 s35, 11
	s_cbranch_scc0 .LBB95_1809
; %bb.1808:
	global_load_u8 v1, v[14:15], off
	s_mov_b32 vcc_hi, 0
	s_mov_b32 s41, -1
	s_wait_loadcnt 0x1
	v_mov_b32_e32 v11, vcc_hi
	s_wait_loadcnt 0x0
	v_cmp_ne_u16_e32 vcc_lo, 0, v1
	v_cndmask_b32_e64 v10, 0, 1, vcc_lo
	s_branch .LBB95_1810
.LBB95_1809:
	s_mov_b32 vcc_hi, -1
                                        ; implicit-def: $vgpr10_vgpr11
.LBB95_1810:
	s_mov_b32 s35, 0
.LBB95_1811:
	s_delay_alu instid0(SALU_CYCLE_1)
	s_and_b32 vcc_lo, exec_lo, s35
	s_cbranch_vccz .LBB95_1860
; %bb.1812:
	s_and_b32 s0, 0xffff, s0
	s_delay_alu instid0(SALU_CYCLE_1)
	s_cmp_lt_i32 s0, 5
	s_cbranch_scc1 .LBB95_1817
; %bb.1813:
	s_cmp_lt_i32 s0, 8
	s_cbranch_scc1 .LBB95_1818
; %bb.1814:
	;; [unrolled: 3-line block ×3, first 2 shown]
	s_cmp_gt_i32 s0, 9
	s_cbranch_scc0 .LBB95_1820
; %bb.1816:
	s_wait_loadcnt 0x0
	global_load_b64 v[10:11], v[14:15], off
	s_mov_b32 s35, 0
	s_wait_loadcnt 0x0
	v_trunc_f64_e32 v[10:11], v[10:11]
	s_delay_alu instid0(VALU_DEP_1) | instskip(NEXT) | instid1(VALU_DEP_1)
	v_ldexp_f64 v[16:17], v[10:11], 0xffffffe0
	v_floor_f64_e32 v[16:17], v[16:17]
	s_delay_alu instid0(VALU_DEP_1) | instskip(SKIP_1) | instid1(VALU_DEP_2)
	v_fmamk_f64 v[18:19], v[16:17], 0xc1f00000, v[10:11]
	v_cvt_i32_f64_e32 v11, v[16:17]
	v_cvt_u32_f64_e32 v10, v[18:19]
	s_branch .LBB95_1821
.LBB95_1817:
	s_mov_b32 s35, -1
                                        ; implicit-def: $vgpr10_vgpr11
	s_branch .LBB95_1839
.LBB95_1818:
	s_mov_b32 s35, -1
                                        ; implicit-def: $vgpr10_vgpr11
	s_branch .LBB95_1827
.LBB95_1819:
	s_mov_b32 s35, -1
                                        ; implicit-def: $vgpr10_vgpr11
	s_branch .LBB95_1824
.LBB95_1820:
	s_mov_b32 s35, -1
                                        ; implicit-def: $vgpr10_vgpr11
.LBB95_1821:
	s_delay_alu instid0(SALU_CYCLE_1)
	s_and_not1_b32 vcc_lo, exec_lo, s35
	s_cbranch_vccnz .LBB95_1823
; %bb.1822:
	global_load_b32 v1, v[14:15], off
	s_wait_loadcnt 0x0
	v_trunc_f32_e32 v1, v1
	s_delay_alu instid0(VALU_DEP_1) | instskip(SKIP_1) | instid1(VALU_DEP_2)
	v_mul_f32_e64 v3, 0x2f800000, |v1|
	v_ashrrev_i32_e32 v10, 31, v1
	v_floor_f32_e32 v3, v3
	s_delay_alu instid0(VALU_DEP_1) | instskip(SKIP_1) | instid1(VALU_DEP_4)
	v_fma_f32 v7, 0xcf800000, v3, |v1|
	v_cvt_u32_f32_e32 v1, v3
	v_mov_b32_e32 v11, v10
	s_delay_alu instid0(VALU_DEP_3) | instskip(NEXT) | instid1(VALU_DEP_3)
	v_cvt_u32_f32_e32 v3, v7
	v_xor_b32_e32 v17, v1, v10
	s_delay_alu instid0(VALU_DEP_2) | instskip(NEXT) | instid1(VALU_DEP_1)
	v_xor_b32_e32 v16, v3, v10
	v_sub_nc_u64_e32 v[10:11], v[16:17], v[10:11]
.LBB95_1823:
	s_mov_b32 s35, 0
.LBB95_1824:
	s_delay_alu instid0(SALU_CYCLE_1)
	s_and_not1_b32 vcc_lo, exec_lo, s35
	s_cbranch_vccnz .LBB95_1826
; %bb.1825:
	global_load_b32 v1, v[14:15], off
	s_wait_loadcnt 0x0
	v_cvt_f32_f16_e32 v1, v1
	s_delay_alu instid0(VALU_DEP_1) | instskip(NEXT) | instid1(VALU_DEP_1)
	v_cvt_i32_f32_e32 v10, v1
	v_ashrrev_i32_e32 v11, 31, v10
.LBB95_1826:
	s_mov_b32 s35, 0
.LBB95_1827:
	s_delay_alu instid0(SALU_CYCLE_1)
	s_and_not1_b32 vcc_lo, exec_lo, s35
	s_cbranch_vccnz .LBB95_1838
; %bb.1828:
	s_cmp_lt_i32 s0, 6
	s_cbranch_scc1 .LBB95_1831
; %bb.1829:
	s_cmp_gt_i32 s0, 6
	s_cbranch_scc0 .LBB95_1832
; %bb.1830:
	s_wait_loadcnt 0x0
	global_load_b64 v[10:11], v[14:15], off
	s_mov_b32 s35, 0
	s_wait_loadcnt 0x0
	v_trunc_f64_e32 v[10:11], v[10:11]
	s_delay_alu instid0(VALU_DEP_1) | instskip(NEXT) | instid1(VALU_DEP_1)
	v_ldexp_f64 v[16:17], v[10:11], 0xffffffe0
	v_floor_f64_e32 v[16:17], v[16:17]
	s_delay_alu instid0(VALU_DEP_1) | instskip(SKIP_1) | instid1(VALU_DEP_2)
	v_fmamk_f64 v[18:19], v[16:17], 0xc1f00000, v[10:11]
	v_cvt_i32_f64_e32 v11, v[16:17]
	v_cvt_u32_f64_e32 v10, v[18:19]
	s_branch .LBB95_1833
.LBB95_1831:
	s_mov_b32 s35, -1
                                        ; implicit-def: $vgpr10_vgpr11
	s_branch .LBB95_1836
.LBB95_1832:
	s_mov_b32 s35, -1
                                        ; implicit-def: $vgpr10_vgpr11
.LBB95_1833:
	s_delay_alu instid0(SALU_CYCLE_1)
	s_and_not1_b32 vcc_lo, exec_lo, s35
	s_cbranch_vccnz .LBB95_1835
; %bb.1834:
	global_load_b32 v1, v[14:15], off
	s_wait_loadcnt 0x0
	v_trunc_f32_e32 v1, v1
	s_delay_alu instid0(VALU_DEP_1) | instskip(SKIP_1) | instid1(VALU_DEP_2)
	v_mul_f32_e64 v3, 0x2f800000, |v1|
	v_ashrrev_i32_e32 v10, 31, v1
	v_floor_f32_e32 v3, v3
	s_delay_alu instid0(VALU_DEP_1) | instskip(SKIP_1) | instid1(VALU_DEP_4)
	v_fma_f32 v7, 0xcf800000, v3, |v1|
	v_cvt_u32_f32_e32 v1, v3
	v_mov_b32_e32 v11, v10
	s_delay_alu instid0(VALU_DEP_3) | instskip(NEXT) | instid1(VALU_DEP_3)
	v_cvt_u32_f32_e32 v3, v7
	v_xor_b32_e32 v17, v1, v10
	s_delay_alu instid0(VALU_DEP_2) | instskip(NEXT) | instid1(VALU_DEP_1)
	v_xor_b32_e32 v16, v3, v10
	v_sub_nc_u64_e32 v[10:11], v[16:17], v[10:11]
.LBB95_1835:
	s_mov_b32 s35, 0
.LBB95_1836:
	s_delay_alu instid0(SALU_CYCLE_1)
	s_and_not1_b32 vcc_lo, exec_lo, s35
	s_cbranch_vccnz .LBB95_1838
; %bb.1837:
	global_load_u16 v1, v[14:15], off
	s_wait_loadcnt 0x0
	v_cvt_f32_f16_e32 v1, v1
	s_delay_alu instid0(VALU_DEP_1) | instskip(NEXT) | instid1(VALU_DEP_1)
	v_cvt_i32_f32_e32 v10, v1
	v_ashrrev_i32_e32 v11, 31, v10
.LBB95_1838:
	s_mov_b32 s35, 0
.LBB95_1839:
	s_delay_alu instid0(SALU_CYCLE_1)
	s_and_not1_b32 vcc_lo, exec_lo, s35
	s_cbranch_vccnz .LBB95_1859
; %bb.1840:
	s_cmp_lt_i32 s0, 2
	s_cbranch_scc1 .LBB95_1844
; %bb.1841:
	s_cmp_lt_i32 s0, 3
	s_cbranch_scc1 .LBB95_1845
; %bb.1842:
	s_cmp_gt_i32 s0, 3
	s_cbranch_scc0 .LBB95_1846
; %bb.1843:
	s_wait_loadcnt 0x0
	global_load_b64 v[10:11], v[14:15], off
	s_mov_b32 s35, 0
	s_branch .LBB95_1847
.LBB95_1844:
	s_mov_b32 s35, -1
                                        ; implicit-def: $vgpr10_vgpr11
	s_branch .LBB95_1853
.LBB95_1845:
	s_mov_b32 s35, -1
                                        ; implicit-def: $vgpr10_vgpr11
	s_branch .LBB95_1850
.LBB95_1846:
	s_mov_b32 s35, -1
                                        ; implicit-def: $vgpr10_vgpr11
.LBB95_1847:
	s_delay_alu instid0(SALU_CYCLE_1)
	s_and_not1_b32 vcc_lo, exec_lo, s35
	s_cbranch_vccnz .LBB95_1849
; %bb.1848:
	s_wait_loadcnt 0x0
	global_load_b32 v10, v[14:15], off
	s_wait_loadcnt 0x0
	v_ashrrev_i32_e32 v11, 31, v10
.LBB95_1849:
	s_mov_b32 s35, 0
.LBB95_1850:
	s_delay_alu instid0(SALU_CYCLE_1)
	s_and_not1_b32 vcc_lo, exec_lo, s35
	s_cbranch_vccnz .LBB95_1852
; %bb.1851:
	global_load_u16 v1, v[14:15], off
	s_wait_loadcnt 0x0
	v_bfe_i32 v10, v1, 0, 16
	s_delay_alu instid0(VALU_DEP_1)
	v_ashrrev_i32_e32 v11, 31, v10
.LBB95_1852:
	s_mov_b32 s35, 0
.LBB95_1853:
	s_delay_alu instid0(SALU_CYCLE_1)
	s_and_not1_b32 vcc_lo, exec_lo, s35
	s_cbranch_vccnz .LBB95_1859
; %bb.1854:
	s_cmp_gt_i32 s0, 0
	s_mov_b32 s0, 0
	s_cbranch_scc0 .LBB95_1856
; %bb.1855:
	global_load_i8 v1, v[14:15], off
	s_wait_loadcnt 0x0
	v_bfe_i32 v10, v1, 0, 16
	s_delay_alu instid0(VALU_DEP_1)
	v_ashrrev_i32_e32 v11, 31, v10
	s_branch .LBB95_1857
.LBB95_1856:
	s_mov_b32 s0, -1
                                        ; implicit-def: $vgpr10_vgpr11
.LBB95_1857:
	s_delay_alu instid0(SALU_CYCLE_1)
	s_and_not1_b32 vcc_lo, exec_lo, s0
	s_cbranch_vccnz .LBB95_1859
; %bb.1858:
	global_load_u8 v1, v[14:15], off
	s_mov_b32 s0, 0
	s_wait_loadcnt 0x1
	v_mov_b32_e32 v11, s0
	s_wait_loadcnt 0x0
	v_and_b32_e32 v10, 0xffff, v1
.LBB95_1859:
	s_mov_b32 s41, -1
.LBB95_1860:
	s_delay_alu instid0(SALU_CYCLE_1)
	s_and_not1_b32 vcc_lo, exec_lo, s41
	s_cbranch_vccnz .LBB95_1868
; %bb.1861:
	s_load_b512 s[4:19], s[2:3], 0x248
	v_mov_b32_e32 v7, 0
	s_and_b32 s0, s78, 0xff
	s_delay_alu instid0(SALU_CYCLE_1) | instskip(SKIP_1) | instid1(VALU_DEP_1)
	s_cmp_lt_i32 s0, 11
	s_wait_kmcnt 0x0
	v_add_nc_u64_e32 v[6:7], s[14:15], v[6:7]
	s_cbranch_scc1 .LBB95_1869
; %bb.1862:
	s_and_b32 s35, 0xffff, s0
	s_delay_alu instid0(SALU_CYCLE_1)
	s_cmp_gt_i32 s35, 25
	s_cbranch_scc0 .LBB95_1870
; %bb.1863:
	s_cmp_gt_i32 s35, 28
	s_cbranch_scc0 .LBB95_1871
; %bb.1864:
	;; [unrolled: 3-line block ×4, first 2 shown]
	s_cmp_eq_u32 s35, 46
	s_mov_b32 s42, 0
	s_cbranch_scc0 .LBB95_1961
; %bb.1867:
	global_load_b32 v1, v[6:7], off
	s_mov_b32 s41, -1
	s_mov_b32 s100, 0
	s_wait_loadcnt 0x0
	v_lshlrev_b32_e32 v1, 16, v1
	s_delay_alu instid0(VALU_DEP_1) | instskip(NEXT) | instid1(VALU_DEP_1)
	v_trunc_f32_e32 v1, v1
	v_mul_f32_e64 v3, 0x2f800000, |v1|
	v_ashrrev_i32_e32 v14, 31, v1
	s_delay_alu instid0(VALU_DEP_2) | instskip(NEXT) | instid1(VALU_DEP_1)
	v_floor_f32_e32 v3, v3
	v_fma_f32 v15, 0xcf800000, v3, |v1|
	v_cvt_u32_f32_e32 v1, v3
	s_delay_alu instid0(VALU_DEP_2) | instskip(NEXT) | instid1(VALU_DEP_2)
	v_cvt_u32_f32_e32 v3, v15
	v_dual_mov_b32 v15, v14 :: v_dual_bitop2_b32 v17, v1, v14 bitop3:0x14
	s_delay_alu instid0(VALU_DEP_2) | instskip(NEXT) | instid1(VALU_DEP_1)
	v_xor_b32_e32 v16, v3, v14
	v_sub_nc_u64_e32 v[14:15], v[16:17], v[14:15]
	s_branch .LBB95_1963
.LBB95_1868:
	s_mov_b32 s0, 0
	s_mov_b32 s35, s40
	;; [unrolled: 1-line block ×7, first 2 shown]
	s_branch .LBB95_2085
.LBB95_1869:
	s_mov_b32 s35, -1
	s_mov_b32 s41, 0
	s_mov_b32 s100, s91
                                        ; implicit-def: $vgpr14_vgpr15
	s_branch .LBB95_2024
.LBB95_1870:
	s_mov_b32 s42, -1
	s_mov_b32 s41, 0
	s_mov_b32 s100, s91
                                        ; implicit-def: $vgpr14_vgpr15
	s_branch .LBB95_1990
.LBB95_1871:
	s_mov_b32 s42, -1
	s_mov_b32 s41, 0
	s_mov_b32 s100, s91
                                        ; implicit-def: $vgpr14_vgpr15
	s_branch .LBB95_1973
.LBB95_1872:
	s_mov_b32 s42, -1
	s_mov_b32 s41, 0
	s_mov_b32 s100, s91
                                        ; implicit-def: $vgpr14_vgpr15
	s_branch .LBB95_1968
.LBB95_1873:
	s_mov_b32 s42, -1
	s_mov_b32 s41, 0
	s_mov_b32 s100, s91
	s_branch .LBB95_1962
.LBB95_1874:
	s_mov_b32 s56, -1
	s_mov_b32 s42, 0
	s_mov_b32 s55, 0
.LBB95_1875:
	s_and_b32 vcc_lo, exec_lo, s56
	s_cbranch_vccz .LBB95_1878
; %bb.1876:
	s_cmp_eq_u32 s54, 44
	s_mov_b32 s42, -1
	s_cbranch_scc0 .LBB95_1878
; %bb.1877:
	s_wait_xcnt 0x0
	v_mov_b32_e32 v1, 0
	s_mov_b32 s55, -1
	s_mov_b32 s42, 0
	global_store_b8 v[2:3], v1, off
.LBB95_1878:
	s_mov_b64 s[74:75], s[6:7]
	s_mov_b32 s56, 0
	s_mov_b64 s[72:73], s[4:5]
.LBB95_1879:
	s_and_b32 vcc_lo, exec_lo, s56
	s_cbranch_vccz .LBB95_1882
; %bb.1880:
	s_cmp_eq_u32 s54, 29
	s_mov_b32 s42, -1
	s_cbranch_scc0 .LBB95_1882
; %bb.1881:
	v_mov_b64_e32 v[4:5], 0
	s_mov_b32 s55, -1
	s_mov_b32 s42, 0
	s_mov_b32 s56, 0
	global_store_b64 v[2:3], v[4:5], off
	s_branch .LBB95_1883
.LBB95_1882:
	s_mov_b32 s56, 0
.LBB95_1883:
	s_delay_alu instid0(SALU_CYCLE_1)
	s_and_b32 vcc_lo, exec_lo, s56
	s_cbranch_vccz .LBB95_1893
; %bb.1884:
	s_cmp_lt_i32 s54, 27
	s_mov_b32 s55, -1
	s_cbranch_scc1 .LBB95_1890
; %bb.1885:
	s_cmp_gt_i32 s54, 27
	s_cbranch_scc0 .LBB95_1887
; %bb.1886:
	s_wait_xcnt 0x0
	v_mov_b32_e32 v1, 0
	s_mov_b32 s55, 0
	global_store_b32 v[2:3], v1, off
.LBB95_1887:
	s_and_not1_b32 vcc_lo, exec_lo, s55
	s_cbranch_vccnz .LBB95_1889
; %bb.1888:
	s_wait_xcnt 0x0
	v_mov_b32_e32 v1, 0
	global_store_b16 v[2:3], v1, off
.LBB95_1889:
	s_mov_b32 s55, 0
.LBB95_1890:
	s_delay_alu instid0(SALU_CYCLE_1)
	s_and_not1_b32 vcc_lo, exec_lo, s55
	s_cbranch_vccnz .LBB95_1892
; %bb.1891:
	s_wait_xcnt 0x0
	v_mov_b32_e32 v1, 0
	global_store_b8 v[2:3], v1, off
.LBB95_1892:
	s_mov_b32 s55, -1
.LBB95_1893:
	s_mov_b32 s56, 0
.LBB95_1894:
	s_delay_alu instid0(SALU_CYCLE_1)
	s_and_b32 vcc_lo, exec_lo, s56
	s_cbranch_vccz .LBB95_1913
; %bb.1895:
	s_cmp_gt_i32 s54, 22
	s_mov_b32 s56, -1
	s_cbranch_scc0 .LBB95_1905
; %bb.1896:
	s_cmp_lt_i32 s54, 24
	s_mov_b32 s55, -1
	s_cbranch_scc1 .LBB95_1902
; %bb.1897:
	s_cmp_gt_i32 s54, 24
	s_cbranch_scc0 .LBB95_1899
; %bb.1898:
	s_wait_xcnt 0x0
	v_mov_b32_e32 v1, 0
	s_mov_b32 s55, 0
	global_store_b8 v[2:3], v1, off
.LBB95_1899:
	s_and_not1_b32 vcc_lo, exec_lo, s55
	s_cbranch_vccnz .LBB95_1901
; %bb.1900:
	s_wait_xcnt 0x0
	v_mov_b32_e32 v1, 0
	global_store_b8 v[2:3], v1, off
.LBB95_1901:
	s_mov_b32 s55, 0
.LBB95_1902:
	s_delay_alu instid0(SALU_CYCLE_1)
	s_and_not1_b32 vcc_lo, exec_lo, s55
	s_cbranch_vccnz .LBB95_1904
; %bb.1903:
	s_wait_xcnt 0x0
	v_mov_b32_e32 v1, 0
	global_store_b8 v[2:3], v1, off
.LBB95_1904:
	s_mov_b32 s56, 0
	s_mov_b32 s55, -1
.LBB95_1905:
	s_and_not1_b32 vcc_lo, exec_lo, s56
	s_cbranch_vccnz .LBB95_1913
; %bb.1906:
	s_cmp_gt_i32 s54, 14
	s_mov_b32 s56, -1
	s_cbranch_scc0 .LBB95_1910
; %bb.1907:
	s_cmp_eq_u32 s54, 15
	s_mov_b32 s42, -1
	s_cbranch_scc0 .LBB95_1909
; %bb.1908:
	s_wait_xcnt 0x0
	v_mov_b32_e32 v1, 0
	s_mov_b32 s55, -1
	s_mov_b32 s42, 0
	global_store_b16 v[2:3], v1, off
.LBB95_1909:
	s_mov_b32 s56, 0
.LBB95_1910:
	s_delay_alu instid0(SALU_CYCLE_1)
	s_and_b32 vcc_lo, exec_lo, s56
	s_cbranch_vccz .LBB95_1913
; %bb.1911:
	s_cmp_eq_u32 s54, 11
	s_mov_b32 s42, -1
	s_cbranch_scc0 .LBB95_1913
; %bb.1912:
	s_wait_xcnt 0x0
	v_mov_b32_e32 v1, 0
	s_mov_b32 s55, -1
	s_mov_b32 s42, 0
	global_store_b8 v[2:3], v1, off
.LBB95_1913:
	s_mov_b32 s54, 0
.LBB95_1914:
	s_delay_alu instid0(SALU_CYCLE_1)
	s_and_b32 vcc_lo, exec_lo, s54
	s_cbranch_vccz .LBB95_1953
; %bb.1915:
	s_and_b32 s43, 0xffff, s43
	s_mov_b32 s54, -1
	s_cmp_lt_i32 s43, 5
	s_cbranch_scc1 .LBB95_1936
; %bb.1916:
	s_cmp_lt_i32 s43, 8
	s_cbranch_scc1 .LBB95_1926
; %bb.1917:
	;; [unrolled: 3-line block ×3, first 2 shown]
	s_cmp_gt_i32 s43, 9
	s_cbranch_scc0 .LBB95_1920
; %bb.1919:
	s_wait_xcnt 0x0
	v_mov_b32_e32 v4, 0
	s_mov_b32 s54, 0
	s_delay_alu instid0(VALU_DEP_1)
	v_dual_mov_b32 v5, v4 :: v_dual_mov_b32 v6, v4
	v_mov_b32_e32 v7, v4
	global_store_b128 v[2:3], v[4:7], off
.LBB95_1920:
	s_and_not1_b32 vcc_lo, exec_lo, s54
	s_cbranch_vccnz .LBB95_1922
; %bb.1921:
	s_wait_xcnt 0x0
	v_mov_b64_e32 v[4:5], 0
	global_store_b64 v[2:3], v[4:5], off
.LBB95_1922:
	s_mov_b32 s54, 0
.LBB95_1923:
	s_delay_alu instid0(SALU_CYCLE_1)
	s_and_not1_b32 vcc_lo, exec_lo, s54
	s_cbranch_vccnz .LBB95_1925
; %bb.1924:
	s_wait_xcnt 0x0
	v_mov_b32_e32 v1, 0
	global_store_b32 v[2:3], v1, off
.LBB95_1925:
	s_mov_b32 s54, 0
.LBB95_1926:
	s_delay_alu instid0(SALU_CYCLE_1)
	s_and_not1_b32 vcc_lo, exec_lo, s54
	s_cbranch_vccnz .LBB95_1935
; %bb.1927:
	s_cmp_lt_i32 s43, 6
	s_mov_b32 s54, -1
	s_cbranch_scc1 .LBB95_1933
; %bb.1928:
	s_cmp_gt_i32 s43, 6
	s_cbranch_scc0 .LBB95_1930
; %bb.1929:
	s_wait_xcnt 0x0
	v_mov_b64_e32 v[4:5], 0
	s_mov_b32 s54, 0
	global_store_b64 v[2:3], v[4:5], off
.LBB95_1930:
	s_and_not1_b32 vcc_lo, exec_lo, s54
	s_cbranch_vccnz .LBB95_1932
; %bb.1931:
	s_wait_xcnt 0x0
	v_mov_b32_e32 v1, 0
	global_store_b32 v[2:3], v1, off
.LBB95_1932:
	s_mov_b32 s54, 0
.LBB95_1933:
	s_delay_alu instid0(SALU_CYCLE_1)
	s_and_not1_b32 vcc_lo, exec_lo, s54
	s_cbranch_vccnz .LBB95_1935
; %bb.1934:
	s_wait_xcnt 0x0
	v_mov_b32_e32 v1, 0
	global_store_b16 v[2:3], v1, off
.LBB95_1935:
	s_mov_b32 s54, 0
.LBB95_1936:
	s_delay_alu instid0(SALU_CYCLE_1)
	s_and_not1_b32 vcc_lo, exec_lo, s54
	s_cbranch_vccnz .LBB95_1952
; %bb.1937:
	s_cmp_lt_i32 s43, 2
	s_mov_b32 s54, -1
	s_cbranch_scc1 .LBB95_1947
; %bb.1938:
	s_cmp_lt_i32 s43, 3
	s_cbranch_scc1 .LBB95_1944
; %bb.1939:
	s_cmp_gt_i32 s43, 3
	s_cbranch_scc0 .LBB95_1941
; %bb.1940:
	s_wait_xcnt 0x0
	v_mov_b64_e32 v[4:5], 0
	s_mov_b32 s54, 0
	global_store_b64 v[2:3], v[4:5], off
.LBB95_1941:
	s_and_not1_b32 vcc_lo, exec_lo, s54
	s_cbranch_vccnz .LBB95_1943
; %bb.1942:
	s_wait_xcnt 0x0
	v_mov_b32_e32 v1, 0
	global_store_b32 v[2:3], v1, off
.LBB95_1943:
	s_mov_b32 s54, 0
.LBB95_1944:
	s_delay_alu instid0(SALU_CYCLE_1)
	s_and_not1_b32 vcc_lo, exec_lo, s54
	s_cbranch_vccnz .LBB95_1946
; %bb.1945:
	s_wait_xcnt 0x0
	v_mov_b32_e32 v1, 0
	global_store_b16 v[2:3], v1, off
.LBB95_1946:
	s_mov_b32 s54, 0
.LBB95_1947:
	s_delay_alu instid0(SALU_CYCLE_1)
	s_and_not1_b32 vcc_lo, exec_lo, s54
	s_cbranch_vccnz .LBB95_1952
; %bb.1948:
	s_cmp_gt_i32 s43, 0
	s_mov_b32 s43, -1
	s_cbranch_scc0 .LBB95_1950
; %bb.1949:
	s_wait_xcnt 0x0
	v_mov_b32_e32 v1, 0
	s_mov_b32 s43, 0
	global_store_b8 v[2:3], v1, off
.LBB95_1950:
	s_and_not1_b32 vcc_lo, exec_lo, s43
	s_cbranch_vccnz .LBB95_1952
; %bb.1951:
	s_wait_xcnt 0x0
	v_mov_b32_e32 v1, 0
	global_store_b8 v[2:3], v1, off
.LBB95_1952:
	s_mov_b32 s55, -1
.LBB95_1953:
	s_delay_alu instid0(SALU_CYCLE_1)
	s_and_not1_b32 vcc_lo, exec_lo, s55
	s_cbranch_vccnz .LBB95_1955
; %bb.1954:
	v_add_nc_u32_e32 v0, 0x80, v0
	s_mov_b32 s54, -1
	s_branch .LBB95_1956
.LBB95_1955:
	s_mov_b32 s54, 0
                                        ; implicit-def: $vgpr0
.LBB95_1956:
	s_and_b32 s43, s42, exec_lo
	s_and_not1_b32 s0, s0, exec_lo
	s_and_b32 s42, s54, exec_lo
.LBB95_1957:
	s_wait_xcnt 0x0
	s_or_b32 exec_lo, exec_lo, s35
	s_delay_alu instid0(SALU_CYCLE_1)
	s_and_b32 s43, s43, exec_lo
	s_and_b32 s0, s0, exec_lo
	s_xor_b32 s35, exec_lo, -1
	s_and_b32 s42, s42, exec_lo
.LBB95_1958:
	s_or_b32 exec_lo, exec_lo, s41
	s_delay_alu instid0(SALU_CYCLE_1)
	s_and_b32 s43, s43, exec_lo
	s_and_b32 s54, s0, exec_lo
	;; [unrolled: 1-line block ×3, first 2 shown]
	s_xor_b32 s35, exec_lo, -1
	s_and_b32 s0, s42, exec_lo
.LBB95_1959:
	s_or_b32 exec_lo, exec_lo, s40
	s_delay_alu instid0(SALU_CYCLE_1)
	s_and_b32 s43, s43, exec_lo
	s_and_b32 s42, s54, exec_lo
	;; [unrolled: 1-line block ×4, first 2 shown]
	s_xor_b32 s35, exec_lo, -1
	s_and_b32 s0, s0, exec_lo
	s_or_b32 exec_lo, exec_lo, s39
	s_branch .LBB95_650
.LBB95_1960:
	s_mov_b32 s56, -1
	s_mov_b32 s55, 0
	s_mov_b32 s42, s64
	s_branch .LBB95_3610
.LBB95_1961:
	s_mov_b32 s100, -1
	s_mov_b32 s41, 0
.LBB95_1962:
                                        ; implicit-def: $vgpr14_vgpr15
.LBB95_1963:
	s_and_b32 vcc_lo, exec_lo, s42
	s_cbranch_vccz .LBB95_1967
; %bb.1964:
	s_cmp_eq_u32 s35, 44
	s_cbranch_scc0 .LBB95_1966
; %bb.1965:
	global_load_u8 v1, v[6:7], off
	s_mov_b32 s100, 0
	s_mov_b32 s41, -1
	s_wait_loadcnt 0x0
	v_lshlrev_b32_e32 v3, 23, v1
	v_cmp_ne_u32_e32 vcc_lo, 0, v1
	s_delay_alu instid0(VALU_DEP_2) | instskip(NEXT) | instid1(VALU_DEP_1)
	v_trunc_f32_e32 v3, v3
	v_mul_f32_e64 v14, 0x2f800000, |v3|
	s_delay_alu instid0(VALU_DEP_1) | instskip(SKIP_1) | instid1(VALU_DEP_2)
	v_floor_f32_e32 v15, v14
	v_ashrrev_i32_e32 v14, 31, v3
	v_fma_f32 v16, 0xcf800000, v15, |v3|
	v_cvt_u32_f32_e32 v3, v15
	s_delay_alu instid0(VALU_DEP_3) | instskip(NEXT) | instid1(VALU_DEP_3)
	v_mov_b32_e32 v15, v14
	v_cvt_u32_f32_e32 v16, v16
	s_delay_alu instid0(VALU_DEP_3) | instskip(NEXT) | instid1(VALU_DEP_2)
	v_xor_b32_e32 v17, v3, v14
	v_xor_b32_e32 v16, v16, v14
	s_delay_alu instid0(VALU_DEP_1) | instskip(NEXT) | instid1(VALU_DEP_1)
	v_sub_nc_u64_e32 v[14:15], v[16:17], v[14:15]
	v_dual_cndmask_b32 v15, 0, v15 :: v_dual_cndmask_b32 v14, 0, v14
	s_branch .LBB95_1967
.LBB95_1966:
	s_mov_b32 s100, -1
                                        ; implicit-def: $vgpr14_vgpr15
.LBB95_1967:
	s_mov_b32 s42, 0
.LBB95_1968:
	s_delay_alu instid0(SALU_CYCLE_1)
	s_and_b32 vcc_lo, exec_lo, s42
	s_cbranch_vccz .LBB95_1972
; %bb.1969:
	s_cmp_eq_u32 s35, 29
	s_cbranch_scc0 .LBB95_1971
; %bb.1970:
	global_load_b64 v[14:15], v[6:7], off
	s_mov_b32 s41, -1
	s_mov_b32 s100, 0
	s_branch .LBB95_1972
.LBB95_1971:
	s_mov_b32 s100, -1
                                        ; implicit-def: $vgpr14_vgpr15
.LBB95_1972:
	s_mov_b32 s42, 0
.LBB95_1973:
	s_delay_alu instid0(SALU_CYCLE_1)
	s_and_b32 vcc_lo, exec_lo, s42
	s_cbranch_vccz .LBB95_1989
; %bb.1974:
	s_cmp_lt_i32 s35, 27
	s_cbranch_scc1 .LBB95_1977
; %bb.1975:
	s_cmp_gt_i32 s35, 27
	s_cbranch_scc0 .LBB95_1978
; %bb.1976:
	s_wait_loadcnt 0x0
	global_load_b32 v14, v[6:7], off
	v_mov_b32_e32 v15, 0
	s_mov_b32 s41, 0
	s_branch .LBB95_1979
.LBB95_1977:
	s_mov_b32 s41, -1
                                        ; implicit-def: $vgpr14_vgpr15
	s_branch .LBB95_1982
.LBB95_1978:
	s_mov_b32 s41, -1
                                        ; implicit-def: $vgpr14_vgpr15
.LBB95_1979:
	s_delay_alu instid0(SALU_CYCLE_1)
	s_and_not1_b32 vcc_lo, exec_lo, s41
	s_cbranch_vccnz .LBB95_1981
; %bb.1980:
	global_load_u16 v1, v[6:7], off
	s_mov_b32 s21, 0
	s_wait_loadcnt 0x1
	v_mov_b32_e32 v15, s21
	s_wait_loadcnt 0x0
	v_and_b32_e32 v14, 0xffff, v1
.LBB95_1981:
	s_mov_b32 s41, 0
.LBB95_1982:
	s_delay_alu instid0(SALU_CYCLE_1)
	s_and_not1_b32 vcc_lo, exec_lo, s41
	s_cbranch_vccnz .LBB95_1988
; %bb.1983:
	global_load_u8 v1, v[6:7], off
	s_mov_b32 s42, 0
	s_mov_b32 s21, exec_lo
	s_wait_loadcnt 0x0
	v_cmpx_lt_i16_e32 0x7f, v1
	s_xor_b32 s41, exec_lo, s21
	s_cbranch_execz .LBB95_2000
; %bb.1984:
	v_cmp_ne_u16_e32 vcc_lo, 0x80, v1
	s_and_b32 s42, vcc_lo, exec_lo
	s_and_not1_saveexec_b32 s41, s41
	s_cbranch_execnz .LBB95_2001
.LBB95_1985:
	s_or_b32 exec_lo, exec_lo, s41
	v_mov_b64_e32 v[14:15], 0
	s_and_saveexec_b32 s41, s42
	s_cbranch_execz .LBB95_1987
.LBB95_1986:
	v_and_b32_e32 v3, 0xffff, v1
	s_delay_alu instid0(VALU_DEP_1) | instskip(SKIP_1) | instid1(VALU_DEP_2)
	v_dual_lshlrev_b32 v1, 24, v1 :: v_dual_bitop2_b32 v14, 7, v3 bitop3:0x40
	v_bfe_u32 v17, v3, 3, 4
	v_and_b32_e32 v1, 0x80000000, v1
	s_delay_alu instid0(VALU_DEP_3) | instskip(NEXT) | instid1(VALU_DEP_3)
	v_clz_i32_u32_e32 v15, v14
	v_cmp_eq_u32_e32 vcc_lo, 0, v17
	s_delay_alu instid0(VALU_DEP_2) | instskip(NEXT) | instid1(VALU_DEP_1)
	v_min_u32_e32 v15, 32, v15
	v_subrev_nc_u32_e32 v16, 28, v15
	v_sub_nc_u32_e32 v15, 29, v15
	s_delay_alu instid0(VALU_DEP_2) | instskip(NEXT) | instid1(VALU_DEP_2)
	v_lshlrev_b32_e32 v3, v16, v3
	v_cndmask_b32_e32 v15, v17, v15, vcc_lo
	s_delay_alu instid0(VALU_DEP_2) | instskip(NEXT) | instid1(VALU_DEP_1)
	v_and_b32_e32 v3, 7, v3
	v_cndmask_b32_e32 v3, v14, v3, vcc_lo
	s_delay_alu instid0(VALU_DEP_3) | instskip(NEXT) | instid1(VALU_DEP_2)
	v_lshl_add_u32 v14, v15, 23, 0x3b800000
	v_lshlrev_b32_e32 v3, 20, v3
	s_delay_alu instid0(VALU_DEP_1) | instskip(NEXT) | instid1(VALU_DEP_1)
	v_or3_b32 v1, v1, v14, v3
	v_trunc_f32_e32 v1, v1
	s_delay_alu instid0(VALU_DEP_1) | instskip(SKIP_1) | instid1(VALU_DEP_2)
	v_mul_f32_e64 v3, 0x2f800000, |v1|
	v_ashrrev_i32_e32 v14, 31, v1
	v_floor_f32_e32 v3, v3
	s_delay_alu instid0(VALU_DEP_1) | instskip(SKIP_1) | instid1(VALU_DEP_2)
	v_fma_f32 v15, 0xcf800000, v3, |v1|
	v_cvt_u32_f32_e32 v1, v3
	v_cvt_u32_f32_e32 v3, v15
	s_delay_alu instid0(VALU_DEP_2) | instskip(NEXT) | instid1(VALU_DEP_2)
	v_dual_mov_b32 v15, v14 :: v_dual_bitop2_b32 v17, v1, v14 bitop3:0x14
	v_xor_b32_e32 v16, v3, v14
	s_delay_alu instid0(VALU_DEP_1)
	v_sub_nc_u64_e32 v[14:15], v[16:17], v[14:15]
.LBB95_1987:
	s_or_b32 exec_lo, exec_lo, s41
.LBB95_1988:
	s_mov_b32 s41, -1
.LBB95_1989:
	s_mov_b32 s42, 0
.LBB95_1990:
	s_delay_alu instid0(SALU_CYCLE_1)
	s_and_b32 vcc_lo, exec_lo, s42
	s_cbranch_vccz .LBB95_2023
; %bb.1991:
	s_cmp_gt_i32 s35, 22
	s_cbranch_scc0 .LBB95_1999
; %bb.1992:
	s_cmp_lt_i32 s35, 24
	s_cbranch_scc1 .LBB95_2002
; %bb.1993:
	s_cmp_gt_i32 s35, 24
	s_cbranch_scc0 .LBB95_2003
; %bb.1994:
	global_load_u8 v1, v[6:7], off
	s_mov_b32 s42, 0
	s_mov_b32 s21, exec_lo
	s_wait_loadcnt 0x0
	v_cmpx_lt_i16_e32 0x7f, v1
	s_xor_b32 s41, exec_lo, s21
	s_cbranch_execz .LBB95_2015
; %bb.1995:
	v_cmp_ne_u16_e32 vcc_lo, 0x80, v1
	s_and_b32 s42, vcc_lo, exec_lo
	s_and_not1_saveexec_b32 s41, s41
	s_cbranch_execnz .LBB95_2016
.LBB95_1996:
	s_or_b32 exec_lo, exec_lo, s41
	v_mov_b64_e32 v[14:15], 0
	s_and_saveexec_b32 s41, s42
	s_cbranch_execz .LBB95_1998
.LBB95_1997:
	v_and_b32_e32 v3, 0xffff, v1
	s_delay_alu instid0(VALU_DEP_1) | instskip(SKIP_1) | instid1(VALU_DEP_2)
	v_dual_lshlrev_b32 v1, 24, v1 :: v_dual_bitop2_b32 v14, 3, v3 bitop3:0x40
	v_bfe_u32 v17, v3, 2, 5
	v_and_b32_e32 v1, 0x80000000, v1
	s_delay_alu instid0(VALU_DEP_3) | instskip(NEXT) | instid1(VALU_DEP_3)
	v_clz_i32_u32_e32 v15, v14
	v_cmp_eq_u32_e32 vcc_lo, 0, v17
	s_delay_alu instid0(VALU_DEP_2) | instskip(NEXT) | instid1(VALU_DEP_1)
	v_min_u32_e32 v15, 32, v15
	v_subrev_nc_u32_e32 v16, 29, v15
	v_sub_nc_u32_e32 v15, 30, v15
	s_delay_alu instid0(VALU_DEP_2) | instskip(NEXT) | instid1(VALU_DEP_2)
	v_lshlrev_b32_e32 v3, v16, v3
	v_cndmask_b32_e32 v15, v17, v15, vcc_lo
	s_delay_alu instid0(VALU_DEP_2) | instskip(NEXT) | instid1(VALU_DEP_1)
	v_and_b32_e32 v3, 3, v3
	v_cndmask_b32_e32 v3, v14, v3, vcc_lo
	s_delay_alu instid0(VALU_DEP_3) | instskip(NEXT) | instid1(VALU_DEP_2)
	v_lshl_add_u32 v14, v15, 23, 0x37800000
	v_lshlrev_b32_e32 v3, 21, v3
	s_delay_alu instid0(VALU_DEP_1) | instskip(NEXT) | instid1(VALU_DEP_1)
	v_or3_b32 v1, v1, v14, v3
	v_trunc_f32_e32 v1, v1
	s_delay_alu instid0(VALU_DEP_1) | instskip(SKIP_1) | instid1(VALU_DEP_2)
	v_mul_f32_e64 v3, 0x2f800000, |v1|
	v_ashrrev_i32_e32 v14, 31, v1
	v_floor_f32_e32 v3, v3
	s_delay_alu instid0(VALU_DEP_1) | instskip(SKIP_1) | instid1(VALU_DEP_2)
	v_fma_f32 v15, 0xcf800000, v3, |v1|
	v_cvt_u32_f32_e32 v1, v3
	v_cvt_u32_f32_e32 v3, v15
	s_delay_alu instid0(VALU_DEP_2) | instskip(NEXT) | instid1(VALU_DEP_2)
	v_dual_mov_b32 v15, v14 :: v_dual_bitop2_b32 v17, v1, v14 bitop3:0x14
	v_xor_b32_e32 v16, v3, v14
	s_delay_alu instid0(VALU_DEP_1)
	v_sub_nc_u64_e32 v[14:15], v[16:17], v[14:15]
.LBB95_1998:
	s_or_b32 exec_lo, exec_lo, s41
	s_mov_b32 s41, 0
	s_branch .LBB95_2004
.LBB95_1999:
	s_mov_b32 s42, -1
                                        ; implicit-def: $vgpr14_vgpr15
	s_branch .LBB95_2010
.LBB95_2000:
	s_and_not1_saveexec_b32 s41, s41
	s_cbranch_execz .LBB95_1985
.LBB95_2001:
	v_cmp_ne_u16_e32 vcc_lo, 0, v1
	s_and_not1_b32 s21, s42, exec_lo
	s_and_b32 s22, vcc_lo, exec_lo
	s_delay_alu instid0(SALU_CYCLE_1)
	s_or_b32 s42, s21, s22
	s_or_b32 exec_lo, exec_lo, s41
	v_mov_b64_e32 v[14:15], 0
	s_and_saveexec_b32 s41, s42
	s_cbranch_execnz .LBB95_1986
	s_branch .LBB95_1987
.LBB95_2002:
	s_mov_b32 s41, -1
                                        ; implicit-def: $vgpr14_vgpr15
	s_branch .LBB95_2007
.LBB95_2003:
	s_mov_b32 s41, -1
                                        ; implicit-def: $vgpr14_vgpr15
.LBB95_2004:
	s_delay_alu instid0(SALU_CYCLE_1)
	s_and_b32 vcc_lo, exec_lo, s41
	s_cbranch_vccz .LBB95_2006
; %bb.2005:
	global_load_u8 v1, v[6:7], off
	s_wait_loadcnt 0x0
	v_lshlrev_b32_e32 v1, 24, v1
	s_delay_alu instid0(VALU_DEP_1) | instskip(NEXT) | instid1(VALU_DEP_1)
	v_and_b32_e32 v3, 0x7f000000, v1
	v_clz_i32_u32_e32 v14, v3
	v_cmp_ne_u32_e32 vcc_lo, 0, v3
	v_add_nc_u32_e32 v16, 0x1000000, v3
	s_delay_alu instid0(VALU_DEP_3) | instskip(NEXT) | instid1(VALU_DEP_1)
	v_min_u32_e32 v14, 32, v14
	v_sub_nc_u32_e64 v14, v14, 4 clamp
	s_delay_alu instid0(VALU_DEP_1) | instskip(NEXT) | instid1(VALU_DEP_1)
	v_dual_lshlrev_b32 v15, v14, v3 :: v_dual_lshlrev_b32 v14, 23, v14
	v_lshrrev_b32_e32 v15, 4, v15
	s_delay_alu instid0(VALU_DEP_1) | instskip(NEXT) | instid1(VALU_DEP_1)
	v_dual_sub_nc_u32 v14, v15, v14 :: v_dual_ashrrev_i32 v15, 8, v16
	v_add_nc_u32_e32 v14, 0x3c000000, v14
	s_delay_alu instid0(VALU_DEP_1) | instskip(NEXT) | instid1(VALU_DEP_1)
	v_and_or_b32 v14, 0x7f800000, v15, v14
	v_cndmask_b32_e32 v3, 0, v14, vcc_lo
	s_delay_alu instid0(VALU_DEP_1) | instskip(NEXT) | instid1(VALU_DEP_1)
	v_and_or_b32 v1, 0x80000000, v1, v3
	v_trunc_f32_e32 v1, v1
	s_delay_alu instid0(VALU_DEP_1) | instskip(SKIP_1) | instid1(VALU_DEP_2)
	v_mul_f32_e64 v3, 0x2f800000, |v1|
	v_ashrrev_i32_e32 v14, 31, v1
	v_floor_f32_e32 v3, v3
	s_delay_alu instid0(VALU_DEP_1) | instskip(SKIP_1) | instid1(VALU_DEP_2)
	v_fma_f32 v15, 0xcf800000, v3, |v1|
	v_cvt_u32_f32_e32 v1, v3
	v_cvt_u32_f32_e32 v3, v15
	s_delay_alu instid0(VALU_DEP_2) | instskip(NEXT) | instid1(VALU_DEP_2)
	v_dual_mov_b32 v15, v14 :: v_dual_bitop2_b32 v17, v1, v14 bitop3:0x14
	v_xor_b32_e32 v16, v3, v14
	s_delay_alu instid0(VALU_DEP_1)
	v_sub_nc_u64_e32 v[14:15], v[16:17], v[14:15]
.LBB95_2006:
	s_mov_b32 s41, 0
.LBB95_2007:
	s_delay_alu instid0(SALU_CYCLE_1)
	s_and_not1_b32 vcc_lo, exec_lo, s41
	s_cbranch_vccnz .LBB95_2009
; %bb.2008:
	global_load_u8 v1, v[6:7], off
	s_wait_loadcnt 0x0
	v_lshlrev_b32_e32 v3, 25, v1
	v_lshlrev_b16 v1, 8, v1
	s_delay_alu instid0(VALU_DEP_1) | instskip(SKIP_1) | instid1(VALU_DEP_2)
	v_and_or_b32 v15, 0x7f00, v1, 0.5
	v_bfe_i32 v1, v1, 0, 16
	v_add_f32_e32 v15, -0.5, v15
	v_lshrrev_b32_e32 v14, 4, v3
	v_cmp_gt_u32_e32 vcc_lo, 0x8000000, v3
	s_delay_alu instid0(VALU_DEP_2) | instskip(NEXT) | instid1(VALU_DEP_1)
	v_or_b32_e32 v14, 0x70000000, v14
	v_mul_f32_e32 v14, 0x7800000, v14
	s_delay_alu instid0(VALU_DEP_1) | instskip(NEXT) | instid1(VALU_DEP_1)
	v_cndmask_b32_e32 v3, v14, v15, vcc_lo
	v_and_or_b32 v1, 0x80000000, v1, v3
	s_delay_alu instid0(VALU_DEP_1) | instskip(NEXT) | instid1(VALU_DEP_1)
	v_trunc_f32_e32 v1, v1
	v_mul_f32_e64 v3, 0x2f800000, |v1|
	v_ashrrev_i32_e32 v14, 31, v1
	s_delay_alu instid0(VALU_DEP_2) | instskip(NEXT) | instid1(VALU_DEP_1)
	v_floor_f32_e32 v3, v3
	v_fma_f32 v15, 0xcf800000, v3, |v1|
	v_cvt_u32_f32_e32 v1, v3
	s_delay_alu instid0(VALU_DEP_2) | instskip(NEXT) | instid1(VALU_DEP_2)
	v_cvt_u32_f32_e32 v3, v15
	v_dual_mov_b32 v15, v14 :: v_dual_bitop2_b32 v17, v1, v14 bitop3:0x14
	s_delay_alu instid0(VALU_DEP_2) | instskip(NEXT) | instid1(VALU_DEP_1)
	v_xor_b32_e32 v16, v3, v14
	v_sub_nc_u64_e32 v[14:15], v[16:17], v[14:15]
.LBB95_2009:
	s_mov_b32 s42, 0
	s_mov_b32 s41, -1
.LBB95_2010:
	s_and_not1_b32 vcc_lo, exec_lo, s42
	s_cbranch_vccnz .LBB95_2023
; %bb.2011:
	s_cmp_gt_i32 s35, 14
	s_cbranch_scc0 .LBB95_2014
; %bb.2012:
	s_cmp_eq_u32 s35, 15
	s_cbranch_scc0 .LBB95_2017
; %bb.2013:
	global_load_u16 v1, v[6:7], off
	s_mov_b32 s41, -1
	s_mov_b32 s100, 0
	s_wait_loadcnt 0x0
	v_lshlrev_b32_e32 v1, 16, v1
	s_delay_alu instid0(VALU_DEP_1) | instskip(NEXT) | instid1(VALU_DEP_1)
	v_trunc_f32_e32 v1, v1
	v_mul_f32_e64 v3, 0x2f800000, |v1|
	v_ashrrev_i32_e32 v14, 31, v1
	s_delay_alu instid0(VALU_DEP_2) | instskip(NEXT) | instid1(VALU_DEP_1)
	v_floor_f32_e32 v3, v3
	v_fma_f32 v15, 0xcf800000, v3, |v1|
	v_cvt_u32_f32_e32 v1, v3
	s_delay_alu instid0(VALU_DEP_2) | instskip(NEXT) | instid1(VALU_DEP_2)
	v_cvt_u32_f32_e32 v3, v15
	v_dual_mov_b32 v15, v14 :: v_dual_bitop2_b32 v17, v1, v14 bitop3:0x14
	s_delay_alu instid0(VALU_DEP_2) | instskip(NEXT) | instid1(VALU_DEP_1)
	v_xor_b32_e32 v16, v3, v14
	v_sub_nc_u64_e32 v[14:15], v[16:17], v[14:15]
	s_branch .LBB95_2018
.LBB95_2014:
	s_mov_b32 s42, -1
                                        ; implicit-def: $vgpr14_vgpr15
	s_branch .LBB95_2019
.LBB95_2015:
	s_and_not1_saveexec_b32 s41, s41
	s_cbranch_execz .LBB95_1996
.LBB95_2016:
	v_cmp_ne_u16_e32 vcc_lo, 0, v1
	s_and_not1_b32 s21, s42, exec_lo
	s_and_b32 s22, vcc_lo, exec_lo
	s_delay_alu instid0(SALU_CYCLE_1)
	s_or_b32 s42, s21, s22
	s_or_b32 exec_lo, exec_lo, s41
	v_mov_b64_e32 v[14:15], 0
	s_and_saveexec_b32 s41, s42
	s_cbranch_execnz .LBB95_1997
	s_branch .LBB95_1998
.LBB95_2017:
	s_mov_b32 s100, -1
                                        ; implicit-def: $vgpr14_vgpr15
.LBB95_2018:
	s_mov_b32 s42, 0
.LBB95_2019:
	s_delay_alu instid0(SALU_CYCLE_1)
	s_and_b32 vcc_lo, exec_lo, s42
	s_cbranch_vccz .LBB95_2023
; %bb.2020:
	s_cmp_eq_u32 s35, 11
	s_cbranch_scc0 .LBB95_2022
; %bb.2021:
	global_load_u8 v1, v[6:7], off
	s_mov_b32 s100, 0
	s_mov_b32 s41, -1
	s_wait_loadcnt 0x1
	v_mov_b32_e32 v15, s100
	s_wait_loadcnt 0x0
	v_cmp_ne_u16_e32 vcc_lo, 0, v1
	v_cndmask_b32_e64 v14, 0, 1, vcc_lo
	s_branch .LBB95_2023
.LBB95_2022:
	s_mov_b32 s100, -1
                                        ; implicit-def: $vgpr14_vgpr15
.LBB95_2023:
	s_mov_b32 s35, 0
.LBB95_2024:
	s_delay_alu instid0(SALU_CYCLE_1)
	s_and_b32 vcc_lo, exec_lo, s35
	s_cbranch_vccz .LBB95_2073
; %bb.2025:
	s_and_b32 s0, 0xffff, s0
	s_delay_alu instid0(SALU_CYCLE_1)
	s_cmp_lt_i32 s0, 5
	s_cbranch_scc1 .LBB95_2030
; %bb.2026:
	s_cmp_lt_i32 s0, 8
	s_cbranch_scc1 .LBB95_2031
; %bb.2027:
	s_cmp_lt_i32 s0, 9
	s_cbranch_scc1 .LBB95_2032
; %bb.2028:
	s_cmp_gt_i32 s0, 9
	s_cbranch_scc0 .LBB95_2033
; %bb.2029:
	s_wait_loadcnt 0x0
	global_load_b64 v[14:15], v[6:7], off
	s_mov_b32 s35, 0
	s_wait_loadcnt 0x0
	v_trunc_f64_e32 v[14:15], v[14:15]
	s_delay_alu instid0(VALU_DEP_1) | instskip(NEXT) | instid1(VALU_DEP_1)
	v_ldexp_f64 v[16:17], v[14:15], 0xffffffe0
	v_floor_f64_e32 v[16:17], v[16:17]
	s_delay_alu instid0(VALU_DEP_1) | instskip(SKIP_1) | instid1(VALU_DEP_2)
	v_fmamk_f64 v[18:19], v[16:17], 0xc1f00000, v[14:15]
	v_cvt_i32_f64_e32 v15, v[16:17]
	v_cvt_u32_f64_e32 v14, v[18:19]
	s_branch .LBB95_2034
.LBB95_2030:
	s_mov_b32 s35, -1
                                        ; implicit-def: $vgpr14_vgpr15
	s_branch .LBB95_2052
.LBB95_2031:
	s_mov_b32 s35, -1
                                        ; implicit-def: $vgpr14_vgpr15
	s_branch .LBB95_2040
.LBB95_2032:
	s_mov_b32 s35, -1
                                        ; implicit-def: $vgpr14_vgpr15
	s_branch .LBB95_2037
.LBB95_2033:
	s_mov_b32 s35, -1
                                        ; implicit-def: $vgpr14_vgpr15
.LBB95_2034:
	s_delay_alu instid0(SALU_CYCLE_1)
	s_and_not1_b32 vcc_lo, exec_lo, s35
	s_cbranch_vccnz .LBB95_2036
; %bb.2035:
	global_load_b32 v1, v[6:7], off
	s_wait_loadcnt 0x0
	v_trunc_f32_e32 v1, v1
	s_delay_alu instid0(VALU_DEP_1) | instskip(SKIP_1) | instid1(VALU_DEP_2)
	v_mul_f32_e64 v3, 0x2f800000, |v1|
	v_ashrrev_i32_e32 v14, 31, v1
	v_floor_f32_e32 v3, v3
	s_delay_alu instid0(VALU_DEP_1) | instskip(SKIP_1) | instid1(VALU_DEP_2)
	v_fma_f32 v15, 0xcf800000, v3, |v1|
	v_cvt_u32_f32_e32 v1, v3
	v_cvt_u32_f32_e32 v3, v15
	s_delay_alu instid0(VALU_DEP_2) | instskip(NEXT) | instid1(VALU_DEP_2)
	v_dual_mov_b32 v15, v14 :: v_dual_bitop2_b32 v17, v1, v14 bitop3:0x14
	v_xor_b32_e32 v16, v3, v14
	s_delay_alu instid0(VALU_DEP_1)
	v_sub_nc_u64_e32 v[14:15], v[16:17], v[14:15]
.LBB95_2036:
	s_mov_b32 s35, 0
.LBB95_2037:
	s_delay_alu instid0(SALU_CYCLE_1)
	s_and_not1_b32 vcc_lo, exec_lo, s35
	s_cbranch_vccnz .LBB95_2039
; %bb.2038:
	global_load_b32 v1, v[6:7], off
	s_wait_loadcnt 0x0
	v_cvt_f32_f16_e32 v1, v1
	s_delay_alu instid0(VALU_DEP_1) | instskip(NEXT) | instid1(VALU_DEP_1)
	v_cvt_i32_f32_e32 v14, v1
	v_ashrrev_i32_e32 v15, 31, v14
.LBB95_2039:
	s_mov_b32 s35, 0
.LBB95_2040:
	s_delay_alu instid0(SALU_CYCLE_1)
	s_and_not1_b32 vcc_lo, exec_lo, s35
	s_cbranch_vccnz .LBB95_2051
; %bb.2041:
	s_cmp_lt_i32 s0, 6
	s_cbranch_scc1 .LBB95_2044
; %bb.2042:
	s_cmp_gt_i32 s0, 6
	s_cbranch_scc0 .LBB95_2045
; %bb.2043:
	s_wait_loadcnt 0x0
	global_load_b64 v[14:15], v[6:7], off
	s_mov_b32 s35, 0
	s_wait_loadcnt 0x0
	v_trunc_f64_e32 v[14:15], v[14:15]
	s_delay_alu instid0(VALU_DEP_1) | instskip(NEXT) | instid1(VALU_DEP_1)
	v_ldexp_f64 v[16:17], v[14:15], 0xffffffe0
	v_floor_f64_e32 v[16:17], v[16:17]
	s_delay_alu instid0(VALU_DEP_1) | instskip(SKIP_1) | instid1(VALU_DEP_2)
	v_fmamk_f64 v[18:19], v[16:17], 0xc1f00000, v[14:15]
	v_cvt_i32_f64_e32 v15, v[16:17]
	v_cvt_u32_f64_e32 v14, v[18:19]
	s_branch .LBB95_2046
.LBB95_2044:
	s_mov_b32 s35, -1
                                        ; implicit-def: $vgpr14_vgpr15
	s_branch .LBB95_2049
.LBB95_2045:
	s_mov_b32 s35, -1
                                        ; implicit-def: $vgpr14_vgpr15
.LBB95_2046:
	s_delay_alu instid0(SALU_CYCLE_1)
	s_and_not1_b32 vcc_lo, exec_lo, s35
	s_cbranch_vccnz .LBB95_2048
; %bb.2047:
	global_load_b32 v1, v[6:7], off
	s_wait_loadcnt 0x0
	v_trunc_f32_e32 v1, v1
	s_delay_alu instid0(VALU_DEP_1) | instskip(SKIP_1) | instid1(VALU_DEP_2)
	v_mul_f32_e64 v3, 0x2f800000, |v1|
	v_ashrrev_i32_e32 v14, 31, v1
	v_floor_f32_e32 v3, v3
	s_delay_alu instid0(VALU_DEP_1) | instskip(SKIP_1) | instid1(VALU_DEP_2)
	v_fma_f32 v15, 0xcf800000, v3, |v1|
	v_cvt_u32_f32_e32 v1, v3
	v_cvt_u32_f32_e32 v3, v15
	s_delay_alu instid0(VALU_DEP_2) | instskip(NEXT) | instid1(VALU_DEP_2)
	v_dual_mov_b32 v15, v14 :: v_dual_bitop2_b32 v17, v1, v14 bitop3:0x14
	v_xor_b32_e32 v16, v3, v14
	s_delay_alu instid0(VALU_DEP_1)
	v_sub_nc_u64_e32 v[14:15], v[16:17], v[14:15]
.LBB95_2048:
	s_mov_b32 s35, 0
.LBB95_2049:
	s_delay_alu instid0(SALU_CYCLE_1)
	s_and_not1_b32 vcc_lo, exec_lo, s35
	s_cbranch_vccnz .LBB95_2051
; %bb.2050:
	global_load_u16 v1, v[6:7], off
	s_wait_loadcnt 0x0
	v_cvt_f32_f16_e32 v1, v1
	s_delay_alu instid0(VALU_DEP_1) | instskip(NEXT) | instid1(VALU_DEP_1)
	v_cvt_i32_f32_e32 v14, v1
	v_ashrrev_i32_e32 v15, 31, v14
.LBB95_2051:
	s_mov_b32 s35, 0
.LBB95_2052:
	s_delay_alu instid0(SALU_CYCLE_1)
	s_and_not1_b32 vcc_lo, exec_lo, s35
	s_cbranch_vccnz .LBB95_2072
; %bb.2053:
	s_cmp_lt_i32 s0, 2
	s_cbranch_scc1 .LBB95_2057
; %bb.2054:
	s_cmp_lt_i32 s0, 3
	s_cbranch_scc1 .LBB95_2058
; %bb.2055:
	s_cmp_gt_i32 s0, 3
	s_cbranch_scc0 .LBB95_2059
; %bb.2056:
	s_wait_loadcnt 0x0
	global_load_b64 v[14:15], v[6:7], off
	s_mov_b32 s35, 0
	s_branch .LBB95_2060
.LBB95_2057:
	s_mov_b32 s35, -1
                                        ; implicit-def: $vgpr14_vgpr15
	s_branch .LBB95_2066
.LBB95_2058:
	s_mov_b32 s35, -1
                                        ; implicit-def: $vgpr14_vgpr15
	s_branch .LBB95_2063
.LBB95_2059:
	s_mov_b32 s35, -1
                                        ; implicit-def: $vgpr14_vgpr15
.LBB95_2060:
	s_delay_alu instid0(SALU_CYCLE_1)
	s_and_not1_b32 vcc_lo, exec_lo, s35
	s_cbranch_vccnz .LBB95_2062
; %bb.2061:
	s_wait_loadcnt 0x0
	global_load_b32 v14, v[6:7], off
	s_wait_loadcnt 0x0
	v_ashrrev_i32_e32 v15, 31, v14
.LBB95_2062:
	s_mov_b32 s35, 0
.LBB95_2063:
	s_delay_alu instid0(SALU_CYCLE_1)
	s_and_not1_b32 vcc_lo, exec_lo, s35
	s_cbranch_vccnz .LBB95_2065
; %bb.2064:
	global_load_u16 v1, v[6:7], off
	s_wait_loadcnt 0x0
	v_bfe_i32 v14, v1, 0, 16
	s_delay_alu instid0(VALU_DEP_1)
	v_ashrrev_i32_e32 v15, 31, v14
.LBB95_2065:
	s_mov_b32 s35, 0
.LBB95_2066:
	s_delay_alu instid0(SALU_CYCLE_1)
	s_and_not1_b32 vcc_lo, exec_lo, s35
	s_cbranch_vccnz .LBB95_2072
; %bb.2067:
	s_cmp_gt_i32 s0, 0
	s_mov_b32 s0, 0
	s_cbranch_scc0 .LBB95_2069
; %bb.2068:
	global_load_i8 v1, v[6:7], off
	s_wait_loadcnt 0x0
	v_bfe_i32 v14, v1, 0, 16
	s_delay_alu instid0(VALU_DEP_1)
	v_ashrrev_i32_e32 v15, 31, v14
	s_branch .LBB95_2070
.LBB95_2069:
	s_mov_b32 s0, -1
                                        ; implicit-def: $vgpr14_vgpr15
.LBB95_2070:
	s_delay_alu instid0(SALU_CYCLE_1)
	s_and_not1_b32 vcc_lo, exec_lo, s0
	s_cbranch_vccnz .LBB95_2072
; %bb.2071:
	global_load_u8 v1, v[6:7], off
	s_mov_b32 s0, 0
	s_wait_loadcnt 0x1
	v_mov_b32_e32 v15, s0
	s_wait_loadcnt 0x0
	v_and_b32_e32 v14, 0xffff, v1
.LBB95_2072:
	s_mov_b32 s41, -1
.LBB95_2073:
	s_delay_alu instid0(SALU_CYCLE_1)
	s_and_not1_b32 vcc_lo, exec_lo, s41
	s_cbranch_vccnz .LBB95_2084
; %bb.2074:
	s_load_b512 s[4:19], s[2:3], 0x248
	s_mov_b32 s0, 0
	s_mov_b32 s43, -1
	s_mov_b32 s54, s93
	s_mov_b32 s42, s79
	;; [unrolled: 1-line block ×4, first 2 shown]
	s_wait_loadcnt 0x0
	s_wait_kmcnt 0x0
	v_cmp_eq_u64_e32 vcc_lo, s[16:17], v[4:5]
	s_and_b32 s21, s101, vcc_lo
	s_delay_alu instid0(SALU_CYCLE_1)
	s_and_saveexec_b32 s95, s21
	s_cbranch_execz .LBB95_4294
; %bb.2075:
	v_cmp_eq_u64_e32 vcc_lo, s[36:37], v[8:9]
	s_mov_b32 s42, -1
	s_mov_b32 s43, s79
	s_mov_b32 s55, s96
	;; [unrolled: 1-line block ×3, first 2 shown]
	s_and_b32 s21, s48, vcc_lo
	s_delay_alu instid0(SALU_CYCLE_1)
	s_and_saveexec_b32 s41, s21
	s_cbranch_execz .LBB95_3780
; %bb.2076:
	s_load_b512 s[4:19], s[2:3], 0x248
	v_sub_nc_u64_e32 v[4:5], v[10:11], v[12:13]
	s_mov_b32 s35, 0
	s_mov_b32 s43, -1
	s_mov_b32 s55, s40
	s_wait_kmcnt 0x0
	s_delay_alu instid0(VALU_DEP_1) | instskip(SKIP_4) | instid1(SALU_CYCLE_1)
	v_cmp_le_i64_e32 vcc_lo, s[16:17], v[4:5]
	v_cmp_ge_i64_e64 s0, s[18:19], v[4:5]
	s_and_b32 s21, vcc_lo, s0
	s_mov_b32 s0, s96
	s_and_b32 s21, s104, s21
	s_and_saveexec_b32 s42, s21
	s_cbranch_execz .LBB95_3779
; %bb.2077:
	v_cmp_lt_i64_e64 s0, s[36:37], 1
	v_mov_b64_e32 v[4:5], 0
	s_xor_b32 s21, s49, -1
	s_delay_alu instid0(SALU_CYCLE_1) | instskip(NEXT) | instid1(SALU_CYCLE_1)
	s_or_b32 s0, s0, s21
	s_and_b32 vcc_lo, exec_lo, s0
	s_cbranch_vccnz .LBB95_2115
; %bb.2078:
	v_mul_u64_e32 v[8:9], s[36:37], v[14:15]
	s_mov_b32 s55, 0
	v_mov_b64_e32 v[4:5], 0
	s_mov_b32 s35, s55
	v_mov_b32_e32 v6, 0
	s_lshl_b64 s[22:23], s[34:35], 3
	s_mov_b32 s8, s27
	s_add_nc_u64 s[22:23], s[2:3], s[22:23]
	s_mov_b32 s7, s26
	s_add_nc_u64 s[56:57], s[22:23], 0x298
	s_mov_b32 s35, s38
	s_branch .LBB95_2080
.LBB95_2079:                            ;   in Loop: Header=BB95_2080 Depth=1
	s_or_b32 exec_lo, exec_lo, s0
	s_delay_alu instid0(VALU_DEP_1)
	v_mul_u64_e32 v[16:17], s[58:59], v[14:15]
	s_load_b64 s[22:23], s[56:57], 0x40
	s_add_co_i32 s35, s35, -1
	s_wait_xcnt 0x0
	s_add_nc_u64 s[56:57], s[56:57], -8
	s_cmp_lg_u32 s35, 0
	s_delay_alu instid0(VALU_DEP_1) | instskip(SKIP_1) | instid1(VALU_DEP_1)
	v_sub_nc_u64_e32 v[8:9], v[8:9], v[16:17]
	s_wait_kmcnt 0x0
	v_mad_nc_u64_u32 v[4:5], v8, s22, v[4:5]
	s_delay_alu instid0(VALU_DEP_1) | instskip(NEXT) | instid1(VALU_DEP_1)
	v_mad_u32 v1, v9, s22, v5
	v_mad_u32 v5, v8, s23, v1
	v_mov_b64_e32 v[8:9], v[14:15]
	s_cbranch_scc0 .LBB95_2114
.LBB95_2080:                            ; =>This Inner Loop Header: Depth=1
	s_load_b64 s[58:59], s[56:57], 0x0
                                        ; implicit-def: $vgpr14_vgpr15
	s_mov_b32 s0, exec_lo
	s_wait_kmcnt 0x0
	s_delay_alu instid0(VALU_DEP_1) | instskip(NEXT) | instid1(VALU_DEP_1)
	v_or_b32_e32 v7, s59, v9
	v_cmpx_ne_u64_e32 0, v[6:7]
	s_xor_b32 s43, exec_lo, s0
	s_cbranch_execz .LBB95_2082
; %bb.2081:                             ;   in Loop: Header=BB95_2080 Depth=1
	s_ashr_i32 s60, s59, 31
	s_mov_b32 s6, s25
	s_mov_b32 s61, s60
	;; [unrolled: 1-line block ×3, first 2 shown]
	s_add_nc_u64 s[22:23], s[58:59], s[60:61]
	s_mov_b32 s5, s31
	s_xor_b64 s[62:63], s[22:23], s[60:61]
	s_mov_b64 s[28:29], s[44:45]
	s_cvt_f32_u32 s0, s62
	s_cvt_f32_u32 s21, s63
	s_sub_nc_u64 s[24:25], 0, s[62:63]
	s_mov_b64 s[30:31], s[46:47]
	v_dual_mov_b32 v19, v6 :: v_dual_ashrrev_i32 v14, 31, v9
	s_fmamk_f32 s0, s21, 0x4f800000, s0
	s_delay_alu instid0(VALU_DEP_1) | instskip(NEXT) | instid1(SALU_CYCLE_2)
	v_mov_b32_e32 v15, v14
	v_s_rcp_f32 s0, s0
	s_delay_alu instid0(VALU_DEP_1) | instskip(SKIP_1) | instid1(TRANS32_DEP_1)
	v_add_nc_u64_e32 v[16:17], v[8:9], v[14:15]
	v_mov_b32_e32 v21, v6
	s_mul_f32 s0, s0, 0x5f7ffffc
	s_delay_alu instid0(VALU_DEP_2) | instskip(NEXT) | instid1(SALU_CYCLE_2)
	v_xor_b32_e32 v18, v16, v14
	s_mul_f32 s21, s0, 0x2f800000
	s_delay_alu instid0(VALU_DEP_3) | instskip(SKIP_1) | instid1(SALU_CYCLE_1)
	v_dual_mov_b32 v27, v6 :: v_dual_bitop2_b32 v20, v17, v14 bitop3:0x14
	v_xor_b32_e32 v14, s60, v14
	s_trunc_f32 s21, s21
	s_delay_alu instid0(SALU_CYCLE_3) | instskip(SKIP_1) | instid1(SALU_CYCLE_2)
	s_fmamk_f32 s0, s21, 0xcf800000, s0
	s_cvt_u32_f32 s23, s21
	s_cvt_u32_f32 s22, s0
	s_delay_alu instid0(SALU_CYCLE_3) | instskip(NEXT) | instid1(SALU_CYCLE_1)
	s_mul_u64 s[26:27], s[24:25], s[22:23]
	s_mul_hi_u32 s45, s22, s27
	s_mul_i32 s44, s22, s27
	s_mul_hi_u32 s54, s22, s26
	s_mul_i32 s21, s23, s26
	s_add_nc_u64 s[44:45], s[54:55], s[44:45]
	s_mul_hi_u32 s0, s23, s26
	s_mul_hi_u32 s46, s23, s27
	s_add_co_u32 s21, s44, s21
	s_add_co_ci_u32 s54, s45, s0
	s_mul_i32 s26, s23, s27
	s_add_co_ci_u32 s27, s46, 0
	s_delay_alu instid0(SALU_CYCLE_1) | instskip(NEXT) | instid1(SALU_CYCLE_1)
	s_add_nc_u64 s[26:27], s[54:55], s[26:27]
	s_add_co_u32 s22, s22, s26
	s_cselect_b32 s0, -1, 0
	s_delay_alu instid0(SALU_CYCLE_1) | instskip(SKIP_1) | instid1(SALU_CYCLE_1)
	s_cmp_lg_u32 s0, 0
	s_add_co_ci_u32 s23, s23, s27
	s_mul_u64 s[24:25], s[24:25], s[22:23]
	s_delay_alu instid0(SALU_CYCLE_1)
	s_mul_hi_u32 s27, s22, s25
	s_mul_i32 s26, s22, s25
	s_mul_hi_u32 s54, s22, s24
	s_mul_i32 s21, s23, s24
	s_add_nc_u64 s[26:27], s[54:55], s[26:27]
	s_mul_hi_u32 s0, s23, s24
	s_mul_hi_u32 s44, s23, s25
	s_add_co_u32 s21, s26, s21
	s_add_co_ci_u32 s54, s27, s0
	s_mul_i32 s24, s23, s25
	s_add_co_ci_u32 s25, s44, 0
	s_mov_b64 s[46:47], s[30:31]
	s_add_nc_u64 s[24:25], s[54:55], s[24:25]
	s_mov_b64 s[44:45], s[28:29]
	s_add_co_u32 s0, s22, s24
	s_cselect_b32 s21, -1, 0
	v_mul_hi_u32 v26, v18, s0
	s_cmp_lg_u32 s21, 0
	s_mov_b32 s31, s5
	s_add_co_ci_u32 s54, s23, s25
	s_mov_b64 s[22:23], 0xffffffff
	v_mul_u64_e32 v[22:23], s[54:55], v[18:19]
	s_and_b64 s[22:23], s[0:1], s[22:23]
	v_mul_u64_e32 v[24:25], s[54:55], v[20:21]
	v_mul_u64_e32 v[16:17], s[22:23], v[20:21]
	s_mov_b32 s28, s4
	s_mov_b32 s25, s6
	s_delay_alu instid0(VALU_DEP_3) | instskip(NEXT) | instid1(VALU_DEP_1)
	v_add_nc_u64_e32 v[22:23], v[26:27], v[22:23]
	v_add_co_u32 v1, vcc_lo, v22, v16
	s_delay_alu instid0(VALU_DEP_2) | instskip(SKIP_1) | instid1(VALU_DEP_1)
	v_add_co_ci_u32_e32 v26, vcc_lo, v23, v17, vcc_lo
	v_add_co_ci_u32_e32 v25, vcc_lo, 0, v25, vcc_lo
	v_add_nc_u64_e32 v[16:17], v[26:27], v[24:25]
	s_delay_alu instid0(VALU_DEP_1) | instskip(NEXT) | instid1(VALU_DEP_1)
	v_mul_u64_e32 v[22:23], s[62:63], v[16:17]
	v_sub_nc_u32_e32 v1, v20, v23
	s_delay_alu instid0(VALU_DEP_2) | instskip(NEXT) | instid1(VALU_DEP_1)
	v_sub_co_u32 v3, vcc_lo, v18, v22
	v_sub_co_ci_u32_e64 v15, null, v20, v23, vcc_lo
	s_delay_alu instid0(VALU_DEP_3) | instskip(NEXT) | instid1(VALU_DEP_3)
	v_subrev_co_ci_u32_e64 v1, null, s63, v1, vcc_lo
	v_sub_co_u32 v7, s0, v3, s62
	v_add_nc_u64_e32 v[20:21], 1, v[16:17]
	s_delay_alu instid0(VALU_DEP_3) | instskip(NEXT) | instid1(VALU_DEP_3)
	v_subrev_co_ci_u32_e64 v1, null, 0, v1, s0
	v_cmp_le_u32_e32 vcc_lo, s62, v7
	v_cndmask_b32_e64 v7, 0, -1, vcc_lo
	s_delay_alu instid0(VALU_DEP_3)
	v_cmp_le_u32_e32 vcc_lo, s63, v1
	v_cndmask_b32_e64 v18, 0, -1, vcc_lo
	v_cmp_le_u32_e32 vcc_lo, s62, v3
	v_cndmask_b32_e64 v3, 0, -1, vcc_lo
	;; [unrolled: 2-line block ×3, first 2 shown]
	v_cmp_eq_u32_e32 vcc_lo, s63, v1
	v_cndmask_b32_e32 v1, v18, v7, vcc_lo
	v_cmp_eq_u32_e32 vcc_lo, s63, v15
	v_add_nc_u64_e32 v[18:19], 2, v[16:17]
	v_mov_b32_e32 v15, v14
	v_cndmask_b32_e32 v3, v22, v3, vcc_lo
	v_cmp_ne_u32_e32 vcc_lo, 0, v1
	s_delay_alu instid0(VALU_DEP_2) | instskip(SKIP_1) | instid1(VALU_DEP_1)
	v_cmp_ne_u32_e64 s0, 0, v3
	v_dual_cndmask_b32 v1, v21, v19, vcc_lo :: v_dual_cndmask_b32 v3, v20, v18, vcc_lo
	v_dual_cndmask_b32 v1, v17, v1, s0 :: v_dual_cndmask_b32 v3, v16, v3, s0
	s_delay_alu instid0(VALU_DEP_1) | instskip(NEXT) | instid1(VALU_DEP_2)
	v_xor_b32_e32 v17, v1, v14
	v_xor_b32_e32 v16, v3, v14
	s_delay_alu instid0(VALU_DEP_1)
	v_sub_nc_u64_e32 v[14:15], v[16:17], v[14:15]
.LBB95_2082:                            ;   in Loop: Header=BB95_2080 Depth=1
	s_and_not1_saveexec_b32 s0, s43
	s_cbranch_execz .LBB95_2079
; %bb.2083:                             ;   in Loop: Header=BB95_2080 Depth=1
	v_cvt_f32_u32_e32 v1, s58
	s_sub_co_i32 s21, 0, s58
	v_mov_b32_e32 v15, v6
	s_delay_alu instid0(VALU_DEP_2) | instskip(SKIP_1) | instid1(TRANS32_DEP_1)
	v_rcp_iflag_f32_e32 v1, v1
	v_nop
	v_mul_f32_e32 v1, 0x4f7ffffe, v1
	s_delay_alu instid0(VALU_DEP_1) | instskip(NEXT) | instid1(VALU_DEP_1)
	v_cvt_u32_f32_e32 v1, v1
	v_mul_lo_u32 v3, s21, v1
	s_delay_alu instid0(VALU_DEP_1) | instskip(NEXT) | instid1(VALU_DEP_1)
	v_mul_hi_u32 v3, v1, v3
	v_add_nc_u32_e32 v1, v1, v3
	s_delay_alu instid0(VALU_DEP_1) | instskip(NEXT) | instid1(VALU_DEP_1)
	v_mul_hi_u32 v1, v8, v1
	v_mul_lo_u32 v3, v1, s58
	s_delay_alu instid0(VALU_DEP_1) | instskip(NEXT) | instid1(VALU_DEP_1)
	v_sub_nc_u32_e32 v3, v8, v3
	v_subrev_nc_u32_e32 v14, s58, v3
	v_cmp_le_u32_e32 vcc_lo, s58, v3
	s_delay_alu instid0(VALU_DEP_2) | instskip(NEXT) | instid1(VALU_DEP_1)
	v_dual_add_nc_u32 v7, 1, v1 :: v_dual_cndmask_b32 v3, v3, v14, vcc_lo
	v_cndmask_b32_e32 v1, v1, v7, vcc_lo
	s_delay_alu instid0(VALU_DEP_2) | instskip(NEXT) | instid1(VALU_DEP_2)
	v_cmp_le_u32_e32 vcc_lo, s58, v3
	v_add_nc_u32_e32 v7, 1, v1
	s_delay_alu instid0(VALU_DEP_1)
	v_cndmask_b32_e32 v14, v1, v7, vcc_lo
	s_branch .LBB95_2079
.LBB95_2084:
	s_mov_b32 s0, 0
	s_mov_b32 s35, s40
	;; [unrolled: 1-line block ×6, first 2 shown]
.LBB95_2085:
                                        ; implicit-def: $vgpr0
.LBB95_2086:
	s_and_not1_b32 s21, s40, exec_lo
	s_and_b32 s22, s35, exec_lo
	s_and_not1_b32 s23, s96, exec_lo
	s_and_b32 s24, s41, exec_lo
	s_or_b32 s95, s21, s22
	s_or_b32 s63, s23, s24
	s_and_not1_b32 s21, s79, exec_lo
	s_and_b32 s22, s42, exec_lo
	s_and_not1_b32 s23, s93, exec_lo
	s_and_b32 s24, s54, exec_lo
	s_or_b32 s97, s21, s22
	s_or_b32 s61, s23, s24
	;; [unrolled: 6-line block ×3, first 2 shown]
	s_and_not1_b32 s21, s92, exec_lo
	s_and_b32 s22, vcc_hi, exec_lo
	s_and_not1_b32 s23, s89, exec_lo
	s_and_b32 s24, s20, exec_lo
	s_mov_b32 vcc_hi, s48
	v_readlane_b32 s48, v66, 0
	s_or_b32 s62, s21, s22
	s_or_b32 s58, s23, s24
	s_and_not1_b32 s21, s90, exec_lo
	s_and_b32 s20, s27, exec_lo
	s_and_not1_b32 s22, s88, exec_lo
	s_and_b32 s23, s26, exec_lo
	s_or_b32 s60, s21, s20
	s_or_b32 s35, s22, s23
	s_or_not1_b32 s55, s0, exec_lo
.LBB95_2087:
	s_wait_xcnt 0x0
	s_or_b32 exec_lo, exec_lo, s99
	s_mov_b32 s42, 0
	s_mov_b32 s54, 0
	;; [unrolled: 1-line block ×3, first 2 shown]
                                        ; implicit-def: $sgpr0
                                        ; implicit-def: $vgpr14_vgpr15
                                        ; implicit-def: $vgpr2
                                        ; implicit-def: $vgpr12
                                        ; implicit-def: $vgpr10
                                        ; implicit-def: $vgpr6
                                        ; implicit-def: $vgpr8
                                        ; implicit-def: $vgpr4_vgpr5
	s_and_saveexec_b32 s41, s55
	s_cbranch_execz .LBB95_2192
; %bb.2088:
	s_mov_b32 s55, 0
	s_mov_b32 s56, s35
	s_mov_b32 s42, exec_lo
                                        ; implicit-def: $sgpr0
                                        ; implicit-def: $vgpr14_vgpr15
                                        ; implicit-def: $vgpr2
                                        ; implicit-def: $vgpr12
                                        ; implicit-def: $vgpr10
                                        ; implicit-def: $vgpr6
                                        ; implicit-def: $vgpr8
                                        ; implicit-def: $vgpr4_vgpr5
	v_cmpx_gt_i32_e64 s77, v0
	s_cbranch_execz .LBB95_2191
; %bb.2089:
	s_and_not1_b32 vcc_lo, exec_lo, s68
	s_cbranch_vccnz .LBB95_2096
; %bb.2090:
	s_and_not1_b32 vcc_lo, exec_lo, s25
	s_cbranch_vccnz .LBB95_2097
; %bb.2091:
	s_wait_loadcnt 0x0
	v_dual_mov_b32 v8, 0 :: v_dual_mov_b32 v1, v0
	v_dual_mov_b32 v6, 0 :: v_dual_mov_b32 v10, 0
	;; [unrolled: 1-line block ×3, first 2 shown]
	v_mov_b32_e32 v4, 0
	s_add_co_i32 s0, s76, 1
	s_mov_b64 s[20:21], 0xffffffffffffffd0
	s_mov_b32 s11, s31
	s_mov_b32 s10, s28
	s_mov_b64 s[4:5], s[72:73]
	s_mov_b64 s[28:29], s[44:45]
	s_mov_b32 s8, vcc_hi
	s_mov_b64 s[6:7], s[74:75]
	s_mov_b64 s[30:31], s[46:47]
	s_and_b32 s0, s0, 30
	s_add_nc_u64 s[54:55], s[2:3], s[20:21]
	s_mov_b64 s[56:57], s[2:3]
.LBB95_2092:                            ; =>This Inner Loop Header: Depth=1
	s_clause 0x1
	s_load_b128 s[44:47], s[56:57], 0x4
	s_load_b64 vcc, s[56:57], 0x14
	s_clause 0x1
	s_load_b256 s[20:27], s[54:55], 0xf4
	s_load_b128 s[72:75], s[54:55], 0x114
	s_add_co_i32 s0, s0, -2
	s_wait_xcnt 0x0
	s_add_nc_u64 s[56:57], s[56:57], 24
	s_cmp_eq_u32 s0, 0
	s_add_nc_u64 s[54:55], s[54:55], 48
	s_wait_kmcnt 0x0
	v_mul_hi_u32 v3, s45, v1
	s_delay_alu instid0(VALU_DEP_1) | instskip(NEXT) | instid1(VALU_DEP_1)
	v_add_nc_u32_e32 v3, v1, v3
	v_lshrrev_b32_e32 v3, s46, v3
	s_delay_alu instid0(VALU_DEP_1) | instskip(SKIP_1) | instid1(VALU_DEP_1)
	v_mul_hi_u32 v5, vcc_lo, v3
	v_mul_lo_u32 v7, v3, s44
	v_dual_add_nc_u32 v5, v3, v5 :: v_dual_sub_nc_u32 v7, v1, v7
	s_delay_alu instid0(VALU_DEP_1) | instskip(NEXT) | instid1(VALU_DEP_2)
	v_lshrrev_b32_e32 v1, vcc_hi, v5
	v_mad_u32 v4, v7, s21, v4
	v_mad_u32 v2, v7, s20, v2
	;; [unrolled: 1-line block ×4, first 2 shown]
	v_mul_lo_u32 v5, v1, s47
	v_mad_u32 v6, s25, v7, v6
	v_mad_u32 v7, s24, v7, v8
	s_delay_alu instid0(VALU_DEP_3) | instskip(NEXT) | instid1(VALU_DEP_1)
	v_sub_nc_u32_e32 v3, v3, v5
	v_mad_u32 v4, v3, s27, v4
	v_mad_u32 v2, v3, s26, v2
	;; [unrolled: 1-line block ×6, first 2 shown]
	s_cbranch_scc0 .LBB95_2092
; %bb.2093:
	s_bitcmp1_b32 s76, 0
	s_cselect_b32 s0, -1, 0
	s_delay_alu instid0(SALU_CYCLE_1)
	s_and_b32 vcc_lo, exec_lo, s0
	s_cbranch_vccnz .LBB95_2095
; %bb.2094:
	s_load_b96 s[24:26], s[56:57], 0x4
	s_wait_kmcnt 0x0
	v_mul_hi_u32 v3, s25, v1
	s_delay_alu instid0(VALU_DEP_1) | instskip(NEXT) | instid1(VALU_DEP_1)
	v_add_nc_u32_e32 v3, v1, v3
	v_lshrrev_b32_e32 v3, s26, v3
	s_clause 0x1
	s_load_b128 s[20:23], s[54:55], 0xf4
	s_load_b64 s[26:27], s[54:55], 0x104
	s_delay_alu instid0(VALU_DEP_1) | instskip(NEXT) | instid1(VALU_DEP_1)
	v_mul_lo_u32 v3, v3, s24
	v_sub_nc_u32_e32 v1, v1, v3
	s_wait_kmcnt 0x0
	s_delay_alu instid0(VALU_DEP_1)
	v_mad_u32 v2, v1, s20, v2
	v_mad_u32 v4, v1, s21, v4
	;; [unrolled: 1-line block ×6, first 2 shown]
.LBB95_2095:
	s_mov_b64 s[46:47], s[30:31]
	s_mov_b64 s[74:75], s[6:7]
	;; [unrolled: 1-line block ×4, first 2 shown]
	s_mov_b32 vcc_hi, s8
	s_mov_b32 s28, s10
	s_mov_b32 s31, s11
	s_branch .LBB95_2098
.LBB95_2096:
	s_mov_b32 s0, -1
                                        ; implicit-def: $vgpr4
                                        ; implicit-def: $vgpr2
                                        ; implicit-def: $vgpr12
                                        ; implicit-def: $vgpr10
                                        ; implicit-def: $vgpr6
                                        ; implicit-def: $vgpr8
	s_branch .LBB95_2099
.LBB95_2097:
	s_wait_loadcnt 0x0
	v_dual_mov_b32 v4, 0 :: v_dual_mov_b32 v2, 0
	v_dual_mov_b32 v12, 0 :: v_dual_mov_b32 v10, 0
	;; [unrolled: 1-line block ×3, first 2 shown]
.LBB95_2098:
	s_mov_b32 s0, 0
.LBB95_2099:
	s_delay_alu instid0(SALU_CYCLE_1)
	s_and_not1_b32 vcc_lo, exec_lo, s0
	s_cbranch_vccnz .LBB95_2102
; %bb.2100:
	v_mov_b32_e32 v1, 0
	s_clause 0x1
	s_load_b128 s[4:7], s[2:3], 0x4
	s_load_b256 s[8:15], s[2:3], 0xc4
	s_and_not1_b32 vcc_lo, exec_lo, s48
	v_mul_u64_e32 v[2:3], s[50:51], v[0:1]
	s_delay_alu instid0(VALU_DEP_1) | instskip(SKIP_2) | instid1(VALU_DEP_1)
	v_add_nc_u32_e32 v2, v0, v3
	s_wait_loadcnt 0x0
	s_wait_kmcnt 0x0
	v_lshrrev_b32_e32 v14, s6, v2
	s_delay_alu instid0(VALU_DEP_1) | instskip(NEXT) | instid1(VALU_DEP_1)
	v_mul_lo_u32 v2, v14, s4
	v_sub_nc_u32_e32 v0, v0, v2
	s_delay_alu instid0(VALU_DEP_1)
	v_mul_lo_u32 v4, v0, s9
	v_mul_lo_u32 v2, v0, s8
	;; [unrolled: 1-line block ×6, first 2 shown]
	s_cbranch_vccnz .LBB95_2102
; %bb.2101:
	v_mov_b32_e32 v15, v1
	s_delay_alu instid0(VALU_DEP_1) | instskip(NEXT) | instid1(VALU_DEP_1)
	v_mul_u64_e32 v[0:1], s[52:53], v[14:15]
	v_add_nc_u32_e32 v0, v14, v1
	s_delay_alu instid0(VALU_DEP_1) | instskip(NEXT) | instid1(VALU_DEP_1)
	v_lshrrev_b32_e32 v0, s31, v0
	v_mul_lo_u32 v0, v0, s7
	s_delay_alu instid0(VALU_DEP_1) | instskip(NEXT) | instid1(VALU_DEP_1)
	v_sub_nc_u32_e32 v0, v14, v0
	v_mad_u32 v2, v0, s14, v2
	v_mad_u32 v4, v0, s15, v4
	v_mad_u32 v10, v0, s44, v10
	v_mad_u32 v12, v0, s45, v12
	v_mad_u32 v8, s46, v0, v8
	v_mad_u32 v6, s47, v0, v6
.LBB95_2102:
	s_load_b512 s[4:19], s[2:3], 0x248
	s_wait_loadcnt 0x0
	v_mov_b32_e32 v5, 0
	s_and_b32 s0, s1, 0xff
	s_delay_alu instid0(SALU_CYCLE_1) | instskip(SKIP_1) | instid1(VALU_DEP_1)
	s_cmp_lt_i32 s0, 11
	s_wait_kmcnt 0x0
	v_add_nc_u64_e32 v[14:15], s[6:7], v[4:5]
	s_cbranch_scc1 .LBB95_2109
; %bb.2103:
	s_and_b32 s1, 0xffff, s0
	s_mov_b32 s7, 0
	s_cmp_gt_i32 s1, 25
	s_cbranch_scc0 .LBB95_2110
; %bb.2104:
	s_cmp_gt_i32 s1, 28
	s_cbranch_scc0 .LBB95_2111
; %bb.2105:
	;; [unrolled: 3-line block ×4, first 2 shown]
	s_cmp_eq_u32 s1, 46
	s_mov_b32 s21, 0
	s_cbranch_scc0 .LBB95_2129
; %bb.2108:
	global_load_b32 v0, v[14:15], off
	s_mov_b32 s6, 0
	s_mov_b32 s20, -1
	s_wait_loadcnt 0x0
	v_lshlrev_b32_e32 v0, 16, v0
	s_delay_alu instid0(VALU_DEP_1) | instskip(NEXT) | instid1(VALU_DEP_1)
	v_trunc_f32_e32 v0, v0
	v_mul_f32_e64 v1, 0x2f800000, |v0|
	s_delay_alu instid0(VALU_DEP_1) | instskip(NEXT) | instid1(VALU_DEP_1)
	v_floor_f32_e32 v1, v1
	v_fma_f32 v3, 0xcf800000, v1, |v0|
	v_ashrrev_i32_e32 v0, 31, v0
	v_cvt_u32_f32_e32 v4, v1
	s_delay_alu instid0(VALU_DEP_3) | instskip(NEXT) | instid1(VALU_DEP_3)
	v_cvt_u32_f32_e32 v3, v3
	v_mov_b32_e32 v1, v0
	s_delay_alu instid0(VALU_DEP_3) | instskip(NEXT) | instid1(VALU_DEP_3)
	v_xor_b32_e32 v5, v4, v0
	v_xor_b32_e32 v4, v3, v0
	s_delay_alu instid0(VALU_DEP_1)
	v_sub_nc_u64_e32 v[4:5], v[4:5], v[0:1]
	s_branch .LBB95_2131
.LBB95_2109:
	s_mov_b32 s1, -1
	s_mov_b32 s20, 0
	s_mov_b32 s7, 0
	;; [unrolled: 1-line block ×3, first 2 shown]
                                        ; implicit-def: $vgpr4_vgpr5
	s_branch .LBB95_2190
.LBB95_2110:
	s_mov_b32 s21, -1
	s_mov_b32 s20, 0
	s_mov_b32 s6, s35
                                        ; implicit-def: $vgpr4_vgpr5
	s_branch .LBB95_2158
.LBB95_2111:
	s_mov_b32 s21, -1
	s_mov_b32 s20, 0
	s_mov_b32 s6, s35
                                        ; implicit-def: $vgpr4_vgpr5
	s_branch .LBB95_2141
.LBB95_2112:
	s_mov_b32 s21, -1
	s_mov_b32 s20, 0
	s_mov_b32 s6, s35
                                        ; implicit-def: $vgpr4_vgpr5
	s_branch .LBB95_2136
.LBB95_2113:
	s_mov_b32 s21, -1
	s_mov_b32 s20, 0
	s_mov_b32 s6, s35
	s_branch .LBB95_2130
.LBB95_2114:
	s_mov_b32 s26, s7
	s_mov_b32 s27, s8
.LBB95_2115:
	s_mov_b32 s55, -1
	s_mov_b32 s0, s96
	s_mov_b32 s35, exec_lo
	v_cmpx_gt_i64_e64 v[10:11], v[12:13]
	s_cbranch_execz .LBB95_2121
; %bb.2116:
	s_delay_alu instid0(VALU_DEP_2) | instskip(SKIP_4) | instid1(VALU_DEP_1)
	v_lshlrev_b64_e32 v[4:5], 3, v[4:5]
	s_mov_b64 s[4:5], s[72:73]
	s_mov_b32 s0, 0
	s_xor_b32 s54, s71, -1
	s_mov_b64 s[6:7], s[74:75]
                                        ; implicit-def: $sgpr43
                                        ; implicit-def: $sgpr56
                                        ; implicit-def: $sgpr55
	v_lshl_add_u64 v[6:7], v[12:13], 3, v[4:5]
	v_add_nc_u64_e32 v[8:9], s[4:5], v[4:5]
	s_delay_alu instid0(VALU_DEP_2) | instskip(NEXT) | instid1(VALU_DEP_1)
	v_add_nc_u64_e32 v[6:7], s[4:5], v[6:7]
	v_add_nc_u64_e32 v[4:5], 8, v[6:7]
	s_delay_alu instid0(VALU_DEP_3)
	v_lshl_add_u64 v[6:7], v[10:11], 3, v[8:9]
	s_branch .LBB95_2118
.LBB95_2117:                            ;   in Loop: Header=BB95_2118 Depth=1
	s_or_b32 exec_lo, exec_lo, s57
	s_delay_alu instid0(SALU_CYCLE_1) | instskip(NEXT) | instid1(SALU_CYCLE_1)
	s_and_b32 s21, exec_lo, s56
	s_or_b32 s0, s21, s0
	s_and_not1_b32 s21, s43, exec_lo
	s_and_b32 s22, s55, exec_lo
	s_delay_alu instid0(SALU_CYCLE_1)
	s_or_b32 s43, s21, s22
	s_and_not1_b32 exec_lo, exec_lo, s0
	s_cbranch_execz .LBB95_2120
.LBB95_2118:                            ; =>This Inner Loop Header: Depth=1
	s_or_b32 s55, s55, exec_lo
	s_or_b32 s56, s56, exec_lo
	s_mov_b32 s57, exec_lo
	s_delay_alu instid0(VALU_DEP_2)
	v_cmpx_lt_u64_e64 v[4:5], v[6:7]
	s_cbranch_execz .LBB95_2117
; %bb.2119:                             ;   in Loop: Header=BB95_2118 Depth=1
	global_load_b128 v[8:11], v[4:5], off offset:-8
	s_wait_xcnt 0x0
	v_add_nc_u64_e32 v[4:5], 8, v[4:5]
	s_and_not1_b32 s22, s56, exec_lo
	s_and_not1_b32 s55, s55, exec_lo
	s_wait_loadcnt 0x0
	v_cmp_ge_i64_e32 vcc_lo, v[8:9], v[10:11]
	s_or_b32 s21, s54, vcc_lo
	s_delay_alu instid0(SALU_CYCLE_1) | instskip(NEXT) | instid1(SALU_CYCLE_1)
	s_and_b32 s21, s21, exec_lo
	s_or_b32 s56, s22, s21
	s_branch .LBB95_2117
.LBB95_2120:
	s_or_b32 exec_lo, exec_lo, s0
	s_delay_alu instid0(SALU_CYCLE_1)
	s_or_b32 s0, s96, exec_lo
	s_or_not1_b32 s55, s43, exec_lo
.LBB95_2121:
	s_or_b32 exec_lo, exec_lo, s35
	s_mov_b32 s54, 0
	s_mov_b32 s43, s40
	s_and_saveexec_b32 s35, s55
	s_cbranch_execz .LBB95_3778
; %bb.2122:
	s_load_b512 s[4:19], s[2:3], 0x248
	v_mov_b32_e32 v3, 0
	s_and_b32 s54, s74, 0xff
	s_delay_alu instid0(SALU_CYCLE_1) | instskip(SKIP_1) | instid1(VALU_DEP_1)
	s_cmp_lt_i32 s54, 11
	s_wait_kmcnt 0x0
	v_add_nc_u64_e32 v[2:3], s[4:5], v[2:3]
	s_cbranch_scc1 .LBB95_3599
; %bb.2123:
	s_and_b32 s55, 0xffff, s54
	s_delay_alu instid0(SALU_CYCLE_1)
	s_cmp_gt_i32 s55, 25
	s_cbranch_scc0 .LBB95_3601
; %bb.2124:
	s_cmp_gt_i32 s55, 28
	s_cbranch_scc0 .LBB95_3603
; %bb.2125:
	;; [unrolled: 3-line block ×4, first 2 shown]
	s_mov_b32 s57, 0
	s_mov_b32 s43, -1
	s_cmp_eq_u32 s55, 46
	s_mov_b32 s56, 0
	s_cbranch_scc0 .LBB95_3696
; %bb.2128:
	v_mov_b32_e32 v1, 0
	s_mov_b32 s56, -1
	s_mov_b32 s43, 0
	global_store_b32 v[2:3], v1, off
	s_branch .LBB95_3696
.LBB95_2129:
	s_mov_b32 s6, -1
	s_mov_b32 s20, 0
.LBB95_2130:
                                        ; implicit-def: $vgpr4_vgpr5
.LBB95_2131:
	s_and_b32 vcc_lo, exec_lo, s21
	s_cbranch_vccz .LBB95_2135
; %bb.2132:
	s_cmp_eq_u32 s1, 44
	s_cbranch_scc0 .LBB95_2134
; %bb.2133:
	global_load_u8 v3, v[14:15], off
	s_mov_b32 s6, 0
	s_mov_b32 s20, -1
	s_wait_loadcnt 0x0
	v_cmp_ne_u32_e32 vcc_lo, 0, v3
	v_lshlrev_b32_e32 v0, 23, v3
	s_delay_alu instid0(VALU_DEP_1) | instskip(NEXT) | instid1(VALU_DEP_1)
	v_trunc_f32_e32 v0, v0
	v_mul_f32_e64 v1, 0x2f800000, |v0|
	s_delay_alu instid0(VALU_DEP_1) | instskip(NEXT) | instid1(VALU_DEP_1)
	v_floor_f32_e32 v1, v1
	v_fma_f32 v4, 0xcf800000, v1, |v0|
	v_ashrrev_i32_e32 v0, 31, v0
	v_cvt_u32_f32_e32 v5, v1
	s_delay_alu instid0(VALU_DEP_3) | instskip(NEXT) | instid1(VALU_DEP_2)
	v_cvt_u32_f32_e32 v4, v4
	v_dual_mov_b32 v1, v0 :: v_dual_bitop2_b32 v5, v5, v0 bitop3:0x14
	s_delay_alu instid0(VALU_DEP_2) | instskip(NEXT) | instid1(VALU_DEP_1)
	v_xor_b32_e32 v4, v4, v0
	v_sub_nc_u64_e32 v[0:1], v[4:5], v[0:1]
	s_delay_alu instid0(VALU_DEP_1)
	v_dual_cndmask_b32 v5, 0, v1 :: v_dual_cndmask_b32 v4, 0, v0
	s_branch .LBB95_2135
.LBB95_2134:
	s_mov_b32 s6, -1
                                        ; implicit-def: $vgpr4_vgpr5
.LBB95_2135:
	s_mov_b32 s21, 0
.LBB95_2136:
	s_delay_alu instid0(SALU_CYCLE_1)
	s_and_b32 vcc_lo, exec_lo, s21
	s_cbranch_vccz .LBB95_2140
; %bb.2137:
	s_cmp_eq_u32 s1, 29
	s_cbranch_scc0 .LBB95_2139
; %bb.2138:
	global_load_b64 v[4:5], v[14:15], off
	s_mov_b32 s6, 0
	s_mov_b32 s20, -1
	s_branch .LBB95_2140
.LBB95_2139:
	s_mov_b32 s6, -1
                                        ; implicit-def: $vgpr4_vgpr5
.LBB95_2140:
	s_mov_b32 s21, 0
.LBB95_2141:
	s_delay_alu instid0(SALU_CYCLE_1)
	s_and_b32 vcc_lo, exec_lo, s21
	s_cbranch_vccz .LBB95_2157
; %bb.2142:
	s_cmp_lt_i32 s1, 27
	s_cbranch_scc1 .LBB95_2145
; %bb.2143:
	s_cmp_gt_i32 s1, 27
	s_cbranch_scc0 .LBB95_2146
; %bb.2144:
	s_wait_loadcnt 0x0
	global_load_b32 v4, v[14:15], off
	v_mov_b32_e32 v5, 0
	s_mov_b32 s20, 0
	s_branch .LBB95_2147
.LBB95_2145:
	s_mov_b32 s20, -1
                                        ; implicit-def: $vgpr4_vgpr5
	s_branch .LBB95_2150
.LBB95_2146:
	s_mov_b32 s20, -1
                                        ; implicit-def: $vgpr4_vgpr5
.LBB95_2147:
	s_delay_alu instid0(SALU_CYCLE_1)
	s_and_not1_b32 vcc_lo, exec_lo, s20
	s_cbranch_vccnz .LBB95_2149
; %bb.2148:
	global_load_u16 v0, v[14:15], off
	s_mov_b32 s20, 0
	s_wait_loadcnt 0x1
	v_mov_b32_e32 v5, s20
	s_wait_loadcnt 0x0
	v_and_b32_e32 v4, 0xffff, v0
.LBB95_2149:
	s_mov_b32 s20, 0
.LBB95_2150:
	s_delay_alu instid0(SALU_CYCLE_1)
	s_and_not1_b32 vcc_lo, exec_lo, s20
	s_cbranch_vccnz .LBB95_2156
; %bb.2151:
	global_load_u8 v0, v[14:15], off
	s_mov_b32 s21, 0
	s_mov_b32 s20, exec_lo
	s_wait_loadcnt 0x0
	v_cmpx_lt_i16_e32 0x7f, v0
	s_xor_b32 s20, exec_lo, s20
	s_cbranch_execz .LBB95_2168
; %bb.2152:
	v_cmp_ne_u16_e32 vcc_lo, 0x80, v0
	s_and_b32 s21, vcc_lo, exec_lo
	s_and_not1_saveexec_b32 s20, s20
	s_cbranch_execnz .LBB95_2169
.LBB95_2153:
	s_or_b32 exec_lo, exec_lo, s20
	v_mov_b64_e32 v[4:5], 0
	s_and_saveexec_b32 s20, s21
	s_cbranch_execz .LBB95_2155
.LBB95_2154:
	v_and_b32_e32 v1, 0xffff, v0
	s_delay_alu instid0(VALU_DEP_1) | instskip(SKIP_1) | instid1(VALU_DEP_2)
	v_and_b32_e32 v3, 7, v1
	v_bfe_u32 v7, v1, 3, 4
	v_clz_i32_u32_e32 v4, v3
	s_delay_alu instid0(VALU_DEP_2) | instskip(NEXT) | instid1(VALU_DEP_2)
	v_cmp_eq_u32_e32 vcc_lo, 0, v7
	v_min_u32_e32 v4, 32, v4
	s_delay_alu instid0(VALU_DEP_1) | instskip(NEXT) | instid1(VALU_DEP_1)
	v_subrev_nc_u32_e32 v5, 28, v4
	v_dual_lshlrev_b32 v1, v5, v1 :: v_dual_sub_nc_u32 v4, 29, v4
	s_delay_alu instid0(VALU_DEP_1) | instskip(NEXT) | instid1(VALU_DEP_1)
	v_dual_lshlrev_b32 v0, 24, v0 :: v_dual_bitop2_b32 v1, 7, v1 bitop3:0x40
	v_cndmask_b32_e32 v1, v3, v1, vcc_lo
	s_delay_alu instid0(VALU_DEP_3) | instskip(NEXT) | instid1(VALU_DEP_3)
	v_cndmask_b32_e32 v4, v7, v4, vcc_lo
	v_and_b32_e32 v0, 0x80000000, v0
	s_delay_alu instid0(VALU_DEP_3) | instskip(NEXT) | instid1(VALU_DEP_3)
	v_lshlrev_b32_e32 v1, 20, v1
	v_lshl_add_u32 v3, v4, 23, 0x3b800000
	s_delay_alu instid0(VALU_DEP_1) | instskip(NEXT) | instid1(VALU_DEP_1)
	v_or3_b32 v0, v0, v3, v1
	v_trunc_f32_e32 v0, v0
	s_delay_alu instid0(VALU_DEP_1) | instskip(NEXT) | instid1(VALU_DEP_1)
	v_mul_f32_e64 v1, 0x2f800000, |v0|
	v_floor_f32_e32 v1, v1
	s_delay_alu instid0(VALU_DEP_1) | instskip(SKIP_2) | instid1(VALU_DEP_3)
	v_fma_f32 v3, 0xcf800000, v1, |v0|
	v_ashrrev_i32_e32 v0, 31, v0
	v_cvt_u32_f32_e32 v4, v1
	v_cvt_u32_f32_e32 v3, v3
	s_delay_alu instid0(VALU_DEP_3) | instskip(NEXT) | instid1(VALU_DEP_3)
	v_mov_b32_e32 v1, v0
	v_xor_b32_e32 v5, v4, v0
	s_delay_alu instid0(VALU_DEP_3) | instskip(NEXT) | instid1(VALU_DEP_1)
	v_xor_b32_e32 v4, v3, v0
	v_sub_nc_u64_e32 v[4:5], v[4:5], v[0:1]
.LBB95_2155:
	s_or_b32 exec_lo, exec_lo, s20
.LBB95_2156:
	s_mov_b32 s20, -1
.LBB95_2157:
	s_mov_b32 s21, 0
.LBB95_2158:
	s_delay_alu instid0(SALU_CYCLE_1)
	s_and_b32 vcc_lo, exec_lo, s21
	s_cbranch_vccz .LBB95_2189
; %bb.2159:
	s_cmp_gt_i32 s1, 22
	s_cbranch_scc0 .LBB95_2167
; %bb.2160:
	s_cmp_lt_i32 s1, 24
	s_cbranch_scc1 .LBB95_2170
; %bb.2161:
	s_cmp_gt_i32 s1, 24
	s_cbranch_scc0 .LBB95_2171
; %bb.2162:
	global_load_u8 v0, v[14:15], off
	s_mov_b32 s20, 0
	s_mov_b32 s7, exec_lo
	s_wait_loadcnt 0x0
	v_cmpx_lt_i16_e32 0x7f, v0
	s_xor_b32 s7, exec_lo, s7
	s_cbranch_execz .LBB95_2183
; %bb.2163:
	v_cmp_ne_u16_e32 vcc_lo, 0x80, v0
	s_and_b32 s20, vcc_lo, exec_lo
	s_and_not1_saveexec_b32 s7, s7
	s_cbranch_execnz .LBB95_2184
.LBB95_2164:
	s_or_b32 exec_lo, exec_lo, s7
	v_mov_b64_e32 v[4:5], 0
	s_and_saveexec_b32 s7, s20
	s_cbranch_execz .LBB95_2166
.LBB95_2165:
	v_and_b32_e32 v1, 0xffff, v0
	s_delay_alu instid0(VALU_DEP_1) | instskip(SKIP_1) | instid1(VALU_DEP_2)
	v_and_b32_e32 v3, 3, v1
	v_bfe_u32 v7, v1, 2, 5
	v_clz_i32_u32_e32 v4, v3
	s_delay_alu instid0(VALU_DEP_2) | instskip(NEXT) | instid1(VALU_DEP_2)
	v_cmp_eq_u32_e32 vcc_lo, 0, v7
	v_min_u32_e32 v4, 32, v4
	s_delay_alu instid0(VALU_DEP_1) | instskip(NEXT) | instid1(VALU_DEP_1)
	v_subrev_nc_u32_e32 v5, 29, v4
	v_dual_lshlrev_b32 v1, v5, v1 :: v_dual_sub_nc_u32 v4, 30, v4
	s_delay_alu instid0(VALU_DEP_1) | instskip(NEXT) | instid1(VALU_DEP_1)
	v_dual_lshlrev_b32 v0, 24, v0 :: v_dual_bitop2_b32 v1, 3, v1 bitop3:0x40
	v_cndmask_b32_e32 v1, v3, v1, vcc_lo
	s_delay_alu instid0(VALU_DEP_3) | instskip(NEXT) | instid1(VALU_DEP_3)
	v_cndmask_b32_e32 v4, v7, v4, vcc_lo
	v_and_b32_e32 v0, 0x80000000, v0
	s_delay_alu instid0(VALU_DEP_3) | instskip(NEXT) | instid1(VALU_DEP_3)
	v_lshlrev_b32_e32 v1, 21, v1
	v_lshl_add_u32 v3, v4, 23, 0x37800000
	s_delay_alu instid0(VALU_DEP_1) | instskip(NEXT) | instid1(VALU_DEP_1)
	v_or3_b32 v0, v0, v3, v1
	v_trunc_f32_e32 v0, v0
	s_delay_alu instid0(VALU_DEP_1) | instskip(NEXT) | instid1(VALU_DEP_1)
	v_mul_f32_e64 v1, 0x2f800000, |v0|
	v_floor_f32_e32 v1, v1
	s_delay_alu instid0(VALU_DEP_1) | instskip(SKIP_2) | instid1(VALU_DEP_3)
	v_fma_f32 v3, 0xcf800000, v1, |v0|
	v_ashrrev_i32_e32 v0, 31, v0
	v_cvt_u32_f32_e32 v4, v1
	v_cvt_u32_f32_e32 v3, v3
	s_delay_alu instid0(VALU_DEP_3) | instskip(NEXT) | instid1(VALU_DEP_3)
	v_mov_b32_e32 v1, v0
	v_xor_b32_e32 v5, v4, v0
	s_delay_alu instid0(VALU_DEP_3) | instskip(NEXT) | instid1(VALU_DEP_1)
	v_xor_b32_e32 v4, v3, v0
	v_sub_nc_u64_e32 v[4:5], v[4:5], v[0:1]
.LBB95_2166:
	s_or_b32 exec_lo, exec_lo, s7
	s_mov_b32 s7, 0
	s_branch .LBB95_2172
.LBB95_2167:
	s_mov_b32 s7, -1
                                        ; implicit-def: $vgpr4_vgpr5
	s_branch .LBB95_2178
.LBB95_2168:
	s_and_not1_saveexec_b32 s20, s20
	s_cbranch_execz .LBB95_2153
.LBB95_2169:
	v_cmp_ne_u16_e32 vcc_lo, 0, v0
	s_and_not1_b32 s21, s21, exec_lo
	s_and_b32 s22, vcc_lo, exec_lo
	s_delay_alu instid0(SALU_CYCLE_1)
	s_or_b32 s21, s21, s22
	s_or_b32 exec_lo, exec_lo, s20
	v_mov_b64_e32 v[4:5], 0
	s_and_saveexec_b32 s20, s21
	s_cbranch_execnz .LBB95_2154
	s_branch .LBB95_2155
.LBB95_2170:
	s_mov_b32 s7, -1
                                        ; implicit-def: $vgpr4_vgpr5
	s_branch .LBB95_2175
.LBB95_2171:
	s_mov_b32 s7, -1
                                        ; implicit-def: $vgpr4_vgpr5
.LBB95_2172:
	s_delay_alu instid0(SALU_CYCLE_1)
	s_and_b32 vcc_lo, exec_lo, s7
	s_cbranch_vccz .LBB95_2174
; %bb.2173:
	global_load_u8 v0, v[14:15], off
	s_wait_loadcnt 0x0
	v_lshlrev_b32_e32 v0, 24, v0
	s_delay_alu instid0(VALU_DEP_1) | instskip(NEXT) | instid1(VALU_DEP_1)
	v_and_b32_e32 v1, 0x7f000000, v0
	v_clz_i32_u32_e32 v3, v1
	v_add_nc_u32_e32 v5, 0x1000000, v1
	v_cmp_ne_u32_e32 vcc_lo, 0, v1
	s_delay_alu instid0(VALU_DEP_3) | instskip(NEXT) | instid1(VALU_DEP_1)
	v_min_u32_e32 v3, 32, v3
	v_sub_nc_u32_e64 v3, v3, 4 clamp
	s_delay_alu instid0(VALU_DEP_1) | instskip(NEXT) | instid1(VALU_DEP_1)
	v_dual_lshlrev_b32 v4, v3, v1 :: v_dual_lshlrev_b32 v3, 23, v3
	v_lshrrev_b32_e32 v4, 4, v4
	s_delay_alu instid0(VALU_DEP_1) | instskip(NEXT) | instid1(VALU_DEP_1)
	v_dual_sub_nc_u32 v3, v4, v3 :: v_dual_ashrrev_i32 v4, 8, v5
	v_add_nc_u32_e32 v3, 0x3c000000, v3
	s_delay_alu instid0(VALU_DEP_1) | instskip(NEXT) | instid1(VALU_DEP_1)
	v_and_or_b32 v3, 0x7f800000, v4, v3
	v_cndmask_b32_e32 v1, 0, v3, vcc_lo
	s_delay_alu instid0(VALU_DEP_1) | instskip(NEXT) | instid1(VALU_DEP_1)
	v_and_or_b32 v0, 0x80000000, v0, v1
	v_trunc_f32_e32 v0, v0
	s_delay_alu instid0(VALU_DEP_1) | instskip(NEXT) | instid1(VALU_DEP_1)
	v_mul_f32_e64 v1, 0x2f800000, |v0|
	v_floor_f32_e32 v1, v1
	s_delay_alu instid0(VALU_DEP_1) | instskip(SKIP_2) | instid1(VALU_DEP_3)
	v_fma_f32 v3, 0xcf800000, v1, |v0|
	v_ashrrev_i32_e32 v0, 31, v0
	v_cvt_u32_f32_e32 v4, v1
	v_cvt_u32_f32_e32 v3, v3
	s_delay_alu instid0(VALU_DEP_3) | instskip(NEXT) | instid1(VALU_DEP_3)
	v_mov_b32_e32 v1, v0
	v_xor_b32_e32 v5, v4, v0
	s_delay_alu instid0(VALU_DEP_3) | instskip(NEXT) | instid1(VALU_DEP_1)
	v_xor_b32_e32 v4, v3, v0
	v_sub_nc_u64_e32 v[4:5], v[4:5], v[0:1]
.LBB95_2174:
	s_mov_b32 s7, 0
.LBB95_2175:
	s_delay_alu instid0(SALU_CYCLE_1)
	s_and_not1_b32 vcc_lo, exec_lo, s7
	s_cbranch_vccnz .LBB95_2177
; %bb.2176:
	global_load_u8 v0, v[14:15], off
	s_wait_loadcnt 0x0
	v_lshlrev_b32_e32 v1, 25, v0
	v_lshlrev_b16 v0, 8, v0
	s_delay_alu instid0(VALU_DEP_2) | instskip(NEXT) | instid1(VALU_DEP_2)
	v_cmp_gt_u32_e32 vcc_lo, 0x8000000, v1
	v_and_or_b32 v4, 0x7f00, v0, 0.5
	v_lshrrev_b32_e32 v3, 4, v1
	v_bfe_i32 v0, v0, 0, 16
	s_delay_alu instid0(VALU_DEP_3) | instskip(NEXT) | instid1(VALU_DEP_3)
	v_add_f32_e32 v4, -0.5, v4
	v_or_b32_e32 v3, 0x70000000, v3
	s_delay_alu instid0(VALU_DEP_1) | instskip(NEXT) | instid1(VALU_DEP_1)
	v_mul_f32_e32 v3, 0x7800000, v3
	v_cndmask_b32_e32 v1, v3, v4, vcc_lo
	s_delay_alu instid0(VALU_DEP_1) | instskip(NEXT) | instid1(VALU_DEP_1)
	v_and_or_b32 v0, 0x80000000, v0, v1
	v_trunc_f32_e32 v0, v0
	s_delay_alu instid0(VALU_DEP_1) | instskip(NEXT) | instid1(VALU_DEP_1)
	v_mul_f32_e64 v1, 0x2f800000, |v0|
	v_floor_f32_e32 v1, v1
	s_delay_alu instid0(VALU_DEP_1) | instskip(SKIP_2) | instid1(VALU_DEP_3)
	v_fma_f32 v3, 0xcf800000, v1, |v0|
	v_ashrrev_i32_e32 v0, 31, v0
	v_cvt_u32_f32_e32 v4, v1
	v_cvt_u32_f32_e32 v3, v3
	s_delay_alu instid0(VALU_DEP_3) | instskip(NEXT) | instid1(VALU_DEP_3)
	v_mov_b32_e32 v1, v0
	v_xor_b32_e32 v5, v4, v0
	s_delay_alu instid0(VALU_DEP_3) | instskip(NEXT) | instid1(VALU_DEP_1)
	v_xor_b32_e32 v4, v3, v0
	v_sub_nc_u64_e32 v[4:5], v[4:5], v[0:1]
.LBB95_2177:
	s_mov_b32 s7, 0
	s_mov_b32 s20, -1
.LBB95_2178:
	s_and_not1_b32 vcc_lo, exec_lo, s7
	s_mov_b32 s7, 0
	s_cbranch_vccnz .LBB95_2189
; %bb.2179:
	s_cmp_gt_i32 s1, 14
	s_cbranch_scc0 .LBB95_2182
; %bb.2180:
	s_cmp_eq_u32 s1, 15
	s_cbranch_scc0 .LBB95_2185
; %bb.2181:
	global_load_u16 v0, v[14:15], off
	s_mov_b32 s6, 0
	s_mov_b32 s20, -1
	s_wait_loadcnt 0x0
	v_lshlrev_b32_e32 v0, 16, v0
	s_delay_alu instid0(VALU_DEP_1) | instskip(NEXT) | instid1(VALU_DEP_1)
	v_trunc_f32_e32 v0, v0
	v_mul_f32_e64 v1, 0x2f800000, |v0|
	s_delay_alu instid0(VALU_DEP_1) | instskip(NEXT) | instid1(VALU_DEP_1)
	v_floor_f32_e32 v1, v1
	v_fma_f32 v3, 0xcf800000, v1, |v0|
	v_ashrrev_i32_e32 v0, 31, v0
	v_cvt_u32_f32_e32 v4, v1
	s_delay_alu instid0(VALU_DEP_3) | instskip(NEXT) | instid1(VALU_DEP_3)
	v_cvt_u32_f32_e32 v3, v3
	v_mov_b32_e32 v1, v0
	s_delay_alu instid0(VALU_DEP_3) | instskip(NEXT) | instid1(VALU_DEP_3)
	v_xor_b32_e32 v5, v4, v0
	v_xor_b32_e32 v4, v3, v0
	s_delay_alu instid0(VALU_DEP_1)
	v_sub_nc_u64_e32 v[4:5], v[4:5], v[0:1]
	s_branch .LBB95_2187
.LBB95_2182:
	s_mov_b32 s7, -1
	s_branch .LBB95_2186
.LBB95_2183:
	s_and_not1_saveexec_b32 s7, s7
	s_cbranch_execz .LBB95_2164
.LBB95_2184:
	v_cmp_ne_u16_e32 vcc_lo, 0, v0
	s_and_not1_b32 s20, s20, exec_lo
	s_and_b32 s21, vcc_lo, exec_lo
	s_delay_alu instid0(SALU_CYCLE_1)
	s_or_b32 s20, s20, s21
	s_or_b32 exec_lo, exec_lo, s7
	v_mov_b64_e32 v[4:5], 0
	s_and_saveexec_b32 s7, s20
	s_cbranch_execnz .LBB95_2165
	s_branch .LBB95_2166
.LBB95_2185:
	s_mov_b32 s6, -1
.LBB95_2186:
                                        ; implicit-def: $vgpr4_vgpr5
.LBB95_2187:
	s_and_b32 vcc_lo, exec_lo, s7
	s_mov_b32 s7, 0
	s_cbranch_vccz .LBB95_2189
; %bb.2188:
	s_cmp_lg_u32 s1, 11
	s_mov_b32 s7, -1
	s_cselect_b32 s1, -1, 0
	s_and_not1_b32 s6, s6, exec_lo
	s_and_b32 s1, s1, exec_lo
	s_delay_alu instid0(SALU_CYCLE_1)
	s_or_b32 s6, s6, s1
.LBB95_2189:
	s_mov_b32 s1, 0
.LBB95_2190:
	s_delay_alu instid0(SALU_CYCLE_1)
	s_and_b32 s54, s1, exec_lo
	s_and_not1_b32 s1, s35, exec_lo
	s_and_b32 s6, s6, exec_lo
	s_and_b32 s43, s20, exec_lo
	;; [unrolled: 1-line block ×3, first 2 shown]
	s_or_b32 s56, s1, s6
.LBB95_2191:
	s_wait_xcnt 0x0
	s_or_b32 exec_lo, exec_lo, s42
	s_delay_alu instid0(SALU_CYCLE_1)
	s_and_not1_b32 s1, s35, exec_lo
	s_and_b32 s6, s56, exec_lo
	s_and_b32 s43, s43, exec_lo
	;; [unrolled: 1-line block ×4, first 2 shown]
	s_or_b32 s35, s1, s6
.LBB95_2192:
	s_or_b32 exec_lo, exec_lo, s41
	s_delay_alu instid0(SALU_CYCLE_1)
	s_and_not1_b32 s1, s40, exec_lo
	s_and_b32 s6, s95, exec_lo
	s_and_not1_b32 s7, s79, exec_lo
	s_or_b32 s40, s1, s6
	s_and_not1_b32 s1, s96, exec_lo
	s_and_b32 s6, s63, exec_lo
	s_and_b32 s20, s97, exec_lo
	s_or_b32 s96, s1, s6
	s_and_not1_b32 s1, s93, exec_lo
	s_and_b32 s6, s61, exec_lo
	s_or_b32 s79, s7, s20
	s_and_not1_b32 s7, s94, exec_lo
	;; [unrolled: 3-line block ×7, first 2 shown]
	s_and_b32 s6, s35, exec_lo
	s_or_b32 s90, s7, s20
	s_and_b32 s43, s43, exec_lo
	s_and_b32 s41, s54, exec_lo
	;; [unrolled: 1-line block ×3, first 2 shown]
	s_or_b32 s88, s1, s6
.LBB95_2193:
	s_or_b32 exec_lo, exec_lo, s98
	s_delay_alu instid0(SALU_CYCLE_1)
	s_and_not1_b32 s1, s64, exec_lo
	s_and_b32 s6, s40, exec_lo
	s_and_not1_b32 s7, s39, exec_lo
	s_or_b32 s64, s1, s6
	s_and_not1_b32 s1, s65, exec_lo
	s_and_b32 s6, s96, exec_lo
	s_and_b32 s20, s79, exec_lo
	s_or_b32 s65, s1, s6
	s_and_not1_b32 s1, s80, exec_lo
	s_and_b32 s6, s93, exec_lo
	s_or_b32 s39, s7, s20
	s_and_not1_b32 s7, s81, exec_lo
	;; [unrolled: 3-line block ×7, first 2 shown]
	s_and_b32 s6, s88, exec_lo
	s_or_b32 s85, s7, s20
	s_and_b32 s35, s43, exec_lo
	s_and_b32 s41, s41, exec_lo
	;; [unrolled: 1-line block ×3, first 2 shown]
	s_or_b32 s86, s1, s6
	s_or_b32 exec_lo, exec_lo, s87
	s_mov_b32 s1, 0
	s_and_saveexec_b32 s6, s86
	s_cbranch_execz .LBB95_661
.LBB95_2194:
	s_mov_b32 s1, exec_lo
	s_and_not1_b32 s51, s51, exec_lo
	s_trap 2
	s_or_b32 exec_lo, exec_lo, s6
	s_and_saveexec_b32 s6, s51
	s_delay_alu instid0(SALU_CYCLE_1)
	s_xor_b32 s6, exec_lo, s6
	s_cbranch_execnz .LBB95_662
.LBB95_2195:
	s_or_b32 exec_lo, exec_lo, s6
	s_and_saveexec_b32 s6, s41
	s_cbranch_execz .LBB95_2241
.LBB95_2196:
	s_sext_i32_i16 s7, s0
	s_delay_alu instid0(SALU_CYCLE_1)
	s_cmp_lt_i32 s7, 5
	s_cbranch_scc1 .LBB95_2201
; %bb.2197:
	s_cmp_lt_i32 s7, 8
	s_cbranch_scc1 .LBB95_2202
; %bb.2198:
	;; [unrolled: 3-line block ×3, first 2 shown]
	s_cmp_gt_i32 s7, 9
	s_cbranch_scc0 .LBB95_2204
; %bb.2200:
	s_wait_loadcnt 0x0
	global_load_b64 v[0:1], v[14:15], off
	s_mov_b32 s7, 0
	s_wait_loadcnt 0x0
	v_trunc_f64_e32 v[0:1], v[0:1]
	s_delay_alu instid0(VALU_DEP_1) | instskip(NEXT) | instid1(VALU_DEP_1)
	v_ldexp_f64 v[4:5], v[0:1], 0xffffffe0
	v_floor_f64_e32 v[4:5], v[4:5]
	s_delay_alu instid0(VALU_DEP_1) | instskip(SKIP_1) | instid1(VALU_DEP_2)
	v_fmamk_f64 v[0:1], v[4:5], 0xc1f00000, v[0:1]
	v_cvt_i32_f64_e32 v5, v[4:5]
	v_cvt_u32_f64_e32 v4, v[0:1]
	s_branch .LBB95_2205
.LBB95_2201:
                                        ; implicit-def: $vgpr4_vgpr5
	s_branch .LBB95_2222
.LBB95_2202:
                                        ; implicit-def: $vgpr4_vgpr5
	s_branch .LBB95_2211
.LBB95_2203:
	s_mov_b32 s7, -1
                                        ; implicit-def: $vgpr4_vgpr5
	s_branch .LBB95_2208
.LBB95_2204:
	s_mov_b32 s7, -1
                                        ; implicit-def: $vgpr4_vgpr5
.LBB95_2205:
	s_delay_alu instid0(SALU_CYCLE_1)
	s_and_not1_b32 vcc_lo, exec_lo, s7
	s_cbranch_vccnz .LBB95_2207
; %bb.2206:
	s_wait_loadcnt 0x0
	global_load_b32 v0, v[14:15], off
	s_wait_loadcnt 0x0
	v_trunc_f32_e32 v0, v0
	s_delay_alu instid0(VALU_DEP_1) | instskip(NEXT) | instid1(VALU_DEP_1)
	v_mul_f32_e64 v1, 0x2f800000, |v0|
	v_floor_f32_e32 v1, v1
	s_delay_alu instid0(VALU_DEP_1) | instskip(SKIP_2) | instid1(VALU_DEP_3)
	v_fma_f32 v3, 0xcf800000, v1, |v0|
	v_ashrrev_i32_e32 v0, 31, v0
	v_cvt_u32_f32_e32 v4, v1
	v_cvt_u32_f32_e32 v3, v3
	s_delay_alu instid0(VALU_DEP_3) | instskip(NEXT) | instid1(VALU_DEP_3)
	v_mov_b32_e32 v1, v0
	v_xor_b32_e32 v5, v4, v0
	s_delay_alu instid0(VALU_DEP_3) | instskip(NEXT) | instid1(VALU_DEP_1)
	v_xor_b32_e32 v4, v3, v0
	v_sub_nc_u64_e32 v[4:5], v[4:5], v[0:1]
.LBB95_2207:
	s_mov_b32 s7, 0
.LBB95_2208:
	s_delay_alu instid0(SALU_CYCLE_1)
	s_and_not1_b32 vcc_lo, exec_lo, s7
	s_cbranch_vccnz .LBB95_2210
; %bb.2209:
	s_wait_loadcnt 0x0
	global_load_b32 v0, v[14:15], off
	s_wait_loadcnt 0x0
	v_cvt_f32_f16_e32 v0, v0
	s_delay_alu instid0(VALU_DEP_1) | instskip(NEXT) | instid1(VALU_DEP_1)
	v_cvt_i32_f32_e32 v4, v0
	v_ashrrev_i32_e32 v5, 31, v4
.LBB95_2210:
	s_cbranch_execnz .LBB95_2221
.LBB95_2211:
	s_sext_i32_i16 s7, s0
	s_delay_alu instid0(SALU_CYCLE_1)
	s_cmp_lt_i32 s7, 6
	s_cbranch_scc1 .LBB95_2214
; %bb.2212:
	s_cmp_gt_i32 s7, 6
	s_cbranch_scc0 .LBB95_2215
; %bb.2213:
	s_wait_loadcnt 0x0
	global_load_b64 v[0:1], v[14:15], off
	s_mov_b32 s7, 0
	s_wait_loadcnt 0x0
	v_trunc_f64_e32 v[0:1], v[0:1]
	s_delay_alu instid0(VALU_DEP_1) | instskip(NEXT) | instid1(VALU_DEP_1)
	v_ldexp_f64 v[4:5], v[0:1], 0xffffffe0
	v_floor_f64_e32 v[4:5], v[4:5]
	s_delay_alu instid0(VALU_DEP_1) | instskip(SKIP_1) | instid1(VALU_DEP_2)
	v_fmamk_f64 v[0:1], v[4:5], 0xc1f00000, v[0:1]
	v_cvt_i32_f64_e32 v5, v[4:5]
	v_cvt_u32_f64_e32 v4, v[0:1]
	s_branch .LBB95_2216
.LBB95_2214:
	s_mov_b32 s7, -1
                                        ; implicit-def: $vgpr4_vgpr5
	s_branch .LBB95_2219
.LBB95_2215:
	s_mov_b32 s7, -1
                                        ; implicit-def: $vgpr4_vgpr5
.LBB95_2216:
	s_delay_alu instid0(SALU_CYCLE_1)
	s_and_not1_b32 vcc_lo, exec_lo, s7
	s_cbranch_vccnz .LBB95_2218
; %bb.2217:
	s_wait_loadcnt 0x0
	global_load_b32 v0, v[14:15], off
	s_wait_loadcnt 0x0
	v_trunc_f32_e32 v0, v0
	s_delay_alu instid0(VALU_DEP_1) | instskip(NEXT) | instid1(VALU_DEP_1)
	v_mul_f32_e64 v1, 0x2f800000, |v0|
	v_floor_f32_e32 v1, v1
	s_delay_alu instid0(VALU_DEP_1) | instskip(SKIP_2) | instid1(VALU_DEP_3)
	v_fma_f32 v3, 0xcf800000, v1, |v0|
	v_ashrrev_i32_e32 v0, 31, v0
	v_cvt_u32_f32_e32 v4, v1
	v_cvt_u32_f32_e32 v3, v3
	s_delay_alu instid0(VALU_DEP_3) | instskip(NEXT) | instid1(VALU_DEP_3)
	v_mov_b32_e32 v1, v0
	v_xor_b32_e32 v5, v4, v0
	s_delay_alu instid0(VALU_DEP_3) | instskip(NEXT) | instid1(VALU_DEP_1)
	v_xor_b32_e32 v4, v3, v0
	v_sub_nc_u64_e32 v[4:5], v[4:5], v[0:1]
.LBB95_2218:
	s_mov_b32 s7, 0
.LBB95_2219:
	s_delay_alu instid0(SALU_CYCLE_1)
	s_and_not1_b32 vcc_lo, exec_lo, s7
	s_cbranch_vccnz .LBB95_2221
; %bb.2220:
	s_wait_loadcnt 0x0
	global_load_u16 v0, v[14:15], off
	s_wait_loadcnt 0x0
	v_cvt_f32_f16_e32 v0, v0
	s_delay_alu instid0(VALU_DEP_1) | instskip(NEXT) | instid1(VALU_DEP_1)
	v_cvt_i32_f32_e32 v4, v0
	v_ashrrev_i32_e32 v5, 31, v4
.LBB95_2221:
	s_cbranch_execnz .LBB95_2240
.LBB95_2222:
	s_sext_i32_i16 s7, s0
	s_delay_alu instid0(SALU_CYCLE_1)
	s_cmp_lt_i32 s7, 2
	s_cbranch_scc1 .LBB95_2226
; %bb.2223:
	s_cmp_lt_i32 s7, 3
	s_cbranch_scc1 .LBB95_2227
; %bb.2224:
	s_cmp_gt_i32 s7, 3
	s_cbranch_scc0 .LBB95_2228
; %bb.2225:
	s_wait_loadcnt 0x0
	global_load_b64 v[4:5], v[14:15], off
	s_mov_b32 s7, 0
	s_branch .LBB95_2229
.LBB95_2226:
                                        ; implicit-def: $vgpr4_vgpr5
	s_branch .LBB95_2235
.LBB95_2227:
	s_mov_b32 s7, -1
                                        ; implicit-def: $vgpr4_vgpr5
	s_branch .LBB95_2232
.LBB95_2228:
	s_mov_b32 s7, -1
                                        ; implicit-def: $vgpr4_vgpr5
.LBB95_2229:
	s_delay_alu instid0(SALU_CYCLE_1)
	s_and_not1_b32 vcc_lo, exec_lo, s7
	s_cbranch_vccnz .LBB95_2231
; %bb.2230:
	s_wait_loadcnt 0x0
	global_load_b32 v4, v[14:15], off
	s_wait_loadcnt 0x0
	v_ashrrev_i32_e32 v5, 31, v4
.LBB95_2231:
	s_mov_b32 s7, 0
.LBB95_2232:
	s_delay_alu instid0(SALU_CYCLE_1)
	s_and_not1_b32 vcc_lo, exec_lo, s7
	s_cbranch_vccnz .LBB95_2234
; %bb.2233:
	s_wait_loadcnt 0x0
	global_load_u16 v0, v[14:15], off
	s_wait_loadcnt 0x0
	v_bfe_i32 v4, v0, 0, 16
	s_delay_alu instid0(VALU_DEP_1)
	v_ashrrev_i32_e32 v5, 31, v4
.LBB95_2234:
	s_cbranch_execnz .LBB95_2240
.LBB95_2235:
	s_sext_i32_i16 s0, s0
	s_delay_alu instid0(SALU_CYCLE_1)
	s_cmp_gt_i32 s0, 0
	s_mov_b32 s0, 0
	s_cbranch_scc0 .LBB95_2237
; %bb.2236:
	s_wait_loadcnt 0x0
	global_load_i8 v0, v[14:15], off
	s_wait_loadcnt 0x0
	v_bfe_i32 v4, v0, 0, 16
	s_delay_alu instid0(VALU_DEP_1)
	v_ashrrev_i32_e32 v5, 31, v4
	s_branch .LBB95_2238
.LBB95_2237:
	s_mov_b32 s0, -1
                                        ; implicit-def: $vgpr4_vgpr5
.LBB95_2238:
	s_delay_alu instid0(SALU_CYCLE_1)
	s_and_not1_b32 vcc_lo, exec_lo, s0
	s_cbranch_vccnz .LBB95_2240
; %bb.2239:
	s_wait_loadcnt 0x0
	global_load_u8 v0, v[14:15], off
	s_mov_b32 s0, 0
	s_delay_alu instid0(SALU_CYCLE_1)
	v_mov_b32_e32 v5, s0
	s_wait_loadcnt 0x0
	v_and_b32_e32 v4, 0xffff, v0
.LBB95_2240:
	s_or_b32 s35, s35, exec_lo
.LBB95_2241:
	s_wait_xcnt 0x0
	s_or_b32 exec_lo, exec_lo, s6
	s_mov_b32 s21, 0
	s_mov_b32 s20, 0
	;; [unrolled: 1-line block ×3, first 2 shown]
                                        ; implicit-def: $sgpr0
                                        ; implicit-def: $vgpr14_vgpr15
                                        ; implicit-def: $vgpr0_vgpr1
	s_and_saveexec_b32 s6, s35
	s_cbranch_execz .LBB95_2249
; %bb.2242:
	s_load_b512 s[8:23], s[2:3], 0x248
	s_wait_loadcnt 0x0
	v_mov_b32_e32 v11, 0
	s_and_b32 s0, s70, 0xff
	s_delay_alu instid0(SALU_CYCLE_1) | instskip(SKIP_1) | instid1(VALU_DEP_1)
	s_cmp_lt_i32 s0, 11
	s_wait_kmcnt 0x0
	v_add_nc_u64_e32 v[14:15], s[12:13], v[10:11]
	s_cbranch_scc1 .LBB95_2252
; %bb.2243:
	s_and_b32 s7, 0xffff, s0
	s_mov_b32 s9, 0
	s_cmp_gt_i32 s7, 25
	s_cbranch_scc0 .LBB95_2253
; %bb.2244:
	s_cmp_gt_i32 s7, 28
	s_cbranch_scc0 .LBB95_2254
; %bb.2245:
	;; [unrolled: 3-line block ×4, first 2 shown]
	s_cmp_eq_u32 s7, 46
	s_mov_b32 s21, 0
	s_cbranch_scc0 .LBB95_2257
; %bb.2248:
	global_load_b32 v0, v[14:15], off
	s_mov_b32 s8, 0
	s_mov_b32 s20, -1
	s_wait_loadcnt 0x0
	v_lshlrev_b32_e32 v0, 16, v0
	s_delay_alu instid0(VALU_DEP_1) | instskip(NEXT) | instid1(VALU_DEP_1)
	v_trunc_f32_e32 v0, v0
	v_mul_f32_e64 v1, 0x2f800000, |v0|
	s_delay_alu instid0(VALU_DEP_1) | instskip(NEXT) | instid1(VALU_DEP_1)
	v_floor_f32_e32 v1, v1
	v_fma_f32 v3, 0xcf800000, v1, |v0|
	v_ashrrev_i32_e32 v0, 31, v0
	v_cvt_u32_f32_e32 v7, v1
	s_delay_alu instid0(VALU_DEP_3) | instskip(NEXT) | instid1(VALU_DEP_2)
	v_cvt_u32_f32_e32 v3, v3
	v_dual_mov_b32 v1, v0 :: v_dual_bitop2_b32 v11, v7, v0 bitop3:0x14
	s_delay_alu instid0(VALU_DEP_2) | instskip(NEXT) | instid1(VALU_DEP_1)
	v_xor_b32_e32 v10, v3, v0
	v_sub_nc_u64_e32 v[0:1], v[10:11], v[0:1]
	s_branch .LBB95_2259
.LBB95_2249:
	s_or_b32 exec_lo, exec_lo, s6
	s_and_saveexec_b32 s6, s85
	s_cbranch_execnz .LBB95_2318
.LBB95_2250:
	s_or_b32 exec_lo, exec_lo, s6
	s_and_saveexec_b32 s6, s21
	s_delay_alu instid0(SALU_CYCLE_1)
	s_xor_b32 s6, exec_lo, s6
	s_cbranch_execz .LBB95_2319
.LBB95_2251:
	s_wait_loadcnt 0x0
	global_load_u8 v0, v[14:15], off
	s_mov_b32 s8, 0
	s_or_b32 s7, s7, exec_lo
	v_mov_b32_e32 v1, s8
	s_wait_loadcnt 0x0
	v_cmp_ne_u16_e32 vcc_lo, 0, v0
	v_cndmask_b32_e64 v0, 0, 1, vcc_lo
	s_wait_xcnt 0x0
	s_or_b32 exec_lo, exec_lo, s6
	s_and_saveexec_b32 s6, s20
	s_cbranch_execz .LBB95_2365
	s_branch .LBB95_2320
.LBB95_2252:
	s_mov_b32 s21, -1
	s_mov_b32 s20, 0
	s_mov_b32 s9, 0
	;; [unrolled: 1-line block ×3, first 2 shown]
                                        ; implicit-def: $vgpr0_vgpr1
	s_branch .LBB95_2317
.LBB95_2253:
	s_mov_b32 s20, 0
	s_mov_b32 s8, s85
                                        ; implicit-def: $vgpr0_vgpr1
	s_cbranch_execnz .LBB95_2286
	s_branch .LBB95_2316
.LBB95_2254:
	s_mov_b32 s21, -1
	s_mov_b32 s20, 0
	s_mov_b32 s8, s85
                                        ; implicit-def: $vgpr0_vgpr1
	s_branch .LBB95_2269
.LBB95_2255:
	s_mov_b32 s21, -1
	s_mov_b32 s20, 0
	s_mov_b32 s8, s85
                                        ; implicit-def: $vgpr0_vgpr1
	s_branch .LBB95_2264
.LBB95_2256:
	s_mov_b32 s21, -1
	s_mov_b32 s20, 0
	s_mov_b32 s8, s85
	s_branch .LBB95_2258
.LBB95_2257:
	s_mov_b32 s8, -1
	s_mov_b32 s20, 0
.LBB95_2258:
                                        ; implicit-def: $vgpr0_vgpr1
.LBB95_2259:
	s_and_b32 vcc_lo, exec_lo, s21
	s_cbranch_vccz .LBB95_2263
; %bb.2260:
	s_cmp_eq_u32 s7, 44
	s_cbranch_scc0 .LBB95_2262
; %bb.2261:
	global_load_u8 v3, v[14:15], off
	s_mov_b32 s8, 0
	s_mov_b32 s20, -1
	s_wait_loadcnt 0x0
	v_cmp_ne_u32_e32 vcc_lo, 0, v3
	v_lshlrev_b32_e32 v0, 23, v3
	s_delay_alu instid0(VALU_DEP_1) | instskip(NEXT) | instid1(VALU_DEP_1)
	v_trunc_f32_e32 v0, v0
	v_mul_f32_e64 v1, 0x2f800000, |v0|
	s_delay_alu instid0(VALU_DEP_1) | instskip(NEXT) | instid1(VALU_DEP_1)
	v_floor_f32_e32 v1, v1
	v_fma_f32 v7, 0xcf800000, v1, |v0|
	v_ashrrev_i32_e32 v0, 31, v0
	v_cvt_u32_f32_e32 v9, v1
	s_delay_alu instid0(VALU_DEP_3) | instskip(NEXT) | instid1(VALU_DEP_2)
	v_cvt_u32_f32_e32 v7, v7
	v_dual_mov_b32 v1, v0 :: v_dual_bitop2_b32 v11, v9, v0 bitop3:0x14
	s_delay_alu instid0(VALU_DEP_2) | instskip(NEXT) | instid1(VALU_DEP_1)
	v_xor_b32_e32 v10, v7, v0
	v_sub_nc_u64_e32 v[0:1], v[10:11], v[0:1]
	s_delay_alu instid0(VALU_DEP_1)
	v_dual_cndmask_b32 v1, 0, v1 :: v_dual_cndmask_b32 v0, 0, v0
	s_branch .LBB95_2263
.LBB95_2262:
	s_mov_b32 s8, -1
                                        ; implicit-def: $vgpr0_vgpr1
.LBB95_2263:
	s_mov_b32 s21, 0
.LBB95_2264:
	s_delay_alu instid0(SALU_CYCLE_1)
	s_and_b32 vcc_lo, exec_lo, s21
	s_cbranch_vccz .LBB95_2268
; %bb.2265:
	s_cmp_eq_u32 s7, 29
	s_cbranch_scc0 .LBB95_2267
; %bb.2266:
	global_load_b64 v[0:1], v[14:15], off
	s_mov_b32 s8, 0
	s_mov_b32 s20, -1
	s_branch .LBB95_2268
.LBB95_2267:
	s_mov_b32 s8, -1
                                        ; implicit-def: $vgpr0_vgpr1
.LBB95_2268:
	s_mov_b32 s21, 0
.LBB95_2269:
	s_delay_alu instid0(SALU_CYCLE_1)
	s_and_b32 vcc_lo, exec_lo, s21
	s_cbranch_vccz .LBB95_2285
; %bb.2270:
	s_cmp_lt_i32 s7, 27
	s_cbranch_scc1 .LBB95_2273
; %bb.2271:
	s_cmp_gt_i32 s7, 27
	s_cbranch_scc0 .LBB95_2274
; %bb.2272:
	s_wait_loadcnt 0x0
	global_load_b32 v0, v[14:15], off
	v_mov_b32_e32 v1, 0
	s_mov_b32 s20, 0
	s_branch .LBB95_2275
.LBB95_2273:
	s_mov_b32 s20, -1
                                        ; implicit-def: $vgpr0_vgpr1
	s_branch .LBB95_2278
.LBB95_2274:
	s_mov_b32 s20, -1
                                        ; implicit-def: $vgpr0_vgpr1
.LBB95_2275:
	s_delay_alu instid0(SALU_CYCLE_1)
	s_and_not1_b32 vcc_lo, exec_lo, s20
	s_cbranch_vccnz .LBB95_2277
; %bb.2276:
	s_wait_loadcnt 0x0
	global_load_u16 v0, v[14:15], off
	s_mov_b32 s20, 0
	s_delay_alu instid0(SALU_CYCLE_1)
	v_mov_b32_e32 v1, s20
	s_wait_loadcnt 0x0
	v_and_b32_e32 v0, 0xffff, v0
.LBB95_2277:
	s_mov_b32 s20, 0
.LBB95_2278:
	s_delay_alu instid0(SALU_CYCLE_1)
	s_and_not1_b32 vcc_lo, exec_lo, s20
	s_cbranch_vccnz .LBB95_2284
; %bb.2279:
	global_load_u8 v3, v[14:15], off
	s_mov_b32 s21, 0
	s_mov_b32 s20, exec_lo
	s_wait_loadcnt 0x0
	v_cmpx_lt_i16_e32 0x7f, v3
	s_xor_b32 s20, exec_lo, s20
	s_cbranch_execz .LBB95_2295
; %bb.2280:
	v_cmp_ne_u16_e32 vcc_lo, 0x80, v3
	s_and_b32 s21, vcc_lo, exec_lo
	s_and_not1_saveexec_b32 s20, s20
	s_cbranch_execnz .LBB95_2296
.LBB95_2281:
	s_or_b32 exec_lo, exec_lo, s20
	v_mov_b64_e32 v[0:1], 0
	s_and_saveexec_b32 s20, s21
	s_cbranch_execz .LBB95_2283
.LBB95_2282:
	v_and_b32_e32 v0, 0xffff, v3
	s_delay_alu instid0(VALU_DEP_1) | instskip(SKIP_1) | instid1(VALU_DEP_2)
	v_and_b32_e32 v1, 7, v0
	v_bfe_u32 v10, v0, 3, 4
	v_clz_i32_u32_e32 v7, v1
	s_delay_alu instid0(VALU_DEP_2) | instskip(NEXT) | instid1(VALU_DEP_2)
	v_cmp_eq_u32_e32 vcc_lo, 0, v10
	v_min_u32_e32 v7, 32, v7
	s_delay_alu instid0(VALU_DEP_1) | instskip(NEXT) | instid1(VALU_DEP_1)
	v_subrev_nc_u32_e32 v9, 28, v7
	v_dual_lshlrev_b32 v0, v9, v0 :: v_dual_sub_nc_u32 v7, 29, v7
	s_delay_alu instid0(VALU_DEP_1) | instskip(NEXT) | instid1(VALU_DEP_1)
	v_dual_lshlrev_b32 v3, 24, v3 :: v_dual_bitop2_b32 v0, 7, v0 bitop3:0x40
	v_dual_cndmask_b32 v0, v1, v0 :: v_dual_cndmask_b32 v7, v10, v7
	s_delay_alu instid0(VALU_DEP_2) | instskip(NEXT) | instid1(VALU_DEP_2)
	v_and_b32_e32 v1, 0x80000000, v3
	v_lshlrev_b32_e32 v0, 20, v0
	s_delay_alu instid0(VALU_DEP_3) | instskip(NEXT) | instid1(VALU_DEP_1)
	v_lshl_add_u32 v3, v7, 23, 0x3b800000
	v_or3_b32 v0, v1, v3, v0
	s_delay_alu instid0(VALU_DEP_1) | instskip(NEXT) | instid1(VALU_DEP_1)
	v_trunc_f32_e32 v0, v0
	v_mul_f32_e64 v1, 0x2f800000, |v0|
	s_delay_alu instid0(VALU_DEP_1) | instskip(NEXT) | instid1(VALU_DEP_1)
	v_floor_f32_e32 v1, v1
	v_fma_f32 v3, 0xcf800000, v1, |v0|
	v_ashrrev_i32_e32 v0, 31, v0
	v_cvt_u32_f32_e32 v7, v1
	s_delay_alu instid0(VALU_DEP_3) | instskip(NEXT) | instid1(VALU_DEP_2)
	v_cvt_u32_f32_e32 v3, v3
	v_dual_mov_b32 v1, v0 :: v_dual_bitop2_b32 v11, v7, v0 bitop3:0x14
	s_delay_alu instid0(VALU_DEP_2) | instskip(NEXT) | instid1(VALU_DEP_1)
	v_xor_b32_e32 v10, v3, v0
	v_sub_nc_u64_e32 v[0:1], v[10:11], v[0:1]
.LBB95_2283:
	s_or_b32 exec_lo, exec_lo, s20
.LBB95_2284:
	s_mov_b32 s20, -1
.LBB95_2285:
	s_branch .LBB95_2316
.LBB95_2286:
	s_cmp_gt_i32 s7, 22
	s_cbranch_scc0 .LBB95_2294
; %bb.2287:
	s_cmp_lt_i32 s7, 24
	s_cbranch_scc1 .LBB95_2297
; %bb.2288:
	s_cmp_gt_i32 s7, 24
	s_cbranch_scc0 .LBB95_2298
; %bb.2289:
	global_load_u8 v3, v[14:15], off
	s_mov_b32 s20, 0
	s_mov_b32 s9, exec_lo
	s_wait_loadcnt 0x0
	v_cmpx_lt_i16_e32 0x7f, v3
	s_xor_b32 s9, exec_lo, s9
	s_cbranch_execz .LBB95_2310
; %bb.2290:
	v_cmp_ne_u16_e32 vcc_lo, 0x80, v3
	s_and_b32 s20, vcc_lo, exec_lo
	s_and_not1_saveexec_b32 s9, s9
	s_cbranch_execnz .LBB95_2311
.LBB95_2291:
	s_or_b32 exec_lo, exec_lo, s9
	v_mov_b64_e32 v[0:1], 0
	s_and_saveexec_b32 s9, s20
	s_cbranch_execz .LBB95_2293
.LBB95_2292:
	v_and_b32_e32 v0, 0xffff, v3
	s_delay_alu instid0(VALU_DEP_1) | instskip(SKIP_1) | instid1(VALU_DEP_2)
	v_and_b32_e32 v1, 3, v0
	v_bfe_u32 v10, v0, 2, 5
	v_clz_i32_u32_e32 v7, v1
	s_delay_alu instid0(VALU_DEP_2) | instskip(NEXT) | instid1(VALU_DEP_2)
	v_cmp_eq_u32_e32 vcc_lo, 0, v10
	v_min_u32_e32 v7, 32, v7
	s_delay_alu instid0(VALU_DEP_1) | instskip(NEXT) | instid1(VALU_DEP_1)
	v_subrev_nc_u32_e32 v9, 29, v7
	v_dual_lshlrev_b32 v0, v9, v0 :: v_dual_sub_nc_u32 v7, 30, v7
	s_delay_alu instid0(VALU_DEP_1) | instskip(NEXT) | instid1(VALU_DEP_1)
	v_dual_lshlrev_b32 v3, 24, v3 :: v_dual_bitop2_b32 v0, 3, v0 bitop3:0x40
	v_dual_cndmask_b32 v0, v1, v0 :: v_dual_cndmask_b32 v7, v10, v7
	s_delay_alu instid0(VALU_DEP_2) | instskip(NEXT) | instid1(VALU_DEP_2)
	v_and_b32_e32 v1, 0x80000000, v3
	v_lshlrev_b32_e32 v0, 21, v0
	s_delay_alu instid0(VALU_DEP_3) | instskip(NEXT) | instid1(VALU_DEP_1)
	v_lshl_add_u32 v3, v7, 23, 0x37800000
	v_or3_b32 v0, v1, v3, v0
	s_delay_alu instid0(VALU_DEP_1) | instskip(NEXT) | instid1(VALU_DEP_1)
	v_trunc_f32_e32 v0, v0
	v_mul_f32_e64 v1, 0x2f800000, |v0|
	s_delay_alu instid0(VALU_DEP_1) | instskip(NEXT) | instid1(VALU_DEP_1)
	v_floor_f32_e32 v1, v1
	v_fma_f32 v3, 0xcf800000, v1, |v0|
	v_ashrrev_i32_e32 v0, 31, v0
	v_cvt_u32_f32_e32 v7, v1
	s_delay_alu instid0(VALU_DEP_3) | instskip(NEXT) | instid1(VALU_DEP_2)
	v_cvt_u32_f32_e32 v3, v3
	v_dual_mov_b32 v1, v0 :: v_dual_bitop2_b32 v11, v7, v0 bitop3:0x14
	s_delay_alu instid0(VALU_DEP_2) | instskip(NEXT) | instid1(VALU_DEP_1)
	v_xor_b32_e32 v10, v3, v0
	v_sub_nc_u64_e32 v[0:1], v[10:11], v[0:1]
.LBB95_2293:
	s_or_b32 exec_lo, exec_lo, s9
	s_mov_b32 s9, 0
	s_branch .LBB95_2299
.LBB95_2294:
	s_mov_b32 s9, -1
                                        ; implicit-def: $vgpr0_vgpr1
	s_branch .LBB95_2305
.LBB95_2295:
	s_and_not1_saveexec_b32 s20, s20
	s_cbranch_execz .LBB95_2281
.LBB95_2296:
	v_cmp_ne_u16_e32 vcc_lo, 0, v3
	s_and_not1_b32 s21, s21, exec_lo
	s_and_b32 s22, vcc_lo, exec_lo
	s_delay_alu instid0(SALU_CYCLE_1)
	s_or_b32 s21, s21, s22
	s_or_b32 exec_lo, exec_lo, s20
	v_mov_b64_e32 v[0:1], 0
	s_and_saveexec_b32 s20, s21
	s_cbranch_execnz .LBB95_2282
	s_branch .LBB95_2283
.LBB95_2297:
	s_mov_b32 s9, -1
                                        ; implicit-def: $vgpr0_vgpr1
	s_branch .LBB95_2302
.LBB95_2298:
	s_mov_b32 s9, -1
                                        ; implicit-def: $vgpr0_vgpr1
.LBB95_2299:
	s_delay_alu instid0(SALU_CYCLE_1)
	s_and_b32 vcc_lo, exec_lo, s9
	s_cbranch_vccz .LBB95_2301
; %bb.2300:
	s_wait_loadcnt 0x0
	global_load_u8 v0, v[14:15], off
	s_wait_loadcnt 0x0
	v_lshlrev_b32_e32 v0, 24, v0
	s_delay_alu instid0(VALU_DEP_1) | instskip(NEXT) | instid1(VALU_DEP_1)
	v_and_b32_e32 v1, 0x7f000000, v0
	v_clz_i32_u32_e32 v3, v1
	v_add_nc_u32_e32 v9, 0x1000000, v1
	v_cmp_ne_u32_e32 vcc_lo, 0, v1
	s_delay_alu instid0(VALU_DEP_3) | instskip(NEXT) | instid1(VALU_DEP_1)
	v_min_u32_e32 v3, 32, v3
	v_sub_nc_u32_e64 v3, v3, 4 clamp
	s_delay_alu instid0(VALU_DEP_1) | instskip(NEXT) | instid1(VALU_DEP_1)
	v_dual_lshlrev_b32 v7, v3, v1 :: v_dual_lshlrev_b32 v3, 23, v3
	v_lshrrev_b32_e32 v7, 4, v7
	s_delay_alu instid0(VALU_DEP_1) | instskip(NEXT) | instid1(VALU_DEP_1)
	v_dual_sub_nc_u32 v3, v7, v3 :: v_dual_ashrrev_i32 v7, 8, v9
	v_add_nc_u32_e32 v3, 0x3c000000, v3
	s_delay_alu instid0(VALU_DEP_1) | instskip(NEXT) | instid1(VALU_DEP_1)
	v_and_or_b32 v3, 0x7f800000, v7, v3
	v_cndmask_b32_e32 v1, 0, v3, vcc_lo
	s_delay_alu instid0(VALU_DEP_1) | instskip(NEXT) | instid1(VALU_DEP_1)
	v_and_or_b32 v0, 0x80000000, v0, v1
	v_trunc_f32_e32 v0, v0
	s_delay_alu instid0(VALU_DEP_1) | instskip(NEXT) | instid1(VALU_DEP_1)
	v_mul_f32_e64 v1, 0x2f800000, |v0|
	v_floor_f32_e32 v1, v1
	s_delay_alu instid0(VALU_DEP_1) | instskip(SKIP_2) | instid1(VALU_DEP_3)
	v_fma_f32 v3, 0xcf800000, v1, |v0|
	v_ashrrev_i32_e32 v0, 31, v0
	v_cvt_u32_f32_e32 v7, v1
	v_cvt_u32_f32_e32 v3, v3
	s_delay_alu instid0(VALU_DEP_2) | instskip(NEXT) | instid1(VALU_DEP_2)
	v_dual_mov_b32 v1, v0 :: v_dual_bitop2_b32 v11, v7, v0 bitop3:0x14
	v_xor_b32_e32 v10, v3, v0
	s_delay_alu instid0(VALU_DEP_1)
	v_sub_nc_u64_e32 v[0:1], v[10:11], v[0:1]
.LBB95_2301:
	s_mov_b32 s9, 0
.LBB95_2302:
	s_delay_alu instid0(SALU_CYCLE_1)
	s_and_not1_b32 vcc_lo, exec_lo, s9
	s_cbranch_vccnz .LBB95_2304
; %bb.2303:
	s_wait_loadcnt 0x0
	global_load_u8 v0, v[14:15], off
	s_wait_loadcnt 0x0
	v_lshlrev_b32_e32 v1, 25, v0
	v_lshlrev_b16 v0, 8, v0
	s_delay_alu instid0(VALU_DEP_1) | instskip(SKIP_1) | instid1(VALU_DEP_2)
	v_and_or_b32 v7, 0x7f00, v0, 0.5
	v_bfe_i32 v0, v0, 0, 16
	v_dual_add_f32 v7, -0.5, v7 :: v_dual_lshrrev_b32 v3, 4, v1
	v_cmp_gt_u32_e32 vcc_lo, 0x8000000, v1
	s_delay_alu instid0(VALU_DEP_2) | instskip(NEXT) | instid1(VALU_DEP_1)
	v_or_b32_e32 v3, 0x70000000, v3
	v_mul_f32_e32 v3, 0x7800000, v3
	s_delay_alu instid0(VALU_DEP_1) | instskip(NEXT) | instid1(VALU_DEP_1)
	v_cndmask_b32_e32 v1, v3, v7, vcc_lo
	v_and_or_b32 v0, 0x80000000, v0, v1
	s_delay_alu instid0(VALU_DEP_1) | instskip(NEXT) | instid1(VALU_DEP_1)
	v_trunc_f32_e32 v0, v0
	v_mul_f32_e64 v1, 0x2f800000, |v0|
	s_delay_alu instid0(VALU_DEP_1) | instskip(NEXT) | instid1(VALU_DEP_1)
	v_floor_f32_e32 v1, v1
	v_fma_f32 v3, 0xcf800000, v1, |v0|
	v_ashrrev_i32_e32 v0, 31, v0
	v_cvt_u32_f32_e32 v7, v1
	s_delay_alu instid0(VALU_DEP_3) | instskip(NEXT) | instid1(VALU_DEP_2)
	v_cvt_u32_f32_e32 v3, v3
	v_dual_mov_b32 v1, v0 :: v_dual_bitop2_b32 v11, v7, v0 bitop3:0x14
	s_delay_alu instid0(VALU_DEP_2) | instskip(NEXT) | instid1(VALU_DEP_1)
	v_xor_b32_e32 v10, v3, v0
	v_sub_nc_u64_e32 v[0:1], v[10:11], v[0:1]
.LBB95_2304:
	s_mov_b32 s9, 0
	s_mov_b32 s20, -1
.LBB95_2305:
	s_and_not1_b32 vcc_lo, exec_lo, s9
	s_mov_b32 s9, 0
	s_cbranch_vccnz .LBB95_2316
; %bb.2306:
	s_cmp_gt_i32 s7, 14
	s_cbranch_scc0 .LBB95_2309
; %bb.2307:
	s_cmp_eq_u32 s7, 15
	s_cbranch_scc0 .LBB95_2312
; %bb.2308:
	s_wait_loadcnt 0x0
	global_load_u16 v0, v[14:15], off
	s_mov_b32 s8, 0
	s_mov_b32 s20, -1
	s_wait_loadcnt 0x0
	v_lshlrev_b32_e32 v0, 16, v0
	s_delay_alu instid0(VALU_DEP_1) | instskip(NEXT) | instid1(VALU_DEP_1)
	v_trunc_f32_e32 v0, v0
	v_mul_f32_e64 v1, 0x2f800000, |v0|
	s_delay_alu instid0(VALU_DEP_1) | instskip(NEXT) | instid1(VALU_DEP_1)
	v_floor_f32_e32 v1, v1
	v_fma_f32 v3, 0xcf800000, v1, |v0|
	v_ashrrev_i32_e32 v0, 31, v0
	v_cvt_u32_f32_e32 v7, v1
	s_delay_alu instid0(VALU_DEP_3) | instskip(NEXT) | instid1(VALU_DEP_2)
	v_cvt_u32_f32_e32 v3, v3
	v_dual_mov_b32 v1, v0 :: v_dual_bitop2_b32 v11, v7, v0 bitop3:0x14
	s_delay_alu instid0(VALU_DEP_2) | instskip(NEXT) | instid1(VALU_DEP_1)
	v_xor_b32_e32 v10, v3, v0
	v_sub_nc_u64_e32 v[0:1], v[10:11], v[0:1]
	s_branch .LBB95_2314
.LBB95_2309:
	s_mov_b32 s9, -1
	s_branch .LBB95_2313
.LBB95_2310:
	s_and_not1_saveexec_b32 s9, s9
	s_cbranch_execz .LBB95_2291
.LBB95_2311:
	v_cmp_ne_u16_e32 vcc_lo, 0, v3
	s_and_not1_b32 s20, s20, exec_lo
	s_and_b32 s21, vcc_lo, exec_lo
	s_delay_alu instid0(SALU_CYCLE_1)
	s_or_b32 s20, s20, s21
	s_or_b32 exec_lo, exec_lo, s9
	v_mov_b64_e32 v[0:1], 0
	s_and_saveexec_b32 s9, s20
	s_cbranch_execnz .LBB95_2292
	s_branch .LBB95_2293
.LBB95_2312:
	s_mov_b32 s8, -1
.LBB95_2313:
                                        ; implicit-def: $vgpr0_vgpr1
.LBB95_2314:
	s_and_b32 vcc_lo, exec_lo, s9
	s_mov_b32 s9, 0
	s_cbranch_vccz .LBB95_2316
; %bb.2315:
	s_cmp_lg_u32 s7, 11
	s_mov_b32 s9, -1
	s_cselect_b32 s7, -1, 0
	s_and_not1_b32 s8, s8, exec_lo
	s_and_b32 s7, s7, exec_lo
	s_delay_alu instid0(SALU_CYCLE_1)
	s_or_b32 s8, s8, s7
.LBB95_2316:
	s_mov_b32 s21, 0
.LBB95_2317:
	s_and_not1_b32 s22, s85, exec_lo
	s_and_b32 s8, s8, exec_lo
	s_and_b32 s7, s20, exec_lo
	;; [unrolled: 1-line block ×4, first 2 shown]
	s_or_b32 s85, s22, s8
	s_wait_xcnt 0x0
	s_or_b32 exec_lo, exec_lo, s6
	s_and_saveexec_b32 s6, s85
	s_cbranch_execz .LBB95_2250
.LBB95_2318:
	s_or_b32 s1, s1, exec_lo
	s_and_not1_b32 s21, s21, exec_lo
	s_trap 2
	s_or_b32 exec_lo, exec_lo, s6
	s_and_saveexec_b32 s6, s21
	s_delay_alu instid0(SALU_CYCLE_1)
	s_xor_b32 s6, exec_lo, s6
	s_cbranch_execnz .LBB95_2251
.LBB95_2319:
	s_or_b32 exec_lo, exec_lo, s6
	s_and_saveexec_b32 s6, s20
	s_cbranch_execz .LBB95_2365
.LBB95_2320:
	s_sext_i32_i16 s8, s0
	s_delay_alu instid0(SALU_CYCLE_1)
	s_cmp_lt_i32 s8, 5
	s_cbranch_scc1 .LBB95_2325
; %bb.2321:
	s_cmp_lt_i32 s8, 8
	s_cbranch_scc1 .LBB95_2326
; %bb.2322:
	;; [unrolled: 3-line block ×3, first 2 shown]
	s_cmp_gt_i32 s8, 9
	s_cbranch_scc0 .LBB95_2328
; %bb.2324:
	s_wait_loadcnt 0x0
	global_load_b64 v[0:1], v[14:15], off
	s_mov_b32 s8, 0
	s_wait_loadcnt 0x0
	v_trunc_f64_e32 v[0:1], v[0:1]
	s_delay_alu instid0(VALU_DEP_1) | instskip(NEXT) | instid1(VALU_DEP_1)
	v_ldexp_f64 v[10:11], v[0:1], 0xffffffe0
	v_floor_f64_e32 v[10:11], v[10:11]
	s_delay_alu instid0(VALU_DEP_1) | instskip(SKIP_1) | instid1(VALU_DEP_2)
	v_fmamk_f64 v[16:17], v[10:11], 0xc1f00000, v[0:1]
	v_cvt_i32_f64_e32 v1, v[10:11]
	v_cvt_u32_f64_e32 v0, v[16:17]
	s_branch .LBB95_2329
.LBB95_2325:
                                        ; implicit-def: $vgpr0_vgpr1
	s_branch .LBB95_2346
.LBB95_2326:
                                        ; implicit-def: $vgpr0_vgpr1
	s_branch .LBB95_2335
.LBB95_2327:
	s_mov_b32 s8, -1
                                        ; implicit-def: $vgpr0_vgpr1
	s_branch .LBB95_2332
.LBB95_2328:
	s_mov_b32 s8, -1
                                        ; implicit-def: $vgpr0_vgpr1
.LBB95_2329:
	s_delay_alu instid0(SALU_CYCLE_1)
	s_and_not1_b32 vcc_lo, exec_lo, s8
	s_cbranch_vccnz .LBB95_2331
; %bb.2330:
	s_wait_loadcnt 0x0
	global_load_b32 v0, v[14:15], off
	s_wait_loadcnt 0x0
	v_trunc_f32_e32 v0, v0
	s_delay_alu instid0(VALU_DEP_1) | instskip(NEXT) | instid1(VALU_DEP_1)
	v_mul_f32_e64 v1, 0x2f800000, |v0|
	v_floor_f32_e32 v1, v1
	s_delay_alu instid0(VALU_DEP_1) | instskip(SKIP_2) | instid1(VALU_DEP_3)
	v_fma_f32 v3, 0xcf800000, v1, |v0|
	v_ashrrev_i32_e32 v0, 31, v0
	v_cvt_u32_f32_e32 v7, v1
	v_cvt_u32_f32_e32 v3, v3
	s_delay_alu instid0(VALU_DEP_2) | instskip(NEXT) | instid1(VALU_DEP_2)
	v_dual_mov_b32 v1, v0 :: v_dual_bitop2_b32 v11, v7, v0 bitop3:0x14
	v_xor_b32_e32 v10, v3, v0
	s_delay_alu instid0(VALU_DEP_1)
	v_sub_nc_u64_e32 v[0:1], v[10:11], v[0:1]
.LBB95_2331:
	s_mov_b32 s8, 0
.LBB95_2332:
	s_delay_alu instid0(SALU_CYCLE_1)
	s_and_not1_b32 vcc_lo, exec_lo, s8
	s_cbranch_vccnz .LBB95_2334
; %bb.2333:
	s_wait_loadcnt 0x0
	global_load_b32 v0, v[14:15], off
	s_wait_loadcnt 0x0
	v_cvt_f32_f16_e32 v0, v0
	s_delay_alu instid0(VALU_DEP_1) | instskip(NEXT) | instid1(VALU_DEP_1)
	v_cvt_i32_f32_e32 v0, v0
	v_ashrrev_i32_e32 v1, 31, v0
.LBB95_2334:
	s_cbranch_execnz .LBB95_2345
.LBB95_2335:
	s_sext_i32_i16 s8, s0
	s_delay_alu instid0(SALU_CYCLE_1)
	s_cmp_lt_i32 s8, 6
	s_cbranch_scc1 .LBB95_2338
; %bb.2336:
	s_cmp_gt_i32 s8, 6
	s_cbranch_scc0 .LBB95_2339
; %bb.2337:
	s_wait_loadcnt 0x0
	global_load_b64 v[0:1], v[14:15], off
	s_mov_b32 s8, 0
	s_wait_loadcnt 0x0
	v_trunc_f64_e32 v[0:1], v[0:1]
	s_delay_alu instid0(VALU_DEP_1) | instskip(NEXT) | instid1(VALU_DEP_1)
	v_ldexp_f64 v[10:11], v[0:1], 0xffffffe0
	v_floor_f64_e32 v[10:11], v[10:11]
	s_delay_alu instid0(VALU_DEP_1) | instskip(SKIP_1) | instid1(VALU_DEP_2)
	v_fmamk_f64 v[16:17], v[10:11], 0xc1f00000, v[0:1]
	v_cvt_i32_f64_e32 v1, v[10:11]
	v_cvt_u32_f64_e32 v0, v[16:17]
	s_branch .LBB95_2340
.LBB95_2338:
	s_mov_b32 s8, -1
                                        ; implicit-def: $vgpr0_vgpr1
	s_branch .LBB95_2343
.LBB95_2339:
	s_mov_b32 s8, -1
                                        ; implicit-def: $vgpr0_vgpr1
.LBB95_2340:
	s_delay_alu instid0(SALU_CYCLE_1)
	s_and_not1_b32 vcc_lo, exec_lo, s8
	s_cbranch_vccnz .LBB95_2342
; %bb.2341:
	s_wait_loadcnt 0x0
	global_load_b32 v0, v[14:15], off
	s_wait_loadcnt 0x0
	v_trunc_f32_e32 v0, v0
	s_delay_alu instid0(VALU_DEP_1) | instskip(NEXT) | instid1(VALU_DEP_1)
	v_mul_f32_e64 v1, 0x2f800000, |v0|
	v_floor_f32_e32 v1, v1
	s_delay_alu instid0(VALU_DEP_1) | instskip(SKIP_2) | instid1(VALU_DEP_3)
	v_fma_f32 v3, 0xcf800000, v1, |v0|
	v_ashrrev_i32_e32 v0, 31, v0
	v_cvt_u32_f32_e32 v7, v1
	v_cvt_u32_f32_e32 v3, v3
	s_delay_alu instid0(VALU_DEP_2) | instskip(NEXT) | instid1(VALU_DEP_2)
	v_dual_mov_b32 v1, v0 :: v_dual_bitop2_b32 v11, v7, v0 bitop3:0x14
	v_xor_b32_e32 v10, v3, v0
	s_delay_alu instid0(VALU_DEP_1)
	v_sub_nc_u64_e32 v[0:1], v[10:11], v[0:1]
.LBB95_2342:
	s_mov_b32 s8, 0
.LBB95_2343:
	s_delay_alu instid0(SALU_CYCLE_1)
	s_and_not1_b32 vcc_lo, exec_lo, s8
	s_cbranch_vccnz .LBB95_2345
; %bb.2344:
	s_wait_loadcnt 0x0
	global_load_u16 v0, v[14:15], off
	s_wait_loadcnt 0x0
	v_cvt_f32_f16_e32 v0, v0
	s_delay_alu instid0(VALU_DEP_1) | instskip(NEXT) | instid1(VALU_DEP_1)
	v_cvt_i32_f32_e32 v0, v0
	v_ashrrev_i32_e32 v1, 31, v0
.LBB95_2345:
	s_cbranch_execnz .LBB95_2364
.LBB95_2346:
	s_sext_i32_i16 s8, s0
	s_delay_alu instid0(SALU_CYCLE_1)
	s_cmp_lt_i32 s8, 2
	s_cbranch_scc1 .LBB95_2350
; %bb.2347:
	s_cmp_lt_i32 s8, 3
	s_cbranch_scc1 .LBB95_2351
; %bb.2348:
	s_cmp_gt_i32 s8, 3
	s_cbranch_scc0 .LBB95_2352
; %bb.2349:
	s_wait_loadcnt 0x0
	global_load_b64 v[0:1], v[14:15], off
	s_mov_b32 s8, 0
	s_branch .LBB95_2353
.LBB95_2350:
                                        ; implicit-def: $vgpr0_vgpr1
	s_branch .LBB95_2359
.LBB95_2351:
	s_mov_b32 s8, -1
                                        ; implicit-def: $vgpr0_vgpr1
	s_branch .LBB95_2356
.LBB95_2352:
	s_mov_b32 s8, -1
                                        ; implicit-def: $vgpr0_vgpr1
.LBB95_2353:
	s_delay_alu instid0(SALU_CYCLE_1)
	s_and_not1_b32 vcc_lo, exec_lo, s8
	s_cbranch_vccnz .LBB95_2355
; %bb.2354:
	s_wait_loadcnt 0x0
	global_load_b32 v0, v[14:15], off
	s_wait_loadcnt 0x0
	v_ashrrev_i32_e32 v1, 31, v0
.LBB95_2355:
	s_mov_b32 s8, 0
.LBB95_2356:
	s_delay_alu instid0(SALU_CYCLE_1)
	s_and_not1_b32 vcc_lo, exec_lo, s8
	s_cbranch_vccnz .LBB95_2358
; %bb.2357:
	s_wait_loadcnt 0x0
	global_load_u16 v0, v[14:15], off
	s_wait_loadcnt 0x0
	v_bfe_i32 v0, v0, 0, 16
	s_delay_alu instid0(VALU_DEP_1)
	v_ashrrev_i32_e32 v1, 31, v0
.LBB95_2358:
	s_cbranch_execnz .LBB95_2364
.LBB95_2359:
	s_sext_i32_i16 s0, s0
	s_delay_alu instid0(SALU_CYCLE_1)
	s_cmp_gt_i32 s0, 0
	s_mov_b32 s0, 0
	s_cbranch_scc0 .LBB95_2361
; %bb.2360:
	s_wait_loadcnt 0x0
	global_load_i8 v0, v[14:15], off
	s_wait_loadcnt 0x0
	v_bfe_i32 v0, v0, 0, 16
	s_delay_alu instid0(VALU_DEP_1)
	v_ashrrev_i32_e32 v1, 31, v0
	s_branch .LBB95_2362
.LBB95_2361:
	s_mov_b32 s0, -1
                                        ; implicit-def: $vgpr0_vgpr1
.LBB95_2362:
	s_delay_alu instid0(SALU_CYCLE_1)
	s_and_not1_b32 vcc_lo, exec_lo, s0
	s_cbranch_vccnz .LBB95_2364
; %bb.2363:
	s_wait_loadcnt 0x0
	global_load_u8 v0, v[14:15], off
	s_mov_b32 s0, 0
	s_delay_alu instid0(SALU_CYCLE_1)
	v_mov_b32_e32 v1, s0
	s_wait_loadcnt 0x0
	v_and_b32_e32 v0, 0xffff, v0
.LBB95_2364:
	s_or_b32 s7, s7, exec_lo
.LBB95_2365:
	s_wait_xcnt 0x0
	s_or_b32 exec_lo, exec_lo, s6
	s_mov_b32 s8, 0
	s_mov_b32 s20, 0
	;; [unrolled: 1-line block ×3, first 2 shown]
                                        ; implicit-def: $sgpr0
                                        ; implicit-def: $vgpr14_vgpr15
                                        ; implicit-def: $vgpr10_vgpr11
	s_and_saveexec_b32 s6, s7
	s_cbranch_execz .LBB95_2373
; %bb.2366:
	s_load_b512 s[8:23], s[2:3], 0x248
	s_wait_loadcnt 0x0
	v_mov_b32_e32 v13, 0
	s_and_b32 s0, s28, 0xff
	s_delay_alu instid0(SALU_CYCLE_1) | instskip(SKIP_1) | instid1(VALU_DEP_1)
	s_cmp_lt_i32 s0, 11
	s_wait_kmcnt 0x0
	v_add_nc_u64_e32 v[14:15], s[14:15], v[12:13]
	s_cbranch_scc1 .LBB95_2376
; %bb.2367:
	s_and_b32 s7, 0xffff, s0
	s_mov_b32 s10, 0
	s_cmp_gt_i32 s7, 25
	s_cbranch_scc0 .LBB95_2377
; %bb.2368:
	s_cmp_gt_i32 s7, 28
	s_cbranch_scc0 .LBB95_2378
; %bb.2369:
	;; [unrolled: 3-line block ×4, first 2 shown]
	s_cmp_eq_u32 s7, 46
	s_mov_b32 s11, 0
	s_cbranch_scc0 .LBB95_2381
; %bb.2372:
	global_load_b32 v3, v[14:15], off
	s_mov_b32 s8, 0
	s_mov_b32 s9, -1
	s_wait_loadcnt 0x0
	v_lshlrev_b32_e32 v3, 16, v3
	s_delay_alu instid0(VALU_DEP_1) | instskip(NEXT) | instid1(VALU_DEP_1)
	v_trunc_f32_e32 v3, v3
	v_mul_f32_e64 v7, 0x2f800000, |v3|
	v_ashrrev_i32_e32 v10, 31, v3
	s_delay_alu instid0(VALU_DEP_2) | instskip(NEXT) | instid1(VALU_DEP_2)
	v_floor_f32_e32 v7, v7
	v_mov_b32_e32 v11, v10
	s_delay_alu instid0(VALU_DEP_2) | instskip(SKIP_1) | instid1(VALU_DEP_2)
	v_fma_f32 v9, 0xcf800000, v7, |v3|
	v_cvt_u32_f32_e32 v3, v7
	v_cvt_u32_f32_e32 v7, v9
	s_delay_alu instid0(VALU_DEP_2) | instskip(NEXT) | instid1(VALU_DEP_2)
	v_xor_b32_e32 v13, v3, v10
	v_xor_b32_e32 v12, v7, v10
	s_delay_alu instid0(VALU_DEP_1)
	v_sub_nc_u64_e32 v[10:11], v[12:13], v[10:11]
	s_branch .LBB95_2383
.LBB95_2373:
	s_or_b32 exec_lo, exec_lo, s6
	s_and_saveexec_b32 s6, s84
	s_cbranch_execnz .LBB95_2442
.LBB95_2374:
	s_or_b32 exec_lo, exec_lo, s6
	s_and_saveexec_b32 s6, s8
	s_delay_alu instid0(SALU_CYCLE_1)
	s_xor_b32 s6, exec_lo, s6
	s_cbranch_execz .LBB95_2443
.LBB95_2375:
	s_wait_loadcnt 0x0
	global_load_u8 v3, v[14:15], off
	s_mov_b32 s7, 0
	s_or_b32 s9, s9, exec_lo
	v_mov_b32_e32 v11, s7
	s_wait_loadcnt 0x0
	v_cmp_ne_u16_e32 vcc_lo, 0, v3
	v_cndmask_b32_e64 v10, 0, 1, vcc_lo
	s_wait_xcnt 0x0
	s_or_b32 exec_lo, exec_lo, s6
	s_and_saveexec_b32 s6, s20
	s_cbranch_execz .LBB95_2489
	s_branch .LBB95_2444
.LBB95_2376:
	s_mov_b32 s7, -1
	s_mov_b32 s9, 0
	s_mov_b32 s10, 0
	;; [unrolled: 1-line block ×3, first 2 shown]
                                        ; implicit-def: $vgpr10_vgpr11
	s_branch .LBB95_2441
.LBB95_2377:
	s_mov_b32 s9, 0
	s_mov_b32 s8, s84
                                        ; implicit-def: $vgpr10_vgpr11
	s_cbranch_execnz .LBB95_2410
	s_branch .LBB95_2440
.LBB95_2378:
	s_mov_b32 s11, -1
	s_mov_b32 s9, 0
	s_mov_b32 s8, s84
                                        ; implicit-def: $vgpr10_vgpr11
	s_branch .LBB95_2393
.LBB95_2379:
	s_mov_b32 s11, -1
	s_mov_b32 s9, 0
	s_mov_b32 s8, s84
                                        ; implicit-def: $vgpr10_vgpr11
	s_branch .LBB95_2388
.LBB95_2380:
	s_mov_b32 s11, -1
	s_mov_b32 s9, 0
	s_mov_b32 s8, s84
	s_branch .LBB95_2382
.LBB95_2381:
	s_mov_b32 s8, -1
	s_mov_b32 s9, 0
.LBB95_2382:
                                        ; implicit-def: $vgpr10_vgpr11
.LBB95_2383:
	s_and_b32 vcc_lo, exec_lo, s11
	s_cbranch_vccz .LBB95_2387
; %bb.2384:
	s_cmp_eq_u32 s7, 44
	s_cbranch_scc0 .LBB95_2386
; %bb.2385:
	global_load_u8 v3, v[14:15], off
	s_mov_b32 s8, 0
	s_mov_b32 s9, -1
	s_wait_loadcnt 0x0
	v_lshlrev_b32_e32 v7, 23, v3
	v_cmp_ne_u32_e32 vcc_lo, 0, v3
	s_delay_alu instid0(VALU_DEP_2) | instskip(NEXT) | instid1(VALU_DEP_1)
	v_trunc_f32_e32 v7, v7
	v_mul_f32_e64 v9, 0x2f800000, |v7|
	v_ashrrev_i32_e32 v10, 31, v7
	s_delay_alu instid0(VALU_DEP_2) | instskip(NEXT) | instid1(VALU_DEP_1)
	v_floor_f32_e32 v9, v9
	v_fma_f32 v11, 0xcf800000, v9, |v7|
	v_cvt_u32_f32_e32 v7, v9
	s_delay_alu instid0(VALU_DEP_2) | instskip(NEXT) | instid1(VALU_DEP_2)
	v_cvt_u32_f32_e32 v9, v11
	v_dual_mov_b32 v11, v10 :: v_dual_bitop2_b32 v13, v7, v10 bitop3:0x14
	s_delay_alu instid0(VALU_DEP_2) | instskip(NEXT) | instid1(VALU_DEP_1)
	v_xor_b32_e32 v12, v9, v10
	v_sub_nc_u64_e32 v[10:11], v[12:13], v[10:11]
	s_delay_alu instid0(VALU_DEP_1)
	v_dual_cndmask_b32 v11, 0, v11 :: v_dual_cndmask_b32 v10, 0, v10
	s_branch .LBB95_2387
.LBB95_2386:
	s_mov_b32 s8, -1
                                        ; implicit-def: $vgpr10_vgpr11
.LBB95_2387:
	s_mov_b32 s11, 0
.LBB95_2388:
	s_delay_alu instid0(SALU_CYCLE_1)
	s_and_b32 vcc_lo, exec_lo, s11
	s_cbranch_vccz .LBB95_2392
; %bb.2389:
	s_cmp_eq_u32 s7, 29
	s_cbranch_scc0 .LBB95_2391
; %bb.2390:
	global_load_b64 v[10:11], v[14:15], off
	s_mov_b32 s8, 0
	s_mov_b32 s9, -1
	s_branch .LBB95_2392
.LBB95_2391:
	s_mov_b32 s8, -1
                                        ; implicit-def: $vgpr10_vgpr11
.LBB95_2392:
	s_mov_b32 s11, 0
.LBB95_2393:
	s_delay_alu instid0(SALU_CYCLE_1)
	s_and_b32 vcc_lo, exec_lo, s11
	s_cbranch_vccz .LBB95_2409
; %bb.2394:
	s_cmp_lt_i32 s7, 27
	s_cbranch_scc1 .LBB95_2397
; %bb.2395:
	s_cmp_gt_i32 s7, 27
	s_cbranch_scc0 .LBB95_2398
; %bb.2396:
	s_wait_loadcnt 0x0
	global_load_b32 v10, v[14:15], off
	v_mov_b32_e32 v11, 0
	s_mov_b32 s9, 0
	s_branch .LBB95_2399
.LBB95_2397:
	s_mov_b32 s9, -1
                                        ; implicit-def: $vgpr10_vgpr11
	s_branch .LBB95_2402
.LBB95_2398:
	s_mov_b32 s9, -1
                                        ; implicit-def: $vgpr10_vgpr11
.LBB95_2399:
	s_delay_alu instid0(SALU_CYCLE_1)
	s_and_not1_b32 vcc_lo, exec_lo, s9
	s_cbranch_vccnz .LBB95_2401
; %bb.2400:
	global_load_u16 v3, v[14:15], off
	s_mov_b32 s9, 0
	s_wait_loadcnt 0x1
	v_mov_b32_e32 v11, s9
	s_wait_loadcnt 0x0
	v_and_b32_e32 v10, 0xffff, v3
.LBB95_2401:
	s_mov_b32 s9, 0
.LBB95_2402:
	s_delay_alu instid0(SALU_CYCLE_1)
	s_and_not1_b32 vcc_lo, exec_lo, s9
	s_cbranch_vccnz .LBB95_2408
; %bb.2403:
	global_load_u8 v3, v[14:15], off
	s_mov_b32 s11, 0
	s_mov_b32 s9, exec_lo
	s_wait_loadcnt 0x0
	v_cmpx_lt_i16_e32 0x7f, v3
	s_xor_b32 s9, exec_lo, s9
	s_cbranch_execz .LBB95_2419
; %bb.2404:
	v_cmp_ne_u16_e32 vcc_lo, 0x80, v3
	s_and_b32 s11, vcc_lo, exec_lo
	s_and_not1_saveexec_b32 s9, s9
	s_cbranch_execnz .LBB95_2420
.LBB95_2405:
	s_or_b32 exec_lo, exec_lo, s9
	v_mov_b64_e32 v[10:11], 0
	s_and_saveexec_b32 s9, s11
	s_cbranch_execz .LBB95_2407
.LBB95_2406:
	v_and_b32_e32 v7, 0xffff, v3
	s_delay_alu instid0(VALU_DEP_1) | instskip(SKIP_1) | instid1(VALU_DEP_2)
	v_and_b32_e32 v9, 7, v7
	v_bfe_u32 v12, v7, 3, 4
	v_clz_i32_u32_e32 v10, v9
	s_delay_alu instid0(VALU_DEP_2) | instskip(NEXT) | instid1(VALU_DEP_2)
	v_cmp_eq_u32_e32 vcc_lo, 0, v12
	v_min_u32_e32 v10, 32, v10
	s_delay_alu instid0(VALU_DEP_1) | instskip(NEXT) | instid1(VALU_DEP_1)
	v_subrev_nc_u32_e32 v11, 28, v10
	v_dual_lshlrev_b32 v7, v11, v7 :: v_dual_sub_nc_u32 v10, 29, v10
	s_delay_alu instid0(VALU_DEP_1) | instskip(NEXT) | instid1(VALU_DEP_2)
	v_and_b32_e32 v7, 7, v7
	v_dual_cndmask_b32 v10, v12, v10 :: v_dual_lshlrev_b32 v3, 24, v3
	s_delay_alu instid0(VALU_DEP_2) | instskip(NEXT) | instid1(VALU_DEP_2)
	v_cndmask_b32_e32 v7, v9, v7, vcc_lo
	v_and_b32_e32 v3, 0x80000000, v3
	s_delay_alu instid0(VALU_DEP_3) | instskip(NEXT) | instid1(VALU_DEP_3)
	v_lshl_add_u32 v9, v10, 23, 0x3b800000
	v_lshlrev_b32_e32 v7, 20, v7
	s_delay_alu instid0(VALU_DEP_1) | instskip(NEXT) | instid1(VALU_DEP_1)
	v_or3_b32 v3, v3, v9, v7
	v_trunc_f32_e32 v3, v3
	s_delay_alu instid0(VALU_DEP_1) | instskip(SKIP_1) | instid1(VALU_DEP_2)
	v_mul_f32_e64 v7, 0x2f800000, |v3|
	v_ashrrev_i32_e32 v10, 31, v3
	v_floor_f32_e32 v7, v7
	s_delay_alu instid0(VALU_DEP_2) | instskip(NEXT) | instid1(VALU_DEP_2)
	v_mov_b32_e32 v11, v10
	v_fma_f32 v9, 0xcf800000, v7, |v3|
	v_cvt_u32_f32_e32 v3, v7
	s_delay_alu instid0(VALU_DEP_2) | instskip(NEXT) | instid1(VALU_DEP_2)
	v_cvt_u32_f32_e32 v7, v9
	v_xor_b32_e32 v13, v3, v10
	s_delay_alu instid0(VALU_DEP_2) | instskip(NEXT) | instid1(VALU_DEP_1)
	v_xor_b32_e32 v12, v7, v10
	v_sub_nc_u64_e32 v[10:11], v[12:13], v[10:11]
.LBB95_2407:
	s_or_b32 exec_lo, exec_lo, s9
.LBB95_2408:
	s_mov_b32 s9, -1
.LBB95_2409:
	s_branch .LBB95_2440
.LBB95_2410:
	s_cmp_gt_i32 s7, 22
	s_cbranch_scc0 .LBB95_2418
; %bb.2411:
	s_cmp_lt_i32 s7, 24
	s_cbranch_scc1 .LBB95_2421
; %bb.2412:
	s_cmp_gt_i32 s7, 24
	s_cbranch_scc0 .LBB95_2422
; %bb.2413:
	global_load_u8 v3, v[14:15], off
	s_mov_b32 s9, exec_lo
	s_wait_loadcnt 0x0
	v_cmpx_lt_i16_e32 0x7f, v3
	s_xor_b32 s9, exec_lo, s9
	s_cbranch_execz .LBB95_2434
; %bb.2414:
	v_cmp_ne_u16_e32 vcc_lo, 0x80, v3
	s_and_b32 s10, vcc_lo, exec_lo
	s_and_not1_saveexec_b32 s9, s9
	s_cbranch_execnz .LBB95_2435
.LBB95_2415:
	s_or_b32 exec_lo, exec_lo, s9
	v_mov_b64_e32 v[10:11], 0
	s_and_saveexec_b32 s9, s10
	s_cbranch_execz .LBB95_2417
.LBB95_2416:
	v_and_b32_e32 v7, 0xffff, v3
	s_delay_alu instid0(VALU_DEP_1) | instskip(SKIP_1) | instid1(VALU_DEP_2)
	v_and_b32_e32 v9, 3, v7
	v_bfe_u32 v12, v7, 2, 5
	v_clz_i32_u32_e32 v10, v9
	s_delay_alu instid0(VALU_DEP_2) | instskip(NEXT) | instid1(VALU_DEP_2)
	v_cmp_eq_u32_e32 vcc_lo, 0, v12
	v_min_u32_e32 v10, 32, v10
	s_delay_alu instid0(VALU_DEP_1) | instskip(NEXT) | instid1(VALU_DEP_1)
	v_subrev_nc_u32_e32 v11, 29, v10
	v_dual_lshlrev_b32 v7, v11, v7 :: v_dual_sub_nc_u32 v10, 30, v10
	s_delay_alu instid0(VALU_DEP_1) | instskip(NEXT) | instid1(VALU_DEP_2)
	v_and_b32_e32 v7, 3, v7
	v_dual_cndmask_b32 v10, v12, v10 :: v_dual_lshlrev_b32 v3, 24, v3
	s_delay_alu instid0(VALU_DEP_2) | instskip(NEXT) | instid1(VALU_DEP_2)
	v_cndmask_b32_e32 v7, v9, v7, vcc_lo
	v_and_b32_e32 v3, 0x80000000, v3
	s_delay_alu instid0(VALU_DEP_3) | instskip(NEXT) | instid1(VALU_DEP_3)
	v_lshl_add_u32 v9, v10, 23, 0x37800000
	v_lshlrev_b32_e32 v7, 21, v7
	s_delay_alu instid0(VALU_DEP_1) | instskip(NEXT) | instid1(VALU_DEP_1)
	v_or3_b32 v3, v3, v9, v7
	v_trunc_f32_e32 v3, v3
	s_delay_alu instid0(VALU_DEP_1) | instskip(SKIP_1) | instid1(VALU_DEP_2)
	v_mul_f32_e64 v7, 0x2f800000, |v3|
	v_ashrrev_i32_e32 v10, 31, v3
	v_floor_f32_e32 v7, v7
	s_delay_alu instid0(VALU_DEP_2) | instskip(NEXT) | instid1(VALU_DEP_2)
	v_mov_b32_e32 v11, v10
	v_fma_f32 v9, 0xcf800000, v7, |v3|
	v_cvt_u32_f32_e32 v3, v7
	s_delay_alu instid0(VALU_DEP_2) | instskip(NEXT) | instid1(VALU_DEP_2)
	v_cvt_u32_f32_e32 v7, v9
	v_xor_b32_e32 v13, v3, v10
	s_delay_alu instid0(VALU_DEP_2) | instskip(NEXT) | instid1(VALU_DEP_1)
	v_xor_b32_e32 v12, v7, v10
	v_sub_nc_u64_e32 v[10:11], v[12:13], v[10:11]
.LBB95_2417:
	s_or_b32 exec_lo, exec_lo, s9
	s_mov_b32 s9, 0
	s_branch .LBB95_2423
.LBB95_2418:
	s_mov_b32 s10, -1
                                        ; implicit-def: $vgpr10_vgpr11
	s_branch .LBB95_2429
.LBB95_2419:
	s_and_not1_saveexec_b32 s9, s9
	s_cbranch_execz .LBB95_2405
.LBB95_2420:
	v_cmp_ne_u16_e32 vcc_lo, 0, v3
	s_and_not1_b32 s11, s11, exec_lo
	s_and_b32 s20, vcc_lo, exec_lo
	s_delay_alu instid0(SALU_CYCLE_1)
	s_or_b32 s11, s11, s20
	s_or_b32 exec_lo, exec_lo, s9
	v_mov_b64_e32 v[10:11], 0
	s_and_saveexec_b32 s9, s11
	s_cbranch_execnz .LBB95_2406
	s_branch .LBB95_2407
.LBB95_2421:
	s_mov_b32 s9, -1
                                        ; implicit-def: $vgpr10_vgpr11
	s_branch .LBB95_2426
.LBB95_2422:
	s_mov_b32 s9, -1
                                        ; implicit-def: $vgpr10_vgpr11
.LBB95_2423:
	s_delay_alu instid0(SALU_CYCLE_1)
	s_and_b32 vcc_lo, exec_lo, s9
	s_cbranch_vccz .LBB95_2425
; %bb.2424:
	global_load_u8 v3, v[14:15], off
	s_wait_loadcnt 0x0
	v_lshlrev_b32_e32 v3, 24, v3
	s_delay_alu instid0(VALU_DEP_1) | instskip(NEXT) | instid1(VALU_DEP_1)
	v_and_b32_e32 v7, 0x7f000000, v3
	v_clz_i32_u32_e32 v9, v7
	v_add_nc_u32_e32 v11, 0x1000000, v7
	v_cmp_ne_u32_e32 vcc_lo, 0, v7
	s_delay_alu instid0(VALU_DEP_3) | instskip(NEXT) | instid1(VALU_DEP_1)
	v_min_u32_e32 v9, 32, v9
	v_sub_nc_u32_e64 v9, v9, 4 clamp
	s_delay_alu instid0(VALU_DEP_1) | instskip(NEXT) | instid1(VALU_DEP_1)
	v_dual_lshlrev_b32 v10, v9, v7 :: v_dual_lshlrev_b32 v9, 23, v9
	v_lshrrev_b32_e32 v10, 4, v10
	s_delay_alu instid0(VALU_DEP_1) | instskip(NEXT) | instid1(VALU_DEP_1)
	v_dual_sub_nc_u32 v9, v10, v9 :: v_dual_ashrrev_i32 v10, 8, v11
	v_add_nc_u32_e32 v9, 0x3c000000, v9
	s_delay_alu instid0(VALU_DEP_1) | instskip(NEXT) | instid1(VALU_DEP_1)
	v_and_or_b32 v9, 0x7f800000, v10, v9
	v_cndmask_b32_e32 v7, 0, v9, vcc_lo
	s_delay_alu instid0(VALU_DEP_1) | instskip(NEXT) | instid1(VALU_DEP_1)
	v_and_or_b32 v3, 0x80000000, v3, v7
	v_trunc_f32_e32 v3, v3
	s_delay_alu instid0(VALU_DEP_1) | instskip(SKIP_1) | instid1(VALU_DEP_2)
	v_mul_f32_e64 v7, 0x2f800000, |v3|
	v_ashrrev_i32_e32 v10, 31, v3
	v_floor_f32_e32 v7, v7
	s_delay_alu instid0(VALU_DEP_1) | instskip(SKIP_1) | instid1(VALU_DEP_4)
	v_fma_f32 v9, 0xcf800000, v7, |v3|
	v_cvt_u32_f32_e32 v3, v7
	v_mov_b32_e32 v11, v10
	s_delay_alu instid0(VALU_DEP_3) | instskip(NEXT) | instid1(VALU_DEP_3)
	v_cvt_u32_f32_e32 v7, v9
	v_xor_b32_e32 v13, v3, v10
	s_delay_alu instid0(VALU_DEP_2) | instskip(NEXT) | instid1(VALU_DEP_1)
	v_xor_b32_e32 v12, v7, v10
	v_sub_nc_u64_e32 v[10:11], v[12:13], v[10:11]
.LBB95_2425:
	s_mov_b32 s9, 0
.LBB95_2426:
	s_delay_alu instid0(SALU_CYCLE_1)
	s_and_not1_b32 vcc_lo, exec_lo, s9
	s_cbranch_vccnz .LBB95_2428
; %bb.2427:
	global_load_u8 v3, v[14:15], off
	s_wait_loadcnt 0x0
	v_lshlrev_b32_e32 v7, 25, v3
	v_lshlrev_b16 v3, 8, v3
	s_delay_alu instid0(VALU_DEP_1) | instskip(SKIP_1) | instid1(VALU_DEP_2)
	v_and_or_b32 v10, 0x7f00, v3, 0.5
	v_bfe_i32 v3, v3, 0, 16
	v_dual_add_f32 v10, -0.5, v10 :: v_dual_lshrrev_b32 v9, 4, v7
	v_cmp_gt_u32_e32 vcc_lo, 0x8000000, v7
	s_delay_alu instid0(VALU_DEP_2) | instskip(NEXT) | instid1(VALU_DEP_1)
	v_or_b32_e32 v9, 0x70000000, v9
	v_mul_f32_e32 v9, 0x7800000, v9
	s_delay_alu instid0(VALU_DEP_1) | instskip(NEXT) | instid1(VALU_DEP_1)
	v_cndmask_b32_e32 v7, v9, v10, vcc_lo
	v_and_or_b32 v3, 0x80000000, v3, v7
	s_delay_alu instid0(VALU_DEP_1) | instskip(NEXT) | instid1(VALU_DEP_1)
	v_trunc_f32_e32 v3, v3
	v_mul_f32_e64 v7, 0x2f800000, |v3|
	v_ashrrev_i32_e32 v10, 31, v3
	s_delay_alu instid0(VALU_DEP_2) | instskip(NEXT) | instid1(VALU_DEP_2)
	v_floor_f32_e32 v7, v7
	v_mov_b32_e32 v11, v10
	s_delay_alu instid0(VALU_DEP_2) | instskip(SKIP_1) | instid1(VALU_DEP_2)
	v_fma_f32 v9, 0xcf800000, v7, |v3|
	v_cvt_u32_f32_e32 v3, v7
	v_cvt_u32_f32_e32 v7, v9
	s_delay_alu instid0(VALU_DEP_2) | instskip(NEXT) | instid1(VALU_DEP_2)
	v_xor_b32_e32 v13, v3, v10
	v_xor_b32_e32 v12, v7, v10
	s_delay_alu instid0(VALU_DEP_1)
	v_sub_nc_u64_e32 v[10:11], v[12:13], v[10:11]
.LBB95_2428:
	s_mov_b32 s10, 0
	s_mov_b32 s9, -1
.LBB95_2429:
	s_and_not1_b32 vcc_lo, exec_lo, s10
	s_mov_b32 s10, 0
	s_cbranch_vccnz .LBB95_2440
; %bb.2430:
	s_cmp_gt_i32 s7, 14
	s_cbranch_scc0 .LBB95_2433
; %bb.2431:
	s_cmp_eq_u32 s7, 15
	s_cbranch_scc0 .LBB95_2436
; %bb.2432:
	global_load_u16 v3, v[14:15], off
	s_mov_b32 s8, 0
	s_mov_b32 s9, -1
	s_wait_loadcnt 0x0
	v_lshlrev_b32_e32 v3, 16, v3
	s_delay_alu instid0(VALU_DEP_1) | instskip(NEXT) | instid1(VALU_DEP_1)
	v_trunc_f32_e32 v3, v3
	v_mul_f32_e64 v7, 0x2f800000, |v3|
	v_ashrrev_i32_e32 v10, 31, v3
	s_delay_alu instid0(VALU_DEP_2) | instskip(NEXT) | instid1(VALU_DEP_2)
	v_floor_f32_e32 v7, v7
	v_mov_b32_e32 v11, v10
	s_delay_alu instid0(VALU_DEP_2) | instskip(SKIP_1) | instid1(VALU_DEP_2)
	v_fma_f32 v9, 0xcf800000, v7, |v3|
	v_cvt_u32_f32_e32 v3, v7
	v_cvt_u32_f32_e32 v7, v9
	s_delay_alu instid0(VALU_DEP_2) | instskip(NEXT) | instid1(VALU_DEP_2)
	v_xor_b32_e32 v13, v3, v10
	v_xor_b32_e32 v12, v7, v10
	s_delay_alu instid0(VALU_DEP_1)
	v_sub_nc_u64_e32 v[10:11], v[12:13], v[10:11]
	s_branch .LBB95_2438
.LBB95_2433:
	s_mov_b32 s10, -1
	s_branch .LBB95_2437
.LBB95_2434:
	s_and_not1_saveexec_b32 s9, s9
	s_cbranch_execz .LBB95_2415
.LBB95_2435:
	v_cmp_ne_u16_e32 vcc_lo, 0, v3
	s_and_not1_b32 s10, s10, exec_lo
	s_and_b32 s11, vcc_lo, exec_lo
	s_delay_alu instid0(SALU_CYCLE_1)
	s_or_b32 s10, s10, s11
	s_or_b32 exec_lo, exec_lo, s9
	v_mov_b64_e32 v[10:11], 0
	s_and_saveexec_b32 s9, s10
	s_cbranch_execnz .LBB95_2416
	s_branch .LBB95_2417
.LBB95_2436:
	s_mov_b32 s8, -1
.LBB95_2437:
                                        ; implicit-def: $vgpr10_vgpr11
.LBB95_2438:
	s_and_b32 vcc_lo, exec_lo, s10
	s_mov_b32 s10, 0
	s_cbranch_vccz .LBB95_2440
; %bb.2439:
	s_cmp_lg_u32 s7, 11
	s_mov_b32 s10, -1
	s_cselect_b32 s7, -1, 0
	s_and_not1_b32 s8, s8, exec_lo
	s_and_b32 s7, s7, exec_lo
	s_delay_alu instid0(SALU_CYCLE_1)
	s_or_b32 s8, s8, s7
.LBB95_2440:
	s_mov_b32 s7, 0
.LBB95_2441:
	s_delay_alu instid0(SALU_CYCLE_1)
	s_and_b32 s20, s7, exec_lo
	s_and_not1_b32 s7, s84, exec_lo
	s_and_b32 s11, s8, exec_lo
	s_and_b32 s9, s9, exec_lo
	;; [unrolled: 1-line block ×3, first 2 shown]
	s_or_b32 s84, s7, s11
	s_wait_xcnt 0x0
	s_or_b32 exec_lo, exec_lo, s6
	s_and_saveexec_b32 s6, s84
	s_cbranch_execz .LBB95_2374
.LBB95_2442:
	s_or_b32 s1, s1, exec_lo
	s_and_not1_b32 s8, s8, exec_lo
	s_trap 2
	s_or_b32 exec_lo, exec_lo, s6
	s_and_saveexec_b32 s6, s8
	s_delay_alu instid0(SALU_CYCLE_1)
	s_xor_b32 s6, exec_lo, s6
	s_cbranch_execnz .LBB95_2375
.LBB95_2443:
	s_or_b32 exec_lo, exec_lo, s6
	s_and_saveexec_b32 s6, s20
	s_cbranch_execz .LBB95_2489
.LBB95_2444:
	s_sext_i32_i16 s7, s0
	s_delay_alu instid0(SALU_CYCLE_1)
	s_cmp_lt_i32 s7, 5
	s_cbranch_scc1 .LBB95_2449
; %bb.2445:
	s_cmp_lt_i32 s7, 8
	s_cbranch_scc1 .LBB95_2450
; %bb.2446:
	;; [unrolled: 3-line block ×3, first 2 shown]
	s_cmp_gt_i32 s7, 9
	s_cbranch_scc0 .LBB95_2452
; %bb.2448:
	s_wait_loadcnt 0x0
	global_load_b64 v[10:11], v[14:15], off
	s_mov_b32 s7, 0
	s_wait_loadcnt 0x0
	v_trunc_f64_e32 v[10:11], v[10:11]
	s_delay_alu instid0(VALU_DEP_1) | instskip(NEXT) | instid1(VALU_DEP_1)
	v_ldexp_f64 v[12:13], v[10:11], 0xffffffe0
	v_floor_f64_e32 v[12:13], v[12:13]
	s_delay_alu instid0(VALU_DEP_1) | instskip(SKIP_1) | instid1(VALU_DEP_2)
	v_fmamk_f64 v[16:17], v[12:13], 0xc1f00000, v[10:11]
	v_cvt_i32_f64_e32 v11, v[12:13]
	v_cvt_u32_f64_e32 v10, v[16:17]
	s_branch .LBB95_2453
.LBB95_2449:
                                        ; implicit-def: $vgpr10_vgpr11
	s_branch .LBB95_2470
.LBB95_2450:
                                        ; implicit-def: $vgpr10_vgpr11
	s_branch .LBB95_2459
.LBB95_2451:
	s_mov_b32 s7, -1
                                        ; implicit-def: $vgpr10_vgpr11
	s_branch .LBB95_2456
.LBB95_2452:
	s_mov_b32 s7, -1
                                        ; implicit-def: $vgpr10_vgpr11
.LBB95_2453:
	s_delay_alu instid0(SALU_CYCLE_1)
	s_and_not1_b32 vcc_lo, exec_lo, s7
	s_cbranch_vccnz .LBB95_2455
; %bb.2454:
	s_wait_loadcnt 0x0
	global_load_b32 v3, v[14:15], off
	s_wait_loadcnt 0x0
	v_trunc_f32_e32 v3, v3
	s_delay_alu instid0(VALU_DEP_1) | instskip(SKIP_1) | instid1(VALU_DEP_2)
	v_mul_f32_e64 v7, 0x2f800000, |v3|
	v_ashrrev_i32_e32 v10, 31, v3
	v_floor_f32_e32 v7, v7
	s_delay_alu instid0(VALU_DEP_1) | instskip(SKIP_1) | instid1(VALU_DEP_4)
	v_fma_f32 v9, 0xcf800000, v7, |v3|
	v_cvt_u32_f32_e32 v3, v7
	v_mov_b32_e32 v11, v10
	s_delay_alu instid0(VALU_DEP_3) | instskip(NEXT) | instid1(VALU_DEP_3)
	v_cvt_u32_f32_e32 v7, v9
	v_xor_b32_e32 v13, v3, v10
	s_delay_alu instid0(VALU_DEP_2) | instskip(NEXT) | instid1(VALU_DEP_1)
	v_xor_b32_e32 v12, v7, v10
	v_sub_nc_u64_e32 v[10:11], v[12:13], v[10:11]
.LBB95_2455:
	s_mov_b32 s7, 0
.LBB95_2456:
	s_delay_alu instid0(SALU_CYCLE_1)
	s_and_not1_b32 vcc_lo, exec_lo, s7
	s_cbranch_vccnz .LBB95_2458
; %bb.2457:
	s_wait_loadcnt 0x0
	global_load_b32 v3, v[14:15], off
	s_wait_loadcnt 0x0
	v_cvt_f32_f16_e32 v3, v3
	s_delay_alu instid0(VALU_DEP_1) | instskip(NEXT) | instid1(VALU_DEP_1)
	v_cvt_i32_f32_e32 v10, v3
	v_ashrrev_i32_e32 v11, 31, v10
.LBB95_2458:
	s_cbranch_execnz .LBB95_2469
.LBB95_2459:
	s_sext_i32_i16 s7, s0
	s_delay_alu instid0(SALU_CYCLE_1)
	s_cmp_lt_i32 s7, 6
	s_cbranch_scc1 .LBB95_2462
; %bb.2460:
	s_cmp_gt_i32 s7, 6
	s_cbranch_scc0 .LBB95_2463
; %bb.2461:
	s_wait_loadcnt 0x0
	global_load_b64 v[10:11], v[14:15], off
	s_mov_b32 s7, 0
	s_wait_loadcnt 0x0
	v_trunc_f64_e32 v[10:11], v[10:11]
	s_delay_alu instid0(VALU_DEP_1) | instskip(NEXT) | instid1(VALU_DEP_1)
	v_ldexp_f64 v[12:13], v[10:11], 0xffffffe0
	v_floor_f64_e32 v[12:13], v[12:13]
	s_delay_alu instid0(VALU_DEP_1) | instskip(SKIP_1) | instid1(VALU_DEP_2)
	v_fmamk_f64 v[16:17], v[12:13], 0xc1f00000, v[10:11]
	v_cvt_i32_f64_e32 v11, v[12:13]
	v_cvt_u32_f64_e32 v10, v[16:17]
	s_branch .LBB95_2464
.LBB95_2462:
	s_mov_b32 s7, -1
                                        ; implicit-def: $vgpr10_vgpr11
	s_branch .LBB95_2467
.LBB95_2463:
	s_mov_b32 s7, -1
                                        ; implicit-def: $vgpr10_vgpr11
.LBB95_2464:
	s_delay_alu instid0(SALU_CYCLE_1)
	s_and_not1_b32 vcc_lo, exec_lo, s7
	s_cbranch_vccnz .LBB95_2466
; %bb.2465:
	s_wait_loadcnt 0x0
	global_load_b32 v3, v[14:15], off
	s_wait_loadcnt 0x0
	v_trunc_f32_e32 v3, v3
	s_delay_alu instid0(VALU_DEP_1) | instskip(SKIP_1) | instid1(VALU_DEP_2)
	v_mul_f32_e64 v7, 0x2f800000, |v3|
	v_ashrrev_i32_e32 v10, 31, v3
	v_floor_f32_e32 v7, v7
	s_delay_alu instid0(VALU_DEP_1) | instskip(SKIP_1) | instid1(VALU_DEP_4)
	v_fma_f32 v9, 0xcf800000, v7, |v3|
	v_cvt_u32_f32_e32 v3, v7
	v_mov_b32_e32 v11, v10
	s_delay_alu instid0(VALU_DEP_3) | instskip(NEXT) | instid1(VALU_DEP_3)
	v_cvt_u32_f32_e32 v7, v9
	v_xor_b32_e32 v13, v3, v10
	s_delay_alu instid0(VALU_DEP_2) | instskip(NEXT) | instid1(VALU_DEP_1)
	v_xor_b32_e32 v12, v7, v10
	v_sub_nc_u64_e32 v[10:11], v[12:13], v[10:11]
.LBB95_2466:
	s_mov_b32 s7, 0
.LBB95_2467:
	s_delay_alu instid0(SALU_CYCLE_1)
	s_and_not1_b32 vcc_lo, exec_lo, s7
	s_cbranch_vccnz .LBB95_2469
; %bb.2468:
	s_wait_loadcnt 0x0
	global_load_u16 v3, v[14:15], off
	s_wait_loadcnt 0x0
	v_cvt_f32_f16_e32 v3, v3
	s_delay_alu instid0(VALU_DEP_1) | instskip(NEXT) | instid1(VALU_DEP_1)
	v_cvt_i32_f32_e32 v10, v3
	v_ashrrev_i32_e32 v11, 31, v10
.LBB95_2469:
	s_cbranch_execnz .LBB95_2488
.LBB95_2470:
	s_sext_i32_i16 s7, s0
	s_delay_alu instid0(SALU_CYCLE_1)
	s_cmp_lt_i32 s7, 2
	s_cbranch_scc1 .LBB95_2474
; %bb.2471:
	s_cmp_lt_i32 s7, 3
	s_cbranch_scc1 .LBB95_2475
; %bb.2472:
	s_cmp_gt_i32 s7, 3
	s_cbranch_scc0 .LBB95_2476
; %bb.2473:
	s_wait_loadcnt 0x0
	global_load_b64 v[10:11], v[14:15], off
	s_mov_b32 s7, 0
	s_branch .LBB95_2477
.LBB95_2474:
                                        ; implicit-def: $vgpr10_vgpr11
	s_branch .LBB95_2483
.LBB95_2475:
	s_mov_b32 s7, -1
                                        ; implicit-def: $vgpr10_vgpr11
	s_branch .LBB95_2480
.LBB95_2476:
	s_mov_b32 s7, -1
                                        ; implicit-def: $vgpr10_vgpr11
.LBB95_2477:
	s_delay_alu instid0(SALU_CYCLE_1)
	s_and_not1_b32 vcc_lo, exec_lo, s7
	s_cbranch_vccnz .LBB95_2479
; %bb.2478:
	s_wait_loadcnt 0x0
	global_load_b32 v10, v[14:15], off
	s_wait_loadcnt 0x0
	v_ashrrev_i32_e32 v11, 31, v10
.LBB95_2479:
	s_mov_b32 s7, 0
.LBB95_2480:
	s_delay_alu instid0(SALU_CYCLE_1)
	s_and_not1_b32 vcc_lo, exec_lo, s7
	s_cbranch_vccnz .LBB95_2482
; %bb.2481:
	s_wait_loadcnt 0x0
	global_load_u16 v3, v[14:15], off
	s_wait_loadcnt 0x0
	v_bfe_i32 v10, v3, 0, 16
	s_delay_alu instid0(VALU_DEP_1)
	v_ashrrev_i32_e32 v11, 31, v10
.LBB95_2482:
	s_cbranch_execnz .LBB95_2488
.LBB95_2483:
	s_sext_i32_i16 s0, s0
	s_delay_alu instid0(SALU_CYCLE_1)
	s_cmp_gt_i32 s0, 0
	s_mov_b32 s0, 0
	s_cbranch_scc0 .LBB95_2485
; %bb.2484:
	s_wait_loadcnt 0x0
	global_load_i8 v3, v[14:15], off
	s_wait_loadcnt 0x0
	v_bfe_i32 v10, v3, 0, 16
	s_delay_alu instid0(VALU_DEP_1)
	v_ashrrev_i32_e32 v11, 31, v10
	s_branch .LBB95_2486
.LBB95_2485:
	s_mov_b32 s0, -1
                                        ; implicit-def: $vgpr10_vgpr11
.LBB95_2486:
	s_delay_alu instid0(SALU_CYCLE_1)
	s_and_not1_b32 vcc_lo, exec_lo, s0
	s_cbranch_vccnz .LBB95_2488
; %bb.2487:
	s_wait_loadcnt 0x0
	global_load_u8 v3, v[14:15], off
	s_mov_b32 s0, 0
	s_delay_alu instid0(SALU_CYCLE_1)
	v_mov_b32_e32 v11, s0
	s_wait_loadcnt 0x0
	v_and_b32_e32 v10, 0xffff, v3
.LBB95_2488:
	s_or_b32 s9, s9, exec_lo
.LBB95_2489:
	s_wait_xcnt 0x0
	s_or_b32 exec_lo, exec_lo, s6
	s_mov_b32 s8, 0
	s_mov_b32 s10, 0
	;; [unrolled: 1-line block ×3, first 2 shown]
                                        ; implicit-def: $sgpr0
                                        ; implicit-def: $vgpr14_vgpr15
                                        ; implicit-def: $vgpr12_vgpr13
	s_and_saveexec_b32 s6, s9
	s_cbranch_execz .LBB95_2497
; %bb.2490:
	s_load_b512 s[8:23], s[2:3], 0x248
	s_wait_loadcnt 0x0
	v_mov_b32_e32 v9, 0
	s_and_b32 s0, s75, 0xff
	s_delay_alu instid0(SALU_CYCLE_1) | instskip(SKIP_1) | instid1(VALU_DEP_1)
	s_cmp_lt_i32 s0, 11
	s_wait_kmcnt 0x0
	v_add_nc_u64_e32 v[14:15], s[16:17], v[8:9]
	s_cbranch_scc1 .LBB95_2500
; %bb.2491:
	s_and_b32 s7, 0xffff, s0
	s_mov_b32 s9, 0
	s_cmp_gt_i32 s7, 25
	s_cbranch_scc0 .LBB95_2501
; %bb.2492:
	s_cmp_gt_i32 s7, 28
	s_cbranch_scc0 .LBB95_2502
; %bb.2493:
	;; [unrolled: 3-line block ×4, first 2 shown]
	s_cmp_eq_u32 s7, 46
	s_mov_b32 s11, 0
	s_cbranch_scc0 .LBB95_2505
; %bb.2496:
	global_load_b32 v3, v[14:15], off
	s_mov_b32 s8, 0
	s_mov_b32 s10, -1
	s_wait_loadcnt 0x0
	v_lshlrev_b32_e32 v3, 16, v3
	s_delay_alu instid0(VALU_DEP_1) | instskip(NEXT) | instid1(VALU_DEP_1)
	v_trunc_f32_e32 v3, v3
	v_mul_f32_e64 v7, 0x2f800000, |v3|
	v_ashrrev_i32_e32 v8, 31, v3
	s_delay_alu instid0(VALU_DEP_2) | instskip(NEXT) | instid1(VALU_DEP_1)
	v_floor_f32_e32 v7, v7
	v_fma_f32 v9, 0xcf800000, v7, |v3|
	v_cvt_u32_f32_e32 v3, v7
	s_delay_alu instid0(VALU_DEP_2) | instskip(NEXT) | instid1(VALU_DEP_2)
	v_cvt_u32_f32_e32 v7, v9
	v_dual_mov_b32 v9, v8 :: v_dual_bitop2_b32 v13, v3, v8 bitop3:0x14
	s_delay_alu instid0(VALU_DEP_2) | instskip(NEXT) | instid1(VALU_DEP_1)
	v_xor_b32_e32 v12, v7, v8
	v_sub_nc_u64_e32 v[12:13], v[12:13], v[8:9]
	s_branch .LBB95_2507
.LBB95_2497:
	s_or_b32 exec_lo, exec_lo, s6
	s_and_saveexec_b32 s6, s83
	s_cbranch_execnz .LBB95_2566
.LBB95_2498:
	s_or_b32 exec_lo, exec_lo, s6
	s_and_saveexec_b32 s6, s8
	s_delay_alu instid0(SALU_CYCLE_1)
	s_xor_b32 s6, exec_lo, s6
	s_cbranch_execz .LBB95_2567
.LBB95_2499:
	s_wait_loadcnt 0x0
	global_load_u8 v3, v[14:15], off
	s_mov_b32 s8, 0
	s_or_b32 s7, s7, exec_lo
	v_mov_b32_e32 v13, s8
	s_wait_loadcnt 0x0
	v_cmp_ne_u16_e32 vcc_lo, 0, v3
	v_cndmask_b32_e64 v12, 0, 1, vcc_lo
	s_wait_xcnt 0x0
	s_or_b32 exec_lo, exec_lo, s6
	s_and_saveexec_b32 s6, s10
	s_cbranch_execz .LBB95_2613
	s_branch .LBB95_2568
.LBB95_2500:
	s_mov_b32 s11, -1
	s_mov_b32 s10, 0
	s_mov_b32 s9, 0
	;; [unrolled: 1-line block ×3, first 2 shown]
                                        ; implicit-def: $vgpr12_vgpr13
	s_branch .LBB95_2565
.LBB95_2501:
	s_mov_b32 s10, 0
	s_mov_b32 s8, s83
                                        ; implicit-def: $vgpr12_vgpr13
	s_cbranch_execnz .LBB95_2534
	s_branch .LBB95_2564
.LBB95_2502:
	s_mov_b32 s11, -1
	s_mov_b32 s10, 0
	s_mov_b32 s8, s83
                                        ; implicit-def: $vgpr12_vgpr13
	s_branch .LBB95_2517
.LBB95_2503:
	s_mov_b32 s11, -1
	s_mov_b32 s10, 0
	s_mov_b32 s8, s83
                                        ; implicit-def: $vgpr12_vgpr13
	s_branch .LBB95_2512
.LBB95_2504:
	s_mov_b32 s11, -1
	s_mov_b32 s10, 0
	s_mov_b32 s8, s83
	s_branch .LBB95_2506
.LBB95_2505:
	s_mov_b32 s8, -1
	s_mov_b32 s10, 0
.LBB95_2506:
                                        ; implicit-def: $vgpr12_vgpr13
.LBB95_2507:
	s_and_b32 vcc_lo, exec_lo, s11
	s_cbranch_vccz .LBB95_2511
; %bb.2508:
	s_cmp_eq_u32 s7, 44
	s_cbranch_scc0 .LBB95_2510
; %bb.2509:
	global_load_u8 v3, v[14:15], off
	s_mov_b32 s8, 0
	s_mov_b32 s10, -1
	s_wait_loadcnt 0x0
	v_lshlrev_b32_e32 v7, 23, v3
	v_cmp_ne_u32_e32 vcc_lo, 0, v3
	s_delay_alu instid0(VALU_DEP_2) | instskip(NEXT) | instid1(VALU_DEP_1)
	v_trunc_f32_e32 v7, v7
	v_mul_f32_e64 v8, 0x2f800000, |v7|
	s_delay_alu instid0(VALU_DEP_1) | instskip(SKIP_1) | instid1(VALU_DEP_2)
	v_floor_f32_e32 v9, v8
	v_ashrrev_i32_e32 v8, 31, v7
	v_fma_f32 v12, 0xcf800000, v9, |v7|
	v_cvt_u32_f32_e32 v7, v9
	s_delay_alu instid0(VALU_DEP_3) | instskip(NEXT) | instid1(VALU_DEP_3)
	v_mov_b32_e32 v9, v8
	v_cvt_u32_f32_e32 v12, v12
	s_delay_alu instid0(VALU_DEP_3) | instskip(NEXT) | instid1(VALU_DEP_2)
	v_xor_b32_e32 v13, v7, v8
	v_xor_b32_e32 v12, v12, v8
	s_delay_alu instid0(VALU_DEP_1) | instskip(NEXT) | instid1(VALU_DEP_1)
	v_sub_nc_u64_e32 v[8:9], v[12:13], v[8:9]
	v_dual_cndmask_b32 v13, 0, v9 :: v_dual_cndmask_b32 v12, 0, v8
	s_branch .LBB95_2511
.LBB95_2510:
	s_mov_b32 s8, -1
                                        ; implicit-def: $vgpr12_vgpr13
.LBB95_2511:
	s_mov_b32 s11, 0
.LBB95_2512:
	s_delay_alu instid0(SALU_CYCLE_1)
	s_and_b32 vcc_lo, exec_lo, s11
	s_cbranch_vccz .LBB95_2516
; %bb.2513:
	s_cmp_eq_u32 s7, 29
	s_cbranch_scc0 .LBB95_2515
; %bb.2514:
	global_load_b64 v[12:13], v[14:15], off
	s_mov_b32 s8, 0
	s_mov_b32 s10, -1
	s_branch .LBB95_2516
.LBB95_2515:
	s_mov_b32 s8, -1
                                        ; implicit-def: $vgpr12_vgpr13
.LBB95_2516:
	s_mov_b32 s11, 0
.LBB95_2517:
	s_delay_alu instid0(SALU_CYCLE_1)
	s_and_b32 vcc_lo, exec_lo, s11
	s_cbranch_vccz .LBB95_2533
; %bb.2518:
	s_cmp_lt_i32 s7, 27
	s_cbranch_scc1 .LBB95_2521
; %bb.2519:
	s_cmp_gt_i32 s7, 27
	s_cbranch_scc0 .LBB95_2522
; %bb.2520:
	s_wait_loadcnt 0x0
	global_load_b32 v12, v[14:15], off
	v_mov_b32_e32 v13, 0
	s_mov_b32 s10, 0
	s_branch .LBB95_2523
.LBB95_2521:
	s_mov_b32 s10, -1
                                        ; implicit-def: $vgpr12_vgpr13
	s_branch .LBB95_2526
.LBB95_2522:
	s_mov_b32 s10, -1
                                        ; implicit-def: $vgpr12_vgpr13
.LBB95_2523:
	s_delay_alu instid0(SALU_CYCLE_1)
	s_and_not1_b32 vcc_lo, exec_lo, s10
	s_cbranch_vccnz .LBB95_2525
; %bb.2524:
	global_load_u16 v3, v[14:15], off
	s_mov_b32 s10, 0
	s_wait_loadcnt 0x1
	v_mov_b32_e32 v13, s10
	s_wait_loadcnt 0x0
	v_and_b32_e32 v12, 0xffff, v3
.LBB95_2525:
	s_mov_b32 s10, 0
.LBB95_2526:
	s_delay_alu instid0(SALU_CYCLE_1)
	s_and_not1_b32 vcc_lo, exec_lo, s10
	s_cbranch_vccnz .LBB95_2532
; %bb.2527:
	global_load_u8 v3, v[14:15], off
	s_mov_b32 s11, 0
	s_mov_b32 s10, exec_lo
	s_wait_loadcnt 0x0
	v_cmpx_lt_i16_e32 0x7f, v3
	s_xor_b32 s10, exec_lo, s10
	s_cbranch_execz .LBB95_2543
; %bb.2528:
	v_cmp_ne_u16_e32 vcc_lo, 0x80, v3
	s_and_b32 s11, vcc_lo, exec_lo
	s_and_not1_saveexec_b32 s10, s10
	s_cbranch_execnz .LBB95_2544
.LBB95_2529:
	s_or_b32 exec_lo, exec_lo, s10
	v_mov_b64_e32 v[12:13], 0
	s_and_saveexec_b32 s10, s11
	s_cbranch_execz .LBB95_2531
.LBB95_2530:
	v_and_b32_e32 v7, 0xffff, v3
	s_delay_alu instid0(VALU_DEP_1) | instskip(SKIP_1) | instid1(VALU_DEP_2)
	v_and_b32_e32 v8, 7, v7
	v_bfe_u32 v13, v7, 3, 4
	v_clz_i32_u32_e32 v9, v8
	s_delay_alu instid0(VALU_DEP_2) | instskip(NEXT) | instid1(VALU_DEP_2)
	v_cmp_eq_u32_e32 vcc_lo, 0, v13
	v_min_u32_e32 v9, 32, v9
	s_delay_alu instid0(VALU_DEP_1) | instskip(NEXT) | instid1(VALU_DEP_1)
	v_subrev_nc_u32_e32 v12, 28, v9
	v_dual_lshlrev_b32 v7, v12, v7 :: v_dual_sub_nc_u32 v9, 29, v9
	s_delay_alu instid0(VALU_DEP_1) | instskip(NEXT) | instid1(VALU_DEP_2)
	v_and_b32_e32 v7, 7, v7
	v_dual_lshlrev_b32 v3, 24, v3 :: v_dual_cndmask_b32 v9, v13, v9, vcc_lo
	s_delay_alu instid0(VALU_DEP_2) | instskip(NEXT) | instid1(VALU_DEP_2)
	v_cndmask_b32_e32 v7, v8, v7, vcc_lo
	v_and_b32_e32 v3, 0x80000000, v3
	s_delay_alu instid0(VALU_DEP_3) | instskip(NEXT) | instid1(VALU_DEP_3)
	v_lshl_add_u32 v8, v9, 23, 0x3b800000
	v_lshlrev_b32_e32 v7, 20, v7
	s_delay_alu instid0(VALU_DEP_1) | instskip(NEXT) | instid1(VALU_DEP_1)
	v_or3_b32 v3, v3, v8, v7
	v_trunc_f32_e32 v3, v3
	s_delay_alu instid0(VALU_DEP_1) | instskip(SKIP_1) | instid1(VALU_DEP_2)
	v_mul_f32_e64 v7, 0x2f800000, |v3|
	v_ashrrev_i32_e32 v8, 31, v3
	v_floor_f32_e32 v7, v7
	s_delay_alu instid0(VALU_DEP_1) | instskip(SKIP_1) | instid1(VALU_DEP_2)
	v_fma_f32 v9, 0xcf800000, v7, |v3|
	v_cvt_u32_f32_e32 v3, v7
	v_cvt_u32_f32_e32 v7, v9
	s_delay_alu instid0(VALU_DEP_2) | instskip(NEXT) | instid1(VALU_DEP_2)
	v_dual_mov_b32 v9, v8 :: v_dual_bitop2_b32 v13, v3, v8 bitop3:0x14
	v_xor_b32_e32 v12, v7, v8
	s_delay_alu instid0(VALU_DEP_1)
	v_sub_nc_u64_e32 v[12:13], v[12:13], v[8:9]
.LBB95_2531:
	s_or_b32 exec_lo, exec_lo, s10
.LBB95_2532:
	s_mov_b32 s10, -1
.LBB95_2533:
	s_branch .LBB95_2564
.LBB95_2534:
	s_cmp_gt_i32 s7, 22
	s_cbranch_scc0 .LBB95_2542
; %bb.2535:
	s_cmp_lt_i32 s7, 24
	s_cbranch_scc1 .LBB95_2545
; %bb.2536:
	s_cmp_gt_i32 s7, 24
	s_cbranch_scc0 .LBB95_2546
; %bb.2537:
	global_load_u8 v3, v[14:15], off
	s_mov_b32 s10, 0
	s_mov_b32 s9, exec_lo
	s_wait_loadcnt 0x0
	v_cmpx_lt_i16_e32 0x7f, v3
	s_xor_b32 s9, exec_lo, s9
	s_cbranch_execz .LBB95_2558
; %bb.2538:
	v_cmp_ne_u16_e32 vcc_lo, 0x80, v3
	s_and_b32 s10, vcc_lo, exec_lo
	s_and_not1_saveexec_b32 s9, s9
	s_cbranch_execnz .LBB95_2559
.LBB95_2539:
	s_or_b32 exec_lo, exec_lo, s9
	v_mov_b64_e32 v[12:13], 0
	s_and_saveexec_b32 s9, s10
	s_cbranch_execz .LBB95_2541
.LBB95_2540:
	v_and_b32_e32 v7, 0xffff, v3
	s_delay_alu instid0(VALU_DEP_1) | instskip(SKIP_1) | instid1(VALU_DEP_2)
	v_and_b32_e32 v8, 3, v7
	v_bfe_u32 v13, v7, 2, 5
	v_clz_i32_u32_e32 v9, v8
	s_delay_alu instid0(VALU_DEP_2) | instskip(NEXT) | instid1(VALU_DEP_2)
	v_cmp_eq_u32_e32 vcc_lo, 0, v13
	v_min_u32_e32 v9, 32, v9
	s_delay_alu instid0(VALU_DEP_1) | instskip(NEXT) | instid1(VALU_DEP_1)
	v_subrev_nc_u32_e32 v12, 29, v9
	v_dual_lshlrev_b32 v7, v12, v7 :: v_dual_sub_nc_u32 v9, 30, v9
	s_delay_alu instid0(VALU_DEP_1) | instskip(NEXT) | instid1(VALU_DEP_2)
	v_and_b32_e32 v7, 3, v7
	v_dual_lshlrev_b32 v3, 24, v3 :: v_dual_cndmask_b32 v9, v13, v9, vcc_lo
	s_delay_alu instid0(VALU_DEP_2) | instskip(NEXT) | instid1(VALU_DEP_2)
	v_cndmask_b32_e32 v7, v8, v7, vcc_lo
	v_and_b32_e32 v3, 0x80000000, v3
	s_delay_alu instid0(VALU_DEP_3) | instskip(NEXT) | instid1(VALU_DEP_3)
	v_lshl_add_u32 v8, v9, 23, 0x37800000
	v_lshlrev_b32_e32 v7, 21, v7
	s_delay_alu instid0(VALU_DEP_1) | instskip(NEXT) | instid1(VALU_DEP_1)
	v_or3_b32 v3, v3, v8, v7
	v_trunc_f32_e32 v3, v3
	s_delay_alu instid0(VALU_DEP_1) | instskip(SKIP_1) | instid1(VALU_DEP_2)
	v_mul_f32_e64 v7, 0x2f800000, |v3|
	v_ashrrev_i32_e32 v8, 31, v3
	v_floor_f32_e32 v7, v7
	s_delay_alu instid0(VALU_DEP_1) | instskip(SKIP_1) | instid1(VALU_DEP_2)
	v_fma_f32 v9, 0xcf800000, v7, |v3|
	v_cvt_u32_f32_e32 v3, v7
	v_cvt_u32_f32_e32 v7, v9
	s_delay_alu instid0(VALU_DEP_2) | instskip(NEXT) | instid1(VALU_DEP_2)
	v_dual_mov_b32 v9, v8 :: v_dual_bitop2_b32 v13, v3, v8 bitop3:0x14
	v_xor_b32_e32 v12, v7, v8
	s_delay_alu instid0(VALU_DEP_1)
	v_sub_nc_u64_e32 v[12:13], v[12:13], v[8:9]
.LBB95_2541:
	s_or_b32 exec_lo, exec_lo, s9
	s_mov_b32 s9, 0
	s_branch .LBB95_2547
.LBB95_2542:
	s_mov_b32 s9, -1
                                        ; implicit-def: $vgpr12_vgpr13
	s_branch .LBB95_2553
.LBB95_2543:
	s_and_not1_saveexec_b32 s10, s10
	s_cbranch_execz .LBB95_2529
.LBB95_2544:
	v_cmp_ne_u16_e32 vcc_lo, 0, v3
	s_and_not1_b32 s11, s11, exec_lo
	s_and_b32 s12, vcc_lo, exec_lo
	s_delay_alu instid0(SALU_CYCLE_1)
	s_or_b32 s11, s11, s12
	s_or_b32 exec_lo, exec_lo, s10
	v_mov_b64_e32 v[12:13], 0
	s_and_saveexec_b32 s10, s11
	s_cbranch_execnz .LBB95_2530
	s_branch .LBB95_2531
.LBB95_2545:
	s_mov_b32 s9, -1
                                        ; implicit-def: $vgpr12_vgpr13
	s_branch .LBB95_2550
.LBB95_2546:
	s_mov_b32 s9, -1
                                        ; implicit-def: $vgpr12_vgpr13
.LBB95_2547:
	s_delay_alu instid0(SALU_CYCLE_1)
	s_and_b32 vcc_lo, exec_lo, s9
	s_cbranch_vccz .LBB95_2549
; %bb.2548:
	global_load_u8 v3, v[14:15], off
	s_wait_loadcnt 0x0
	v_lshlrev_b32_e32 v3, 24, v3
	s_delay_alu instid0(VALU_DEP_1) | instskip(NEXT) | instid1(VALU_DEP_1)
	v_and_b32_e32 v7, 0x7f000000, v3
	v_clz_i32_u32_e32 v8, v7
	v_cmp_ne_u32_e32 vcc_lo, 0, v7
	v_add_nc_u32_e32 v12, 0x1000000, v7
	s_delay_alu instid0(VALU_DEP_3) | instskip(NEXT) | instid1(VALU_DEP_1)
	v_min_u32_e32 v8, 32, v8
	v_sub_nc_u32_e64 v8, v8, 4 clamp
	s_delay_alu instid0(VALU_DEP_1) | instskip(NEXT) | instid1(VALU_DEP_1)
	v_dual_lshlrev_b32 v9, v8, v7 :: v_dual_lshlrev_b32 v8, 23, v8
	v_lshrrev_b32_e32 v9, 4, v9
	s_delay_alu instid0(VALU_DEP_1) | instskip(SKIP_1) | instid1(VALU_DEP_2)
	v_sub_nc_u32_e32 v8, v9, v8
	v_ashrrev_i32_e32 v9, 8, v12
	v_add_nc_u32_e32 v8, 0x3c000000, v8
	s_delay_alu instid0(VALU_DEP_1) | instskip(NEXT) | instid1(VALU_DEP_1)
	v_and_or_b32 v8, 0x7f800000, v9, v8
	v_cndmask_b32_e32 v7, 0, v8, vcc_lo
	s_delay_alu instid0(VALU_DEP_1) | instskip(NEXT) | instid1(VALU_DEP_1)
	v_and_or_b32 v3, 0x80000000, v3, v7
	v_trunc_f32_e32 v3, v3
	s_delay_alu instid0(VALU_DEP_1) | instskip(SKIP_1) | instid1(VALU_DEP_2)
	v_mul_f32_e64 v7, 0x2f800000, |v3|
	v_ashrrev_i32_e32 v8, 31, v3
	v_floor_f32_e32 v7, v7
	s_delay_alu instid0(VALU_DEP_1) | instskip(SKIP_1) | instid1(VALU_DEP_2)
	v_fma_f32 v9, 0xcf800000, v7, |v3|
	v_cvt_u32_f32_e32 v3, v7
	v_cvt_u32_f32_e32 v7, v9
	s_delay_alu instid0(VALU_DEP_2) | instskip(NEXT) | instid1(VALU_DEP_2)
	v_dual_mov_b32 v9, v8 :: v_dual_bitop2_b32 v13, v3, v8 bitop3:0x14
	v_xor_b32_e32 v12, v7, v8
	s_delay_alu instid0(VALU_DEP_1)
	v_sub_nc_u64_e32 v[12:13], v[12:13], v[8:9]
.LBB95_2549:
	s_mov_b32 s9, 0
.LBB95_2550:
	s_delay_alu instid0(SALU_CYCLE_1)
	s_and_not1_b32 vcc_lo, exec_lo, s9
	s_cbranch_vccnz .LBB95_2552
; %bb.2551:
	global_load_u8 v3, v[14:15], off
	s_wait_loadcnt 0x0
	v_lshlrev_b32_e32 v7, 25, v3
	v_lshlrev_b16 v3, 8, v3
	s_delay_alu instid0(VALU_DEP_1) | instskip(SKIP_1) | instid1(VALU_DEP_2)
	v_and_or_b32 v9, 0x7f00, v3, 0.5
	v_bfe_i32 v3, v3, 0, 16
	v_dual_add_f32 v9, -0.5, v9 :: v_dual_lshrrev_b32 v8, 4, v7
	v_cmp_gt_u32_e32 vcc_lo, 0x8000000, v7
	s_delay_alu instid0(VALU_DEP_2) | instskip(NEXT) | instid1(VALU_DEP_1)
	v_or_b32_e32 v8, 0x70000000, v8
	v_mul_f32_e32 v8, 0x7800000, v8
	s_delay_alu instid0(VALU_DEP_1) | instskip(NEXT) | instid1(VALU_DEP_1)
	v_cndmask_b32_e32 v7, v8, v9, vcc_lo
	v_and_or_b32 v3, 0x80000000, v3, v7
	s_delay_alu instid0(VALU_DEP_1) | instskip(NEXT) | instid1(VALU_DEP_1)
	v_trunc_f32_e32 v3, v3
	v_mul_f32_e64 v7, 0x2f800000, |v3|
	v_ashrrev_i32_e32 v8, 31, v3
	s_delay_alu instid0(VALU_DEP_2) | instskip(NEXT) | instid1(VALU_DEP_1)
	v_floor_f32_e32 v7, v7
	v_fma_f32 v9, 0xcf800000, v7, |v3|
	v_cvt_u32_f32_e32 v3, v7
	s_delay_alu instid0(VALU_DEP_2) | instskip(NEXT) | instid1(VALU_DEP_2)
	v_cvt_u32_f32_e32 v7, v9
	v_dual_mov_b32 v9, v8 :: v_dual_bitop2_b32 v13, v3, v8 bitop3:0x14
	s_delay_alu instid0(VALU_DEP_2) | instskip(NEXT) | instid1(VALU_DEP_1)
	v_xor_b32_e32 v12, v7, v8
	v_sub_nc_u64_e32 v[12:13], v[12:13], v[8:9]
.LBB95_2552:
	s_mov_b32 s9, 0
	s_mov_b32 s10, -1
.LBB95_2553:
	s_and_not1_b32 vcc_lo, exec_lo, s9
	s_mov_b32 s9, 0
	s_cbranch_vccnz .LBB95_2564
; %bb.2554:
	s_cmp_gt_i32 s7, 14
	s_cbranch_scc0 .LBB95_2557
; %bb.2555:
	s_cmp_eq_u32 s7, 15
	s_cbranch_scc0 .LBB95_2560
; %bb.2556:
	global_load_u16 v3, v[14:15], off
	s_mov_b32 s8, 0
	s_mov_b32 s10, -1
	s_wait_loadcnt 0x0
	v_lshlrev_b32_e32 v3, 16, v3
	s_delay_alu instid0(VALU_DEP_1) | instskip(NEXT) | instid1(VALU_DEP_1)
	v_trunc_f32_e32 v3, v3
	v_mul_f32_e64 v7, 0x2f800000, |v3|
	v_ashrrev_i32_e32 v8, 31, v3
	s_delay_alu instid0(VALU_DEP_2) | instskip(NEXT) | instid1(VALU_DEP_1)
	v_floor_f32_e32 v7, v7
	v_fma_f32 v9, 0xcf800000, v7, |v3|
	v_cvt_u32_f32_e32 v3, v7
	s_delay_alu instid0(VALU_DEP_2) | instskip(NEXT) | instid1(VALU_DEP_2)
	v_cvt_u32_f32_e32 v7, v9
	v_dual_mov_b32 v9, v8 :: v_dual_bitop2_b32 v13, v3, v8 bitop3:0x14
	s_delay_alu instid0(VALU_DEP_2) | instskip(NEXT) | instid1(VALU_DEP_1)
	v_xor_b32_e32 v12, v7, v8
	v_sub_nc_u64_e32 v[12:13], v[12:13], v[8:9]
	s_branch .LBB95_2562
.LBB95_2557:
	s_mov_b32 s9, -1
	s_branch .LBB95_2561
.LBB95_2558:
	s_and_not1_saveexec_b32 s9, s9
	s_cbranch_execz .LBB95_2539
.LBB95_2559:
	v_cmp_ne_u16_e32 vcc_lo, 0, v3
	s_and_not1_b32 s10, s10, exec_lo
	s_and_b32 s11, vcc_lo, exec_lo
	s_delay_alu instid0(SALU_CYCLE_1)
	s_or_b32 s10, s10, s11
	s_or_b32 exec_lo, exec_lo, s9
	v_mov_b64_e32 v[12:13], 0
	s_and_saveexec_b32 s9, s10
	s_cbranch_execnz .LBB95_2540
	s_branch .LBB95_2541
.LBB95_2560:
	s_mov_b32 s8, -1
.LBB95_2561:
                                        ; implicit-def: $vgpr12_vgpr13
.LBB95_2562:
	s_and_b32 vcc_lo, exec_lo, s9
	s_mov_b32 s9, 0
	s_cbranch_vccz .LBB95_2564
; %bb.2563:
	s_cmp_lg_u32 s7, 11
	s_mov_b32 s9, -1
	s_cselect_b32 s7, -1, 0
	s_and_not1_b32 s8, s8, exec_lo
	s_and_b32 s7, s7, exec_lo
	s_delay_alu instid0(SALU_CYCLE_1)
	s_or_b32 s8, s8, s7
.LBB95_2564:
	s_mov_b32 s11, 0
.LBB95_2565:
	s_and_b32 s7, s10, exec_lo
	s_and_b32 s10, s11, exec_lo
	s_and_not1_b32 s11, s83, exec_lo
	s_and_b32 s12, s8, exec_lo
	s_and_b32 s8, s9, exec_lo
	s_or_b32 s83, s11, s12
	s_wait_xcnt 0x0
	s_or_b32 exec_lo, exec_lo, s6
	s_and_saveexec_b32 s6, s83
	s_cbranch_execz .LBB95_2498
.LBB95_2566:
	s_or_b32 s1, s1, exec_lo
	s_and_not1_b32 s8, s8, exec_lo
	s_trap 2
	s_or_b32 exec_lo, exec_lo, s6
	s_and_saveexec_b32 s6, s8
	s_delay_alu instid0(SALU_CYCLE_1)
	s_xor_b32 s6, exec_lo, s6
	s_cbranch_execnz .LBB95_2499
.LBB95_2567:
	s_or_b32 exec_lo, exec_lo, s6
	s_and_saveexec_b32 s6, s10
	s_cbranch_execz .LBB95_2613
.LBB95_2568:
	s_sext_i32_i16 s8, s0
	s_delay_alu instid0(SALU_CYCLE_1)
	s_cmp_lt_i32 s8, 5
	s_cbranch_scc1 .LBB95_2573
; %bb.2569:
	s_cmp_lt_i32 s8, 8
	s_cbranch_scc1 .LBB95_2574
; %bb.2570:
	s_cmp_lt_i32 s8, 9
	s_cbranch_scc1 .LBB95_2575
; %bb.2571:
	s_cmp_gt_i32 s8, 9
	s_cbranch_scc0 .LBB95_2576
; %bb.2572:
	s_wait_loadcnt 0x0
	global_load_b64 v[8:9], v[14:15], off
	s_mov_b32 s8, 0
	s_wait_loadcnt 0x0
	v_trunc_f64_e32 v[8:9], v[8:9]
	s_delay_alu instid0(VALU_DEP_1) | instskip(NEXT) | instid1(VALU_DEP_1)
	v_ldexp_f64 v[12:13], v[8:9], 0xffffffe0
	v_floor_f64_e32 v[12:13], v[12:13]
	s_delay_alu instid0(VALU_DEP_1) | instskip(SKIP_1) | instid1(VALU_DEP_2)
	v_fmamk_f64 v[8:9], v[12:13], 0xc1f00000, v[8:9]
	v_cvt_i32_f64_e32 v13, v[12:13]
	v_cvt_u32_f64_e32 v12, v[8:9]
	s_branch .LBB95_2577
.LBB95_2573:
                                        ; implicit-def: $vgpr12_vgpr13
	s_branch .LBB95_2594
.LBB95_2574:
                                        ; implicit-def: $vgpr12_vgpr13
	s_branch .LBB95_2583
.LBB95_2575:
	s_mov_b32 s8, -1
                                        ; implicit-def: $vgpr12_vgpr13
	s_branch .LBB95_2580
.LBB95_2576:
	s_mov_b32 s8, -1
                                        ; implicit-def: $vgpr12_vgpr13
.LBB95_2577:
	s_delay_alu instid0(SALU_CYCLE_1)
	s_and_not1_b32 vcc_lo, exec_lo, s8
	s_cbranch_vccnz .LBB95_2579
; %bb.2578:
	s_wait_loadcnt 0x0
	global_load_b32 v3, v[14:15], off
	s_wait_loadcnt 0x0
	v_trunc_f32_e32 v3, v3
	s_delay_alu instid0(VALU_DEP_1) | instskip(SKIP_1) | instid1(VALU_DEP_2)
	v_mul_f32_e64 v7, 0x2f800000, |v3|
	v_ashrrev_i32_e32 v8, 31, v3
	v_floor_f32_e32 v7, v7
	s_delay_alu instid0(VALU_DEP_1) | instskip(SKIP_1) | instid1(VALU_DEP_2)
	v_fma_f32 v9, 0xcf800000, v7, |v3|
	v_cvt_u32_f32_e32 v3, v7
	v_cvt_u32_f32_e32 v7, v9
	s_delay_alu instid0(VALU_DEP_2) | instskip(NEXT) | instid1(VALU_DEP_2)
	v_dual_mov_b32 v9, v8 :: v_dual_bitop2_b32 v13, v3, v8 bitop3:0x14
	v_xor_b32_e32 v12, v7, v8
	s_delay_alu instid0(VALU_DEP_1)
	v_sub_nc_u64_e32 v[12:13], v[12:13], v[8:9]
.LBB95_2579:
	s_mov_b32 s8, 0
.LBB95_2580:
	s_delay_alu instid0(SALU_CYCLE_1)
	s_and_not1_b32 vcc_lo, exec_lo, s8
	s_cbranch_vccnz .LBB95_2582
; %bb.2581:
	s_wait_loadcnt 0x0
	global_load_b32 v3, v[14:15], off
	s_wait_loadcnt 0x0
	v_cvt_f32_f16_e32 v3, v3
	s_delay_alu instid0(VALU_DEP_1) | instskip(NEXT) | instid1(VALU_DEP_1)
	v_cvt_i32_f32_e32 v12, v3
	v_ashrrev_i32_e32 v13, 31, v12
.LBB95_2582:
	s_cbranch_execnz .LBB95_2593
.LBB95_2583:
	s_sext_i32_i16 s8, s0
	s_delay_alu instid0(SALU_CYCLE_1)
	s_cmp_lt_i32 s8, 6
	s_cbranch_scc1 .LBB95_2586
; %bb.2584:
	s_cmp_gt_i32 s8, 6
	s_cbranch_scc0 .LBB95_2587
; %bb.2585:
	s_wait_loadcnt 0x0
	global_load_b64 v[8:9], v[14:15], off
	s_mov_b32 s8, 0
	s_wait_loadcnt 0x0
	v_trunc_f64_e32 v[8:9], v[8:9]
	s_delay_alu instid0(VALU_DEP_1) | instskip(NEXT) | instid1(VALU_DEP_1)
	v_ldexp_f64 v[12:13], v[8:9], 0xffffffe0
	v_floor_f64_e32 v[12:13], v[12:13]
	s_delay_alu instid0(VALU_DEP_1) | instskip(SKIP_1) | instid1(VALU_DEP_2)
	v_fmamk_f64 v[8:9], v[12:13], 0xc1f00000, v[8:9]
	v_cvt_i32_f64_e32 v13, v[12:13]
	v_cvt_u32_f64_e32 v12, v[8:9]
	s_branch .LBB95_2588
.LBB95_2586:
	s_mov_b32 s8, -1
                                        ; implicit-def: $vgpr12_vgpr13
	s_branch .LBB95_2591
.LBB95_2587:
	s_mov_b32 s8, -1
                                        ; implicit-def: $vgpr12_vgpr13
.LBB95_2588:
	s_delay_alu instid0(SALU_CYCLE_1)
	s_and_not1_b32 vcc_lo, exec_lo, s8
	s_cbranch_vccnz .LBB95_2590
; %bb.2589:
	s_wait_loadcnt 0x0
	global_load_b32 v3, v[14:15], off
	s_wait_loadcnt 0x0
	v_trunc_f32_e32 v3, v3
	s_delay_alu instid0(VALU_DEP_1) | instskip(SKIP_1) | instid1(VALU_DEP_2)
	v_mul_f32_e64 v7, 0x2f800000, |v3|
	v_ashrrev_i32_e32 v8, 31, v3
	v_floor_f32_e32 v7, v7
	s_delay_alu instid0(VALU_DEP_1) | instskip(SKIP_1) | instid1(VALU_DEP_2)
	v_fma_f32 v9, 0xcf800000, v7, |v3|
	v_cvt_u32_f32_e32 v3, v7
	v_cvt_u32_f32_e32 v7, v9
	s_delay_alu instid0(VALU_DEP_2) | instskip(NEXT) | instid1(VALU_DEP_2)
	v_dual_mov_b32 v9, v8 :: v_dual_bitop2_b32 v13, v3, v8 bitop3:0x14
	v_xor_b32_e32 v12, v7, v8
	s_delay_alu instid0(VALU_DEP_1)
	v_sub_nc_u64_e32 v[12:13], v[12:13], v[8:9]
.LBB95_2590:
	s_mov_b32 s8, 0
.LBB95_2591:
	s_delay_alu instid0(SALU_CYCLE_1)
	s_and_not1_b32 vcc_lo, exec_lo, s8
	s_cbranch_vccnz .LBB95_2593
; %bb.2592:
	s_wait_loadcnt 0x0
	global_load_u16 v3, v[14:15], off
	s_wait_loadcnt 0x0
	v_cvt_f32_f16_e32 v3, v3
	s_delay_alu instid0(VALU_DEP_1) | instskip(NEXT) | instid1(VALU_DEP_1)
	v_cvt_i32_f32_e32 v12, v3
	v_ashrrev_i32_e32 v13, 31, v12
.LBB95_2593:
	s_cbranch_execnz .LBB95_2612
.LBB95_2594:
	s_sext_i32_i16 s8, s0
	s_delay_alu instid0(SALU_CYCLE_1)
	s_cmp_lt_i32 s8, 2
	s_cbranch_scc1 .LBB95_2598
; %bb.2595:
	s_cmp_lt_i32 s8, 3
	s_cbranch_scc1 .LBB95_2599
; %bb.2596:
	s_cmp_gt_i32 s8, 3
	s_cbranch_scc0 .LBB95_2600
; %bb.2597:
	s_wait_loadcnt 0x0
	global_load_b64 v[12:13], v[14:15], off
	s_mov_b32 s8, 0
	s_branch .LBB95_2601
.LBB95_2598:
                                        ; implicit-def: $vgpr12_vgpr13
	s_branch .LBB95_2607
.LBB95_2599:
	s_mov_b32 s8, -1
                                        ; implicit-def: $vgpr12_vgpr13
	s_branch .LBB95_2604
.LBB95_2600:
	s_mov_b32 s8, -1
                                        ; implicit-def: $vgpr12_vgpr13
.LBB95_2601:
	s_delay_alu instid0(SALU_CYCLE_1)
	s_and_not1_b32 vcc_lo, exec_lo, s8
	s_cbranch_vccnz .LBB95_2603
; %bb.2602:
	s_wait_loadcnt 0x0
	global_load_b32 v12, v[14:15], off
	s_wait_loadcnt 0x0
	v_ashrrev_i32_e32 v13, 31, v12
.LBB95_2603:
	s_mov_b32 s8, 0
.LBB95_2604:
	s_delay_alu instid0(SALU_CYCLE_1)
	s_and_not1_b32 vcc_lo, exec_lo, s8
	s_cbranch_vccnz .LBB95_2606
; %bb.2605:
	s_wait_loadcnt 0x0
	global_load_u16 v3, v[14:15], off
	s_wait_loadcnt 0x0
	v_bfe_i32 v12, v3, 0, 16
	s_delay_alu instid0(VALU_DEP_1)
	v_ashrrev_i32_e32 v13, 31, v12
.LBB95_2606:
	s_cbranch_execnz .LBB95_2612
.LBB95_2607:
	s_sext_i32_i16 s0, s0
	s_delay_alu instid0(SALU_CYCLE_1)
	s_cmp_gt_i32 s0, 0
	s_mov_b32 s0, 0
	s_cbranch_scc0 .LBB95_2609
; %bb.2608:
	s_wait_loadcnt 0x0
	global_load_i8 v3, v[14:15], off
	s_wait_loadcnt 0x0
	v_bfe_i32 v12, v3, 0, 16
	s_delay_alu instid0(VALU_DEP_1)
	v_ashrrev_i32_e32 v13, 31, v12
	s_branch .LBB95_2610
.LBB95_2609:
	s_mov_b32 s0, -1
                                        ; implicit-def: $vgpr12_vgpr13
.LBB95_2610:
	s_delay_alu instid0(SALU_CYCLE_1)
	s_and_not1_b32 vcc_lo, exec_lo, s0
	s_cbranch_vccnz .LBB95_2612
; %bb.2611:
	s_wait_loadcnt 0x0
	global_load_u8 v3, v[14:15], off
	s_mov_b32 s0, 0
	s_delay_alu instid0(SALU_CYCLE_1)
	v_mov_b32_e32 v13, s0
	s_wait_loadcnt 0x0
	v_and_b32_e32 v12, 0xffff, v3
.LBB95_2612:
	s_or_b32 s7, s7, exec_lo
.LBB95_2613:
	s_wait_xcnt 0x0
	s_or_b32 exec_lo, exec_lo, s6
	s_mov_b32 s8, 0
	s_mov_b32 s11, 0
	;; [unrolled: 1-line block ×3, first 2 shown]
                                        ; implicit-def: $sgpr0
                                        ; implicit-def: $vgpr8_vgpr9
                                        ; implicit-def: $vgpr14_vgpr15
	s_and_saveexec_b32 s6, s7
	s_cbranch_execz .LBB95_2621
; %bb.2614:
	s_load_b512 s[8:23], s[2:3], 0x248
	v_mov_b32_e32 v7, 0
	s_and_b32 s0, s78, 0xff
	s_delay_alu instid0(SALU_CYCLE_1)
	s_cmp_lt_i32 s0, 11
	s_wait_loadcnt 0x0
	s_wait_kmcnt 0x0
	v_add_nc_u64_e32 v[8:9], s[18:19], v[6:7]
	s_cbranch_scc1 .LBB95_2624
; %bb.2615:
	s_and_b32 s7, 0xffff, s0
	s_mov_b32 s10, 0
	s_cmp_gt_i32 s7, 25
	s_cbranch_scc0 .LBB95_2625
; %bb.2616:
	s_cmp_gt_i32 s7, 28
	s_cbranch_scc0 .LBB95_2626
; %bb.2617:
	;; [unrolled: 3-line block ×4, first 2 shown]
	s_cmp_eq_u32 s7, 46
	s_mov_b32 s11, 0
	s_cbranch_scc0 .LBB95_2629
; %bb.2620:
	global_load_b32 v3, v[8:9], off
	s_mov_b32 s8, 0
	s_mov_b32 s9, -1
	s_wait_loadcnt 0x0
	v_lshlrev_b32_e32 v3, 16, v3
	s_delay_alu instid0(VALU_DEP_1) | instskip(NEXT) | instid1(VALU_DEP_1)
	v_trunc_f32_e32 v3, v3
	v_mul_f32_e64 v6, 0x2f800000, |v3|
	s_delay_alu instid0(VALU_DEP_1) | instskip(SKIP_1) | instid1(VALU_DEP_2)
	v_floor_f32_e32 v7, v6
	v_ashrrev_i32_e32 v6, 31, v3
	v_fma_f32 v14, 0xcf800000, v7, |v3|
	v_cvt_u32_f32_e32 v3, v7
	s_delay_alu instid0(VALU_DEP_3) | instskip(NEXT) | instid1(VALU_DEP_3)
	v_mov_b32_e32 v7, v6
	v_cvt_u32_f32_e32 v14, v14
	s_delay_alu instid0(VALU_DEP_3) | instskip(NEXT) | instid1(VALU_DEP_2)
	v_xor_b32_e32 v15, v3, v6
	v_xor_b32_e32 v14, v14, v6
	s_delay_alu instid0(VALU_DEP_1)
	v_sub_nc_u64_e32 v[14:15], v[14:15], v[6:7]
	s_branch .LBB95_2631
.LBB95_2621:
	s_or_b32 exec_lo, exec_lo, s6
	s_and_saveexec_b32 s6, s82
	s_cbranch_execnz .LBB95_2690
.LBB95_2622:
	s_or_b32 exec_lo, exec_lo, s6
	s_and_saveexec_b32 s6, s8
	s_delay_alu instid0(SALU_CYCLE_1)
	s_xor_b32 s6, exec_lo, s6
	s_cbranch_execz .LBB95_2691
.LBB95_2623:
	s_wait_loadcnt 0x0
	global_load_u8 v3, v[8:9], off
	s_mov_b32 s7, 0
	s_or_b32 s9, s9, exec_lo
	v_mov_b32_e32 v15, s7
	s_wait_loadcnt 0x0
	v_cmp_ne_u16_e32 vcc_lo, 0, v3
	v_cndmask_b32_e64 v14, 0, 1, vcc_lo
	s_wait_xcnt 0x0
	s_or_b32 exec_lo, exec_lo, s6
	s_and_saveexec_b32 s6, s11
	s_cbranch_execz .LBB95_2737
	s_branch .LBB95_2692
.LBB95_2624:
	s_mov_b32 s7, -1
	s_mov_b32 s9, 0
	s_mov_b32 s10, 0
	;; [unrolled: 1-line block ×3, first 2 shown]
                                        ; implicit-def: $vgpr14_vgpr15
	s_branch .LBB95_2689
.LBB95_2625:
	s_mov_b32 s9, 0
	s_mov_b32 s8, s82
                                        ; implicit-def: $vgpr14_vgpr15
	s_cbranch_execnz .LBB95_2658
	s_branch .LBB95_2688
.LBB95_2626:
	s_mov_b32 s11, -1
	s_mov_b32 s9, 0
	s_mov_b32 s8, s82
                                        ; implicit-def: $vgpr14_vgpr15
	s_branch .LBB95_2641
.LBB95_2627:
	s_mov_b32 s11, -1
	s_mov_b32 s9, 0
	s_mov_b32 s8, s82
                                        ; implicit-def: $vgpr14_vgpr15
	s_branch .LBB95_2636
.LBB95_2628:
	s_mov_b32 s11, -1
	s_mov_b32 s9, 0
	s_mov_b32 s8, s82
	s_branch .LBB95_2630
.LBB95_2629:
	s_mov_b32 s8, -1
	s_mov_b32 s9, 0
.LBB95_2630:
                                        ; implicit-def: $vgpr14_vgpr15
.LBB95_2631:
	s_and_b32 vcc_lo, exec_lo, s11
	s_cbranch_vccz .LBB95_2635
; %bb.2632:
	s_cmp_eq_u32 s7, 44
	s_cbranch_scc0 .LBB95_2634
; %bb.2633:
	global_load_u8 v3, v[8:9], off
	s_mov_b32 s8, 0
	s_mov_b32 s9, -1
	s_wait_loadcnt 0x0
	v_lshlrev_b32_e32 v6, 23, v3
	v_cmp_ne_u32_e32 vcc_lo, 0, v3
	s_delay_alu instid0(VALU_DEP_2) | instskip(NEXT) | instid1(VALU_DEP_1)
	v_trunc_f32_e32 v6, v6
	v_mul_f32_e64 v7, 0x2f800000, |v6|
	s_delay_alu instid0(VALU_DEP_1) | instskip(NEXT) | instid1(VALU_DEP_1)
	v_floor_f32_e32 v7, v7
	v_fma_f32 v14, 0xcf800000, v7, |v6|
	v_ashrrev_i32_e32 v6, 31, v6
	v_cvt_u32_f32_e32 v15, v7
	s_delay_alu instid0(VALU_DEP_3) | instskip(NEXT) | instid1(VALU_DEP_2)
	v_cvt_u32_f32_e32 v14, v14
	v_dual_mov_b32 v7, v6 :: v_dual_bitop2_b32 v15, v15, v6 bitop3:0x14
	s_delay_alu instid0(VALU_DEP_2) | instskip(NEXT) | instid1(VALU_DEP_1)
	v_xor_b32_e32 v14, v14, v6
	v_sub_nc_u64_e32 v[6:7], v[14:15], v[6:7]
	s_delay_alu instid0(VALU_DEP_1)
	v_dual_cndmask_b32 v15, 0, v7 :: v_dual_cndmask_b32 v14, 0, v6
	s_branch .LBB95_2635
.LBB95_2634:
	s_mov_b32 s8, -1
                                        ; implicit-def: $vgpr14_vgpr15
.LBB95_2635:
	s_mov_b32 s11, 0
.LBB95_2636:
	s_delay_alu instid0(SALU_CYCLE_1)
	s_and_b32 vcc_lo, exec_lo, s11
	s_cbranch_vccz .LBB95_2640
; %bb.2637:
	s_cmp_eq_u32 s7, 29
	s_cbranch_scc0 .LBB95_2639
; %bb.2638:
	global_load_b64 v[14:15], v[8:9], off
	s_mov_b32 s8, 0
	s_mov_b32 s9, -1
	s_branch .LBB95_2640
.LBB95_2639:
	s_mov_b32 s8, -1
                                        ; implicit-def: $vgpr14_vgpr15
.LBB95_2640:
	s_mov_b32 s11, 0
.LBB95_2641:
	s_delay_alu instid0(SALU_CYCLE_1)
	s_and_b32 vcc_lo, exec_lo, s11
	s_cbranch_vccz .LBB95_2657
; %bb.2642:
	s_cmp_lt_i32 s7, 27
	s_cbranch_scc1 .LBB95_2645
; %bb.2643:
	s_cmp_gt_i32 s7, 27
	s_cbranch_scc0 .LBB95_2646
; %bb.2644:
	s_wait_loadcnt 0x0
	global_load_b32 v14, v[8:9], off
	v_mov_b32_e32 v15, 0
	s_mov_b32 s9, 0
	s_branch .LBB95_2647
.LBB95_2645:
	s_mov_b32 s9, -1
                                        ; implicit-def: $vgpr14_vgpr15
	s_branch .LBB95_2650
.LBB95_2646:
	s_mov_b32 s9, -1
                                        ; implicit-def: $vgpr14_vgpr15
.LBB95_2647:
	s_delay_alu instid0(SALU_CYCLE_1)
	s_and_not1_b32 vcc_lo, exec_lo, s9
	s_cbranch_vccnz .LBB95_2649
; %bb.2648:
	global_load_u16 v3, v[8:9], off
	s_mov_b32 s9, 0
	s_wait_loadcnt 0x1
	v_mov_b32_e32 v15, s9
	s_wait_loadcnt 0x0
	v_and_b32_e32 v14, 0xffff, v3
.LBB95_2649:
	s_mov_b32 s9, 0
.LBB95_2650:
	s_delay_alu instid0(SALU_CYCLE_1)
	s_and_not1_b32 vcc_lo, exec_lo, s9
	s_cbranch_vccnz .LBB95_2656
; %bb.2651:
	global_load_u8 v3, v[8:9], off
	s_mov_b32 s11, 0
	s_mov_b32 s9, exec_lo
	s_wait_loadcnt 0x0
	v_cmpx_lt_i16_e32 0x7f, v3
	s_xor_b32 s9, exec_lo, s9
	s_cbranch_execz .LBB95_2667
; %bb.2652:
	v_cmp_ne_u16_e32 vcc_lo, 0x80, v3
	s_and_b32 s11, vcc_lo, exec_lo
	s_and_not1_saveexec_b32 s9, s9
	s_cbranch_execnz .LBB95_2668
.LBB95_2653:
	s_or_b32 exec_lo, exec_lo, s9
	v_mov_b64_e32 v[14:15], 0
	s_and_saveexec_b32 s9, s11
	s_cbranch_execz .LBB95_2655
.LBB95_2654:
	v_and_b32_e32 v6, 0xffff, v3
	s_delay_alu instid0(VALU_DEP_1) | instskip(SKIP_1) | instid1(VALU_DEP_2)
	v_dual_lshlrev_b32 v3, 24, v3 :: v_dual_bitop2_b32 v7, 7, v6 bitop3:0x40
	v_bfe_u32 v16, v6, 3, 4
	v_and_b32_e32 v3, 0x80000000, v3
	s_delay_alu instid0(VALU_DEP_3) | instskip(NEXT) | instid1(VALU_DEP_3)
	v_clz_i32_u32_e32 v14, v7
	v_cmp_eq_u32_e32 vcc_lo, 0, v16
	s_delay_alu instid0(VALU_DEP_2) | instskip(NEXT) | instid1(VALU_DEP_1)
	v_min_u32_e32 v14, 32, v14
	v_subrev_nc_u32_e32 v15, 28, v14
	v_sub_nc_u32_e32 v14, 29, v14
	s_delay_alu instid0(VALU_DEP_2) | instskip(NEXT) | instid1(VALU_DEP_2)
	v_lshlrev_b32_e32 v6, v15, v6
	v_cndmask_b32_e32 v14, v16, v14, vcc_lo
	s_delay_alu instid0(VALU_DEP_2) | instskip(NEXT) | instid1(VALU_DEP_1)
	v_and_b32_e32 v6, 7, v6
	v_cndmask_b32_e32 v6, v7, v6, vcc_lo
	s_delay_alu instid0(VALU_DEP_3) | instskip(NEXT) | instid1(VALU_DEP_2)
	v_lshl_add_u32 v7, v14, 23, 0x3b800000
	v_lshlrev_b32_e32 v6, 20, v6
	s_delay_alu instid0(VALU_DEP_1) | instskip(NEXT) | instid1(VALU_DEP_1)
	v_or3_b32 v3, v3, v7, v6
	v_trunc_f32_e32 v3, v3
	s_delay_alu instid0(VALU_DEP_1) | instskip(NEXT) | instid1(VALU_DEP_1)
	v_mul_f32_e64 v6, 0x2f800000, |v3|
	v_floor_f32_e32 v7, v6
	v_ashrrev_i32_e32 v6, 31, v3
	s_delay_alu instid0(VALU_DEP_2) | instskip(SKIP_1) | instid1(VALU_DEP_3)
	v_fma_f32 v14, 0xcf800000, v7, |v3|
	v_cvt_u32_f32_e32 v3, v7
	v_mov_b32_e32 v7, v6
	s_delay_alu instid0(VALU_DEP_3) | instskip(NEXT) | instid1(VALU_DEP_3)
	v_cvt_u32_f32_e32 v14, v14
	v_xor_b32_e32 v15, v3, v6
	s_delay_alu instid0(VALU_DEP_2) | instskip(NEXT) | instid1(VALU_DEP_1)
	v_xor_b32_e32 v14, v14, v6
	v_sub_nc_u64_e32 v[14:15], v[14:15], v[6:7]
.LBB95_2655:
	s_or_b32 exec_lo, exec_lo, s9
.LBB95_2656:
	s_mov_b32 s9, -1
.LBB95_2657:
	s_branch .LBB95_2688
.LBB95_2658:
	s_cmp_gt_i32 s7, 22
	s_cbranch_scc0 .LBB95_2666
; %bb.2659:
	s_cmp_lt_i32 s7, 24
	s_cbranch_scc1 .LBB95_2669
; %bb.2660:
	s_cmp_gt_i32 s7, 24
	s_cbranch_scc0 .LBB95_2670
; %bb.2661:
	global_load_u8 v3, v[8:9], off
	s_mov_b32 s9, exec_lo
	s_wait_loadcnt 0x0
	v_cmpx_lt_i16_e32 0x7f, v3
	s_xor_b32 s9, exec_lo, s9
	s_cbranch_execz .LBB95_2682
; %bb.2662:
	v_cmp_ne_u16_e32 vcc_lo, 0x80, v3
	s_and_b32 s10, vcc_lo, exec_lo
	s_and_not1_saveexec_b32 s9, s9
	s_cbranch_execnz .LBB95_2683
.LBB95_2663:
	s_or_b32 exec_lo, exec_lo, s9
	v_mov_b64_e32 v[14:15], 0
	s_and_saveexec_b32 s9, s10
	s_cbranch_execz .LBB95_2665
.LBB95_2664:
	v_and_b32_e32 v6, 0xffff, v3
	s_delay_alu instid0(VALU_DEP_1) | instskip(SKIP_1) | instid1(VALU_DEP_2)
	v_dual_lshlrev_b32 v3, 24, v3 :: v_dual_bitop2_b32 v7, 3, v6 bitop3:0x40
	v_bfe_u32 v16, v6, 2, 5
	v_and_b32_e32 v3, 0x80000000, v3
	s_delay_alu instid0(VALU_DEP_3) | instskip(NEXT) | instid1(VALU_DEP_3)
	v_clz_i32_u32_e32 v14, v7
	v_cmp_eq_u32_e32 vcc_lo, 0, v16
	s_delay_alu instid0(VALU_DEP_2) | instskip(NEXT) | instid1(VALU_DEP_1)
	v_min_u32_e32 v14, 32, v14
	v_subrev_nc_u32_e32 v15, 29, v14
	v_sub_nc_u32_e32 v14, 30, v14
	s_delay_alu instid0(VALU_DEP_2) | instskip(NEXT) | instid1(VALU_DEP_2)
	v_lshlrev_b32_e32 v6, v15, v6
	v_cndmask_b32_e32 v14, v16, v14, vcc_lo
	s_delay_alu instid0(VALU_DEP_2) | instskip(NEXT) | instid1(VALU_DEP_1)
	v_and_b32_e32 v6, 3, v6
	v_cndmask_b32_e32 v6, v7, v6, vcc_lo
	s_delay_alu instid0(VALU_DEP_3) | instskip(NEXT) | instid1(VALU_DEP_2)
	v_lshl_add_u32 v7, v14, 23, 0x37800000
	v_lshlrev_b32_e32 v6, 21, v6
	s_delay_alu instid0(VALU_DEP_1) | instskip(NEXT) | instid1(VALU_DEP_1)
	v_or3_b32 v3, v3, v7, v6
	v_trunc_f32_e32 v3, v3
	s_delay_alu instid0(VALU_DEP_1) | instskip(NEXT) | instid1(VALU_DEP_1)
	v_mul_f32_e64 v6, 0x2f800000, |v3|
	v_floor_f32_e32 v7, v6
	v_ashrrev_i32_e32 v6, 31, v3
	s_delay_alu instid0(VALU_DEP_2) | instskip(SKIP_1) | instid1(VALU_DEP_3)
	v_fma_f32 v14, 0xcf800000, v7, |v3|
	v_cvt_u32_f32_e32 v3, v7
	v_mov_b32_e32 v7, v6
	s_delay_alu instid0(VALU_DEP_3) | instskip(NEXT) | instid1(VALU_DEP_3)
	v_cvt_u32_f32_e32 v14, v14
	v_xor_b32_e32 v15, v3, v6
	s_delay_alu instid0(VALU_DEP_2) | instskip(NEXT) | instid1(VALU_DEP_1)
	v_xor_b32_e32 v14, v14, v6
	v_sub_nc_u64_e32 v[14:15], v[14:15], v[6:7]
.LBB95_2665:
	s_or_b32 exec_lo, exec_lo, s9
	s_mov_b32 s9, 0
	s_branch .LBB95_2671
.LBB95_2666:
	s_mov_b32 s10, -1
                                        ; implicit-def: $vgpr14_vgpr15
	s_branch .LBB95_2677
.LBB95_2667:
	s_and_not1_saveexec_b32 s9, s9
	s_cbranch_execz .LBB95_2653
.LBB95_2668:
	v_cmp_ne_u16_e32 vcc_lo, 0, v3
	s_and_not1_b32 s11, s11, exec_lo
	s_and_b32 s12, vcc_lo, exec_lo
	s_delay_alu instid0(SALU_CYCLE_1)
	s_or_b32 s11, s11, s12
	s_or_b32 exec_lo, exec_lo, s9
	v_mov_b64_e32 v[14:15], 0
	s_and_saveexec_b32 s9, s11
	s_cbranch_execnz .LBB95_2654
	s_branch .LBB95_2655
.LBB95_2669:
	s_mov_b32 s9, -1
                                        ; implicit-def: $vgpr14_vgpr15
	s_branch .LBB95_2674
.LBB95_2670:
	s_mov_b32 s9, -1
                                        ; implicit-def: $vgpr14_vgpr15
.LBB95_2671:
	s_delay_alu instid0(SALU_CYCLE_1)
	s_and_b32 vcc_lo, exec_lo, s9
	s_cbranch_vccz .LBB95_2673
; %bb.2672:
	global_load_u8 v3, v[8:9], off
	s_wait_loadcnt 0x0
	v_lshlrev_b32_e32 v3, 24, v3
	s_delay_alu instid0(VALU_DEP_1) | instskip(NEXT) | instid1(VALU_DEP_1)
	v_and_b32_e32 v6, 0x7f000000, v3
	v_clz_i32_u32_e32 v7, v6
	v_cmp_ne_u32_e32 vcc_lo, 0, v6
	v_add_nc_u32_e32 v15, 0x1000000, v6
	s_delay_alu instid0(VALU_DEP_3) | instskip(NEXT) | instid1(VALU_DEP_1)
	v_min_u32_e32 v7, 32, v7
	v_sub_nc_u32_e64 v7, v7, 4 clamp
	s_delay_alu instid0(VALU_DEP_1) | instskip(NEXT) | instid1(VALU_DEP_1)
	v_dual_lshlrev_b32 v14, v7, v6 :: v_dual_lshlrev_b32 v7, 23, v7
	v_lshrrev_b32_e32 v14, 4, v14
	s_delay_alu instid0(VALU_DEP_1) | instskip(SKIP_1) | instid1(VALU_DEP_2)
	v_sub_nc_u32_e32 v7, v14, v7
	v_ashrrev_i32_e32 v14, 8, v15
	v_add_nc_u32_e32 v7, 0x3c000000, v7
	s_delay_alu instid0(VALU_DEP_1) | instskip(NEXT) | instid1(VALU_DEP_1)
	v_and_or_b32 v7, 0x7f800000, v14, v7
	v_cndmask_b32_e32 v6, 0, v7, vcc_lo
	s_delay_alu instid0(VALU_DEP_1) | instskip(NEXT) | instid1(VALU_DEP_1)
	v_and_or_b32 v3, 0x80000000, v3, v6
	v_trunc_f32_e32 v3, v3
	s_delay_alu instid0(VALU_DEP_1) | instskip(NEXT) | instid1(VALU_DEP_1)
	v_mul_f32_e64 v6, 0x2f800000, |v3|
	v_floor_f32_e32 v7, v6
	v_ashrrev_i32_e32 v6, 31, v3
	s_delay_alu instid0(VALU_DEP_2) | instskip(SKIP_1) | instid1(VALU_DEP_3)
	v_fma_f32 v14, 0xcf800000, v7, |v3|
	v_cvt_u32_f32_e32 v3, v7
	v_mov_b32_e32 v7, v6
	s_delay_alu instid0(VALU_DEP_3) | instskip(NEXT) | instid1(VALU_DEP_3)
	v_cvt_u32_f32_e32 v14, v14
	v_xor_b32_e32 v15, v3, v6
	s_delay_alu instid0(VALU_DEP_2) | instskip(NEXT) | instid1(VALU_DEP_1)
	v_xor_b32_e32 v14, v14, v6
	v_sub_nc_u64_e32 v[14:15], v[14:15], v[6:7]
.LBB95_2673:
	s_mov_b32 s9, 0
.LBB95_2674:
	s_delay_alu instid0(SALU_CYCLE_1)
	s_and_not1_b32 vcc_lo, exec_lo, s9
	s_cbranch_vccnz .LBB95_2676
; %bb.2675:
	global_load_u8 v3, v[8:9], off
	s_wait_loadcnt 0x0
	v_lshlrev_b32_e32 v6, 25, v3
	v_lshlrev_b16 v3, 8, v3
	s_delay_alu instid0(VALU_DEP_1) | instskip(SKIP_1) | instid1(VALU_DEP_2)
	v_and_or_b32 v14, 0x7f00, v3, 0.5
	v_bfe_i32 v3, v3, 0, 16
	v_add_f32_e32 v14, -0.5, v14
	v_lshrrev_b32_e32 v7, 4, v6
	v_cmp_gt_u32_e32 vcc_lo, 0x8000000, v6
	s_delay_alu instid0(VALU_DEP_2) | instskip(NEXT) | instid1(VALU_DEP_1)
	v_or_b32_e32 v7, 0x70000000, v7
	v_mul_f32_e32 v7, 0x7800000, v7
	s_delay_alu instid0(VALU_DEP_1) | instskip(NEXT) | instid1(VALU_DEP_1)
	v_cndmask_b32_e32 v6, v7, v14, vcc_lo
	v_and_or_b32 v3, 0x80000000, v3, v6
	s_delay_alu instid0(VALU_DEP_1) | instskip(NEXT) | instid1(VALU_DEP_1)
	v_trunc_f32_e32 v3, v3
	v_mul_f32_e64 v6, 0x2f800000, |v3|
	s_delay_alu instid0(VALU_DEP_1) | instskip(SKIP_1) | instid1(VALU_DEP_2)
	v_floor_f32_e32 v7, v6
	v_ashrrev_i32_e32 v6, 31, v3
	v_fma_f32 v14, 0xcf800000, v7, |v3|
	v_cvt_u32_f32_e32 v3, v7
	s_delay_alu instid0(VALU_DEP_3) | instskip(NEXT) | instid1(VALU_DEP_3)
	v_mov_b32_e32 v7, v6
	v_cvt_u32_f32_e32 v14, v14
	s_delay_alu instid0(VALU_DEP_3) | instskip(NEXT) | instid1(VALU_DEP_2)
	v_xor_b32_e32 v15, v3, v6
	v_xor_b32_e32 v14, v14, v6
	s_delay_alu instid0(VALU_DEP_1)
	v_sub_nc_u64_e32 v[14:15], v[14:15], v[6:7]
.LBB95_2676:
	s_mov_b32 s10, 0
	s_mov_b32 s9, -1
.LBB95_2677:
	s_and_not1_b32 vcc_lo, exec_lo, s10
	s_mov_b32 s10, 0
	s_cbranch_vccnz .LBB95_2688
; %bb.2678:
	s_cmp_gt_i32 s7, 14
	s_cbranch_scc0 .LBB95_2681
; %bb.2679:
	s_cmp_eq_u32 s7, 15
	s_cbranch_scc0 .LBB95_2684
; %bb.2680:
	global_load_u16 v3, v[8:9], off
	s_mov_b32 s8, 0
	s_mov_b32 s9, -1
	s_wait_loadcnt 0x0
	v_lshlrev_b32_e32 v3, 16, v3
	s_delay_alu instid0(VALU_DEP_1) | instskip(NEXT) | instid1(VALU_DEP_1)
	v_trunc_f32_e32 v3, v3
	v_mul_f32_e64 v6, 0x2f800000, |v3|
	s_delay_alu instid0(VALU_DEP_1) | instskip(SKIP_1) | instid1(VALU_DEP_2)
	v_floor_f32_e32 v7, v6
	v_ashrrev_i32_e32 v6, 31, v3
	v_fma_f32 v14, 0xcf800000, v7, |v3|
	v_cvt_u32_f32_e32 v3, v7
	s_delay_alu instid0(VALU_DEP_3) | instskip(NEXT) | instid1(VALU_DEP_3)
	v_mov_b32_e32 v7, v6
	v_cvt_u32_f32_e32 v14, v14
	s_delay_alu instid0(VALU_DEP_3) | instskip(NEXT) | instid1(VALU_DEP_2)
	v_xor_b32_e32 v15, v3, v6
	v_xor_b32_e32 v14, v14, v6
	s_delay_alu instid0(VALU_DEP_1)
	v_sub_nc_u64_e32 v[14:15], v[14:15], v[6:7]
	s_branch .LBB95_2686
.LBB95_2681:
	s_mov_b32 s10, -1
	s_branch .LBB95_2685
.LBB95_2682:
	s_and_not1_saveexec_b32 s9, s9
	s_cbranch_execz .LBB95_2663
.LBB95_2683:
	v_cmp_ne_u16_e32 vcc_lo, 0, v3
	s_and_not1_b32 s10, s10, exec_lo
	s_and_b32 s11, vcc_lo, exec_lo
	s_delay_alu instid0(SALU_CYCLE_1)
	s_or_b32 s10, s10, s11
	s_or_b32 exec_lo, exec_lo, s9
	v_mov_b64_e32 v[14:15], 0
	s_and_saveexec_b32 s9, s10
	s_cbranch_execnz .LBB95_2664
	s_branch .LBB95_2665
.LBB95_2684:
	s_mov_b32 s8, -1
.LBB95_2685:
                                        ; implicit-def: $vgpr14_vgpr15
.LBB95_2686:
	s_and_b32 vcc_lo, exec_lo, s10
	s_mov_b32 s10, 0
	s_cbranch_vccz .LBB95_2688
; %bb.2687:
	s_cmp_lg_u32 s7, 11
	s_mov_b32 s10, -1
	s_cselect_b32 s7, -1, 0
	s_and_not1_b32 s8, s8, exec_lo
	s_and_b32 s7, s7, exec_lo
	s_delay_alu instid0(SALU_CYCLE_1)
	s_or_b32 s8, s8, s7
.LBB95_2688:
	s_mov_b32 s7, 0
.LBB95_2689:
	s_delay_alu instid0(SALU_CYCLE_1)
	s_and_b32 s11, s7, exec_lo
	s_and_not1_b32 s7, s82, exec_lo
	s_and_b32 s12, s8, exec_lo
	s_and_b32 s9, s9, exec_lo
	;; [unrolled: 1-line block ×3, first 2 shown]
	s_or_b32 s82, s7, s12
	s_wait_xcnt 0x0
	s_or_b32 exec_lo, exec_lo, s6
	s_and_saveexec_b32 s6, s82
	s_cbranch_execz .LBB95_2622
.LBB95_2690:
	s_or_b32 s1, s1, exec_lo
	s_and_not1_b32 s8, s8, exec_lo
	s_trap 2
	s_or_b32 exec_lo, exec_lo, s6
	s_and_saveexec_b32 s6, s8
	s_delay_alu instid0(SALU_CYCLE_1)
	s_xor_b32 s6, exec_lo, s6
	s_cbranch_execnz .LBB95_2623
.LBB95_2691:
	s_or_b32 exec_lo, exec_lo, s6
	s_and_saveexec_b32 s6, s11
	s_cbranch_execz .LBB95_2737
.LBB95_2692:
	s_sext_i32_i16 s7, s0
	s_delay_alu instid0(SALU_CYCLE_1)
	s_cmp_lt_i32 s7, 5
	s_cbranch_scc1 .LBB95_2697
; %bb.2693:
	s_cmp_lt_i32 s7, 8
	s_cbranch_scc1 .LBB95_2698
; %bb.2694:
	;; [unrolled: 3-line block ×3, first 2 shown]
	s_cmp_gt_i32 s7, 9
	s_cbranch_scc0 .LBB95_2700
; %bb.2696:
	s_wait_loadcnt 0x0
	global_load_b64 v[6:7], v[8:9], off
	s_mov_b32 s7, 0
	s_wait_loadcnt 0x0
	v_trunc_f64_e32 v[6:7], v[6:7]
	s_delay_alu instid0(VALU_DEP_1) | instskip(NEXT) | instid1(VALU_DEP_1)
	v_ldexp_f64 v[14:15], v[6:7], 0xffffffe0
	v_floor_f64_e32 v[14:15], v[14:15]
	s_delay_alu instid0(VALU_DEP_1) | instskip(SKIP_1) | instid1(VALU_DEP_2)
	v_fmamk_f64 v[6:7], v[14:15], 0xc1f00000, v[6:7]
	v_cvt_i32_f64_e32 v15, v[14:15]
	v_cvt_u32_f64_e32 v14, v[6:7]
	s_branch .LBB95_2701
.LBB95_2697:
                                        ; implicit-def: $vgpr14_vgpr15
	s_branch .LBB95_2718
.LBB95_2698:
                                        ; implicit-def: $vgpr14_vgpr15
	s_branch .LBB95_2707
.LBB95_2699:
	s_mov_b32 s7, -1
                                        ; implicit-def: $vgpr14_vgpr15
	s_branch .LBB95_2704
.LBB95_2700:
	s_mov_b32 s7, -1
                                        ; implicit-def: $vgpr14_vgpr15
.LBB95_2701:
	s_delay_alu instid0(SALU_CYCLE_1)
	s_and_not1_b32 vcc_lo, exec_lo, s7
	s_cbranch_vccnz .LBB95_2703
; %bb.2702:
	s_wait_loadcnt 0x0
	global_load_b32 v3, v[8:9], off
	s_wait_loadcnt 0x0
	v_trunc_f32_e32 v3, v3
	s_delay_alu instid0(VALU_DEP_1) | instskip(NEXT) | instid1(VALU_DEP_1)
	v_mul_f32_e64 v6, 0x2f800000, |v3|
	v_floor_f32_e32 v7, v6
	v_ashrrev_i32_e32 v6, 31, v3
	s_delay_alu instid0(VALU_DEP_2) | instskip(SKIP_1) | instid1(VALU_DEP_3)
	v_fma_f32 v14, 0xcf800000, v7, |v3|
	v_cvt_u32_f32_e32 v3, v7
	v_mov_b32_e32 v7, v6
	s_delay_alu instid0(VALU_DEP_3) | instskip(NEXT) | instid1(VALU_DEP_3)
	v_cvt_u32_f32_e32 v14, v14
	v_xor_b32_e32 v15, v3, v6
	s_delay_alu instid0(VALU_DEP_2) | instskip(NEXT) | instid1(VALU_DEP_1)
	v_xor_b32_e32 v14, v14, v6
	v_sub_nc_u64_e32 v[14:15], v[14:15], v[6:7]
.LBB95_2703:
	s_mov_b32 s7, 0
.LBB95_2704:
	s_delay_alu instid0(SALU_CYCLE_1)
	s_and_not1_b32 vcc_lo, exec_lo, s7
	s_cbranch_vccnz .LBB95_2706
; %bb.2705:
	s_wait_loadcnt 0x0
	global_load_b32 v3, v[8:9], off
	s_wait_loadcnt 0x0
	v_cvt_f32_f16_e32 v3, v3
	s_delay_alu instid0(VALU_DEP_1) | instskip(NEXT) | instid1(VALU_DEP_1)
	v_cvt_i32_f32_e32 v14, v3
	v_ashrrev_i32_e32 v15, 31, v14
.LBB95_2706:
	s_cbranch_execnz .LBB95_2717
.LBB95_2707:
	s_sext_i32_i16 s7, s0
	s_delay_alu instid0(SALU_CYCLE_1)
	s_cmp_lt_i32 s7, 6
	s_cbranch_scc1 .LBB95_2710
; %bb.2708:
	s_cmp_gt_i32 s7, 6
	s_cbranch_scc0 .LBB95_2711
; %bb.2709:
	s_wait_loadcnt 0x0
	global_load_b64 v[6:7], v[8:9], off
	s_mov_b32 s7, 0
	s_wait_loadcnt 0x0
	v_trunc_f64_e32 v[6:7], v[6:7]
	s_delay_alu instid0(VALU_DEP_1) | instskip(NEXT) | instid1(VALU_DEP_1)
	v_ldexp_f64 v[14:15], v[6:7], 0xffffffe0
	v_floor_f64_e32 v[14:15], v[14:15]
	s_delay_alu instid0(VALU_DEP_1) | instskip(SKIP_1) | instid1(VALU_DEP_2)
	v_fmamk_f64 v[6:7], v[14:15], 0xc1f00000, v[6:7]
	v_cvt_i32_f64_e32 v15, v[14:15]
	v_cvt_u32_f64_e32 v14, v[6:7]
	s_branch .LBB95_2712
.LBB95_2710:
	s_mov_b32 s7, -1
                                        ; implicit-def: $vgpr14_vgpr15
	s_branch .LBB95_2715
.LBB95_2711:
	s_mov_b32 s7, -1
                                        ; implicit-def: $vgpr14_vgpr15
.LBB95_2712:
	s_delay_alu instid0(SALU_CYCLE_1)
	s_and_not1_b32 vcc_lo, exec_lo, s7
	s_cbranch_vccnz .LBB95_2714
; %bb.2713:
	s_wait_loadcnt 0x0
	global_load_b32 v3, v[8:9], off
	s_wait_loadcnt 0x0
	v_trunc_f32_e32 v3, v3
	s_delay_alu instid0(VALU_DEP_1) | instskip(NEXT) | instid1(VALU_DEP_1)
	v_mul_f32_e64 v6, 0x2f800000, |v3|
	v_floor_f32_e32 v7, v6
	v_ashrrev_i32_e32 v6, 31, v3
	s_delay_alu instid0(VALU_DEP_2) | instskip(SKIP_1) | instid1(VALU_DEP_3)
	v_fma_f32 v14, 0xcf800000, v7, |v3|
	v_cvt_u32_f32_e32 v3, v7
	v_mov_b32_e32 v7, v6
	s_delay_alu instid0(VALU_DEP_3) | instskip(NEXT) | instid1(VALU_DEP_3)
	v_cvt_u32_f32_e32 v14, v14
	v_xor_b32_e32 v15, v3, v6
	s_delay_alu instid0(VALU_DEP_2) | instskip(NEXT) | instid1(VALU_DEP_1)
	v_xor_b32_e32 v14, v14, v6
	v_sub_nc_u64_e32 v[14:15], v[14:15], v[6:7]
.LBB95_2714:
	s_mov_b32 s7, 0
.LBB95_2715:
	s_delay_alu instid0(SALU_CYCLE_1)
	s_and_not1_b32 vcc_lo, exec_lo, s7
	s_cbranch_vccnz .LBB95_2717
; %bb.2716:
	s_wait_loadcnt 0x0
	global_load_u16 v3, v[8:9], off
	s_wait_loadcnt 0x0
	v_cvt_f32_f16_e32 v3, v3
	s_delay_alu instid0(VALU_DEP_1) | instskip(NEXT) | instid1(VALU_DEP_1)
	v_cvt_i32_f32_e32 v14, v3
	v_ashrrev_i32_e32 v15, 31, v14
.LBB95_2717:
	s_cbranch_execnz .LBB95_2736
.LBB95_2718:
	s_sext_i32_i16 s7, s0
	s_delay_alu instid0(SALU_CYCLE_1)
	s_cmp_lt_i32 s7, 2
	s_cbranch_scc1 .LBB95_2722
; %bb.2719:
	s_cmp_lt_i32 s7, 3
	s_cbranch_scc1 .LBB95_2723
; %bb.2720:
	s_cmp_gt_i32 s7, 3
	s_cbranch_scc0 .LBB95_2724
; %bb.2721:
	s_wait_loadcnt 0x0
	global_load_b64 v[14:15], v[8:9], off
	s_mov_b32 s7, 0
	s_branch .LBB95_2725
.LBB95_2722:
                                        ; implicit-def: $vgpr14_vgpr15
	s_branch .LBB95_2731
.LBB95_2723:
	s_mov_b32 s7, -1
                                        ; implicit-def: $vgpr14_vgpr15
	s_branch .LBB95_2728
.LBB95_2724:
	s_mov_b32 s7, -1
                                        ; implicit-def: $vgpr14_vgpr15
.LBB95_2725:
	s_delay_alu instid0(SALU_CYCLE_1)
	s_and_not1_b32 vcc_lo, exec_lo, s7
	s_cbranch_vccnz .LBB95_2727
; %bb.2726:
	s_wait_loadcnt 0x0
	global_load_b32 v14, v[8:9], off
	s_wait_loadcnt 0x0
	v_ashrrev_i32_e32 v15, 31, v14
.LBB95_2727:
	s_mov_b32 s7, 0
.LBB95_2728:
	s_delay_alu instid0(SALU_CYCLE_1)
	s_and_not1_b32 vcc_lo, exec_lo, s7
	s_cbranch_vccnz .LBB95_2730
; %bb.2729:
	s_wait_loadcnt 0x0
	global_load_u16 v3, v[8:9], off
	s_wait_loadcnt 0x0
	v_bfe_i32 v14, v3, 0, 16
	s_delay_alu instid0(VALU_DEP_1)
	v_ashrrev_i32_e32 v15, 31, v14
.LBB95_2730:
	s_cbranch_execnz .LBB95_2736
.LBB95_2731:
	s_sext_i32_i16 s0, s0
	s_delay_alu instid0(SALU_CYCLE_1)
	s_cmp_gt_i32 s0, 0
	s_mov_b32 s0, 0
	s_cbranch_scc0 .LBB95_2733
; %bb.2732:
	s_wait_loadcnt 0x0
	global_load_i8 v3, v[8:9], off
	s_wait_loadcnt 0x0
	v_bfe_i32 v14, v3, 0, 16
	s_delay_alu instid0(VALU_DEP_1)
	v_ashrrev_i32_e32 v15, 31, v14
	s_branch .LBB95_2734
.LBB95_2733:
	s_mov_b32 s0, -1
                                        ; implicit-def: $vgpr14_vgpr15
.LBB95_2734:
	s_delay_alu instid0(SALU_CYCLE_1)
	s_and_not1_b32 vcc_lo, exec_lo, s0
	s_cbranch_vccnz .LBB95_2736
; %bb.2735:
	s_wait_loadcnt 0x0
	global_load_u8 v3, v[8:9], off
	s_mov_b32 s0, 0
	s_delay_alu instid0(SALU_CYCLE_1)
	v_mov_b32_e32 v15, s0
	s_wait_loadcnt 0x0
	v_and_b32_e32 v14, 0xffff, v3
.LBB95_2736:
	s_or_b32 s9, s9, exec_lo
.LBB95_2737:
	s_wait_xcnt 0x0
	s_or_b32 exec_lo, exec_lo, s6
	s_mov_b32 s0, 0
	s_and_saveexec_b32 s6, s9
	s_delay_alu instid0(SALU_CYCLE_1)
	s_xor_b32 s6, exec_lo, s6
	s_cbranch_execz .LBB95_2739
; %bb.2738:
	s_load_b512 s[8:23], s[2:3], 0x248
	s_xor_b32 s7, s101, -1
	s_wait_kmcnt 0x0
	s_and_not1_b32 s8, s81, exec_lo
	s_mov_b32 s0, exec_lo
	s_wait_loadcnt 0x0
	v_cmp_ne_u64_e32 vcc_lo, s[20:21], v[4:5]
	s_or_b32 s7, s7, vcc_lo
	s_delay_alu instid0(SALU_CYCLE_1) | instskip(NEXT) | instid1(SALU_CYCLE_1)
	s_and_b32 s7, s7, exec_lo
	s_or_b32 s81, s8, s7
.LBB95_2739:
	s_or_b32 exec_lo, exec_lo, s6
	s_and_saveexec_b32 s6, s81
	s_cbranch_execnz .LBB95_2776
.LBB95_2740:
	s_or_b32 exec_lo, exec_lo, s6
	s_mov_b32 s7, 0
	s_and_saveexec_b32 s6, s0
	s_delay_alu instid0(SALU_CYCLE_1)
	s_xor_b32 s0, exec_lo, s6
	s_cbranch_execz .LBB95_2742
; %bb.2741:
	s_wait_loadcnt 0x0
	v_cmp_ne_u64_e32 vcc_lo, s[36:37], v[0:1]
	s_xor_b32 s6, vcc_hi, -1
	s_and_not1_b32 s8, s80, exec_lo
	s_mov_b32 s7, exec_lo
	s_or_b32 s6, s6, vcc_lo
	s_delay_alu instid0(SALU_CYCLE_1) | instskip(NEXT) | instid1(SALU_CYCLE_1)
	s_and_b32 s6, s6, exec_lo
	s_or_b32 s80, s8, s6
.LBB95_2742:
	s_or_b32 exec_lo, exec_lo, s0
	s_and_saveexec_b32 s0, s80
	s_cbranch_execnz .LBB95_2777
.LBB95_2743:
	s_or_b32 exec_lo, exec_lo, s0
	s_mov_b32 s6, 0
	s_and_saveexec_b32 s0, s7
	s_delay_alu instid0(SALU_CYCLE_1)
	s_xor_b32 s7, exec_lo, s0
	s_cbranch_execz .LBB95_2755
; %bb.2744:
	s_load_b512 s[8:23], s[2:3], 0x248
	s_wait_loadcnt 0x0
	v_sub_nc_u64_e32 v[0:1], v[12:13], v[10:11]
	s_wait_kmcnt 0x0
	s_and_not1_b32 s8, s39, exec_lo
	s_mov_b32 s6, exec_lo
	s_mov_b64 s[16:17], s[20:21]
	s_mov_b64 s[18:19], s[22:23]
	s_delay_alu instid0(VALU_DEP_1) | instskip(SKIP_2) | instid1(SALU_CYCLE_1)
	v_cmp_le_i64_e32 vcc_lo, s[16:17], v[0:1]
	v_cmp_ge_i64_e64 s0, s[18:19], v[0:1]
	s_and_b32 s0, vcc_lo, s0
	s_and_b32 s0, s104, s0
	s_delay_alu instid0(SALU_CYCLE_1) | instskip(NEXT) | instid1(SALU_CYCLE_1)
	s_xor_b32 s0, s0, -1
	s_and_b32 s0, s0, exec_lo
	s_delay_alu instid0(SALU_CYCLE_1)
	s_or_b32 s39, s8, s0
	s_or_b32 exec_lo, exec_lo, s7
	s_and_saveexec_b32 s0, s39
	s_cbranch_execz .LBB95_2756
.LBB95_2745:
	s_or_b32 s1, s1, exec_lo
	s_and_not1_b32 s6, s6, exec_lo
	s_trap 2
	s_or_b32 exec_lo, exec_lo, s0
	s_mov_b32 s8, 0
	s_and_saveexec_b32 s16, s6
	s_cbranch_execnz .LBB95_2757
.LBB95_2746:
	s_or_b32 exec_lo, exec_lo, s16
	s_and_saveexec_b32 s0, s65
	s_cbranch_execnz .LBB95_2775
.LBB95_2747:
	s_or_b32 exec_lo, exec_lo, s0
	s_mov_b32 s9, 0
	s_mov_b32 s7, 0
                                        ; implicit-def: $sgpr0
                                        ; implicit-def: $vgpr0_vgpr1
	s_and_saveexec_b32 s6, s8
	s_cbranch_execz .LBB95_2764
; %bb.2748:
	s_load_b512 s[8:23], s[2:3], 0x248
	v_mov_b32_e32 v3, 0
	s_and_b32 s0, s74, 0xff
	s_delay_alu instid0(SALU_CYCLE_1)
	s_cmp_lt_i32 s0, 11
	s_wait_loadcnt 0x0
	s_wait_kmcnt 0x0
	v_add_nc_u64_e32 v[0:1], s[8:9], v[2:3]
	s_cbranch_scc1 .LBB95_2772
; %bb.2749:
	s_and_b32 s5, 0xffff, s0
	s_mov_b32 s7, -1
	s_cmp_gt_i32 s5, 25
	s_mov_b32 s4, s64
	s_cbranch_scc0 .LBB95_2797
; %bb.2750:
	s_cmp_gt_i32 s5, 28
	s_mov_b32 s4, s64
	s_cbranch_scc0 .LBB95_2787
; %bb.2751:
	;; [unrolled: 4-line block ×4, first 2 shown]
	s_cmp_eq_u32 s5, 46
	s_mov_b32 s4, -1
	s_cbranch_scc0 .LBB95_2778
; %bb.2754:
	v_mov_b32_e32 v2, 0
	s_mov_b32 s4, 0
	s_mov_b32 s7, 0
	global_store_b32 v[0:1], v2, off
	s_branch .LBB95_2779
.LBB95_2755:
	s_or_b32 exec_lo, exec_lo, s7
	s_and_saveexec_b32 s0, s39
	s_cbranch_execnz .LBB95_2745
.LBB95_2756:
	s_or_b32 exec_lo, exec_lo, s0
	s_mov_b32 s8, 0
	s_and_saveexec_b32 s16, s6
	s_cbranch_execz .LBB95_2746
.LBB95_2757:
	v_cmp_lt_i64_e64 s0, s[36:37], 1
	s_wait_loadcnt 0x0
	v_mov_b64_e32 v[0:1], 0
	s_xor_b32 s6, s49, -1
	s_delay_alu instid0(SALU_CYCLE_1) | instskip(NEXT) | instid1(SALU_CYCLE_1)
	s_or_b32 s0, s0, s6
	s_and_b32 vcc_lo, exec_lo, s0
	s_cbranch_vccnz .LBB95_2767
; %bb.2758:
	v_mul_u64_e32 v[6:7], s[36:37], v[14:15]
	s_mov_b32 s35, 0
	v_mov_b64_e32 v[0:1], 0
	s_lshl_b64 s[8:9], s[34:35], 3
	v_mov_b32_e32 v4, 0
	s_add_nc_u64 s[8:9], s[2:3], s[8:9]
	s_mov_b64 s[6:7], 0xffffffff
	s_add_nc_u64 s[8:9], s[8:9], 0x298
	s_branch .LBB95_2760
.LBB95_2759:                            ;   in Loop: Header=BB95_2760 Depth=1
	s_or_b32 exec_lo, exec_lo, s0
	s_delay_alu instid0(VALU_DEP_1)
	v_mul_u64_e32 v[14:15], s[10:11], v[8:9]
	s_load_b64 s[10:11], s[8:9], 0x40
	s_add_co_i32 s38, s38, -1
	s_wait_xcnt 0x0
	s_add_nc_u64 s[8:9], s[8:9], -8
	s_cmp_lg_u32 s38, 0
	s_delay_alu instid0(VALU_DEP_1) | instskip(SKIP_1) | instid1(VALU_DEP_1)
	v_sub_nc_u64_e32 v[6:7], v[6:7], v[14:15]
	s_wait_kmcnt 0x0
	v_mad_nc_u64_u32 v[0:1], v6, s10, v[0:1]
	s_delay_alu instid0(VALU_DEP_1) | instskip(NEXT) | instid1(VALU_DEP_1)
	v_mad_u32 v1, v7, s10, v1
	v_mad_u32 v1, v6, s11, v1
	v_mov_b64_e32 v[6:7], v[8:9]
	s_cbranch_scc0 .LBB95_2767
.LBB95_2760:                            ; =>This Inner Loop Header: Depth=1
	s_load_b64 s[10:11], s[8:9], 0x0
                                        ; implicit-def: $vgpr8_vgpr9
	s_mov_b32 s0, exec_lo
	s_wait_kmcnt 0x0
	s_delay_alu instid0(VALU_DEP_1) | instskip(NEXT) | instid1(VALU_DEP_1)
	v_or_b32_e32 v5, s11, v7
	v_cmpx_ne_u64_e32 0, v[4:5]
	s_xor_b32 s17, exec_lo, s0
	s_cbranch_execz .LBB95_2762
; %bb.2761:                             ;   in Loop: Header=BB95_2760 Depth=1
	s_ashr_i32 s12, s11, 31
	v_dual_mov_b32 v17, v4 :: v_dual_ashrrev_i32 v8, 31, v7
	s_mov_b32 s13, s12
	v_mov_b32_e32 v25, v4
	s_add_nc_u64 s[14:15], s[10:11], s[12:13]
	s_delay_alu instid0(VALU_DEP_2) | instskip(SKIP_1) | instid1(SALU_CYCLE_1)
	v_mov_b32_e32 v9, v8
	s_xor_b64 s[14:15], s[14:15], s[12:13]
	s_cvt_f32_u32 s0, s14
	s_cvt_f32_u32 s13, s15
	s_sub_nc_u64 s[20:21], 0, s[14:15]
	v_add_nc_u64_e32 v[14:15], v[6:7], v[8:9]
	v_mov_b32_e32 v21, v4
	s_fmamk_f32 s0, s13, 0x4f800000, s0
	s_delay_alu instid0(SALU_CYCLE_3) | instskip(NEXT) | instid1(VALU_DEP_2)
	v_s_rcp_f32 s0, s0
	v_xor_b32_e32 v16, v14, v8
	s_delay_alu instid0(VALU_DEP_3) | instskip(SKIP_1) | instid1(TRANS32_DEP_1)
	v_xor_b32_e32 v20, v15, v8
	v_xor_b32_e32 v8, s12, v8
	s_mul_f32 s0, s0, 0x5f7ffffc
	s_delay_alu instid0(SALU_CYCLE_3) | instskip(NEXT) | instid1(SALU_CYCLE_3)
	s_mul_f32 s13, s0, 0x2f800000
	s_trunc_f32 s13, s13
	s_delay_alu instid0(SALU_CYCLE_3) | instskip(SKIP_1) | instid1(SALU_CYCLE_2)
	s_fmamk_f32 s0, s13, 0xcf800000, s0
	s_cvt_u32_f32 s19, s13
	s_cvt_u32_f32 s18, s0
	s_delay_alu instid0(SALU_CYCLE_3) | instskip(NEXT) | instid1(SALU_CYCLE_1)
	s_mul_u64 s[22:23], s[20:21], s[18:19]
	s_mul_hi_u32 s25, s18, s23
	s_mul_i32 s24, s18, s23
	s_mul_hi_u32 s34, s18, s22
	s_mul_i32 s13, s19, s22
	s_add_nc_u64 s[24:25], s[34:35], s[24:25]
	s_mul_hi_u32 s0, s19, s22
	s_mul_hi_u32 s26, s19, s23
	s_add_co_u32 s13, s24, s13
	s_add_co_ci_u32 s34, s25, s0
	s_mul_i32 s22, s19, s23
	s_add_co_ci_u32 s23, s26, 0
	s_delay_alu instid0(SALU_CYCLE_1) | instskip(NEXT) | instid1(SALU_CYCLE_1)
	s_add_nc_u64 s[22:23], s[34:35], s[22:23]
	s_add_co_u32 s18, s18, s22
	s_cselect_b32 s0, -1, 0
	s_delay_alu instid0(SALU_CYCLE_1) | instskip(SKIP_1) | instid1(SALU_CYCLE_1)
	s_cmp_lg_u32 s0, 0
	s_add_co_ci_u32 s19, s19, s23
	s_mul_u64 s[20:21], s[20:21], s[18:19]
	s_delay_alu instid0(SALU_CYCLE_1)
	s_mul_hi_u32 s23, s18, s21
	s_mul_i32 s22, s18, s21
	s_mul_hi_u32 s34, s18, s20
	s_mul_i32 s13, s19, s20
	s_add_nc_u64 s[22:23], s[34:35], s[22:23]
	s_mul_hi_u32 s0, s19, s20
	s_mul_hi_u32 s24, s19, s21
	s_add_co_u32 s13, s22, s13
	s_add_co_ci_u32 s34, s23, s0
	s_mul_i32 s20, s19, s21
	s_add_co_ci_u32 s21, s24, 0
	s_delay_alu instid0(SALU_CYCLE_1) | instskip(NEXT) | instid1(SALU_CYCLE_1)
	s_add_nc_u64 s[20:21], s[34:35], s[20:21]
	s_add_co_u32 s0, s18, s20
	s_cselect_b32 s13, -1, 0
	v_mul_hi_u32 v24, v16, s0
	s_cmp_lg_u32 s13, 0
	s_add_co_ci_u32 s34, s19, s21
	s_and_b64 s[18:19], s[0:1], s[6:7]
	v_mul_u64_e32 v[18:19], s[34:35], v[16:17]
	v_mul_u64_e32 v[14:15], s[18:19], v[20:21]
	v_mul_u64_e32 v[22:23], s[34:35], v[20:21]
	s_delay_alu instid0(VALU_DEP_3) | instskip(NEXT) | instid1(VALU_DEP_1)
	v_add_nc_u64_e32 v[18:19], v[24:25], v[18:19]
	v_add_co_u32 v3, vcc_lo, v18, v14
	s_delay_alu instid0(VALU_DEP_2) | instskip(NEXT) | instid1(VALU_DEP_4)
	v_add_co_ci_u32_e32 v24, vcc_lo, v19, v15, vcc_lo
	v_add_co_ci_u32_e32 v23, vcc_lo, 0, v23, vcc_lo
	s_delay_alu instid0(VALU_DEP_1) | instskip(NEXT) | instid1(VALU_DEP_1)
	v_add_nc_u64_e32 v[14:15], v[24:25], v[22:23]
	v_mul_u64_e32 v[18:19], s[14:15], v[14:15]
	s_delay_alu instid0(VALU_DEP_1) | instskip(NEXT) | instid1(VALU_DEP_2)
	v_sub_nc_u32_e32 v3, v20, v19
	v_sub_co_u32 v5, vcc_lo, v16, v18
	s_delay_alu instid0(VALU_DEP_1) | instskip(NEXT) | instid1(VALU_DEP_3)
	v_sub_co_ci_u32_e64 v20, null, v20, v19, vcc_lo
	v_subrev_co_ci_u32_e64 v3, null, s15, v3, vcc_lo
	s_delay_alu instid0(VALU_DEP_3) | instskip(SKIP_1) | instid1(VALU_DEP_3)
	v_sub_co_u32 v9, s0, v5, s14
	v_add_nc_u64_e32 v[18:19], 1, v[14:15]
	v_subrev_co_ci_u32_e64 v3, null, 0, v3, s0
	s_delay_alu instid0(VALU_DEP_3) | instskip(SKIP_1) | instid1(VALU_DEP_3)
	v_cmp_le_u32_e32 vcc_lo, s14, v9
	v_cndmask_b32_e64 v9, 0, -1, vcc_lo
	v_cmp_le_u32_e32 vcc_lo, s15, v3
	v_cndmask_b32_e64 v16, 0, -1, vcc_lo
	;; [unrolled: 2-line block ×4, first 2 shown]
	v_cmp_eq_u32_e32 vcc_lo, s15, v3
	v_cndmask_b32_e32 v3, v16, v9, vcc_lo
	v_cmp_eq_u32_e32 vcc_lo, s15, v20
	v_add_nc_u64_e32 v[16:17], 2, v[14:15]
	v_dual_mov_b32 v9, v8 :: v_dual_cndmask_b32 v5, v21, v5, vcc_lo
	s_delay_alu instid0(VALU_DEP_4) | instskip(NEXT) | instid1(VALU_DEP_2)
	v_cmp_ne_u32_e32 vcc_lo, 0, v3
	v_cmp_ne_u32_e64 s0, 0, v5
	s_delay_alu instid0(VALU_DEP_4) | instskip(NEXT) | instid1(VALU_DEP_1)
	v_dual_cndmask_b32 v3, v19, v17, vcc_lo :: v_dual_cndmask_b32 v5, v18, v16, vcc_lo
	v_dual_cndmask_b32 v3, v15, v3, s0 :: v_dual_cndmask_b32 v5, v14, v5, s0
	s_delay_alu instid0(VALU_DEP_1) | instskip(NEXT) | instid1(VALU_DEP_2)
	v_xor_b32_e32 v15, v3, v8
	v_xor_b32_e32 v14, v5, v8
	s_delay_alu instid0(VALU_DEP_1)
	v_sub_nc_u64_e32 v[8:9], v[14:15], v[8:9]
.LBB95_2762:                            ;   in Loop: Header=BB95_2760 Depth=1
	s_and_not1_saveexec_b32 s0, s17
	s_cbranch_execz .LBB95_2759
; %bb.2763:                             ;   in Loop: Header=BB95_2760 Depth=1
	v_cvt_f32_u32_e32 v3, s10
	s_sub_co_i32 s12, 0, s10
	s_delay_alu instid0(VALU_DEP_1) | instskip(SKIP_1) | instid1(TRANS32_DEP_1)
	v_rcp_iflag_f32_e32 v3, v3
	v_nop
	v_mul_f32_e32 v3, 0x4f7ffffe, v3
	s_delay_alu instid0(VALU_DEP_1) | instskip(NEXT) | instid1(VALU_DEP_1)
	v_cvt_u32_f32_e32 v3, v3
	v_mul_lo_u32 v5, s12, v3
	s_delay_alu instid0(VALU_DEP_1) | instskip(NEXT) | instid1(VALU_DEP_1)
	v_mul_hi_u32 v5, v3, v5
	v_add_nc_u32_e32 v3, v3, v5
	s_delay_alu instid0(VALU_DEP_1) | instskip(NEXT) | instid1(VALU_DEP_1)
	v_mul_hi_u32 v3, v6, v3
	v_mul_lo_u32 v5, v3, s10
	s_delay_alu instid0(VALU_DEP_1) | instskip(NEXT) | instid1(VALU_DEP_1)
	v_sub_nc_u32_e32 v5, v6, v5
	v_subrev_nc_u32_e32 v9, s10, v5
	v_cmp_le_u32_e32 vcc_lo, s10, v5
	s_delay_alu instid0(VALU_DEP_2) | instskip(NEXT) | instid1(VALU_DEP_1)
	v_dual_cndmask_b32 v5, v5, v9 :: v_dual_add_nc_u32 v8, 1, v3
	v_dual_cndmask_b32 v3, v3, v8, vcc_lo :: v_dual_mov_b32 v9, v4
	s_delay_alu instid0(VALU_DEP_2) | instskip(NEXT) | instid1(VALU_DEP_2)
	v_cmp_le_u32_e32 vcc_lo, s10, v5
	v_add_nc_u32_e32 v8, 1, v3
	s_delay_alu instid0(VALU_DEP_1)
	v_cndmask_b32_e32 v8, v3, v8, vcc_lo
	s_branch .LBB95_2759
.LBB95_2764:
	s_or_b32 exec_lo, exec_lo, s6
	s_and_saveexec_b32 s4, s64
	s_cbranch_execnz .LBB95_2817
.LBB95_2765:
	s_or_b32 exec_lo, exec_lo, s4
	s_and_saveexec_b32 s4, s9
	s_delay_alu instid0(SALU_CYCLE_1)
	s_xor_b32 s4, exec_lo, s4
	s_cbranch_execz .LBB95_2818
.LBB95_2766:
	v_mov_b32_e32 v2, 0
	s_wait_loadcnt 0x0
	global_store_b8 v[0:1], v2, off
	s_wait_xcnt 0x0
	s_or_b32 exec_lo, exec_lo, s4
	s_and_saveexec_b32 s4, s7
	s_delay_alu instid0(SALU_CYCLE_1)
	s_xor_b32 s4, exec_lo, s4
	s_cbranch_execz .LBB95_2856
	s_branch .LBB95_2819
.LBB95_2767:
	s_mov_b32 s6, s65
	s_mov_b32 s0, exec_lo
	v_cmpx_gt_i64_e64 v[12:13], v[10:11]
	s_cbranch_execz .LBB95_2774
; %bb.2768:
	s_delay_alu instid0(VALU_DEP_2) | instskip(SKIP_2) | instid1(VALU_DEP_1)
	v_lshlrev_b64_e32 v[0:1], 3, v[0:1]
	s_mov_b32 s6, 0
	s_xor_b32 s8, s71, -1
                                        ; implicit-def: $sgpr7
                                        ; implicit-def: $sgpr10
                                        ; implicit-def: $sgpr9
	v_lshl_add_u64 v[4:5], v[10:11], 3, v[0:1]
	v_add_nc_u64_e32 v[6:7], s[72:73], v[0:1]
	s_delay_alu instid0(VALU_DEP_2) | instskip(NEXT) | instid1(VALU_DEP_1)
	v_add_nc_u64_e32 v[4:5], s[72:73], v[4:5]
	v_add_nc_u64_e32 v[0:1], 8, v[4:5]
	s_delay_alu instid0(VALU_DEP_3)
	v_lshl_add_u64 v[4:5], v[12:13], 3, v[6:7]
	s_branch .LBB95_2770
.LBB95_2769:                            ;   in Loop: Header=BB95_2770 Depth=1
	s_or_b32 exec_lo, exec_lo, s11
	s_xor_b32 s11, s9, -1
	s_and_b32 s12, exec_lo, s10
	s_delay_alu instid0(SALU_CYCLE_1) | instskip(SKIP_2) | instid1(SALU_CYCLE_1)
	s_or_b32 s6, s12, s6
	s_and_not1_b32 s7, s7, exec_lo
	s_and_b32 s11, s11, exec_lo
	s_or_b32 s7, s7, s11
	s_and_not1_b32 exec_lo, exec_lo, s6
	s_cbranch_execz .LBB95_2773
.LBB95_2770:                            ; =>This Inner Loop Header: Depth=1
	s_or_b32 s9, s9, exec_lo
	s_or_b32 s10, s10, exec_lo
	s_mov_b32 s11, exec_lo
	s_delay_alu instid0(VALU_DEP_2)
	v_cmpx_lt_u64_e64 v[0:1], v[4:5]
	s_cbranch_execz .LBB95_2769
; %bb.2771:                             ;   in Loop: Header=BB95_2770 Depth=1
	global_load_b128 v[6:9], v[0:1], off offset:-8
	s_wait_xcnt 0x0
	v_add_nc_u64_e32 v[0:1], 8, v[0:1]
	s_and_not1_b32 s10, s10, exec_lo
	s_and_not1_b32 s9, s9, exec_lo
	s_wait_loadcnt 0x0
	v_cmp_ge_i64_e32 vcc_lo, v[6:7], v[8:9]
	s_or_b32 s12, s8, vcc_lo
	s_delay_alu instid0(SALU_CYCLE_1) | instskip(NEXT) | instid1(SALU_CYCLE_1)
	s_and_b32 s12, s12, exec_lo
	s_or_b32 s10, s10, s12
	s_branch .LBB95_2769
.LBB95_2772:
	s_mov_b32 s8, 0
	s_mov_b32 s7, -1
	s_mov_b32 s4, s64
	s_branch .LBB95_2816
.LBB95_2773:
	s_or_b32 exec_lo, exec_lo, s6
	s_delay_alu instid0(SALU_CYCLE_1) | instskip(SKIP_1) | instid1(SALU_CYCLE_1)
	s_and_not1_b32 s6, s65, exec_lo
	s_and_b32 s7, s7, exec_lo
	s_or_b32 s6, s6, s7
.LBB95_2774:
	s_or_b32 exec_lo, exec_lo, s0
	s_delay_alu instid0(SALU_CYCLE_1)
	s_and_not1_b32 s0, s65, exec_lo
	s_and_b32 s6, s6, exec_lo
	s_mov_b32 s8, exec_lo
	s_or_b32 s65, s0, s6
	s_or_b32 exec_lo, exec_lo, s16
	s_and_saveexec_b32 s0, s65
	s_cbranch_execz .LBB95_2747
.LBB95_2775:
	s_or_b32 s1, s1, exec_lo
	s_and_not1_b32 s8, s8, exec_lo
	s_trap 2
	s_branch .LBB95_2747
.LBB95_2776:
	s_or_b32 s1, s1, exec_lo
	s_and_not1_b32 s0, s0, exec_lo
	s_trap 2
	s_branch .LBB95_2740
.LBB95_2777:
	s_or_b32 s1, s1, exec_lo
	s_and_not1_b32 s7, s7, exec_lo
	s_trap 2
	s_branch .LBB95_2743
.LBB95_2778:
	s_mov_b32 s7, 0
.LBB95_2779:
	s_delay_alu instid0(SALU_CYCLE_1)
	s_and_b32 vcc_lo, exec_lo, s7
	s_cbranch_vccz .LBB95_2782
; %bb.2780:
	s_cmp_eq_u32 s5, 44
	s_mov_b32 s4, -1
	s_cbranch_scc0 .LBB95_2782
; %bb.2781:
	s_wait_xcnt 0x0
	v_mov_b32_e32 v2, 0
	s_mov_b32 s4, 0
	s_mov_b32 s7, 0
	global_store_b8 v[0:1], v2, off
	s_branch .LBB95_2783
.LBB95_2782:
	s_mov_b32 s7, 0
.LBB95_2783:
	s_delay_alu instid0(SALU_CYCLE_1)
	s_and_b32 vcc_lo, exec_lo, s7
	s_cbranch_vccz .LBB95_2786
; %bb.2784:
	s_cmp_eq_u32 s5, 29
	s_mov_b32 s4, -1
	s_cbranch_scc0 .LBB95_2786
; %bb.2785:
	s_wait_xcnt 0x0
	v_mov_b64_e32 v[2:3], 0
	s_mov_b32 s4, 0
	s_mov_b32 s7, 0
	global_store_b64 v[0:1], v[2:3], off
	s_branch .LBB95_2787
.LBB95_2786:
	s_mov_b32 s7, 0
.LBB95_2787:
	s_delay_alu instid0(SALU_CYCLE_1)
	s_and_b32 vcc_lo, exec_lo, s7
	s_cbranch_vccz .LBB95_2796
; %bb.2788:
	s_cmp_lt_i32 s5, 27
	s_mov_b32 s7, -1
	s_cbranch_scc1 .LBB95_2794
; %bb.2789:
	s_cmp_gt_i32 s5, 27
	s_cbranch_scc0 .LBB95_2791
; %bb.2790:
	s_wait_xcnt 0x0
	v_mov_b32_e32 v2, 0
	s_mov_b32 s7, 0
	global_store_b32 v[0:1], v2, off
.LBB95_2791:
	s_and_not1_b32 vcc_lo, exec_lo, s7
	s_cbranch_vccnz .LBB95_2793
; %bb.2792:
	s_wait_xcnt 0x0
	v_mov_b32_e32 v2, 0
	global_store_b16 v[0:1], v2, off
.LBB95_2793:
	s_mov_b32 s7, 0
.LBB95_2794:
	s_delay_alu instid0(SALU_CYCLE_1)
	s_and_not1_b32 vcc_lo, exec_lo, s7
	s_cbranch_vccnz .LBB95_2796
; %bb.2795:
	s_wait_xcnt 0x0
	v_mov_b32_e32 v2, 0
	global_store_b8 v[0:1], v2, off
.LBB95_2796:
	s_mov_b32 s7, 0
.LBB95_2797:
	s_delay_alu instid0(SALU_CYCLE_1)
	s_and_b32 vcc_lo, exec_lo, s7
	s_mov_b32 s7, 0
	s_cbranch_vccz .LBB95_2815
; %bb.2798:
	s_cmp_gt_i32 s5, 22
	s_mov_b32 s8, -1
	s_cbranch_scc0 .LBB95_2808
; %bb.2799:
	s_cmp_lt_i32 s5, 24
	s_cbranch_scc1 .LBB95_2805
; %bb.2800:
	s_cmp_gt_i32 s5, 24
	s_cbranch_scc0 .LBB95_2802
; %bb.2801:
	s_wait_xcnt 0x0
	v_mov_b32_e32 v2, 0
	s_mov_b32 s8, 0
	global_store_b8 v[0:1], v2, off
.LBB95_2802:
	s_and_not1_b32 vcc_lo, exec_lo, s8
	s_cbranch_vccnz .LBB95_2804
; %bb.2803:
	s_wait_xcnt 0x0
	v_mov_b32_e32 v2, 0
	global_store_b8 v[0:1], v2, off
.LBB95_2804:
	s_mov_b32 s8, 0
.LBB95_2805:
	s_delay_alu instid0(SALU_CYCLE_1)
	s_and_not1_b32 vcc_lo, exec_lo, s8
	s_cbranch_vccnz .LBB95_2807
; %bb.2806:
	s_wait_xcnt 0x0
	v_mov_b32_e32 v2, 0
	global_store_b8 v[0:1], v2, off
.LBB95_2807:
	s_mov_b32 s8, 0
.LBB95_2808:
	s_delay_alu instid0(SALU_CYCLE_1)
	s_and_not1_b32 vcc_lo, exec_lo, s8
	s_mov_b32 s8, 0
	s_cbranch_vccnz .LBB95_2816
; %bb.2809:
	s_cmp_gt_i32 s5, 14
	s_mov_b32 s8, -1
	s_cbranch_scc0 .LBB95_2813
; %bb.2810:
	s_cmp_eq_u32 s5, 15
	s_mov_b32 s4, -1
	s_cbranch_scc0 .LBB95_2812
; %bb.2811:
	s_wait_xcnt 0x0
	v_mov_b32_e32 v2, 0
	s_mov_b32 s4, 0
	global_store_b16 v[0:1], v2, off
.LBB95_2812:
	s_mov_b32 s8, 0
.LBB95_2813:
	s_delay_alu instid0(SALU_CYCLE_1)
	s_and_b32 vcc_lo, exec_lo, s8
	s_mov_b32 s8, 0
	s_cbranch_vccz .LBB95_2816
; %bb.2814:
	s_cmp_lg_u32 s5, 11
	s_mov_b32 s8, -1
	s_cselect_b32 s5, -1, 0
	s_and_not1_b32 s4, s4, exec_lo
	s_and_b32 s5, s5, exec_lo
	s_delay_alu instid0(SALU_CYCLE_1)
	s_or_b32 s4, s4, s5
	s_branch .LBB95_2816
.LBB95_2815:
	s_mov_b32 s8, 0
.LBB95_2816:
	s_and_not1_b32 s5, s64, exec_lo
	s_and_b32 s4, s4, exec_lo
	s_and_b32 s7, s7, exec_lo
	;; [unrolled: 1-line block ×3, first 2 shown]
	s_or_b32 s64, s5, s4
	s_wait_xcnt 0x0
	s_or_b32 exec_lo, exec_lo, s6
	s_and_saveexec_b32 s4, s64
	s_cbranch_execz .LBB95_2765
.LBB95_2817:
	s_or_b32 s1, s1, exec_lo
	s_and_not1_b32 s9, s9, exec_lo
	s_trap 2
	s_or_b32 exec_lo, exec_lo, s4
	s_and_saveexec_b32 s4, s9
	s_delay_alu instid0(SALU_CYCLE_1)
	s_xor_b32 s4, exec_lo, s4
	s_cbranch_execnz .LBB95_2766
.LBB95_2818:
	s_or_b32 exec_lo, exec_lo, s4
	s_and_saveexec_b32 s4, s7
	s_delay_alu instid0(SALU_CYCLE_1)
	s_xor_b32 s4, exec_lo, s4
	s_cbranch_execz .LBB95_2856
.LBB95_2819:
	s_sext_i32_i16 s6, s0
	s_mov_b32 s5, -1
	s_cmp_lt_i32 s6, 5
	s_cbranch_scc1 .LBB95_2840
; %bb.2820:
	s_cmp_lt_i32 s6, 8
	s_cbranch_scc1 .LBB95_2830
; %bb.2821:
	;; [unrolled: 3-line block ×3, first 2 shown]
	s_cmp_gt_i32 s6, 9
	s_cbranch_scc0 .LBB95_2824
; %bb.2823:
	v_mov_b32_e32 v2, 0
	s_mov_b32 s5, 0
	s_wait_loadcnt 0x0
	s_delay_alu instid0(VALU_DEP_1)
	v_dual_mov_b32 v3, v2 :: v_dual_mov_b32 v4, v2
	v_mov_b32_e32 v5, v2
	global_store_b128 v[0:1], v[2:5], off
.LBB95_2824:
	s_and_not1_b32 vcc_lo, exec_lo, s5
	s_cbranch_vccnz .LBB95_2826
; %bb.2825:
	s_wait_xcnt 0x0
	v_mov_b64_e32 v[2:3], 0
	s_wait_loadcnt 0x0
	global_store_b64 v[0:1], v[2:3], off
.LBB95_2826:
	s_mov_b32 s5, 0
.LBB95_2827:
	s_delay_alu instid0(SALU_CYCLE_1)
	s_and_not1_b32 vcc_lo, exec_lo, s5
	s_cbranch_vccnz .LBB95_2829
; %bb.2828:
	s_wait_xcnt 0x0
	v_mov_b32_e32 v2, 0
	s_wait_loadcnt 0x0
	global_store_b32 v[0:1], v2, off
.LBB95_2829:
	s_mov_b32 s5, 0
.LBB95_2830:
	s_delay_alu instid0(SALU_CYCLE_1)
	s_and_not1_b32 vcc_lo, exec_lo, s5
	s_cbranch_vccnz .LBB95_2839
; %bb.2831:
	s_sext_i32_i16 s6, s0
	s_mov_b32 s5, -1
	s_cmp_lt_i32 s6, 6
	s_cbranch_scc1 .LBB95_2837
; %bb.2832:
	s_cmp_gt_i32 s6, 6
	s_cbranch_scc0 .LBB95_2834
; %bb.2833:
	s_wait_xcnt 0x0
	v_mov_b64_e32 v[2:3], 0
	s_mov_b32 s5, 0
	s_wait_loadcnt 0x0
	global_store_b64 v[0:1], v[2:3], off
.LBB95_2834:
	s_and_not1_b32 vcc_lo, exec_lo, s5
	s_cbranch_vccnz .LBB95_2836
; %bb.2835:
	s_wait_xcnt 0x0
	v_mov_b32_e32 v2, 0
	s_wait_loadcnt 0x0
	global_store_b32 v[0:1], v2, off
.LBB95_2836:
	s_mov_b32 s5, 0
.LBB95_2837:
	s_delay_alu instid0(SALU_CYCLE_1)
	s_and_not1_b32 vcc_lo, exec_lo, s5
	s_cbranch_vccnz .LBB95_2839
; %bb.2838:
	s_wait_xcnt 0x0
	v_mov_b32_e32 v2, 0
	s_wait_loadcnt 0x0
	global_store_b16 v[0:1], v2, off
.LBB95_2839:
	s_mov_b32 s5, 0
.LBB95_2840:
	s_delay_alu instid0(SALU_CYCLE_1)
	s_and_not1_b32 vcc_lo, exec_lo, s5
	s_cbranch_vccnz .LBB95_2856
; %bb.2841:
	s_sext_i32_i16 s6, s0
	s_mov_b32 s5, -1
	s_cmp_lt_i32 s6, 2
	s_cbranch_scc1 .LBB95_2851
; %bb.2842:
	s_cmp_lt_i32 s6, 3
	s_cbranch_scc1 .LBB95_2848
; %bb.2843:
	s_cmp_gt_i32 s6, 3
	s_cbranch_scc0 .LBB95_2845
; %bb.2844:
	s_wait_xcnt 0x0
	v_mov_b64_e32 v[2:3], 0
	s_mov_b32 s5, 0
	s_wait_loadcnt 0x0
	global_store_b64 v[0:1], v[2:3], off
.LBB95_2845:
	s_and_not1_b32 vcc_lo, exec_lo, s5
	s_cbranch_vccnz .LBB95_2847
; %bb.2846:
	s_wait_xcnt 0x0
	v_mov_b32_e32 v2, 0
	s_wait_loadcnt 0x0
	global_store_b32 v[0:1], v2, off
.LBB95_2847:
	s_mov_b32 s5, 0
.LBB95_2848:
	s_delay_alu instid0(SALU_CYCLE_1)
	s_and_not1_b32 vcc_lo, exec_lo, s5
	s_cbranch_vccnz .LBB95_2850
; %bb.2849:
	s_wait_xcnt 0x0
	v_mov_b32_e32 v2, 0
	s_wait_loadcnt 0x0
	global_store_b16 v[0:1], v2, off
.LBB95_2850:
	s_mov_b32 s5, 0
.LBB95_2851:
	s_delay_alu instid0(SALU_CYCLE_1)
	s_and_not1_b32 vcc_lo, exec_lo, s5
	s_cbranch_vccnz .LBB95_2856
; %bb.2852:
	s_sext_i32_i16 s0, s0
	s_delay_alu instid0(SALU_CYCLE_1)
	s_cmp_gt_i32 s0, 0
	s_mov_b32 s0, -1
	s_cbranch_scc0 .LBB95_2854
; %bb.2853:
	s_wait_xcnt 0x0
	v_mov_b32_e32 v2, 0
	s_mov_b32 s0, 0
	s_wait_loadcnt 0x0
	global_store_b8 v[0:1], v2, off
.LBB95_2854:
	s_and_not1_b32 vcc_lo, exec_lo, s0
	s_cbranch_vccnz .LBB95_2856
; %bb.2855:
	s_wait_xcnt 0x0
	v_mov_b32_e32 v2, 0
	s_wait_loadcnt 0x0
	global_store_b8 v[0:1], v2, off
.LBB95_2856:
	s_wait_xcnt 0x0
	s_or_b32 exec_lo, exec_lo, s4
	s_delay_alu instid0(SALU_CYCLE_1)
	s_and_b32 s34, s1, exec_lo
                                        ; implicit-def: $vgpr1
                                        ; implicit-def: $vgpr0
.LBB95_2857:
	s_or_saveexec_b32 s35, s69
	s_mov_b32 s4, 0
                                        ; implicit-def: $vgpr42_vgpr43
                                        ; implicit-def: $sgpr0
	s_xor_b32 exec_lo, exec_lo, s35
	s_cbranch_execz .LBB95_3534
; %bb.2858:
	v_cndmask_b32_e64 v3, 0, 1, s68
	s_and_not1_b32 vcc_lo, exec_lo, s68
	s_cbranch_vccnz .LBB95_2864
; %bb.2859:
	s_cmp_lg_u32 s33, 0
	s_mov_b32 s6, 0
	s_cbranch_scc0 .LBB95_2868
; %bb.2860:
	s_min_u32 s7, s66, 15
	s_wait_loadcnt 0x0
	v_dual_mov_b32 v44, 0 :: v_dual_mov_b32 v2, v0
	v_dual_mov_b32 v42, 0 :: v_dual_mov_b32 v12, 0
	;; [unrolled: 1-line block ×3, first 2 shown]
	v_mov_b32_e32 v8, 0
	s_add_co_i32 s4, s7, 1
	s_mov_b64 s[0:1], 0xffffffffffffffd0
	s_and_b32 s8, s4, 30
	s_add_nc_u64 s[0:1], s[2:3], s[0:1]
	s_mov_b64 s[4:5], s[2:3]
.LBB95_2861:                            ; =>This Inner Loop Header: Depth=1
	s_clause 0x1
	s_load_b128 s[20:23], s[4:5], 0x4
	s_load_b64 s[10:11], s[4:5], 0x14
	s_clause 0x1
	s_load_b256 s[12:19], s[0:1], 0xf4
	s_load_b128 s[24:27], s[0:1], 0x114
	s_add_co_i32 s8, s8, -2
	s_wait_xcnt 0x0
	s_add_nc_u64 s[4:5], s[4:5], 24
	s_cmp_lg_u32 s8, 0
	s_add_nc_u64 s[0:1], s[0:1], 48
	s_wait_kmcnt 0x0
	v_mul_hi_u32 v4, s21, v2
	s_delay_alu instid0(VALU_DEP_1) | instskip(NEXT) | instid1(VALU_DEP_1)
	v_add_nc_u32_e32 v4, v2, v4
	v_lshrrev_b32_e32 v4, s22, v4
	s_delay_alu instid0(VALU_DEP_1) | instskip(SKIP_1) | instid1(VALU_DEP_1)
	v_mul_hi_u32 v5, s10, v4
	v_mul_lo_u32 v7, v4, s20
	v_dual_add_nc_u32 v5, v4, v5 :: v_dual_sub_nc_u32 v7, v2, v7
	s_delay_alu instid0(VALU_DEP_1) | instskip(NEXT) | instid1(VALU_DEP_2)
	v_lshrrev_b32_e32 v2, s11, v5
	v_mad_u32 v5, v7, s13, v8
	v_mad_u32 v6, v7, s12, v6
	;; [unrolled: 1-line block ×4, first 2 shown]
	v_mul_lo_u32 v8, v2, s23
	v_mad_u32 v11, s17, v7, v42
	v_mad_u32 v7, s16, v7, v44
	s_delay_alu instid0(VALU_DEP_3) | instskip(NEXT) | instid1(VALU_DEP_1)
	v_sub_nc_u32_e32 v4, v4, v8
	v_mad_u32 v8, v4, s19, v5
	v_mad_u32 v6, v4, s18, v6
	;; [unrolled: 1-line block ×6, first 2 shown]
	s_cbranch_scc1 .LBB95_2861
; %bb.2862:
	s_bitcmp1_b32 s7, 0
	s_cselect_b32 s7, -1, 0
	s_delay_alu instid0(SALU_CYCLE_1)
	s_and_b32 vcc_lo, exec_lo, s7
	s_cbranch_vccnz .LBB95_2865
; %bb.2863:
	s_load_b96 s[12:14], s[4:5], 0x4
	s_load_b128 s[8:11], s[0:1], 0xf4
	s_wait_xcnt 0x0
	s_load_b64 s[4:5], s[0:1], 0x104
	s_wait_kmcnt 0x0
	v_mul_hi_u32 v4, s13, v2
	s_delay_alu instid0(VALU_DEP_1) | instskip(NEXT) | instid1(VALU_DEP_1)
	v_add_nc_u32_e32 v4, v2, v4
	v_lshrrev_b32_e32 v4, s14, v4
	s_delay_alu instid0(VALU_DEP_1) | instskip(NEXT) | instid1(VALU_DEP_1)
	v_mul_lo_u32 v4, v4, s12
	v_sub_nc_u32_e32 v2, v2, v4
	s_delay_alu instid0(VALU_DEP_1)
	v_mad_u32 v6, v2, s8, v6
	v_mad_u32 v8, v2, s9, v8
	;; [unrolled: 1-line block ×6, first 2 shown]
	s_and_not1_b32 vcc_lo, exec_lo, s6
	s_cbranch_vccz .LBB95_2866
	s_branch .LBB95_2869
.LBB95_2864:
	s_mov_b32 s6, -1
                                        ; implicit-def: $vgpr8
                                        ; implicit-def: $vgpr6
                                        ; implicit-def: $vgpr46
                                        ; implicit-def: $vgpr12
                                        ; implicit-def: $vgpr42
                                        ; implicit-def: $vgpr44
.LBB95_2865:
	s_delay_alu instid0(SALU_CYCLE_1)
	s_and_not1_b32 vcc_lo, exec_lo, s6
	s_cbranch_vccnz .LBB95_2869
.LBB95_2866:
	s_clause 0x2
	s_load_b96 s[8:10], s[2:3], 0x4
	s_load_b128 s[4:7], s[2:3], 0xc4
	s_load_b64 s[0:1], s[2:3], 0xd4
	s_cmp_lt_u32 s33, 2
	s_wait_loadcnt 0x0
	s_wait_kmcnt 0x0
	v_mul_hi_u32 v2, s9, v0
	s_delay_alu instid0(VALU_DEP_1) | instskip(NEXT) | instid1(VALU_DEP_1)
	v_add_nc_u32_e32 v2, v0, v2
	v_lshrrev_b32_e32 v2, s10, v2
	s_delay_alu instid0(VALU_DEP_1) | instskip(NEXT) | instid1(VALU_DEP_1)
	v_mul_lo_u32 v4, v2, s8
	v_sub_nc_u32_e32 v4, v0, v4
	s_delay_alu instid0(VALU_DEP_1)
	v_mul_lo_u32 v8, v4, s5
	v_mul_lo_u32 v6, v4, s4
	;; [unrolled: 1-line block ×6, first 2 shown]
	s_cbranch_scc1 .LBB95_2869
; %bb.2867:
	s_clause 0x2
	s_load_b96 s[8:10], s[2:3], 0x10
	s_load_b128 s[4:7], s[2:3], 0xdc
	s_load_b64 s[0:1], s[2:3], 0xec
	s_wait_kmcnt 0x0
	v_mul_hi_u32 v4, s9, v2
	s_delay_alu instid0(VALU_DEP_1) | instskip(NEXT) | instid1(VALU_DEP_1)
	v_add_nc_u32_e32 v4, v2, v4
	v_lshrrev_b32_e32 v4, s10, v4
	s_delay_alu instid0(VALU_DEP_1) | instskip(NEXT) | instid1(VALU_DEP_1)
	v_mul_lo_u32 v4, v4, s8
	v_sub_nc_u32_e32 v2, v2, v4
	s_delay_alu instid0(VALU_DEP_1)
	v_mad_u32 v6, v2, s4, v6
	v_mad_u32 v8, v2, s5, v8
	;; [unrolled: 1-line block ×6, first 2 shown]
	s_branch .LBB95_2869
.LBB95_2868:
	s_wait_loadcnt 0x0
	v_dual_mov_b32 v8, 0 :: v_dual_mov_b32 v6, 0
	v_dual_mov_b32 v46, 0 :: v_dual_mov_b32 v12, 0
	;; [unrolled: 1-line block ×3, first 2 shown]
	s_and_not1_b32 vcc_lo, exec_lo, s6
	s_cbranch_vccz .LBB95_2866
.LBB95_2869:
	v_cmp_ne_u32_e32 vcc_lo, 1, v3
	s_wait_loadcnt 0x0
	v_add_nc_u32_e32 v2, 0x80, v0
	s_cbranch_vccnz .LBB95_2875
; %bb.2870:
	s_cmp_lg_u32 s33, 0
	s_mov_b32 s6, 0
	s_cbranch_scc0 .LBB95_2879
; %bb.2871:
	s_min_u32 s7, s66, 15
	v_dual_mov_b32 v34, 0 :: v_dual_mov_b32 v5, v2
	v_dual_mov_b32 v32, 0 :: v_dual_mov_b32 v38, 0
	;; [unrolled: 1-line block ×3, first 2 shown]
	v_mov_b32_e32 v40, 0
	s_add_co_i32 s4, s7, 1
	s_mov_b64 s[0:1], 0xffffffffffffffd0
	s_and_b32 s8, s4, 30
	s_add_nc_u64 s[0:1], s[2:3], s[0:1]
	s_mov_b64 s[4:5], s[2:3]
.LBB95_2872:                            ; =>This Inner Loop Header: Depth=1
	s_clause 0x1
	s_load_b128 s[20:23], s[4:5], 0x4
	s_load_b64 s[10:11], s[4:5], 0x14
	s_clause 0x1
	s_load_b256 s[12:19], s[0:1], 0xf4
	s_load_b128 s[24:27], s[0:1], 0x114
	s_add_co_i32 s8, s8, -2
	s_wait_xcnt 0x0
	s_add_nc_u64 s[4:5], s[4:5], 24
	s_cmp_lg_u32 s8, 0
	s_add_nc_u64 s[0:1], s[0:1], 48
	s_wait_kmcnt 0x0
	v_mul_hi_u32 v7, s21, v5
	s_delay_alu instid0(VALU_DEP_1) | instskip(NEXT) | instid1(VALU_DEP_1)
	v_add_nc_u32_e32 v7, v5, v7
	v_lshrrev_b32_e32 v7, s22, v7
	s_delay_alu instid0(VALU_DEP_1) | instskip(SKIP_1) | instid1(VALU_DEP_1)
	v_mul_hi_u32 v9, s10, v7
	v_mul_lo_u32 v10, v7, s20
	v_dual_add_nc_u32 v9, v7, v9 :: v_dual_sub_nc_u32 v10, v5, v10
	s_delay_alu instid0(VALU_DEP_1) | instskip(NEXT) | instid1(VALU_DEP_2)
	v_lshrrev_b32_e32 v5, s11, v9
	v_mad_u32 v9, v10, s13, v40
	v_mad_u32 v4, v10, s12, v4
	;; [unrolled: 1-line block ×4, first 2 shown]
	v_mul_lo_u32 v11, v5, s23
	v_mad_u32 v15, s17, v10, v32
	v_mad_u32 v10, s16, v10, v34
	s_delay_alu instid0(VALU_DEP_3) | instskip(NEXT) | instid1(VALU_DEP_1)
	v_sub_nc_u32_e32 v7, v7, v11
	v_mad_u32 v40, v7, s19, v9
	v_mad_u32 v4, v7, s18, v4
	;; [unrolled: 1-line block ×6, first 2 shown]
	s_cbranch_scc1 .LBB95_2872
; %bb.2873:
	s_bitcmp1_b32 s7, 0
	s_cselect_b32 s7, -1, 0
	s_delay_alu instid0(SALU_CYCLE_1)
	s_and_b32 vcc_lo, exec_lo, s7
	s_cbranch_vccnz .LBB95_2876
; %bb.2874:
	s_load_b96 s[12:14], s[4:5], 0x4
	s_load_b128 s[8:11], s[0:1], 0xf4
	s_wait_xcnt 0x0
	s_load_b64 s[4:5], s[0:1], 0x104
	s_wait_kmcnt 0x0
	v_mul_hi_u32 v7, s13, v5
	s_delay_alu instid0(VALU_DEP_1) | instskip(NEXT) | instid1(VALU_DEP_1)
	v_add_nc_u32_e32 v7, v5, v7
	v_lshrrev_b32_e32 v7, s14, v7
	s_delay_alu instid0(VALU_DEP_1) | instskip(NEXT) | instid1(VALU_DEP_1)
	v_mul_lo_u32 v7, v7, s12
	v_sub_nc_u32_e32 v5, v5, v7
	s_delay_alu instid0(VALU_DEP_1)
	v_mad_u32 v4, v5, s8, v4
	v_mad_u32 v40, v5, s9, v40
	;; [unrolled: 1-line block ×6, first 2 shown]
	s_and_not1_b32 vcc_lo, exec_lo, s6
	s_cbranch_vccz .LBB95_2877
	s_branch .LBB95_2880
.LBB95_2875:
	s_mov_b32 s6, -1
                                        ; implicit-def: $vgpr40
                                        ; implicit-def: $vgpr4
                                        ; implicit-def: $vgpr36
                                        ; implicit-def: $vgpr38
                                        ; implicit-def: $vgpr32
                                        ; implicit-def: $vgpr34
.LBB95_2876:
	s_delay_alu instid0(SALU_CYCLE_1)
	s_and_not1_b32 vcc_lo, exec_lo, s6
	s_cbranch_vccnz .LBB95_2880
.LBB95_2877:
	s_clause 0x2
	s_load_b96 s[8:10], s[2:3], 0x4
	s_load_b128 s[4:7], s[2:3], 0xc4
	s_load_b64 s[0:1], s[2:3], 0xd4
	s_cmp_lt_u32 s33, 2
	s_wait_kmcnt 0x0
	v_mul_hi_u32 v4, s9, v2
	s_delay_alu instid0(VALU_DEP_1) | instskip(NEXT) | instid1(VALU_DEP_1)
	v_add_nc_u32_e32 v4, v2, v4
	v_lshrrev_b32_e32 v5, s10, v4
	s_delay_alu instid0(VALU_DEP_1) | instskip(NEXT) | instid1(VALU_DEP_1)
	v_mul_lo_u32 v4, v5, s8
	v_sub_nc_u32_e32 v2, v2, v4
	s_delay_alu instid0(VALU_DEP_1)
	v_mul_lo_u32 v40, v2, s5
	v_mul_lo_u32 v4, v2, s4
	;; [unrolled: 1-line block ×6, first 2 shown]
	s_cbranch_scc1 .LBB95_2880
; %bb.2878:
	s_clause 0x2
	s_load_b96 s[8:10], s[2:3], 0x10
	s_load_b128 s[4:7], s[2:3], 0xdc
	s_load_b64 s[0:1], s[2:3], 0xec
	s_wait_kmcnt 0x0
	v_mul_hi_u32 v2, s9, v5
	s_delay_alu instid0(VALU_DEP_1) | instskip(NEXT) | instid1(VALU_DEP_1)
	v_add_nc_u32_e32 v2, v5, v2
	v_lshrrev_b32_e32 v2, s10, v2
	s_delay_alu instid0(VALU_DEP_1) | instskip(NEXT) | instid1(VALU_DEP_1)
	v_mul_lo_u32 v2, v2, s8
	v_sub_nc_u32_e32 v2, v5, v2
	s_delay_alu instid0(VALU_DEP_1)
	v_mad_u32 v4, v2, s4, v4
	v_mad_u32 v40, v2, s5, v40
	;; [unrolled: 1-line block ×6, first 2 shown]
	s_branch .LBB95_2880
.LBB95_2879:
	v_dual_mov_b32 v40, 0 :: v_dual_mov_b32 v4, 0
	v_dual_mov_b32 v36, 0 :: v_dual_mov_b32 v38, 0
	;; [unrolled: 1-line block ×3, first 2 shown]
	s_and_not1_b32 vcc_lo, exec_lo, s6
	s_cbranch_vccz .LBB95_2877
.LBB95_2880:
	v_cmp_ne_u32_e32 vcc_lo, 1, v3
	v_add_nc_u32_e32 v0, 0x100, v0
	s_cbranch_vccnz .LBB95_2886
; %bb.2881:
	s_cmp_lg_u32 s33, 0
	s_mov_b32 s6, 0
	s_cbranch_scc0 .LBB95_2890
; %bb.2882:
	s_min_u32 s7, s66, 15
	v_dual_mov_b32 v24, 0 :: v_dual_mov_b32 v5, v0
	v_dual_mov_b32 v22, 0 :: v_dual_mov_b32 v28, 0
	;; [unrolled: 1-line block ×3, first 2 shown]
	v_mov_b32_e32 v30, 0
	s_add_co_i32 s4, s7, 1
	s_mov_b64 s[0:1], 0xffffffffffffffd0
	s_and_b32 s8, s4, 30
	s_add_nc_u64 s[0:1], s[2:3], s[0:1]
	s_mov_b64 s[4:5], s[2:3]
.LBB95_2883:                            ; =>This Inner Loop Header: Depth=1
	s_clause 0x1
	s_load_b128 s[20:23], s[4:5], 0x4
	s_load_b64 s[10:11], s[4:5], 0x14
	s_clause 0x1
	s_load_b256 s[12:19], s[0:1], 0xf4
	s_load_b128 s[24:27], s[0:1], 0x114
	s_add_co_i32 s8, s8, -2
	s_wait_xcnt 0x0
	s_add_nc_u64 s[4:5], s[4:5], 24
	s_cmp_lg_u32 s8, 0
	s_add_nc_u64 s[0:1], s[0:1], 48
	s_wait_kmcnt 0x0
	v_mul_hi_u32 v7, s21, v5
	s_delay_alu instid0(VALU_DEP_1) | instskip(NEXT) | instid1(VALU_DEP_1)
	v_add_nc_u32_e32 v7, v5, v7
	v_lshrrev_b32_e32 v7, s22, v7
	s_delay_alu instid0(VALU_DEP_1) | instskip(SKIP_1) | instid1(VALU_DEP_1)
	v_mul_hi_u32 v9, s10, v7
	v_mul_lo_u32 v10, v7, s20
	v_dual_add_nc_u32 v9, v7, v9 :: v_dual_sub_nc_u32 v10, v5, v10
	s_delay_alu instid0(VALU_DEP_1) | instskip(NEXT) | instid1(VALU_DEP_2)
	v_lshrrev_b32_e32 v5, s11, v9
	v_mad_u32 v9, v10, s13, v30
	v_mad_u32 v2, v10, s12, v2
	;; [unrolled: 1-line block ×4, first 2 shown]
	v_mul_lo_u32 v11, v5, s23
	v_mad_u32 v15, s17, v10, v22
	v_mad_u32 v10, s16, v10, v24
	s_delay_alu instid0(VALU_DEP_3) | instskip(NEXT) | instid1(VALU_DEP_1)
	v_sub_nc_u32_e32 v7, v7, v11
	v_mad_u32 v30, v7, s19, v9
	v_mad_u32 v2, v7, s18, v2
	;; [unrolled: 1-line block ×6, first 2 shown]
	s_cbranch_scc1 .LBB95_2883
; %bb.2884:
	s_bitcmp1_b32 s7, 0
	s_cselect_b32 s7, -1, 0
	s_delay_alu instid0(SALU_CYCLE_1)
	s_and_b32 vcc_lo, exec_lo, s7
	s_cbranch_vccnz .LBB95_2887
; %bb.2885:
	s_load_b96 s[12:14], s[4:5], 0x4
	s_load_b128 s[8:11], s[0:1], 0xf4
	s_wait_xcnt 0x0
	s_load_b64 s[4:5], s[0:1], 0x104
	s_wait_kmcnt 0x0
	v_mul_hi_u32 v7, s13, v5
	s_delay_alu instid0(VALU_DEP_1) | instskip(NEXT) | instid1(VALU_DEP_1)
	v_add_nc_u32_e32 v7, v5, v7
	v_lshrrev_b32_e32 v7, s14, v7
	s_delay_alu instid0(VALU_DEP_1) | instskip(NEXT) | instid1(VALU_DEP_1)
	v_mul_lo_u32 v7, v7, s12
	v_sub_nc_u32_e32 v5, v5, v7
	s_delay_alu instid0(VALU_DEP_1)
	v_mad_u32 v2, v5, s8, v2
	v_mad_u32 v30, v5, s9, v30
	;; [unrolled: 1-line block ×6, first 2 shown]
	s_and_not1_b32 vcc_lo, exec_lo, s6
	s_cbranch_vccz .LBB95_2888
	s_branch .LBB95_2891
.LBB95_2886:
	s_mov_b32 s6, -1
                                        ; implicit-def: $vgpr30
                                        ; implicit-def: $vgpr2
                                        ; implicit-def: $vgpr26
                                        ; implicit-def: $vgpr28
                                        ; implicit-def: $vgpr22
                                        ; implicit-def: $vgpr24
.LBB95_2887:
	s_delay_alu instid0(SALU_CYCLE_1)
	s_and_not1_b32 vcc_lo, exec_lo, s6
	s_cbranch_vccnz .LBB95_2891
.LBB95_2888:
	s_clause 0x2
	s_load_b96 s[8:10], s[2:3], 0x4
	s_load_b128 s[4:7], s[2:3], 0xc4
	s_load_b64 s[0:1], s[2:3], 0xd4
	s_cmp_lt_u32 s33, 2
	s_wait_kmcnt 0x0
	v_mul_hi_u32 v2, s9, v0
	s_delay_alu instid0(VALU_DEP_1) | instskip(NEXT) | instid1(VALU_DEP_1)
	v_add_nc_u32_e32 v2, v0, v2
	v_lshrrev_b32_e32 v5, s10, v2
	s_delay_alu instid0(VALU_DEP_1) | instskip(NEXT) | instid1(VALU_DEP_1)
	v_mul_lo_u32 v2, v5, s8
	v_sub_nc_u32_e32 v0, v0, v2
	s_delay_alu instid0(VALU_DEP_1)
	v_mul_lo_u32 v30, v0, s5
	v_mul_lo_u32 v2, v0, s4
	;; [unrolled: 1-line block ×6, first 2 shown]
	s_cbranch_scc1 .LBB95_2891
; %bb.2889:
	s_clause 0x2
	s_load_b96 s[8:10], s[2:3], 0x10
	s_load_b128 s[4:7], s[2:3], 0xdc
	s_load_b64 s[0:1], s[2:3], 0xec
	s_wait_kmcnt 0x0
	v_mul_hi_u32 v0, s9, v5
	s_delay_alu instid0(VALU_DEP_1) | instskip(NEXT) | instid1(VALU_DEP_1)
	v_add_nc_u32_e32 v0, v5, v0
	v_lshrrev_b32_e32 v0, s10, v0
	s_delay_alu instid0(VALU_DEP_1) | instskip(NEXT) | instid1(VALU_DEP_1)
	v_mul_lo_u32 v0, v0, s8
	v_sub_nc_u32_e32 v0, v5, v0
	s_delay_alu instid0(VALU_DEP_1)
	v_mad_u32 v2, v0, s4, v2
	v_mad_u32 v30, v0, s5, v30
	;; [unrolled: 1-line block ×6, first 2 shown]
	s_branch .LBB95_2891
.LBB95_2890:
	v_dual_mov_b32 v30, 0 :: v_dual_mov_b32 v2, 0
	v_dual_mov_b32 v26, 0 :: v_dual_mov_b32 v28, 0
	;; [unrolled: 1-line block ×3, first 2 shown]
	s_and_not1_b32 vcc_lo, exec_lo, s6
	s_cbranch_vccz .LBB95_2888
.LBB95_2891:
	v_cmp_ne_u32_e32 vcc_lo, 1, v3
	s_cbranch_vccnz .LBB95_2897
; %bb.2892:
	s_cmp_lg_u32 s33, 0
	s_mov_b32 s6, 0
	s_cbranch_scc0 .LBB95_2901
; %bb.2893:
	s_min_u32 s7, s66, 15
	v_dual_mov_b32 v14, 0 :: v_dual_mov_b32 v3, v1
	v_dual_mov_b32 v10, 0 :: v_dual_mov_b32 v18, 0
	;; [unrolled: 1-line block ×3, first 2 shown]
	v_mov_b32_e32 v20, 0
	s_add_co_i32 s4, s7, 1
	s_mov_b64 s[0:1], 0xffffffffffffffd0
	s_and_b32 s8, s4, 30
	s_add_nc_u64 s[0:1], s[2:3], s[0:1]
	s_mov_b64 s[4:5], s[2:3]
.LBB95_2894:                            ; =>This Inner Loop Header: Depth=1
	s_clause 0x1
	s_load_b128 s[20:23], s[4:5], 0x4
	s_load_b64 s[10:11], s[4:5], 0x14
	s_clause 0x1
	s_load_b256 s[12:19], s[0:1], 0xf4
	s_load_b128 s[24:27], s[0:1], 0x114
	s_add_co_i32 s8, s8, -2
	s_wait_xcnt 0x0
	s_add_nc_u64 s[4:5], s[4:5], 24
	s_cmp_lg_u32 s8, 0
	s_add_nc_u64 s[0:1], s[0:1], 48
	s_wait_kmcnt 0x0
	v_mul_hi_u32 v5, s21, v3
	s_delay_alu instid0(VALU_DEP_1) | instskip(NEXT) | instid1(VALU_DEP_1)
	v_add_nc_u32_e32 v5, v3, v5
	v_lshrrev_b32_e32 v5, s22, v5
	s_delay_alu instid0(VALU_DEP_1) | instskip(SKIP_1) | instid1(VALU_DEP_1)
	v_mul_hi_u32 v7, s10, v5
	v_mul_lo_u32 v9, v5, s20
	v_dual_add_nc_u32 v7, v5, v7 :: v_dual_sub_nc_u32 v9, v3, v9
	s_delay_alu instid0(VALU_DEP_1) | instskip(NEXT) | instid1(VALU_DEP_2)
	v_lshrrev_b32_e32 v3, s11, v7
	v_mad_u32 v7, v9, s13, v20
	v_mad_u32 v0, v9, s12, v0
	;; [unrolled: 1-line block ×4, first 2 shown]
	v_mul_lo_u32 v11, v3, s23
	v_mad_u32 v10, s17, v9, v10
	v_mad_u32 v9, s16, v9, v14
	s_delay_alu instid0(VALU_DEP_3) | instskip(NEXT) | instid1(VALU_DEP_1)
	v_sub_nc_u32_e32 v5, v5, v11
	v_mad_u32 v20, v5, s19, v7
	v_mad_u32 v0, v5, s18, v0
	;; [unrolled: 1-line block ×6, first 2 shown]
	s_cbranch_scc1 .LBB95_2894
; %bb.2895:
	s_bitcmp1_b32 s7, 0
	s_cselect_b32 s7, -1, 0
	s_delay_alu instid0(SALU_CYCLE_1)
	s_and_b32 vcc_lo, exec_lo, s7
	s_cbranch_vccnz .LBB95_2898
; %bb.2896:
	s_load_b96 s[12:14], s[4:5], 0x4
	s_load_b128 s[8:11], s[0:1], 0xf4
	s_wait_xcnt 0x0
	s_load_b64 s[4:5], s[0:1], 0x104
	s_wait_kmcnt 0x0
	v_mul_hi_u32 v5, s13, v3
	s_delay_alu instid0(VALU_DEP_1) | instskip(NEXT) | instid1(VALU_DEP_1)
	v_add_nc_u32_e32 v5, v3, v5
	v_lshrrev_b32_e32 v5, s14, v5
	s_delay_alu instid0(VALU_DEP_1) | instskip(NEXT) | instid1(VALU_DEP_1)
	v_mul_lo_u32 v5, v5, s12
	v_sub_nc_u32_e32 v3, v3, v5
	s_delay_alu instid0(VALU_DEP_1)
	v_mad_u32 v0, v3, s8, v0
	v_mad_u32 v20, v3, s9, v20
	;; [unrolled: 1-line block ×6, first 2 shown]
	s_and_not1_b32 vcc_lo, exec_lo, s6
	s_cbranch_vccz .LBB95_2899
	s_branch .LBB95_2902
.LBB95_2897:
	s_mov_b32 s6, -1
                                        ; implicit-def: $vgpr20
                                        ; implicit-def: $vgpr0
                                        ; implicit-def: $vgpr16
                                        ; implicit-def: $vgpr18
                                        ; implicit-def: $vgpr10
                                        ; implicit-def: $vgpr14
.LBB95_2898:
	s_delay_alu instid0(SALU_CYCLE_1)
	s_and_not1_b32 vcc_lo, exec_lo, s6
	s_cbranch_vccnz .LBB95_2902
.LBB95_2899:
	s_clause 0x2
	s_load_b96 s[8:10], s[2:3], 0x4
	s_load_b128 s[4:7], s[2:3], 0xc4
	s_load_b64 s[0:1], s[2:3], 0xd4
	s_cmp_lt_u32 s33, 2
	s_wait_kmcnt 0x0
	v_mul_hi_u32 v0, s9, v1
	s_delay_alu instid0(VALU_DEP_1) | instskip(NEXT) | instid1(VALU_DEP_1)
	v_add_nc_u32_e32 v0, v1, v0
	v_lshrrev_b32_e32 v3, s10, v0
	s_delay_alu instid0(VALU_DEP_1) | instskip(NEXT) | instid1(VALU_DEP_1)
	v_mul_lo_u32 v0, v3, s8
	v_sub_nc_u32_e32 v1, v1, v0
	s_delay_alu instid0(VALU_DEP_1)
	v_mul_lo_u32 v20, v1, s5
	v_mul_lo_u32 v0, v1, s4
	;; [unrolled: 1-line block ×6, first 2 shown]
	s_cbranch_scc1 .LBB95_2902
; %bb.2900:
	s_clause 0x2
	s_load_b96 s[8:10], s[2:3], 0x10
	s_load_b128 s[4:7], s[2:3], 0xdc
	s_load_b64 s[0:1], s[2:3], 0xec
	s_wait_kmcnt 0x0
	v_mul_hi_u32 v1, s9, v3
	s_delay_alu instid0(VALU_DEP_1) | instskip(NEXT) | instid1(VALU_DEP_1)
	v_add_nc_u32_e32 v1, v3, v1
	v_lshrrev_b32_e32 v1, s10, v1
	s_delay_alu instid0(VALU_DEP_1) | instskip(NEXT) | instid1(VALU_DEP_1)
	v_mul_lo_u32 v1, v1, s8
	v_sub_nc_u32_e32 v1, v3, v1
	s_delay_alu instid0(VALU_DEP_1)
	v_mad_u32 v0, v1, s4, v0
	v_mad_u32 v20, v1, s5, v20
	v_mad_u32 v18, v1, s6, v18
	v_mad_u32 v16, v1, s7, v16
	v_mad_u32 v14, s0, v1, v14
	v_mad_u32 v10, s1, v1, v10
	s_branch .LBB95_2902
.LBB95_2901:
	v_dual_mov_b32 v20, 0 :: v_dual_mov_b32 v0, 0
	v_dual_mov_b32 v16, 0 :: v_dual_mov_b32 v18, 0
	;; [unrolled: 1-line block ×3, first 2 shown]
	s_and_not1_b32 vcc_lo, exec_lo, s6
	s_cbranch_vccz .LBB95_2899
.LBB95_2902:
	v_mov_b32_e32 v9, 0
	s_load_b128 s[4:7], s[2:3], 0x248
	global_load_u8 v1, v9, s[2:3] offset:801
	s_wait_kmcnt 0x0
	v_add_nc_u64_e32 v[48:49], s[6:7], v[8:9]
	s_wait_loadcnt 0x0
	v_and_b32_e32 v3, 0xffff, v1
	v_readfirstlane_b32 s30, v1
	s_delay_alu instid0(VALU_DEP_2)
	v_cmp_gt_i32_e32 vcc_lo, 11, v3
	s_cbranch_vccnz .LBB95_2909
; %bb.2903:
	s_and_b32 s0, 0xffff, s30
	s_mov_b32 s8, 0
	s_cmp_gt_i32 s0, 25
	s_cbranch_scc0 .LBB95_2911
; %bb.2904:
	s_cmp_gt_i32 s0, 28
	s_cbranch_scc0 .LBB95_2912
; %bb.2905:
	;; [unrolled: 3-line block ×4, first 2 shown]
	s_cmp_eq_u32 s0, 46
	s_mov_b32 s10, 0
	s_cbranch_scc0 .LBB95_2915
; %bb.2908:
	global_load_b32 v1, v[48:49], off
	s_mov_b32 s1, 0
	s_mov_b32 s9, -1
	s_wait_loadcnt 0x0
	v_lshlrev_b32_e32 v1, 16, v1
	s_delay_alu instid0(VALU_DEP_1) | instskip(NEXT) | instid1(VALU_DEP_1)
	v_trunc_f32_e32 v1, v1
	v_mul_f32_e64 v3, 0x2f800000, |v1|
	v_ashrrev_i32_e32 v8, 31, v1
	s_delay_alu instid0(VALU_DEP_2) | instskip(SKIP_1) | instid1(VALU_DEP_2)
	v_floor_f32_e32 v3, v3
	s_wait_xcnt 0x1
	v_mov_b32_e32 v9, v8
	s_delay_alu instid0(VALU_DEP_2) | instskip(SKIP_1) | instid1(VALU_DEP_2)
	v_fma_f32 v5, 0xcf800000, v3, |v1|
	v_cvt_u32_f32_e32 v1, v3
	v_cvt_u32_f32_e32 v3, v5
	s_delay_alu instid0(VALU_DEP_2) | instskip(NEXT) | instid1(VALU_DEP_2)
	v_xor_b32_e32 v51, v1, v8
	v_xor_b32_e32 v50, v3, v8
	s_delay_alu instid0(VALU_DEP_1)
	v_sub_nc_u64_e32 v[8:9], v[50:51], v[8:9]
	s_branch .LBB95_2917
.LBB95_2909:
	s_mov_b32 s9, 0
	s_mov_b32 s33, s34
                                        ; implicit-def: $vgpr8_vgpr9
	s_cbranch_execnz .LBB95_2975
.LBB95_2910:
	s_and_not1_b32 vcc_lo, exec_lo, s9
	s_cbranch_vccz .LBB95_3020
	s_branch .LBB95_3532
.LBB95_2911:
	s_mov_b32 s9, 0
	s_mov_b32 s1, 0
                                        ; implicit-def: $vgpr8_vgpr9
	s_cbranch_execnz .LBB95_2942
	s_branch .LBB95_2971
.LBB95_2912:
	s_mov_b32 s9, 0
	s_mov_b32 s1, 0
                                        ; implicit-def: $vgpr8_vgpr9
	s_cbranch_execz .LBB95_2941
	s_branch .LBB95_2926
.LBB95_2913:
	s_mov_b32 s9, 0
	s_mov_b32 s1, 0
                                        ; implicit-def: $vgpr8_vgpr9
	s_cbranch_execnz .LBB95_2922
	s_branch .LBB95_2925
.LBB95_2914:
	s_mov_b32 s10, -1
	s_mov_b32 s9, 0
	s_mov_b32 s1, 0
	s_branch .LBB95_2916
.LBB95_2915:
	s_mov_b32 s1, -1
	s_mov_b32 s9, 0
.LBB95_2916:
                                        ; implicit-def: $vgpr8_vgpr9
.LBB95_2917:
	s_and_b32 vcc_lo, exec_lo, s10
	s_cbranch_vccz .LBB95_2920
; %bb.2918:
	s_cmp_eq_u32 s0, 44
	s_cbranch_scc0 .LBB95_2921
; %bb.2919:
	global_load_u8 v1, v[48:49], off
	s_mov_b32 s1, 0
	s_mov_b32 s9, -1
	s_wait_loadcnt 0x0
	v_lshlrev_b32_e32 v3, 23, v1
	v_cmp_ne_u32_e32 vcc_lo, 0, v1
	s_delay_alu instid0(VALU_DEP_2) | instskip(NEXT) | instid1(VALU_DEP_1)
	v_trunc_f32_e32 v3, v3
	v_mul_f32_e64 v5, 0x2f800000, |v3|
	v_ashrrev_i32_e32 v8, 31, v3
	s_delay_alu instid0(VALU_DEP_2) | instskip(SKIP_1) | instid1(VALU_DEP_2)
	v_floor_f32_e32 v5, v5
	s_wait_xcnt 0x1
	v_mov_b32_e32 v9, v8
	s_delay_alu instid0(VALU_DEP_2) | instskip(SKIP_1) | instid1(VALU_DEP_2)
	v_fma_f32 v7, 0xcf800000, v5, |v3|
	v_cvt_u32_f32_e32 v3, v5
	v_cvt_u32_f32_e32 v5, v7
	s_delay_alu instid0(VALU_DEP_2) | instskip(NEXT) | instid1(VALU_DEP_2)
	v_xor_b32_e32 v51, v3, v8
	v_xor_b32_e32 v50, v5, v8
	s_delay_alu instid0(VALU_DEP_1) | instskip(NEXT) | instid1(VALU_DEP_1)
	v_sub_nc_u64_e32 v[8:9], v[50:51], v[8:9]
	v_dual_cndmask_b32 v9, 0, v9 :: v_dual_cndmask_b32 v8, 0, v8
.LBB95_2920:
	s_branch .LBB95_2925
.LBB95_2921:
	s_mov_b32 s1, -1
                                        ; implicit-def: $vgpr8_vgpr9
	s_branch .LBB95_2925
.LBB95_2922:
	s_cmp_eq_u32 s0, 29
	s_cbranch_scc0 .LBB95_2924
; %bb.2923:
	global_load_b64 v[8:9], v[48:49], off
	s_mov_b32 s1, 0
	s_mov_b32 s9, -1
	s_branch .LBB95_2925
.LBB95_2924:
	s_mov_b32 s1, -1
                                        ; implicit-def: $vgpr8_vgpr9
.LBB95_2925:
	s_branch .LBB95_2941
.LBB95_2926:
	s_cmp_lt_i32 s0, 27
	s_cbranch_scc1 .LBB95_2929
; %bb.2927:
	s_cmp_gt_i32 s0, 27
	s_cbranch_scc0 .LBB95_2930
; %bb.2928:
	s_wait_loadcnt 0x0
	global_load_b32 v8, v[48:49], off
	s_wait_xcnt 0x1
	v_mov_b32_e32 v9, 0
	s_mov_b32 s9, 0
	s_branch .LBB95_2931
.LBB95_2929:
	s_mov_b32 s9, -1
                                        ; implicit-def: $vgpr8_vgpr9
	s_branch .LBB95_2934
.LBB95_2930:
	s_mov_b32 s9, -1
                                        ; implicit-def: $vgpr8_vgpr9
.LBB95_2931:
	s_delay_alu instid0(SALU_CYCLE_1)
	s_and_not1_b32 vcc_lo, exec_lo, s9
	s_cbranch_vccnz .LBB95_2933
; %bb.2932:
	global_load_u16 v1, v[48:49], off
	s_mov_b32 s9, 0
	s_wait_loadcnt 0x1
	s_wait_xcnt 0x1
	v_mov_b32_e32 v9, s9
	s_wait_loadcnt 0x0
	v_and_b32_e32 v8, 0xffff, v1
.LBB95_2933:
	s_mov_b32 s9, 0
.LBB95_2934:
	s_delay_alu instid0(SALU_CYCLE_1)
	s_and_not1_b32 vcc_lo, exec_lo, s9
	s_cbranch_vccnz .LBB95_2940
; %bb.2935:
	global_load_u8 v1, v[48:49], off
	s_mov_b32 s10, 0
	s_mov_b32 s9, exec_lo
	s_wait_loadcnt 0x0
	v_cmpx_lt_i16_e32 0x7f, v1
	s_xor_b32 s9, exec_lo, s9
	s_cbranch_execz .LBB95_2951
; %bb.2936:
	v_cmp_ne_u16_e32 vcc_lo, 0x80, v1
	s_and_b32 s10, vcc_lo, exec_lo
	s_and_not1_saveexec_b32 s9, s9
	s_cbranch_execnz .LBB95_2952
.LBB95_2937:
	s_or_b32 exec_lo, exec_lo, s9
	v_mov_b64_e32 v[8:9], 0
	s_and_saveexec_b32 s9, s10
	s_cbranch_execz .LBB95_2939
.LBB95_2938:
	v_and_b32_e32 v3, 0xffff, v1
	s_delay_alu instid0(VALU_DEP_1) | instskip(SKIP_1) | instid1(VALU_DEP_2)
	v_dual_lshlrev_b32 v1, 24, v1 :: v_dual_bitop2_b32 v5, 7, v3 bitop3:0x40
	v_bfe_u32 v9, v3, 3, 4
	v_and_b32_e32 v1, 0x80000000, v1
	s_delay_alu instid0(VALU_DEP_3) | instskip(NEXT) | instid1(VALU_DEP_3)
	v_clz_i32_u32_e32 v7, v5
	v_cmp_eq_u32_e32 vcc_lo, 0, v9
	s_delay_alu instid0(VALU_DEP_2) | instskip(NEXT) | instid1(VALU_DEP_1)
	v_min_u32_e32 v7, 32, v7
	v_subrev_nc_u32_e32 v8, 28, v7
	v_sub_nc_u32_e32 v7, 29, v7
	s_delay_alu instid0(VALU_DEP_2) | instskip(NEXT) | instid1(VALU_DEP_2)
	v_lshlrev_b32_e32 v3, v8, v3
	v_cndmask_b32_e32 v7, v9, v7, vcc_lo
	s_delay_alu instid0(VALU_DEP_2) | instskip(NEXT) | instid1(VALU_DEP_1)
	v_and_b32_e32 v3, 7, v3
	v_cndmask_b32_e32 v3, v5, v3, vcc_lo
	s_delay_alu instid0(VALU_DEP_3) | instskip(NEXT) | instid1(VALU_DEP_2)
	v_lshl_add_u32 v5, v7, 23, 0x3b800000
	v_lshlrev_b32_e32 v3, 20, v3
	s_delay_alu instid0(VALU_DEP_1) | instskip(NEXT) | instid1(VALU_DEP_1)
	v_or3_b32 v1, v1, v5, v3
	v_trunc_f32_e32 v1, v1
	s_delay_alu instid0(VALU_DEP_1) | instskip(SKIP_1) | instid1(VALU_DEP_2)
	v_mul_f32_e64 v3, 0x2f800000, |v1|
	v_ashrrev_i32_e32 v8, 31, v1
	v_floor_f32_e32 v3, v3
	s_delay_alu instid0(VALU_DEP_2) | instskip(NEXT) | instid1(VALU_DEP_2)
	v_mov_b32_e32 v9, v8
	v_fma_f32 v5, 0xcf800000, v3, |v1|
	v_cvt_u32_f32_e32 v1, v3
	s_delay_alu instid0(VALU_DEP_2) | instskip(NEXT) | instid1(VALU_DEP_2)
	v_cvt_u32_f32_e32 v3, v5
	v_xor_b32_e32 v51, v1, v8
	s_delay_alu instid0(VALU_DEP_2) | instskip(NEXT) | instid1(VALU_DEP_1)
	v_xor_b32_e32 v50, v3, v8
	v_sub_nc_u64_e32 v[8:9], v[50:51], v[8:9]
.LBB95_2939:
	s_or_b32 exec_lo, exec_lo, s9
.LBB95_2940:
	s_mov_b32 s9, -1
.LBB95_2941:
	s_branch .LBB95_2971
.LBB95_2942:
	s_cmp_gt_i32 s0, 22
	s_cbranch_scc0 .LBB95_2950
; %bb.2943:
	s_cmp_lt_i32 s0, 24
	s_cbranch_scc1 .LBB95_2953
; %bb.2944:
	s_cmp_gt_i32 s0, 24
	s_cbranch_scc0 .LBB95_2954
; %bb.2945:
	global_load_u8 v1, v[48:49], off
	s_mov_b32 s9, 0
	s_mov_b32 s8, exec_lo
	s_wait_loadcnt 0x0
	v_cmpx_lt_i16_e32 0x7f, v1
	s_xor_b32 s8, exec_lo, s8
	s_cbranch_execz .LBB95_2965
; %bb.2946:
	v_cmp_ne_u16_e32 vcc_lo, 0x80, v1
	s_and_b32 s9, vcc_lo, exec_lo
	s_and_not1_saveexec_b32 s8, s8
	s_cbranch_execnz .LBB95_2966
.LBB95_2947:
	s_or_b32 exec_lo, exec_lo, s8
	v_mov_b64_e32 v[8:9], 0
	s_and_saveexec_b32 s8, s9
	s_cbranch_execz .LBB95_2949
.LBB95_2948:
	v_and_b32_e32 v3, 0xffff, v1
	s_delay_alu instid0(VALU_DEP_1) | instskip(SKIP_1) | instid1(VALU_DEP_2)
	v_dual_lshlrev_b32 v1, 24, v1 :: v_dual_bitop2_b32 v5, 3, v3 bitop3:0x40
	v_bfe_u32 v9, v3, 2, 5
	v_and_b32_e32 v1, 0x80000000, v1
	s_delay_alu instid0(VALU_DEP_3) | instskip(NEXT) | instid1(VALU_DEP_3)
	v_clz_i32_u32_e32 v7, v5
	v_cmp_eq_u32_e32 vcc_lo, 0, v9
	s_delay_alu instid0(VALU_DEP_2) | instskip(NEXT) | instid1(VALU_DEP_1)
	v_min_u32_e32 v7, 32, v7
	v_subrev_nc_u32_e32 v8, 29, v7
	v_sub_nc_u32_e32 v7, 30, v7
	s_delay_alu instid0(VALU_DEP_2) | instskip(NEXT) | instid1(VALU_DEP_2)
	v_lshlrev_b32_e32 v3, v8, v3
	v_cndmask_b32_e32 v7, v9, v7, vcc_lo
	s_delay_alu instid0(VALU_DEP_2) | instskip(NEXT) | instid1(VALU_DEP_1)
	v_and_b32_e32 v3, 3, v3
	v_cndmask_b32_e32 v3, v5, v3, vcc_lo
	s_delay_alu instid0(VALU_DEP_3) | instskip(NEXT) | instid1(VALU_DEP_2)
	v_lshl_add_u32 v5, v7, 23, 0x37800000
	v_lshlrev_b32_e32 v3, 21, v3
	s_delay_alu instid0(VALU_DEP_1) | instskip(NEXT) | instid1(VALU_DEP_1)
	v_or3_b32 v1, v1, v5, v3
	v_trunc_f32_e32 v1, v1
	s_delay_alu instid0(VALU_DEP_1) | instskip(SKIP_1) | instid1(VALU_DEP_2)
	v_mul_f32_e64 v3, 0x2f800000, |v1|
	v_ashrrev_i32_e32 v8, 31, v1
	v_floor_f32_e32 v3, v3
	s_delay_alu instid0(VALU_DEP_2) | instskip(NEXT) | instid1(VALU_DEP_2)
	v_mov_b32_e32 v9, v8
	v_fma_f32 v5, 0xcf800000, v3, |v1|
	v_cvt_u32_f32_e32 v1, v3
	s_delay_alu instid0(VALU_DEP_2) | instskip(NEXT) | instid1(VALU_DEP_2)
	v_cvt_u32_f32_e32 v3, v5
	v_xor_b32_e32 v51, v1, v8
	s_delay_alu instid0(VALU_DEP_2) | instskip(NEXT) | instid1(VALU_DEP_1)
	v_xor_b32_e32 v50, v3, v8
	v_sub_nc_u64_e32 v[8:9], v[50:51], v[8:9]
.LBB95_2949:
	s_or_b32 exec_lo, exec_lo, s8
	s_mov_b32 s8, 0
	s_branch .LBB95_2955
.LBB95_2950:
                                        ; implicit-def: $vgpr8_vgpr9
	s_mov_b32 s8, 0
	s_branch .LBB95_2961
.LBB95_2951:
	s_and_not1_saveexec_b32 s9, s9
	s_cbranch_execz .LBB95_2937
.LBB95_2952:
	v_cmp_ne_u16_e32 vcc_lo, 0, v1
	s_and_not1_b32 s10, s10, exec_lo
	s_and_b32 s11, vcc_lo, exec_lo
	s_delay_alu instid0(SALU_CYCLE_1)
	s_or_b32 s10, s10, s11
	s_or_b32 exec_lo, exec_lo, s9
	v_mov_b64_e32 v[8:9], 0
	s_and_saveexec_b32 s9, s10
	s_cbranch_execnz .LBB95_2938
	s_branch .LBB95_2939
.LBB95_2953:
	s_mov_b32 s8, -1
                                        ; implicit-def: $vgpr8_vgpr9
	s_branch .LBB95_2958
.LBB95_2954:
	s_mov_b32 s8, -1
                                        ; implicit-def: $vgpr8_vgpr9
.LBB95_2955:
	s_delay_alu instid0(SALU_CYCLE_1)
	s_and_b32 vcc_lo, exec_lo, s8
	s_cbranch_vccz .LBB95_2957
; %bb.2956:
	global_load_u8 v1, v[48:49], off
	s_wait_loadcnt 0x0
	v_lshlrev_b32_e32 v1, 24, v1
	s_delay_alu instid0(VALU_DEP_1) | instskip(NEXT) | instid1(VALU_DEP_1)
	v_and_b32_e32 v3, 0x7f000000, v1
	v_clz_i32_u32_e32 v5, v3
	v_cmp_ne_u32_e32 vcc_lo, 0, v3
	v_add_nc_u32_e32 v8, 0x1000000, v3
	s_delay_alu instid0(VALU_DEP_3) | instskip(NEXT) | instid1(VALU_DEP_1)
	v_min_u32_e32 v5, 32, v5
	v_sub_nc_u32_e64 v5, v5, 4 clamp
	s_delay_alu instid0(VALU_DEP_1) | instskip(NEXT) | instid1(VALU_DEP_1)
	v_dual_lshlrev_b32 v7, v5, v3 :: v_dual_lshlrev_b32 v5, 23, v5
	v_lshrrev_b32_e32 v7, 4, v7
	s_delay_alu instid0(VALU_DEP_1) | instskip(NEXT) | instid1(VALU_DEP_1)
	v_dual_sub_nc_u32 v5, v7, v5 :: v_dual_ashrrev_i32 v7, 8, v8
	v_add_nc_u32_e32 v5, 0x3c000000, v5
	s_delay_alu instid0(VALU_DEP_1) | instskip(NEXT) | instid1(VALU_DEP_1)
	v_and_or_b32 v5, 0x7f800000, v7, v5
	v_cndmask_b32_e32 v3, 0, v5, vcc_lo
	s_delay_alu instid0(VALU_DEP_1) | instskip(NEXT) | instid1(VALU_DEP_1)
	v_and_or_b32 v1, 0x80000000, v1, v3
	v_trunc_f32_e32 v1, v1
	s_delay_alu instid0(VALU_DEP_1) | instskip(SKIP_1) | instid1(VALU_DEP_2)
	v_mul_f32_e64 v3, 0x2f800000, |v1|
	v_ashrrev_i32_e32 v8, 31, v1
	v_floor_f32_e32 v3, v3
	s_delay_alu instid0(VALU_DEP_1) | instskip(SKIP_3) | instid1(VALU_DEP_3)
	v_fma_f32 v5, 0xcf800000, v3, |v1|
	v_cvt_u32_f32_e32 v1, v3
	s_wait_xcnt 0x1
	v_mov_b32_e32 v9, v8
	v_cvt_u32_f32_e32 v3, v5
	s_delay_alu instid0(VALU_DEP_3) | instskip(NEXT) | instid1(VALU_DEP_2)
	v_xor_b32_e32 v51, v1, v8
	v_xor_b32_e32 v50, v3, v8
	s_delay_alu instid0(VALU_DEP_1)
	v_sub_nc_u64_e32 v[8:9], v[50:51], v[8:9]
.LBB95_2957:
	s_mov_b32 s8, 0
.LBB95_2958:
	s_delay_alu instid0(SALU_CYCLE_1)
	s_and_not1_b32 vcc_lo, exec_lo, s8
	s_cbranch_vccnz .LBB95_2960
; %bb.2959:
	global_load_u8 v1, v[48:49], off
	s_wait_loadcnt 0x0
	v_lshlrev_b32_e32 v3, 25, v1
	v_lshlrev_b16 v1, 8, v1
	s_delay_alu instid0(VALU_DEP_1) | instskip(SKIP_1) | instid1(VALU_DEP_2)
	v_and_or_b32 v7, 0x7f00, v1, 0.5
	v_bfe_i32 v1, v1, 0, 16
	v_add_f32_e32 v7, -0.5, v7
	v_lshrrev_b32_e32 v5, 4, v3
	v_cmp_gt_u32_e32 vcc_lo, 0x8000000, v3
	s_delay_alu instid0(VALU_DEP_2) | instskip(NEXT) | instid1(VALU_DEP_1)
	v_or_b32_e32 v5, 0x70000000, v5
	v_mul_f32_e32 v5, 0x7800000, v5
	s_delay_alu instid0(VALU_DEP_1) | instskip(NEXT) | instid1(VALU_DEP_1)
	v_cndmask_b32_e32 v3, v5, v7, vcc_lo
	v_and_or_b32 v1, 0x80000000, v1, v3
	s_delay_alu instid0(VALU_DEP_1) | instskip(NEXT) | instid1(VALU_DEP_1)
	v_trunc_f32_e32 v1, v1
	v_mul_f32_e64 v3, 0x2f800000, |v1|
	v_ashrrev_i32_e32 v8, 31, v1
	s_delay_alu instid0(VALU_DEP_2) | instskip(SKIP_1) | instid1(VALU_DEP_2)
	v_floor_f32_e32 v3, v3
	s_wait_xcnt 0x1
	v_mov_b32_e32 v9, v8
	s_delay_alu instid0(VALU_DEP_2) | instskip(SKIP_1) | instid1(VALU_DEP_2)
	v_fma_f32 v5, 0xcf800000, v3, |v1|
	v_cvt_u32_f32_e32 v1, v3
	v_cvt_u32_f32_e32 v3, v5
	s_delay_alu instid0(VALU_DEP_2) | instskip(NEXT) | instid1(VALU_DEP_2)
	v_xor_b32_e32 v51, v1, v8
	v_xor_b32_e32 v50, v3, v8
	s_delay_alu instid0(VALU_DEP_1)
	v_sub_nc_u64_e32 v[8:9], v[50:51], v[8:9]
.LBB95_2960:
	s_mov_b32 s9, -1
	s_mov_b32 s8, 0
	s_cbranch_execnz .LBB95_2971
.LBB95_2961:
	s_cmp_gt_i32 s0, 14
	s_cbranch_scc0 .LBB95_2964
; %bb.2962:
	s_cmp_eq_u32 s0, 15
	s_cbranch_scc0 .LBB95_2967
; %bb.2963:
	global_load_u16 v1, v[48:49], off
	s_mov_b32 s1, 0
	s_mov_b32 s9, -1
	s_wait_loadcnt 0x0
	v_lshlrev_b32_e32 v1, 16, v1
	s_delay_alu instid0(VALU_DEP_1) | instskip(NEXT) | instid1(VALU_DEP_1)
	v_trunc_f32_e32 v1, v1
	v_mul_f32_e64 v3, 0x2f800000, |v1|
	v_ashrrev_i32_e32 v8, 31, v1
	s_delay_alu instid0(VALU_DEP_2) | instskip(SKIP_1) | instid1(VALU_DEP_2)
	v_floor_f32_e32 v3, v3
	s_wait_xcnt 0x1
	v_mov_b32_e32 v9, v8
	s_delay_alu instid0(VALU_DEP_2) | instskip(SKIP_1) | instid1(VALU_DEP_2)
	v_fma_f32 v5, 0xcf800000, v3, |v1|
	v_cvt_u32_f32_e32 v1, v3
	v_cvt_u32_f32_e32 v3, v5
	s_delay_alu instid0(VALU_DEP_2) | instskip(NEXT) | instid1(VALU_DEP_2)
	v_xor_b32_e32 v51, v1, v8
	v_xor_b32_e32 v50, v3, v8
	s_delay_alu instid0(VALU_DEP_1)
	v_sub_nc_u64_e32 v[8:9], v[50:51], v[8:9]
	s_branch .LBB95_2969
.LBB95_2964:
	s_mov_b32 s8, -1
	s_branch .LBB95_2968
.LBB95_2965:
	s_and_not1_saveexec_b32 s8, s8
	s_cbranch_execz .LBB95_2947
.LBB95_2966:
	v_cmp_ne_u16_e32 vcc_lo, 0, v1
	s_and_not1_b32 s9, s9, exec_lo
	s_and_b32 s10, vcc_lo, exec_lo
	s_delay_alu instid0(SALU_CYCLE_1)
	s_or_b32 s9, s9, s10
	s_or_b32 exec_lo, exec_lo, s8
	v_mov_b64_e32 v[8:9], 0
	s_and_saveexec_b32 s8, s9
	s_cbranch_execnz .LBB95_2948
	s_branch .LBB95_2949
.LBB95_2967:
	s_mov_b32 s1, -1
.LBB95_2968:
                                        ; implicit-def: $vgpr8_vgpr9
.LBB95_2969:
	s_and_b32 vcc_lo, exec_lo, s8
	s_mov_b32 s8, 0
	s_cbranch_vccz .LBB95_2971
; %bb.2970:
	s_cmp_lg_u32 s0, 11
	s_mov_b32 s8, -1
	s_cselect_b32 s1, -1, 0
.LBB95_2971:
	s_delay_alu instid0(SALU_CYCLE_1)
	s_and_b32 vcc_lo, exec_lo, s1
	s_mov_b32 s33, s34
	s_cbranch_vccnz .LBB95_3032
; %bb.2972:
	s_and_not1_b32 vcc_lo, exec_lo, s8
	s_cbranch_vccnz .LBB95_2974
.LBB95_2973:
	global_load_u8 v1, v[48:49], off
	s_mov_b32 s0, 0
	s_mov_b32 s9, -1
	s_wait_loadcnt 0x1
	s_wait_xcnt 0x1
	v_mov_b32_e32 v9, s0
	s_wait_loadcnt 0x0
	v_cmp_ne_u16_e32 vcc_lo, 0, v1
	v_cndmask_b32_e64 v8, 0, 1, vcc_lo
.LBB95_2974:
	s_branch .LBB95_2910
.LBB95_2975:
	s_and_b32 s0, 0xffff, s30
	s_delay_alu instid0(SALU_CYCLE_1)
	s_cmp_lt_i32 s0, 5
	s_cbranch_scc1 .LBB95_2980
; %bb.2976:
	s_cmp_lt_i32 s0, 8
	s_cbranch_scc1 .LBB95_2981
; %bb.2977:
	;; [unrolled: 3-line block ×3, first 2 shown]
	s_cmp_gt_i32 s0, 9
	s_cbranch_scc0 .LBB95_2983
; %bb.2979:
	s_wait_loadcnt 0x0
	global_load_b64 v[8:9], v[48:49], off
	s_mov_b32 s1, 0
	s_wait_loadcnt 0x0
	v_trunc_f64_e32 v[8:9], v[8:9]
	s_delay_alu instid0(VALU_DEP_1) | instskip(NEXT) | instid1(VALU_DEP_1)
	v_ldexp_f64 v[50:51], v[8:9], 0xffffffe0
	v_floor_f64_e32 v[50:51], v[50:51]
	s_delay_alu instid0(VALU_DEP_1) | instskip(SKIP_1) | instid1(VALU_DEP_2)
	v_fmamk_f64 v[52:53], v[50:51], 0xc1f00000, v[8:9]
	v_cvt_i32_f64_e32 v9, v[50:51]
	v_cvt_u32_f64_e32 v8, v[52:53]
	s_branch .LBB95_2984
.LBB95_2980:
                                        ; implicit-def: $vgpr8_vgpr9
	s_branch .LBB95_3001
.LBB95_2981:
                                        ; implicit-def: $vgpr8_vgpr9
	s_branch .LBB95_2990
.LBB95_2982:
	s_mov_b32 s1, -1
                                        ; implicit-def: $vgpr8_vgpr9
	s_branch .LBB95_2987
.LBB95_2983:
	s_mov_b32 s1, -1
                                        ; implicit-def: $vgpr8_vgpr9
.LBB95_2984:
	s_delay_alu instid0(SALU_CYCLE_1)
	s_and_not1_b32 vcc_lo, exec_lo, s1
	s_cbranch_vccnz .LBB95_2986
; %bb.2985:
	global_load_b32 v1, v[48:49], off
	s_wait_loadcnt 0x0
	v_trunc_f32_e32 v1, v1
	s_delay_alu instid0(VALU_DEP_1) | instskip(SKIP_1) | instid1(VALU_DEP_2)
	v_mul_f32_e64 v3, 0x2f800000, |v1|
	v_ashrrev_i32_e32 v8, 31, v1
	v_floor_f32_e32 v3, v3
	s_delay_alu instid0(VALU_DEP_1) | instskip(SKIP_3) | instid1(VALU_DEP_3)
	v_fma_f32 v5, 0xcf800000, v3, |v1|
	v_cvt_u32_f32_e32 v1, v3
	s_wait_xcnt 0x1
	v_mov_b32_e32 v9, v8
	v_cvt_u32_f32_e32 v3, v5
	s_delay_alu instid0(VALU_DEP_3) | instskip(NEXT) | instid1(VALU_DEP_2)
	v_xor_b32_e32 v51, v1, v8
	v_xor_b32_e32 v50, v3, v8
	s_delay_alu instid0(VALU_DEP_1)
	v_sub_nc_u64_e32 v[8:9], v[50:51], v[8:9]
.LBB95_2986:
	s_mov_b32 s1, 0
.LBB95_2987:
	s_delay_alu instid0(SALU_CYCLE_1)
	s_and_not1_b32 vcc_lo, exec_lo, s1
	s_cbranch_vccnz .LBB95_2989
; %bb.2988:
	global_load_b32 v1, v[48:49], off
	s_wait_loadcnt 0x0
	v_cvt_f32_f16_e32 v1, v1
	s_delay_alu instid0(VALU_DEP_1) | instskip(SKIP_1) | instid1(VALU_DEP_1)
	v_cvt_i32_f32_e32 v8, v1
	s_wait_xcnt 0x1
	v_ashrrev_i32_e32 v9, 31, v8
.LBB95_2989:
	s_cbranch_execnz .LBB95_3000
.LBB95_2990:
	s_cmp_lt_i32 s0, 6
	s_cbranch_scc1 .LBB95_2993
; %bb.2991:
	s_cmp_gt_i32 s0, 6
	s_cbranch_scc0 .LBB95_2994
; %bb.2992:
	s_wait_loadcnt 0x0
	global_load_b64 v[8:9], v[48:49], off
	s_mov_b32 s1, 0
	s_wait_loadcnt 0x0
	v_trunc_f64_e32 v[8:9], v[8:9]
	s_delay_alu instid0(VALU_DEP_1) | instskip(NEXT) | instid1(VALU_DEP_1)
	v_ldexp_f64 v[50:51], v[8:9], 0xffffffe0
	v_floor_f64_e32 v[50:51], v[50:51]
	s_delay_alu instid0(VALU_DEP_1) | instskip(SKIP_1) | instid1(VALU_DEP_2)
	v_fmamk_f64 v[52:53], v[50:51], 0xc1f00000, v[8:9]
	v_cvt_i32_f64_e32 v9, v[50:51]
	v_cvt_u32_f64_e32 v8, v[52:53]
	s_branch .LBB95_2995
.LBB95_2993:
	s_mov_b32 s1, -1
                                        ; implicit-def: $vgpr8_vgpr9
	s_branch .LBB95_2998
.LBB95_2994:
	s_mov_b32 s1, -1
                                        ; implicit-def: $vgpr8_vgpr9
.LBB95_2995:
	s_delay_alu instid0(SALU_CYCLE_1)
	s_and_not1_b32 vcc_lo, exec_lo, s1
	s_cbranch_vccnz .LBB95_2997
; %bb.2996:
	global_load_b32 v1, v[48:49], off
	s_wait_loadcnt 0x0
	v_trunc_f32_e32 v1, v1
	s_delay_alu instid0(VALU_DEP_1) | instskip(SKIP_1) | instid1(VALU_DEP_2)
	v_mul_f32_e64 v3, 0x2f800000, |v1|
	v_ashrrev_i32_e32 v8, 31, v1
	v_floor_f32_e32 v3, v3
	s_delay_alu instid0(VALU_DEP_1) | instskip(SKIP_3) | instid1(VALU_DEP_3)
	v_fma_f32 v5, 0xcf800000, v3, |v1|
	v_cvt_u32_f32_e32 v1, v3
	s_wait_xcnt 0x1
	v_mov_b32_e32 v9, v8
	v_cvt_u32_f32_e32 v3, v5
	s_delay_alu instid0(VALU_DEP_3) | instskip(NEXT) | instid1(VALU_DEP_2)
	v_xor_b32_e32 v51, v1, v8
	v_xor_b32_e32 v50, v3, v8
	s_delay_alu instid0(VALU_DEP_1)
	v_sub_nc_u64_e32 v[8:9], v[50:51], v[8:9]
.LBB95_2997:
	s_mov_b32 s1, 0
.LBB95_2998:
	s_delay_alu instid0(SALU_CYCLE_1)
	s_and_not1_b32 vcc_lo, exec_lo, s1
	s_cbranch_vccnz .LBB95_3000
; %bb.2999:
	global_load_u16 v1, v[48:49], off
	s_wait_loadcnt 0x0
	v_cvt_f32_f16_e32 v1, v1
	s_delay_alu instid0(VALU_DEP_1) | instskip(SKIP_1) | instid1(VALU_DEP_1)
	v_cvt_i32_f32_e32 v8, v1
	s_wait_xcnt 0x1
	v_ashrrev_i32_e32 v9, 31, v8
.LBB95_3000:
	s_cbranch_execnz .LBB95_3019
.LBB95_3001:
	s_cmp_lt_i32 s0, 2
	s_cbranch_scc1 .LBB95_3005
; %bb.3002:
	s_cmp_lt_i32 s0, 3
	s_cbranch_scc1 .LBB95_3006
; %bb.3003:
	s_cmp_gt_i32 s0, 3
	s_cbranch_scc0 .LBB95_3007
; %bb.3004:
	s_wait_loadcnt 0x0
	global_load_b64 v[8:9], v[48:49], off
	s_mov_b32 s1, 0
	s_branch .LBB95_3008
.LBB95_3005:
                                        ; implicit-def: $vgpr8_vgpr9
	s_branch .LBB95_3014
.LBB95_3006:
	s_mov_b32 s1, -1
                                        ; implicit-def: $vgpr8_vgpr9
	s_branch .LBB95_3011
.LBB95_3007:
	s_mov_b32 s1, -1
                                        ; implicit-def: $vgpr8_vgpr9
.LBB95_3008:
	s_delay_alu instid0(SALU_CYCLE_1)
	s_and_not1_b32 vcc_lo, exec_lo, s1
	s_cbranch_vccnz .LBB95_3010
; %bb.3009:
	s_wait_loadcnt 0x0
	global_load_b32 v8, v[48:49], off
	s_wait_loadcnt 0x0
	s_wait_xcnt 0x1
	v_ashrrev_i32_e32 v9, 31, v8
.LBB95_3010:
	s_mov_b32 s1, 0
.LBB95_3011:
	s_delay_alu instid0(SALU_CYCLE_1)
	s_and_not1_b32 vcc_lo, exec_lo, s1
	s_cbranch_vccnz .LBB95_3013
; %bb.3012:
	global_load_u16 v1, v[48:49], off
	s_wait_loadcnt 0x0
	v_bfe_i32 v8, v1, 0, 16
	s_wait_xcnt 0x1
	s_delay_alu instid0(VALU_DEP_1)
	v_ashrrev_i32_e32 v9, 31, v8
.LBB95_3013:
	s_cbranch_execnz .LBB95_3019
.LBB95_3014:
	s_cmp_gt_i32 s0, 0
	s_mov_b32 s0, 0
	s_cbranch_scc0 .LBB95_3016
; %bb.3015:
	global_load_i8 v1, v[48:49], off
	s_wait_loadcnt 0x0
	v_bfe_i32 v8, v1, 0, 16
	s_wait_xcnt 0x1
	s_delay_alu instid0(VALU_DEP_1)
	v_ashrrev_i32_e32 v9, 31, v8
	s_branch .LBB95_3017
.LBB95_3016:
	s_mov_b32 s0, -1
                                        ; implicit-def: $vgpr8_vgpr9
.LBB95_3017:
	s_delay_alu instid0(SALU_CYCLE_1)
	s_and_not1_b32 vcc_lo, exec_lo, s0
	s_cbranch_vccnz .LBB95_3019
; %bb.3018:
	global_load_u8 v1, v[48:49], off
	s_mov_b32 s0, 0
	s_wait_loadcnt 0x1
	s_wait_xcnt 0x1
	v_mov_b32_e32 v9, s0
	s_wait_loadcnt 0x0
	v_and_b32_e32 v8, 0xffff, v1
.LBB95_3019:
.LBB95_3020:
	v_mov_b32_e32 v13, 0
	s_load_b64 s[10:11], s[2:3], 0x258
	global_load_u8 v1, v13, s[2:3] offset:802
	s_wait_kmcnt 0x0
	v_add_nc_u64_e32 v[48:49], s[10:11], v[12:13]
	s_wait_loadcnt 0x0
	v_and_b32_e32 v3, 0xffff, v1
	v_readfirstlane_b32 s31, v1
	s_delay_alu instid0(VALU_DEP_2)
	v_cmp_gt_i32_e32 vcc_lo, 11, v3
	s_cbranch_vccnz .LBB95_3027
; %bb.3021:
	s_and_b32 s0, 0xffff, s31
	s_mov_b32 s8, 0
	s_cmp_gt_i32 s0, 25
	s_cbranch_scc0 .LBB95_3029
; %bb.3022:
	s_cmp_gt_i32 s0, 28
	s_cbranch_scc0 .LBB95_3030
; %bb.3023:
	s_cmp_gt_i32 s0, 43
	s_cbranch_scc0 .LBB95_3031
; %bb.3024:
	s_cmp_gt_i32 s0, 45
	s_cbranch_scc0 .LBB95_3033
; %bb.3025:
	s_cmp_eq_u32 s0, 46
	s_mov_b32 s12, 0
	s_cbranch_scc0 .LBB95_3034
; %bb.3026:
	global_load_b32 v1, v[48:49], off
	s_mov_b32 s1, 0
	s_mov_b32 s9, -1
	s_wait_loadcnt 0x0
	v_lshlrev_b32_e32 v1, 16, v1
	s_delay_alu instid0(VALU_DEP_1) | instskip(NEXT) | instid1(VALU_DEP_1)
	v_trunc_f32_e32 v1, v1
	v_mul_f32_e64 v3, 0x2f800000, |v1|
	v_ashrrev_i32_e32 v12, 31, v1
	s_delay_alu instid0(VALU_DEP_2) | instskip(SKIP_1) | instid1(VALU_DEP_2)
	v_floor_f32_e32 v3, v3
	s_wait_xcnt 0x1
	v_mov_b32_e32 v13, v12
	s_delay_alu instid0(VALU_DEP_2) | instskip(SKIP_1) | instid1(VALU_DEP_2)
	v_fma_f32 v5, 0xcf800000, v3, |v1|
	v_cvt_u32_f32_e32 v1, v3
	v_cvt_u32_f32_e32 v3, v5
	s_delay_alu instid0(VALU_DEP_2) | instskip(NEXT) | instid1(VALU_DEP_2)
	v_xor_b32_e32 v51, v1, v12
	v_xor_b32_e32 v50, v3, v12
	s_delay_alu instid0(VALU_DEP_1)
	v_sub_nc_u64_e32 v[12:13], v[50:51], v[12:13]
	s_branch .LBB95_3036
.LBB95_3027:
	s_mov_b32 s9, 0
                                        ; implicit-def: $vgpr12_vgpr13
	s_cbranch_execnz .LBB95_3097
.LBB95_3028:
	s_and_not1_b32 vcc_lo, exec_lo, s9
	s_cbranch_vccnz .LBB95_3532
	s_branch .LBB95_3144
.LBB95_3029:
	s_mov_b32 s9, 0
	s_mov_b32 s1, 0
                                        ; implicit-def: $vgpr12_vgpr13
	s_cbranch_execnz .LBB95_3063
	s_branch .LBB95_3093
.LBB95_3030:
	s_mov_b32 s12, -1
	s_mov_b32 s9, 0
	s_mov_b32 s1, 0
                                        ; implicit-def: $vgpr12_vgpr13
	s_branch .LBB95_3046
.LBB95_3031:
	s_mov_b32 s12, -1
	s_mov_b32 s9, 0
	s_mov_b32 s1, 0
                                        ; implicit-def: $vgpr12_vgpr13
	s_branch .LBB95_3041
.LBB95_3032:
	s_or_b32 s33, s34, exec_lo
	s_trap 2
	s_cbranch_execz .LBB95_2973
	s_branch .LBB95_2974
.LBB95_3033:
	s_mov_b32 s12, -1
	s_mov_b32 s9, 0
	s_mov_b32 s1, 0
	s_branch .LBB95_3035
.LBB95_3034:
	s_mov_b32 s1, -1
	s_mov_b32 s9, 0
.LBB95_3035:
                                        ; implicit-def: $vgpr12_vgpr13
.LBB95_3036:
	s_and_b32 vcc_lo, exec_lo, s12
	s_cbranch_vccz .LBB95_3040
; %bb.3037:
	s_cmp_eq_u32 s0, 44
	s_cbranch_scc0 .LBB95_3039
; %bb.3038:
	global_load_u8 v1, v[48:49], off
	s_mov_b32 s1, 0
	s_mov_b32 s9, -1
	s_wait_loadcnt 0x0
	v_lshlrev_b32_e32 v3, 23, v1
	v_cmp_ne_u32_e32 vcc_lo, 0, v1
	s_delay_alu instid0(VALU_DEP_2) | instskip(NEXT) | instid1(VALU_DEP_1)
	v_trunc_f32_e32 v3, v3
	v_mul_f32_e64 v5, 0x2f800000, |v3|
	v_ashrrev_i32_e32 v12, 31, v3
	s_delay_alu instid0(VALU_DEP_2) | instskip(SKIP_1) | instid1(VALU_DEP_2)
	v_floor_f32_e32 v5, v5
	s_wait_xcnt 0x1
	v_mov_b32_e32 v13, v12
	s_delay_alu instid0(VALU_DEP_2) | instskip(SKIP_1) | instid1(VALU_DEP_2)
	v_fma_f32 v7, 0xcf800000, v5, |v3|
	v_cvt_u32_f32_e32 v3, v5
	v_cvt_u32_f32_e32 v5, v7
	s_delay_alu instid0(VALU_DEP_2) | instskip(NEXT) | instid1(VALU_DEP_2)
	v_xor_b32_e32 v51, v3, v12
	v_xor_b32_e32 v50, v5, v12
	s_delay_alu instid0(VALU_DEP_1) | instskip(NEXT) | instid1(VALU_DEP_1)
	v_sub_nc_u64_e32 v[12:13], v[50:51], v[12:13]
	v_dual_cndmask_b32 v13, 0, v13 :: v_dual_cndmask_b32 v12, 0, v12
	s_branch .LBB95_3040
.LBB95_3039:
	s_mov_b32 s1, -1
                                        ; implicit-def: $vgpr12_vgpr13
.LBB95_3040:
	s_mov_b32 s12, 0
.LBB95_3041:
	s_delay_alu instid0(SALU_CYCLE_1)
	s_and_b32 vcc_lo, exec_lo, s12
	s_cbranch_vccz .LBB95_3045
; %bb.3042:
	s_cmp_eq_u32 s0, 29
	s_cbranch_scc0 .LBB95_3044
; %bb.3043:
	global_load_b64 v[12:13], v[48:49], off
	s_mov_b32 s1, 0
	s_mov_b32 s9, -1
	s_branch .LBB95_3045
.LBB95_3044:
	s_mov_b32 s1, -1
                                        ; implicit-def: $vgpr12_vgpr13
.LBB95_3045:
	s_mov_b32 s12, 0
.LBB95_3046:
	s_delay_alu instid0(SALU_CYCLE_1)
	s_and_b32 vcc_lo, exec_lo, s12
	s_cbranch_vccz .LBB95_3062
; %bb.3047:
	s_cmp_lt_i32 s0, 27
	s_cbranch_scc1 .LBB95_3050
; %bb.3048:
	s_cmp_gt_i32 s0, 27
	s_cbranch_scc0 .LBB95_3051
; %bb.3049:
	s_wait_loadcnt 0x0
	global_load_b32 v12, v[48:49], off
	s_wait_xcnt 0x1
	v_mov_b32_e32 v13, 0
	s_mov_b32 s9, 0
	s_branch .LBB95_3052
.LBB95_3050:
	s_mov_b32 s9, -1
                                        ; implicit-def: $vgpr12_vgpr13
	s_branch .LBB95_3055
.LBB95_3051:
	s_mov_b32 s9, -1
                                        ; implicit-def: $vgpr12_vgpr13
.LBB95_3052:
	s_delay_alu instid0(SALU_CYCLE_1)
	s_and_not1_b32 vcc_lo, exec_lo, s9
	s_cbranch_vccnz .LBB95_3054
; %bb.3053:
	global_load_u16 v1, v[48:49], off
	s_mov_b32 s9, 0
	s_wait_loadcnt 0x1
	s_wait_xcnt 0x1
	v_mov_b32_e32 v13, s9
	s_wait_loadcnt 0x0
	v_and_b32_e32 v12, 0xffff, v1
.LBB95_3054:
	s_mov_b32 s9, 0
.LBB95_3055:
	s_delay_alu instid0(SALU_CYCLE_1)
	s_and_not1_b32 vcc_lo, exec_lo, s9
	s_cbranch_vccnz .LBB95_3061
; %bb.3056:
	global_load_u8 v1, v[48:49], off
	s_mov_b32 s12, 0
	s_mov_b32 s9, exec_lo
	s_wait_loadcnt 0x0
	v_cmpx_lt_i16_e32 0x7f, v1
	s_xor_b32 s9, exec_lo, s9
	s_cbranch_execz .LBB95_3072
; %bb.3057:
	v_cmp_ne_u16_e32 vcc_lo, 0x80, v1
	s_and_b32 s12, vcc_lo, exec_lo
	s_and_not1_saveexec_b32 s9, s9
	s_cbranch_execnz .LBB95_3073
.LBB95_3058:
	s_or_b32 exec_lo, exec_lo, s9
	v_mov_b64_e32 v[12:13], 0
	s_and_saveexec_b32 s9, s12
	s_cbranch_execz .LBB95_3060
.LBB95_3059:
	v_and_b32_e32 v3, 0xffff, v1
	s_delay_alu instid0(VALU_DEP_1) | instskip(SKIP_1) | instid1(VALU_DEP_2)
	v_dual_lshlrev_b32 v1, 24, v1 :: v_dual_bitop2_b32 v5, 7, v3 bitop3:0x40
	v_bfe_u32 v12, v3, 3, 4
	v_and_b32_e32 v1, 0x80000000, v1
	s_delay_alu instid0(VALU_DEP_3) | instskip(NEXT) | instid1(VALU_DEP_3)
	v_clz_i32_u32_e32 v7, v5
	v_cmp_eq_u32_e32 vcc_lo, 0, v12
	s_delay_alu instid0(VALU_DEP_2) | instskip(NEXT) | instid1(VALU_DEP_1)
	v_min_u32_e32 v7, 32, v7
	v_subrev_nc_u32_e32 v11, 28, v7
	v_sub_nc_u32_e32 v7, 29, v7
	s_delay_alu instid0(VALU_DEP_2) | instskip(NEXT) | instid1(VALU_DEP_2)
	v_lshlrev_b32_e32 v3, v11, v3
	v_cndmask_b32_e32 v7, v12, v7, vcc_lo
	s_delay_alu instid0(VALU_DEP_2) | instskip(NEXT) | instid1(VALU_DEP_1)
	v_and_b32_e32 v3, 7, v3
	v_cndmask_b32_e32 v3, v5, v3, vcc_lo
	s_delay_alu instid0(VALU_DEP_3) | instskip(NEXT) | instid1(VALU_DEP_2)
	v_lshl_add_u32 v5, v7, 23, 0x3b800000
	v_lshlrev_b32_e32 v3, 20, v3
	s_delay_alu instid0(VALU_DEP_1) | instskip(NEXT) | instid1(VALU_DEP_1)
	v_or3_b32 v1, v1, v5, v3
	v_trunc_f32_e32 v1, v1
	s_delay_alu instid0(VALU_DEP_1) | instskip(SKIP_1) | instid1(VALU_DEP_2)
	v_mul_f32_e64 v3, 0x2f800000, |v1|
	v_ashrrev_i32_e32 v12, 31, v1
	v_floor_f32_e32 v3, v3
	s_delay_alu instid0(VALU_DEP_2) | instskip(NEXT) | instid1(VALU_DEP_2)
	v_mov_b32_e32 v13, v12
	v_fma_f32 v5, 0xcf800000, v3, |v1|
	v_cvt_u32_f32_e32 v1, v3
	s_delay_alu instid0(VALU_DEP_2) | instskip(NEXT) | instid1(VALU_DEP_2)
	v_cvt_u32_f32_e32 v3, v5
	v_xor_b32_e32 v51, v1, v12
	s_delay_alu instid0(VALU_DEP_2) | instskip(NEXT) | instid1(VALU_DEP_1)
	v_xor_b32_e32 v50, v3, v12
	v_sub_nc_u64_e32 v[12:13], v[50:51], v[12:13]
.LBB95_3060:
	s_or_b32 exec_lo, exec_lo, s9
.LBB95_3061:
	s_mov_b32 s9, -1
.LBB95_3062:
	s_branch .LBB95_3093
.LBB95_3063:
	s_cmp_gt_i32 s0, 22
	s_cbranch_scc0 .LBB95_3071
; %bb.3064:
	s_cmp_lt_i32 s0, 24
	s_cbranch_scc1 .LBB95_3074
; %bb.3065:
	s_cmp_gt_i32 s0, 24
	s_cbranch_scc0 .LBB95_3075
; %bb.3066:
	global_load_u8 v1, v[48:49], off
	s_mov_b32 s9, 0
	s_mov_b32 s8, exec_lo
	s_wait_loadcnt 0x0
	v_cmpx_lt_i16_e32 0x7f, v1
	s_xor_b32 s8, exec_lo, s8
	s_cbranch_execz .LBB95_3087
; %bb.3067:
	v_cmp_ne_u16_e32 vcc_lo, 0x80, v1
	s_and_b32 s9, vcc_lo, exec_lo
	s_and_not1_saveexec_b32 s8, s8
	s_cbranch_execnz .LBB95_3088
.LBB95_3068:
	s_or_b32 exec_lo, exec_lo, s8
	v_mov_b64_e32 v[12:13], 0
	s_and_saveexec_b32 s8, s9
	s_cbranch_execz .LBB95_3070
.LBB95_3069:
	v_and_b32_e32 v3, 0xffff, v1
	s_delay_alu instid0(VALU_DEP_1) | instskip(SKIP_1) | instid1(VALU_DEP_2)
	v_dual_lshlrev_b32 v1, 24, v1 :: v_dual_bitop2_b32 v5, 3, v3 bitop3:0x40
	v_bfe_u32 v12, v3, 2, 5
	v_and_b32_e32 v1, 0x80000000, v1
	s_delay_alu instid0(VALU_DEP_3) | instskip(NEXT) | instid1(VALU_DEP_3)
	v_clz_i32_u32_e32 v7, v5
	v_cmp_eq_u32_e32 vcc_lo, 0, v12
	s_delay_alu instid0(VALU_DEP_2) | instskip(NEXT) | instid1(VALU_DEP_1)
	v_min_u32_e32 v7, 32, v7
	v_subrev_nc_u32_e32 v11, 29, v7
	v_sub_nc_u32_e32 v7, 30, v7
	s_delay_alu instid0(VALU_DEP_2) | instskip(NEXT) | instid1(VALU_DEP_2)
	v_lshlrev_b32_e32 v3, v11, v3
	v_cndmask_b32_e32 v7, v12, v7, vcc_lo
	s_delay_alu instid0(VALU_DEP_2) | instskip(NEXT) | instid1(VALU_DEP_1)
	v_and_b32_e32 v3, 3, v3
	v_cndmask_b32_e32 v3, v5, v3, vcc_lo
	s_delay_alu instid0(VALU_DEP_3) | instskip(NEXT) | instid1(VALU_DEP_2)
	v_lshl_add_u32 v5, v7, 23, 0x37800000
	v_lshlrev_b32_e32 v3, 21, v3
	s_delay_alu instid0(VALU_DEP_1) | instskip(NEXT) | instid1(VALU_DEP_1)
	v_or3_b32 v1, v1, v5, v3
	v_trunc_f32_e32 v1, v1
	s_delay_alu instid0(VALU_DEP_1) | instskip(SKIP_1) | instid1(VALU_DEP_2)
	v_mul_f32_e64 v3, 0x2f800000, |v1|
	v_ashrrev_i32_e32 v12, 31, v1
	v_floor_f32_e32 v3, v3
	s_delay_alu instid0(VALU_DEP_2) | instskip(NEXT) | instid1(VALU_DEP_2)
	v_mov_b32_e32 v13, v12
	v_fma_f32 v5, 0xcf800000, v3, |v1|
	v_cvt_u32_f32_e32 v1, v3
	s_delay_alu instid0(VALU_DEP_2) | instskip(NEXT) | instid1(VALU_DEP_2)
	v_cvt_u32_f32_e32 v3, v5
	v_xor_b32_e32 v51, v1, v12
	s_delay_alu instid0(VALU_DEP_2) | instskip(NEXT) | instid1(VALU_DEP_1)
	v_xor_b32_e32 v50, v3, v12
	v_sub_nc_u64_e32 v[12:13], v[50:51], v[12:13]
.LBB95_3070:
	s_or_b32 exec_lo, exec_lo, s8
	s_mov_b32 s8, 0
	s_branch .LBB95_3076
.LBB95_3071:
	s_mov_b32 s8, -1
                                        ; implicit-def: $vgpr12_vgpr13
	s_branch .LBB95_3082
.LBB95_3072:
	s_and_not1_saveexec_b32 s9, s9
	s_cbranch_execz .LBB95_3058
.LBB95_3073:
	v_cmp_ne_u16_e32 vcc_lo, 0, v1
	s_and_not1_b32 s12, s12, exec_lo
	s_and_b32 s13, vcc_lo, exec_lo
	s_delay_alu instid0(SALU_CYCLE_1)
	s_or_b32 s12, s12, s13
	s_or_b32 exec_lo, exec_lo, s9
	v_mov_b64_e32 v[12:13], 0
	s_and_saveexec_b32 s9, s12
	s_cbranch_execnz .LBB95_3059
	s_branch .LBB95_3060
.LBB95_3074:
	s_mov_b32 s8, -1
                                        ; implicit-def: $vgpr12_vgpr13
	s_branch .LBB95_3079
.LBB95_3075:
	s_mov_b32 s8, -1
                                        ; implicit-def: $vgpr12_vgpr13
.LBB95_3076:
	s_delay_alu instid0(SALU_CYCLE_1)
	s_and_b32 vcc_lo, exec_lo, s8
	s_cbranch_vccz .LBB95_3078
; %bb.3077:
	global_load_u8 v1, v[48:49], off
	s_wait_loadcnt 0x0
	v_lshlrev_b32_e32 v1, 24, v1
	s_delay_alu instid0(VALU_DEP_1) | instskip(NEXT) | instid1(VALU_DEP_1)
	v_and_b32_e32 v3, 0x7f000000, v1
	v_clz_i32_u32_e32 v5, v3
	v_add_nc_u32_e32 v11, 0x1000000, v3
	v_cmp_ne_u32_e32 vcc_lo, 0, v3
	s_delay_alu instid0(VALU_DEP_3) | instskip(NEXT) | instid1(VALU_DEP_1)
	v_min_u32_e32 v5, 32, v5
	v_sub_nc_u32_e64 v5, v5, 4 clamp
	s_delay_alu instid0(VALU_DEP_1) | instskip(NEXT) | instid1(VALU_DEP_1)
	v_dual_lshlrev_b32 v7, v5, v3 :: v_dual_lshlrev_b32 v5, 23, v5
	v_lshrrev_b32_e32 v7, 4, v7
	s_delay_alu instid0(VALU_DEP_1) | instskip(NEXT) | instid1(VALU_DEP_1)
	v_dual_sub_nc_u32 v5, v7, v5 :: v_dual_ashrrev_i32 v7, 8, v11
	v_add_nc_u32_e32 v5, 0x3c000000, v5
	s_delay_alu instid0(VALU_DEP_1) | instskip(NEXT) | instid1(VALU_DEP_1)
	v_and_or_b32 v5, 0x7f800000, v7, v5
	v_cndmask_b32_e32 v3, 0, v5, vcc_lo
	s_delay_alu instid0(VALU_DEP_1) | instskip(NEXT) | instid1(VALU_DEP_1)
	v_and_or_b32 v1, 0x80000000, v1, v3
	v_trunc_f32_e32 v1, v1
	s_delay_alu instid0(VALU_DEP_1) | instskip(SKIP_1) | instid1(VALU_DEP_2)
	v_mul_f32_e64 v3, 0x2f800000, |v1|
	v_ashrrev_i32_e32 v12, 31, v1
	v_floor_f32_e32 v3, v3
	s_wait_xcnt 0x1
	s_delay_alu instid0(VALU_DEP_2) | instskip(NEXT) | instid1(VALU_DEP_2)
	v_mov_b32_e32 v13, v12
	v_fma_f32 v5, 0xcf800000, v3, |v1|
	v_cvt_u32_f32_e32 v1, v3
	s_delay_alu instid0(VALU_DEP_2) | instskip(NEXT) | instid1(VALU_DEP_2)
	v_cvt_u32_f32_e32 v3, v5
	v_xor_b32_e32 v51, v1, v12
	s_delay_alu instid0(VALU_DEP_2) | instskip(NEXT) | instid1(VALU_DEP_1)
	v_xor_b32_e32 v50, v3, v12
	v_sub_nc_u64_e32 v[12:13], v[50:51], v[12:13]
.LBB95_3078:
	s_mov_b32 s8, 0
.LBB95_3079:
	s_delay_alu instid0(SALU_CYCLE_1)
	s_and_not1_b32 vcc_lo, exec_lo, s8
	s_cbranch_vccnz .LBB95_3081
; %bb.3080:
	global_load_u8 v1, v[48:49], off
	s_wait_loadcnt 0x0
	v_lshlrev_b32_e32 v3, 25, v1
	v_lshlrev_b16 v1, 8, v1
	s_delay_alu instid0(VALU_DEP_1) | instskip(SKIP_1) | instid1(VALU_DEP_2)
	v_and_or_b32 v7, 0x7f00, v1, 0.5
	v_bfe_i32 v1, v1, 0, 16
	v_add_f32_e32 v7, -0.5, v7
	v_lshrrev_b32_e32 v5, 4, v3
	v_cmp_gt_u32_e32 vcc_lo, 0x8000000, v3
	s_delay_alu instid0(VALU_DEP_2) | instskip(NEXT) | instid1(VALU_DEP_1)
	v_or_b32_e32 v5, 0x70000000, v5
	v_mul_f32_e32 v5, 0x7800000, v5
	s_delay_alu instid0(VALU_DEP_1) | instskip(NEXT) | instid1(VALU_DEP_1)
	v_cndmask_b32_e32 v3, v5, v7, vcc_lo
	v_and_or_b32 v1, 0x80000000, v1, v3
	s_delay_alu instid0(VALU_DEP_1) | instskip(NEXT) | instid1(VALU_DEP_1)
	v_trunc_f32_e32 v1, v1
	v_mul_f32_e64 v3, 0x2f800000, |v1|
	v_ashrrev_i32_e32 v12, 31, v1
	s_delay_alu instid0(VALU_DEP_2) | instskip(SKIP_1) | instid1(VALU_DEP_2)
	v_floor_f32_e32 v3, v3
	s_wait_xcnt 0x1
	v_mov_b32_e32 v13, v12
	s_delay_alu instid0(VALU_DEP_2) | instskip(SKIP_1) | instid1(VALU_DEP_2)
	v_fma_f32 v5, 0xcf800000, v3, |v1|
	v_cvt_u32_f32_e32 v1, v3
	v_cvt_u32_f32_e32 v3, v5
	s_delay_alu instid0(VALU_DEP_2) | instskip(NEXT) | instid1(VALU_DEP_2)
	v_xor_b32_e32 v51, v1, v12
	v_xor_b32_e32 v50, v3, v12
	s_delay_alu instid0(VALU_DEP_1)
	v_sub_nc_u64_e32 v[12:13], v[50:51], v[12:13]
.LBB95_3081:
	s_mov_b32 s8, 0
	s_mov_b32 s9, -1
.LBB95_3082:
	s_and_not1_b32 vcc_lo, exec_lo, s8
	s_mov_b32 s8, 0
	s_cbranch_vccnz .LBB95_3093
; %bb.3083:
	s_cmp_gt_i32 s0, 14
	s_cbranch_scc0 .LBB95_3086
; %bb.3084:
	s_cmp_eq_u32 s0, 15
	s_cbranch_scc0 .LBB95_3089
; %bb.3085:
	global_load_u16 v1, v[48:49], off
	s_mov_b32 s1, 0
	s_mov_b32 s9, -1
	s_wait_loadcnt 0x0
	v_lshlrev_b32_e32 v1, 16, v1
	s_delay_alu instid0(VALU_DEP_1) | instskip(NEXT) | instid1(VALU_DEP_1)
	v_trunc_f32_e32 v1, v1
	v_mul_f32_e64 v3, 0x2f800000, |v1|
	v_ashrrev_i32_e32 v12, 31, v1
	s_delay_alu instid0(VALU_DEP_2) | instskip(SKIP_1) | instid1(VALU_DEP_2)
	v_floor_f32_e32 v3, v3
	s_wait_xcnt 0x1
	v_mov_b32_e32 v13, v12
	s_delay_alu instid0(VALU_DEP_2) | instskip(SKIP_1) | instid1(VALU_DEP_2)
	v_fma_f32 v5, 0xcf800000, v3, |v1|
	v_cvt_u32_f32_e32 v1, v3
	v_cvt_u32_f32_e32 v3, v5
	s_delay_alu instid0(VALU_DEP_2) | instskip(NEXT) | instid1(VALU_DEP_2)
	v_xor_b32_e32 v51, v1, v12
	v_xor_b32_e32 v50, v3, v12
	s_delay_alu instid0(VALU_DEP_1)
	v_sub_nc_u64_e32 v[12:13], v[50:51], v[12:13]
	s_branch .LBB95_3091
.LBB95_3086:
	s_mov_b32 s8, -1
	s_branch .LBB95_3090
.LBB95_3087:
	s_and_not1_saveexec_b32 s8, s8
	s_cbranch_execz .LBB95_3068
.LBB95_3088:
	v_cmp_ne_u16_e32 vcc_lo, 0, v1
	s_and_not1_b32 s9, s9, exec_lo
	s_and_b32 s12, vcc_lo, exec_lo
	s_delay_alu instid0(SALU_CYCLE_1)
	s_or_b32 s9, s9, s12
	s_or_b32 exec_lo, exec_lo, s8
	v_mov_b64_e32 v[12:13], 0
	s_and_saveexec_b32 s8, s9
	s_cbranch_execnz .LBB95_3069
	s_branch .LBB95_3070
.LBB95_3089:
	s_mov_b32 s1, -1
.LBB95_3090:
                                        ; implicit-def: $vgpr12_vgpr13
.LBB95_3091:
	s_and_b32 vcc_lo, exec_lo, s8
	s_mov_b32 s8, 0
	s_cbranch_vccz .LBB95_3093
; %bb.3092:
	s_cmp_lg_u32 s0, 11
	s_mov_b32 s8, -1
	s_cselect_b32 s1, -1, 0
.LBB95_3093:
	s_delay_alu instid0(SALU_CYCLE_1)
	s_and_b32 vcc_lo, exec_lo, s1
	s_cbranch_vccnz .LBB95_3156
; %bb.3094:
	s_and_not1_b32 vcc_lo, exec_lo, s8
	s_cbranch_vccnz .LBB95_3096
.LBB95_3095:
	global_load_u8 v1, v[48:49], off
	s_mov_b32 s0, 0
	s_mov_b32 s9, -1
	s_wait_loadcnt 0x1
	s_wait_xcnt 0x1
	v_mov_b32_e32 v13, s0
	s_wait_loadcnt 0x0
	v_cmp_ne_u16_e32 vcc_lo, 0, v1
	v_cndmask_b32_e64 v12, 0, 1, vcc_lo
.LBB95_3096:
	s_branch .LBB95_3028
.LBB95_3097:
	s_and_b32 s0, 0xffff, s31
	s_delay_alu instid0(SALU_CYCLE_1)
	s_cmp_lt_i32 s0, 5
	s_cbranch_scc1 .LBB95_3102
; %bb.3098:
	s_cmp_lt_i32 s0, 8
	s_cbranch_scc1 .LBB95_3103
; %bb.3099:
	;; [unrolled: 3-line block ×3, first 2 shown]
	s_cmp_gt_i32 s0, 9
	s_cbranch_scc0 .LBB95_3105
; %bb.3101:
	s_wait_loadcnt 0x0
	global_load_b64 v[12:13], v[48:49], off
	s_mov_b32 s1, 0
	s_wait_loadcnt 0x0
	v_trunc_f64_e32 v[12:13], v[12:13]
	s_delay_alu instid0(VALU_DEP_1) | instskip(NEXT) | instid1(VALU_DEP_1)
	v_ldexp_f64 v[50:51], v[12:13], 0xffffffe0
	v_floor_f64_e32 v[50:51], v[50:51]
	s_delay_alu instid0(VALU_DEP_1) | instskip(SKIP_1) | instid1(VALU_DEP_2)
	v_fmamk_f64 v[52:53], v[50:51], 0xc1f00000, v[12:13]
	v_cvt_i32_f64_e32 v13, v[50:51]
	v_cvt_u32_f64_e32 v12, v[52:53]
	s_branch .LBB95_3106
.LBB95_3102:
                                        ; implicit-def: $vgpr12_vgpr13
	s_branch .LBB95_3124
.LBB95_3103:
	s_mov_b32 s1, -1
                                        ; implicit-def: $vgpr12_vgpr13
	s_branch .LBB95_3112
.LBB95_3104:
	s_mov_b32 s1, -1
                                        ; implicit-def: $vgpr12_vgpr13
	s_branch .LBB95_3109
.LBB95_3105:
	s_mov_b32 s1, -1
                                        ; implicit-def: $vgpr12_vgpr13
.LBB95_3106:
	s_delay_alu instid0(SALU_CYCLE_1)
	s_and_not1_b32 vcc_lo, exec_lo, s1
	s_cbranch_vccnz .LBB95_3108
; %bb.3107:
	global_load_b32 v1, v[48:49], off
	s_wait_loadcnt 0x0
	v_trunc_f32_e32 v1, v1
	s_delay_alu instid0(VALU_DEP_1) | instskip(SKIP_1) | instid1(VALU_DEP_2)
	v_mul_f32_e64 v3, 0x2f800000, |v1|
	v_ashrrev_i32_e32 v12, 31, v1
	v_floor_f32_e32 v3, v3
	s_delay_alu instid0(VALU_DEP_1) | instskip(SKIP_3) | instid1(VALU_DEP_3)
	v_fma_f32 v5, 0xcf800000, v3, |v1|
	v_cvt_u32_f32_e32 v1, v3
	s_wait_xcnt 0x1
	v_mov_b32_e32 v13, v12
	v_cvt_u32_f32_e32 v3, v5
	s_delay_alu instid0(VALU_DEP_3) | instskip(NEXT) | instid1(VALU_DEP_2)
	v_xor_b32_e32 v51, v1, v12
	v_xor_b32_e32 v50, v3, v12
	s_delay_alu instid0(VALU_DEP_1)
	v_sub_nc_u64_e32 v[12:13], v[50:51], v[12:13]
.LBB95_3108:
	s_mov_b32 s1, 0
.LBB95_3109:
	s_delay_alu instid0(SALU_CYCLE_1)
	s_and_not1_b32 vcc_lo, exec_lo, s1
	s_cbranch_vccnz .LBB95_3111
; %bb.3110:
	global_load_b32 v1, v[48:49], off
	s_wait_loadcnt 0x0
	v_cvt_f32_f16_e32 v1, v1
	s_delay_alu instid0(VALU_DEP_1) | instskip(SKIP_1) | instid1(VALU_DEP_1)
	v_cvt_i32_f32_e32 v12, v1
	s_wait_xcnt 0x1
	v_ashrrev_i32_e32 v13, 31, v12
.LBB95_3111:
	s_mov_b32 s1, 0
.LBB95_3112:
	s_delay_alu instid0(SALU_CYCLE_1)
	s_and_not1_b32 vcc_lo, exec_lo, s1
	s_cbranch_vccnz .LBB95_3123
; %bb.3113:
	s_cmp_lt_i32 s0, 6
	s_cbranch_scc1 .LBB95_3116
; %bb.3114:
	s_cmp_gt_i32 s0, 6
	s_cbranch_scc0 .LBB95_3117
; %bb.3115:
	s_wait_loadcnt 0x0
	global_load_b64 v[12:13], v[48:49], off
	s_mov_b32 s1, 0
	s_wait_loadcnt 0x0
	v_trunc_f64_e32 v[12:13], v[12:13]
	s_delay_alu instid0(VALU_DEP_1) | instskip(NEXT) | instid1(VALU_DEP_1)
	v_ldexp_f64 v[50:51], v[12:13], 0xffffffe0
	v_floor_f64_e32 v[50:51], v[50:51]
	s_delay_alu instid0(VALU_DEP_1) | instskip(SKIP_1) | instid1(VALU_DEP_2)
	v_fmamk_f64 v[52:53], v[50:51], 0xc1f00000, v[12:13]
	v_cvt_i32_f64_e32 v13, v[50:51]
	v_cvt_u32_f64_e32 v12, v[52:53]
	s_branch .LBB95_3118
.LBB95_3116:
	s_mov_b32 s1, -1
                                        ; implicit-def: $vgpr12_vgpr13
	s_branch .LBB95_3121
.LBB95_3117:
	s_mov_b32 s1, -1
                                        ; implicit-def: $vgpr12_vgpr13
.LBB95_3118:
	s_delay_alu instid0(SALU_CYCLE_1)
	s_and_not1_b32 vcc_lo, exec_lo, s1
	s_cbranch_vccnz .LBB95_3120
; %bb.3119:
	global_load_b32 v1, v[48:49], off
	s_wait_loadcnt 0x0
	v_trunc_f32_e32 v1, v1
	s_delay_alu instid0(VALU_DEP_1) | instskip(SKIP_1) | instid1(VALU_DEP_2)
	v_mul_f32_e64 v3, 0x2f800000, |v1|
	v_ashrrev_i32_e32 v12, 31, v1
	v_floor_f32_e32 v3, v3
	s_delay_alu instid0(VALU_DEP_1) | instskip(SKIP_3) | instid1(VALU_DEP_3)
	v_fma_f32 v5, 0xcf800000, v3, |v1|
	v_cvt_u32_f32_e32 v1, v3
	s_wait_xcnt 0x1
	v_mov_b32_e32 v13, v12
	v_cvt_u32_f32_e32 v3, v5
	s_delay_alu instid0(VALU_DEP_3) | instskip(NEXT) | instid1(VALU_DEP_2)
	v_xor_b32_e32 v51, v1, v12
	v_xor_b32_e32 v50, v3, v12
	s_delay_alu instid0(VALU_DEP_1)
	v_sub_nc_u64_e32 v[12:13], v[50:51], v[12:13]
.LBB95_3120:
	s_mov_b32 s1, 0
.LBB95_3121:
	s_delay_alu instid0(SALU_CYCLE_1)
	s_and_not1_b32 vcc_lo, exec_lo, s1
	s_cbranch_vccnz .LBB95_3123
; %bb.3122:
	global_load_u16 v1, v[48:49], off
	s_wait_loadcnt 0x0
	v_cvt_f32_f16_e32 v1, v1
	s_delay_alu instid0(VALU_DEP_1) | instskip(SKIP_1) | instid1(VALU_DEP_1)
	v_cvt_i32_f32_e32 v12, v1
	s_wait_xcnt 0x1
	v_ashrrev_i32_e32 v13, 31, v12
.LBB95_3123:
	s_cbranch_execnz .LBB95_3143
.LBB95_3124:
	s_cmp_lt_i32 s0, 2
	s_cbranch_scc1 .LBB95_3128
; %bb.3125:
	s_cmp_lt_i32 s0, 3
	s_cbranch_scc1 .LBB95_3129
; %bb.3126:
	s_cmp_gt_i32 s0, 3
	s_cbranch_scc0 .LBB95_3130
; %bb.3127:
	s_wait_loadcnt 0x0
	global_load_b64 v[12:13], v[48:49], off
	s_mov_b32 s1, 0
	s_branch .LBB95_3131
.LBB95_3128:
	s_mov_b32 s1, -1
                                        ; implicit-def: $vgpr12_vgpr13
	s_branch .LBB95_3137
.LBB95_3129:
	s_mov_b32 s1, -1
                                        ; implicit-def: $vgpr12_vgpr13
	s_branch .LBB95_3134
.LBB95_3130:
	s_mov_b32 s1, -1
                                        ; implicit-def: $vgpr12_vgpr13
.LBB95_3131:
	s_delay_alu instid0(SALU_CYCLE_1)
	s_and_not1_b32 vcc_lo, exec_lo, s1
	s_cbranch_vccnz .LBB95_3133
; %bb.3132:
	s_wait_loadcnt 0x0
	global_load_b32 v12, v[48:49], off
	s_wait_loadcnt 0x0
	s_wait_xcnt 0x1
	v_ashrrev_i32_e32 v13, 31, v12
.LBB95_3133:
	s_mov_b32 s1, 0
.LBB95_3134:
	s_delay_alu instid0(SALU_CYCLE_1)
	s_and_not1_b32 vcc_lo, exec_lo, s1
	s_cbranch_vccnz .LBB95_3136
; %bb.3135:
	global_load_u16 v1, v[48:49], off
	s_wait_loadcnt 0x0
	v_bfe_i32 v12, v1, 0, 16
	s_wait_xcnt 0x1
	s_delay_alu instid0(VALU_DEP_1)
	v_ashrrev_i32_e32 v13, 31, v12
.LBB95_3136:
	s_mov_b32 s1, 0
.LBB95_3137:
	s_delay_alu instid0(SALU_CYCLE_1)
	s_and_not1_b32 vcc_lo, exec_lo, s1
	s_cbranch_vccnz .LBB95_3143
; %bb.3138:
	s_cmp_gt_i32 s0, 0
	s_mov_b32 s0, 0
	s_cbranch_scc0 .LBB95_3140
; %bb.3139:
	global_load_i8 v1, v[48:49], off
	s_wait_loadcnt 0x0
	v_bfe_i32 v12, v1, 0, 16
	s_wait_xcnt 0x1
	s_delay_alu instid0(VALU_DEP_1)
	v_ashrrev_i32_e32 v13, 31, v12
	s_branch .LBB95_3141
.LBB95_3140:
	s_mov_b32 s0, -1
                                        ; implicit-def: $vgpr12_vgpr13
.LBB95_3141:
	s_delay_alu instid0(SALU_CYCLE_1)
	s_and_not1_b32 vcc_lo, exec_lo, s0
	s_cbranch_vccnz .LBB95_3143
; %bb.3142:
	global_load_u8 v1, v[48:49], off
	s_mov_b32 s0, 0
	s_wait_loadcnt 0x1
	s_wait_xcnt 0x1
	v_mov_b32_e32 v13, s0
	s_wait_loadcnt 0x0
	v_and_b32_e32 v12, 0xffff, v1
.LBB95_3143:
.LBB95_3144:
	v_mov_b32_e32 v47, 0
	s_load_b64 s[12:13], s[2:3], 0x260
	global_load_u8 v1, v47, s[2:3] offset:803
	s_wait_kmcnt 0x0
	v_add_nc_u64_e32 v[48:49], s[12:13], v[46:47]
	s_wait_loadcnt 0x0
	v_and_b32_e32 v3, 0xffff, v1
	v_readfirstlane_b32 s47, v1
	s_delay_alu instid0(VALU_DEP_2)
	v_cmp_gt_i32_e32 vcc_lo, 11, v3
	s_cbranch_vccnz .LBB95_3151
; %bb.3145:
	s_and_b32 s0, 0xffff, s47
	s_mov_b32 s8, 0
	s_cmp_gt_i32 s0, 25
	s_cbranch_scc0 .LBB95_3153
; %bb.3146:
	s_cmp_gt_i32 s0, 28
	s_cbranch_scc0 .LBB95_3154
; %bb.3147:
	;; [unrolled: 3-line block ×4, first 2 shown]
	s_cmp_eq_u32 s0, 46
	s_mov_b32 s14, 0
	s_cbranch_scc0 .LBB95_3158
; %bb.3150:
	global_load_b32 v1, v[48:49], off
	s_mov_b32 s1, 0
	s_mov_b32 s9, -1
	s_wait_loadcnt 0x0
	v_lshlrev_b32_e32 v1, 16, v1
	s_delay_alu instid0(VALU_DEP_1) | instskip(NEXT) | instid1(VALU_DEP_1)
	v_trunc_f32_e32 v1, v1
	v_mul_f32_e64 v3, 0x2f800000, |v1|
	v_ashrrev_i32_e32 v46, 31, v1
	s_delay_alu instid0(VALU_DEP_2) | instskip(SKIP_1) | instid1(VALU_DEP_2)
	v_floor_f32_e32 v3, v3
	s_wait_xcnt 0x1
	v_mov_b32_e32 v47, v46
	s_delay_alu instid0(VALU_DEP_2) | instskip(SKIP_1) | instid1(VALU_DEP_2)
	v_fma_f32 v5, 0xcf800000, v3, |v1|
	v_cvt_u32_f32_e32 v1, v3
	v_cvt_u32_f32_e32 v3, v5
	s_delay_alu instid0(VALU_DEP_2) | instskip(NEXT) | instid1(VALU_DEP_2)
	v_xor_b32_e32 v51, v1, v46
	v_xor_b32_e32 v50, v3, v46
	s_delay_alu instid0(VALU_DEP_1)
	v_sub_nc_u64_e32 v[46:47], v[50:51], v[46:47]
	s_branch .LBB95_3160
.LBB95_3151:
	s_mov_b32 s9, 0
                                        ; implicit-def: $vgpr46_vgpr47
	s_cbranch_execnz .LBB95_3222
.LBB95_3152:
	s_and_not1_b32 vcc_lo, exec_lo, s9
	s_cbranch_vccnz .LBB95_3532
	s_branch .LBB95_3270
.LBB95_3153:
	s_mov_b32 s14, -1
	s_mov_b32 s9, 0
	s_mov_b32 s1, 0
                                        ; implicit-def: $vgpr46_vgpr47
	s_branch .LBB95_3187
.LBB95_3154:
	s_mov_b32 s14, -1
	s_mov_b32 s9, 0
	s_mov_b32 s1, 0
                                        ; implicit-def: $vgpr46_vgpr47
	s_branch .LBB95_3170
.LBB95_3155:
	s_mov_b32 s14, -1
	s_mov_b32 s9, 0
	s_mov_b32 s1, 0
                                        ; implicit-def: $vgpr46_vgpr47
	s_branch .LBB95_3165
.LBB95_3156:
	s_or_b32 s33, s33, exec_lo
	s_trap 2
	s_cbranch_execz .LBB95_3095
	s_branch .LBB95_3096
.LBB95_3157:
	s_mov_b32 s14, -1
	s_mov_b32 s9, 0
	s_mov_b32 s1, 0
	s_branch .LBB95_3159
.LBB95_3158:
	s_mov_b32 s1, -1
	s_mov_b32 s9, 0
.LBB95_3159:
                                        ; implicit-def: $vgpr46_vgpr47
.LBB95_3160:
	s_and_b32 vcc_lo, exec_lo, s14
	s_cbranch_vccz .LBB95_3164
; %bb.3161:
	s_cmp_eq_u32 s0, 44
	s_cbranch_scc0 .LBB95_3163
; %bb.3162:
	global_load_u8 v1, v[48:49], off
	s_mov_b32 s1, 0
	s_mov_b32 s9, -1
	s_wait_loadcnt 0x0
	v_lshlrev_b32_e32 v3, 23, v1
	v_cmp_ne_u32_e32 vcc_lo, 0, v1
	s_delay_alu instid0(VALU_DEP_2) | instskip(NEXT) | instid1(VALU_DEP_1)
	v_trunc_f32_e32 v3, v3
	v_mul_f32_e64 v5, 0x2f800000, |v3|
	v_ashrrev_i32_e32 v46, 31, v3
	s_delay_alu instid0(VALU_DEP_2) | instskip(SKIP_1) | instid1(VALU_DEP_2)
	v_floor_f32_e32 v5, v5
	s_wait_xcnt 0x1
	v_mov_b32_e32 v47, v46
	s_delay_alu instid0(VALU_DEP_2) | instskip(SKIP_1) | instid1(VALU_DEP_2)
	v_fma_f32 v7, 0xcf800000, v5, |v3|
	v_cvt_u32_f32_e32 v3, v5
	v_cvt_u32_f32_e32 v5, v7
	s_delay_alu instid0(VALU_DEP_2) | instskip(NEXT) | instid1(VALU_DEP_2)
	v_xor_b32_e32 v51, v3, v46
	v_xor_b32_e32 v50, v5, v46
	s_delay_alu instid0(VALU_DEP_1) | instskip(NEXT) | instid1(VALU_DEP_1)
	v_sub_nc_u64_e32 v[46:47], v[50:51], v[46:47]
	v_dual_cndmask_b32 v47, 0, v47 :: v_dual_cndmask_b32 v46, 0, v46
	s_branch .LBB95_3164
.LBB95_3163:
	s_mov_b32 s1, -1
                                        ; implicit-def: $vgpr46_vgpr47
.LBB95_3164:
	s_mov_b32 s14, 0
.LBB95_3165:
	s_delay_alu instid0(SALU_CYCLE_1)
	s_and_b32 vcc_lo, exec_lo, s14
	s_cbranch_vccz .LBB95_3169
; %bb.3166:
	s_cmp_eq_u32 s0, 29
	s_cbranch_scc0 .LBB95_3168
; %bb.3167:
	global_load_b64 v[46:47], v[48:49], off
	s_mov_b32 s1, 0
	s_mov_b32 s9, -1
	s_branch .LBB95_3169
.LBB95_3168:
	s_mov_b32 s1, -1
                                        ; implicit-def: $vgpr46_vgpr47
.LBB95_3169:
	s_mov_b32 s14, 0
.LBB95_3170:
	s_delay_alu instid0(SALU_CYCLE_1)
	s_and_b32 vcc_lo, exec_lo, s14
	s_cbranch_vccz .LBB95_3186
; %bb.3171:
	s_cmp_lt_i32 s0, 27
	s_cbranch_scc1 .LBB95_3174
; %bb.3172:
	s_cmp_gt_i32 s0, 27
	s_cbranch_scc0 .LBB95_3175
; %bb.3173:
	s_wait_loadcnt 0x0
	global_load_b32 v46, v[48:49], off
	s_wait_xcnt 0x1
	v_mov_b32_e32 v47, 0
	s_mov_b32 s9, 0
	s_branch .LBB95_3176
.LBB95_3174:
	s_mov_b32 s9, -1
                                        ; implicit-def: $vgpr46_vgpr47
	s_branch .LBB95_3179
.LBB95_3175:
	s_mov_b32 s9, -1
                                        ; implicit-def: $vgpr46_vgpr47
.LBB95_3176:
	s_delay_alu instid0(SALU_CYCLE_1)
	s_and_not1_b32 vcc_lo, exec_lo, s9
	s_cbranch_vccnz .LBB95_3178
; %bb.3177:
	global_load_u16 v1, v[48:49], off
	s_mov_b32 s9, 0
	s_wait_loadcnt 0x1
	s_wait_xcnt 0x1
	v_mov_b32_e32 v47, s9
	s_wait_loadcnt 0x0
	v_and_b32_e32 v46, 0xffff, v1
.LBB95_3178:
	s_mov_b32 s9, 0
.LBB95_3179:
	s_delay_alu instid0(SALU_CYCLE_1)
	s_and_not1_b32 vcc_lo, exec_lo, s9
	s_cbranch_vccnz .LBB95_3185
; %bb.3180:
	global_load_u8 v1, v[48:49], off
	s_mov_b32 s14, 0
	s_mov_b32 s9, exec_lo
	s_wait_loadcnt 0x0
	v_cmpx_lt_i16_e32 0x7f, v1
	s_xor_b32 s9, exec_lo, s9
	s_cbranch_execz .LBB95_3197
; %bb.3181:
	v_cmp_ne_u16_e32 vcc_lo, 0x80, v1
	s_and_b32 s14, vcc_lo, exec_lo
	s_and_not1_saveexec_b32 s9, s9
	s_cbranch_execnz .LBB95_3198
.LBB95_3182:
	s_or_b32 exec_lo, exec_lo, s9
	v_mov_b64_e32 v[46:47], 0
	s_and_saveexec_b32 s9, s14
	s_cbranch_execz .LBB95_3184
.LBB95_3183:
	v_and_b32_e32 v3, 0xffff, v1
	s_delay_alu instid0(VALU_DEP_1) | instskip(SKIP_1) | instid1(VALU_DEP_2)
	v_dual_lshlrev_b32 v1, 24, v1 :: v_dual_bitop2_b32 v5, 7, v3 bitop3:0x40
	v_bfe_u32 v15, v3, 3, 4
	v_and_b32_e32 v1, 0x80000000, v1
	s_delay_alu instid0(VALU_DEP_3) | instskip(NEXT) | instid1(VALU_DEP_3)
	v_clz_i32_u32_e32 v7, v5
	v_cmp_eq_u32_e32 vcc_lo, 0, v15
	s_delay_alu instid0(VALU_DEP_2) | instskip(NEXT) | instid1(VALU_DEP_1)
	v_min_u32_e32 v7, 32, v7
	v_subrev_nc_u32_e32 v11, 28, v7
	v_sub_nc_u32_e32 v7, 29, v7
	s_delay_alu instid0(VALU_DEP_2) | instskip(NEXT) | instid1(VALU_DEP_2)
	v_lshlrev_b32_e32 v3, v11, v3
	v_cndmask_b32_e32 v7, v15, v7, vcc_lo
	s_delay_alu instid0(VALU_DEP_2) | instskip(NEXT) | instid1(VALU_DEP_1)
	v_and_b32_e32 v3, 7, v3
	v_cndmask_b32_e32 v3, v5, v3, vcc_lo
	s_delay_alu instid0(VALU_DEP_3) | instskip(NEXT) | instid1(VALU_DEP_2)
	v_lshl_add_u32 v5, v7, 23, 0x3b800000
	v_lshlrev_b32_e32 v3, 20, v3
	s_delay_alu instid0(VALU_DEP_1) | instskip(NEXT) | instid1(VALU_DEP_1)
	v_or3_b32 v1, v1, v5, v3
	v_trunc_f32_e32 v1, v1
	s_delay_alu instid0(VALU_DEP_1) | instskip(SKIP_1) | instid1(VALU_DEP_2)
	v_mul_f32_e64 v3, 0x2f800000, |v1|
	v_ashrrev_i32_e32 v46, 31, v1
	v_floor_f32_e32 v3, v3
	s_delay_alu instid0(VALU_DEP_2) | instskip(NEXT) | instid1(VALU_DEP_2)
	v_mov_b32_e32 v47, v46
	v_fma_f32 v5, 0xcf800000, v3, |v1|
	v_cvt_u32_f32_e32 v1, v3
	s_delay_alu instid0(VALU_DEP_2) | instskip(NEXT) | instid1(VALU_DEP_2)
	v_cvt_u32_f32_e32 v3, v5
	v_xor_b32_e32 v51, v1, v46
	s_delay_alu instid0(VALU_DEP_2) | instskip(NEXT) | instid1(VALU_DEP_1)
	v_xor_b32_e32 v50, v3, v46
	v_sub_nc_u64_e32 v[46:47], v[50:51], v[46:47]
.LBB95_3184:
	s_or_b32 exec_lo, exec_lo, s9
.LBB95_3185:
	s_mov_b32 s9, -1
.LBB95_3186:
	s_mov_b32 s14, 0
.LBB95_3187:
	s_delay_alu instid0(SALU_CYCLE_1)
	s_and_b32 vcc_lo, exec_lo, s14
	s_cbranch_vccz .LBB95_3218
; %bb.3188:
	s_cmp_gt_i32 s0, 22
	s_cbranch_scc0 .LBB95_3196
; %bb.3189:
	s_cmp_lt_i32 s0, 24
	s_cbranch_scc1 .LBB95_3199
; %bb.3190:
	s_cmp_gt_i32 s0, 24
	s_cbranch_scc0 .LBB95_3200
; %bb.3191:
	global_load_u8 v1, v[48:49], off
	s_mov_b32 s9, 0
	s_mov_b32 s8, exec_lo
	s_wait_loadcnt 0x0
	v_cmpx_lt_i16_e32 0x7f, v1
	s_xor_b32 s8, exec_lo, s8
	s_cbranch_execz .LBB95_3212
; %bb.3192:
	v_cmp_ne_u16_e32 vcc_lo, 0x80, v1
	s_and_b32 s9, vcc_lo, exec_lo
	s_and_not1_saveexec_b32 s8, s8
	s_cbranch_execnz .LBB95_3213
.LBB95_3193:
	s_or_b32 exec_lo, exec_lo, s8
	v_mov_b64_e32 v[46:47], 0
	s_and_saveexec_b32 s8, s9
	s_cbranch_execz .LBB95_3195
.LBB95_3194:
	v_and_b32_e32 v3, 0xffff, v1
	s_delay_alu instid0(VALU_DEP_1) | instskip(SKIP_1) | instid1(VALU_DEP_2)
	v_dual_lshlrev_b32 v1, 24, v1 :: v_dual_bitop2_b32 v5, 3, v3 bitop3:0x40
	v_bfe_u32 v15, v3, 2, 5
	v_and_b32_e32 v1, 0x80000000, v1
	s_delay_alu instid0(VALU_DEP_3) | instskip(NEXT) | instid1(VALU_DEP_3)
	v_clz_i32_u32_e32 v7, v5
	v_cmp_eq_u32_e32 vcc_lo, 0, v15
	s_delay_alu instid0(VALU_DEP_2) | instskip(NEXT) | instid1(VALU_DEP_1)
	v_min_u32_e32 v7, 32, v7
	v_subrev_nc_u32_e32 v11, 29, v7
	v_sub_nc_u32_e32 v7, 30, v7
	s_delay_alu instid0(VALU_DEP_2) | instskip(NEXT) | instid1(VALU_DEP_2)
	v_lshlrev_b32_e32 v3, v11, v3
	v_cndmask_b32_e32 v7, v15, v7, vcc_lo
	s_delay_alu instid0(VALU_DEP_2) | instskip(NEXT) | instid1(VALU_DEP_1)
	v_and_b32_e32 v3, 3, v3
	v_cndmask_b32_e32 v3, v5, v3, vcc_lo
	s_delay_alu instid0(VALU_DEP_3) | instskip(NEXT) | instid1(VALU_DEP_2)
	v_lshl_add_u32 v5, v7, 23, 0x37800000
	v_lshlrev_b32_e32 v3, 21, v3
	s_delay_alu instid0(VALU_DEP_1) | instskip(NEXT) | instid1(VALU_DEP_1)
	v_or3_b32 v1, v1, v5, v3
	v_trunc_f32_e32 v1, v1
	s_delay_alu instid0(VALU_DEP_1) | instskip(SKIP_1) | instid1(VALU_DEP_2)
	v_mul_f32_e64 v3, 0x2f800000, |v1|
	v_ashrrev_i32_e32 v46, 31, v1
	v_floor_f32_e32 v3, v3
	s_delay_alu instid0(VALU_DEP_2) | instskip(NEXT) | instid1(VALU_DEP_2)
	v_mov_b32_e32 v47, v46
	v_fma_f32 v5, 0xcf800000, v3, |v1|
	v_cvt_u32_f32_e32 v1, v3
	s_delay_alu instid0(VALU_DEP_2) | instskip(NEXT) | instid1(VALU_DEP_2)
	v_cvt_u32_f32_e32 v3, v5
	v_xor_b32_e32 v51, v1, v46
	s_delay_alu instid0(VALU_DEP_2) | instskip(NEXT) | instid1(VALU_DEP_1)
	v_xor_b32_e32 v50, v3, v46
	v_sub_nc_u64_e32 v[46:47], v[50:51], v[46:47]
.LBB95_3195:
	s_or_b32 exec_lo, exec_lo, s8
	s_mov_b32 s8, 0
	s_branch .LBB95_3201
.LBB95_3196:
	s_mov_b32 s8, -1
                                        ; implicit-def: $vgpr46_vgpr47
	s_branch .LBB95_3207
.LBB95_3197:
	s_and_not1_saveexec_b32 s9, s9
	s_cbranch_execz .LBB95_3182
.LBB95_3198:
	v_cmp_ne_u16_e32 vcc_lo, 0, v1
	s_and_not1_b32 s14, s14, exec_lo
	s_and_b32 s15, vcc_lo, exec_lo
	s_delay_alu instid0(SALU_CYCLE_1)
	s_or_b32 s14, s14, s15
	s_or_b32 exec_lo, exec_lo, s9
	v_mov_b64_e32 v[46:47], 0
	s_and_saveexec_b32 s9, s14
	s_cbranch_execnz .LBB95_3183
	s_branch .LBB95_3184
.LBB95_3199:
	s_mov_b32 s8, -1
                                        ; implicit-def: $vgpr46_vgpr47
	s_branch .LBB95_3204
.LBB95_3200:
	s_mov_b32 s8, -1
                                        ; implicit-def: $vgpr46_vgpr47
.LBB95_3201:
	s_delay_alu instid0(SALU_CYCLE_1)
	s_and_b32 vcc_lo, exec_lo, s8
	s_cbranch_vccz .LBB95_3203
; %bb.3202:
	global_load_u8 v1, v[48:49], off
	s_wait_loadcnt 0x0
	v_lshlrev_b32_e32 v1, 24, v1
	s_delay_alu instid0(VALU_DEP_1) | instskip(NEXT) | instid1(VALU_DEP_1)
	v_and_b32_e32 v3, 0x7f000000, v1
	v_clz_i32_u32_e32 v5, v3
	v_add_nc_u32_e32 v11, 0x1000000, v3
	v_cmp_ne_u32_e32 vcc_lo, 0, v3
	s_delay_alu instid0(VALU_DEP_3) | instskip(NEXT) | instid1(VALU_DEP_1)
	v_min_u32_e32 v5, 32, v5
	v_sub_nc_u32_e64 v5, v5, 4 clamp
	s_delay_alu instid0(VALU_DEP_1) | instskip(NEXT) | instid1(VALU_DEP_1)
	v_dual_lshlrev_b32 v7, v5, v3 :: v_dual_lshlrev_b32 v5, 23, v5
	v_lshrrev_b32_e32 v7, 4, v7
	s_delay_alu instid0(VALU_DEP_1) | instskip(NEXT) | instid1(VALU_DEP_1)
	v_dual_sub_nc_u32 v5, v7, v5 :: v_dual_ashrrev_i32 v7, 8, v11
	v_add_nc_u32_e32 v5, 0x3c000000, v5
	s_delay_alu instid0(VALU_DEP_1) | instskip(NEXT) | instid1(VALU_DEP_1)
	v_and_or_b32 v5, 0x7f800000, v7, v5
	v_cndmask_b32_e32 v3, 0, v5, vcc_lo
	s_delay_alu instid0(VALU_DEP_1) | instskip(NEXT) | instid1(VALU_DEP_1)
	v_and_or_b32 v1, 0x80000000, v1, v3
	v_trunc_f32_e32 v1, v1
	s_delay_alu instid0(VALU_DEP_1) | instskip(SKIP_1) | instid1(VALU_DEP_2)
	v_mul_f32_e64 v3, 0x2f800000, |v1|
	v_ashrrev_i32_e32 v46, 31, v1
	v_floor_f32_e32 v3, v3
	s_wait_xcnt 0x1
	s_delay_alu instid0(VALU_DEP_2) | instskip(NEXT) | instid1(VALU_DEP_2)
	v_mov_b32_e32 v47, v46
	v_fma_f32 v5, 0xcf800000, v3, |v1|
	v_cvt_u32_f32_e32 v1, v3
	s_delay_alu instid0(VALU_DEP_2) | instskip(NEXT) | instid1(VALU_DEP_2)
	v_cvt_u32_f32_e32 v3, v5
	v_xor_b32_e32 v51, v1, v46
	s_delay_alu instid0(VALU_DEP_2) | instskip(NEXT) | instid1(VALU_DEP_1)
	v_xor_b32_e32 v50, v3, v46
	v_sub_nc_u64_e32 v[46:47], v[50:51], v[46:47]
.LBB95_3203:
	s_mov_b32 s8, 0
.LBB95_3204:
	s_delay_alu instid0(SALU_CYCLE_1)
	s_and_not1_b32 vcc_lo, exec_lo, s8
	s_cbranch_vccnz .LBB95_3206
; %bb.3205:
	global_load_u8 v1, v[48:49], off
	s_wait_loadcnt 0x0
	v_lshlrev_b32_e32 v3, 25, v1
	v_lshlrev_b16 v1, 8, v1
	s_delay_alu instid0(VALU_DEP_1) | instskip(SKIP_1) | instid1(VALU_DEP_2)
	v_and_or_b32 v7, 0x7f00, v1, 0.5
	v_bfe_i32 v1, v1, 0, 16
	v_add_f32_e32 v7, -0.5, v7
	v_lshrrev_b32_e32 v5, 4, v3
	v_cmp_gt_u32_e32 vcc_lo, 0x8000000, v3
	s_delay_alu instid0(VALU_DEP_2) | instskip(NEXT) | instid1(VALU_DEP_1)
	v_or_b32_e32 v5, 0x70000000, v5
	v_mul_f32_e32 v5, 0x7800000, v5
	s_delay_alu instid0(VALU_DEP_1) | instskip(NEXT) | instid1(VALU_DEP_1)
	v_cndmask_b32_e32 v3, v5, v7, vcc_lo
	v_and_or_b32 v1, 0x80000000, v1, v3
	s_delay_alu instid0(VALU_DEP_1) | instskip(NEXT) | instid1(VALU_DEP_1)
	v_trunc_f32_e32 v1, v1
	v_mul_f32_e64 v3, 0x2f800000, |v1|
	v_ashrrev_i32_e32 v46, 31, v1
	s_delay_alu instid0(VALU_DEP_2) | instskip(SKIP_1) | instid1(VALU_DEP_2)
	v_floor_f32_e32 v3, v3
	s_wait_xcnt 0x1
	v_mov_b32_e32 v47, v46
	s_delay_alu instid0(VALU_DEP_2) | instskip(SKIP_1) | instid1(VALU_DEP_2)
	v_fma_f32 v5, 0xcf800000, v3, |v1|
	v_cvt_u32_f32_e32 v1, v3
	v_cvt_u32_f32_e32 v3, v5
	s_delay_alu instid0(VALU_DEP_2) | instskip(NEXT) | instid1(VALU_DEP_2)
	v_xor_b32_e32 v51, v1, v46
	v_xor_b32_e32 v50, v3, v46
	s_delay_alu instid0(VALU_DEP_1)
	v_sub_nc_u64_e32 v[46:47], v[50:51], v[46:47]
.LBB95_3206:
	s_mov_b32 s8, 0
	s_mov_b32 s9, -1
.LBB95_3207:
	s_and_not1_b32 vcc_lo, exec_lo, s8
	s_mov_b32 s8, 0
	s_cbranch_vccnz .LBB95_3218
; %bb.3208:
	s_cmp_gt_i32 s0, 14
	s_cbranch_scc0 .LBB95_3211
; %bb.3209:
	s_cmp_eq_u32 s0, 15
	s_cbranch_scc0 .LBB95_3214
; %bb.3210:
	global_load_u16 v1, v[48:49], off
	s_mov_b32 s1, 0
	s_mov_b32 s9, -1
	s_wait_loadcnt 0x0
	v_lshlrev_b32_e32 v1, 16, v1
	s_delay_alu instid0(VALU_DEP_1) | instskip(NEXT) | instid1(VALU_DEP_1)
	v_trunc_f32_e32 v1, v1
	v_mul_f32_e64 v3, 0x2f800000, |v1|
	v_ashrrev_i32_e32 v46, 31, v1
	s_delay_alu instid0(VALU_DEP_2) | instskip(SKIP_1) | instid1(VALU_DEP_2)
	v_floor_f32_e32 v3, v3
	s_wait_xcnt 0x1
	v_mov_b32_e32 v47, v46
	s_delay_alu instid0(VALU_DEP_2) | instskip(SKIP_1) | instid1(VALU_DEP_2)
	v_fma_f32 v5, 0xcf800000, v3, |v1|
	v_cvt_u32_f32_e32 v1, v3
	v_cvt_u32_f32_e32 v3, v5
	s_delay_alu instid0(VALU_DEP_2) | instskip(NEXT) | instid1(VALU_DEP_2)
	v_xor_b32_e32 v51, v1, v46
	v_xor_b32_e32 v50, v3, v46
	s_delay_alu instid0(VALU_DEP_1)
	v_sub_nc_u64_e32 v[46:47], v[50:51], v[46:47]
	s_branch .LBB95_3216
.LBB95_3211:
	s_mov_b32 s8, -1
	s_branch .LBB95_3215
.LBB95_3212:
	s_and_not1_saveexec_b32 s8, s8
	s_cbranch_execz .LBB95_3193
.LBB95_3213:
	v_cmp_ne_u16_e32 vcc_lo, 0, v1
	s_and_not1_b32 s9, s9, exec_lo
	s_and_b32 s14, vcc_lo, exec_lo
	s_delay_alu instid0(SALU_CYCLE_1)
	s_or_b32 s9, s9, s14
	s_or_b32 exec_lo, exec_lo, s8
	v_mov_b64_e32 v[46:47], 0
	s_and_saveexec_b32 s8, s9
	s_cbranch_execnz .LBB95_3194
	s_branch .LBB95_3195
.LBB95_3214:
	s_mov_b32 s1, -1
.LBB95_3215:
                                        ; implicit-def: $vgpr46_vgpr47
.LBB95_3216:
	s_and_b32 vcc_lo, exec_lo, s8
	s_mov_b32 s8, 0
	s_cbranch_vccz .LBB95_3218
; %bb.3217:
	s_cmp_lg_u32 s0, 11
	s_mov_b32 s8, -1
	s_cselect_b32 s1, -1, 0
.LBB95_3218:
	s_delay_alu instid0(SALU_CYCLE_1)
	s_and_b32 vcc_lo, exec_lo, s1
	s_cbranch_vccnz .LBB95_3281
; %bb.3219:
	s_and_not1_b32 vcc_lo, exec_lo, s8
	s_cbranch_vccnz .LBB95_3221
.LBB95_3220:
	global_load_u8 v1, v[48:49], off
	s_mov_b32 s0, 0
	s_mov_b32 s9, -1
	s_wait_loadcnt 0x1
	s_wait_xcnt 0x1
	v_mov_b32_e32 v47, s0
	s_wait_loadcnt 0x0
	v_cmp_ne_u16_e32 vcc_lo, 0, v1
	v_cndmask_b32_e64 v46, 0, 1, vcc_lo
.LBB95_3221:
	s_branch .LBB95_3152
.LBB95_3222:
	s_and_b32 s0, 0xffff, s47
	s_delay_alu instid0(SALU_CYCLE_1)
	s_cmp_lt_i32 s0, 5
	s_cbranch_scc1 .LBB95_3227
; %bb.3223:
	s_cmp_lt_i32 s0, 8
	s_cbranch_scc1 .LBB95_3228
; %bb.3224:
	;; [unrolled: 3-line block ×3, first 2 shown]
	s_cmp_gt_i32 s0, 9
	s_cbranch_scc0 .LBB95_3230
; %bb.3226:
	s_wait_loadcnt 0x0
	global_load_b64 v[46:47], v[48:49], off
	s_mov_b32 s1, 0
	s_wait_loadcnt 0x0
	v_trunc_f64_e32 v[46:47], v[46:47]
	s_delay_alu instid0(VALU_DEP_1) | instskip(NEXT) | instid1(VALU_DEP_1)
	v_ldexp_f64 v[50:51], v[46:47], 0xffffffe0
	v_floor_f64_e32 v[50:51], v[50:51]
	s_delay_alu instid0(VALU_DEP_1) | instskip(SKIP_1) | instid1(VALU_DEP_2)
	v_fmamk_f64 v[52:53], v[50:51], 0xc1f00000, v[46:47]
	v_cvt_i32_f64_e32 v47, v[50:51]
	v_cvt_u32_f64_e32 v46, v[52:53]
	s_branch .LBB95_3231
.LBB95_3227:
	s_mov_b32 s1, -1
                                        ; implicit-def: $vgpr46_vgpr47
	s_branch .LBB95_3249
.LBB95_3228:
	s_mov_b32 s1, -1
                                        ; implicit-def: $vgpr46_vgpr47
	s_branch .LBB95_3237
.LBB95_3229:
	s_mov_b32 s1, -1
                                        ; implicit-def: $vgpr46_vgpr47
	s_branch .LBB95_3234
.LBB95_3230:
	s_mov_b32 s1, -1
                                        ; implicit-def: $vgpr46_vgpr47
.LBB95_3231:
	s_delay_alu instid0(SALU_CYCLE_1)
	s_and_not1_b32 vcc_lo, exec_lo, s1
	s_cbranch_vccnz .LBB95_3233
; %bb.3232:
	global_load_b32 v1, v[48:49], off
	s_wait_loadcnt 0x0
	v_trunc_f32_e32 v1, v1
	s_delay_alu instid0(VALU_DEP_1) | instskip(SKIP_1) | instid1(VALU_DEP_2)
	v_mul_f32_e64 v3, 0x2f800000, |v1|
	v_ashrrev_i32_e32 v46, 31, v1
	v_floor_f32_e32 v3, v3
	s_delay_alu instid0(VALU_DEP_1) | instskip(SKIP_3) | instid1(VALU_DEP_3)
	v_fma_f32 v5, 0xcf800000, v3, |v1|
	v_cvt_u32_f32_e32 v1, v3
	s_wait_xcnt 0x1
	v_mov_b32_e32 v47, v46
	v_cvt_u32_f32_e32 v3, v5
	s_delay_alu instid0(VALU_DEP_3) | instskip(NEXT) | instid1(VALU_DEP_2)
	v_xor_b32_e32 v51, v1, v46
	v_xor_b32_e32 v50, v3, v46
	s_delay_alu instid0(VALU_DEP_1)
	v_sub_nc_u64_e32 v[46:47], v[50:51], v[46:47]
.LBB95_3233:
	s_mov_b32 s1, 0
.LBB95_3234:
	s_delay_alu instid0(SALU_CYCLE_1)
	s_and_not1_b32 vcc_lo, exec_lo, s1
	s_cbranch_vccnz .LBB95_3236
; %bb.3235:
	global_load_b32 v1, v[48:49], off
	s_wait_loadcnt 0x0
	v_cvt_f32_f16_e32 v1, v1
	s_delay_alu instid0(VALU_DEP_1) | instskip(SKIP_1) | instid1(VALU_DEP_1)
	v_cvt_i32_f32_e32 v46, v1
	s_wait_xcnt 0x1
	v_ashrrev_i32_e32 v47, 31, v46
.LBB95_3236:
	s_mov_b32 s1, 0
.LBB95_3237:
	s_delay_alu instid0(SALU_CYCLE_1)
	s_and_not1_b32 vcc_lo, exec_lo, s1
	s_cbranch_vccnz .LBB95_3248
; %bb.3238:
	s_cmp_lt_i32 s0, 6
	s_cbranch_scc1 .LBB95_3241
; %bb.3239:
	s_cmp_gt_i32 s0, 6
	s_cbranch_scc0 .LBB95_3242
; %bb.3240:
	s_wait_loadcnt 0x0
	global_load_b64 v[46:47], v[48:49], off
	s_mov_b32 s1, 0
	s_wait_loadcnt 0x0
	v_trunc_f64_e32 v[46:47], v[46:47]
	s_delay_alu instid0(VALU_DEP_1) | instskip(NEXT) | instid1(VALU_DEP_1)
	v_ldexp_f64 v[50:51], v[46:47], 0xffffffe0
	v_floor_f64_e32 v[50:51], v[50:51]
	s_delay_alu instid0(VALU_DEP_1) | instskip(SKIP_1) | instid1(VALU_DEP_2)
	v_fmamk_f64 v[52:53], v[50:51], 0xc1f00000, v[46:47]
	v_cvt_i32_f64_e32 v47, v[50:51]
	v_cvt_u32_f64_e32 v46, v[52:53]
	s_branch .LBB95_3243
.LBB95_3241:
	s_mov_b32 s1, -1
                                        ; implicit-def: $vgpr46_vgpr47
	s_branch .LBB95_3246
.LBB95_3242:
	s_mov_b32 s1, -1
                                        ; implicit-def: $vgpr46_vgpr47
.LBB95_3243:
	s_delay_alu instid0(SALU_CYCLE_1)
	s_and_not1_b32 vcc_lo, exec_lo, s1
	s_cbranch_vccnz .LBB95_3245
; %bb.3244:
	global_load_b32 v1, v[48:49], off
	s_wait_loadcnt 0x0
	v_trunc_f32_e32 v1, v1
	s_delay_alu instid0(VALU_DEP_1) | instskip(SKIP_1) | instid1(VALU_DEP_2)
	v_mul_f32_e64 v3, 0x2f800000, |v1|
	v_ashrrev_i32_e32 v46, 31, v1
	v_floor_f32_e32 v3, v3
	s_delay_alu instid0(VALU_DEP_1) | instskip(SKIP_3) | instid1(VALU_DEP_3)
	v_fma_f32 v5, 0xcf800000, v3, |v1|
	v_cvt_u32_f32_e32 v1, v3
	s_wait_xcnt 0x1
	v_mov_b32_e32 v47, v46
	v_cvt_u32_f32_e32 v3, v5
	s_delay_alu instid0(VALU_DEP_3) | instskip(NEXT) | instid1(VALU_DEP_2)
	v_xor_b32_e32 v51, v1, v46
	v_xor_b32_e32 v50, v3, v46
	s_delay_alu instid0(VALU_DEP_1)
	v_sub_nc_u64_e32 v[46:47], v[50:51], v[46:47]
.LBB95_3245:
	s_mov_b32 s1, 0
.LBB95_3246:
	s_delay_alu instid0(SALU_CYCLE_1)
	s_and_not1_b32 vcc_lo, exec_lo, s1
	s_cbranch_vccnz .LBB95_3248
; %bb.3247:
	global_load_u16 v1, v[48:49], off
	s_wait_loadcnt 0x0
	v_cvt_f32_f16_e32 v1, v1
	s_delay_alu instid0(VALU_DEP_1) | instskip(SKIP_1) | instid1(VALU_DEP_1)
	v_cvt_i32_f32_e32 v46, v1
	s_wait_xcnt 0x1
	v_ashrrev_i32_e32 v47, 31, v46
.LBB95_3248:
	s_mov_b32 s1, 0
.LBB95_3249:
	s_delay_alu instid0(SALU_CYCLE_1)
	s_and_not1_b32 vcc_lo, exec_lo, s1
	s_cbranch_vccnz .LBB95_3269
; %bb.3250:
	s_cmp_lt_i32 s0, 2
	s_cbranch_scc1 .LBB95_3254
; %bb.3251:
	s_cmp_lt_i32 s0, 3
	s_cbranch_scc1 .LBB95_3255
; %bb.3252:
	s_cmp_gt_i32 s0, 3
	s_cbranch_scc0 .LBB95_3256
; %bb.3253:
	s_wait_loadcnt 0x0
	global_load_b64 v[46:47], v[48:49], off
	s_mov_b32 s1, 0
	s_branch .LBB95_3257
.LBB95_3254:
	s_mov_b32 s1, -1
                                        ; implicit-def: $vgpr46_vgpr47
	s_branch .LBB95_3263
.LBB95_3255:
	s_mov_b32 s1, -1
                                        ; implicit-def: $vgpr46_vgpr47
	s_branch .LBB95_3260
.LBB95_3256:
	s_mov_b32 s1, -1
                                        ; implicit-def: $vgpr46_vgpr47
.LBB95_3257:
	s_delay_alu instid0(SALU_CYCLE_1)
	s_and_not1_b32 vcc_lo, exec_lo, s1
	s_cbranch_vccnz .LBB95_3259
; %bb.3258:
	s_wait_loadcnt 0x0
	global_load_b32 v46, v[48:49], off
	s_wait_loadcnt 0x0
	s_wait_xcnt 0x1
	v_ashrrev_i32_e32 v47, 31, v46
.LBB95_3259:
	s_mov_b32 s1, 0
.LBB95_3260:
	s_delay_alu instid0(SALU_CYCLE_1)
	s_and_not1_b32 vcc_lo, exec_lo, s1
	s_cbranch_vccnz .LBB95_3262
; %bb.3261:
	global_load_u16 v1, v[48:49], off
	s_wait_loadcnt 0x0
	v_bfe_i32 v46, v1, 0, 16
	s_wait_xcnt 0x1
	s_delay_alu instid0(VALU_DEP_1)
	v_ashrrev_i32_e32 v47, 31, v46
.LBB95_3262:
	s_mov_b32 s1, 0
.LBB95_3263:
	s_delay_alu instid0(SALU_CYCLE_1)
	s_and_not1_b32 vcc_lo, exec_lo, s1
	s_cbranch_vccnz .LBB95_3269
; %bb.3264:
	s_cmp_gt_i32 s0, 0
	s_mov_b32 s0, 0
	s_cbranch_scc0 .LBB95_3266
; %bb.3265:
	global_load_i8 v1, v[48:49], off
	s_wait_loadcnt 0x0
	v_bfe_i32 v46, v1, 0, 16
	s_wait_xcnt 0x1
	s_delay_alu instid0(VALU_DEP_1)
	v_ashrrev_i32_e32 v47, 31, v46
	s_branch .LBB95_3267
.LBB95_3266:
	s_mov_b32 s0, -1
                                        ; implicit-def: $vgpr46_vgpr47
.LBB95_3267:
	s_delay_alu instid0(SALU_CYCLE_1)
	s_and_not1_b32 vcc_lo, exec_lo, s0
	s_cbranch_vccnz .LBB95_3269
; %bb.3268:
	global_load_u8 v1, v[48:49], off
	s_mov_b32 s0, 0
	s_wait_loadcnt 0x1
	s_wait_xcnt 0x1
	v_mov_b32_e32 v47, s0
	s_wait_loadcnt 0x0
	v_and_b32_e32 v46, 0xffff, v1
.LBB95_3269:
.LBB95_3270:
	s_clause 0x1
	s_load_b64 s[14:15], s[2:3], 0x268
	s_load_b32 s0, s[2:3], 0x324
	v_mov_b32_e32 v45, 0
	s_wait_kmcnt 0x0
	s_delay_alu instid0(VALU_DEP_1) | instskip(SKIP_1) | instid1(SALU_CYCLE_1)
	v_add_nc_u64_e32 v[48:49], s[14:15], v[44:45]
	s_and_b32 s48, s0, 0xff
	s_cmp_lt_i32 s48, 11
	s_cbranch_scc1 .LBB95_3277
; %bb.3271:
	s_and_b32 s0, 0xffff, s48
	s_mov_b32 s8, 0
	s_cmp_gt_i32 s0, 25
	s_cbranch_scc0 .LBB95_3278
; %bb.3272:
	s_cmp_gt_i32 s0, 28
	s_cbranch_scc0 .LBB95_3279
; %bb.3273:
	;; [unrolled: 3-line block ×4, first 2 shown]
	s_cmp_eq_u32 s0, 46
	s_mov_b32 s16, 0
	s_cbranch_scc0 .LBB95_3283
; %bb.3276:
	global_load_b32 v1, v[48:49], off
	s_mov_b32 s1, 0
	s_mov_b32 s9, -1
	s_wait_loadcnt 0x0
	v_lshlrev_b32_e32 v1, 16, v1
	s_delay_alu instid0(VALU_DEP_1) | instskip(NEXT) | instid1(VALU_DEP_1)
	v_trunc_f32_e32 v1, v1
	v_mul_f32_e64 v3, 0x2f800000, |v1|
	v_ashrrev_i32_e32 v44, 31, v1
	s_delay_alu instid0(VALU_DEP_2) | instskip(NEXT) | instid1(VALU_DEP_2)
	v_floor_f32_e32 v3, v3
	v_mov_b32_e32 v45, v44
	s_delay_alu instid0(VALU_DEP_2) | instskip(SKIP_1) | instid1(VALU_DEP_2)
	v_fma_f32 v5, 0xcf800000, v3, |v1|
	v_cvt_u32_f32_e32 v1, v3
	v_cvt_u32_f32_e32 v3, v5
	s_delay_alu instid0(VALU_DEP_2) | instskip(NEXT) | instid1(VALU_DEP_2)
	v_xor_b32_e32 v51, v1, v44
	v_xor_b32_e32 v50, v3, v44
	s_delay_alu instid0(VALU_DEP_1)
	v_sub_nc_u64_e32 v[44:45], v[50:51], v[44:45]
	s_branch .LBB95_3285
.LBB95_3277:
	s_mov_b32 s0, -1
	s_mov_b32 s9, 0
                                        ; implicit-def: $vgpr44_vgpr45
	s_branch .LBB95_3347
.LBB95_3278:
	s_mov_b32 s16, -1
	s_mov_b32 s9, 0
	s_mov_b32 s1, 0
                                        ; implicit-def: $vgpr44_vgpr45
	s_branch .LBB95_3312
.LBB95_3279:
	s_mov_b32 s16, -1
	s_mov_b32 s9, 0
	s_mov_b32 s1, 0
                                        ; implicit-def: $vgpr44_vgpr45
	s_branch .LBB95_3295
.LBB95_3280:
	s_mov_b32 s16, -1
	s_mov_b32 s9, 0
	s_mov_b32 s1, 0
                                        ; implicit-def: $vgpr44_vgpr45
	s_branch .LBB95_3290
.LBB95_3281:
	s_or_b32 s33, s33, exec_lo
	s_trap 2
	s_cbranch_execz .LBB95_3220
	s_branch .LBB95_3221
.LBB95_3282:
	s_mov_b32 s16, -1
	s_mov_b32 s9, 0
	s_mov_b32 s1, 0
	s_branch .LBB95_3284
.LBB95_3283:
	s_mov_b32 s1, -1
	s_mov_b32 s9, 0
.LBB95_3284:
                                        ; implicit-def: $vgpr44_vgpr45
.LBB95_3285:
	s_and_b32 vcc_lo, exec_lo, s16
	s_cbranch_vccz .LBB95_3289
; %bb.3286:
	s_cmp_eq_u32 s0, 44
	s_cbranch_scc0 .LBB95_3288
; %bb.3287:
	global_load_u8 v1, v[48:49], off
	s_mov_b32 s1, 0
	s_mov_b32 s9, -1
	s_wait_loadcnt 0x0
	v_lshlrev_b32_e32 v3, 23, v1
	v_cmp_ne_u32_e32 vcc_lo, 0, v1
	s_delay_alu instid0(VALU_DEP_2) | instskip(NEXT) | instid1(VALU_DEP_1)
	v_trunc_f32_e32 v3, v3
	v_mul_f32_e64 v5, 0x2f800000, |v3|
	v_ashrrev_i32_e32 v44, 31, v3
	s_delay_alu instid0(VALU_DEP_2) | instskip(NEXT) | instid1(VALU_DEP_2)
	v_floor_f32_e32 v5, v5
	v_mov_b32_e32 v45, v44
	s_delay_alu instid0(VALU_DEP_2) | instskip(SKIP_1) | instid1(VALU_DEP_2)
	v_fma_f32 v7, 0xcf800000, v5, |v3|
	v_cvt_u32_f32_e32 v3, v5
	v_cvt_u32_f32_e32 v5, v7
	s_delay_alu instid0(VALU_DEP_2) | instskip(NEXT) | instid1(VALU_DEP_2)
	v_xor_b32_e32 v51, v3, v44
	v_xor_b32_e32 v50, v5, v44
	s_delay_alu instid0(VALU_DEP_1) | instskip(NEXT) | instid1(VALU_DEP_1)
	v_sub_nc_u64_e32 v[44:45], v[50:51], v[44:45]
	v_dual_cndmask_b32 v45, 0, v45 :: v_dual_cndmask_b32 v44, 0, v44
	s_branch .LBB95_3289
.LBB95_3288:
	s_mov_b32 s1, -1
                                        ; implicit-def: $vgpr44_vgpr45
.LBB95_3289:
	s_mov_b32 s16, 0
.LBB95_3290:
	s_delay_alu instid0(SALU_CYCLE_1)
	s_and_b32 vcc_lo, exec_lo, s16
	s_cbranch_vccz .LBB95_3294
; %bb.3291:
	s_cmp_eq_u32 s0, 29
	s_cbranch_scc0 .LBB95_3293
; %bb.3292:
	global_load_b64 v[44:45], v[48:49], off
	s_mov_b32 s1, 0
	s_mov_b32 s9, -1
	s_branch .LBB95_3294
.LBB95_3293:
	s_mov_b32 s1, -1
                                        ; implicit-def: $vgpr44_vgpr45
.LBB95_3294:
	s_mov_b32 s16, 0
.LBB95_3295:
	s_delay_alu instid0(SALU_CYCLE_1)
	s_and_b32 vcc_lo, exec_lo, s16
	s_cbranch_vccz .LBB95_3311
; %bb.3296:
	s_cmp_lt_i32 s0, 27
	s_cbranch_scc1 .LBB95_3299
; %bb.3297:
	s_cmp_gt_i32 s0, 27
	s_cbranch_scc0 .LBB95_3300
; %bb.3298:
	s_wait_loadcnt 0x0
	global_load_b32 v44, v[48:49], off
	v_mov_b32_e32 v45, 0
	s_mov_b32 s9, 0
	s_branch .LBB95_3301
.LBB95_3299:
	s_mov_b32 s9, -1
                                        ; implicit-def: $vgpr44_vgpr45
	s_branch .LBB95_3304
.LBB95_3300:
	s_mov_b32 s9, -1
                                        ; implicit-def: $vgpr44_vgpr45
.LBB95_3301:
	s_delay_alu instid0(SALU_CYCLE_1)
	s_and_not1_b32 vcc_lo, exec_lo, s9
	s_cbranch_vccnz .LBB95_3303
; %bb.3302:
	global_load_u16 v1, v[48:49], off
	s_mov_b32 s9, 0
	s_wait_loadcnt 0x1
	v_mov_b32_e32 v45, s9
	s_wait_loadcnt 0x0
	v_and_b32_e32 v44, 0xffff, v1
.LBB95_3303:
	s_mov_b32 s9, 0
.LBB95_3304:
	s_delay_alu instid0(SALU_CYCLE_1)
	s_and_not1_b32 vcc_lo, exec_lo, s9
	s_cbranch_vccnz .LBB95_3310
; %bb.3305:
	global_load_u8 v1, v[48:49], off
	s_mov_b32 s16, 0
	s_mov_b32 s9, exec_lo
	s_wait_loadcnt 0x0
	v_cmpx_lt_i16_e32 0x7f, v1
	s_xor_b32 s9, exec_lo, s9
	s_cbranch_execz .LBB95_3322
; %bb.3306:
	v_cmp_ne_u16_e32 vcc_lo, 0x80, v1
	s_and_b32 s16, vcc_lo, exec_lo
	s_and_not1_saveexec_b32 s9, s9
	s_cbranch_execnz .LBB95_3323
.LBB95_3307:
	s_or_b32 exec_lo, exec_lo, s9
	v_mov_b64_e32 v[44:45], 0
	s_and_saveexec_b32 s9, s16
	s_cbranch_execz .LBB95_3309
.LBB95_3308:
	v_and_b32_e32 v3, 0xffff, v1
	s_delay_alu instid0(VALU_DEP_1) | instskip(SKIP_1) | instid1(VALU_DEP_2)
	v_dual_lshlrev_b32 v1, 24, v1 :: v_dual_bitop2_b32 v5, 7, v3 bitop3:0x40
	v_bfe_u32 v15, v3, 3, 4
	v_and_b32_e32 v1, 0x80000000, v1
	s_delay_alu instid0(VALU_DEP_3) | instskip(NEXT) | instid1(VALU_DEP_3)
	v_clz_i32_u32_e32 v7, v5
	v_cmp_eq_u32_e32 vcc_lo, 0, v15
	s_delay_alu instid0(VALU_DEP_2) | instskip(NEXT) | instid1(VALU_DEP_1)
	v_min_u32_e32 v7, 32, v7
	v_subrev_nc_u32_e32 v11, 28, v7
	v_sub_nc_u32_e32 v7, 29, v7
	s_delay_alu instid0(VALU_DEP_2) | instskip(NEXT) | instid1(VALU_DEP_2)
	v_lshlrev_b32_e32 v3, v11, v3
	v_cndmask_b32_e32 v7, v15, v7, vcc_lo
	s_delay_alu instid0(VALU_DEP_2) | instskip(NEXT) | instid1(VALU_DEP_1)
	v_and_b32_e32 v3, 7, v3
	v_cndmask_b32_e32 v3, v5, v3, vcc_lo
	s_delay_alu instid0(VALU_DEP_3) | instskip(NEXT) | instid1(VALU_DEP_2)
	v_lshl_add_u32 v5, v7, 23, 0x3b800000
	v_lshlrev_b32_e32 v3, 20, v3
	s_delay_alu instid0(VALU_DEP_1) | instskip(NEXT) | instid1(VALU_DEP_1)
	v_or3_b32 v1, v1, v5, v3
	v_trunc_f32_e32 v1, v1
	s_delay_alu instid0(VALU_DEP_1) | instskip(SKIP_1) | instid1(VALU_DEP_2)
	v_mul_f32_e64 v3, 0x2f800000, |v1|
	v_ashrrev_i32_e32 v44, 31, v1
	v_floor_f32_e32 v3, v3
	s_delay_alu instid0(VALU_DEP_2) | instskip(NEXT) | instid1(VALU_DEP_2)
	v_mov_b32_e32 v45, v44
	v_fma_f32 v5, 0xcf800000, v3, |v1|
	v_cvt_u32_f32_e32 v1, v3
	s_delay_alu instid0(VALU_DEP_2) | instskip(NEXT) | instid1(VALU_DEP_2)
	v_cvt_u32_f32_e32 v3, v5
	v_xor_b32_e32 v51, v1, v44
	s_delay_alu instid0(VALU_DEP_2) | instskip(NEXT) | instid1(VALU_DEP_1)
	v_xor_b32_e32 v50, v3, v44
	v_sub_nc_u64_e32 v[44:45], v[50:51], v[44:45]
.LBB95_3309:
	s_or_b32 exec_lo, exec_lo, s9
.LBB95_3310:
	s_mov_b32 s9, -1
.LBB95_3311:
	s_mov_b32 s16, 0
.LBB95_3312:
	s_delay_alu instid0(SALU_CYCLE_1)
	s_and_b32 vcc_lo, exec_lo, s16
	s_cbranch_vccz .LBB95_3343
; %bb.3313:
	s_cmp_gt_i32 s0, 22
	s_cbranch_scc0 .LBB95_3321
; %bb.3314:
	s_cmp_lt_i32 s0, 24
	s_cbranch_scc1 .LBB95_3324
; %bb.3315:
	s_cmp_gt_i32 s0, 24
	s_cbranch_scc0 .LBB95_3325
; %bb.3316:
	global_load_u8 v1, v[48:49], off
	s_mov_b32 s9, 0
	s_mov_b32 s8, exec_lo
	s_wait_loadcnt 0x0
	v_cmpx_lt_i16_e32 0x7f, v1
	s_xor_b32 s8, exec_lo, s8
	s_cbranch_execz .LBB95_3337
; %bb.3317:
	v_cmp_ne_u16_e32 vcc_lo, 0x80, v1
	s_and_b32 s9, vcc_lo, exec_lo
	s_and_not1_saveexec_b32 s8, s8
	s_cbranch_execnz .LBB95_3338
.LBB95_3318:
	s_or_b32 exec_lo, exec_lo, s8
	v_mov_b64_e32 v[44:45], 0
	s_and_saveexec_b32 s8, s9
	s_cbranch_execz .LBB95_3320
.LBB95_3319:
	v_and_b32_e32 v3, 0xffff, v1
	s_delay_alu instid0(VALU_DEP_1) | instskip(SKIP_1) | instid1(VALU_DEP_2)
	v_dual_lshlrev_b32 v1, 24, v1 :: v_dual_bitop2_b32 v5, 3, v3 bitop3:0x40
	v_bfe_u32 v15, v3, 2, 5
	v_and_b32_e32 v1, 0x80000000, v1
	s_delay_alu instid0(VALU_DEP_3) | instskip(NEXT) | instid1(VALU_DEP_3)
	v_clz_i32_u32_e32 v7, v5
	v_cmp_eq_u32_e32 vcc_lo, 0, v15
	s_delay_alu instid0(VALU_DEP_2) | instskip(NEXT) | instid1(VALU_DEP_1)
	v_min_u32_e32 v7, 32, v7
	v_subrev_nc_u32_e32 v11, 29, v7
	v_sub_nc_u32_e32 v7, 30, v7
	s_delay_alu instid0(VALU_DEP_2) | instskip(NEXT) | instid1(VALU_DEP_2)
	v_lshlrev_b32_e32 v3, v11, v3
	v_cndmask_b32_e32 v7, v15, v7, vcc_lo
	s_delay_alu instid0(VALU_DEP_2) | instskip(NEXT) | instid1(VALU_DEP_1)
	v_and_b32_e32 v3, 3, v3
	v_cndmask_b32_e32 v3, v5, v3, vcc_lo
	s_delay_alu instid0(VALU_DEP_3) | instskip(NEXT) | instid1(VALU_DEP_2)
	v_lshl_add_u32 v5, v7, 23, 0x37800000
	v_lshlrev_b32_e32 v3, 21, v3
	s_delay_alu instid0(VALU_DEP_1) | instskip(NEXT) | instid1(VALU_DEP_1)
	v_or3_b32 v1, v1, v5, v3
	v_trunc_f32_e32 v1, v1
	s_delay_alu instid0(VALU_DEP_1) | instskip(SKIP_1) | instid1(VALU_DEP_2)
	v_mul_f32_e64 v3, 0x2f800000, |v1|
	v_ashrrev_i32_e32 v44, 31, v1
	v_floor_f32_e32 v3, v3
	s_delay_alu instid0(VALU_DEP_2) | instskip(NEXT) | instid1(VALU_DEP_2)
	v_mov_b32_e32 v45, v44
	v_fma_f32 v5, 0xcf800000, v3, |v1|
	v_cvt_u32_f32_e32 v1, v3
	s_delay_alu instid0(VALU_DEP_2) | instskip(NEXT) | instid1(VALU_DEP_2)
	v_cvt_u32_f32_e32 v3, v5
	v_xor_b32_e32 v51, v1, v44
	s_delay_alu instid0(VALU_DEP_2) | instskip(NEXT) | instid1(VALU_DEP_1)
	v_xor_b32_e32 v50, v3, v44
	v_sub_nc_u64_e32 v[44:45], v[50:51], v[44:45]
.LBB95_3320:
	s_or_b32 exec_lo, exec_lo, s8
	s_mov_b32 s8, 0
	s_branch .LBB95_3326
.LBB95_3321:
	s_mov_b32 s8, -1
                                        ; implicit-def: $vgpr44_vgpr45
	s_branch .LBB95_3332
.LBB95_3322:
	s_and_not1_saveexec_b32 s9, s9
	s_cbranch_execz .LBB95_3307
.LBB95_3323:
	v_cmp_ne_u16_e32 vcc_lo, 0, v1
	s_and_not1_b32 s16, s16, exec_lo
	s_and_b32 s17, vcc_lo, exec_lo
	s_delay_alu instid0(SALU_CYCLE_1)
	s_or_b32 s16, s16, s17
	s_or_b32 exec_lo, exec_lo, s9
	v_mov_b64_e32 v[44:45], 0
	s_and_saveexec_b32 s9, s16
	s_cbranch_execnz .LBB95_3308
	s_branch .LBB95_3309
.LBB95_3324:
	s_mov_b32 s8, -1
                                        ; implicit-def: $vgpr44_vgpr45
	s_branch .LBB95_3329
.LBB95_3325:
	s_mov_b32 s8, -1
                                        ; implicit-def: $vgpr44_vgpr45
.LBB95_3326:
	s_delay_alu instid0(SALU_CYCLE_1)
	s_and_b32 vcc_lo, exec_lo, s8
	s_cbranch_vccz .LBB95_3328
; %bb.3327:
	global_load_u8 v1, v[48:49], off
	s_wait_loadcnt 0x0
	v_lshlrev_b32_e32 v1, 24, v1
	s_delay_alu instid0(VALU_DEP_1) | instskip(NEXT) | instid1(VALU_DEP_1)
	v_and_b32_e32 v3, 0x7f000000, v1
	v_clz_i32_u32_e32 v5, v3
	v_add_nc_u32_e32 v11, 0x1000000, v3
	v_cmp_ne_u32_e32 vcc_lo, 0, v3
	s_delay_alu instid0(VALU_DEP_3) | instskip(NEXT) | instid1(VALU_DEP_1)
	v_min_u32_e32 v5, 32, v5
	v_sub_nc_u32_e64 v5, v5, 4 clamp
	s_delay_alu instid0(VALU_DEP_1) | instskip(NEXT) | instid1(VALU_DEP_1)
	v_dual_lshlrev_b32 v7, v5, v3 :: v_dual_lshlrev_b32 v5, 23, v5
	v_lshrrev_b32_e32 v7, 4, v7
	s_delay_alu instid0(VALU_DEP_1) | instskip(NEXT) | instid1(VALU_DEP_1)
	v_dual_sub_nc_u32 v5, v7, v5 :: v_dual_ashrrev_i32 v7, 8, v11
	v_add_nc_u32_e32 v5, 0x3c000000, v5
	s_delay_alu instid0(VALU_DEP_1) | instskip(NEXT) | instid1(VALU_DEP_1)
	v_and_or_b32 v5, 0x7f800000, v7, v5
	v_cndmask_b32_e32 v3, 0, v5, vcc_lo
	s_delay_alu instid0(VALU_DEP_1) | instskip(NEXT) | instid1(VALU_DEP_1)
	v_and_or_b32 v1, 0x80000000, v1, v3
	v_trunc_f32_e32 v1, v1
	s_delay_alu instid0(VALU_DEP_1) | instskip(SKIP_1) | instid1(VALU_DEP_2)
	v_mul_f32_e64 v3, 0x2f800000, |v1|
	v_ashrrev_i32_e32 v44, 31, v1
	v_floor_f32_e32 v3, v3
	s_delay_alu instid0(VALU_DEP_2) | instskip(NEXT) | instid1(VALU_DEP_2)
	v_mov_b32_e32 v45, v44
	v_fma_f32 v5, 0xcf800000, v3, |v1|
	v_cvt_u32_f32_e32 v1, v3
	s_delay_alu instid0(VALU_DEP_2) | instskip(NEXT) | instid1(VALU_DEP_2)
	v_cvt_u32_f32_e32 v3, v5
	v_xor_b32_e32 v51, v1, v44
	s_delay_alu instid0(VALU_DEP_2) | instskip(NEXT) | instid1(VALU_DEP_1)
	v_xor_b32_e32 v50, v3, v44
	v_sub_nc_u64_e32 v[44:45], v[50:51], v[44:45]
.LBB95_3328:
	s_mov_b32 s8, 0
.LBB95_3329:
	s_delay_alu instid0(SALU_CYCLE_1)
	s_and_not1_b32 vcc_lo, exec_lo, s8
	s_cbranch_vccnz .LBB95_3331
; %bb.3330:
	global_load_u8 v1, v[48:49], off
	s_wait_loadcnt 0x0
	v_lshlrev_b32_e32 v3, 25, v1
	v_lshlrev_b16 v1, 8, v1
	s_delay_alu instid0(VALU_DEP_1) | instskip(SKIP_1) | instid1(VALU_DEP_2)
	v_and_or_b32 v7, 0x7f00, v1, 0.5
	v_bfe_i32 v1, v1, 0, 16
	v_add_f32_e32 v7, -0.5, v7
	v_lshrrev_b32_e32 v5, 4, v3
	v_cmp_gt_u32_e32 vcc_lo, 0x8000000, v3
	s_delay_alu instid0(VALU_DEP_2) | instskip(NEXT) | instid1(VALU_DEP_1)
	v_or_b32_e32 v5, 0x70000000, v5
	v_mul_f32_e32 v5, 0x7800000, v5
	s_delay_alu instid0(VALU_DEP_1) | instskip(NEXT) | instid1(VALU_DEP_1)
	v_cndmask_b32_e32 v3, v5, v7, vcc_lo
	v_and_or_b32 v1, 0x80000000, v1, v3
	s_delay_alu instid0(VALU_DEP_1) | instskip(NEXT) | instid1(VALU_DEP_1)
	v_trunc_f32_e32 v1, v1
	v_mul_f32_e64 v3, 0x2f800000, |v1|
	v_ashrrev_i32_e32 v44, 31, v1
	s_delay_alu instid0(VALU_DEP_2) | instskip(NEXT) | instid1(VALU_DEP_2)
	v_floor_f32_e32 v3, v3
	v_mov_b32_e32 v45, v44
	s_delay_alu instid0(VALU_DEP_2) | instskip(SKIP_1) | instid1(VALU_DEP_2)
	v_fma_f32 v5, 0xcf800000, v3, |v1|
	v_cvt_u32_f32_e32 v1, v3
	v_cvt_u32_f32_e32 v3, v5
	s_delay_alu instid0(VALU_DEP_2) | instskip(NEXT) | instid1(VALU_DEP_2)
	v_xor_b32_e32 v51, v1, v44
	v_xor_b32_e32 v50, v3, v44
	s_delay_alu instid0(VALU_DEP_1)
	v_sub_nc_u64_e32 v[44:45], v[50:51], v[44:45]
.LBB95_3331:
	s_mov_b32 s8, 0
	s_mov_b32 s9, -1
.LBB95_3332:
	s_and_not1_b32 vcc_lo, exec_lo, s8
	s_mov_b32 s8, 0
	s_cbranch_vccnz .LBB95_3343
; %bb.3333:
	s_cmp_gt_i32 s0, 14
	s_cbranch_scc0 .LBB95_3336
; %bb.3334:
	s_cmp_eq_u32 s0, 15
	s_cbranch_scc0 .LBB95_3339
; %bb.3335:
	global_load_u16 v1, v[48:49], off
	s_mov_b32 s1, 0
	s_mov_b32 s9, -1
	s_wait_loadcnt 0x0
	v_lshlrev_b32_e32 v1, 16, v1
	s_delay_alu instid0(VALU_DEP_1) | instskip(NEXT) | instid1(VALU_DEP_1)
	v_trunc_f32_e32 v1, v1
	v_mul_f32_e64 v3, 0x2f800000, |v1|
	v_ashrrev_i32_e32 v44, 31, v1
	s_delay_alu instid0(VALU_DEP_2) | instskip(NEXT) | instid1(VALU_DEP_2)
	v_floor_f32_e32 v3, v3
	v_mov_b32_e32 v45, v44
	s_delay_alu instid0(VALU_DEP_2) | instskip(SKIP_1) | instid1(VALU_DEP_2)
	v_fma_f32 v5, 0xcf800000, v3, |v1|
	v_cvt_u32_f32_e32 v1, v3
	v_cvt_u32_f32_e32 v3, v5
	s_delay_alu instid0(VALU_DEP_2) | instskip(NEXT) | instid1(VALU_DEP_2)
	v_xor_b32_e32 v51, v1, v44
	v_xor_b32_e32 v50, v3, v44
	s_delay_alu instid0(VALU_DEP_1)
	v_sub_nc_u64_e32 v[44:45], v[50:51], v[44:45]
	s_branch .LBB95_3341
.LBB95_3336:
	s_mov_b32 s8, -1
	s_branch .LBB95_3340
.LBB95_3337:
	s_and_not1_saveexec_b32 s8, s8
	s_cbranch_execz .LBB95_3318
.LBB95_3338:
	v_cmp_ne_u16_e32 vcc_lo, 0, v1
	s_and_not1_b32 s9, s9, exec_lo
	s_and_b32 s16, vcc_lo, exec_lo
	s_delay_alu instid0(SALU_CYCLE_1)
	s_or_b32 s9, s9, s16
	s_or_b32 exec_lo, exec_lo, s8
	v_mov_b64_e32 v[44:45], 0
	s_and_saveexec_b32 s8, s9
	s_cbranch_execnz .LBB95_3319
	s_branch .LBB95_3320
.LBB95_3339:
	s_mov_b32 s1, -1
.LBB95_3340:
                                        ; implicit-def: $vgpr44_vgpr45
.LBB95_3341:
	s_and_b32 vcc_lo, exec_lo, s8
	s_mov_b32 s8, 0
	s_cbranch_vccz .LBB95_3343
; %bb.3342:
	s_cmp_lg_u32 s0, 11
	s_mov_b32 s8, -1
	s_cselect_b32 s1, -1, 0
.LBB95_3343:
	s_delay_alu instid0(SALU_CYCLE_1)
	s_and_b32 vcc_lo, exec_lo, s1
	s_cbranch_vccnz .LBB95_3408
; %bb.3344:
	s_and_not1_b32 vcc_lo, exec_lo, s8
	s_cbranch_vccnz .LBB95_3346
.LBB95_3345:
	global_load_u8 v1, v[48:49], off
	s_mov_b32 s0, 0
	s_mov_b32 s9, -1
	s_wait_loadcnt 0x1
	v_mov_b32_e32 v45, s0
	s_wait_loadcnt 0x0
	v_cmp_ne_u16_e32 vcc_lo, 0, v1
	v_cndmask_b32_e64 v44, 0, 1, vcc_lo
.LBB95_3346:
	s_mov_b32 s0, 0
.LBB95_3347:
	s_delay_alu instid0(SALU_CYCLE_1)
	s_and_b32 vcc_lo, exec_lo, s0
	s_cbranch_vccz .LBB95_3396
; %bb.3348:
	s_and_b32 s0, 0xffff, s48
	s_delay_alu instid0(SALU_CYCLE_1)
	s_cmp_lt_i32 s0, 5
	s_cbranch_scc1 .LBB95_3353
; %bb.3349:
	s_cmp_lt_i32 s0, 8
	s_cbranch_scc1 .LBB95_3354
; %bb.3350:
	;; [unrolled: 3-line block ×3, first 2 shown]
	s_cmp_gt_i32 s0, 9
	s_cbranch_scc0 .LBB95_3356
; %bb.3352:
	s_wait_loadcnt 0x0
	global_load_b64 v[44:45], v[48:49], off
	s_mov_b32 s1, 0
	s_wait_loadcnt 0x0
	v_trunc_f64_e32 v[44:45], v[44:45]
	s_delay_alu instid0(VALU_DEP_1) | instskip(NEXT) | instid1(VALU_DEP_1)
	v_ldexp_f64 v[50:51], v[44:45], 0xffffffe0
	v_floor_f64_e32 v[50:51], v[50:51]
	s_delay_alu instid0(VALU_DEP_1) | instskip(SKIP_1) | instid1(VALU_DEP_2)
	v_fmamk_f64 v[52:53], v[50:51], 0xc1f00000, v[44:45]
	v_cvt_i32_f64_e32 v45, v[50:51]
	v_cvt_u32_f64_e32 v44, v[52:53]
	s_branch .LBB95_3357
.LBB95_3353:
	s_mov_b32 s1, -1
                                        ; implicit-def: $vgpr44_vgpr45
	s_branch .LBB95_3375
.LBB95_3354:
	s_mov_b32 s1, -1
                                        ; implicit-def: $vgpr44_vgpr45
	s_branch .LBB95_3363
.LBB95_3355:
	s_mov_b32 s1, -1
                                        ; implicit-def: $vgpr44_vgpr45
	s_branch .LBB95_3360
.LBB95_3356:
	s_mov_b32 s1, -1
                                        ; implicit-def: $vgpr44_vgpr45
.LBB95_3357:
	s_delay_alu instid0(SALU_CYCLE_1)
	s_and_not1_b32 vcc_lo, exec_lo, s1
	s_cbranch_vccnz .LBB95_3359
; %bb.3358:
	global_load_b32 v1, v[48:49], off
	s_wait_loadcnt 0x0
	v_trunc_f32_e32 v1, v1
	s_delay_alu instid0(VALU_DEP_1) | instskip(SKIP_1) | instid1(VALU_DEP_2)
	v_mul_f32_e64 v3, 0x2f800000, |v1|
	v_ashrrev_i32_e32 v44, 31, v1
	v_floor_f32_e32 v3, v3
	s_delay_alu instid0(VALU_DEP_1) | instskip(SKIP_1) | instid1(VALU_DEP_4)
	v_fma_f32 v5, 0xcf800000, v3, |v1|
	v_cvt_u32_f32_e32 v1, v3
	v_mov_b32_e32 v45, v44
	s_delay_alu instid0(VALU_DEP_3) | instskip(NEXT) | instid1(VALU_DEP_3)
	v_cvt_u32_f32_e32 v3, v5
	v_xor_b32_e32 v51, v1, v44
	s_delay_alu instid0(VALU_DEP_2) | instskip(NEXT) | instid1(VALU_DEP_1)
	v_xor_b32_e32 v50, v3, v44
	v_sub_nc_u64_e32 v[44:45], v[50:51], v[44:45]
.LBB95_3359:
	s_mov_b32 s1, 0
.LBB95_3360:
	s_delay_alu instid0(SALU_CYCLE_1)
	s_and_not1_b32 vcc_lo, exec_lo, s1
	s_cbranch_vccnz .LBB95_3362
; %bb.3361:
	global_load_b32 v1, v[48:49], off
	s_wait_loadcnt 0x0
	v_cvt_f32_f16_e32 v1, v1
	s_delay_alu instid0(VALU_DEP_1) | instskip(NEXT) | instid1(VALU_DEP_1)
	v_cvt_i32_f32_e32 v44, v1
	v_ashrrev_i32_e32 v45, 31, v44
.LBB95_3362:
	s_mov_b32 s1, 0
.LBB95_3363:
	s_delay_alu instid0(SALU_CYCLE_1)
	s_and_not1_b32 vcc_lo, exec_lo, s1
	s_cbranch_vccnz .LBB95_3374
; %bb.3364:
	s_cmp_lt_i32 s0, 6
	s_cbranch_scc1 .LBB95_3367
; %bb.3365:
	s_cmp_gt_i32 s0, 6
	s_cbranch_scc0 .LBB95_3368
; %bb.3366:
	s_wait_loadcnt 0x0
	global_load_b64 v[44:45], v[48:49], off
	s_mov_b32 s1, 0
	s_wait_loadcnt 0x0
	v_trunc_f64_e32 v[44:45], v[44:45]
	s_delay_alu instid0(VALU_DEP_1) | instskip(NEXT) | instid1(VALU_DEP_1)
	v_ldexp_f64 v[50:51], v[44:45], 0xffffffe0
	v_floor_f64_e32 v[50:51], v[50:51]
	s_delay_alu instid0(VALU_DEP_1) | instskip(SKIP_1) | instid1(VALU_DEP_2)
	v_fmamk_f64 v[52:53], v[50:51], 0xc1f00000, v[44:45]
	v_cvt_i32_f64_e32 v45, v[50:51]
	v_cvt_u32_f64_e32 v44, v[52:53]
	s_branch .LBB95_3369
.LBB95_3367:
	s_mov_b32 s1, -1
                                        ; implicit-def: $vgpr44_vgpr45
	s_branch .LBB95_3372
.LBB95_3368:
	s_mov_b32 s1, -1
                                        ; implicit-def: $vgpr44_vgpr45
.LBB95_3369:
	s_delay_alu instid0(SALU_CYCLE_1)
	s_and_not1_b32 vcc_lo, exec_lo, s1
	s_cbranch_vccnz .LBB95_3371
; %bb.3370:
	global_load_b32 v1, v[48:49], off
	s_wait_loadcnt 0x0
	v_trunc_f32_e32 v1, v1
	s_delay_alu instid0(VALU_DEP_1) | instskip(SKIP_1) | instid1(VALU_DEP_2)
	v_mul_f32_e64 v3, 0x2f800000, |v1|
	v_ashrrev_i32_e32 v44, 31, v1
	v_floor_f32_e32 v3, v3
	s_delay_alu instid0(VALU_DEP_1) | instskip(SKIP_1) | instid1(VALU_DEP_4)
	v_fma_f32 v5, 0xcf800000, v3, |v1|
	v_cvt_u32_f32_e32 v1, v3
	v_mov_b32_e32 v45, v44
	s_delay_alu instid0(VALU_DEP_3) | instskip(NEXT) | instid1(VALU_DEP_3)
	v_cvt_u32_f32_e32 v3, v5
	v_xor_b32_e32 v51, v1, v44
	s_delay_alu instid0(VALU_DEP_2) | instskip(NEXT) | instid1(VALU_DEP_1)
	v_xor_b32_e32 v50, v3, v44
	v_sub_nc_u64_e32 v[44:45], v[50:51], v[44:45]
.LBB95_3371:
	s_mov_b32 s1, 0
.LBB95_3372:
	s_delay_alu instid0(SALU_CYCLE_1)
	s_and_not1_b32 vcc_lo, exec_lo, s1
	s_cbranch_vccnz .LBB95_3374
; %bb.3373:
	global_load_u16 v1, v[48:49], off
	s_wait_loadcnt 0x0
	v_cvt_f32_f16_e32 v1, v1
	s_delay_alu instid0(VALU_DEP_1) | instskip(NEXT) | instid1(VALU_DEP_1)
	v_cvt_i32_f32_e32 v44, v1
	v_ashrrev_i32_e32 v45, 31, v44
.LBB95_3374:
	s_mov_b32 s1, 0
.LBB95_3375:
	s_delay_alu instid0(SALU_CYCLE_1)
	s_and_not1_b32 vcc_lo, exec_lo, s1
	s_cbranch_vccnz .LBB95_3395
; %bb.3376:
	s_cmp_lt_i32 s0, 2
	s_cbranch_scc1 .LBB95_3380
; %bb.3377:
	s_cmp_lt_i32 s0, 3
	s_cbranch_scc1 .LBB95_3381
; %bb.3378:
	s_cmp_gt_i32 s0, 3
	s_cbranch_scc0 .LBB95_3382
; %bb.3379:
	s_wait_loadcnt 0x0
	global_load_b64 v[44:45], v[48:49], off
	s_mov_b32 s1, 0
	s_branch .LBB95_3383
.LBB95_3380:
	s_mov_b32 s1, -1
                                        ; implicit-def: $vgpr44_vgpr45
	s_branch .LBB95_3389
.LBB95_3381:
	s_mov_b32 s1, -1
                                        ; implicit-def: $vgpr44_vgpr45
	s_branch .LBB95_3386
.LBB95_3382:
	s_mov_b32 s1, -1
                                        ; implicit-def: $vgpr44_vgpr45
.LBB95_3383:
	s_delay_alu instid0(SALU_CYCLE_1)
	s_and_not1_b32 vcc_lo, exec_lo, s1
	s_cbranch_vccnz .LBB95_3385
; %bb.3384:
	s_wait_loadcnt 0x0
	global_load_b32 v44, v[48:49], off
	s_wait_loadcnt 0x0
	v_ashrrev_i32_e32 v45, 31, v44
.LBB95_3385:
	s_mov_b32 s1, 0
.LBB95_3386:
	s_delay_alu instid0(SALU_CYCLE_1)
	s_and_not1_b32 vcc_lo, exec_lo, s1
	s_cbranch_vccnz .LBB95_3388
; %bb.3387:
	global_load_u16 v1, v[48:49], off
	s_wait_loadcnt 0x0
	v_bfe_i32 v44, v1, 0, 16
	s_delay_alu instid0(VALU_DEP_1)
	v_ashrrev_i32_e32 v45, 31, v44
.LBB95_3388:
	s_mov_b32 s1, 0
.LBB95_3389:
	s_delay_alu instid0(SALU_CYCLE_1)
	s_and_not1_b32 vcc_lo, exec_lo, s1
	s_cbranch_vccnz .LBB95_3395
; %bb.3390:
	s_cmp_gt_i32 s0, 0
	s_mov_b32 s0, 0
	s_cbranch_scc0 .LBB95_3392
; %bb.3391:
	global_load_i8 v1, v[48:49], off
	s_wait_loadcnt 0x0
	v_bfe_i32 v44, v1, 0, 16
	s_delay_alu instid0(VALU_DEP_1)
	v_ashrrev_i32_e32 v45, 31, v44
	s_branch .LBB95_3393
.LBB95_3392:
	s_mov_b32 s0, -1
                                        ; implicit-def: $vgpr44_vgpr45
.LBB95_3393:
	s_delay_alu instid0(SALU_CYCLE_1)
	s_and_not1_b32 vcc_lo, exec_lo, s0
	s_cbranch_vccnz .LBB95_3395
; %bb.3394:
	global_load_u8 v1, v[48:49], off
	s_mov_b32 s0, 0
	s_wait_loadcnt 0x1
	v_mov_b32_e32 v45, s0
	s_wait_loadcnt 0x0
	v_and_b32_e32 v44, 0xffff, v1
.LBB95_3395:
	s_mov_b32 s9, -1
.LBB95_3396:
	s_delay_alu instid0(SALU_CYCLE_1)
	s_and_not1_b32 vcc_lo, exec_lo, s9
	s_cbranch_vccnz .LBB95_3532
; %bb.3397:
	v_mov_b32_e32 v43, 0
	s_load_b64 s[16:17], s[2:3], 0x270
	global_load_u8 v1, v43, s[2:3] offset:805
	s_wait_kmcnt 0x0
	v_add_nc_u64_e32 v[42:43], s[16:17], v[42:43]
	s_wait_loadcnt 0x0
	v_and_b32_e32 v3, 0xffff, v1
	v_readfirstlane_b32 s49, v1
	s_delay_alu instid0(VALU_DEP_2)
	v_cmp_gt_i32_e32 vcc_lo, 11, v3
	s_cbranch_vccnz .LBB95_3404
; %bb.3398:
	s_and_b32 s0, 0xffff, s49
	s_mov_b32 s8, 0
	s_cmp_gt_i32 s0, 25
	s_cbranch_scc0 .LBB95_3405
; %bb.3399:
	s_cmp_gt_i32 s0, 28
	s_cbranch_scc0 .LBB95_3406
; %bb.3400:
	;; [unrolled: 3-line block ×4, first 2 shown]
	s_cmp_eq_u32 s0, 46
	s_mov_b32 s18, 0
	s_cbranch_scc0 .LBB95_3410
; %bb.3403:
	global_load_b32 v1, v[42:43], off
	s_mov_b32 s1, 0
	s_mov_b32 s9, -1
	s_wait_loadcnt 0x0
	v_lshlrev_b32_e32 v1, 16, v1
	s_delay_alu instid0(VALU_DEP_1) | instskip(NEXT) | instid1(VALU_DEP_1)
	v_trunc_f32_e32 v1, v1
	v_mul_f32_e64 v3, 0x2f800000, |v1|
	v_ashrrev_i32_e32 v48, 31, v1
	s_delay_alu instid0(VALU_DEP_2) | instskip(NEXT) | instid1(VALU_DEP_2)
	v_floor_f32_e32 v3, v3
	v_mov_b32_e32 v49, v48
	s_delay_alu instid0(VALU_DEP_2) | instskip(SKIP_1) | instid1(VALU_DEP_2)
	v_fma_f32 v5, 0xcf800000, v3, |v1|
	v_cvt_u32_f32_e32 v1, v3
	v_cvt_u32_f32_e32 v3, v5
	s_delay_alu instid0(VALU_DEP_2) | instskip(NEXT) | instid1(VALU_DEP_2)
	v_xor_b32_e32 v51, v1, v48
	v_xor_b32_e32 v50, v3, v48
	s_delay_alu instid0(VALU_DEP_1)
	v_sub_nc_u64_e32 v[48:49], v[50:51], v[48:49]
	s_branch .LBB95_3412
.LBB95_3404:
	s_mov_b32 s0, -1
	s_mov_b32 s9, 0
                                        ; implicit-def: $vgpr48_vgpr49
	s_branch .LBB95_3474
.LBB95_3405:
	s_mov_b32 s18, -1
	s_mov_b32 s9, 0
	s_mov_b32 s1, 0
                                        ; implicit-def: $vgpr48_vgpr49
	s_branch .LBB95_3439
.LBB95_3406:
	s_mov_b32 s18, -1
	s_mov_b32 s9, 0
	s_mov_b32 s1, 0
                                        ; implicit-def: $vgpr48_vgpr49
	s_branch .LBB95_3422
.LBB95_3407:
	s_mov_b32 s18, -1
	s_mov_b32 s9, 0
	s_mov_b32 s1, 0
                                        ; implicit-def: $vgpr48_vgpr49
	s_branch .LBB95_3417
.LBB95_3408:
	s_or_b32 s33, s33, exec_lo
	s_trap 2
	s_cbranch_execz .LBB95_3345
	s_branch .LBB95_3346
.LBB95_3409:
	s_mov_b32 s18, -1
	s_mov_b32 s9, 0
	s_mov_b32 s1, 0
	s_branch .LBB95_3411
.LBB95_3410:
	s_mov_b32 s1, -1
	s_mov_b32 s9, 0
.LBB95_3411:
                                        ; implicit-def: $vgpr48_vgpr49
.LBB95_3412:
	s_and_b32 vcc_lo, exec_lo, s18
	s_cbranch_vccz .LBB95_3416
; %bb.3413:
	s_cmp_eq_u32 s0, 44
	s_cbranch_scc0 .LBB95_3415
; %bb.3414:
	global_load_u8 v1, v[42:43], off
	s_mov_b32 s1, 0
	s_mov_b32 s9, -1
	s_wait_loadcnt 0x0
	v_lshlrev_b32_e32 v3, 23, v1
	v_cmp_ne_u32_e32 vcc_lo, 0, v1
	s_delay_alu instid0(VALU_DEP_2) | instskip(NEXT) | instid1(VALU_DEP_1)
	v_trunc_f32_e32 v3, v3
	v_mul_f32_e64 v5, 0x2f800000, |v3|
	v_ashrrev_i32_e32 v48, 31, v3
	s_delay_alu instid0(VALU_DEP_2) | instskip(NEXT) | instid1(VALU_DEP_2)
	v_floor_f32_e32 v5, v5
	v_mov_b32_e32 v49, v48
	s_delay_alu instid0(VALU_DEP_2) | instskip(SKIP_1) | instid1(VALU_DEP_2)
	v_fma_f32 v7, 0xcf800000, v5, |v3|
	v_cvt_u32_f32_e32 v3, v5
	v_cvt_u32_f32_e32 v5, v7
	s_delay_alu instid0(VALU_DEP_2) | instskip(NEXT) | instid1(VALU_DEP_2)
	v_xor_b32_e32 v51, v3, v48
	v_xor_b32_e32 v50, v5, v48
	s_delay_alu instid0(VALU_DEP_1) | instskip(NEXT) | instid1(VALU_DEP_1)
	v_sub_nc_u64_e32 v[48:49], v[50:51], v[48:49]
	v_dual_cndmask_b32 v49, 0, v49 :: v_dual_cndmask_b32 v48, 0, v48
	s_branch .LBB95_3416
.LBB95_3415:
	s_mov_b32 s1, -1
                                        ; implicit-def: $vgpr48_vgpr49
.LBB95_3416:
	s_mov_b32 s18, 0
.LBB95_3417:
	s_delay_alu instid0(SALU_CYCLE_1)
	s_and_b32 vcc_lo, exec_lo, s18
	s_cbranch_vccz .LBB95_3421
; %bb.3418:
	s_cmp_eq_u32 s0, 29
	s_cbranch_scc0 .LBB95_3420
; %bb.3419:
	global_load_b64 v[48:49], v[42:43], off
	s_mov_b32 s1, 0
	s_mov_b32 s9, -1
	s_branch .LBB95_3421
.LBB95_3420:
	s_mov_b32 s1, -1
                                        ; implicit-def: $vgpr48_vgpr49
.LBB95_3421:
	s_mov_b32 s18, 0
.LBB95_3422:
	s_delay_alu instid0(SALU_CYCLE_1)
	s_and_b32 vcc_lo, exec_lo, s18
	s_cbranch_vccz .LBB95_3438
; %bb.3423:
	s_cmp_lt_i32 s0, 27
	s_cbranch_scc1 .LBB95_3426
; %bb.3424:
	s_cmp_gt_i32 s0, 27
	s_cbranch_scc0 .LBB95_3427
; %bb.3425:
	s_wait_loadcnt 0x0
	global_load_b32 v48, v[42:43], off
	v_mov_b32_e32 v49, 0
	s_mov_b32 s9, 0
	s_branch .LBB95_3428
.LBB95_3426:
	s_mov_b32 s9, -1
                                        ; implicit-def: $vgpr48_vgpr49
	s_branch .LBB95_3431
.LBB95_3427:
	s_mov_b32 s9, -1
                                        ; implicit-def: $vgpr48_vgpr49
.LBB95_3428:
	s_delay_alu instid0(SALU_CYCLE_1)
	s_and_not1_b32 vcc_lo, exec_lo, s9
	s_cbranch_vccnz .LBB95_3430
; %bb.3429:
	global_load_u16 v1, v[42:43], off
	s_mov_b32 s9, 0
	s_wait_loadcnt 0x1
	v_mov_b32_e32 v49, s9
	s_wait_loadcnt 0x0
	v_and_b32_e32 v48, 0xffff, v1
.LBB95_3430:
	s_mov_b32 s9, 0
.LBB95_3431:
	s_delay_alu instid0(SALU_CYCLE_1)
	s_and_not1_b32 vcc_lo, exec_lo, s9
	s_cbranch_vccnz .LBB95_3437
; %bb.3432:
	global_load_u8 v1, v[42:43], off
	s_mov_b32 s18, 0
	s_mov_b32 s9, exec_lo
	s_wait_loadcnt 0x0
	v_cmpx_lt_i16_e32 0x7f, v1
	s_xor_b32 s9, exec_lo, s9
	s_cbranch_execz .LBB95_3449
; %bb.3433:
	v_cmp_ne_u16_e32 vcc_lo, 0x80, v1
	s_and_b32 s18, vcc_lo, exec_lo
	s_and_not1_saveexec_b32 s9, s9
	s_cbranch_execnz .LBB95_3450
.LBB95_3434:
	s_or_b32 exec_lo, exec_lo, s9
	v_mov_b64_e32 v[48:49], 0
	s_and_saveexec_b32 s9, s18
	s_cbranch_execz .LBB95_3436
.LBB95_3435:
	v_and_b32_e32 v3, 0xffff, v1
	s_delay_alu instid0(VALU_DEP_1) | instskip(SKIP_1) | instid1(VALU_DEP_2)
	v_dual_lshlrev_b32 v1, 24, v1 :: v_dual_bitop2_b32 v5, 7, v3 bitop3:0x40
	v_bfe_u32 v15, v3, 3, 4
	v_and_b32_e32 v1, 0x80000000, v1
	s_delay_alu instid0(VALU_DEP_3) | instskip(NEXT) | instid1(VALU_DEP_3)
	v_clz_i32_u32_e32 v7, v5
	v_cmp_eq_u32_e32 vcc_lo, 0, v15
	s_delay_alu instid0(VALU_DEP_2) | instskip(NEXT) | instid1(VALU_DEP_1)
	v_min_u32_e32 v7, 32, v7
	v_subrev_nc_u32_e32 v11, 28, v7
	v_sub_nc_u32_e32 v7, 29, v7
	s_delay_alu instid0(VALU_DEP_2) | instskip(NEXT) | instid1(VALU_DEP_2)
	v_lshlrev_b32_e32 v3, v11, v3
	v_cndmask_b32_e32 v7, v15, v7, vcc_lo
	s_delay_alu instid0(VALU_DEP_2) | instskip(NEXT) | instid1(VALU_DEP_1)
	v_and_b32_e32 v3, 7, v3
	v_cndmask_b32_e32 v3, v5, v3, vcc_lo
	s_delay_alu instid0(VALU_DEP_3) | instskip(NEXT) | instid1(VALU_DEP_2)
	v_lshl_add_u32 v5, v7, 23, 0x3b800000
	v_lshlrev_b32_e32 v3, 20, v3
	s_delay_alu instid0(VALU_DEP_1) | instskip(NEXT) | instid1(VALU_DEP_1)
	v_or3_b32 v1, v1, v5, v3
	v_trunc_f32_e32 v1, v1
	s_delay_alu instid0(VALU_DEP_1) | instskip(SKIP_1) | instid1(VALU_DEP_2)
	v_mul_f32_e64 v3, 0x2f800000, |v1|
	v_ashrrev_i32_e32 v48, 31, v1
	v_floor_f32_e32 v3, v3
	s_delay_alu instid0(VALU_DEP_2) | instskip(NEXT) | instid1(VALU_DEP_2)
	v_mov_b32_e32 v49, v48
	v_fma_f32 v5, 0xcf800000, v3, |v1|
	v_cvt_u32_f32_e32 v1, v3
	s_delay_alu instid0(VALU_DEP_2) | instskip(NEXT) | instid1(VALU_DEP_2)
	v_cvt_u32_f32_e32 v3, v5
	v_xor_b32_e32 v51, v1, v48
	s_delay_alu instid0(VALU_DEP_2) | instskip(NEXT) | instid1(VALU_DEP_1)
	v_xor_b32_e32 v50, v3, v48
	v_sub_nc_u64_e32 v[48:49], v[50:51], v[48:49]
.LBB95_3436:
	s_or_b32 exec_lo, exec_lo, s9
.LBB95_3437:
	s_mov_b32 s9, -1
.LBB95_3438:
	s_mov_b32 s18, 0
.LBB95_3439:
	s_delay_alu instid0(SALU_CYCLE_1)
	s_and_b32 vcc_lo, exec_lo, s18
	s_cbranch_vccz .LBB95_3470
; %bb.3440:
	s_cmp_gt_i32 s0, 22
	s_cbranch_scc0 .LBB95_3448
; %bb.3441:
	s_cmp_lt_i32 s0, 24
	s_cbranch_scc1 .LBB95_3451
; %bb.3442:
	s_cmp_gt_i32 s0, 24
	s_cbranch_scc0 .LBB95_3452
; %bb.3443:
	global_load_u8 v1, v[42:43], off
	s_mov_b32 s9, 0
	s_mov_b32 s8, exec_lo
	s_wait_loadcnt 0x0
	v_cmpx_lt_i16_e32 0x7f, v1
	s_xor_b32 s8, exec_lo, s8
	s_cbranch_execz .LBB95_3464
; %bb.3444:
	v_cmp_ne_u16_e32 vcc_lo, 0x80, v1
	s_and_b32 s9, vcc_lo, exec_lo
	s_and_not1_saveexec_b32 s8, s8
	s_cbranch_execnz .LBB95_3465
.LBB95_3445:
	s_or_b32 exec_lo, exec_lo, s8
	v_mov_b64_e32 v[48:49], 0
	s_and_saveexec_b32 s8, s9
	s_cbranch_execz .LBB95_3447
.LBB95_3446:
	v_and_b32_e32 v3, 0xffff, v1
	s_delay_alu instid0(VALU_DEP_1) | instskip(SKIP_1) | instid1(VALU_DEP_2)
	v_dual_lshlrev_b32 v1, 24, v1 :: v_dual_bitop2_b32 v5, 3, v3 bitop3:0x40
	v_bfe_u32 v15, v3, 2, 5
	v_and_b32_e32 v1, 0x80000000, v1
	s_delay_alu instid0(VALU_DEP_3) | instskip(NEXT) | instid1(VALU_DEP_3)
	v_clz_i32_u32_e32 v7, v5
	v_cmp_eq_u32_e32 vcc_lo, 0, v15
	s_delay_alu instid0(VALU_DEP_2) | instskip(NEXT) | instid1(VALU_DEP_1)
	v_min_u32_e32 v7, 32, v7
	v_subrev_nc_u32_e32 v11, 29, v7
	v_sub_nc_u32_e32 v7, 30, v7
	s_delay_alu instid0(VALU_DEP_2) | instskip(NEXT) | instid1(VALU_DEP_2)
	v_lshlrev_b32_e32 v3, v11, v3
	v_cndmask_b32_e32 v7, v15, v7, vcc_lo
	s_delay_alu instid0(VALU_DEP_2) | instskip(NEXT) | instid1(VALU_DEP_1)
	v_and_b32_e32 v3, 3, v3
	v_cndmask_b32_e32 v3, v5, v3, vcc_lo
	s_delay_alu instid0(VALU_DEP_3) | instskip(NEXT) | instid1(VALU_DEP_2)
	v_lshl_add_u32 v5, v7, 23, 0x37800000
	v_lshlrev_b32_e32 v3, 21, v3
	s_delay_alu instid0(VALU_DEP_1) | instskip(NEXT) | instid1(VALU_DEP_1)
	v_or3_b32 v1, v1, v5, v3
	v_trunc_f32_e32 v1, v1
	s_delay_alu instid0(VALU_DEP_1) | instskip(SKIP_1) | instid1(VALU_DEP_2)
	v_mul_f32_e64 v3, 0x2f800000, |v1|
	v_ashrrev_i32_e32 v48, 31, v1
	v_floor_f32_e32 v3, v3
	s_delay_alu instid0(VALU_DEP_2) | instskip(NEXT) | instid1(VALU_DEP_2)
	v_mov_b32_e32 v49, v48
	v_fma_f32 v5, 0xcf800000, v3, |v1|
	v_cvt_u32_f32_e32 v1, v3
	s_delay_alu instid0(VALU_DEP_2) | instskip(NEXT) | instid1(VALU_DEP_2)
	v_cvt_u32_f32_e32 v3, v5
	v_xor_b32_e32 v51, v1, v48
	s_delay_alu instid0(VALU_DEP_2) | instskip(NEXT) | instid1(VALU_DEP_1)
	v_xor_b32_e32 v50, v3, v48
	v_sub_nc_u64_e32 v[48:49], v[50:51], v[48:49]
.LBB95_3447:
	s_or_b32 exec_lo, exec_lo, s8
	s_mov_b32 s8, 0
	s_branch .LBB95_3453
.LBB95_3448:
	s_mov_b32 s8, -1
                                        ; implicit-def: $vgpr48_vgpr49
	s_branch .LBB95_3459
.LBB95_3449:
	s_and_not1_saveexec_b32 s9, s9
	s_cbranch_execz .LBB95_3434
.LBB95_3450:
	v_cmp_ne_u16_e32 vcc_lo, 0, v1
	s_and_not1_b32 s18, s18, exec_lo
	s_and_b32 s19, vcc_lo, exec_lo
	s_delay_alu instid0(SALU_CYCLE_1)
	s_or_b32 s18, s18, s19
	s_or_b32 exec_lo, exec_lo, s9
	v_mov_b64_e32 v[48:49], 0
	s_and_saveexec_b32 s9, s18
	s_cbranch_execnz .LBB95_3435
	s_branch .LBB95_3436
.LBB95_3451:
	s_mov_b32 s8, -1
                                        ; implicit-def: $vgpr48_vgpr49
	s_branch .LBB95_3456
.LBB95_3452:
	s_mov_b32 s8, -1
                                        ; implicit-def: $vgpr48_vgpr49
.LBB95_3453:
	s_delay_alu instid0(SALU_CYCLE_1)
	s_and_b32 vcc_lo, exec_lo, s8
	s_cbranch_vccz .LBB95_3455
; %bb.3454:
	global_load_u8 v1, v[42:43], off
	s_wait_loadcnt 0x0
	v_lshlrev_b32_e32 v1, 24, v1
	s_delay_alu instid0(VALU_DEP_1) | instskip(NEXT) | instid1(VALU_DEP_1)
	v_and_b32_e32 v3, 0x7f000000, v1
	v_clz_i32_u32_e32 v5, v3
	v_add_nc_u32_e32 v11, 0x1000000, v3
	v_cmp_ne_u32_e32 vcc_lo, 0, v3
	s_delay_alu instid0(VALU_DEP_3) | instskip(NEXT) | instid1(VALU_DEP_1)
	v_min_u32_e32 v5, 32, v5
	v_sub_nc_u32_e64 v5, v5, 4 clamp
	s_delay_alu instid0(VALU_DEP_1) | instskip(NEXT) | instid1(VALU_DEP_1)
	v_dual_lshlrev_b32 v7, v5, v3 :: v_dual_lshlrev_b32 v5, 23, v5
	v_lshrrev_b32_e32 v7, 4, v7
	s_delay_alu instid0(VALU_DEP_1) | instskip(NEXT) | instid1(VALU_DEP_1)
	v_dual_sub_nc_u32 v5, v7, v5 :: v_dual_ashrrev_i32 v7, 8, v11
	v_add_nc_u32_e32 v5, 0x3c000000, v5
	s_delay_alu instid0(VALU_DEP_1) | instskip(NEXT) | instid1(VALU_DEP_1)
	v_and_or_b32 v5, 0x7f800000, v7, v5
	v_cndmask_b32_e32 v3, 0, v5, vcc_lo
	s_delay_alu instid0(VALU_DEP_1) | instskip(NEXT) | instid1(VALU_DEP_1)
	v_and_or_b32 v1, 0x80000000, v1, v3
	v_trunc_f32_e32 v1, v1
	s_delay_alu instid0(VALU_DEP_1) | instskip(SKIP_1) | instid1(VALU_DEP_2)
	v_mul_f32_e64 v3, 0x2f800000, |v1|
	v_ashrrev_i32_e32 v48, 31, v1
	v_floor_f32_e32 v3, v3
	s_delay_alu instid0(VALU_DEP_2) | instskip(NEXT) | instid1(VALU_DEP_2)
	v_mov_b32_e32 v49, v48
	v_fma_f32 v5, 0xcf800000, v3, |v1|
	v_cvt_u32_f32_e32 v1, v3
	s_delay_alu instid0(VALU_DEP_2) | instskip(NEXT) | instid1(VALU_DEP_2)
	v_cvt_u32_f32_e32 v3, v5
	v_xor_b32_e32 v51, v1, v48
	s_delay_alu instid0(VALU_DEP_2) | instskip(NEXT) | instid1(VALU_DEP_1)
	v_xor_b32_e32 v50, v3, v48
	v_sub_nc_u64_e32 v[48:49], v[50:51], v[48:49]
.LBB95_3455:
	s_mov_b32 s8, 0
.LBB95_3456:
	s_delay_alu instid0(SALU_CYCLE_1)
	s_and_not1_b32 vcc_lo, exec_lo, s8
	s_cbranch_vccnz .LBB95_3458
; %bb.3457:
	global_load_u8 v1, v[42:43], off
	s_wait_loadcnt 0x0
	v_lshlrev_b32_e32 v3, 25, v1
	v_lshlrev_b16 v1, 8, v1
	s_delay_alu instid0(VALU_DEP_1) | instskip(SKIP_1) | instid1(VALU_DEP_2)
	v_and_or_b32 v7, 0x7f00, v1, 0.5
	v_bfe_i32 v1, v1, 0, 16
	v_add_f32_e32 v7, -0.5, v7
	v_lshrrev_b32_e32 v5, 4, v3
	v_cmp_gt_u32_e32 vcc_lo, 0x8000000, v3
	s_delay_alu instid0(VALU_DEP_2) | instskip(NEXT) | instid1(VALU_DEP_1)
	v_or_b32_e32 v5, 0x70000000, v5
	v_mul_f32_e32 v5, 0x7800000, v5
	s_delay_alu instid0(VALU_DEP_1) | instskip(NEXT) | instid1(VALU_DEP_1)
	v_cndmask_b32_e32 v3, v5, v7, vcc_lo
	v_and_or_b32 v1, 0x80000000, v1, v3
	s_delay_alu instid0(VALU_DEP_1) | instskip(NEXT) | instid1(VALU_DEP_1)
	v_trunc_f32_e32 v1, v1
	v_mul_f32_e64 v3, 0x2f800000, |v1|
	v_ashrrev_i32_e32 v48, 31, v1
	s_delay_alu instid0(VALU_DEP_2) | instskip(NEXT) | instid1(VALU_DEP_2)
	v_floor_f32_e32 v3, v3
	v_mov_b32_e32 v49, v48
	s_delay_alu instid0(VALU_DEP_2) | instskip(SKIP_1) | instid1(VALU_DEP_2)
	v_fma_f32 v5, 0xcf800000, v3, |v1|
	v_cvt_u32_f32_e32 v1, v3
	v_cvt_u32_f32_e32 v3, v5
	s_delay_alu instid0(VALU_DEP_2) | instskip(NEXT) | instid1(VALU_DEP_2)
	v_xor_b32_e32 v51, v1, v48
	v_xor_b32_e32 v50, v3, v48
	s_delay_alu instid0(VALU_DEP_1)
	v_sub_nc_u64_e32 v[48:49], v[50:51], v[48:49]
.LBB95_3458:
	s_mov_b32 s8, 0
	s_mov_b32 s9, -1
.LBB95_3459:
	s_and_not1_b32 vcc_lo, exec_lo, s8
	s_mov_b32 s8, 0
	s_cbranch_vccnz .LBB95_3470
; %bb.3460:
	s_cmp_gt_i32 s0, 14
	s_cbranch_scc0 .LBB95_3463
; %bb.3461:
	s_cmp_eq_u32 s0, 15
	s_cbranch_scc0 .LBB95_3466
; %bb.3462:
	global_load_u16 v1, v[42:43], off
	s_mov_b32 s1, 0
	s_mov_b32 s9, -1
	s_wait_loadcnt 0x0
	v_lshlrev_b32_e32 v1, 16, v1
	s_delay_alu instid0(VALU_DEP_1) | instskip(NEXT) | instid1(VALU_DEP_1)
	v_trunc_f32_e32 v1, v1
	v_mul_f32_e64 v3, 0x2f800000, |v1|
	v_ashrrev_i32_e32 v48, 31, v1
	s_delay_alu instid0(VALU_DEP_2) | instskip(NEXT) | instid1(VALU_DEP_2)
	v_floor_f32_e32 v3, v3
	v_mov_b32_e32 v49, v48
	s_delay_alu instid0(VALU_DEP_2) | instskip(SKIP_1) | instid1(VALU_DEP_2)
	v_fma_f32 v5, 0xcf800000, v3, |v1|
	v_cvt_u32_f32_e32 v1, v3
	v_cvt_u32_f32_e32 v3, v5
	s_delay_alu instid0(VALU_DEP_2) | instskip(NEXT) | instid1(VALU_DEP_2)
	v_xor_b32_e32 v51, v1, v48
	v_xor_b32_e32 v50, v3, v48
	s_delay_alu instid0(VALU_DEP_1)
	v_sub_nc_u64_e32 v[48:49], v[50:51], v[48:49]
	s_branch .LBB95_3468
.LBB95_3463:
	s_mov_b32 s8, -1
	s_branch .LBB95_3467
.LBB95_3464:
	s_and_not1_saveexec_b32 s8, s8
	s_cbranch_execz .LBB95_3445
.LBB95_3465:
	v_cmp_ne_u16_e32 vcc_lo, 0, v1
	s_and_not1_b32 s9, s9, exec_lo
	s_and_b32 s18, vcc_lo, exec_lo
	s_delay_alu instid0(SALU_CYCLE_1)
	s_or_b32 s9, s9, s18
	s_or_b32 exec_lo, exec_lo, s8
	v_mov_b64_e32 v[48:49], 0
	s_and_saveexec_b32 s8, s9
	s_cbranch_execnz .LBB95_3446
	s_branch .LBB95_3447
.LBB95_3466:
	s_mov_b32 s1, -1
.LBB95_3467:
                                        ; implicit-def: $vgpr48_vgpr49
.LBB95_3468:
	s_and_b32 vcc_lo, exec_lo, s8
	s_mov_b32 s8, 0
	s_cbranch_vccz .LBB95_3470
; %bb.3469:
	s_cmp_lg_u32 s0, 11
	s_mov_b32 s8, -1
	s_cselect_b32 s1, -1, 0
.LBB95_3470:
	s_delay_alu instid0(SALU_CYCLE_1)
	s_and_b32 vcc_lo, exec_lo, s1
	s_cbranch_vccnz .LBB95_3597
; %bb.3471:
	s_and_not1_b32 vcc_lo, exec_lo, s8
	s_cbranch_vccnz .LBB95_3473
.LBB95_3472:
	global_load_u8 v1, v[42:43], off
	s_mov_b32 s0, 0
	s_mov_b32 s9, -1
	s_wait_loadcnt 0x1
	v_mov_b32_e32 v49, s0
	s_wait_loadcnt 0x0
	v_cmp_ne_u16_e32 vcc_lo, 0, v1
	v_cndmask_b32_e64 v48, 0, 1, vcc_lo
.LBB95_3473:
	s_mov_b32 s0, 0
.LBB95_3474:
	s_delay_alu instid0(SALU_CYCLE_1)
	s_and_b32 vcc_lo, exec_lo, s0
	s_cbranch_vccz .LBB95_3523
; %bb.3475:
	s_and_b32 s0, 0xffff, s49
	s_delay_alu instid0(SALU_CYCLE_1)
	s_cmp_lt_i32 s0, 5
	s_cbranch_scc1 .LBB95_3480
; %bb.3476:
	s_cmp_lt_i32 s0, 8
	s_cbranch_scc1 .LBB95_3481
; %bb.3477:
	;; [unrolled: 3-line block ×3, first 2 shown]
	s_cmp_gt_i32 s0, 9
	s_cbranch_scc0 .LBB95_3483
; %bb.3479:
	s_wait_loadcnt 0x0
	global_load_b64 v[48:49], v[42:43], off
	s_mov_b32 s1, 0
	s_wait_loadcnt 0x0
	v_trunc_f64_e32 v[48:49], v[48:49]
	s_delay_alu instid0(VALU_DEP_1) | instskip(NEXT) | instid1(VALU_DEP_1)
	v_ldexp_f64 v[50:51], v[48:49], 0xffffffe0
	v_floor_f64_e32 v[50:51], v[50:51]
	s_delay_alu instid0(VALU_DEP_1) | instskip(SKIP_1) | instid1(VALU_DEP_2)
	v_fmamk_f64 v[52:53], v[50:51], 0xc1f00000, v[48:49]
	v_cvt_i32_f64_e32 v49, v[50:51]
	v_cvt_u32_f64_e32 v48, v[52:53]
	s_branch .LBB95_3484
.LBB95_3480:
	s_mov_b32 s1, -1
                                        ; implicit-def: $vgpr48_vgpr49
	s_branch .LBB95_3502
.LBB95_3481:
	s_mov_b32 s1, -1
                                        ; implicit-def: $vgpr48_vgpr49
	s_branch .LBB95_3490
.LBB95_3482:
	s_mov_b32 s1, -1
                                        ; implicit-def: $vgpr48_vgpr49
	s_branch .LBB95_3487
.LBB95_3483:
	s_mov_b32 s1, -1
                                        ; implicit-def: $vgpr48_vgpr49
.LBB95_3484:
	s_delay_alu instid0(SALU_CYCLE_1)
	s_and_not1_b32 vcc_lo, exec_lo, s1
	s_cbranch_vccnz .LBB95_3486
; %bb.3485:
	global_load_b32 v1, v[42:43], off
	s_wait_loadcnt 0x0
	v_trunc_f32_e32 v1, v1
	s_delay_alu instid0(VALU_DEP_1) | instskip(SKIP_1) | instid1(VALU_DEP_2)
	v_mul_f32_e64 v3, 0x2f800000, |v1|
	v_ashrrev_i32_e32 v48, 31, v1
	v_floor_f32_e32 v3, v3
	s_delay_alu instid0(VALU_DEP_1) | instskip(SKIP_1) | instid1(VALU_DEP_4)
	v_fma_f32 v5, 0xcf800000, v3, |v1|
	v_cvt_u32_f32_e32 v1, v3
	v_mov_b32_e32 v49, v48
	s_delay_alu instid0(VALU_DEP_3) | instskip(NEXT) | instid1(VALU_DEP_3)
	v_cvt_u32_f32_e32 v3, v5
	v_xor_b32_e32 v51, v1, v48
	s_delay_alu instid0(VALU_DEP_2) | instskip(NEXT) | instid1(VALU_DEP_1)
	v_xor_b32_e32 v50, v3, v48
	v_sub_nc_u64_e32 v[48:49], v[50:51], v[48:49]
.LBB95_3486:
	s_mov_b32 s1, 0
.LBB95_3487:
	s_delay_alu instid0(SALU_CYCLE_1)
	s_and_not1_b32 vcc_lo, exec_lo, s1
	s_cbranch_vccnz .LBB95_3489
; %bb.3488:
	global_load_b32 v1, v[42:43], off
	s_wait_loadcnt 0x0
	v_cvt_f32_f16_e32 v1, v1
	s_delay_alu instid0(VALU_DEP_1) | instskip(NEXT) | instid1(VALU_DEP_1)
	v_cvt_i32_f32_e32 v48, v1
	v_ashrrev_i32_e32 v49, 31, v48
.LBB95_3489:
	s_mov_b32 s1, 0
.LBB95_3490:
	s_delay_alu instid0(SALU_CYCLE_1)
	s_and_not1_b32 vcc_lo, exec_lo, s1
	s_cbranch_vccnz .LBB95_3501
; %bb.3491:
	s_cmp_lt_i32 s0, 6
	s_cbranch_scc1 .LBB95_3494
; %bb.3492:
	s_cmp_gt_i32 s0, 6
	s_cbranch_scc0 .LBB95_3495
; %bb.3493:
	s_wait_loadcnt 0x0
	global_load_b64 v[48:49], v[42:43], off
	s_mov_b32 s1, 0
	s_wait_loadcnt 0x0
	v_trunc_f64_e32 v[48:49], v[48:49]
	s_delay_alu instid0(VALU_DEP_1) | instskip(NEXT) | instid1(VALU_DEP_1)
	v_ldexp_f64 v[50:51], v[48:49], 0xffffffe0
	v_floor_f64_e32 v[50:51], v[50:51]
	s_delay_alu instid0(VALU_DEP_1) | instskip(SKIP_1) | instid1(VALU_DEP_2)
	v_fmamk_f64 v[52:53], v[50:51], 0xc1f00000, v[48:49]
	v_cvt_i32_f64_e32 v49, v[50:51]
	v_cvt_u32_f64_e32 v48, v[52:53]
	s_branch .LBB95_3496
.LBB95_3494:
	s_mov_b32 s1, -1
                                        ; implicit-def: $vgpr48_vgpr49
	s_branch .LBB95_3499
.LBB95_3495:
	s_mov_b32 s1, -1
                                        ; implicit-def: $vgpr48_vgpr49
.LBB95_3496:
	s_delay_alu instid0(SALU_CYCLE_1)
	s_and_not1_b32 vcc_lo, exec_lo, s1
	s_cbranch_vccnz .LBB95_3498
; %bb.3497:
	global_load_b32 v1, v[42:43], off
	s_wait_loadcnt 0x0
	v_trunc_f32_e32 v1, v1
	s_delay_alu instid0(VALU_DEP_1) | instskip(SKIP_1) | instid1(VALU_DEP_2)
	v_mul_f32_e64 v3, 0x2f800000, |v1|
	v_ashrrev_i32_e32 v48, 31, v1
	v_floor_f32_e32 v3, v3
	s_delay_alu instid0(VALU_DEP_1) | instskip(SKIP_1) | instid1(VALU_DEP_4)
	v_fma_f32 v5, 0xcf800000, v3, |v1|
	v_cvt_u32_f32_e32 v1, v3
	v_mov_b32_e32 v49, v48
	s_delay_alu instid0(VALU_DEP_3) | instskip(NEXT) | instid1(VALU_DEP_3)
	v_cvt_u32_f32_e32 v3, v5
	v_xor_b32_e32 v51, v1, v48
	s_delay_alu instid0(VALU_DEP_2) | instskip(NEXT) | instid1(VALU_DEP_1)
	v_xor_b32_e32 v50, v3, v48
	v_sub_nc_u64_e32 v[48:49], v[50:51], v[48:49]
.LBB95_3498:
	s_mov_b32 s1, 0
.LBB95_3499:
	s_delay_alu instid0(SALU_CYCLE_1)
	s_and_not1_b32 vcc_lo, exec_lo, s1
	s_cbranch_vccnz .LBB95_3501
; %bb.3500:
	global_load_u16 v1, v[42:43], off
	s_wait_loadcnt 0x0
	v_cvt_f32_f16_e32 v1, v1
	s_delay_alu instid0(VALU_DEP_1) | instskip(NEXT) | instid1(VALU_DEP_1)
	v_cvt_i32_f32_e32 v48, v1
	v_ashrrev_i32_e32 v49, 31, v48
.LBB95_3501:
	s_mov_b32 s1, 0
.LBB95_3502:
	s_delay_alu instid0(SALU_CYCLE_1)
	s_and_not1_b32 vcc_lo, exec_lo, s1
	s_cbranch_vccnz .LBB95_3522
; %bb.3503:
	s_cmp_lt_i32 s0, 2
	s_cbranch_scc1 .LBB95_3507
; %bb.3504:
	s_cmp_lt_i32 s0, 3
	s_cbranch_scc1 .LBB95_3508
; %bb.3505:
	s_cmp_gt_i32 s0, 3
	s_cbranch_scc0 .LBB95_3509
; %bb.3506:
	s_wait_loadcnt 0x0
	global_load_b64 v[48:49], v[42:43], off
	s_mov_b32 s1, 0
	s_branch .LBB95_3510
.LBB95_3507:
	s_mov_b32 s1, -1
                                        ; implicit-def: $vgpr48_vgpr49
	s_branch .LBB95_3516
.LBB95_3508:
	s_mov_b32 s1, -1
                                        ; implicit-def: $vgpr48_vgpr49
	s_branch .LBB95_3513
.LBB95_3509:
	s_mov_b32 s1, -1
                                        ; implicit-def: $vgpr48_vgpr49
.LBB95_3510:
	s_delay_alu instid0(SALU_CYCLE_1)
	s_and_not1_b32 vcc_lo, exec_lo, s1
	s_cbranch_vccnz .LBB95_3512
; %bb.3511:
	s_wait_loadcnt 0x0
	global_load_b32 v48, v[42:43], off
	s_wait_loadcnt 0x0
	v_ashrrev_i32_e32 v49, 31, v48
.LBB95_3512:
	s_mov_b32 s1, 0
.LBB95_3513:
	s_delay_alu instid0(SALU_CYCLE_1)
	s_and_not1_b32 vcc_lo, exec_lo, s1
	s_cbranch_vccnz .LBB95_3515
; %bb.3514:
	global_load_u16 v1, v[42:43], off
	s_wait_loadcnt 0x0
	v_bfe_i32 v48, v1, 0, 16
	s_delay_alu instid0(VALU_DEP_1)
	v_ashrrev_i32_e32 v49, 31, v48
.LBB95_3515:
	s_mov_b32 s1, 0
.LBB95_3516:
	s_delay_alu instid0(SALU_CYCLE_1)
	s_and_not1_b32 vcc_lo, exec_lo, s1
	s_cbranch_vccnz .LBB95_3522
; %bb.3517:
	s_cmp_gt_i32 s0, 0
	s_mov_b32 s0, 0
	s_cbranch_scc0 .LBB95_3519
; %bb.3518:
	global_load_i8 v1, v[42:43], off
	s_wait_loadcnt 0x0
	v_bfe_i32 v48, v1, 0, 16
	s_delay_alu instid0(VALU_DEP_1)
	v_ashrrev_i32_e32 v49, 31, v48
	s_branch .LBB95_3520
.LBB95_3519:
	s_mov_b32 s0, -1
                                        ; implicit-def: $vgpr48_vgpr49
.LBB95_3520:
	s_delay_alu instid0(SALU_CYCLE_1)
	s_and_not1_b32 vcc_lo, exec_lo, s0
	s_cbranch_vccnz .LBB95_3522
; %bb.3521:
	global_load_u8 v1, v[42:43], off
	s_mov_b32 s0, 0
	s_wait_loadcnt 0x1
	v_mov_b32_e32 v49, s0
	s_wait_loadcnt 0x0
	v_and_b32_e32 v48, 0xffff, v1
.LBB95_3522:
	s_mov_b32 s9, -1
.LBB95_3523:
	s_delay_alu instid0(SALU_CYCLE_1)
	s_and_not1_b32 vcc_lo, exec_lo, s9
	s_cbranch_vccnz .LBB95_3532
; %bb.3524:
	s_load_b64 s[0:1], s[2:3], 0x278
	s_get_pc_i64 s[8:9]
	s_add_nc_u64 s[8:9], s[8:9], .str.6@rel64+4
	s_delay_alu instid0(SALU_CYCLE_1) | instskip(SKIP_3) | instid1(SALU_CYCLE_1)
	s_cmp_eq_u64 s[8:9], 0
	s_wait_kmcnt 0x0
	v_cmp_ne_u64_e32 vcc_lo, s[0:1], v[8:9]
	s_cselect_b32 s0, -1, 0
	s_or_b32 s0, s0, vcc_lo
	s_delay_alu instid0(SALU_CYCLE_1) | instskip(NEXT) | instid1(SALU_CYCLE_1)
	s_and_saveexec_b32 s1, s0
	s_xor_b32 s0, exec_lo, s1
	s_cbranch_execnz .LBB95_3908
.LBB95_3525:
	s_or_saveexec_b32 s36, s0
	s_mov_b32 s1, 0
	s_mov_b32 s8, 0
                                        ; implicit-def: $vgpr42_vgpr43
                                        ; implicit-def: $sgpr0
	s_xor_b32 exec_lo, exec_lo, s36
	s_cbranch_execz .LBB95_4422
; %bb.3526:
	s_load_b64 s[0:1], s[2:3], 0x288
	s_get_pc_i64 s[8:9]
	s_add_nc_u64 s[8:9], s[8:9], .str.7@rel64+4
	s_mov_b32 s37, s33
	s_cmp_eq_u64 s[8:9], 0
	s_wait_kmcnt 0x0
	v_cmp_ne_u64_e32 vcc_lo, s[0:1], v[12:13]
	s_cselect_b32 s0, -1, 0
	s_delay_alu instid0(SALU_CYCLE_1) | instskip(NEXT) | instid1(SALU_CYCLE_1)
	s_or_b32 s0, s0, vcc_lo
	s_and_saveexec_b32 s1, s0
	s_delay_alu instid0(SALU_CYCLE_1)
	s_xor_b32 s0, exec_lo, s1
	s_cbranch_execnz .LBB95_4037
.LBB95_3527:
	s_or_saveexec_b32 s38, s0
	s_mov_b32 s1, 0
	s_mov_b32 s8, 0
                                        ; implicit-def: $vgpr42_vgpr43
                                        ; implicit-def: $sgpr0
	s_xor_b32 exec_lo, exec_lo, s38
	s_cbranch_execz .LBB95_4421
; %bb.3528:
	s_load_b64 s[18:19], s[2:3], 0x280
	v_sub_nc_u64_e32 v[42:43], v[44:45], v[46:47]
	s_get_pc_i64 s[8:9]
	s_add_nc_u64 s[8:9], s[8:9], .str.8@rel64+4
	s_mov_b32 s39, s37
	s_delay_alu instid0(VALU_DEP_1)
	v_cmp_gt_i64_e32 vcc_lo, v[8:9], v[42:43]
	s_wait_kmcnt 0x0
	v_cmp_lt_i64_e64 s0, s[18:19], v[42:43]
	s_or_b32 s0, vcc_lo, s0
	s_cmp_eq_u64 s[8:9], 0
	s_cselect_b32 s1, -1, 0
	s_delay_alu instid0(SALU_CYCLE_1) | instskip(NEXT) | instid1(SALU_CYCLE_1)
	s_or_b32 s0, s1, s0
	s_and_saveexec_b32 s1, s0
	s_delay_alu instid0(SALU_CYCLE_1)
	s_xor_b32 s0, exec_lo, s1
	s_cbranch_execnz .LBB95_4166
.LBB95_3529:
	s_or_saveexec_b32 s40, s0
	s_mov_b32 s1, 0
	s_mov_b32 s8, 0
                                        ; implicit-def: $vgpr42_vgpr43
                                        ; implicit-def: $sgpr0
	s_xor_b32 exec_lo, exec_lo, s40
	s_cbranch_execz .LBB95_4420
; %bb.3530:
	s_load_b32 s44, s[2:3], 0x290
	v_cmp_lt_i64_e32 vcc_lo, 0, v[12:13]
	v_mov_b64_e32 v[42:43], 0
	s_wait_kmcnt 0x0
	s_add_co_i32 s8, s44, -1
	s_delay_alu instid0(SALU_CYCLE_1) | instskip(SKIP_1) | instid1(SALU_CYCLE_1)
	s_cmp_gt_i32 s8, -1
	s_cselect_b32 s0, -1, 0
	s_and_b32 s46, vcc_lo, s0
	s_delay_alu instid0(SALU_CYCLE_1)
	s_and_saveexec_b32 s41, s46
	s_cbranch_execz .LBB95_3582
; %bb.3531:
	s_wait_loadcnt 0x0
	v_mul_u64_e32 v[50:51], v[48:49], v[12:13]
	s_mov_b32 s9, s1
	v_mov_b64_e32 v[42:43], 0
	s_lshl_b64 s[22:23], s[8:9], 3
	v_mov_b32_e32 v48, 0
	s_add_nc_u64 s[22:23], s[2:3], s[22:23]
	s_mov_b64 s[20:21], 0xffffffff
	s_add_nc_u64 s[22:23], s[22:23], 0x298
	s_mov_b32 s9, s44
	s_branch .LBB95_3578
.LBB95_3532:
	s_mov_b32 s1, 0
	s_mov_b32 s8, 0
                                        ; implicit-def: $vgpr42_vgpr43
                                        ; implicit-def: $sgpr0
.LBB95_3533:
	s_wait_xcnt 0x0
	s_and_not1_b32 s2, s34, exec_lo
	s_and_b32 s3, s33, exec_lo
	s_and_b32 s4, s8, exec_lo
	;; [unrolled: 1-line block ×3, first 2 shown]
	s_or_b32 s34, s2, s3
.LBB95_3534:
	s_or_b32 exec_lo, exec_lo, s35
	s_and_saveexec_b32 s1, s34
	s_cbranch_execz .LBB95_3537
; %bb.3535:
	; divergent unreachable
	s_or_b32 exec_lo, exec_lo, s1
	s_and_saveexec_b32 s1, s67
	s_delay_alu instid0(SALU_CYCLE_1)
	s_xor_b32 s1, exec_lo, s1
	s_cbranch_execnz .LBB95_3538
.LBB95_3536:
	s_or_b32 exec_lo, exec_lo, s1
	s_and_saveexec_b32 s1, s4
	s_cbranch_execnz .LBB95_3539
	s_branch .LBB95_3576
.LBB95_3537:
	s_or_b32 exec_lo, exec_lo, s1
	s_and_saveexec_b32 s1, s67
	s_delay_alu instid0(SALU_CYCLE_1)
	s_xor_b32 s1, exec_lo, s1
	s_cbranch_execz .LBB95_3536
.LBB95_3538:
	s_wait_loadcnt 0x0
	v_mov_b32_e32 v0, 0
	global_store_b8 v[42:43], v0, off
	s_wait_xcnt 0x0
	s_or_b32 exec_lo, exec_lo, s1
	s_and_saveexec_b32 s1, s4
	s_cbranch_execz .LBB95_3576
.LBB95_3539:
	s_sext_i32_i16 s2, s0
	s_mov_b32 s1, -1
	s_cmp_lt_i32 s2, 5
	s_cbranch_scc1 .LBB95_3560
; %bb.3540:
	s_cmp_lt_i32 s2, 8
	s_cbranch_scc1 .LBB95_3550
; %bb.3541:
	;; [unrolled: 3-line block ×3, first 2 shown]
	s_cmp_gt_i32 s2, 9
	s_cbranch_scc0 .LBB95_3544
; %bb.3543:
	s_wait_loadcnt 0x0
	v_mov_b32_e32 v0, 0
	s_mov_b32 s1, 0
	s_delay_alu instid0(VALU_DEP_1)
	v_dual_mov_b32 v1, v0 :: v_dual_mov_b32 v2, v0
	v_mov_b32_e32 v3, v0
	global_store_b128 v[42:43], v[0:3], off
.LBB95_3544:
	s_and_not1_b32 vcc_lo, exec_lo, s1
	s_cbranch_vccnz .LBB95_3546
; %bb.3545:
	s_wait_loadcnt 0x0
	v_mov_b64_e32 v[0:1], 0
	global_store_b64 v[42:43], v[0:1], off
.LBB95_3546:
	s_mov_b32 s1, 0
.LBB95_3547:
	s_delay_alu instid0(SALU_CYCLE_1)
	s_and_not1_b32 vcc_lo, exec_lo, s1
	s_cbranch_vccnz .LBB95_3549
; %bb.3548:
	s_wait_loadcnt 0x0
	v_mov_b32_e32 v0, 0
	global_store_b32 v[42:43], v0, off
.LBB95_3549:
	s_mov_b32 s1, 0
.LBB95_3550:
	s_delay_alu instid0(SALU_CYCLE_1)
	s_and_not1_b32 vcc_lo, exec_lo, s1
	s_cbranch_vccnz .LBB95_3559
; %bb.3551:
	s_sext_i32_i16 s2, s0
	s_mov_b32 s1, -1
	s_cmp_lt_i32 s2, 6
	s_cbranch_scc1 .LBB95_3557
; %bb.3552:
	s_cmp_gt_i32 s2, 6
	s_cbranch_scc0 .LBB95_3554
; %bb.3553:
	s_wait_loadcnt 0x0
	v_mov_b64_e32 v[0:1], 0
	s_mov_b32 s1, 0
	global_store_b64 v[42:43], v[0:1], off
.LBB95_3554:
	s_and_not1_b32 vcc_lo, exec_lo, s1
	s_cbranch_vccnz .LBB95_3556
; %bb.3555:
	s_wait_loadcnt 0x0
	v_mov_b32_e32 v0, 0
	global_store_b32 v[42:43], v0, off
.LBB95_3556:
	s_mov_b32 s1, 0
.LBB95_3557:
	s_delay_alu instid0(SALU_CYCLE_1)
	s_and_not1_b32 vcc_lo, exec_lo, s1
	s_cbranch_vccnz .LBB95_3559
; %bb.3558:
	s_wait_loadcnt 0x0
	v_mov_b32_e32 v0, 0
	global_store_b16 v[42:43], v0, off
.LBB95_3559:
	s_mov_b32 s1, 0
.LBB95_3560:
	s_delay_alu instid0(SALU_CYCLE_1)
	s_and_not1_b32 vcc_lo, exec_lo, s1
	s_cbranch_vccnz .LBB95_3576
; %bb.3561:
	s_sext_i32_i16 s2, s0
	s_mov_b32 s1, -1
	s_cmp_lt_i32 s2, 2
	s_cbranch_scc1 .LBB95_3571
; %bb.3562:
	s_cmp_lt_i32 s2, 3
	s_cbranch_scc1 .LBB95_3568
; %bb.3563:
	s_cmp_gt_i32 s2, 3
	s_cbranch_scc0 .LBB95_3565
; %bb.3564:
	s_wait_loadcnt 0x0
	v_mov_b64_e32 v[0:1], 0
	s_mov_b32 s1, 0
	global_store_b64 v[42:43], v[0:1], off
.LBB95_3565:
	s_and_not1_b32 vcc_lo, exec_lo, s1
	s_cbranch_vccnz .LBB95_3567
; %bb.3566:
	s_wait_loadcnt 0x0
	v_mov_b32_e32 v0, 0
	global_store_b32 v[42:43], v0, off
.LBB95_3567:
	s_mov_b32 s1, 0
.LBB95_3568:
	s_delay_alu instid0(SALU_CYCLE_1)
	s_and_not1_b32 vcc_lo, exec_lo, s1
	s_cbranch_vccnz .LBB95_3570
; %bb.3569:
	s_wait_loadcnt 0x0
	v_mov_b32_e32 v0, 0
	global_store_b16 v[42:43], v0, off
.LBB95_3570:
	s_mov_b32 s1, 0
.LBB95_3571:
	s_delay_alu instid0(SALU_CYCLE_1)
	s_and_not1_b32 vcc_lo, exec_lo, s1
	s_cbranch_vccnz .LBB95_3576
; %bb.3572:
	s_sext_i32_i16 s0, s0
	s_delay_alu instid0(SALU_CYCLE_1)
	s_cmp_gt_i32 s0, 0
	s_mov_b32 s0, -1
	s_cbranch_scc0 .LBB95_3574
; %bb.3573:
	s_wait_loadcnt 0x0
	v_mov_b32_e32 v0, 0
	s_mov_b32 s0, 0
	global_store_b8 v[42:43], v0, off
.LBB95_3574:
	s_and_not1_b32 vcc_lo, exec_lo, s0
	s_cbranch_vccnz .LBB95_3576
; %bb.3575:
	s_wait_loadcnt 0x0
	v_mov_b32_e32 v0, 0
	global_store_b8 v[42:43], v0, off
	s_sendmsg sendmsg(MSG_DEALLOC_VGPRS)
	s_endpgm
.LBB95_3576:
	s_sendmsg sendmsg(MSG_DEALLOC_VGPRS)
	s_endpgm
.LBB95_3577:                            ;   in Loop: Header=BB95_3578 Depth=1
	s_or_b32 exec_lo, exec_lo, s0
	s_delay_alu instid0(VALU_DEP_1)
	v_mul_u64_e32 v[54:55], s[24:25], v[52:53]
	s_load_b64 s[24:25], s[22:23], 0x40
	s_add_co_i32 s9, s9, -1
	s_wait_xcnt 0x0
	s_add_nc_u64 s[22:23], s[22:23], -8
	s_cmp_eq_u32 s9, 0
	s_delay_alu instid0(VALU_DEP_1) | instskip(SKIP_1) | instid1(VALU_DEP_1)
	v_sub_nc_u64_e32 v[50:51], v[50:51], v[54:55]
	s_wait_kmcnt 0x0
	v_mad_nc_u64_u32 v[42:43], v50, s24, v[42:43]
	s_delay_alu instid0(VALU_DEP_1) | instskip(NEXT) | instid1(VALU_DEP_1)
	v_mad_u32 v1, v51, s24, v43
	v_mad_u32 v43, v50, s25, v1
	v_mov_b64_e32 v[50:51], v[52:53]
	s_cbranch_scc1 .LBB95_3582
.LBB95_3578:                            ; =>This Inner Loop Header: Depth=1
	s_load_b64 s[24:25], s[22:23], 0x0
                                        ; implicit-def: $vgpr52_vgpr53
	s_mov_b32 s0, exec_lo
	s_wait_kmcnt 0x0
	s_delay_alu instid0(VALU_DEP_1) | instskip(NEXT) | instid1(VALU_DEP_1)
	v_or_b32_e32 v49, s25, v51
	v_cmpx_ne_u64_e32 0, v[48:49]
	s_xor_b32 s42, exec_lo, s0
	s_cbranch_execz .LBB95_3580
; %bb.3579:                             ;   in Loop: Header=BB95_3578 Depth=1
	s_ashr_i32 s26, s25, 31
	v_dual_mov_b32 v57, v48 :: v_dual_ashrrev_i32 v52, 31, v51
	s_mov_b32 s27, s26
	v_mov_b32_e32 v65, v48
	s_add_nc_u64 s[28:29], s[24:25], s[26:27]
	s_delay_alu instid0(VALU_DEP_2) | instskip(SKIP_1) | instid1(SALU_CYCLE_1)
	v_mov_b32_e32 v53, v52
	s_xor_b64 s[28:29], s[28:29], s[26:27]
	s_cvt_f32_u32 s0, s28
	s_cvt_f32_u32 s27, s29
	s_sub_nc_u64 s[52:53], 0, s[28:29]
	v_add_nc_u64_e32 v[54:55], v[50:51], v[52:53]
	v_mov_b32_e32 v61, v48
	s_fmamk_f32 s0, s27, 0x4f800000, s0
	s_delay_alu instid0(SALU_CYCLE_3) | instskip(NEXT) | instid1(VALU_DEP_2)
	v_s_rcp_f32 s0, s0
	v_xor_b32_e32 v56, v54, v52
	s_delay_alu instid0(VALU_DEP_3) | instskip(SKIP_1) | instid1(TRANS32_DEP_1)
	v_xor_b32_e32 v60, v55, v52
	v_xor_b32_e32 v52, s26, v52
	s_mul_f32 s0, s0, 0x5f7ffffc
	s_delay_alu instid0(VALU_DEP_1) | instskip(NEXT) | instid1(SALU_CYCLE_2)
	v_mov_b32_e32 v53, v52
	s_mul_f32 s27, s0, 0x2f800000
	s_delay_alu instid0(SALU_CYCLE_3) | instskip(NEXT) | instid1(SALU_CYCLE_3)
	s_trunc_f32 s27, s27
	s_fmamk_f32 s0, s27, 0xcf800000, s0
	s_cvt_u32_f32 s51, s27
	s_delay_alu instid0(SALU_CYCLE_2) | instskip(NEXT) | instid1(SALU_CYCLE_3)
	s_cvt_u32_f32 s50, s0
	s_mul_u64 s[54:55], s[52:53], s[50:51]
	s_delay_alu instid0(SALU_CYCLE_1)
	s_mul_hi_u32 s57, s50, s55
	s_mul_i32 s56, s50, s55
	s_mul_hi_u32 s0, s50, s54
	s_mul_i32 s43, s51, s54
	s_add_nc_u64 s[56:57], s[0:1], s[56:57]
	s_mul_hi_u32 s27, s51, s54
	s_mul_hi_u32 s45, s51, s55
	s_add_co_u32 s0, s56, s43
	s_add_co_ci_u32 s0, s57, s27
	s_mul_i32 s54, s51, s55
	s_add_co_ci_u32 s55, s45, 0
	s_delay_alu instid0(SALU_CYCLE_1) | instskip(NEXT) | instid1(SALU_CYCLE_1)
	s_add_nc_u64 s[54:55], s[0:1], s[54:55]
	s_add_co_u32 s50, s50, s54
	s_cselect_b32 s0, -1, 0
	s_delay_alu instid0(SALU_CYCLE_1) | instskip(SKIP_1) | instid1(SALU_CYCLE_1)
	s_cmp_lg_u32 s0, 0
	s_add_co_ci_u32 s51, s51, s55
	s_mul_u64 s[52:53], s[52:53], s[50:51]
	s_delay_alu instid0(SALU_CYCLE_1)
	s_mul_hi_u32 s55, s50, s53
	s_mul_i32 s54, s50, s53
	s_mul_hi_u32 s0, s50, s52
	s_mul_i32 s43, s51, s52
	s_add_nc_u64 s[54:55], s[0:1], s[54:55]
	s_mul_hi_u32 s27, s51, s52
	s_mul_hi_u32 s45, s51, s53
	s_add_co_u32 s0, s54, s43
	s_add_co_ci_u32 s0, s55, s27
	s_mul_i32 s52, s51, s53
	s_add_co_ci_u32 s53, s45, 0
	s_delay_alu instid0(SALU_CYCLE_1) | instskip(NEXT) | instid1(SALU_CYCLE_1)
	s_add_nc_u64 s[52:53], s[0:1], s[52:53]
	s_add_co_u32 s50, s50, s52
	s_cselect_b32 s0, -1, 0
	v_mul_hi_u32 v64, v56, s50
	s_cmp_lg_u32 s0, 0
	s_add_co_ci_u32 s0, s51, s53
	s_and_b64 s[52:53], s[50:51], s[20:21]
	v_mul_u64_e32 v[58:59], s[0:1], v[56:57]
	v_mul_u64_e32 v[54:55], s[52:53], v[60:61]
	;; [unrolled: 1-line block ×3, first 2 shown]
	s_delay_alu instid0(VALU_DEP_3) | instskip(NEXT) | instid1(VALU_DEP_1)
	v_add_nc_u64_e32 v[58:59], v[64:65], v[58:59]
	v_add_co_u32 v1, vcc_lo, v58, v54
	s_delay_alu instid0(VALU_DEP_2) | instskip(NEXT) | instid1(VALU_DEP_4)
	v_add_co_ci_u32_e32 v64, vcc_lo, v59, v55, vcc_lo
	v_add_co_ci_u32_e32 v63, vcc_lo, 0, v63, vcc_lo
	s_delay_alu instid0(VALU_DEP_1) | instskip(NEXT) | instid1(VALU_DEP_1)
	v_add_nc_u64_e32 v[54:55], v[64:65], v[62:63]
	v_mul_u64_e32 v[58:59], s[28:29], v[54:55]
	s_delay_alu instid0(VALU_DEP_1) | instskip(SKIP_1) | instid1(VALU_DEP_3)
	v_sub_co_u32 v3, vcc_lo, v56, v58
	v_add_nc_u64_e32 v[56:57], 2, v[54:55]
	v_sub_nc_u32_e32 v1, v60, v59
	v_sub_co_ci_u32_e64 v7, null, v60, v59, vcc_lo
	s_delay_alu instid0(VALU_DEP_4) | instskip(NEXT) | instid1(VALU_DEP_3)
	v_sub_co_u32 v5, s0, v3, s28
	v_subrev_co_ci_u32_e64 v1, null, s29, v1, vcc_lo
	v_add_nc_u64_e32 v[58:59], 1, v[54:55]
	s_delay_alu instid0(VALU_DEP_3) | instskip(NEXT) | instid1(VALU_DEP_3)
	v_cmp_le_u32_e32 vcc_lo, s28, v5
	v_subrev_co_ci_u32_e64 v1, null, 0, v1, s0
	v_cndmask_b32_e64 v5, 0, -1, vcc_lo
	s_delay_alu instid0(VALU_DEP_2)
	v_cmp_le_u32_e32 vcc_lo, s29, v1
	v_cndmask_b32_e64 v11, 0, -1, vcc_lo
	v_cmp_le_u32_e32 vcc_lo, s28, v3
	v_cndmask_b32_e64 v3, 0, -1, vcc_lo
	;; [unrolled: 2-line block ×3, first 2 shown]
	v_cmp_eq_u32_e32 vcc_lo, s29, v1
	v_cndmask_b32_e32 v1, v11, v5, vcc_lo
	v_cmp_eq_u32_e32 vcc_lo, s29, v7
	s_delay_alu instid0(VALU_DEP_4) | instskip(NEXT) | instid1(VALU_DEP_3)
	v_cndmask_b32_e32 v3, v15, v3, vcc_lo
	v_cmp_ne_u32_e32 vcc_lo, 0, v1
	s_delay_alu instid0(VALU_DEP_2) | instskip(SKIP_1) | instid1(VALU_DEP_1)
	v_cmp_ne_u32_e64 s0, 0, v3
	v_dual_cndmask_b32 v3, v58, v56, vcc_lo :: v_dual_cndmask_b32 v1, v59, v57, vcc_lo
	v_dual_cndmask_b32 v3, v54, v3, s0 :: v_dual_cndmask_b32 v1, v55, v1, s0
	s_delay_alu instid0(VALU_DEP_1) | instskip(NEXT) | instid1(VALU_DEP_2)
	v_xor_b32_e32 v54, v3, v52
	v_xor_b32_e32 v55, v1, v52
	s_delay_alu instid0(VALU_DEP_1)
	v_sub_nc_u64_e32 v[52:53], v[54:55], v[52:53]
.LBB95_3580:                            ;   in Loop: Header=BB95_3578 Depth=1
	s_and_not1_saveexec_b32 s0, s42
	s_cbranch_execz .LBB95_3577
; %bb.3581:                             ;   in Loop: Header=BB95_3578 Depth=1
	v_cvt_f32_u32_e32 v1, s24
	s_sub_co_i32 s26, 0, s24
	v_mov_b32_e32 v53, v48
	s_delay_alu instid0(VALU_DEP_2) | instskip(SKIP_1) | instid1(TRANS32_DEP_1)
	v_rcp_iflag_f32_e32 v1, v1
	v_nop
	v_mul_f32_e32 v1, 0x4f7ffffe, v1
	s_delay_alu instid0(VALU_DEP_1) | instskip(NEXT) | instid1(VALU_DEP_1)
	v_cvt_u32_f32_e32 v1, v1
	v_mul_lo_u32 v3, s26, v1
	s_delay_alu instid0(VALU_DEP_1) | instskip(NEXT) | instid1(VALU_DEP_1)
	v_mul_hi_u32 v3, v1, v3
	v_add_nc_u32_e32 v1, v1, v3
	s_delay_alu instid0(VALU_DEP_1) | instskip(NEXT) | instid1(VALU_DEP_1)
	v_mul_hi_u32 v1, v50, v1
	v_mul_lo_u32 v3, v1, s24
	s_delay_alu instid0(VALU_DEP_1) | instskip(NEXT) | instid1(VALU_DEP_1)
	v_sub_nc_u32_e32 v3, v50, v3
	v_subrev_nc_u32_e32 v7, s24, v3
	v_cmp_le_u32_e32 vcc_lo, s24, v3
	s_delay_alu instid0(VALU_DEP_2) | instskip(NEXT) | instid1(VALU_DEP_1)
	v_dual_add_nc_u32 v5, 1, v1 :: v_dual_cndmask_b32 v3, v3, v7, vcc_lo
	v_cndmask_b32_e32 v1, v1, v5, vcc_lo
	s_delay_alu instid0(VALU_DEP_2) | instskip(NEXT) | instid1(VALU_DEP_2)
	v_cmp_le_u32_e32 vcc_lo, s24, v3
	v_add_nc_u32_e32 v5, 1, v1
	s_delay_alu instid0(VALU_DEP_1)
	v_cndmask_b32_e32 v52, v1, v5, vcc_lo
	s_branch .LBB95_3577
.LBB95_3582:
	s_or_b32 exec_lo, exec_lo, s41
	s_load_b64 s[20:21], s[2:3], 0x318
	s_get_pc_i64 s[0:1]
	s_add_nc_u64 s[0:1], s[0:1], .str.9@rel64+4
	s_mov_b32 s22, -1
	s_cmp_lg_u64 s[0:1], 0
	s_mov_b32 s41, s39
	s_cselect_b32 s45, -1, 0
	s_mov_b32 s0, exec_lo
	v_cmpx_gt_i64_e64 v[44:45], v[46:47]
	s_cbranch_execz .LBB95_3589
; %bb.3583:
	v_lshlrev_b64_e32 v[42:43], 3, v[42:43]
	s_mov_b32 s9, 0
	s_xor_b32 s22, s45, -1
                                        ; implicit-def: $sgpr1
                                        ; implicit-def: $sgpr24
                                        ; implicit-def: $sgpr23
	s_delay_alu instid0(VALU_DEP_1) | instskip(SKIP_3) | instid1(VALU_DEP_2)
	v_lshl_add_u64 v[46:47], v[46:47], 3, v[42:43]
	s_wait_loadcnt 0x0
	s_wait_kmcnt 0x0
	v_add_nc_u64_e32 v[48:49], s[20:21], v[42:43]
	v_add_nc_u64_e32 v[46:47], s[20:21], v[46:47]
	s_delay_alu instid0(VALU_DEP_2) | instskip(NEXT) | instid1(VALU_DEP_2)
	v_lshl_add_u64 v[44:45], v[44:45], 3, v[48:49]
	v_add_nc_u64_e32 v[42:43], 8, v[46:47]
	s_branch .LBB95_3585
.LBB95_3584:                            ;   in Loop: Header=BB95_3585 Depth=1
	s_or_b32 exec_lo, exec_lo, s25
	s_xor_b32 s25, s23, -1
	s_and_b32 s26, exec_lo, s24
	s_delay_alu instid0(SALU_CYCLE_1) | instskip(SKIP_2) | instid1(SALU_CYCLE_1)
	s_or_b32 s9, s26, s9
	s_and_not1_b32 s1, s1, exec_lo
	s_and_b32 s25, s25, exec_lo
	s_or_b32 s1, s1, s25
	s_and_not1_b32 exec_lo, exec_lo, s9
	s_cbranch_execz .LBB95_3587
.LBB95_3585:                            ; =>This Inner Loop Header: Depth=1
	s_or_b32 s23, s23, exec_lo
	s_or_b32 s24, s24, exec_lo
	s_mov_b32 s25, exec_lo
	s_delay_alu instid0(VALU_DEP_1)
	v_cmpx_lt_u64_e64 v[42:43], v[44:45]
	s_cbranch_execz .LBB95_3584
; %bb.3586:                             ;   in Loop: Header=BB95_3585 Depth=1
	global_load_b128 v[46:49], v[42:43], off offset:-8
	s_wait_xcnt 0x0
	v_add_nc_u64_e32 v[42:43], 8, v[42:43]
	s_and_not1_b32 s24, s24, exec_lo
	s_and_not1_b32 s23, s23, exec_lo
	s_wait_loadcnt 0x0
	v_cmp_ge_i64_e32 vcc_lo, v[46:47], v[48:49]
	s_or_b32 s26, s22, vcc_lo
	s_delay_alu instid0(SALU_CYCLE_1) | instskip(NEXT) | instid1(SALU_CYCLE_1)
	s_and_b32 s26, s26, exec_lo
	s_or_b32 s24, s24, s26
	s_branch .LBB95_3584
.LBB95_3587:
	s_or_b32 exec_lo, exec_lo, s9
	s_mov_b32 s9, -1
	s_mov_b32 s22, s39
	s_and_saveexec_b32 s23, s1
	s_delay_alu instid0(SALU_CYCLE_1)
	s_xor_b32 s1, exec_lo, s23
	s_cbranch_execnz .LBB95_3693
.LBB95_3588:
	s_or_b32 exec_lo, exec_lo, s1
	s_delay_alu instid0(SALU_CYCLE_1) | instskip(SKIP_1) | instid1(SALU_CYCLE_1)
	s_and_not1_b32 s1, s39, exec_lo
	s_and_b32 s22, s22, exec_lo
	s_or_b32 s41, s1, s22
	s_or_not1_b32 s22, s9, exec_lo
.LBB95_3589:
	s_or_b32 exec_lo, exec_lo, s0
	s_mov_b32 s1, 0
	s_mov_b32 s9, 0
                                        ; implicit-def: $vgpr42_vgpr43
                                        ; implicit-def: $sgpr0
	s_and_saveexec_b32 s42, s22
	s_cbranch_execz .LBB95_4419
; %bb.3590:
	v_mov_b32_e32 v41, 0
	s_and_b32 s55, 0xffff, s30
	s_delay_alu instid0(SALU_CYCLE_1) | instskip(NEXT) | instid1(VALU_DEP_1)
	s_cmp_lt_i32 s55, 11
	v_add_nc_u64_e32 v[42:43], s[6:7], v[40:41]
	s_cbranch_scc1 .LBB95_3598
; %bb.3591:
	s_cmp_gt_i32 s55, 25
	s_cbranch_scc0 .LBB95_3600
; %bb.3592:
	s_cmp_gt_i32 s55, 28
	s_cbranch_scc0 .LBB95_3602
	;; [unrolled: 3-line block ×4, first 2 shown]
; %bb.3595:
	s_cmp_eq_u32 s55, 46
	s_mov_b32 s22, 0
	s_cbranch_scc0 .LBB95_3781
; %bb.3596:
	global_load_b32 v1, v[42:43], off
	s_mov_b32 s0, 0
	s_mov_b32 s9, -1
	s_wait_loadcnt 0x0
	v_lshlrev_b32_e32 v1, 16, v1
	s_delay_alu instid0(VALU_DEP_1) | instskip(NEXT) | instid1(VALU_DEP_1)
	v_trunc_f32_e32 v1, v1
	v_mul_f32_e64 v3, 0x2f800000, |v1|
	v_ashrrev_i32_e32 v40, 31, v1
	s_delay_alu instid0(VALU_DEP_2) | instskip(NEXT) | instid1(VALU_DEP_2)
	v_floor_f32_e32 v3, v3
	v_mov_b32_e32 v41, v40
	s_delay_alu instid0(VALU_DEP_2) | instskip(SKIP_1) | instid1(VALU_DEP_2)
	v_fma_f32 v5, 0xcf800000, v3, |v1|
	v_cvt_u32_f32_e32 v1, v3
	v_cvt_u32_f32_e32 v3, v5
	s_delay_alu instid0(VALU_DEP_2) | instskip(NEXT) | instid1(VALU_DEP_2)
	v_xor_b32_e32 v45, v1, v40
	v_xor_b32_e32 v44, v3, v40
	s_delay_alu instid0(VALU_DEP_1)
	v_sub_nc_u64_e32 v[40:41], v[44:45], v[40:41]
	s_branch .LBB95_3783
.LBB95_3597:
	s_or_b32 s33, s33, exec_lo
	s_trap 2
	s_cbranch_execz .LBB95_3472
	s_branch .LBB95_3473
.LBB95_3598:
	s_mov_b32 s0, -1
	s_mov_b32 s43, s41
                                        ; implicit-def: $vgpr40_vgpr41
	s_branch .LBB95_3845
.LBB95_3599:
	s_mov_b32 s55, -1
	s_mov_b32 s56, 0
	s_mov_b32 s43, s40
	s_branch .LBB95_3735
.LBB95_3600:
	s_mov_b32 s22, -1
	s_mov_b32 s0, 0
                                        ; implicit-def: $vgpr40_vgpr41
	s_branch .LBB95_3810
.LBB95_3601:
	s_mov_b32 s57, -1
	s_mov_b32 s56, 0
	s_mov_b32 s43, s40
	s_branch .LBB95_3715
.LBB95_3602:
	s_mov_b32 s22, -1
	s_mov_b32 s0, 0
                                        ; implicit-def: $vgpr40_vgpr41
	s_branch .LBB95_3793
.LBB95_3603:
	s_mov_b32 s57, -1
	s_mov_b32 s56, 0
	s_mov_b32 s43, s40
	s_branch .LBB95_3704
.LBB95_3604:
	s_mov_b32 s22, -1
	s_mov_b32 s0, 0
                                        ; implicit-def: $vgpr40_vgpr41
	s_branch .LBB95_3788
.LBB95_3605:
	s_mov_b32 s56, -1
	s_mov_b32 s55, 0
	s_mov_b32 s42, s64
.LBB95_3606:
	s_and_b32 vcc_lo, exec_lo, s56
	s_cbranch_vccz .LBB95_3609
; %bb.3607:
	s_cmp_eq_u32 s54, 44
	s_mov_b32 s42, -1
	s_cbranch_scc0 .LBB95_3609
; %bb.3608:
	s_wait_xcnt 0x0
	v_mov_b32_e32 v1, 0
	s_mov_b32 s55, -1
	s_mov_b32 s42, 0
	global_store_b8 v[2:3], v1, off
.LBB95_3609:
	s_mov_b32 s56, 0
.LBB95_3610:
	s_delay_alu instid0(SALU_CYCLE_1)
	s_and_b32 vcc_lo, exec_lo, s56
	s_cbranch_vccz .LBB95_3613
; %bb.3611:
	s_cmp_eq_u32 s54, 29
	s_mov_b32 s42, -1
	s_cbranch_scc0 .LBB95_3613
; %bb.3612:
	v_mov_b64_e32 v[4:5], 0
	s_mov_b32 s55, -1
	s_mov_b32 s42, 0
	global_store_b64 v[2:3], v[4:5], off
.LBB95_3613:
	s_mov_b64 s[74:75], s[6:7]
	s_mov_b32 s56, 0
	s_mov_b64 s[72:73], s[4:5]
.LBB95_3614:
	s_and_b32 vcc_lo, exec_lo, s56
	s_cbranch_vccz .LBB95_3624
; %bb.3615:
	s_cmp_lt_i32 s54, 27
	s_mov_b32 s55, -1
	s_cbranch_scc1 .LBB95_3621
; %bb.3616:
	s_mov_b64 s[4:5], s[72:73]
	s_mov_b64 s[6:7], s[74:75]
	s_cmp_gt_i32 s54, 27
	s_cbranch_scc0 .LBB95_3618
; %bb.3617:
	s_wait_xcnt 0x0
	v_mov_b32_e32 v1, 0
	s_mov_b32 s55, 0
	global_store_b32 v[2:3], v1, off
.LBB95_3618:
	s_and_not1_b32 vcc_lo, exec_lo, s55
	s_cbranch_vccnz .LBB95_3620
; %bb.3619:
	s_wait_xcnt 0x0
	v_mov_b32_e32 v1, 0
	global_store_b16 v[2:3], v1, off
.LBB95_3620:
	s_mov_b64 s[74:75], s[6:7]
	s_mov_b32 s55, 0
	s_mov_b64 s[72:73], s[4:5]
.LBB95_3621:
	s_and_not1_b32 vcc_lo, exec_lo, s55
	s_cbranch_vccnz .LBB95_3623
; %bb.3622:
	s_wait_xcnt 0x0
	v_mov_b32_e32 v1, 0
	global_store_b8 v[2:3], v1, off
.LBB95_3623:
	s_mov_b32 s55, -1
.LBB95_3624:
	s_mov_b32 s56, 0
.LBB95_3625:
	s_delay_alu instid0(SALU_CYCLE_1)
	s_and_b32 vcc_lo, exec_lo, s56
	s_cbranch_vccz .LBB95_3645
; %bb.3626:
	s_cmp_gt_i32 s54, 22
	s_mov_b32 s56, -1
	s_cbranch_scc0 .LBB95_3636
; %bb.3627:
	s_cmp_lt_i32 s54, 24
	s_mov_b32 s55, -1
	s_cbranch_scc1 .LBB95_3633
; %bb.3628:
	s_mov_b64 s[4:5], s[72:73]
	s_mov_b64 s[6:7], s[74:75]
	s_cmp_gt_i32 s54, 24
	s_cbranch_scc0 .LBB95_3630
; %bb.3629:
	s_wait_xcnt 0x0
	v_mov_b32_e32 v1, 0
	s_mov_b32 s55, 0
	global_store_b8 v[2:3], v1, off
.LBB95_3630:
	s_and_not1_b32 vcc_lo, exec_lo, s55
	s_cbranch_vccnz .LBB95_3632
; %bb.3631:
	s_wait_xcnt 0x0
	v_mov_b32_e32 v1, 0
	global_store_b8 v[2:3], v1, off
.LBB95_3632:
	s_mov_b64 s[74:75], s[6:7]
	s_mov_b32 s55, 0
	s_mov_b64 s[72:73], s[4:5]
.LBB95_3633:
	s_and_not1_b32 vcc_lo, exec_lo, s55
	s_cbranch_vccnz .LBB95_3635
; %bb.3634:
	s_wait_xcnt 0x0
	v_mov_b32_e32 v1, 0
	global_store_b8 v[2:3], v1, off
.LBB95_3635:
	s_mov_b32 s56, 0
	s_mov_b32 s55, -1
.LBB95_3636:
	s_and_not1_b32 vcc_lo, exec_lo, s56
	s_cbranch_vccnz .LBB95_3645
; %bb.3637:
	s_mov_b64 s[4:5], s[72:73]
	s_mov_b64 s[6:7], s[74:75]
	s_cmp_gt_i32 s54, 14
	s_mov_b32 s56, -1
	s_cbranch_scc0 .LBB95_3641
; %bb.3638:
	s_cmp_eq_u32 s54, 15
	s_mov_b32 s42, -1
	s_cbranch_scc0 .LBB95_3640
; %bb.3639:
	s_wait_xcnt 0x0
	v_mov_b32_e32 v1, 0
	s_mov_b32 s55, -1
	s_mov_b32 s42, 0
	global_store_b16 v[2:3], v1, off
.LBB95_3640:
	s_mov_b32 s56, 0
.LBB95_3641:
	s_delay_alu instid0(SALU_CYCLE_1)
	s_and_b32 vcc_lo, exec_lo, s56
	s_cbranch_vccz .LBB95_3644
; %bb.3642:
	s_cmp_eq_u32 s54, 11
	s_mov_b32 s42, -1
	s_cbranch_scc0 .LBB95_3644
; %bb.3643:
	s_wait_xcnt 0x0
	v_mov_b32_e32 v1, 0
	s_mov_b32 s55, -1
	s_mov_b32 s42, 0
	global_store_b8 v[2:3], v1, off
.LBB95_3644:
	s_mov_b64 s[74:75], s[6:7]
	s_mov_b64 s[72:73], s[4:5]
.LBB95_3645:
	s_mov_b32 s54, 0
.LBB95_3646:
	s_delay_alu instid0(SALU_CYCLE_1)
	s_and_b32 vcc_lo, exec_lo, s54
	s_cbranch_vccz .LBB95_3685
; %bb.3647:
	s_and_b32 s43, 0xffff, s43
	s_mov_b32 s54, -1
	s_cmp_lt_i32 s43, 5
	s_cbranch_scc1 .LBB95_3668
; %bb.3648:
	s_cmp_lt_i32 s43, 8
	s_cbranch_scc1 .LBB95_3658
; %bb.3649:
	;; [unrolled: 3-line block ×3, first 2 shown]
	s_mov_b64 s[4:5], s[72:73]
	s_mov_b64 s[6:7], s[74:75]
	s_cmp_gt_i32 s43, 9
	s_cbranch_scc0 .LBB95_3652
; %bb.3651:
	s_wait_xcnt 0x0
	v_mov_b32_e32 v4, 0
	s_mov_b32 s54, 0
	s_delay_alu instid0(VALU_DEP_1)
	v_dual_mov_b32 v5, v4 :: v_dual_mov_b32 v6, v4
	v_mov_b32_e32 v7, v4
	global_store_b128 v[2:3], v[4:7], off
.LBB95_3652:
	s_and_not1_b32 vcc_lo, exec_lo, s54
	s_cbranch_vccnz .LBB95_3654
; %bb.3653:
	s_wait_xcnt 0x0
	v_mov_b64_e32 v[4:5], 0
	global_store_b64 v[2:3], v[4:5], off
.LBB95_3654:
	s_mov_b64 s[74:75], s[6:7]
	s_mov_b32 s54, 0
	s_mov_b64 s[72:73], s[4:5]
.LBB95_3655:
	s_and_not1_b32 vcc_lo, exec_lo, s54
	s_cbranch_vccnz .LBB95_3657
; %bb.3656:
	s_wait_xcnt 0x0
	v_mov_b32_e32 v1, 0
	global_store_b32 v[2:3], v1, off
.LBB95_3657:
	s_mov_b32 s54, 0
.LBB95_3658:
	s_delay_alu instid0(SALU_CYCLE_1)
	s_and_not1_b32 vcc_lo, exec_lo, s54
	s_cbranch_vccnz .LBB95_3667
; %bb.3659:
	s_cmp_lt_i32 s43, 6
	s_mov_b32 s54, -1
	s_cbranch_scc1 .LBB95_3665
; %bb.3660:
	s_mov_b64 s[4:5], s[72:73]
	s_mov_b64 s[6:7], s[74:75]
	s_cmp_gt_i32 s43, 6
	s_cbranch_scc0 .LBB95_3662
; %bb.3661:
	s_wait_xcnt 0x0
	v_mov_b64_e32 v[4:5], 0
	s_mov_b32 s54, 0
	global_store_b64 v[2:3], v[4:5], off
.LBB95_3662:
	s_and_not1_b32 vcc_lo, exec_lo, s54
	s_cbranch_vccnz .LBB95_3664
; %bb.3663:
	s_wait_xcnt 0x0
	v_mov_b32_e32 v1, 0
	global_store_b32 v[2:3], v1, off
.LBB95_3664:
	s_mov_b64 s[74:75], s[6:7]
	s_mov_b32 s54, 0
	s_mov_b64 s[72:73], s[4:5]
.LBB95_3665:
	s_and_not1_b32 vcc_lo, exec_lo, s54
	s_cbranch_vccnz .LBB95_3667
; %bb.3666:
	s_wait_xcnt 0x0
	v_mov_b32_e32 v1, 0
	global_store_b16 v[2:3], v1, off
.LBB95_3667:
	s_mov_b32 s54, 0
.LBB95_3668:
	s_delay_alu instid0(SALU_CYCLE_1)
	s_and_not1_b32 vcc_lo, exec_lo, s54
	s_cbranch_vccnz .LBB95_3684
; %bb.3669:
	s_cmp_lt_i32 s43, 2
	s_mov_b32 s54, -1
	s_cbranch_scc1 .LBB95_3679
; %bb.3670:
	s_cmp_lt_i32 s43, 3
	s_cbranch_scc1 .LBB95_3676
; %bb.3671:
	s_mov_b64 s[4:5], s[72:73]
	s_mov_b64 s[6:7], s[74:75]
	s_cmp_gt_i32 s43, 3
	s_cbranch_scc0 .LBB95_3673
; %bb.3672:
	s_wait_xcnt 0x0
	v_mov_b64_e32 v[4:5], 0
	s_mov_b32 s54, 0
	global_store_b64 v[2:3], v[4:5], off
.LBB95_3673:
	s_and_not1_b32 vcc_lo, exec_lo, s54
	s_cbranch_vccnz .LBB95_3675
; %bb.3674:
	s_wait_xcnt 0x0
	v_mov_b32_e32 v1, 0
	global_store_b32 v[2:3], v1, off
.LBB95_3675:
	s_mov_b64 s[74:75], s[6:7]
	s_mov_b32 s54, 0
	s_mov_b64 s[72:73], s[4:5]
.LBB95_3676:
	s_and_not1_b32 vcc_lo, exec_lo, s54
	s_cbranch_vccnz .LBB95_3678
; %bb.3677:
	s_wait_xcnt 0x0
	v_mov_b32_e32 v1, 0
	global_store_b16 v[2:3], v1, off
.LBB95_3678:
	s_mov_b32 s54, 0
.LBB95_3679:
	s_delay_alu instid0(SALU_CYCLE_1)
	s_and_not1_b32 vcc_lo, exec_lo, s54
	s_cbranch_vccnz .LBB95_3684
; %bb.3680:
	s_cmp_gt_i32 s43, 0
	s_mov_b32 s43, -1
	s_cbranch_scc0 .LBB95_3682
; %bb.3681:
	s_wait_xcnt 0x0
	v_mov_b32_e32 v1, 0
	s_mov_b32 s43, 0
	global_store_b8 v[2:3], v1, off
.LBB95_3682:
	s_and_not1_b32 vcc_lo, exec_lo, s43
	s_cbranch_vccnz .LBB95_3684
; %bb.3683:
	s_wait_xcnt 0x0
	v_mov_b32_e32 v1, 0
	global_store_b8 v[2:3], v1, off
.LBB95_3684:
	s_mov_b32 s55, -1
.LBB95_3685:
	s_delay_alu instid0(SALU_CYCLE_1)
	s_and_not1_b32 vcc_lo, exec_lo, s55
	s_cbranch_vccnz .LBB95_3687
; %bb.3686:
	v_add_nc_u32_e32 v0, 0x80, v0
	s_mov_b32 s43, -1
	s_branch .LBB95_3688
.LBB95_3687:
	s_mov_b32 s43, 0
                                        ; implicit-def: $vgpr0
.LBB95_3688:
	s_and_not1_b32 s20, s64, exec_lo
	s_and_b32 s21, s42, exec_lo
	s_and_not1_b32 s0, s0, exec_lo
	s_or_b32 s42, s20, s21
	s_and_b32 s43, s43, exec_lo
.LBB95_3689:
	s_wait_xcnt 0x0
	s_or_b32 exec_lo, exec_lo, s35
	s_delay_alu instid0(SALU_CYCLE_1)
	s_and_not1_b32 s20, s64, exec_lo
	s_and_b32 s21, s42, exec_lo
	s_and_not1_b32 s22, s65, exec_lo
	s_and_b32 s0, s0, exec_lo
	s_or_b32 s54, s20, s21
	s_or_b32 s0, s22, s0
	s_xor_b32 s42, exec_lo, -1
	s_and_b32 s35, s43, exec_lo
.LBB95_3690:
	s_or_b32 exec_lo, exec_lo, s41
	s_delay_alu instid0(SALU_CYCLE_1)
	s_and_not1_b32 s20, s64, exec_lo
	s_and_b32 s21, s54, exec_lo
	s_and_b32 s0, s0, exec_lo
	s_or_b32 s43, s20, s21
	s_and_not1_b32 s20, s65, exec_lo
	s_and_not1_b32 s21, s39, exec_lo
	s_and_b32 s22, s42, exec_lo
	s_or_b32 s54, s20, s0
	s_or_b32 s42, s21, s22
	s_xor_b32 s41, exec_lo, -1
	s_and_b32 s0, s35, exec_lo
.LBB95_3691:
	s_or_b32 exec_lo, exec_lo, s40
	s_delay_alu instid0(SALU_CYCLE_1)
	s_and_not1_b32 s20, s64, exec_lo
	s_and_b32 s21, s43, exec_lo
	s_and_not1_b32 s22, s65, exec_lo
	s_and_b32 s23, s54, exec_lo
	s_or_b32 s35, s20, s21
	s_or_b32 s40, s22, s23
	s_and_not1_b32 s20, s39, exec_lo
	s_and_b32 s21, s42, exec_lo
	s_and_not1_b32 s22, s80, exec_lo
	s_and_b32 s23, s41, exec_lo
	s_or_b32 s41, s20, s21
	s_or_b32 s43, s22, s23
	s_xor_b32 s42, exec_lo, -1
	s_and_b32 s0, s0, exec_lo
	s_or_b32 exec_lo, exec_lo, s93
	s_branch .LBB95_1325
.LBB95_3692:
	s_mov_b32 s57, -1
	s_mov_b32 s56, 0
	s_mov_b32 s43, s40
	s_branch .LBB95_3700
.LBB95_3693:
	s_or_b32 s22, s39, exec_lo
	s_xor_b32 s9, exec_lo, -1
	s_trap 2
	s_branch .LBB95_3588
.LBB95_3694:
	s_mov_b32 s22, -1
	s_mov_b32 s0, 0
	s_branch .LBB95_3782
.LBB95_3695:
	s_mov_b32 s57, -1
	s_mov_b32 s56, 0
	s_mov_b32 s43, s40
.LBB95_3696:
	s_and_b32 vcc_lo, exec_lo, s57
	s_cbranch_vccz .LBB95_3699
; %bb.3697:
	s_cmp_eq_u32 s55, 44
	s_mov_b32 s43, -1
	s_cbranch_scc0 .LBB95_3699
; %bb.3698:
	s_wait_xcnt 0x0
	v_mov_b32_e32 v1, 0
	s_mov_b32 s56, -1
	s_mov_b32 s43, 0
	global_store_b8 v[2:3], v1, off
.LBB95_3699:
	s_mov_b32 s57, 0
.LBB95_3700:
	s_delay_alu instid0(SALU_CYCLE_1)
	s_and_b32 vcc_lo, exec_lo, s57
	s_cbranch_vccz .LBB95_3703
; %bb.3701:
	s_cmp_eq_u32 s55, 29
	s_mov_b32 s43, -1
	s_cbranch_scc0 .LBB95_3703
; %bb.3702:
	v_mov_b64_e32 v[4:5], 0
	s_mov_b32 s56, -1
	s_mov_b32 s43, 0
	s_mov_b32 s57, 0
	global_store_b64 v[2:3], v[4:5], off
	s_branch .LBB95_3704
.LBB95_3703:
	s_mov_b32 s57, 0
.LBB95_3704:
	s_delay_alu instid0(SALU_CYCLE_1)
	s_and_b32 vcc_lo, exec_lo, s57
	s_cbranch_vccz .LBB95_3714
; %bb.3705:
	s_cmp_lt_i32 s55, 27
	s_mov_b32 s56, -1
	s_cbranch_scc1 .LBB95_3711
; %bb.3706:
	s_cmp_gt_i32 s55, 27
	s_cbranch_scc0 .LBB95_3708
; %bb.3707:
	s_wait_xcnt 0x0
	v_mov_b32_e32 v1, 0
	s_mov_b32 s56, 0
	global_store_b32 v[2:3], v1, off
.LBB95_3708:
	s_and_not1_b32 vcc_lo, exec_lo, s56
	s_cbranch_vccnz .LBB95_3710
; %bb.3709:
	s_wait_xcnt 0x0
	v_mov_b32_e32 v1, 0
	global_store_b16 v[2:3], v1, off
.LBB95_3710:
	s_mov_b32 s56, 0
.LBB95_3711:
	s_delay_alu instid0(SALU_CYCLE_1)
	s_and_not1_b32 vcc_lo, exec_lo, s56
	s_cbranch_vccnz .LBB95_3713
; %bb.3712:
	s_wait_xcnt 0x0
	v_mov_b32_e32 v1, 0
	global_store_b8 v[2:3], v1, off
.LBB95_3713:
	s_mov_b32 s56, -1
.LBB95_3714:
	s_mov_b32 s57, 0
.LBB95_3715:
	s_delay_alu instid0(SALU_CYCLE_1)
	s_and_b32 vcc_lo, exec_lo, s57
	s_cbranch_vccz .LBB95_3734
; %bb.3716:
	s_cmp_gt_i32 s55, 22
	s_mov_b32 s57, -1
	s_cbranch_scc0 .LBB95_3726
; %bb.3717:
	s_cmp_lt_i32 s55, 24
	s_mov_b32 s56, -1
	s_cbranch_scc1 .LBB95_3723
; %bb.3718:
	s_cmp_gt_i32 s55, 24
	s_cbranch_scc0 .LBB95_3720
; %bb.3719:
	s_wait_xcnt 0x0
	v_mov_b32_e32 v1, 0
	s_mov_b32 s56, 0
	global_store_b8 v[2:3], v1, off
.LBB95_3720:
	s_and_not1_b32 vcc_lo, exec_lo, s56
	s_cbranch_vccnz .LBB95_3722
; %bb.3721:
	s_wait_xcnt 0x0
	v_mov_b32_e32 v1, 0
	global_store_b8 v[2:3], v1, off
.LBB95_3722:
	s_mov_b32 s56, 0
.LBB95_3723:
	s_delay_alu instid0(SALU_CYCLE_1)
	s_and_not1_b32 vcc_lo, exec_lo, s56
	s_cbranch_vccnz .LBB95_3725
; %bb.3724:
	s_wait_xcnt 0x0
	v_mov_b32_e32 v1, 0
	global_store_b8 v[2:3], v1, off
.LBB95_3725:
	s_mov_b32 s57, 0
	s_mov_b32 s56, -1
.LBB95_3726:
	s_and_not1_b32 vcc_lo, exec_lo, s57
	s_cbranch_vccnz .LBB95_3734
; %bb.3727:
	s_cmp_gt_i32 s55, 14
	s_mov_b32 s57, -1
	s_cbranch_scc0 .LBB95_3731
; %bb.3728:
	s_cmp_eq_u32 s55, 15
	s_mov_b32 s43, -1
	s_cbranch_scc0 .LBB95_3730
; %bb.3729:
	s_wait_xcnt 0x0
	v_mov_b32_e32 v1, 0
	s_mov_b32 s56, -1
	s_mov_b32 s43, 0
	global_store_b16 v[2:3], v1, off
.LBB95_3730:
	s_mov_b32 s57, 0
.LBB95_3731:
	s_delay_alu instid0(SALU_CYCLE_1)
	s_and_b32 vcc_lo, exec_lo, s57
	s_cbranch_vccz .LBB95_3734
; %bb.3732:
	s_cmp_eq_u32 s55, 11
	s_mov_b32 s43, -1
	s_cbranch_scc0 .LBB95_3734
; %bb.3733:
	s_wait_xcnt 0x0
	v_mov_b32_e32 v1, 0
	s_mov_b32 s56, -1
	s_mov_b32 s43, 0
	global_store_b8 v[2:3], v1, off
.LBB95_3734:
	s_mov_b32 s55, 0
.LBB95_3735:
	s_delay_alu instid0(SALU_CYCLE_1)
	s_and_b32 vcc_lo, exec_lo, s55
	s_cbranch_vccz .LBB95_3774
; %bb.3736:
	s_and_b32 s54, 0xffff, s54
	s_mov_b32 s55, -1
	s_cmp_lt_i32 s54, 5
	s_cbranch_scc1 .LBB95_3757
; %bb.3737:
	s_cmp_lt_i32 s54, 8
	s_cbranch_scc1 .LBB95_3747
; %bb.3738:
	;; [unrolled: 3-line block ×3, first 2 shown]
	s_cmp_gt_i32 s54, 9
	s_cbranch_scc0 .LBB95_3741
; %bb.3740:
	s_wait_xcnt 0x0
	v_mov_b32_e32 v4, 0
	s_mov_b32 s55, 0
	s_delay_alu instid0(VALU_DEP_1)
	v_dual_mov_b32 v5, v4 :: v_dual_mov_b32 v6, v4
	v_mov_b32_e32 v7, v4
	global_store_b128 v[2:3], v[4:7], off
.LBB95_3741:
	s_and_not1_b32 vcc_lo, exec_lo, s55
	s_cbranch_vccnz .LBB95_3743
; %bb.3742:
	s_wait_xcnt 0x0
	v_mov_b64_e32 v[4:5], 0
	global_store_b64 v[2:3], v[4:5], off
.LBB95_3743:
	s_mov_b32 s55, 0
.LBB95_3744:
	s_delay_alu instid0(SALU_CYCLE_1)
	s_and_not1_b32 vcc_lo, exec_lo, s55
	s_cbranch_vccnz .LBB95_3746
; %bb.3745:
	s_wait_xcnt 0x0
	v_mov_b32_e32 v1, 0
	global_store_b32 v[2:3], v1, off
.LBB95_3746:
	s_mov_b32 s55, 0
.LBB95_3747:
	s_delay_alu instid0(SALU_CYCLE_1)
	s_and_not1_b32 vcc_lo, exec_lo, s55
	s_cbranch_vccnz .LBB95_3756
; %bb.3748:
	s_cmp_lt_i32 s54, 6
	s_mov_b32 s55, -1
	s_cbranch_scc1 .LBB95_3754
; %bb.3749:
	s_cmp_gt_i32 s54, 6
	s_cbranch_scc0 .LBB95_3751
; %bb.3750:
	s_wait_xcnt 0x0
	v_mov_b64_e32 v[4:5], 0
	s_mov_b32 s55, 0
	global_store_b64 v[2:3], v[4:5], off
.LBB95_3751:
	s_and_not1_b32 vcc_lo, exec_lo, s55
	s_cbranch_vccnz .LBB95_3753
; %bb.3752:
	s_wait_xcnt 0x0
	v_mov_b32_e32 v1, 0
	global_store_b32 v[2:3], v1, off
.LBB95_3753:
	s_mov_b32 s55, 0
.LBB95_3754:
	s_delay_alu instid0(SALU_CYCLE_1)
	s_and_not1_b32 vcc_lo, exec_lo, s55
	s_cbranch_vccnz .LBB95_3756
; %bb.3755:
	s_wait_xcnt 0x0
	v_mov_b32_e32 v1, 0
	global_store_b16 v[2:3], v1, off
.LBB95_3756:
	s_mov_b32 s55, 0
.LBB95_3757:
	s_delay_alu instid0(SALU_CYCLE_1)
	s_and_not1_b32 vcc_lo, exec_lo, s55
	s_cbranch_vccnz .LBB95_3773
; %bb.3758:
	s_cmp_lt_i32 s54, 2
	s_mov_b32 s55, -1
	s_cbranch_scc1 .LBB95_3768
; %bb.3759:
	s_cmp_lt_i32 s54, 3
	s_cbranch_scc1 .LBB95_3765
; %bb.3760:
	s_cmp_gt_i32 s54, 3
	s_cbranch_scc0 .LBB95_3762
; %bb.3761:
	s_wait_xcnt 0x0
	v_mov_b64_e32 v[4:5], 0
	s_mov_b32 s55, 0
	global_store_b64 v[2:3], v[4:5], off
.LBB95_3762:
	s_and_not1_b32 vcc_lo, exec_lo, s55
	s_cbranch_vccnz .LBB95_3764
; %bb.3763:
	s_wait_xcnt 0x0
	v_mov_b32_e32 v1, 0
	global_store_b32 v[2:3], v1, off
.LBB95_3764:
	s_mov_b32 s55, 0
.LBB95_3765:
	s_delay_alu instid0(SALU_CYCLE_1)
	s_and_not1_b32 vcc_lo, exec_lo, s55
	s_cbranch_vccnz .LBB95_3767
; %bb.3766:
	s_wait_xcnt 0x0
	v_mov_b32_e32 v1, 0
	global_store_b16 v[2:3], v1, off
.LBB95_3767:
	s_mov_b32 s55, 0
.LBB95_3768:
	s_delay_alu instid0(SALU_CYCLE_1)
	s_and_not1_b32 vcc_lo, exec_lo, s55
	s_cbranch_vccnz .LBB95_3773
; %bb.3769:
	s_cmp_gt_i32 s54, 0
	s_mov_b32 s54, -1
	s_cbranch_scc0 .LBB95_3771
; %bb.3770:
	s_wait_xcnt 0x0
	v_mov_b32_e32 v1, 0
	s_mov_b32 s54, 0
	global_store_b8 v[2:3], v1, off
.LBB95_3771:
	s_and_not1_b32 vcc_lo, exec_lo, s54
	s_cbranch_vccnz .LBB95_3773
; %bb.3772:
	s_wait_xcnt 0x0
	v_mov_b32_e32 v1, 0
	global_store_b8 v[2:3], v1, off
.LBB95_3773:
	s_mov_b32 s56, -1
.LBB95_3774:
	s_delay_alu instid0(SALU_CYCLE_1)
	s_and_not1_b32 vcc_lo, exec_lo, s56
	s_cbranch_vccnz .LBB95_3776
; %bb.3775:
	v_add_nc_u32_e32 v0, 0x80, v0
	s_mov_b32 s54, -1
	s_branch .LBB95_3777
.LBB95_3776:
	s_mov_b32 s54, 0
                                        ; implicit-def: $vgpr0
.LBB95_3777:
	s_and_not1_b32 s21, s40, exec_lo
	s_and_b32 s22, s43, exec_lo
	s_and_not1_b32 s0, s0, exec_lo
	s_or_b32 s43, s21, s22
	s_and_b32 s54, s54, exec_lo
.LBB95_3778:
	s_wait_xcnt 0x0
	s_or_b32 exec_lo, exec_lo, s35
	s_delay_alu instid0(SALU_CYCLE_1)
	s_and_not1_b32 s21, s40, exec_lo
	s_and_b32 s22, s43, exec_lo
	s_and_not1_b32 s23, s96, exec_lo
	s_and_b32 s0, s0, exec_lo
	s_or_b32 s55, s21, s22
	s_or_b32 s0, s23, s0
	s_xor_b32 s43, exec_lo, -1
	s_and_b32 s35, s54, exec_lo
.LBB95_3779:
	s_or_b32 exec_lo, exec_lo, s42
	s_delay_alu instid0(SALU_CYCLE_1)
	s_and_not1_b32 s21, s40, exec_lo
	s_and_b32 s22, s55, exec_lo
	s_and_b32 s0, s0, exec_lo
	s_or_b32 s54, s21, s22
	s_and_not1_b32 s21, s96, exec_lo
	s_and_not1_b32 s22, s79, exec_lo
	s_and_b32 s23, s43, exec_lo
	s_or_b32 s55, s21, s0
	s_or_b32 s43, s22, s23
	s_xor_b32 s42, exec_lo, -1
	s_and_b32 s0, s35, exec_lo
.LBB95_3780:
	s_or_b32 exec_lo, exec_lo, s41
	s_delay_alu instid0(SALU_CYCLE_1)
	s_and_not1_b32 s21, s40, exec_lo
	s_and_b32 s22, s54, exec_lo
	s_and_not1_b32 s23, s96, exec_lo
	s_and_b32 s24, s55, exec_lo
	s_or_b32 s35, s21, s22
	s_or_b32 s41, s23, s24
	s_and_not1_b32 s21, s79, exec_lo
	s_and_b32 s22, s43, exec_lo
	s_and_not1_b32 s23, s93, exec_lo
	s_and_b32 s24, s42, exec_lo
	s_or_b32 s42, s21, s22
	s_or_b32 s54, s23, s24
	s_xor_b32 s43, exec_lo, -1
	s_and_b32 s0, s0, exec_lo
	s_or_b32 exec_lo, exec_lo, s95
	s_branch .LBB95_2086
.LBB95_3781:
	s_mov_b32 s0, -1
.LBB95_3782:
                                        ; implicit-def: $vgpr40_vgpr41
.LBB95_3783:
	s_and_b32 vcc_lo, exec_lo, s22
	s_cbranch_vccz .LBB95_3787
; %bb.3784:
	s_cmp_eq_u32 s55, 44
	s_cbranch_scc0 .LBB95_3786
; %bb.3785:
	global_load_u8 v1, v[42:43], off
	s_mov_b32 s0, 0
	s_mov_b32 s9, -1
	s_wait_loadcnt 0x0
	v_lshlrev_b32_e32 v3, 23, v1
	v_cmp_ne_u32_e32 vcc_lo, 0, v1
	s_delay_alu instid0(VALU_DEP_2) | instskip(NEXT) | instid1(VALU_DEP_1)
	v_trunc_f32_e32 v3, v3
	v_mul_f32_e64 v5, 0x2f800000, |v3|
	v_ashrrev_i32_e32 v40, 31, v3
	s_delay_alu instid0(VALU_DEP_2) | instskip(NEXT) | instid1(VALU_DEP_2)
	v_floor_f32_e32 v5, v5
	v_mov_b32_e32 v41, v40
	s_delay_alu instid0(VALU_DEP_2) | instskip(SKIP_1) | instid1(VALU_DEP_2)
	v_fma_f32 v7, 0xcf800000, v5, |v3|
	v_cvt_u32_f32_e32 v3, v5
	v_cvt_u32_f32_e32 v5, v7
	s_delay_alu instid0(VALU_DEP_2) | instskip(NEXT) | instid1(VALU_DEP_2)
	v_xor_b32_e32 v45, v3, v40
	v_xor_b32_e32 v44, v5, v40
	s_delay_alu instid0(VALU_DEP_1) | instskip(NEXT) | instid1(VALU_DEP_1)
	v_sub_nc_u64_e32 v[40:41], v[44:45], v[40:41]
	v_dual_cndmask_b32 v41, 0, v41 :: v_dual_cndmask_b32 v40, 0, v40
	s_branch .LBB95_3787
.LBB95_3786:
	s_mov_b32 s0, -1
                                        ; implicit-def: $vgpr40_vgpr41
.LBB95_3787:
	s_mov_b32 s22, 0
.LBB95_3788:
	s_delay_alu instid0(SALU_CYCLE_1)
	s_and_b32 vcc_lo, exec_lo, s22
	s_cbranch_vccz .LBB95_3792
; %bb.3789:
	s_cmp_eq_u32 s55, 29
	s_cbranch_scc0 .LBB95_3791
; %bb.3790:
	global_load_b64 v[40:41], v[42:43], off
	s_mov_b32 s0, 0
	s_mov_b32 s9, -1
	s_branch .LBB95_3792
.LBB95_3791:
	s_mov_b32 s0, -1
                                        ; implicit-def: $vgpr40_vgpr41
.LBB95_3792:
	s_mov_b32 s22, 0
.LBB95_3793:
	s_delay_alu instid0(SALU_CYCLE_1)
	s_and_b32 vcc_lo, exec_lo, s22
	s_cbranch_vccz .LBB95_3809
; %bb.3794:
	s_cmp_lt_i32 s55, 27
	s_cbranch_scc1 .LBB95_3797
; %bb.3795:
	s_cmp_gt_i32 s55, 27
	s_cbranch_scc0 .LBB95_3798
; %bb.3796:
	s_wait_loadcnt 0x0
	global_load_b32 v40, v[42:43], off
	v_mov_b32_e32 v41, 0
	s_mov_b32 s9, 0
	s_branch .LBB95_3799
.LBB95_3797:
	s_mov_b32 s9, -1
                                        ; implicit-def: $vgpr40_vgpr41
	s_branch .LBB95_3802
.LBB95_3798:
	s_mov_b32 s9, -1
                                        ; implicit-def: $vgpr40_vgpr41
.LBB95_3799:
	s_delay_alu instid0(SALU_CYCLE_1)
	s_and_not1_b32 vcc_lo, exec_lo, s9
	s_cbranch_vccnz .LBB95_3801
; %bb.3800:
	global_load_u16 v1, v[42:43], off
	s_mov_b32 s9, 0
	s_wait_loadcnt 0x1
	v_mov_b32_e32 v41, s9
	s_wait_loadcnt 0x0
	v_and_b32_e32 v40, 0xffff, v1
.LBB95_3801:
	s_mov_b32 s9, 0
.LBB95_3802:
	s_delay_alu instid0(SALU_CYCLE_1)
	s_and_not1_b32 vcc_lo, exec_lo, s9
	s_cbranch_vccnz .LBB95_3808
; %bb.3803:
	global_load_u8 v1, v[42:43], off
	s_mov_b32 s22, 0
	s_mov_b32 s9, exec_lo
	s_wait_loadcnt 0x0
	v_cmpx_lt_i16_e32 0x7f, v1
	s_xor_b32 s9, exec_lo, s9
	s_cbranch_execz .LBB95_3820
; %bb.3804:
	v_cmp_ne_u16_e32 vcc_lo, 0x80, v1
	s_and_b32 s22, vcc_lo, exec_lo
	s_and_not1_saveexec_b32 s9, s9
	s_cbranch_execnz .LBB95_3821
.LBB95_3805:
	s_or_b32 exec_lo, exec_lo, s9
	v_mov_b64_e32 v[40:41], 0
	s_and_saveexec_b32 s9, s22
	s_cbranch_execz .LBB95_3807
.LBB95_3806:
	v_and_b32_e32 v3, 0xffff, v1
	s_delay_alu instid0(VALU_DEP_1) | instskip(SKIP_1) | instid1(VALU_DEP_2)
	v_dual_lshlrev_b32 v1, 24, v1 :: v_dual_bitop2_b32 v5, 7, v3 bitop3:0x40
	v_bfe_u32 v15, v3, 3, 4
	v_and_b32_e32 v1, 0x80000000, v1
	s_delay_alu instid0(VALU_DEP_3) | instskip(NEXT) | instid1(VALU_DEP_3)
	v_clz_i32_u32_e32 v7, v5
	v_cmp_eq_u32_e32 vcc_lo, 0, v15
	s_delay_alu instid0(VALU_DEP_2) | instskip(NEXT) | instid1(VALU_DEP_1)
	v_min_u32_e32 v7, 32, v7
	v_subrev_nc_u32_e32 v11, 28, v7
	v_sub_nc_u32_e32 v7, 29, v7
	s_delay_alu instid0(VALU_DEP_2) | instskip(NEXT) | instid1(VALU_DEP_2)
	v_lshlrev_b32_e32 v3, v11, v3
	v_cndmask_b32_e32 v7, v15, v7, vcc_lo
	s_delay_alu instid0(VALU_DEP_2) | instskip(NEXT) | instid1(VALU_DEP_1)
	v_and_b32_e32 v3, 7, v3
	v_cndmask_b32_e32 v3, v5, v3, vcc_lo
	s_delay_alu instid0(VALU_DEP_3) | instskip(NEXT) | instid1(VALU_DEP_2)
	v_lshl_add_u32 v5, v7, 23, 0x3b800000
	v_lshlrev_b32_e32 v3, 20, v3
	s_delay_alu instid0(VALU_DEP_1) | instskip(NEXT) | instid1(VALU_DEP_1)
	v_or3_b32 v1, v1, v5, v3
	v_trunc_f32_e32 v1, v1
	s_delay_alu instid0(VALU_DEP_1) | instskip(SKIP_1) | instid1(VALU_DEP_2)
	v_mul_f32_e64 v3, 0x2f800000, |v1|
	v_ashrrev_i32_e32 v40, 31, v1
	v_floor_f32_e32 v3, v3
	s_delay_alu instid0(VALU_DEP_2) | instskip(NEXT) | instid1(VALU_DEP_2)
	v_mov_b32_e32 v41, v40
	v_fma_f32 v5, 0xcf800000, v3, |v1|
	v_cvt_u32_f32_e32 v1, v3
	s_delay_alu instid0(VALU_DEP_2) | instskip(NEXT) | instid1(VALU_DEP_2)
	v_cvt_u32_f32_e32 v3, v5
	v_xor_b32_e32 v45, v1, v40
	s_delay_alu instid0(VALU_DEP_2) | instskip(NEXT) | instid1(VALU_DEP_1)
	v_xor_b32_e32 v44, v3, v40
	v_sub_nc_u64_e32 v[40:41], v[44:45], v[40:41]
.LBB95_3807:
	s_or_b32 exec_lo, exec_lo, s9
.LBB95_3808:
	s_mov_b32 s9, -1
.LBB95_3809:
	s_mov_b32 s22, 0
.LBB95_3810:
	s_delay_alu instid0(SALU_CYCLE_1)
	s_and_b32 vcc_lo, exec_lo, s22
	s_cbranch_vccz .LBB95_3841
; %bb.3811:
	s_cmp_gt_i32 s55, 22
	s_cbranch_scc0 .LBB95_3819
; %bb.3812:
	s_cmp_lt_i32 s55, 24
	s_cbranch_scc1 .LBB95_3822
; %bb.3813:
	s_cmp_gt_i32 s55, 24
	s_cbranch_scc0 .LBB95_3823
; %bb.3814:
	global_load_u8 v1, v[42:43], off
	s_mov_b32 s9, 0
	s_mov_b32 s1, exec_lo
	s_wait_loadcnt 0x0
	v_cmpx_lt_i16_e32 0x7f, v1
	s_xor_b32 s1, exec_lo, s1
	s_cbranch_execz .LBB95_3835
; %bb.3815:
	v_cmp_ne_u16_e32 vcc_lo, 0x80, v1
	s_and_b32 s9, vcc_lo, exec_lo
	s_and_not1_saveexec_b32 s1, s1
	s_cbranch_execnz .LBB95_3836
.LBB95_3816:
	s_or_b32 exec_lo, exec_lo, s1
	v_mov_b64_e32 v[40:41], 0
	s_and_saveexec_b32 s1, s9
	s_cbranch_execz .LBB95_3818
.LBB95_3817:
	v_and_b32_e32 v3, 0xffff, v1
	s_delay_alu instid0(VALU_DEP_1) | instskip(SKIP_1) | instid1(VALU_DEP_2)
	v_dual_lshlrev_b32 v1, 24, v1 :: v_dual_bitop2_b32 v5, 3, v3 bitop3:0x40
	v_bfe_u32 v15, v3, 2, 5
	v_and_b32_e32 v1, 0x80000000, v1
	s_delay_alu instid0(VALU_DEP_3) | instskip(NEXT) | instid1(VALU_DEP_3)
	v_clz_i32_u32_e32 v7, v5
	v_cmp_eq_u32_e32 vcc_lo, 0, v15
	s_delay_alu instid0(VALU_DEP_2) | instskip(NEXT) | instid1(VALU_DEP_1)
	v_min_u32_e32 v7, 32, v7
	v_subrev_nc_u32_e32 v11, 29, v7
	v_sub_nc_u32_e32 v7, 30, v7
	s_delay_alu instid0(VALU_DEP_2) | instskip(NEXT) | instid1(VALU_DEP_2)
	v_lshlrev_b32_e32 v3, v11, v3
	v_cndmask_b32_e32 v7, v15, v7, vcc_lo
	s_delay_alu instid0(VALU_DEP_2) | instskip(NEXT) | instid1(VALU_DEP_1)
	v_and_b32_e32 v3, 3, v3
	v_cndmask_b32_e32 v3, v5, v3, vcc_lo
	s_delay_alu instid0(VALU_DEP_3) | instskip(NEXT) | instid1(VALU_DEP_2)
	v_lshl_add_u32 v5, v7, 23, 0x37800000
	v_lshlrev_b32_e32 v3, 21, v3
	s_delay_alu instid0(VALU_DEP_1) | instskip(NEXT) | instid1(VALU_DEP_1)
	v_or3_b32 v1, v1, v5, v3
	v_trunc_f32_e32 v1, v1
	s_delay_alu instid0(VALU_DEP_1) | instskip(SKIP_1) | instid1(VALU_DEP_2)
	v_mul_f32_e64 v3, 0x2f800000, |v1|
	v_ashrrev_i32_e32 v40, 31, v1
	v_floor_f32_e32 v3, v3
	s_delay_alu instid0(VALU_DEP_2) | instskip(NEXT) | instid1(VALU_DEP_2)
	v_mov_b32_e32 v41, v40
	v_fma_f32 v5, 0xcf800000, v3, |v1|
	v_cvt_u32_f32_e32 v1, v3
	s_delay_alu instid0(VALU_DEP_2) | instskip(NEXT) | instid1(VALU_DEP_2)
	v_cvt_u32_f32_e32 v3, v5
	v_xor_b32_e32 v45, v1, v40
	s_delay_alu instid0(VALU_DEP_2) | instskip(NEXT) | instid1(VALU_DEP_1)
	v_xor_b32_e32 v44, v3, v40
	v_sub_nc_u64_e32 v[40:41], v[44:45], v[40:41]
.LBB95_3818:
	s_or_b32 exec_lo, exec_lo, s1
	s_mov_b32 s1, 0
	s_branch .LBB95_3824
.LBB95_3819:
	s_mov_b32 s1, -1
                                        ; implicit-def: $vgpr40_vgpr41
	s_branch .LBB95_3830
.LBB95_3820:
	s_and_not1_saveexec_b32 s9, s9
	s_cbranch_execz .LBB95_3805
.LBB95_3821:
	v_cmp_ne_u16_e32 vcc_lo, 0, v1
	s_and_not1_b32 s22, s22, exec_lo
	s_and_b32 s23, vcc_lo, exec_lo
	s_delay_alu instid0(SALU_CYCLE_1)
	s_or_b32 s22, s22, s23
	s_or_b32 exec_lo, exec_lo, s9
	v_mov_b64_e32 v[40:41], 0
	s_and_saveexec_b32 s9, s22
	s_cbranch_execnz .LBB95_3806
	s_branch .LBB95_3807
.LBB95_3822:
	s_mov_b32 s1, -1
                                        ; implicit-def: $vgpr40_vgpr41
	s_branch .LBB95_3827
.LBB95_3823:
	s_mov_b32 s1, -1
                                        ; implicit-def: $vgpr40_vgpr41
.LBB95_3824:
	s_delay_alu instid0(SALU_CYCLE_1)
	s_and_b32 vcc_lo, exec_lo, s1
	s_cbranch_vccz .LBB95_3826
; %bb.3825:
	global_load_u8 v1, v[42:43], off
	s_wait_loadcnt 0x0
	v_lshlrev_b32_e32 v1, 24, v1
	s_delay_alu instid0(VALU_DEP_1) | instskip(NEXT) | instid1(VALU_DEP_1)
	v_and_b32_e32 v3, 0x7f000000, v1
	v_clz_i32_u32_e32 v5, v3
	v_add_nc_u32_e32 v11, 0x1000000, v3
	v_cmp_ne_u32_e32 vcc_lo, 0, v3
	s_delay_alu instid0(VALU_DEP_3) | instskip(NEXT) | instid1(VALU_DEP_1)
	v_min_u32_e32 v5, 32, v5
	v_sub_nc_u32_e64 v5, v5, 4 clamp
	s_delay_alu instid0(VALU_DEP_1) | instskip(NEXT) | instid1(VALU_DEP_1)
	v_dual_lshlrev_b32 v7, v5, v3 :: v_dual_lshlrev_b32 v5, 23, v5
	v_lshrrev_b32_e32 v7, 4, v7
	s_delay_alu instid0(VALU_DEP_1) | instskip(NEXT) | instid1(VALU_DEP_1)
	v_dual_sub_nc_u32 v5, v7, v5 :: v_dual_ashrrev_i32 v7, 8, v11
	v_add_nc_u32_e32 v5, 0x3c000000, v5
	s_delay_alu instid0(VALU_DEP_1) | instskip(NEXT) | instid1(VALU_DEP_1)
	v_and_or_b32 v5, 0x7f800000, v7, v5
	v_cndmask_b32_e32 v3, 0, v5, vcc_lo
	s_delay_alu instid0(VALU_DEP_1) | instskip(NEXT) | instid1(VALU_DEP_1)
	v_and_or_b32 v1, 0x80000000, v1, v3
	v_trunc_f32_e32 v1, v1
	s_delay_alu instid0(VALU_DEP_1) | instskip(SKIP_1) | instid1(VALU_DEP_2)
	v_mul_f32_e64 v3, 0x2f800000, |v1|
	v_ashrrev_i32_e32 v40, 31, v1
	v_floor_f32_e32 v3, v3
	s_delay_alu instid0(VALU_DEP_2) | instskip(NEXT) | instid1(VALU_DEP_2)
	v_mov_b32_e32 v41, v40
	v_fma_f32 v5, 0xcf800000, v3, |v1|
	v_cvt_u32_f32_e32 v1, v3
	s_delay_alu instid0(VALU_DEP_2) | instskip(NEXT) | instid1(VALU_DEP_2)
	v_cvt_u32_f32_e32 v3, v5
	v_xor_b32_e32 v45, v1, v40
	s_delay_alu instid0(VALU_DEP_2) | instskip(NEXT) | instid1(VALU_DEP_1)
	v_xor_b32_e32 v44, v3, v40
	v_sub_nc_u64_e32 v[40:41], v[44:45], v[40:41]
.LBB95_3826:
	s_mov_b32 s1, 0
.LBB95_3827:
	s_delay_alu instid0(SALU_CYCLE_1)
	s_and_not1_b32 vcc_lo, exec_lo, s1
	s_cbranch_vccnz .LBB95_3829
; %bb.3828:
	global_load_u8 v1, v[42:43], off
	s_wait_loadcnt 0x0
	v_lshlrev_b32_e32 v3, 25, v1
	v_lshlrev_b16 v1, 8, v1
	s_delay_alu instid0(VALU_DEP_1) | instskip(SKIP_1) | instid1(VALU_DEP_2)
	v_and_or_b32 v7, 0x7f00, v1, 0.5
	v_bfe_i32 v1, v1, 0, 16
	v_add_f32_e32 v7, -0.5, v7
	v_lshrrev_b32_e32 v5, 4, v3
	v_cmp_gt_u32_e32 vcc_lo, 0x8000000, v3
	s_delay_alu instid0(VALU_DEP_2) | instskip(NEXT) | instid1(VALU_DEP_1)
	v_or_b32_e32 v5, 0x70000000, v5
	v_mul_f32_e32 v5, 0x7800000, v5
	s_delay_alu instid0(VALU_DEP_1) | instskip(NEXT) | instid1(VALU_DEP_1)
	v_cndmask_b32_e32 v3, v5, v7, vcc_lo
	v_and_or_b32 v1, 0x80000000, v1, v3
	s_delay_alu instid0(VALU_DEP_1) | instskip(NEXT) | instid1(VALU_DEP_1)
	v_trunc_f32_e32 v1, v1
	v_mul_f32_e64 v3, 0x2f800000, |v1|
	v_ashrrev_i32_e32 v40, 31, v1
	s_delay_alu instid0(VALU_DEP_2) | instskip(NEXT) | instid1(VALU_DEP_2)
	v_floor_f32_e32 v3, v3
	v_mov_b32_e32 v41, v40
	s_delay_alu instid0(VALU_DEP_2) | instskip(SKIP_1) | instid1(VALU_DEP_2)
	v_fma_f32 v5, 0xcf800000, v3, |v1|
	v_cvt_u32_f32_e32 v1, v3
	v_cvt_u32_f32_e32 v3, v5
	s_delay_alu instid0(VALU_DEP_2) | instskip(NEXT) | instid1(VALU_DEP_2)
	v_xor_b32_e32 v45, v1, v40
	v_xor_b32_e32 v44, v3, v40
	s_delay_alu instid0(VALU_DEP_1)
	v_sub_nc_u64_e32 v[40:41], v[44:45], v[40:41]
.LBB95_3829:
	s_mov_b32 s1, 0
	s_mov_b32 s9, -1
.LBB95_3830:
	s_and_not1_b32 vcc_lo, exec_lo, s1
	s_mov_b32 s1, 0
	s_cbranch_vccnz .LBB95_3841
; %bb.3831:
	s_cmp_gt_i32 s55, 14
	s_cbranch_scc0 .LBB95_3834
; %bb.3832:
	s_cmp_eq_u32 s55, 15
	s_cbranch_scc0 .LBB95_3837
; %bb.3833:
	global_load_u16 v1, v[42:43], off
	s_mov_b32 s0, 0
	s_mov_b32 s9, -1
	s_wait_loadcnt 0x0
	v_lshlrev_b32_e32 v1, 16, v1
	s_delay_alu instid0(VALU_DEP_1) | instskip(NEXT) | instid1(VALU_DEP_1)
	v_trunc_f32_e32 v1, v1
	v_mul_f32_e64 v3, 0x2f800000, |v1|
	v_ashrrev_i32_e32 v40, 31, v1
	s_delay_alu instid0(VALU_DEP_2) | instskip(NEXT) | instid1(VALU_DEP_2)
	v_floor_f32_e32 v3, v3
	v_mov_b32_e32 v41, v40
	s_delay_alu instid0(VALU_DEP_2) | instskip(SKIP_1) | instid1(VALU_DEP_2)
	v_fma_f32 v5, 0xcf800000, v3, |v1|
	v_cvt_u32_f32_e32 v1, v3
	v_cvt_u32_f32_e32 v3, v5
	s_delay_alu instid0(VALU_DEP_2) | instskip(NEXT) | instid1(VALU_DEP_2)
	v_xor_b32_e32 v45, v1, v40
	v_xor_b32_e32 v44, v3, v40
	s_delay_alu instid0(VALU_DEP_1)
	v_sub_nc_u64_e32 v[40:41], v[44:45], v[40:41]
	s_branch .LBB95_3839
.LBB95_3834:
	s_mov_b32 s1, -1
	s_branch .LBB95_3838
.LBB95_3835:
	s_and_not1_saveexec_b32 s1, s1
	s_cbranch_execz .LBB95_3816
.LBB95_3836:
	v_cmp_ne_u16_e32 vcc_lo, 0, v1
	s_and_not1_b32 s9, s9, exec_lo
	s_and_b32 s22, vcc_lo, exec_lo
	s_delay_alu instid0(SALU_CYCLE_1)
	s_or_b32 s9, s9, s22
	s_or_b32 exec_lo, exec_lo, s1
	v_mov_b64_e32 v[40:41], 0
	s_and_saveexec_b32 s1, s9
	s_cbranch_execnz .LBB95_3817
	s_branch .LBB95_3818
.LBB95_3837:
	s_mov_b32 s0, -1
.LBB95_3838:
                                        ; implicit-def: $vgpr40_vgpr41
.LBB95_3839:
	s_and_b32 vcc_lo, exec_lo, s1
	s_mov_b32 s1, 0
	s_cbranch_vccz .LBB95_3841
; %bb.3840:
	s_cmp_lg_u32 s55, 11
	s_mov_b32 s1, -1
	s_cselect_b32 s0, -1, 0
.LBB95_3841:
	s_delay_alu instid0(SALU_CYCLE_1)
	s_and_b32 vcc_lo, exec_lo, s0
	s_mov_b32 s43, s41
	s_cbranch_vccnz .LBB95_3906
; %bb.3842:
	s_and_not1_b32 vcc_lo, exec_lo, s1
	s_cbranch_vccnz .LBB95_3844
.LBB95_3843:
	global_load_u8 v1, v[42:43], off
	s_mov_b32 s0, 0
	s_mov_b32 s9, -1
	s_wait_loadcnt 0x1
	v_mov_b32_e32 v41, s0
	s_wait_loadcnt 0x0
	v_cmp_ne_u16_e32 vcc_lo, 0, v1
	v_cndmask_b32_e64 v40, 0, 1, vcc_lo
.LBB95_3844:
	s_mov_b32 s0, 0
.LBB95_3845:
	s_delay_alu instid0(SALU_CYCLE_1)
	s_and_b32 vcc_lo, exec_lo, s0
	s_cbranch_vccz .LBB95_3894
; %bb.3846:
	s_cmp_lt_i32 s55, 5
	s_cbranch_scc1 .LBB95_3851
; %bb.3847:
	s_cmp_lt_i32 s55, 8
	s_cbranch_scc1 .LBB95_3852
	;; [unrolled: 3-line block ×3, first 2 shown]
; %bb.3849:
	s_cmp_gt_i32 s55, 9
	s_cbranch_scc0 .LBB95_3854
; %bb.3850:
	s_wait_loadcnt 0x0
	global_load_b64 v[40:41], v[42:43], off
	s_mov_b32 s0, 0
	s_wait_loadcnt 0x0
	v_trunc_f64_e32 v[40:41], v[40:41]
	s_delay_alu instid0(VALU_DEP_1) | instskip(NEXT) | instid1(VALU_DEP_1)
	v_ldexp_f64 v[44:45], v[40:41], 0xffffffe0
	v_floor_f64_e32 v[44:45], v[44:45]
	s_delay_alu instid0(VALU_DEP_1) | instskip(SKIP_1) | instid1(VALU_DEP_2)
	v_fmamk_f64 v[46:47], v[44:45], 0xc1f00000, v[40:41]
	v_cvt_i32_f64_e32 v41, v[44:45]
	v_cvt_u32_f64_e32 v40, v[46:47]
	s_branch .LBB95_3855
.LBB95_3851:
	s_mov_b32 s0, -1
                                        ; implicit-def: $vgpr40_vgpr41
	s_branch .LBB95_3873
.LBB95_3852:
	s_mov_b32 s0, -1
                                        ; implicit-def: $vgpr40_vgpr41
	s_branch .LBB95_3861
.LBB95_3853:
	s_mov_b32 s0, -1
                                        ; implicit-def: $vgpr40_vgpr41
	s_branch .LBB95_3858
.LBB95_3854:
	s_mov_b32 s0, -1
                                        ; implicit-def: $vgpr40_vgpr41
.LBB95_3855:
	s_delay_alu instid0(SALU_CYCLE_1)
	s_and_not1_b32 vcc_lo, exec_lo, s0
	s_cbranch_vccnz .LBB95_3857
; %bb.3856:
	global_load_b32 v1, v[42:43], off
	s_wait_loadcnt 0x0
	v_trunc_f32_e32 v1, v1
	s_delay_alu instid0(VALU_DEP_1) | instskip(SKIP_1) | instid1(VALU_DEP_2)
	v_mul_f32_e64 v3, 0x2f800000, |v1|
	v_ashrrev_i32_e32 v40, 31, v1
	v_floor_f32_e32 v3, v3
	s_delay_alu instid0(VALU_DEP_1) | instskip(SKIP_1) | instid1(VALU_DEP_4)
	v_fma_f32 v5, 0xcf800000, v3, |v1|
	v_cvt_u32_f32_e32 v1, v3
	v_mov_b32_e32 v41, v40
	s_delay_alu instid0(VALU_DEP_3) | instskip(NEXT) | instid1(VALU_DEP_3)
	v_cvt_u32_f32_e32 v3, v5
	v_xor_b32_e32 v45, v1, v40
	s_delay_alu instid0(VALU_DEP_2) | instskip(NEXT) | instid1(VALU_DEP_1)
	v_xor_b32_e32 v44, v3, v40
	v_sub_nc_u64_e32 v[40:41], v[44:45], v[40:41]
.LBB95_3857:
	s_mov_b32 s0, 0
.LBB95_3858:
	s_delay_alu instid0(SALU_CYCLE_1)
	s_and_not1_b32 vcc_lo, exec_lo, s0
	s_cbranch_vccnz .LBB95_3860
; %bb.3859:
	global_load_b32 v1, v[42:43], off
	s_wait_loadcnt 0x0
	v_cvt_f32_f16_e32 v1, v1
	s_delay_alu instid0(VALU_DEP_1) | instskip(NEXT) | instid1(VALU_DEP_1)
	v_cvt_i32_f32_e32 v40, v1
	v_ashrrev_i32_e32 v41, 31, v40
.LBB95_3860:
	s_mov_b32 s0, 0
.LBB95_3861:
	s_delay_alu instid0(SALU_CYCLE_1)
	s_and_not1_b32 vcc_lo, exec_lo, s0
	s_cbranch_vccnz .LBB95_3872
; %bb.3862:
	s_cmp_lt_i32 s55, 6
	s_cbranch_scc1 .LBB95_3865
; %bb.3863:
	s_cmp_gt_i32 s55, 6
	s_cbranch_scc0 .LBB95_3866
; %bb.3864:
	s_wait_loadcnt 0x0
	global_load_b64 v[40:41], v[42:43], off
	s_mov_b32 s0, 0
	s_wait_loadcnt 0x0
	v_trunc_f64_e32 v[40:41], v[40:41]
	s_delay_alu instid0(VALU_DEP_1) | instskip(NEXT) | instid1(VALU_DEP_1)
	v_ldexp_f64 v[44:45], v[40:41], 0xffffffe0
	v_floor_f64_e32 v[44:45], v[44:45]
	s_delay_alu instid0(VALU_DEP_1) | instskip(SKIP_1) | instid1(VALU_DEP_2)
	v_fmamk_f64 v[46:47], v[44:45], 0xc1f00000, v[40:41]
	v_cvt_i32_f64_e32 v41, v[44:45]
	v_cvt_u32_f64_e32 v40, v[46:47]
	s_branch .LBB95_3867
.LBB95_3865:
	s_mov_b32 s0, -1
                                        ; implicit-def: $vgpr40_vgpr41
	s_branch .LBB95_3870
.LBB95_3866:
	s_mov_b32 s0, -1
                                        ; implicit-def: $vgpr40_vgpr41
.LBB95_3867:
	s_delay_alu instid0(SALU_CYCLE_1)
	s_and_not1_b32 vcc_lo, exec_lo, s0
	s_cbranch_vccnz .LBB95_3869
; %bb.3868:
	global_load_b32 v1, v[42:43], off
	s_wait_loadcnt 0x0
	v_trunc_f32_e32 v1, v1
	s_delay_alu instid0(VALU_DEP_1) | instskip(SKIP_1) | instid1(VALU_DEP_2)
	v_mul_f32_e64 v3, 0x2f800000, |v1|
	v_ashrrev_i32_e32 v40, 31, v1
	v_floor_f32_e32 v3, v3
	s_delay_alu instid0(VALU_DEP_1) | instskip(SKIP_1) | instid1(VALU_DEP_4)
	v_fma_f32 v5, 0xcf800000, v3, |v1|
	v_cvt_u32_f32_e32 v1, v3
	v_mov_b32_e32 v41, v40
	s_delay_alu instid0(VALU_DEP_3) | instskip(NEXT) | instid1(VALU_DEP_3)
	v_cvt_u32_f32_e32 v3, v5
	v_xor_b32_e32 v45, v1, v40
	s_delay_alu instid0(VALU_DEP_2) | instskip(NEXT) | instid1(VALU_DEP_1)
	v_xor_b32_e32 v44, v3, v40
	v_sub_nc_u64_e32 v[40:41], v[44:45], v[40:41]
.LBB95_3869:
	s_mov_b32 s0, 0
.LBB95_3870:
	s_delay_alu instid0(SALU_CYCLE_1)
	s_and_not1_b32 vcc_lo, exec_lo, s0
	s_cbranch_vccnz .LBB95_3872
; %bb.3871:
	global_load_u16 v1, v[42:43], off
	s_wait_loadcnt 0x0
	v_cvt_f32_f16_e32 v1, v1
	s_delay_alu instid0(VALU_DEP_1) | instskip(NEXT) | instid1(VALU_DEP_1)
	v_cvt_i32_f32_e32 v40, v1
	v_ashrrev_i32_e32 v41, 31, v40
.LBB95_3872:
	s_mov_b32 s0, 0
.LBB95_3873:
	s_delay_alu instid0(SALU_CYCLE_1)
	s_and_not1_b32 vcc_lo, exec_lo, s0
	s_cbranch_vccnz .LBB95_3893
; %bb.3874:
	s_cmp_lt_i32 s55, 2
	s_cbranch_scc1 .LBB95_3878
; %bb.3875:
	s_cmp_lt_i32 s55, 3
	s_cbranch_scc1 .LBB95_3879
; %bb.3876:
	s_cmp_gt_i32 s55, 3
	s_cbranch_scc0 .LBB95_3880
; %bb.3877:
	s_wait_loadcnt 0x0
	global_load_b64 v[40:41], v[42:43], off
	s_mov_b32 s0, 0
	s_branch .LBB95_3881
.LBB95_3878:
	s_mov_b32 s0, -1
                                        ; implicit-def: $vgpr40_vgpr41
	s_branch .LBB95_3887
.LBB95_3879:
	s_mov_b32 s0, -1
                                        ; implicit-def: $vgpr40_vgpr41
	s_branch .LBB95_3884
.LBB95_3880:
	s_mov_b32 s0, -1
                                        ; implicit-def: $vgpr40_vgpr41
.LBB95_3881:
	s_delay_alu instid0(SALU_CYCLE_1)
	s_and_not1_b32 vcc_lo, exec_lo, s0
	s_cbranch_vccnz .LBB95_3883
; %bb.3882:
	s_wait_loadcnt 0x0
	global_load_b32 v40, v[42:43], off
	s_wait_loadcnt 0x0
	v_ashrrev_i32_e32 v41, 31, v40
.LBB95_3883:
	s_mov_b32 s0, 0
.LBB95_3884:
	s_delay_alu instid0(SALU_CYCLE_1)
	s_and_not1_b32 vcc_lo, exec_lo, s0
	s_cbranch_vccnz .LBB95_3886
; %bb.3885:
	global_load_u16 v1, v[42:43], off
	s_wait_loadcnt 0x0
	v_bfe_i32 v40, v1, 0, 16
	s_delay_alu instid0(VALU_DEP_1)
	v_ashrrev_i32_e32 v41, 31, v40
.LBB95_3886:
	s_mov_b32 s0, 0
.LBB95_3887:
	s_delay_alu instid0(SALU_CYCLE_1)
	s_and_not1_b32 vcc_lo, exec_lo, s0
	s_cbranch_vccnz .LBB95_3893
; %bb.3888:
	s_cmp_gt_i32 s55, 0
	s_mov_b32 s0, 0
	s_cbranch_scc0 .LBB95_3890
; %bb.3889:
	global_load_i8 v1, v[42:43], off
	s_wait_loadcnt 0x0
	v_bfe_i32 v40, v1, 0, 16
	s_delay_alu instid0(VALU_DEP_1)
	v_ashrrev_i32_e32 v41, 31, v40
	s_branch .LBB95_3891
.LBB95_3890:
	s_mov_b32 s0, -1
                                        ; implicit-def: $vgpr40_vgpr41
.LBB95_3891:
	s_delay_alu instid0(SALU_CYCLE_1)
	s_and_not1_b32 vcc_lo, exec_lo, s0
	s_cbranch_vccnz .LBB95_3893
; %bb.3892:
	global_load_u8 v1, v[42:43], off
	s_mov_b32 s0, 0
	s_wait_loadcnt 0x1
	v_mov_b32_e32 v41, s0
	s_wait_loadcnt 0x0
	v_and_b32_e32 v40, 0xffff, v1
.LBB95_3893:
	s_mov_b32 s9, -1
.LBB95_3894:
	s_delay_alu instid0(SALU_CYCLE_1)
	s_and_not1_b32 vcc_lo, exec_lo, s9
	s_cbranch_vccnz .LBB95_4417
; %bb.3895:
	v_mov_b32_e32 v39, 0
	s_and_b32 s56, 0xffff, s31
	s_delay_alu instid0(SALU_CYCLE_1) | instskip(SKIP_1) | instid1(VALU_DEP_1)
	s_cmp_lt_i32 s56, 11
	s_wait_xcnt 0x0
	v_add_nc_u64_e32 v[42:43], s[10:11], v[38:39]
	s_cbranch_scc1 .LBB95_3902
; %bb.3896:
	s_cmp_gt_i32 s56, 25
	s_mov_b32 s1, 0
	s_cbranch_scc0 .LBB95_3903
; %bb.3897:
	s_cmp_gt_i32 s56, 28
	s_cbranch_scc0 .LBB95_3904
; %bb.3898:
	s_cmp_gt_i32 s56, 43
	;; [unrolled: 3-line block ×3, first 2 shown]
	s_cbranch_scc0 .LBB95_3907
; %bb.3900:
	s_cmp_eq_u32 s56, 46
	s_mov_b32 s22, 0
	s_cbranch_scc0 .LBB95_3909
; %bb.3901:
	global_load_b32 v1, v[42:43], off
	s_mov_b32 s0, 0
	s_mov_b32 s9, -1
	s_wait_loadcnt 0x0
	v_lshlrev_b32_e32 v1, 16, v1
	s_delay_alu instid0(VALU_DEP_1) | instskip(NEXT) | instid1(VALU_DEP_1)
	v_trunc_f32_e32 v1, v1
	v_mul_f32_e64 v3, 0x2f800000, |v1|
	v_ashrrev_i32_e32 v38, 31, v1
	s_delay_alu instid0(VALU_DEP_2) | instskip(NEXT) | instid1(VALU_DEP_2)
	v_floor_f32_e32 v3, v3
	v_mov_b32_e32 v39, v38
	s_delay_alu instid0(VALU_DEP_2) | instskip(SKIP_1) | instid1(VALU_DEP_2)
	v_fma_f32 v5, 0xcf800000, v3, |v1|
	v_cvt_u32_f32_e32 v1, v3
	v_cvt_u32_f32_e32 v3, v5
	s_delay_alu instid0(VALU_DEP_2) | instskip(NEXT) | instid1(VALU_DEP_2)
	v_xor_b32_e32 v45, v1, v38
	v_xor_b32_e32 v44, v3, v38
	s_delay_alu instid0(VALU_DEP_1)
	v_sub_nc_u64_e32 v[38:39], v[44:45], v[38:39]
	s_branch .LBB95_3911
.LBB95_3902:
	s_mov_b32 s0, -1
	s_mov_b32 s9, 0
                                        ; implicit-def: $vgpr38_vgpr39
	s_branch .LBB95_3973
.LBB95_3903:
	s_mov_b32 s22, -1
	s_mov_b32 s9, 0
	s_mov_b32 s0, 0
                                        ; implicit-def: $vgpr38_vgpr39
	s_branch .LBB95_3938
.LBB95_3904:
	s_mov_b32 s22, -1
	s_mov_b32 s9, 0
	s_mov_b32 s0, 0
                                        ; implicit-def: $vgpr38_vgpr39
	s_branch .LBB95_3921
.LBB95_3905:
	s_mov_b32 s22, -1
	s_mov_b32 s9, 0
	s_mov_b32 s0, 0
                                        ; implicit-def: $vgpr38_vgpr39
	s_branch .LBB95_3916
.LBB95_3906:
	s_or_b32 s43, s41, exec_lo
	s_trap 2
	s_cbranch_execz .LBB95_3843
	s_branch .LBB95_3844
.LBB95_3907:
	s_mov_b32 s22, -1
	s_mov_b32 s9, 0
	s_mov_b32 s0, 0
	s_branch .LBB95_3910
.LBB95_3908:
	s_or_b32 s33, s33, exec_lo
	s_trap 2
                                        ; implicit-def: $vgpr6
                                        ; implicit-def: $vgpr34
                                        ; implicit-def: $vgpr32
                                        ; implicit-def: $vgpr38
                                        ; implicit-def: $vgpr36
                                        ; implicit-def: $vgpr4
                                        ; implicit-def: $vgpr40
                                        ; implicit-def: $vgpr24
                                        ; implicit-def: $vgpr22
                                        ; implicit-def: $vgpr28
                                        ; implicit-def: $vgpr26
                                        ; implicit-def: $vgpr2
                                        ; implicit-def: $vgpr30
                                        ; implicit-def: $vgpr14
                                        ; implicit-def: $vgpr10
                                        ; implicit-def: $vgpr18
                                        ; implicit-def: $vgpr16
                                        ; implicit-def: $vgpr0
                                        ; implicit-def: $vgpr20
                                        ; implicit-def: $vgpr8_vgpr9
                                        ; implicit-def: $vgpr12_vgpr13
                                        ; implicit-def: $vgpr46_vgpr47
                                        ; implicit-def: $vgpr44_vgpr45
                                        ; implicit-def: $vgpr48_vgpr49
	s_branch .LBB95_3525
.LBB95_3909:
	s_mov_b32 s0, -1
	s_mov_b32 s9, 0
.LBB95_3910:
                                        ; implicit-def: $vgpr38_vgpr39
.LBB95_3911:
	s_and_b32 vcc_lo, exec_lo, s22
	s_cbranch_vccz .LBB95_3915
; %bb.3912:
	s_cmp_eq_u32 s56, 44
	s_cbranch_scc0 .LBB95_3914
; %bb.3913:
	global_load_u8 v1, v[42:43], off
	s_mov_b32 s0, 0
	s_mov_b32 s9, -1
	s_wait_loadcnt 0x0
	v_lshlrev_b32_e32 v3, 23, v1
	v_cmp_ne_u32_e32 vcc_lo, 0, v1
	s_delay_alu instid0(VALU_DEP_2) | instskip(NEXT) | instid1(VALU_DEP_1)
	v_trunc_f32_e32 v3, v3
	v_mul_f32_e64 v5, 0x2f800000, |v3|
	v_ashrrev_i32_e32 v38, 31, v3
	s_delay_alu instid0(VALU_DEP_2) | instskip(NEXT) | instid1(VALU_DEP_2)
	v_floor_f32_e32 v5, v5
	v_mov_b32_e32 v39, v38
	s_delay_alu instid0(VALU_DEP_2) | instskip(SKIP_1) | instid1(VALU_DEP_2)
	v_fma_f32 v7, 0xcf800000, v5, |v3|
	v_cvt_u32_f32_e32 v3, v5
	v_cvt_u32_f32_e32 v5, v7
	s_delay_alu instid0(VALU_DEP_2) | instskip(NEXT) | instid1(VALU_DEP_2)
	v_xor_b32_e32 v45, v3, v38
	v_xor_b32_e32 v44, v5, v38
	s_delay_alu instid0(VALU_DEP_1) | instskip(NEXT) | instid1(VALU_DEP_1)
	v_sub_nc_u64_e32 v[38:39], v[44:45], v[38:39]
	v_dual_cndmask_b32 v39, 0, v39 :: v_dual_cndmask_b32 v38, 0, v38
	s_branch .LBB95_3915
.LBB95_3914:
	s_mov_b32 s0, -1
                                        ; implicit-def: $vgpr38_vgpr39
.LBB95_3915:
	s_mov_b32 s22, 0
.LBB95_3916:
	s_delay_alu instid0(SALU_CYCLE_1)
	s_and_b32 vcc_lo, exec_lo, s22
	s_cbranch_vccz .LBB95_3920
; %bb.3917:
	s_cmp_eq_u32 s56, 29
	s_cbranch_scc0 .LBB95_3919
; %bb.3918:
	global_load_b64 v[38:39], v[42:43], off
	s_mov_b32 s0, 0
	s_mov_b32 s9, -1
	s_branch .LBB95_3920
.LBB95_3919:
	s_mov_b32 s0, -1
                                        ; implicit-def: $vgpr38_vgpr39
.LBB95_3920:
	s_mov_b32 s22, 0
.LBB95_3921:
	s_delay_alu instid0(SALU_CYCLE_1)
	s_and_b32 vcc_lo, exec_lo, s22
	s_cbranch_vccz .LBB95_3937
; %bb.3922:
	s_cmp_lt_i32 s56, 27
	s_cbranch_scc1 .LBB95_3925
; %bb.3923:
	s_cmp_gt_i32 s56, 27
	s_cbranch_scc0 .LBB95_3926
; %bb.3924:
	s_wait_loadcnt 0x0
	global_load_b32 v38, v[42:43], off
	v_mov_b32_e32 v39, 0
	s_mov_b32 s9, 0
	s_branch .LBB95_3927
.LBB95_3925:
	s_mov_b32 s9, -1
                                        ; implicit-def: $vgpr38_vgpr39
	s_branch .LBB95_3930
.LBB95_3926:
	s_mov_b32 s9, -1
                                        ; implicit-def: $vgpr38_vgpr39
.LBB95_3927:
	s_delay_alu instid0(SALU_CYCLE_1)
	s_and_not1_b32 vcc_lo, exec_lo, s9
	s_cbranch_vccnz .LBB95_3929
; %bb.3928:
	global_load_u16 v1, v[42:43], off
	s_mov_b32 s9, 0
	s_wait_loadcnt 0x1
	v_mov_b32_e32 v39, s9
	s_wait_loadcnt 0x0
	v_and_b32_e32 v38, 0xffff, v1
.LBB95_3929:
	s_mov_b32 s9, 0
.LBB95_3930:
	s_delay_alu instid0(SALU_CYCLE_1)
	s_and_not1_b32 vcc_lo, exec_lo, s9
	s_cbranch_vccnz .LBB95_3936
; %bb.3931:
	global_load_u8 v1, v[42:43], off
	s_mov_b32 s22, 0
	s_mov_b32 s9, exec_lo
	s_wait_loadcnt 0x0
	v_cmpx_lt_i16_e32 0x7f, v1
	s_xor_b32 s9, exec_lo, s9
	s_cbranch_execz .LBB95_3948
; %bb.3932:
	v_cmp_ne_u16_e32 vcc_lo, 0x80, v1
	s_and_b32 s22, vcc_lo, exec_lo
	s_and_not1_saveexec_b32 s9, s9
	s_cbranch_execnz .LBB95_3949
.LBB95_3933:
	s_or_b32 exec_lo, exec_lo, s9
	v_mov_b64_e32 v[38:39], 0
	s_and_saveexec_b32 s9, s22
	s_cbranch_execz .LBB95_3935
.LBB95_3934:
	v_and_b32_e32 v3, 0xffff, v1
	s_delay_alu instid0(VALU_DEP_1) | instskip(SKIP_1) | instid1(VALU_DEP_2)
	v_dual_lshlrev_b32 v1, 24, v1 :: v_dual_bitop2_b32 v5, 7, v3 bitop3:0x40
	v_bfe_u32 v15, v3, 3, 4
	v_and_b32_e32 v1, 0x80000000, v1
	s_delay_alu instid0(VALU_DEP_3) | instskip(NEXT) | instid1(VALU_DEP_3)
	v_clz_i32_u32_e32 v7, v5
	v_cmp_eq_u32_e32 vcc_lo, 0, v15
	s_delay_alu instid0(VALU_DEP_2) | instskip(NEXT) | instid1(VALU_DEP_1)
	v_min_u32_e32 v7, 32, v7
	v_subrev_nc_u32_e32 v11, 28, v7
	v_sub_nc_u32_e32 v7, 29, v7
	s_delay_alu instid0(VALU_DEP_2) | instskip(NEXT) | instid1(VALU_DEP_2)
	v_lshlrev_b32_e32 v3, v11, v3
	v_cndmask_b32_e32 v7, v15, v7, vcc_lo
	s_delay_alu instid0(VALU_DEP_2) | instskip(NEXT) | instid1(VALU_DEP_1)
	v_and_b32_e32 v3, 7, v3
	v_cndmask_b32_e32 v3, v5, v3, vcc_lo
	s_delay_alu instid0(VALU_DEP_3) | instskip(NEXT) | instid1(VALU_DEP_2)
	v_lshl_add_u32 v5, v7, 23, 0x3b800000
	v_lshlrev_b32_e32 v3, 20, v3
	s_delay_alu instid0(VALU_DEP_1) | instskip(NEXT) | instid1(VALU_DEP_1)
	v_or3_b32 v1, v1, v5, v3
	v_trunc_f32_e32 v1, v1
	s_delay_alu instid0(VALU_DEP_1) | instskip(SKIP_1) | instid1(VALU_DEP_2)
	v_mul_f32_e64 v3, 0x2f800000, |v1|
	v_ashrrev_i32_e32 v38, 31, v1
	v_floor_f32_e32 v3, v3
	s_delay_alu instid0(VALU_DEP_2) | instskip(NEXT) | instid1(VALU_DEP_2)
	v_mov_b32_e32 v39, v38
	v_fma_f32 v5, 0xcf800000, v3, |v1|
	v_cvt_u32_f32_e32 v1, v3
	s_delay_alu instid0(VALU_DEP_2) | instskip(NEXT) | instid1(VALU_DEP_2)
	v_cvt_u32_f32_e32 v3, v5
	v_xor_b32_e32 v45, v1, v38
	s_delay_alu instid0(VALU_DEP_2) | instskip(NEXT) | instid1(VALU_DEP_1)
	v_xor_b32_e32 v44, v3, v38
	v_sub_nc_u64_e32 v[38:39], v[44:45], v[38:39]
.LBB95_3935:
	s_or_b32 exec_lo, exec_lo, s9
.LBB95_3936:
	s_mov_b32 s9, -1
.LBB95_3937:
	s_mov_b32 s22, 0
.LBB95_3938:
	s_delay_alu instid0(SALU_CYCLE_1)
	s_and_b32 vcc_lo, exec_lo, s22
	s_cbranch_vccz .LBB95_3969
; %bb.3939:
	s_cmp_gt_i32 s56, 22
	s_cbranch_scc0 .LBB95_3947
; %bb.3940:
	s_cmp_lt_i32 s56, 24
	s_cbranch_scc1 .LBB95_3950
; %bb.3941:
	s_cmp_gt_i32 s56, 24
	s_cbranch_scc0 .LBB95_3951
; %bb.3942:
	global_load_u8 v1, v[42:43], off
	s_mov_b32 s9, 0
	s_mov_b32 s1, exec_lo
	s_wait_loadcnt 0x0
	v_cmpx_lt_i16_e32 0x7f, v1
	s_xor_b32 s1, exec_lo, s1
	s_cbranch_execz .LBB95_3963
; %bb.3943:
	v_cmp_ne_u16_e32 vcc_lo, 0x80, v1
	s_and_b32 s9, vcc_lo, exec_lo
	s_and_not1_saveexec_b32 s1, s1
	s_cbranch_execnz .LBB95_3964
.LBB95_3944:
	s_or_b32 exec_lo, exec_lo, s1
	v_mov_b64_e32 v[38:39], 0
	s_and_saveexec_b32 s1, s9
	s_cbranch_execz .LBB95_3946
.LBB95_3945:
	v_and_b32_e32 v3, 0xffff, v1
	s_delay_alu instid0(VALU_DEP_1) | instskip(SKIP_1) | instid1(VALU_DEP_2)
	v_dual_lshlrev_b32 v1, 24, v1 :: v_dual_bitop2_b32 v5, 3, v3 bitop3:0x40
	v_bfe_u32 v15, v3, 2, 5
	v_and_b32_e32 v1, 0x80000000, v1
	s_delay_alu instid0(VALU_DEP_3) | instskip(NEXT) | instid1(VALU_DEP_3)
	v_clz_i32_u32_e32 v7, v5
	v_cmp_eq_u32_e32 vcc_lo, 0, v15
	s_delay_alu instid0(VALU_DEP_2) | instskip(NEXT) | instid1(VALU_DEP_1)
	v_min_u32_e32 v7, 32, v7
	v_subrev_nc_u32_e32 v11, 29, v7
	v_sub_nc_u32_e32 v7, 30, v7
	s_delay_alu instid0(VALU_DEP_2) | instskip(NEXT) | instid1(VALU_DEP_2)
	v_lshlrev_b32_e32 v3, v11, v3
	v_cndmask_b32_e32 v7, v15, v7, vcc_lo
	s_delay_alu instid0(VALU_DEP_2) | instskip(NEXT) | instid1(VALU_DEP_1)
	v_and_b32_e32 v3, 3, v3
	v_cndmask_b32_e32 v3, v5, v3, vcc_lo
	s_delay_alu instid0(VALU_DEP_3) | instskip(NEXT) | instid1(VALU_DEP_2)
	v_lshl_add_u32 v5, v7, 23, 0x37800000
	v_lshlrev_b32_e32 v3, 21, v3
	s_delay_alu instid0(VALU_DEP_1) | instskip(NEXT) | instid1(VALU_DEP_1)
	v_or3_b32 v1, v1, v5, v3
	v_trunc_f32_e32 v1, v1
	s_delay_alu instid0(VALU_DEP_1) | instskip(SKIP_1) | instid1(VALU_DEP_2)
	v_mul_f32_e64 v3, 0x2f800000, |v1|
	v_ashrrev_i32_e32 v38, 31, v1
	v_floor_f32_e32 v3, v3
	s_delay_alu instid0(VALU_DEP_2) | instskip(NEXT) | instid1(VALU_DEP_2)
	v_mov_b32_e32 v39, v38
	v_fma_f32 v5, 0xcf800000, v3, |v1|
	v_cvt_u32_f32_e32 v1, v3
	s_delay_alu instid0(VALU_DEP_2) | instskip(NEXT) | instid1(VALU_DEP_2)
	v_cvt_u32_f32_e32 v3, v5
	v_xor_b32_e32 v45, v1, v38
	s_delay_alu instid0(VALU_DEP_2) | instskip(NEXT) | instid1(VALU_DEP_1)
	v_xor_b32_e32 v44, v3, v38
	v_sub_nc_u64_e32 v[38:39], v[44:45], v[38:39]
.LBB95_3946:
	s_or_b32 exec_lo, exec_lo, s1
	s_mov_b32 s1, 0
	s_branch .LBB95_3952
.LBB95_3947:
	s_mov_b32 s1, -1
                                        ; implicit-def: $vgpr38_vgpr39
	s_branch .LBB95_3958
.LBB95_3948:
	s_and_not1_saveexec_b32 s9, s9
	s_cbranch_execz .LBB95_3933
.LBB95_3949:
	v_cmp_ne_u16_e32 vcc_lo, 0, v1
	s_and_not1_b32 s22, s22, exec_lo
	s_and_b32 s23, vcc_lo, exec_lo
	s_delay_alu instid0(SALU_CYCLE_1)
	s_or_b32 s22, s22, s23
	s_or_b32 exec_lo, exec_lo, s9
	v_mov_b64_e32 v[38:39], 0
	s_and_saveexec_b32 s9, s22
	s_cbranch_execnz .LBB95_3934
	s_branch .LBB95_3935
.LBB95_3950:
	s_mov_b32 s1, -1
                                        ; implicit-def: $vgpr38_vgpr39
	s_branch .LBB95_3955
.LBB95_3951:
	s_mov_b32 s1, -1
                                        ; implicit-def: $vgpr38_vgpr39
.LBB95_3952:
	s_delay_alu instid0(SALU_CYCLE_1)
	s_and_b32 vcc_lo, exec_lo, s1
	s_cbranch_vccz .LBB95_3954
; %bb.3953:
	global_load_u8 v1, v[42:43], off
	s_wait_loadcnt 0x0
	v_lshlrev_b32_e32 v1, 24, v1
	s_delay_alu instid0(VALU_DEP_1) | instskip(NEXT) | instid1(VALU_DEP_1)
	v_and_b32_e32 v3, 0x7f000000, v1
	v_clz_i32_u32_e32 v5, v3
	v_add_nc_u32_e32 v11, 0x1000000, v3
	v_cmp_ne_u32_e32 vcc_lo, 0, v3
	s_delay_alu instid0(VALU_DEP_3) | instskip(NEXT) | instid1(VALU_DEP_1)
	v_min_u32_e32 v5, 32, v5
	v_sub_nc_u32_e64 v5, v5, 4 clamp
	s_delay_alu instid0(VALU_DEP_1) | instskip(NEXT) | instid1(VALU_DEP_1)
	v_dual_lshlrev_b32 v7, v5, v3 :: v_dual_lshlrev_b32 v5, 23, v5
	v_lshrrev_b32_e32 v7, 4, v7
	s_delay_alu instid0(VALU_DEP_1) | instskip(NEXT) | instid1(VALU_DEP_1)
	v_dual_sub_nc_u32 v5, v7, v5 :: v_dual_ashrrev_i32 v7, 8, v11
	v_add_nc_u32_e32 v5, 0x3c000000, v5
	s_delay_alu instid0(VALU_DEP_1) | instskip(NEXT) | instid1(VALU_DEP_1)
	v_and_or_b32 v5, 0x7f800000, v7, v5
	v_cndmask_b32_e32 v3, 0, v5, vcc_lo
	s_delay_alu instid0(VALU_DEP_1) | instskip(NEXT) | instid1(VALU_DEP_1)
	v_and_or_b32 v1, 0x80000000, v1, v3
	v_trunc_f32_e32 v1, v1
	s_delay_alu instid0(VALU_DEP_1) | instskip(SKIP_1) | instid1(VALU_DEP_2)
	v_mul_f32_e64 v3, 0x2f800000, |v1|
	v_ashrrev_i32_e32 v38, 31, v1
	v_floor_f32_e32 v3, v3
	s_delay_alu instid0(VALU_DEP_2) | instskip(NEXT) | instid1(VALU_DEP_2)
	v_mov_b32_e32 v39, v38
	v_fma_f32 v5, 0xcf800000, v3, |v1|
	v_cvt_u32_f32_e32 v1, v3
	s_delay_alu instid0(VALU_DEP_2) | instskip(NEXT) | instid1(VALU_DEP_2)
	v_cvt_u32_f32_e32 v3, v5
	v_xor_b32_e32 v45, v1, v38
	s_delay_alu instid0(VALU_DEP_2) | instskip(NEXT) | instid1(VALU_DEP_1)
	v_xor_b32_e32 v44, v3, v38
	v_sub_nc_u64_e32 v[38:39], v[44:45], v[38:39]
.LBB95_3954:
	s_mov_b32 s1, 0
.LBB95_3955:
	s_delay_alu instid0(SALU_CYCLE_1)
	s_and_not1_b32 vcc_lo, exec_lo, s1
	s_cbranch_vccnz .LBB95_3957
; %bb.3956:
	global_load_u8 v1, v[42:43], off
	s_wait_loadcnt 0x0
	v_lshlrev_b32_e32 v3, 25, v1
	v_lshlrev_b16 v1, 8, v1
	s_delay_alu instid0(VALU_DEP_1) | instskip(SKIP_1) | instid1(VALU_DEP_2)
	v_and_or_b32 v7, 0x7f00, v1, 0.5
	v_bfe_i32 v1, v1, 0, 16
	v_add_f32_e32 v7, -0.5, v7
	v_lshrrev_b32_e32 v5, 4, v3
	v_cmp_gt_u32_e32 vcc_lo, 0x8000000, v3
	s_delay_alu instid0(VALU_DEP_2) | instskip(NEXT) | instid1(VALU_DEP_1)
	v_or_b32_e32 v5, 0x70000000, v5
	v_mul_f32_e32 v5, 0x7800000, v5
	s_delay_alu instid0(VALU_DEP_1) | instskip(NEXT) | instid1(VALU_DEP_1)
	v_cndmask_b32_e32 v3, v5, v7, vcc_lo
	v_and_or_b32 v1, 0x80000000, v1, v3
	s_delay_alu instid0(VALU_DEP_1) | instskip(NEXT) | instid1(VALU_DEP_1)
	v_trunc_f32_e32 v1, v1
	v_mul_f32_e64 v3, 0x2f800000, |v1|
	v_ashrrev_i32_e32 v38, 31, v1
	s_delay_alu instid0(VALU_DEP_2) | instskip(NEXT) | instid1(VALU_DEP_2)
	v_floor_f32_e32 v3, v3
	v_mov_b32_e32 v39, v38
	s_delay_alu instid0(VALU_DEP_2) | instskip(SKIP_1) | instid1(VALU_DEP_2)
	v_fma_f32 v5, 0xcf800000, v3, |v1|
	v_cvt_u32_f32_e32 v1, v3
	v_cvt_u32_f32_e32 v3, v5
	s_delay_alu instid0(VALU_DEP_2) | instskip(NEXT) | instid1(VALU_DEP_2)
	v_xor_b32_e32 v45, v1, v38
	v_xor_b32_e32 v44, v3, v38
	s_delay_alu instid0(VALU_DEP_1)
	v_sub_nc_u64_e32 v[38:39], v[44:45], v[38:39]
.LBB95_3957:
	s_mov_b32 s1, 0
	s_mov_b32 s9, -1
.LBB95_3958:
	s_and_not1_b32 vcc_lo, exec_lo, s1
	s_mov_b32 s1, 0
	s_cbranch_vccnz .LBB95_3969
; %bb.3959:
	s_cmp_gt_i32 s56, 14
	s_cbranch_scc0 .LBB95_3962
; %bb.3960:
	s_cmp_eq_u32 s56, 15
	s_cbranch_scc0 .LBB95_3965
; %bb.3961:
	global_load_u16 v1, v[42:43], off
	s_mov_b32 s0, 0
	s_mov_b32 s9, -1
	s_wait_loadcnt 0x0
	v_lshlrev_b32_e32 v1, 16, v1
	s_delay_alu instid0(VALU_DEP_1) | instskip(NEXT) | instid1(VALU_DEP_1)
	v_trunc_f32_e32 v1, v1
	v_mul_f32_e64 v3, 0x2f800000, |v1|
	v_ashrrev_i32_e32 v38, 31, v1
	s_delay_alu instid0(VALU_DEP_2) | instskip(NEXT) | instid1(VALU_DEP_2)
	v_floor_f32_e32 v3, v3
	v_mov_b32_e32 v39, v38
	s_delay_alu instid0(VALU_DEP_2) | instskip(SKIP_1) | instid1(VALU_DEP_2)
	v_fma_f32 v5, 0xcf800000, v3, |v1|
	v_cvt_u32_f32_e32 v1, v3
	v_cvt_u32_f32_e32 v3, v5
	s_delay_alu instid0(VALU_DEP_2) | instskip(NEXT) | instid1(VALU_DEP_2)
	v_xor_b32_e32 v45, v1, v38
	v_xor_b32_e32 v44, v3, v38
	s_delay_alu instid0(VALU_DEP_1)
	v_sub_nc_u64_e32 v[38:39], v[44:45], v[38:39]
	s_branch .LBB95_3967
.LBB95_3962:
	s_mov_b32 s1, -1
	s_branch .LBB95_3966
.LBB95_3963:
	s_and_not1_saveexec_b32 s1, s1
	s_cbranch_execz .LBB95_3944
.LBB95_3964:
	v_cmp_ne_u16_e32 vcc_lo, 0, v1
	s_and_not1_b32 s9, s9, exec_lo
	s_and_b32 s22, vcc_lo, exec_lo
	s_delay_alu instid0(SALU_CYCLE_1)
	s_or_b32 s9, s9, s22
	s_or_b32 exec_lo, exec_lo, s1
	v_mov_b64_e32 v[38:39], 0
	s_and_saveexec_b32 s1, s9
	s_cbranch_execnz .LBB95_3945
	s_branch .LBB95_3946
.LBB95_3965:
	s_mov_b32 s0, -1
.LBB95_3966:
                                        ; implicit-def: $vgpr38_vgpr39
.LBB95_3967:
	s_and_b32 vcc_lo, exec_lo, s1
	s_mov_b32 s1, 0
	s_cbranch_vccz .LBB95_3969
; %bb.3968:
	s_cmp_lg_u32 s56, 11
	s_mov_b32 s1, -1
	s_cselect_b32 s0, -1, 0
.LBB95_3969:
	s_delay_alu instid0(SALU_CYCLE_1)
	s_and_b32 vcc_lo, exec_lo, s0
	s_cbranch_vccnz .LBB95_4034
; %bb.3970:
	s_and_not1_b32 vcc_lo, exec_lo, s1
	s_cbranch_vccnz .LBB95_3972
.LBB95_3971:
	global_load_u8 v1, v[42:43], off
	s_mov_b32 s0, 0
	s_mov_b32 s9, -1
	s_wait_loadcnt 0x1
	v_mov_b32_e32 v39, s0
	s_wait_loadcnt 0x0
	v_cmp_ne_u16_e32 vcc_lo, 0, v1
	v_cndmask_b32_e64 v38, 0, 1, vcc_lo
.LBB95_3972:
	s_mov_b32 s0, 0
.LBB95_3973:
	s_delay_alu instid0(SALU_CYCLE_1)
	s_and_b32 vcc_lo, exec_lo, s0
	s_cbranch_vccz .LBB95_4022
; %bb.3974:
	s_cmp_lt_i32 s56, 5
	s_cbranch_scc1 .LBB95_3979
; %bb.3975:
	s_cmp_lt_i32 s56, 8
	s_cbranch_scc1 .LBB95_3980
	;; [unrolled: 3-line block ×3, first 2 shown]
; %bb.3977:
	s_cmp_gt_i32 s56, 9
	s_cbranch_scc0 .LBB95_3982
; %bb.3978:
	s_wait_loadcnt 0x0
	global_load_b64 v[38:39], v[42:43], off
	s_mov_b32 s0, 0
	s_wait_loadcnt 0x0
	v_trunc_f64_e32 v[38:39], v[38:39]
	s_delay_alu instid0(VALU_DEP_1) | instskip(NEXT) | instid1(VALU_DEP_1)
	v_ldexp_f64 v[44:45], v[38:39], 0xffffffe0
	v_floor_f64_e32 v[44:45], v[44:45]
	s_delay_alu instid0(VALU_DEP_1) | instskip(SKIP_1) | instid1(VALU_DEP_2)
	v_fmamk_f64 v[46:47], v[44:45], 0xc1f00000, v[38:39]
	v_cvt_i32_f64_e32 v39, v[44:45]
	v_cvt_u32_f64_e32 v38, v[46:47]
	s_branch .LBB95_3983
.LBB95_3979:
	s_mov_b32 s0, -1
                                        ; implicit-def: $vgpr38_vgpr39
	s_branch .LBB95_4001
.LBB95_3980:
	s_mov_b32 s0, -1
                                        ; implicit-def: $vgpr38_vgpr39
	s_branch .LBB95_3989
.LBB95_3981:
	s_mov_b32 s0, -1
                                        ; implicit-def: $vgpr38_vgpr39
	s_branch .LBB95_3986
.LBB95_3982:
	s_mov_b32 s0, -1
                                        ; implicit-def: $vgpr38_vgpr39
.LBB95_3983:
	s_delay_alu instid0(SALU_CYCLE_1)
	s_and_not1_b32 vcc_lo, exec_lo, s0
	s_cbranch_vccnz .LBB95_3985
; %bb.3984:
	global_load_b32 v1, v[42:43], off
	s_wait_loadcnt 0x0
	v_trunc_f32_e32 v1, v1
	s_delay_alu instid0(VALU_DEP_1) | instskip(SKIP_1) | instid1(VALU_DEP_2)
	v_mul_f32_e64 v3, 0x2f800000, |v1|
	v_ashrrev_i32_e32 v38, 31, v1
	v_floor_f32_e32 v3, v3
	s_delay_alu instid0(VALU_DEP_1) | instskip(SKIP_1) | instid1(VALU_DEP_4)
	v_fma_f32 v5, 0xcf800000, v3, |v1|
	v_cvt_u32_f32_e32 v1, v3
	v_mov_b32_e32 v39, v38
	s_delay_alu instid0(VALU_DEP_3) | instskip(NEXT) | instid1(VALU_DEP_3)
	v_cvt_u32_f32_e32 v3, v5
	v_xor_b32_e32 v45, v1, v38
	s_delay_alu instid0(VALU_DEP_2) | instskip(NEXT) | instid1(VALU_DEP_1)
	v_xor_b32_e32 v44, v3, v38
	v_sub_nc_u64_e32 v[38:39], v[44:45], v[38:39]
.LBB95_3985:
	s_mov_b32 s0, 0
.LBB95_3986:
	s_delay_alu instid0(SALU_CYCLE_1)
	s_and_not1_b32 vcc_lo, exec_lo, s0
	s_cbranch_vccnz .LBB95_3988
; %bb.3987:
	global_load_b32 v1, v[42:43], off
	s_wait_loadcnt 0x0
	v_cvt_f32_f16_e32 v1, v1
	s_delay_alu instid0(VALU_DEP_1) | instskip(NEXT) | instid1(VALU_DEP_1)
	v_cvt_i32_f32_e32 v38, v1
	v_ashrrev_i32_e32 v39, 31, v38
.LBB95_3988:
	s_mov_b32 s0, 0
.LBB95_3989:
	s_delay_alu instid0(SALU_CYCLE_1)
	s_and_not1_b32 vcc_lo, exec_lo, s0
	s_cbranch_vccnz .LBB95_4000
; %bb.3990:
	s_cmp_lt_i32 s56, 6
	s_cbranch_scc1 .LBB95_3993
; %bb.3991:
	s_cmp_gt_i32 s56, 6
	s_cbranch_scc0 .LBB95_3994
; %bb.3992:
	s_wait_loadcnt 0x0
	global_load_b64 v[38:39], v[42:43], off
	s_mov_b32 s0, 0
	s_wait_loadcnt 0x0
	v_trunc_f64_e32 v[38:39], v[38:39]
	s_delay_alu instid0(VALU_DEP_1) | instskip(NEXT) | instid1(VALU_DEP_1)
	v_ldexp_f64 v[44:45], v[38:39], 0xffffffe0
	v_floor_f64_e32 v[44:45], v[44:45]
	s_delay_alu instid0(VALU_DEP_1) | instskip(SKIP_1) | instid1(VALU_DEP_2)
	v_fmamk_f64 v[46:47], v[44:45], 0xc1f00000, v[38:39]
	v_cvt_i32_f64_e32 v39, v[44:45]
	v_cvt_u32_f64_e32 v38, v[46:47]
	s_branch .LBB95_3995
.LBB95_3993:
	s_mov_b32 s0, -1
                                        ; implicit-def: $vgpr38_vgpr39
	s_branch .LBB95_3998
.LBB95_3994:
	s_mov_b32 s0, -1
                                        ; implicit-def: $vgpr38_vgpr39
.LBB95_3995:
	s_delay_alu instid0(SALU_CYCLE_1)
	s_and_not1_b32 vcc_lo, exec_lo, s0
	s_cbranch_vccnz .LBB95_3997
; %bb.3996:
	global_load_b32 v1, v[42:43], off
	s_wait_loadcnt 0x0
	v_trunc_f32_e32 v1, v1
	s_delay_alu instid0(VALU_DEP_1) | instskip(SKIP_1) | instid1(VALU_DEP_2)
	v_mul_f32_e64 v3, 0x2f800000, |v1|
	v_ashrrev_i32_e32 v38, 31, v1
	v_floor_f32_e32 v3, v3
	s_delay_alu instid0(VALU_DEP_1) | instskip(SKIP_1) | instid1(VALU_DEP_4)
	v_fma_f32 v5, 0xcf800000, v3, |v1|
	v_cvt_u32_f32_e32 v1, v3
	v_mov_b32_e32 v39, v38
	s_delay_alu instid0(VALU_DEP_3) | instskip(NEXT) | instid1(VALU_DEP_3)
	v_cvt_u32_f32_e32 v3, v5
	v_xor_b32_e32 v45, v1, v38
	s_delay_alu instid0(VALU_DEP_2) | instskip(NEXT) | instid1(VALU_DEP_1)
	v_xor_b32_e32 v44, v3, v38
	v_sub_nc_u64_e32 v[38:39], v[44:45], v[38:39]
.LBB95_3997:
	s_mov_b32 s0, 0
.LBB95_3998:
	s_delay_alu instid0(SALU_CYCLE_1)
	s_and_not1_b32 vcc_lo, exec_lo, s0
	s_cbranch_vccnz .LBB95_4000
; %bb.3999:
	global_load_u16 v1, v[42:43], off
	s_wait_loadcnt 0x0
	v_cvt_f32_f16_e32 v1, v1
	s_delay_alu instid0(VALU_DEP_1) | instskip(NEXT) | instid1(VALU_DEP_1)
	v_cvt_i32_f32_e32 v38, v1
	v_ashrrev_i32_e32 v39, 31, v38
.LBB95_4000:
	s_mov_b32 s0, 0
.LBB95_4001:
	s_delay_alu instid0(SALU_CYCLE_1)
	s_and_not1_b32 vcc_lo, exec_lo, s0
	s_cbranch_vccnz .LBB95_4021
; %bb.4002:
	s_cmp_lt_i32 s56, 2
	s_cbranch_scc1 .LBB95_4006
; %bb.4003:
	s_cmp_lt_i32 s56, 3
	s_cbranch_scc1 .LBB95_4007
; %bb.4004:
	s_cmp_gt_i32 s56, 3
	s_cbranch_scc0 .LBB95_4008
; %bb.4005:
	s_wait_loadcnt 0x0
	global_load_b64 v[38:39], v[42:43], off
	s_mov_b32 s0, 0
	s_branch .LBB95_4009
.LBB95_4006:
	s_mov_b32 s0, -1
                                        ; implicit-def: $vgpr38_vgpr39
	s_branch .LBB95_4015
.LBB95_4007:
	s_mov_b32 s0, -1
                                        ; implicit-def: $vgpr38_vgpr39
	s_branch .LBB95_4012
.LBB95_4008:
	s_mov_b32 s0, -1
                                        ; implicit-def: $vgpr38_vgpr39
.LBB95_4009:
	s_delay_alu instid0(SALU_CYCLE_1)
	s_and_not1_b32 vcc_lo, exec_lo, s0
	s_cbranch_vccnz .LBB95_4011
; %bb.4010:
	s_wait_loadcnt 0x0
	global_load_b32 v38, v[42:43], off
	s_wait_loadcnt 0x0
	v_ashrrev_i32_e32 v39, 31, v38
.LBB95_4011:
	s_mov_b32 s0, 0
.LBB95_4012:
	s_delay_alu instid0(SALU_CYCLE_1)
	s_and_not1_b32 vcc_lo, exec_lo, s0
	s_cbranch_vccnz .LBB95_4014
; %bb.4013:
	global_load_u16 v1, v[42:43], off
	s_wait_loadcnt 0x0
	v_bfe_i32 v38, v1, 0, 16
	s_delay_alu instid0(VALU_DEP_1)
	v_ashrrev_i32_e32 v39, 31, v38
.LBB95_4014:
	s_mov_b32 s0, 0
.LBB95_4015:
	s_delay_alu instid0(SALU_CYCLE_1)
	s_and_not1_b32 vcc_lo, exec_lo, s0
	s_cbranch_vccnz .LBB95_4021
; %bb.4016:
	s_cmp_gt_i32 s56, 0
	s_mov_b32 s0, 0
	s_cbranch_scc0 .LBB95_4018
; %bb.4017:
	global_load_i8 v1, v[42:43], off
	s_wait_loadcnt 0x0
	v_bfe_i32 v38, v1, 0, 16
	s_delay_alu instid0(VALU_DEP_1)
	v_ashrrev_i32_e32 v39, 31, v38
	s_branch .LBB95_4019
.LBB95_4018:
	s_mov_b32 s0, -1
                                        ; implicit-def: $vgpr38_vgpr39
.LBB95_4019:
	s_delay_alu instid0(SALU_CYCLE_1)
	s_and_not1_b32 vcc_lo, exec_lo, s0
	s_cbranch_vccnz .LBB95_4021
; %bb.4020:
	global_load_u8 v1, v[42:43], off
	s_mov_b32 s0, 0
	s_wait_loadcnt 0x1
	v_mov_b32_e32 v39, s0
	s_wait_loadcnt 0x0
	v_and_b32_e32 v38, 0xffff, v1
.LBB95_4021:
	s_mov_b32 s9, -1
.LBB95_4022:
	s_delay_alu instid0(SALU_CYCLE_1)
	s_and_not1_b32 vcc_lo, exec_lo, s9
	s_cbranch_vccnz .LBB95_4417
; %bb.4023:
	v_mov_b32_e32 v37, 0
	s_and_b32 s57, 0xffff, s47
	s_delay_alu instid0(SALU_CYCLE_1) | instskip(SKIP_1) | instid1(VALU_DEP_1)
	s_cmp_lt_i32 s57, 11
	s_wait_xcnt 0x0
	v_add_nc_u64_e32 v[42:43], s[12:13], v[36:37]
	s_cbranch_scc1 .LBB95_4030
; %bb.4024:
	s_cmp_gt_i32 s57, 25
	s_mov_b32 s1, 0
	s_cbranch_scc0 .LBB95_4031
; %bb.4025:
	s_cmp_gt_i32 s57, 28
	s_cbranch_scc0 .LBB95_4032
; %bb.4026:
	s_cmp_gt_i32 s57, 43
	;; [unrolled: 3-line block ×3, first 2 shown]
	s_cbranch_scc0 .LBB95_4035
; %bb.4028:
	s_cmp_eq_u32 s57, 46
	s_mov_b32 s22, 0
	s_cbranch_scc0 .LBB95_4038
; %bb.4029:
	global_load_b32 v1, v[42:43], off
	s_mov_b32 s0, 0
	s_mov_b32 s9, -1
	s_wait_loadcnt 0x0
	v_lshlrev_b32_e32 v1, 16, v1
	s_delay_alu instid0(VALU_DEP_1) | instskip(NEXT) | instid1(VALU_DEP_1)
	v_trunc_f32_e32 v1, v1
	v_mul_f32_e64 v3, 0x2f800000, |v1|
	v_ashrrev_i32_e32 v36, 31, v1
	s_delay_alu instid0(VALU_DEP_2) | instskip(NEXT) | instid1(VALU_DEP_2)
	v_floor_f32_e32 v3, v3
	v_mov_b32_e32 v37, v36
	s_delay_alu instid0(VALU_DEP_2) | instskip(SKIP_1) | instid1(VALU_DEP_2)
	v_fma_f32 v5, 0xcf800000, v3, |v1|
	v_cvt_u32_f32_e32 v1, v3
	v_cvt_u32_f32_e32 v3, v5
	s_delay_alu instid0(VALU_DEP_2) | instskip(NEXT) | instid1(VALU_DEP_2)
	v_xor_b32_e32 v45, v1, v36
	v_xor_b32_e32 v44, v3, v36
	s_delay_alu instid0(VALU_DEP_1)
	v_sub_nc_u64_e32 v[36:37], v[44:45], v[36:37]
	s_branch .LBB95_4040
.LBB95_4030:
	s_mov_b32 s0, -1
	s_mov_b32 s9, 0
                                        ; implicit-def: $vgpr36_vgpr37
	s_branch .LBB95_4102
.LBB95_4031:
	s_mov_b32 s22, -1
	s_mov_b32 s9, 0
	s_mov_b32 s0, 0
                                        ; implicit-def: $vgpr36_vgpr37
	s_branch .LBB95_4067
.LBB95_4032:
	s_mov_b32 s22, -1
	s_mov_b32 s9, 0
	s_mov_b32 s0, 0
                                        ; implicit-def: $vgpr36_vgpr37
	s_branch .LBB95_4050
.LBB95_4033:
	s_mov_b32 s22, -1
	s_mov_b32 s9, 0
	s_mov_b32 s0, 0
                                        ; implicit-def: $vgpr36_vgpr37
	s_branch .LBB95_4045
.LBB95_4034:
	s_or_b32 s43, s43, exec_lo
	s_trap 2
	s_cbranch_execz .LBB95_3971
	s_branch .LBB95_3972
.LBB95_4035:
	s_mov_b32 s22, -1
	s_mov_b32 s9, 0
	s_mov_b32 s0, 0
	s_branch .LBB95_4039
.LBB95_4036:
	s_or_b32 exec_lo, exec_lo, s39
	s_branch .LBB95_650
.LBB95_4037:
	s_or_b32 s37, s33, exec_lo
	s_trap 2
                                        ; implicit-def: $vgpr6
                                        ; implicit-def: $vgpr34
                                        ; implicit-def: $vgpr32
                                        ; implicit-def: $vgpr38
                                        ; implicit-def: $vgpr36
                                        ; implicit-def: $vgpr4
                                        ; implicit-def: $vgpr40
                                        ; implicit-def: $vgpr24
                                        ; implicit-def: $vgpr22
                                        ; implicit-def: $vgpr28
                                        ; implicit-def: $vgpr26
                                        ; implicit-def: $vgpr2
                                        ; implicit-def: $vgpr30
                                        ; implicit-def: $vgpr14
                                        ; implicit-def: $vgpr10
                                        ; implicit-def: $vgpr18
                                        ; implicit-def: $vgpr16
                                        ; implicit-def: $vgpr0
                                        ; implicit-def: $vgpr20
                                        ; implicit-def: $vgpr8_vgpr9
                                        ; implicit-def: $vgpr12_vgpr13
                                        ; implicit-def: $vgpr46_vgpr47
                                        ; implicit-def: $vgpr44_vgpr45
                                        ; implicit-def: $vgpr48_vgpr49
	s_branch .LBB95_3527
.LBB95_4038:
	s_mov_b32 s0, -1
	s_mov_b32 s9, 0
.LBB95_4039:
                                        ; implicit-def: $vgpr36_vgpr37
.LBB95_4040:
	s_and_b32 vcc_lo, exec_lo, s22
	s_cbranch_vccz .LBB95_4044
; %bb.4041:
	s_cmp_eq_u32 s57, 44
	s_cbranch_scc0 .LBB95_4043
; %bb.4042:
	global_load_u8 v1, v[42:43], off
	s_mov_b32 s0, 0
	s_mov_b32 s9, -1
	s_wait_loadcnt 0x0
	v_lshlrev_b32_e32 v3, 23, v1
	v_cmp_ne_u32_e32 vcc_lo, 0, v1
	s_delay_alu instid0(VALU_DEP_2) | instskip(NEXT) | instid1(VALU_DEP_1)
	v_trunc_f32_e32 v3, v3
	v_mul_f32_e64 v5, 0x2f800000, |v3|
	v_ashrrev_i32_e32 v36, 31, v3
	s_delay_alu instid0(VALU_DEP_2) | instskip(NEXT) | instid1(VALU_DEP_2)
	v_floor_f32_e32 v5, v5
	v_mov_b32_e32 v37, v36
	s_delay_alu instid0(VALU_DEP_2) | instskip(SKIP_1) | instid1(VALU_DEP_2)
	v_fma_f32 v7, 0xcf800000, v5, |v3|
	v_cvt_u32_f32_e32 v3, v5
	v_cvt_u32_f32_e32 v5, v7
	s_delay_alu instid0(VALU_DEP_2) | instskip(NEXT) | instid1(VALU_DEP_2)
	v_xor_b32_e32 v45, v3, v36
	v_xor_b32_e32 v44, v5, v36
	s_delay_alu instid0(VALU_DEP_1) | instskip(NEXT) | instid1(VALU_DEP_1)
	v_sub_nc_u64_e32 v[36:37], v[44:45], v[36:37]
	v_dual_cndmask_b32 v37, 0, v37 :: v_dual_cndmask_b32 v36, 0, v36
	s_branch .LBB95_4044
.LBB95_4043:
	s_mov_b32 s0, -1
                                        ; implicit-def: $vgpr36_vgpr37
.LBB95_4044:
	s_mov_b32 s22, 0
.LBB95_4045:
	s_delay_alu instid0(SALU_CYCLE_1)
	s_and_b32 vcc_lo, exec_lo, s22
	s_cbranch_vccz .LBB95_4049
; %bb.4046:
	s_cmp_eq_u32 s57, 29
	s_cbranch_scc0 .LBB95_4048
; %bb.4047:
	global_load_b64 v[36:37], v[42:43], off
	s_mov_b32 s0, 0
	s_mov_b32 s9, -1
	s_branch .LBB95_4049
.LBB95_4048:
	s_mov_b32 s0, -1
                                        ; implicit-def: $vgpr36_vgpr37
.LBB95_4049:
	s_mov_b32 s22, 0
.LBB95_4050:
	s_delay_alu instid0(SALU_CYCLE_1)
	s_and_b32 vcc_lo, exec_lo, s22
	s_cbranch_vccz .LBB95_4066
; %bb.4051:
	s_cmp_lt_i32 s57, 27
	s_cbranch_scc1 .LBB95_4054
; %bb.4052:
	s_cmp_gt_i32 s57, 27
	s_cbranch_scc0 .LBB95_4055
; %bb.4053:
	s_wait_loadcnt 0x0
	global_load_b32 v36, v[42:43], off
	v_mov_b32_e32 v37, 0
	s_mov_b32 s9, 0
	s_branch .LBB95_4056
.LBB95_4054:
	s_mov_b32 s9, -1
                                        ; implicit-def: $vgpr36_vgpr37
	s_branch .LBB95_4059
.LBB95_4055:
	s_mov_b32 s9, -1
                                        ; implicit-def: $vgpr36_vgpr37
.LBB95_4056:
	s_delay_alu instid0(SALU_CYCLE_1)
	s_and_not1_b32 vcc_lo, exec_lo, s9
	s_cbranch_vccnz .LBB95_4058
; %bb.4057:
	global_load_u16 v1, v[42:43], off
	s_mov_b32 s9, 0
	s_wait_loadcnt 0x1
	v_mov_b32_e32 v37, s9
	s_wait_loadcnt 0x0
	v_and_b32_e32 v36, 0xffff, v1
.LBB95_4058:
	s_mov_b32 s9, 0
.LBB95_4059:
	s_delay_alu instid0(SALU_CYCLE_1)
	s_and_not1_b32 vcc_lo, exec_lo, s9
	s_cbranch_vccnz .LBB95_4065
; %bb.4060:
	global_load_u8 v1, v[42:43], off
	s_mov_b32 s22, 0
	s_mov_b32 s9, exec_lo
	s_wait_loadcnt 0x0
	v_cmpx_lt_i16_e32 0x7f, v1
	s_xor_b32 s9, exec_lo, s9
	s_cbranch_execz .LBB95_4077
; %bb.4061:
	v_cmp_ne_u16_e32 vcc_lo, 0x80, v1
	s_and_b32 s22, vcc_lo, exec_lo
	s_and_not1_saveexec_b32 s9, s9
	s_cbranch_execnz .LBB95_4078
.LBB95_4062:
	s_or_b32 exec_lo, exec_lo, s9
	v_mov_b64_e32 v[36:37], 0
	s_and_saveexec_b32 s9, s22
	s_cbranch_execz .LBB95_4064
.LBB95_4063:
	v_and_b32_e32 v3, 0xffff, v1
	s_delay_alu instid0(VALU_DEP_1) | instskip(SKIP_1) | instid1(VALU_DEP_2)
	v_dual_lshlrev_b32 v1, 24, v1 :: v_dual_bitop2_b32 v5, 7, v3 bitop3:0x40
	v_bfe_u32 v15, v3, 3, 4
	v_and_b32_e32 v1, 0x80000000, v1
	s_delay_alu instid0(VALU_DEP_3) | instskip(NEXT) | instid1(VALU_DEP_3)
	v_clz_i32_u32_e32 v7, v5
	v_cmp_eq_u32_e32 vcc_lo, 0, v15
	s_delay_alu instid0(VALU_DEP_2) | instskip(NEXT) | instid1(VALU_DEP_1)
	v_min_u32_e32 v7, 32, v7
	v_subrev_nc_u32_e32 v11, 28, v7
	v_sub_nc_u32_e32 v7, 29, v7
	s_delay_alu instid0(VALU_DEP_2) | instskip(NEXT) | instid1(VALU_DEP_2)
	v_lshlrev_b32_e32 v3, v11, v3
	v_cndmask_b32_e32 v7, v15, v7, vcc_lo
	s_delay_alu instid0(VALU_DEP_2) | instskip(NEXT) | instid1(VALU_DEP_1)
	v_and_b32_e32 v3, 7, v3
	v_cndmask_b32_e32 v3, v5, v3, vcc_lo
	s_delay_alu instid0(VALU_DEP_3) | instskip(NEXT) | instid1(VALU_DEP_2)
	v_lshl_add_u32 v5, v7, 23, 0x3b800000
	v_lshlrev_b32_e32 v3, 20, v3
	s_delay_alu instid0(VALU_DEP_1) | instskip(NEXT) | instid1(VALU_DEP_1)
	v_or3_b32 v1, v1, v5, v3
	v_trunc_f32_e32 v1, v1
	s_delay_alu instid0(VALU_DEP_1) | instskip(SKIP_1) | instid1(VALU_DEP_2)
	v_mul_f32_e64 v3, 0x2f800000, |v1|
	v_ashrrev_i32_e32 v36, 31, v1
	v_floor_f32_e32 v3, v3
	s_delay_alu instid0(VALU_DEP_2) | instskip(NEXT) | instid1(VALU_DEP_2)
	v_mov_b32_e32 v37, v36
	v_fma_f32 v5, 0xcf800000, v3, |v1|
	v_cvt_u32_f32_e32 v1, v3
	s_delay_alu instid0(VALU_DEP_2) | instskip(NEXT) | instid1(VALU_DEP_2)
	v_cvt_u32_f32_e32 v3, v5
	v_xor_b32_e32 v45, v1, v36
	s_delay_alu instid0(VALU_DEP_2) | instskip(NEXT) | instid1(VALU_DEP_1)
	v_xor_b32_e32 v44, v3, v36
	v_sub_nc_u64_e32 v[36:37], v[44:45], v[36:37]
.LBB95_4064:
	s_or_b32 exec_lo, exec_lo, s9
.LBB95_4065:
	s_mov_b32 s9, -1
.LBB95_4066:
	s_mov_b32 s22, 0
.LBB95_4067:
	s_delay_alu instid0(SALU_CYCLE_1)
	s_and_b32 vcc_lo, exec_lo, s22
	s_cbranch_vccz .LBB95_4098
; %bb.4068:
	s_cmp_gt_i32 s57, 22
	s_cbranch_scc0 .LBB95_4076
; %bb.4069:
	s_cmp_lt_i32 s57, 24
	s_cbranch_scc1 .LBB95_4079
; %bb.4070:
	s_cmp_gt_i32 s57, 24
	s_cbranch_scc0 .LBB95_4080
; %bb.4071:
	global_load_u8 v1, v[42:43], off
	s_mov_b32 s9, 0
	s_mov_b32 s1, exec_lo
	s_wait_loadcnt 0x0
	v_cmpx_lt_i16_e32 0x7f, v1
	s_xor_b32 s1, exec_lo, s1
	s_cbranch_execz .LBB95_4092
; %bb.4072:
	v_cmp_ne_u16_e32 vcc_lo, 0x80, v1
	s_and_b32 s9, vcc_lo, exec_lo
	s_and_not1_saveexec_b32 s1, s1
	s_cbranch_execnz .LBB95_4093
.LBB95_4073:
	s_or_b32 exec_lo, exec_lo, s1
	v_mov_b64_e32 v[36:37], 0
	s_and_saveexec_b32 s1, s9
	s_cbranch_execz .LBB95_4075
.LBB95_4074:
	v_and_b32_e32 v3, 0xffff, v1
	s_delay_alu instid0(VALU_DEP_1) | instskip(SKIP_1) | instid1(VALU_DEP_2)
	v_dual_lshlrev_b32 v1, 24, v1 :: v_dual_bitop2_b32 v5, 3, v3 bitop3:0x40
	v_bfe_u32 v15, v3, 2, 5
	v_and_b32_e32 v1, 0x80000000, v1
	s_delay_alu instid0(VALU_DEP_3) | instskip(NEXT) | instid1(VALU_DEP_3)
	v_clz_i32_u32_e32 v7, v5
	v_cmp_eq_u32_e32 vcc_lo, 0, v15
	s_delay_alu instid0(VALU_DEP_2) | instskip(NEXT) | instid1(VALU_DEP_1)
	v_min_u32_e32 v7, 32, v7
	v_subrev_nc_u32_e32 v11, 29, v7
	v_sub_nc_u32_e32 v7, 30, v7
	s_delay_alu instid0(VALU_DEP_2) | instskip(NEXT) | instid1(VALU_DEP_2)
	v_lshlrev_b32_e32 v3, v11, v3
	v_cndmask_b32_e32 v7, v15, v7, vcc_lo
	s_delay_alu instid0(VALU_DEP_2) | instskip(NEXT) | instid1(VALU_DEP_1)
	v_and_b32_e32 v3, 3, v3
	v_cndmask_b32_e32 v3, v5, v3, vcc_lo
	s_delay_alu instid0(VALU_DEP_3) | instskip(NEXT) | instid1(VALU_DEP_2)
	v_lshl_add_u32 v5, v7, 23, 0x37800000
	v_lshlrev_b32_e32 v3, 21, v3
	s_delay_alu instid0(VALU_DEP_1) | instskip(NEXT) | instid1(VALU_DEP_1)
	v_or3_b32 v1, v1, v5, v3
	v_trunc_f32_e32 v1, v1
	s_delay_alu instid0(VALU_DEP_1) | instskip(SKIP_1) | instid1(VALU_DEP_2)
	v_mul_f32_e64 v3, 0x2f800000, |v1|
	v_ashrrev_i32_e32 v36, 31, v1
	v_floor_f32_e32 v3, v3
	s_delay_alu instid0(VALU_DEP_2) | instskip(NEXT) | instid1(VALU_DEP_2)
	v_mov_b32_e32 v37, v36
	v_fma_f32 v5, 0xcf800000, v3, |v1|
	v_cvt_u32_f32_e32 v1, v3
	s_delay_alu instid0(VALU_DEP_2) | instskip(NEXT) | instid1(VALU_DEP_2)
	v_cvt_u32_f32_e32 v3, v5
	v_xor_b32_e32 v45, v1, v36
	s_delay_alu instid0(VALU_DEP_2) | instskip(NEXT) | instid1(VALU_DEP_1)
	v_xor_b32_e32 v44, v3, v36
	v_sub_nc_u64_e32 v[36:37], v[44:45], v[36:37]
.LBB95_4075:
	s_or_b32 exec_lo, exec_lo, s1
	s_mov_b32 s1, 0
	s_branch .LBB95_4081
.LBB95_4076:
	s_mov_b32 s1, -1
                                        ; implicit-def: $vgpr36_vgpr37
	s_branch .LBB95_4087
.LBB95_4077:
	s_and_not1_saveexec_b32 s9, s9
	s_cbranch_execz .LBB95_4062
.LBB95_4078:
	v_cmp_ne_u16_e32 vcc_lo, 0, v1
	s_and_not1_b32 s22, s22, exec_lo
	s_and_b32 s23, vcc_lo, exec_lo
	s_delay_alu instid0(SALU_CYCLE_1)
	s_or_b32 s22, s22, s23
	s_or_b32 exec_lo, exec_lo, s9
	v_mov_b64_e32 v[36:37], 0
	s_and_saveexec_b32 s9, s22
	s_cbranch_execnz .LBB95_4063
	s_branch .LBB95_4064
.LBB95_4079:
	s_mov_b32 s1, -1
                                        ; implicit-def: $vgpr36_vgpr37
	s_branch .LBB95_4084
.LBB95_4080:
	s_mov_b32 s1, -1
                                        ; implicit-def: $vgpr36_vgpr37
.LBB95_4081:
	s_delay_alu instid0(SALU_CYCLE_1)
	s_and_b32 vcc_lo, exec_lo, s1
	s_cbranch_vccz .LBB95_4083
; %bb.4082:
	global_load_u8 v1, v[42:43], off
	s_wait_loadcnt 0x0
	v_lshlrev_b32_e32 v1, 24, v1
	s_delay_alu instid0(VALU_DEP_1) | instskip(NEXT) | instid1(VALU_DEP_1)
	v_and_b32_e32 v3, 0x7f000000, v1
	v_clz_i32_u32_e32 v5, v3
	v_add_nc_u32_e32 v11, 0x1000000, v3
	v_cmp_ne_u32_e32 vcc_lo, 0, v3
	s_delay_alu instid0(VALU_DEP_3) | instskip(NEXT) | instid1(VALU_DEP_1)
	v_min_u32_e32 v5, 32, v5
	v_sub_nc_u32_e64 v5, v5, 4 clamp
	s_delay_alu instid0(VALU_DEP_1) | instskip(NEXT) | instid1(VALU_DEP_1)
	v_dual_lshlrev_b32 v7, v5, v3 :: v_dual_lshlrev_b32 v5, 23, v5
	v_lshrrev_b32_e32 v7, 4, v7
	s_delay_alu instid0(VALU_DEP_1) | instskip(NEXT) | instid1(VALU_DEP_1)
	v_dual_sub_nc_u32 v5, v7, v5 :: v_dual_ashrrev_i32 v7, 8, v11
	v_add_nc_u32_e32 v5, 0x3c000000, v5
	s_delay_alu instid0(VALU_DEP_1) | instskip(NEXT) | instid1(VALU_DEP_1)
	v_and_or_b32 v5, 0x7f800000, v7, v5
	v_cndmask_b32_e32 v3, 0, v5, vcc_lo
	s_delay_alu instid0(VALU_DEP_1) | instskip(NEXT) | instid1(VALU_DEP_1)
	v_and_or_b32 v1, 0x80000000, v1, v3
	v_trunc_f32_e32 v1, v1
	s_delay_alu instid0(VALU_DEP_1) | instskip(SKIP_1) | instid1(VALU_DEP_2)
	v_mul_f32_e64 v3, 0x2f800000, |v1|
	v_ashrrev_i32_e32 v36, 31, v1
	v_floor_f32_e32 v3, v3
	s_delay_alu instid0(VALU_DEP_2) | instskip(NEXT) | instid1(VALU_DEP_2)
	v_mov_b32_e32 v37, v36
	v_fma_f32 v5, 0xcf800000, v3, |v1|
	v_cvt_u32_f32_e32 v1, v3
	s_delay_alu instid0(VALU_DEP_2) | instskip(NEXT) | instid1(VALU_DEP_2)
	v_cvt_u32_f32_e32 v3, v5
	v_xor_b32_e32 v45, v1, v36
	s_delay_alu instid0(VALU_DEP_2) | instskip(NEXT) | instid1(VALU_DEP_1)
	v_xor_b32_e32 v44, v3, v36
	v_sub_nc_u64_e32 v[36:37], v[44:45], v[36:37]
.LBB95_4083:
	s_mov_b32 s1, 0
.LBB95_4084:
	s_delay_alu instid0(SALU_CYCLE_1)
	s_and_not1_b32 vcc_lo, exec_lo, s1
	s_cbranch_vccnz .LBB95_4086
; %bb.4085:
	global_load_u8 v1, v[42:43], off
	s_wait_loadcnt 0x0
	v_lshlrev_b32_e32 v3, 25, v1
	v_lshlrev_b16 v1, 8, v1
	s_delay_alu instid0(VALU_DEP_1) | instskip(SKIP_1) | instid1(VALU_DEP_2)
	v_and_or_b32 v7, 0x7f00, v1, 0.5
	v_bfe_i32 v1, v1, 0, 16
	v_add_f32_e32 v7, -0.5, v7
	v_lshrrev_b32_e32 v5, 4, v3
	v_cmp_gt_u32_e32 vcc_lo, 0x8000000, v3
	s_delay_alu instid0(VALU_DEP_2) | instskip(NEXT) | instid1(VALU_DEP_1)
	v_or_b32_e32 v5, 0x70000000, v5
	v_mul_f32_e32 v5, 0x7800000, v5
	s_delay_alu instid0(VALU_DEP_1) | instskip(NEXT) | instid1(VALU_DEP_1)
	v_cndmask_b32_e32 v3, v5, v7, vcc_lo
	v_and_or_b32 v1, 0x80000000, v1, v3
	s_delay_alu instid0(VALU_DEP_1) | instskip(NEXT) | instid1(VALU_DEP_1)
	v_trunc_f32_e32 v1, v1
	v_mul_f32_e64 v3, 0x2f800000, |v1|
	v_ashrrev_i32_e32 v36, 31, v1
	s_delay_alu instid0(VALU_DEP_2) | instskip(NEXT) | instid1(VALU_DEP_2)
	v_floor_f32_e32 v3, v3
	v_mov_b32_e32 v37, v36
	s_delay_alu instid0(VALU_DEP_2) | instskip(SKIP_1) | instid1(VALU_DEP_2)
	v_fma_f32 v5, 0xcf800000, v3, |v1|
	v_cvt_u32_f32_e32 v1, v3
	v_cvt_u32_f32_e32 v3, v5
	s_delay_alu instid0(VALU_DEP_2) | instskip(NEXT) | instid1(VALU_DEP_2)
	v_xor_b32_e32 v45, v1, v36
	v_xor_b32_e32 v44, v3, v36
	s_delay_alu instid0(VALU_DEP_1)
	v_sub_nc_u64_e32 v[36:37], v[44:45], v[36:37]
.LBB95_4086:
	s_mov_b32 s1, 0
	s_mov_b32 s9, -1
.LBB95_4087:
	s_and_not1_b32 vcc_lo, exec_lo, s1
	s_mov_b32 s1, 0
	s_cbranch_vccnz .LBB95_4098
; %bb.4088:
	s_cmp_gt_i32 s57, 14
	s_cbranch_scc0 .LBB95_4091
; %bb.4089:
	s_cmp_eq_u32 s57, 15
	s_cbranch_scc0 .LBB95_4094
; %bb.4090:
	global_load_u16 v1, v[42:43], off
	s_mov_b32 s0, 0
	s_mov_b32 s9, -1
	s_wait_loadcnt 0x0
	v_lshlrev_b32_e32 v1, 16, v1
	s_delay_alu instid0(VALU_DEP_1) | instskip(NEXT) | instid1(VALU_DEP_1)
	v_trunc_f32_e32 v1, v1
	v_mul_f32_e64 v3, 0x2f800000, |v1|
	v_ashrrev_i32_e32 v36, 31, v1
	s_delay_alu instid0(VALU_DEP_2) | instskip(NEXT) | instid1(VALU_DEP_2)
	v_floor_f32_e32 v3, v3
	v_mov_b32_e32 v37, v36
	s_delay_alu instid0(VALU_DEP_2) | instskip(SKIP_1) | instid1(VALU_DEP_2)
	v_fma_f32 v5, 0xcf800000, v3, |v1|
	v_cvt_u32_f32_e32 v1, v3
	v_cvt_u32_f32_e32 v3, v5
	s_delay_alu instid0(VALU_DEP_2) | instskip(NEXT) | instid1(VALU_DEP_2)
	v_xor_b32_e32 v45, v1, v36
	v_xor_b32_e32 v44, v3, v36
	s_delay_alu instid0(VALU_DEP_1)
	v_sub_nc_u64_e32 v[36:37], v[44:45], v[36:37]
	s_branch .LBB95_4096
.LBB95_4091:
	s_mov_b32 s1, -1
	s_branch .LBB95_4095
.LBB95_4092:
	s_and_not1_saveexec_b32 s1, s1
	s_cbranch_execz .LBB95_4073
.LBB95_4093:
	v_cmp_ne_u16_e32 vcc_lo, 0, v1
	s_and_not1_b32 s9, s9, exec_lo
	s_and_b32 s22, vcc_lo, exec_lo
	s_delay_alu instid0(SALU_CYCLE_1)
	s_or_b32 s9, s9, s22
	s_or_b32 exec_lo, exec_lo, s1
	v_mov_b64_e32 v[36:37], 0
	s_and_saveexec_b32 s1, s9
	s_cbranch_execnz .LBB95_4074
	s_branch .LBB95_4075
.LBB95_4094:
	s_mov_b32 s0, -1
.LBB95_4095:
                                        ; implicit-def: $vgpr36_vgpr37
.LBB95_4096:
	s_and_b32 vcc_lo, exec_lo, s1
	s_mov_b32 s1, 0
	s_cbranch_vccz .LBB95_4098
; %bb.4097:
	s_cmp_lg_u32 s57, 11
	s_mov_b32 s1, -1
	s_cselect_b32 s0, -1, 0
.LBB95_4098:
	s_delay_alu instid0(SALU_CYCLE_1)
	s_and_b32 vcc_lo, exec_lo, s0
	s_cbranch_vccnz .LBB95_4163
; %bb.4099:
	s_and_not1_b32 vcc_lo, exec_lo, s1
	s_cbranch_vccnz .LBB95_4101
.LBB95_4100:
	global_load_u8 v1, v[42:43], off
	s_mov_b32 s0, 0
	s_mov_b32 s9, -1
	s_wait_loadcnt 0x1
	v_mov_b32_e32 v37, s0
	s_wait_loadcnt 0x0
	v_cmp_ne_u16_e32 vcc_lo, 0, v1
	v_cndmask_b32_e64 v36, 0, 1, vcc_lo
.LBB95_4101:
	s_mov_b32 s0, 0
.LBB95_4102:
	s_delay_alu instid0(SALU_CYCLE_1)
	s_and_b32 vcc_lo, exec_lo, s0
	s_cbranch_vccz .LBB95_4151
; %bb.4103:
	s_cmp_lt_i32 s57, 5
	s_cbranch_scc1 .LBB95_4108
; %bb.4104:
	s_cmp_lt_i32 s57, 8
	s_cbranch_scc1 .LBB95_4109
	;; [unrolled: 3-line block ×3, first 2 shown]
; %bb.4106:
	s_cmp_gt_i32 s57, 9
	s_cbranch_scc0 .LBB95_4111
; %bb.4107:
	s_wait_loadcnt 0x0
	global_load_b64 v[36:37], v[42:43], off
	s_mov_b32 s0, 0
	s_wait_loadcnt 0x0
	v_trunc_f64_e32 v[36:37], v[36:37]
	s_delay_alu instid0(VALU_DEP_1) | instskip(NEXT) | instid1(VALU_DEP_1)
	v_ldexp_f64 v[44:45], v[36:37], 0xffffffe0
	v_floor_f64_e32 v[44:45], v[44:45]
	s_delay_alu instid0(VALU_DEP_1) | instskip(SKIP_1) | instid1(VALU_DEP_2)
	v_fmamk_f64 v[46:47], v[44:45], 0xc1f00000, v[36:37]
	v_cvt_i32_f64_e32 v37, v[44:45]
	v_cvt_u32_f64_e32 v36, v[46:47]
	s_branch .LBB95_4112
.LBB95_4108:
	s_mov_b32 s0, -1
                                        ; implicit-def: $vgpr36_vgpr37
	s_branch .LBB95_4130
.LBB95_4109:
	s_mov_b32 s0, -1
                                        ; implicit-def: $vgpr36_vgpr37
	s_branch .LBB95_4118
.LBB95_4110:
	s_mov_b32 s0, -1
                                        ; implicit-def: $vgpr36_vgpr37
	s_branch .LBB95_4115
.LBB95_4111:
	s_mov_b32 s0, -1
                                        ; implicit-def: $vgpr36_vgpr37
.LBB95_4112:
	s_delay_alu instid0(SALU_CYCLE_1)
	s_and_not1_b32 vcc_lo, exec_lo, s0
	s_cbranch_vccnz .LBB95_4114
; %bb.4113:
	global_load_b32 v1, v[42:43], off
	s_wait_loadcnt 0x0
	v_trunc_f32_e32 v1, v1
	s_delay_alu instid0(VALU_DEP_1) | instskip(SKIP_1) | instid1(VALU_DEP_2)
	v_mul_f32_e64 v3, 0x2f800000, |v1|
	v_ashrrev_i32_e32 v36, 31, v1
	v_floor_f32_e32 v3, v3
	s_delay_alu instid0(VALU_DEP_1) | instskip(SKIP_1) | instid1(VALU_DEP_4)
	v_fma_f32 v5, 0xcf800000, v3, |v1|
	v_cvt_u32_f32_e32 v1, v3
	v_mov_b32_e32 v37, v36
	s_delay_alu instid0(VALU_DEP_3) | instskip(NEXT) | instid1(VALU_DEP_3)
	v_cvt_u32_f32_e32 v3, v5
	v_xor_b32_e32 v45, v1, v36
	s_delay_alu instid0(VALU_DEP_2) | instskip(NEXT) | instid1(VALU_DEP_1)
	v_xor_b32_e32 v44, v3, v36
	v_sub_nc_u64_e32 v[36:37], v[44:45], v[36:37]
.LBB95_4114:
	s_mov_b32 s0, 0
.LBB95_4115:
	s_delay_alu instid0(SALU_CYCLE_1)
	s_and_not1_b32 vcc_lo, exec_lo, s0
	s_cbranch_vccnz .LBB95_4117
; %bb.4116:
	global_load_b32 v1, v[42:43], off
	s_wait_loadcnt 0x0
	v_cvt_f32_f16_e32 v1, v1
	s_delay_alu instid0(VALU_DEP_1) | instskip(NEXT) | instid1(VALU_DEP_1)
	v_cvt_i32_f32_e32 v36, v1
	v_ashrrev_i32_e32 v37, 31, v36
.LBB95_4117:
	s_mov_b32 s0, 0
.LBB95_4118:
	s_delay_alu instid0(SALU_CYCLE_1)
	s_and_not1_b32 vcc_lo, exec_lo, s0
	s_cbranch_vccnz .LBB95_4129
; %bb.4119:
	s_cmp_lt_i32 s57, 6
	s_cbranch_scc1 .LBB95_4122
; %bb.4120:
	s_cmp_gt_i32 s57, 6
	s_cbranch_scc0 .LBB95_4123
; %bb.4121:
	s_wait_loadcnt 0x0
	global_load_b64 v[36:37], v[42:43], off
	s_mov_b32 s0, 0
	s_wait_loadcnt 0x0
	v_trunc_f64_e32 v[36:37], v[36:37]
	s_delay_alu instid0(VALU_DEP_1) | instskip(NEXT) | instid1(VALU_DEP_1)
	v_ldexp_f64 v[44:45], v[36:37], 0xffffffe0
	v_floor_f64_e32 v[44:45], v[44:45]
	s_delay_alu instid0(VALU_DEP_1) | instskip(SKIP_1) | instid1(VALU_DEP_2)
	v_fmamk_f64 v[46:47], v[44:45], 0xc1f00000, v[36:37]
	v_cvt_i32_f64_e32 v37, v[44:45]
	v_cvt_u32_f64_e32 v36, v[46:47]
	s_branch .LBB95_4124
.LBB95_4122:
	s_mov_b32 s0, -1
                                        ; implicit-def: $vgpr36_vgpr37
	s_branch .LBB95_4127
.LBB95_4123:
	s_mov_b32 s0, -1
                                        ; implicit-def: $vgpr36_vgpr37
.LBB95_4124:
	s_delay_alu instid0(SALU_CYCLE_1)
	s_and_not1_b32 vcc_lo, exec_lo, s0
	s_cbranch_vccnz .LBB95_4126
; %bb.4125:
	global_load_b32 v1, v[42:43], off
	s_wait_loadcnt 0x0
	v_trunc_f32_e32 v1, v1
	s_delay_alu instid0(VALU_DEP_1) | instskip(SKIP_1) | instid1(VALU_DEP_2)
	v_mul_f32_e64 v3, 0x2f800000, |v1|
	v_ashrrev_i32_e32 v36, 31, v1
	v_floor_f32_e32 v3, v3
	s_delay_alu instid0(VALU_DEP_1) | instskip(SKIP_1) | instid1(VALU_DEP_4)
	v_fma_f32 v5, 0xcf800000, v3, |v1|
	v_cvt_u32_f32_e32 v1, v3
	v_mov_b32_e32 v37, v36
	s_delay_alu instid0(VALU_DEP_3) | instskip(NEXT) | instid1(VALU_DEP_3)
	v_cvt_u32_f32_e32 v3, v5
	v_xor_b32_e32 v45, v1, v36
	s_delay_alu instid0(VALU_DEP_2) | instskip(NEXT) | instid1(VALU_DEP_1)
	v_xor_b32_e32 v44, v3, v36
	v_sub_nc_u64_e32 v[36:37], v[44:45], v[36:37]
.LBB95_4126:
	s_mov_b32 s0, 0
.LBB95_4127:
	s_delay_alu instid0(SALU_CYCLE_1)
	s_and_not1_b32 vcc_lo, exec_lo, s0
	s_cbranch_vccnz .LBB95_4129
; %bb.4128:
	global_load_u16 v1, v[42:43], off
	s_wait_loadcnt 0x0
	v_cvt_f32_f16_e32 v1, v1
	s_delay_alu instid0(VALU_DEP_1) | instskip(NEXT) | instid1(VALU_DEP_1)
	v_cvt_i32_f32_e32 v36, v1
	v_ashrrev_i32_e32 v37, 31, v36
.LBB95_4129:
	s_mov_b32 s0, 0
.LBB95_4130:
	s_delay_alu instid0(SALU_CYCLE_1)
	s_and_not1_b32 vcc_lo, exec_lo, s0
	s_cbranch_vccnz .LBB95_4150
; %bb.4131:
	s_cmp_lt_i32 s57, 2
	s_cbranch_scc1 .LBB95_4135
; %bb.4132:
	s_cmp_lt_i32 s57, 3
	s_cbranch_scc1 .LBB95_4136
; %bb.4133:
	s_cmp_gt_i32 s57, 3
	s_cbranch_scc0 .LBB95_4137
; %bb.4134:
	s_wait_loadcnt 0x0
	global_load_b64 v[36:37], v[42:43], off
	s_mov_b32 s0, 0
	s_branch .LBB95_4138
.LBB95_4135:
	s_mov_b32 s0, -1
                                        ; implicit-def: $vgpr36_vgpr37
	s_branch .LBB95_4144
.LBB95_4136:
	s_mov_b32 s0, -1
                                        ; implicit-def: $vgpr36_vgpr37
	s_branch .LBB95_4141
.LBB95_4137:
	s_mov_b32 s0, -1
                                        ; implicit-def: $vgpr36_vgpr37
.LBB95_4138:
	s_delay_alu instid0(SALU_CYCLE_1)
	s_and_not1_b32 vcc_lo, exec_lo, s0
	s_cbranch_vccnz .LBB95_4140
; %bb.4139:
	s_wait_loadcnt 0x0
	global_load_b32 v36, v[42:43], off
	s_wait_loadcnt 0x0
	v_ashrrev_i32_e32 v37, 31, v36
.LBB95_4140:
	s_mov_b32 s0, 0
.LBB95_4141:
	s_delay_alu instid0(SALU_CYCLE_1)
	s_and_not1_b32 vcc_lo, exec_lo, s0
	s_cbranch_vccnz .LBB95_4143
; %bb.4142:
	global_load_u16 v1, v[42:43], off
	s_wait_loadcnt 0x0
	v_bfe_i32 v36, v1, 0, 16
	s_delay_alu instid0(VALU_DEP_1)
	v_ashrrev_i32_e32 v37, 31, v36
.LBB95_4143:
	s_mov_b32 s0, 0
.LBB95_4144:
	s_delay_alu instid0(SALU_CYCLE_1)
	s_and_not1_b32 vcc_lo, exec_lo, s0
	s_cbranch_vccnz .LBB95_4150
; %bb.4145:
	s_cmp_gt_i32 s57, 0
	s_mov_b32 s0, 0
	s_cbranch_scc0 .LBB95_4147
; %bb.4146:
	global_load_i8 v1, v[42:43], off
	s_wait_loadcnt 0x0
	v_bfe_i32 v36, v1, 0, 16
	s_delay_alu instid0(VALU_DEP_1)
	v_ashrrev_i32_e32 v37, 31, v36
	s_branch .LBB95_4148
.LBB95_4147:
	s_mov_b32 s0, -1
                                        ; implicit-def: $vgpr36_vgpr37
.LBB95_4148:
	s_delay_alu instid0(SALU_CYCLE_1)
	s_and_not1_b32 vcc_lo, exec_lo, s0
	s_cbranch_vccnz .LBB95_4150
; %bb.4149:
	global_load_u8 v1, v[42:43], off
	s_mov_b32 s0, 0
	s_wait_loadcnt 0x1
	v_mov_b32_e32 v37, s0
	s_wait_loadcnt 0x0
	v_and_b32_e32 v36, 0xffff, v1
.LBB95_4150:
	s_mov_b32 s9, -1
.LBB95_4151:
	s_delay_alu instid0(SALU_CYCLE_1)
	s_and_not1_b32 vcc_lo, exec_lo, s9
	s_cbranch_vccnz .LBB95_4417
; %bb.4152:
	v_mov_b32_e32 v35, 0
	s_and_b32 s58, 0xffff, s48
	s_delay_alu instid0(SALU_CYCLE_1) | instskip(SKIP_1) | instid1(VALU_DEP_1)
	s_cmp_lt_i32 s58, 11
	s_wait_xcnt 0x0
	v_add_nc_u64_e32 v[42:43], s[14:15], v[34:35]
	s_cbranch_scc1 .LBB95_4159
; %bb.4153:
	s_cmp_gt_i32 s58, 25
	s_mov_b32 s1, 0
	s_cbranch_scc0 .LBB95_4160
; %bb.4154:
	s_cmp_gt_i32 s58, 28
	s_cbranch_scc0 .LBB95_4161
; %bb.4155:
	s_cmp_gt_i32 s58, 43
	;; [unrolled: 3-line block ×3, first 2 shown]
	s_cbranch_scc0 .LBB95_4164
; %bb.4157:
	s_cmp_eq_u32 s58, 46
	s_mov_b32 s22, 0
	s_cbranch_scc0 .LBB95_4167
; %bb.4158:
	global_load_b32 v1, v[42:43], off
	s_mov_b32 s0, 0
	s_mov_b32 s9, -1
	s_wait_loadcnt 0x0
	v_lshlrev_b32_e32 v1, 16, v1
	s_delay_alu instid0(VALU_DEP_1) | instskip(NEXT) | instid1(VALU_DEP_1)
	v_trunc_f32_e32 v1, v1
	v_mul_f32_e64 v3, 0x2f800000, |v1|
	v_ashrrev_i32_e32 v34, 31, v1
	s_delay_alu instid0(VALU_DEP_2) | instskip(NEXT) | instid1(VALU_DEP_2)
	v_floor_f32_e32 v3, v3
	v_mov_b32_e32 v35, v34
	s_delay_alu instid0(VALU_DEP_2) | instskip(SKIP_1) | instid1(VALU_DEP_2)
	v_fma_f32 v5, 0xcf800000, v3, |v1|
	v_cvt_u32_f32_e32 v1, v3
	v_cvt_u32_f32_e32 v3, v5
	s_delay_alu instid0(VALU_DEP_2) | instskip(NEXT) | instid1(VALU_DEP_2)
	v_xor_b32_e32 v45, v1, v34
	v_xor_b32_e32 v44, v3, v34
	s_delay_alu instid0(VALU_DEP_1)
	v_sub_nc_u64_e32 v[34:35], v[44:45], v[34:35]
	s_branch .LBB95_4169
.LBB95_4159:
	s_mov_b32 s0, -1
	s_mov_b32 s9, 0
                                        ; implicit-def: $vgpr34_vgpr35
	s_branch .LBB95_4231
.LBB95_4160:
	s_mov_b32 s22, -1
	s_mov_b32 s9, 0
	s_mov_b32 s0, 0
                                        ; implicit-def: $vgpr34_vgpr35
	s_branch .LBB95_4196
.LBB95_4161:
	s_mov_b32 s22, -1
	s_mov_b32 s9, 0
	s_mov_b32 s0, 0
                                        ; implicit-def: $vgpr34_vgpr35
	s_branch .LBB95_4179
.LBB95_4162:
	s_mov_b32 s22, -1
	s_mov_b32 s9, 0
	s_mov_b32 s0, 0
                                        ; implicit-def: $vgpr34_vgpr35
	s_branch .LBB95_4174
.LBB95_4163:
	s_or_b32 s43, s43, exec_lo
	s_trap 2
	s_cbranch_execz .LBB95_4100
	s_branch .LBB95_4101
.LBB95_4164:
	s_mov_b32 s22, -1
	s_mov_b32 s9, 0
	s_mov_b32 s0, 0
	s_branch .LBB95_4168
.LBB95_4165:
	s_or_b32 exec_lo, exec_lo, s93
	s_branch .LBB95_1325
.LBB95_4166:
	s_or_b32 s39, s37, exec_lo
	s_trap 2
                                        ; implicit-def: $vgpr6
                                        ; implicit-def: $vgpr34
                                        ; implicit-def: $vgpr32
                                        ; implicit-def: $vgpr38
                                        ; implicit-def: $vgpr36
                                        ; implicit-def: $vgpr4
                                        ; implicit-def: $vgpr40
                                        ; implicit-def: $vgpr24
                                        ; implicit-def: $vgpr22
                                        ; implicit-def: $vgpr28
                                        ; implicit-def: $vgpr26
                                        ; implicit-def: $vgpr2
                                        ; implicit-def: $vgpr30
                                        ; implicit-def: $vgpr14
                                        ; implicit-def: $vgpr10
                                        ; implicit-def: $vgpr18
                                        ; implicit-def: $vgpr16
                                        ; implicit-def: $vgpr0
                                        ; implicit-def: $vgpr20
                                        ; implicit-def: $vgpr8_vgpr9
                                        ; implicit-def: $vgpr12_vgpr13
                                        ; implicit-def: $vgpr46_vgpr47
                                        ; implicit-def: $vgpr44_vgpr45
                                        ; implicit-def: $vgpr48_vgpr49
	s_branch .LBB95_3529
.LBB95_4167:
	s_mov_b32 s0, -1
	s_mov_b32 s9, 0
.LBB95_4168:
                                        ; implicit-def: $vgpr34_vgpr35
.LBB95_4169:
	s_and_b32 vcc_lo, exec_lo, s22
	s_cbranch_vccz .LBB95_4173
; %bb.4170:
	s_cmp_eq_u32 s58, 44
	s_cbranch_scc0 .LBB95_4172
; %bb.4171:
	global_load_u8 v1, v[42:43], off
	s_mov_b32 s0, 0
	s_mov_b32 s9, -1
	s_wait_loadcnt 0x0
	v_lshlrev_b32_e32 v3, 23, v1
	v_cmp_ne_u32_e32 vcc_lo, 0, v1
	s_delay_alu instid0(VALU_DEP_2) | instskip(NEXT) | instid1(VALU_DEP_1)
	v_trunc_f32_e32 v3, v3
	v_mul_f32_e64 v5, 0x2f800000, |v3|
	v_ashrrev_i32_e32 v34, 31, v3
	s_delay_alu instid0(VALU_DEP_2) | instskip(NEXT) | instid1(VALU_DEP_2)
	v_floor_f32_e32 v5, v5
	v_mov_b32_e32 v35, v34
	s_delay_alu instid0(VALU_DEP_2) | instskip(SKIP_1) | instid1(VALU_DEP_2)
	v_fma_f32 v7, 0xcf800000, v5, |v3|
	v_cvt_u32_f32_e32 v3, v5
	v_cvt_u32_f32_e32 v5, v7
	s_delay_alu instid0(VALU_DEP_2) | instskip(NEXT) | instid1(VALU_DEP_2)
	v_xor_b32_e32 v45, v3, v34
	v_xor_b32_e32 v44, v5, v34
	s_delay_alu instid0(VALU_DEP_1) | instskip(NEXT) | instid1(VALU_DEP_1)
	v_sub_nc_u64_e32 v[34:35], v[44:45], v[34:35]
	v_dual_cndmask_b32 v35, 0, v35 :: v_dual_cndmask_b32 v34, 0, v34
	s_branch .LBB95_4173
.LBB95_4172:
	s_mov_b32 s0, -1
                                        ; implicit-def: $vgpr34_vgpr35
.LBB95_4173:
	s_mov_b32 s22, 0
.LBB95_4174:
	s_delay_alu instid0(SALU_CYCLE_1)
	s_and_b32 vcc_lo, exec_lo, s22
	s_cbranch_vccz .LBB95_4178
; %bb.4175:
	s_cmp_eq_u32 s58, 29
	s_cbranch_scc0 .LBB95_4177
; %bb.4176:
	global_load_b64 v[34:35], v[42:43], off
	s_mov_b32 s0, 0
	s_mov_b32 s9, -1
	s_branch .LBB95_4178
.LBB95_4177:
	s_mov_b32 s0, -1
                                        ; implicit-def: $vgpr34_vgpr35
.LBB95_4178:
	s_mov_b32 s22, 0
.LBB95_4179:
	s_delay_alu instid0(SALU_CYCLE_1)
	s_and_b32 vcc_lo, exec_lo, s22
	s_cbranch_vccz .LBB95_4195
; %bb.4180:
	s_cmp_lt_i32 s58, 27
	s_cbranch_scc1 .LBB95_4183
; %bb.4181:
	s_cmp_gt_i32 s58, 27
	s_cbranch_scc0 .LBB95_4184
; %bb.4182:
	s_wait_loadcnt 0x0
	global_load_b32 v34, v[42:43], off
	v_mov_b32_e32 v35, 0
	s_mov_b32 s9, 0
	s_branch .LBB95_4185
.LBB95_4183:
	s_mov_b32 s9, -1
                                        ; implicit-def: $vgpr34_vgpr35
	s_branch .LBB95_4188
.LBB95_4184:
	s_mov_b32 s9, -1
                                        ; implicit-def: $vgpr34_vgpr35
.LBB95_4185:
	s_delay_alu instid0(SALU_CYCLE_1)
	s_and_not1_b32 vcc_lo, exec_lo, s9
	s_cbranch_vccnz .LBB95_4187
; %bb.4186:
	global_load_u16 v1, v[42:43], off
	s_mov_b32 s9, 0
	s_wait_loadcnt 0x1
	v_mov_b32_e32 v35, s9
	s_wait_loadcnt 0x0
	v_and_b32_e32 v34, 0xffff, v1
.LBB95_4187:
	s_mov_b32 s9, 0
.LBB95_4188:
	s_delay_alu instid0(SALU_CYCLE_1)
	s_and_not1_b32 vcc_lo, exec_lo, s9
	s_cbranch_vccnz .LBB95_4194
; %bb.4189:
	global_load_u8 v1, v[42:43], off
	s_mov_b32 s22, 0
	s_mov_b32 s9, exec_lo
	s_wait_loadcnt 0x0
	v_cmpx_lt_i16_e32 0x7f, v1
	s_xor_b32 s9, exec_lo, s9
	s_cbranch_execz .LBB95_4206
; %bb.4190:
	v_cmp_ne_u16_e32 vcc_lo, 0x80, v1
	s_and_b32 s22, vcc_lo, exec_lo
	s_and_not1_saveexec_b32 s9, s9
	s_cbranch_execnz .LBB95_4207
.LBB95_4191:
	s_or_b32 exec_lo, exec_lo, s9
	v_mov_b64_e32 v[34:35], 0
	s_and_saveexec_b32 s9, s22
	s_cbranch_execz .LBB95_4193
.LBB95_4192:
	v_and_b32_e32 v3, 0xffff, v1
	s_delay_alu instid0(VALU_DEP_1) | instskip(SKIP_1) | instid1(VALU_DEP_2)
	v_dual_lshlrev_b32 v1, 24, v1 :: v_dual_bitop2_b32 v5, 7, v3 bitop3:0x40
	v_bfe_u32 v15, v3, 3, 4
	v_and_b32_e32 v1, 0x80000000, v1
	s_delay_alu instid0(VALU_DEP_3) | instskip(NEXT) | instid1(VALU_DEP_3)
	v_clz_i32_u32_e32 v7, v5
	v_cmp_eq_u32_e32 vcc_lo, 0, v15
	s_delay_alu instid0(VALU_DEP_2) | instskip(NEXT) | instid1(VALU_DEP_1)
	v_min_u32_e32 v7, 32, v7
	v_subrev_nc_u32_e32 v11, 28, v7
	v_sub_nc_u32_e32 v7, 29, v7
	s_delay_alu instid0(VALU_DEP_2) | instskip(NEXT) | instid1(VALU_DEP_2)
	v_lshlrev_b32_e32 v3, v11, v3
	v_cndmask_b32_e32 v7, v15, v7, vcc_lo
	s_delay_alu instid0(VALU_DEP_2) | instskip(NEXT) | instid1(VALU_DEP_1)
	v_and_b32_e32 v3, 7, v3
	v_cndmask_b32_e32 v3, v5, v3, vcc_lo
	s_delay_alu instid0(VALU_DEP_3) | instskip(NEXT) | instid1(VALU_DEP_2)
	v_lshl_add_u32 v5, v7, 23, 0x3b800000
	v_lshlrev_b32_e32 v3, 20, v3
	s_delay_alu instid0(VALU_DEP_1) | instskip(NEXT) | instid1(VALU_DEP_1)
	v_or3_b32 v1, v1, v5, v3
	v_trunc_f32_e32 v1, v1
	s_delay_alu instid0(VALU_DEP_1) | instskip(SKIP_1) | instid1(VALU_DEP_2)
	v_mul_f32_e64 v3, 0x2f800000, |v1|
	v_ashrrev_i32_e32 v34, 31, v1
	v_floor_f32_e32 v3, v3
	s_delay_alu instid0(VALU_DEP_2) | instskip(NEXT) | instid1(VALU_DEP_2)
	v_mov_b32_e32 v35, v34
	v_fma_f32 v5, 0xcf800000, v3, |v1|
	v_cvt_u32_f32_e32 v1, v3
	s_delay_alu instid0(VALU_DEP_2) | instskip(NEXT) | instid1(VALU_DEP_2)
	v_cvt_u32_f32_e32 v3, v5
	v_xor_b32_e32 v45, v1, v34
	s_delay_alu instid0(VALU_DEP_2) | instskip(NEXT) | instid1(VALU_DEP_1)
	v_xor_b32_e32 v44, v3, v34
	v_sub_nc_u64_e32 v[34:35], v[44:45], v[34:35]
.LBB95_4193:
	s_or_b32 exec_lo, exec_lo, s9
.LBB95_4194:
	s_mov_b32 s9, -1
.LBB95_4195:
	s_mov_b32 s22, 0
.LBB95_4196:
	s_delay_alu instid0(SALU_CYCLE_1)
	s_and_b32 vcc_lo, exec_lo, s22
	s_cbranch_vccz .LBB95_4227
; %bb.4197:
	s_cmp_gt_i32 s58, 22
	s_cbranch_scc0 .LBB95_4205
; %bb.4198:
	s_cmp_lt_i32 s58, 24
	s_cbranch_scc1 .LBB95_4208
; %bb.4199:
	s_cmp_gt_i32 s58, 24
	s_cbranch_scc0 .LBB95_4209
; %bb.4200:
	global_load_u8 v1, v[42:43], off
	s_mov_b32 s9, 0
	s_mov_b32 s1, exec_lo
	s_wait_loadcnt 0x0
	v_cmpx_lt_i16_e32 0x7f, v1
	s_xor_b32 s1, exec_lo, s1
	s_cbranch_execz .LBB95_4221
; %bb.4201:
	v_cmp_ne_u16_e32 vcc_lo, 0x80, v1
	s_and_b32 s9, vcc_lo, exec_lo
	s_and_not1_saveexec_b32 s1, s1
	s_cbranch_execnz .LBB95_4222
.LBB95_4202:
	s_or_b32 exec_lo, exec_lo, s1
	v_mov_b64_e32 v[34:35], 0
	s_and_saveexec_b32 s1, s9
	s_cbranch_execz .LBB95_4204
.LBB95_4203:
	v_and_b32_e32 v3, 0xffff, v1
	s_delay_alu instid0(VALU_DEP_1) | instskip(SKIP_1) | instid1(VALU_DEP_2)
	v_dual_lshlrev_b32 v1, 24, v1 :: v_dual_bitop2_b32 v5, 3, v3 bitop3:0x40
	v_bfe_u32 v15, v3, 2, 5
	v_and_b32_e32 v1, 0x80000000, v1
	s_delay_alu instid0(VALU_DEP_3) | instskip(NEXT) | instid1(VALU_DEP_3)
	v_clz_i32_u32_e32 v7, v5
	v_cmp_eq_u32_e32 vcc_lo, 0, v15
	s_delay_alu instid0(VALU_DEP_2) | instskip(NEXT) | instid1(VALU_DEP_1)
	v_min_u32_e32 v7, 32, v7
	v_subrev_nc_u32_e32 v11, 29, v7
	v_sub_nc_u32_e32 v7, 30, v7
	s_delay_alu instid0(VALU_DEP_2) | instskip(NEXT) | instid1(VALU_DEP_2)
	v_lshlrev_b32_e32 v3, v11, v3
	v_cndmask_b32_e32 v7, v15, v7, vcc_lo
	s_delay_alu instid0(VALU_DEP_2) | instskip(NEXT) | instid1(VALU_DEP_1)
	v_and_b32_e32 v3, 3, v3
	v_cndmask_b32_e32 v3, v5, v3, vcc_lo
	s_delay_alu instid0(VALU_DEP_3) | instskip(NEXT) | instid1(VALU_DEP_2)
	v_lshl_add_u32 v5, v7, 23, 0x37800000
	v_lshlrev_b32_e32 v3, 21, v3
	s_delay_alu instid0(VALU_DEP_1) | instskip(NEXT) | instid1(VALU_DEP_1)
	v_or3_b32 v1, v1, v5, v3
	v_trunc_f32_e32 v1, v1
	s_delay_alu instid0(VALU_DEP_1) | instskip(SKIP_1) | instid1(VALU_DEP_2)
	v_mul_f32_e64 v3, 0x2f800000, |v1|
	v_ashrrev_i32_e32 v34, 31, v1
	v_floor_f32_e32 v3, v3
	s_delay_alu instid0(VALU_DEP_2) | instskip(NEXT) | instid1(VALU_DEP_2)
	v_mov_b32_e32 v35, v34
	v_fma_f32 v5, 0xcf800000, v3, |v1|
	v_cvt_u32_f32_e32 v1, v3
	s_delay_alu instid0(VALU_DEP_2) | instskip(NEXT) | instid1(VALU_DEP_2)
	v_cvt_u32_f32_e32 v3, v5
	v_xor_b32_e32 v45, v1, v34
	s_delay_alu instid0(VALU_DEP_2) | instskip(NEXT) | instid1(VALU_DEP_1)
	v_xor_b32_e32 v44, v3, v34
	v_sub_nc_u64_e32 v[34:35], v[44:45], v[34:35]
.LBB95_4204:
	s_or_b32 exec_lo, exec_lo, s1
	s_mov_b32 s1, 0
	s_branch .LBB95_4210
.LBB95_4205:
	s_mov_b32 s1, -1
                                        ; implicit-def: $vgpr34_vgpr35
	s_branch .LBB95_4216
.LBB95_4206:
	s_and_not1_saveexec_b32 s9, s9
	s_cbranch_execz .LBB95_4191
.LBB95_4207:
	v_cmp_ne_u16_e32 vcc_lo, 0, v1
	s_and_not1_b32 s22, s22, exec_lo
	s_and_b32 s23, vcc_lo, exec_lo
	s_delay_alu instid0(SALU_CYCLE_1)
	s_or_b32 s22, s22, s23
	s_or_b32 exec_lo, exec_lo, s9
	v_mov_b64_e32 v[34:35], 0
	s_and_saveexec_b32 s9, s22
	s_cbranch_execnz .LBB95_4192
	s_branch .LBB95_4193
.LBB95_4208:
	s_mov_b32 s1, -1
                                        ; implicit-def: $vgpr34_vgpr35
	s_branch .LBB95_4213
.LBB95_4209:
	s_mov_b32 s1, -1
                                        ; implicit-def: $vgpr34_vgpr35
.LBB95_4210:
	s_delay_alu instid0(SALU_CYCLE_1)
	s_and_b32 vcc_lo, exec_lo, s1
	s_cbranch_vccz .LBB95_4212
; %bb.4211:
	global_load_u8 v1, v[42:43], off
	s_wait_loadcnt 0x0
	v_lshlrev_b32_e32 v1, 24, v1
	s_delay_alu instid0(VALU_DEP_1) | instskip(NEXT) | instid1(VALU_DEP_1)
	v_and_b32_e32 v3, 0x7f000000, v1
	v_clz_i32_u32_e32 v5, v3
	v_add_nc_u32_e32 v11, 0x1000000, v3
	v_cmp_ne_u32_e32 vcc_lo, 0, v3
	s_delay_alu instid0(VALU_DEP_3) | instskip(NEXT) | instid1(VALU_DEP_1)
	v_min_u32_e32 v5, 32, v5
	v_sub_nc_u32_e64 v5, v5, 4 clamp
	s_delay_alu instid0(VALU_DEP_1) | instskip(NEXT) | instid1(VALU_DEP_1)
	v_dual_lshlrev_b32 v7, v5, v3 :: v_dual_lshlrev_b32 v5, 23, v5
	v_lshrrev_b32_e32 v7, 4, v7
	s_delay_alu instid0(VALU_DEP_1) | instskip(NEXT) | instid1(VALU_DEP_1)
	v_dual_sub_nc_u32 v5, v7, v5 :: v_dual_ashrrev_i32 v7, 8, v11
	v_add_nc_u32_e32 v5, 0x3c000000, v5
	s_delay_alu instid0(VALU_DEP_1) | instskip(NEXT) | instid1(VALU_DEP_1)
	v_and_or_b32 v5, 0x7f800000, v7, v5
	v_cndmask_b32_e32 v3, 0, v5, vcc_lo
	s_delay_alu instid0(VALU_DEP_1) | instskip(NEXT) | instid1(VALU_DEP_1)
	v_and_or_b32 v1, 0x80000000, v1, v3
	v_trunc_f32_e32 v1, v1
	s_delay_alu instid0(VALU_DEP_1) | instskip(SKIP_1) | instid1(VALU_DEP_2)
	v_mul_f32_e64 v3, 0x2f800000, |v1|
	v_ashrrev_i32_e32 v34, 31, v1
	v_floor_f32_e32 v3, v3
	s_delay_alu instid0(VALU_DEP_2) | instskip(NEXT) | instid1(VALU_DEP_2)
	v_mov_b32_e32 v35, v34
	v_fma_f32 v5, 0xcf800000, v3, |v1|
	v_cvt_u32_f32_e32 v1, v3
	s_delay_alu instid0(VALU_DEP_2) | instskip(NEXT) | instid1(VALU_DEP_2)
	v_cvt_u32_f32_e32 v3, v5
	v_xor_b32_e32 v45, v1, v34
	s_delay_alu instid0(VALU_DEP_2) | instskip(NEXT) | instid1(VALU_DEP_1)
	v_xor_b32_e32 v44, v3, v34
	v_sub_nc_u64_e32 v[34:35], v[44:45], v[34:35]
.LBB95_4212:
	s_mov_b32 s1, 0
.LBB95_4213:
	s_delay_alu instid0(SALU_CYCLE_1)
	s_and_not1_b32 vcc_lo, exec_lo, s1
	s_cbranch_vccnz .LBB95_4215
; %bb.4214:
	global_load_u8 v1, v[42:43], off
	s_wait_loadcnt 0x0
	v_lshlrev_b32_e32 v3, 25, v1
	v_lshlrev_b16 v1, 8, v1
	s_delay_alu instid0(VALU_DEP_1) | instskip(SKIP_1) | instid1(VALU_DEP_2)
	v_and_or_b32 v7, 0x7f00, v1, 0.5
	v_bfe_i32 v1, v1, 0, 16
	v_add_f32_e32 v7, -0.5, v7
	v_lshrrev_b32_e32 v5, 4, v3
	v_cmp_gt_u32_e32 vcc_lo, 0x8000000, v3
	s_delay_alu instid0(VALU_DEP_2) | instskip(NEXT) | instid1(VALU_DEP_1)
	v_or_b32_e32 v5, 0x70000000, v5
	v_mul_f32_e32 v5, 0x7800000, v5
	s_delay_alu instid0(VALU_DEP_1) | instskip(NEXT) | instid1(VALU_DEP_1)
	v_cndmask_b32_e32 v3, v5, v7, vcc_lo
	v_and_or_b32 v1, 0x80000000, v1, v3
	s_delay_alu instid0(VALU_DEP_1) | instskip(NEXT) | instid1(VALU_DEP_1)
	v_trunc_f32_e32 v1, v1
	v_mul_f32_e64 v3, 0x2f800000, |v1|
	v_ashrrev_i32_e32 v34, 31, v1
	s_delay_alu instid0(VALU_DEP_2) | instskip(NEXT) | instid1(VALU_DEP_2)
	v_floor_f32_e32 v3, v3
	v_mov_b32_e32 v35, v34
	s_delay_alu instid0(VALU_DEP_2) | instskip(SKIP_1) | instid1(VALU_DEP_2)
	v_fma_f32 v5, 0xcf800000, v3, |v1|
	v_cvt_u32_f32_e32 v1, v3
	v_cvt_u32_f32_e32 v3, v5
	s_delay_alu instid0(VALU_DEP_2) | instskip(NEXT) | instid1(VALU_DEP_2)
	v_xor_b32_e32 v45, v1, v34
	v_xor_b32_e32 v44, v3, v34
	s_delay_alu instid0(VALU_DEP_1)
	v_sub_nc_u64_e32 v[34:35], v[44:45], v[34:35]
.LBB95_4215:
	s_mov_b32 s1, 0
	s_mov_b32 s9, -1
.LBB95_4216:
	s_and_not1_b32 vcc_lo, exec_lo, s1
	s_mov_b32 s1, 0
	s_cbranch_vccnz .LBB95_4227
; %bb.4217:
	s_cmp_gt_i32 s58, 14
	s_cbranch_scc0 .LBB95_4220
; %bb.4218:
	s_cmp_eq_u32 s58, 15
	s_cbranch_scc0 .LBB95_4223
; %bb.4219:
	global_load_u16 v1, v[42:43], off
	s_mov_b32 s0, 0
	s_mov_b32 s9, -1
	s_wait_loadcnt 0x0
	v_lshlrev_b32_e32 v1, 16, v1
	s_delay_alu instid0(VALU_DEP_1) | instskip(NEXT) | instid1(VALU_DEP_1)
	v_trunc_f32_e32 v1, v1
	v_mul_f32_e64 v3, 0x2f800000, |v1|
	v_ashrrev_i32_e32 v34, 31, v1
	s_delay_alu instid0(VALU_DEP_2) | instskip(NEXT) | instid1(VALU_DEP_2)
	v_floor_f32_e32 v3, v3
	v_mov_b32_e32 v35, v34
	s_delay_alu instid0(VALU_DEP_2) | instskip(SKIP_1) | instid1(VALU_DEP_2)
	v_fma_f32 v5, 0xcf800000, v3, |v1|
	v_cvt_u32_f32_e32 v1, v3
	v_cvt_u32_f32_e32 v3, v5
	s_delay_alu instid0(VALU_DEP_2) | instskip(NEXT) | instid1(VALU_DEP_2)
	v_xor_b32_e32 v45, v1, v34
	v_xor_b32_e32 v44, v3, v34
	s_delay_alu instid0(VALU_DEP_1)
	v_sub_nc_u64_e32 v[34:35], v[44:45], v[34:35]
	s_branch .LBB95_4225
.LBB95_4220:
	s_mov_b32 s1, -1
	s_branch .LBB95_4224
.LBB95_4221:
	s_and_not1_saveexec_b32 s1, s1
	s_cbranch_execz .LBB95_4202
.LBB95_4222:
	v_cmp_ne_u16_e32 vcc_lo, 0, v1
	s_and_not1_b32 s9, s9, exec_lo
	s_and_b32 s22, vcc_lo, exec_lo
	s_delay_alu instid0(SALU_CYCLE_1)
	s_or_b32 s9, s9, s22
	s_or_b32 exec_lo, exec_lo, s1
	v_mov_b64_e32 v[34:35], 0
	s_and_saveexec_b32 s1, s9
	s_cbranch_execnz .LBB95_4203
	s_branch .LBB95_4204
.LBB95_4223:
	s_mov_b32 s0, -1
.LBB95_4224:
                                        ; implicit-def: $vgpr34_vgpr35
.LBB95_4225:
	s_and_b32 vcc_lo, exec_lo, s1
	s_mov_b32 s1, 0
	s_cbranch_vccz .LBB95_4227
; %bb.4226:
	s_cmp_lg_u32 s58, 11
	s_mov_b32 s1, -1
	s_cselect_b32 s0, -1, 0
.LBB95_4227:
	s_delay_alu instid0(SALU_CYCLE_1)
	s_and_b32 vcc_lo, exec_lo, s0
	s_cbranch_vccnz .LBB95_4292
; %bb.4228:
	s_and_not1_b32 vcc_lo, exec_lo, s1
	s_cbranch_vccnz .LBB95_4230
.LBB95_4229:
	global_load_u8 v1, v[42:43], off
	s_mov_b32 s0, 0
	s_mov_b32 s9, -1
	s_wait_loadcnt 0x1
	v_mov_b32_e32 v35, s0
	s_wait_loadcnt 0x0
	v_cmp_ne_u16_e32 vcc_lo, 0, v1
	v_cndmask_b32_e64 v34, 0, 1, vcc_lo
.LBB95_4230:
	s_mov_b32 s0, 0
.LBB95_4231:
	s_delay_alu instid0(SALU_CYCLE_1)
	s_and_b32 vcc_lo, exec_lo, s0
	s_cbranch_vccz .LBB95_4280
; %bb.4232:
	s_cmp_lt_i32 s58, 5
	s_cbranch_scc1 .LBB95_4237
; %bb.4233:
	s_cmp_lt_i32 s58, 8
	s_cbranch_scc1 .LBB95_4238
	;; [unrolled: 3-line block ×3, first 2 shown]
; %bb.4235:
	s_cmp_gt_i32 s58, 9
	s_cbranch_scc0 .LBB95_4240
; %bb.4236:
	s_wait_loadcnt 0x0
	global_load_b64 v[34:35], v[42:43], off
	s_mov_b32 s0, 0
	s_wait_loadcnt 0x0
	v_trunc_f64_e32 v[34:35], v[34:35]
	s_delay_alu instid0(VALU_DEP_1) | instskip(NEXT) | instid1(VALU_DEP_1)
	v_ldexp_f64 v[44:45], v[34:35], 0xffffffe0
	v_floor_f64_e32 v[44:45], v[44:45]
	s_delay_alu instid0(VALU_DEP_1) | instskip(SKIP_1) | instid1(VALU_DEP_2)
	v_fmamk_f64 v[46:47], v[44:45], 0xc1f00000, v[34:35]
	v_cvt_i32_f64_e32 v35, v[44:45]
	v_cvt_u32_f64_e32 v34, v[46:47]
	s_branch .LBB95_4241
.LBB95_4237:
	s_mov_b32 s0, -1
                                        ; implicit-def: $vgpr34_vgpr35
	s_branch .LBB95_4259
.LBB95_4238:
	s_mov_b32 s0, -1
                                        ; implicit-def: $vgpr34_vgpr35
	s_branch .LBB95_4247
.LBB95_4239:
	s_mov_b32 s0, -1
                                        ; implicit-def: $vgpr34_vgpr35
	s_branch .LBB95_4244
.LBB95_4240:
	s_mov_b32 s0, -1
                                        ; implicit-def: $vgpr34_vgpr35
.LBB95_4241:
	s_delay_alu instid0(SALU_CYCLE_1)
	s_and_not1_b32 vcc_lo, exec_lo, s0
	s_cbranch_vccnz .LBB95_4243
; %bb.4242:
	global_load_b32 v1, v[42:43], off
	s_wait_loadcnt 0x0
	v_trunc_f32_e32 v1, v1
	s_delay_alu instid0(VALU_DEP_1) | instskip(SKIP_1) | instid1(VALU_DEP_2)
	v_mul_f32_e64 v3, 0x2f800000, |v1|
	v_ashrrev_i32_e32 v34, 31, v1
	v_floor_f32_e32 v3, v3
	s_delay_alu instid0(VALU_DEP_1) | instskip(SKIP_1) | instid1(VALU_DEP_4)
	v_fma_f32 v5, 0xcf800000, v3, |v1|
	v_cvt_u32_f32_e32 v1, v3
	v_mov_b32_e32 v35, v34
	s_delay_alu instid0(VALU_DEP_3) | instskip(NEXT) | instid1(VALU_DEP_3)
	v_cvt_u32_f32_e32 v3, v5
	v_xor_b32_e32 v45, v1, v34
	s_delay_alu instid0(VALU_DEP_2) | instskip(NEXT) | instid1(VALU_DEP_1)
	v_xor_b32_e32 v44, v3, v34
	v_sub_nc_u64_e32 v[34:35], v[44:45], v[34:35]
.LBB95_4243:
	s_mov_b32 s0, 0
.LBB95_4244:
	s_delay_alu instid0(SALU_CYCLE_1)
	s_and_not1_b32 vcc_lo, exec_lo, s0
	s_cbranch_vccnz .LBB95_4246
; %bb.4245:
	global_load_b32 v1, v[42:43], off
	s_wait_loadcnt 0x0
	v_cvt_f32_f16_e32 v1, v1
	s_delay_alu instid0(VALU_DEP_1) | instskip(NEXT) | instid1(VALU_DEP_1)
	v_cvt_i32_f32_e32 v34, v1
	v_ashrrev_i32_e32 v35, 31, v34
.LBB95_4246:
	s_mov_b32 s0, 0
.LBB95_4247:
	s_delay_alu instid0(SALU_CYCLE_1)
	s_and_not1_b32 vcc_lo, exec_lo, s0
	s_cbranch_vccnz .LBB95_4258
; %bb.4248:
	s_cmp_lt_i32 s58, 6
	s_cbranch_scc1 .LBB95_4251
; %bb.4249:
	s_cmp_gt_i32 s58, 6
	s_cbranch_scc0 .LBB95_4252
; %bb.4250:
	s_wait_loadcnt 0x0
	global_load_b64 v[34:35], v[42:43], off
	s_mov_b32 s0, 0
	s_wait_loadcnt 0x0
	v_trunc_f64_e32 v[34:35], v[34:35]
	s_delay_alu instid0(VALU_DEP_1) | instskip(NEXT) | instid1(VALU_DEP_1)
	v_ldexp_f64 v[44:45], v[34:35], 0xffffffe0
	v_floor_f64_e32 v[44:45], v[44:45]
	s_delay_alu instid0(VALU_DEP_1) | instskip(SKIP_1) | instid1(VALU_DEP_2)
	v_fmamk_f64 v[46:47], v[44:45], 0xc1f00000, v[34:35]
	v_cvt_i32_f64_e32 v35, v[44:45]
	v_cvt_u32_f64_e32 v34, v[46:47]
	s_branch .LBB95_4253
.LBB95_4251:
	s_mov_b32 s0, -1
                                        ; implicit-def: $vgpr34_vgpr35
	s_branch .LBB95_4256
.LBB95_4252:
	s_mov_b32 s0, -1
                                        ; implicit-def: $vgpr34_vgpr35
.LBB95_4253:
	s_delay_alu instid0(SALU_CYCLE_1)
	s_and_not1_b32 vcc_lo, exec_lo, s0
	s_cbranch_vccnz .LBB95_4255
; %bb.4254:
	global_load_b32 v1, v[42:43], off
	s_wait_loadcnt 0x0
	v_trunc_f32_e32 v1, v1
	s_delay_alu instid0(VALU_DEP_1) | instskip(SKIP_1) | instid1(VALU_DEP_2)
	v_mul_f32_e64 v3, 0x2f800000, |v1|
	v_ashrrev_i32_e32 v34, 31, v1
	v_floor_f32_e32 v3, v3
	s_delay_alu instid0(VALU_DEP_1) | instskip(SKIP_1) | instid1(VALU_DEP_4)
	v_fma_f32 v5, 0xcf800000, v3, |v1|
	v_cvt_u32_f32_e32 v1, v3
	v_mov_b32_e32 v35, v34
	s_delay_alu instid0(VALU_DEP_3) | instskip(NEXT) | instid1(VALU_DEP_3)
	v_cvt_u32_f32_e32 v3, v5
	v_xor_b32_e32 v45, v1, v34
	s_delay_alu instid0(VALU_DEP_2) | instskip(NEXT) | instid1(VALU_DEP_1)
	v_xor_b32_e32 v44, v3, v34
	v_sub_nc_u64_e32 v[34:35], v[44:45], v[34:35]
.LBB95_4255:
	s_mov_b32 s0, 0
.LBB95_4256:
	s_delay_alu instid0(SALU_CYCLE_1)
	s_and_not1_b32 vcc_lo, exec_lo, s0
	s_cbranch_vccnz .LBB95_4258
; %bb.4257:
	global_load_u16 v1, v[42:43], off
	s_wait_loadcnt 0x0
	v_cvt_f32_f16_e32 v1, v1
	s_delay_alu instid0(VALU_DEP_1) | instskip(NEXT) | instid1(VALU_DEP_1)
	v_cvt_i32_f32_e32 v34, v1
	v_ashrrev_i32_e32 v35, 31, v34
.LBB95_4258:
	s_mov_b32 s0, 0
.LBB95_4259:
	s_delay_alu instid0(SALU_CYCLE_1)
	s_and_not1_b32 vcc_lo, exec_lo, s0
	s_cbranch_vccnz .LBB95_4279
; %bb.4260:
	s_cmp_lt_i32 s58, 2
	s_cbranch_scc1 .LBB95_4264
; %bb.4261:
	s_cmp_lt_i32 s58, 3
	s_cbranch_scc1 .LBB95_4265
; %bb.4262:
	s_cmp_gt_i32 s58, 3
	s_cbranch_scc0 .LBB95_4266
; %bb.4263:
	s_wait_loadcnt 0x0
	global_load_b64 v[34:35], v[42:43], off
	s_mov_b32 s0, 0
	s_branch .LBB95_4267
.LBB95_4264:
	s_mov_b32 s0, -1
                                        ; implicit-def: $vgpr34_vgpr35
	s_branch .LBB95_4273
.LBB95_4265:
	s_mov_b32 s0, -1
                                        ; implicit-def: $vgpr34_vgpr35
	s_branch .LBB95_4270
.LBB95_4266:
	s_mov_b32 s0, -1
                                        ; implicit-def: $vgpr34_vgpr35
.LBB95_4267:
	s_delay_alu instid0(SALU_CYCLE_1)
	s_and_not1_b32 vcc_lo, exec_lo, s0
	s_cbranch_vccnz .LBB95_4269
; %bb.4268:
	s_wait_loadcnt 0x0
	global_load_b32 v34, v[42:43], off
	s_wait_loadcnt 0x0
	v_ashrrev_i32_e32 v35, 31, v34
.LBB95_4269:
	s_mov_b32 s0, 0
.LBB95_4270:
	s_delay_alu instid0(SALU_CYCLE_1)
	s_and_not1_b32 vcc_lo, exec_lo, s0
	s_cbranch_vccnz .LBB95_4272
; %bb.4271:
	global_load_u16 v1, v[42:43], off
	s_wait_loadcnt 0x0
	v_bfe_i32 v34, v1, 0, 16
	s_delay_alu instid0(VALU_DEP_1)
	v_ashrrev_i32_e32 v35, 31, v34
.LBB95_4272:
	s_mov_b32 s0, 0
.LBB95_4273:
	s_delay_alu instid0(SALU_CYCLE_1)
	s_and_not1_b32 vcc_lo, exec_lo, s0
	s_cbranch_vccnz .LBB95_4279
; %bb.4274:
	s_cmp_gt_i32 s58, 0
	s_mov_b32 s0, 0
	s_cbranch_scc0 .LBB95_4276
; %bb.4275:
	global_load_i8 v1, v[42:43], off
	s_wait_loadcnt 0x0
	v_bfe_i32 v34, v1, 0, 16
	s_delay_alu instid0(VALU_DEP_1)
	v_ashrrev_i32_e32 v35, 31, v34
	s_branch .LBB95_4277
.LBB95_4276:
	s_mov_b32 s0, -1
                                        ; implicit-def: $vgpr34_vgpr35
.LBB95_4277:
	s_delay_alu instid0(SALU_CYCLE_1)
	s_and_not1_b32 vcc_lo, exec_lo, s0
	s_cbranch_vccnz .LBB95_4279
; %bb.4278:
	global_load_u8 v1, v[42:43], off
	s_mov_b32 s0, 0
	s_wait_loadcnt 0x1
	v_mov_b32_e32 v35, s0
	s_wait_loadcnt 0x0
	v_and_b32_e32 v34, 0xffff, v1
.LBB95_4279:
	s_mov_b32 s9, -1
.LBB95_4280:
	s_delay_alu instid0(SALU_CYCLE_1)
	s_and_not1_b32 vcc_lo, exec_lo, s9
	s_cbranch_vccnz .LBB95_4417
; %bb.4281:
	v_mov_b32_e32 v33, 0
	s_and_b32 s59, 0xffff, s49
	s_delay_alu instid0(SALU_CYCLE_1) | instskip(NEXT) | instid1(VALU_DEP_1)
	s_cmp_lt_i32 s59, 11
	v_add_nc_u64_e32 v[32:33], s[16:17], v[32:33]
	s_cbranch_scc1 .LBB95_4288
; %bb.4282:
	s_cmp_gt_i32 s59, 25
	s_mov_b32 s1, 0
	s_cbranch_scc0 .LBB95_4289
; %bb.4283:
	s_cmp_gt_i32 s59, 28
	s_cbranch_scc0 .LBB95_4290
; %bb.4284:
	s_cmp_gt_i32 s59, 43
	;; [unrolled: 3-line block ×3, first 2 shown]
	s_cbranch_scc0 .LBB95_4293
; %bb.4286:
	s_cmp_eq_u32 s59, 46
	s_mov_b32 s22, 0
	s_cbranch_scc0 .LBB95_4295
; %bb.4287:
	global_load_b32 v1, v[32:33], off
	s_mov_b32 s0, 0
	s_mov_b32 s9, -1
	s_wait_loadcnt 0x0
	v_lshlrev_b32_e32 v1, 16, v1
	s_delay_alu instid0(VALU_DEP_1) | instskip(NEXT) | instid1(VALU_DEP_1)
	v_trunc_f32_e32 v1, v1
	v_mul_f32_e64 v3, 0x2f800000, |v1|
	s_wait_xcnt 0x1
	v_ashrrev_i32_e32 v42, 31, v1
	s_delay_alu instid0(VALU_DEP_2) | instskip(NEXT) | instid1(VALU_DEP_2)
	v_floor_f32_e32 v3, v3
	v_mov_b32_e32 v43, v42
	s_delay_alu instid0(VALU_DEP_2) | instskip(SKIP_1) | instid1(VALU_DEP_2)
	v_fma_f32 v5, 0xcf800000, v3, |v1|
	v_cvt_u32_f32_e32 v1, v3
	v_cvt_u32_f32_e32 v3, v5
	s_delay_alu instid0(VALU_DEP_2) | instskip(NEXT) | instid1(VALU_DEP_2)
	v_xor_b32_e32 v45, v1, v42
	v_xor_b32_e32 v44, v3, v42
	s_delay_alu instid0(VALU_DEP_1)
	v_sub_nc_u64_e32 v[44:45], v[44:45], v[42:43]
	s_branch .LBB95_4297
.LBB95_4288:
	s_mov_b32 s0, -1
	s_mov_b32 s9, 0
                                        ; implicit-def: $vgpr44_vgpr45
	s_branch .LBB95_4359
.LBB95_4289:
	s_mov_b32 s22, -1
	s_mov_b32 s9, 0
	s_mov_b32 s0, 0
                                        ; implicit-def: $vgpr44_vgpr45
	s_branch .LBB95_4324
.LBB95_4290:
	s_mov_b32 s22, -1
	s_mov_b32 s9, 0
	s_mov_b32 s0, 0
                                        ; implicit-def: $vgpr44_vgpr45
	s_branch .LBB95_4307
.LBB95_4291:
	s_mov_b32 s22, -1
	s_mov_b32 s9, 0
	s_mov_b32 s0, 0
                                        ; implicit-def: $vgpr44_vgpr45
	s_branch .LBB95_4302
.LBB95_4292:
	s_or_b32 s43, s43, exec_lo
	s_trap 2
	s_cbranch_execz .LBB95_4229
	s_branch .LBB95_4230
.LBB95_4293:
	s_mov_b32 s22, -1
	s_mov_b32 s9, 0
	s_mov_b32 s0, 0
	s_branch .LBB95_4296
.LBB95_4294:
	s_or_b32 exec_lo, exec_lo, s95
	s_branch .LBB95_2086
.LBB95_4295:
	s_mov_b32 s0, -1
	s_mov_b32 s9, 0
.LBB95_4296:
                                        ; implicit-def: $vgpr44_vgpr45
.LBB95_4297:
	s_and_b32 vcc_lo, exec_lo, s22
	s_cbranch_vccz .LBB95_4301
; %bb.4298:
	s_cmp_eq_u32 s59, 44
	s_cbranch_scc0 .LBB95_4300
; %bb.4299:
	global_load_u8 v1, v[32:33], off
	s_mov_b32 s0, 0
	s_mov_b32 s9, -1
	s_wait_loadcnt 0x0
	v_lshlrev_b32_e32 v3, 23, v1
	v_cmp_ne_u32_e32 vcc_lo, 0, v1
	s_delay_alu instid0(VALU_DEP_2) | instskip(NEXT) | instid1(VALU_DEP_1)
	v_trunc_f32_e32 v3, v3
	v_mul_f32_e64 v5, 0x2f800000, |v3|
	s_wait_xcnt 0x1
	v_ashrrev_i32_e32 v42, 31, v3
	s_delay_alu instid0(VALU_DEP_2) | instskip(NEXT) | instid1(VALU_DEP_2)
	v_floor_f32_e32 v5, v5
	v_mov_b32_e32 v43, v42
	s_delay_alu instid0(VALU_DEP_2) | instskip(SKIP_1) | instid1(VALU_DEP_2)
	v_fma_f32 v7, 0xcf800000, v5, |v3|
	v_cvt_u32_f32_e32 v3, v5
	v_cvt_u32_f32_e32 v5, v7
	s_delay_alu instid0(VALU_DEP_2) | instskip(NEXT) | instid1(VALU_DEP_2)
	v_xor_b32_e32 v45, v3, v42
	v_xor_b32_e32 v44, v5, v42
	s_delay_alu instid0(VALU_DEP_1) | instskip(NEXT) | instid1(VALU_DEP_1)
	v_sub_nc_u64_e32 v[42:43], v[44:45], v[42:43]
	v_dual_cndmask_b32 v45, 0, v43 :: v_dual_cndmask_b32 v44, 0, v42
	s_branch .LBB95_4301
.LBB95_4300:
	s_mov_b32 s0, -1
                                        ; implicit-def: $vgpr44_vgpr45
.LBB95_4301:
	s_mov_b32 s22, 0
.LBB95_4302:
	s_delay_alu instid0(SALU_CYCLE_1)
	s_and_b32 vcc_lo, exec_lo, s22
	s_cbranch_vccz .LBB95_4306
; %bb.4303:
	s_cmp_eq_u32 s59, 29
	s_cbranch_scc0 .LBB95_4305
; %bb.4304:
	global_load_b64 v[44:45], v[32:33], off
	s_mov_b32 s0, 0
	s_mov_b32 s9, -1
	s_branch .LBB95_4306
.LBB95_4305:
	s_mov_b32 s0, -1
                                        ; implicit-def: $vgpr44_vgpr45
.LBB95_4306:
	s_mov_b32 s22, 0
.LBB95_4307:
	s_delay_alu instid0(SALU_CYCLE_1)
	s_and_b32 vcc_lo, exec_lo, s22
	s_cbranch_vccz .LBB95_4323
; %bb.4308:
	s_cmp_lt_i32 s59, 27
	s_cbranch_scc1 .LBB95_4311
; %bb.4309:
	s_cmp_gt_i32 s59, 27
	s_cbranch_scc0 .LBB95_4312
; %bb.4310:
	s_wait_loadcnt 0x0
	global_load_b32 v44, v[32:33], off
	v_mov_b32_e32 v45, 0
	s_mov_b32 s9, 0
	s_branch .LBB95_4313
.LBB95_4311:
	s_mov_b32 s9, -1
                                        ; implicit-def: $vgpr44_vgpr45
	s_branch .LBB95_4316
.LBB95_4312:
	s_mov_b32 s9, -1
                                        ; implicit-def: $vgpr44_vgpr45
.LBB95_4313:
	s_delay_alu instid0(SALU_CYCLE_1)
	s_and_not1_b32 vcc_lo, exec_lo, s9
	s_cbranch_vccnz .LBB95_4315
; %bb.4314:
	global_load_u16 v1, v[32:33], off
	s_mov_b32 s9, 0
	s_wait_loadcnt 0x1
	v_mov_b32_e32 v45, s9
	s_wait_loadcnt 0x0
	v_and_b32_e32 v44, 0xffff, v1
.LBB95_4315:
	s_mov_b32 s9, 0
.LBB95_4316:
	s_delay_alu instid0(SALU_CYCLE_1)
	s_and_not1_b32 vcc_lo, exec_lo, s9
	s_cbranch_vccnz .LBB95_4322
; %bb.4317:
	global_load_u8 v1, v[32:33], off
	s_mov_b32 s22, 0
	s_mov_b32 s9, exec_lo
	s_wait_loadcnt 0x0
	v_cmpx_lt_i16_e32 0x7f, v1
	s_xor_b32 s9, exec_lo, s9
	s_cbranch_execz .LBB95_4334
; %bb.4318:
	v_cmp_ne_u16_e32 vcc_lo, 0x80, v1
	s_and_b32 s22, vcc_lo, exec_lo
	s_and_not1_saveexec_b32 s9, s9
	s_cbranch_execnz .LBB95_4335
.LBB95_4319:
	s_or_b32 exec_lo, exec_lo, s9
	v_mov_b64_e32 v[44:45], 0
	s_and_saveexec_b32 s9, s22
	s_cbranch_execz .LBB95_4321
.LBB95_4320:
	v_and_b32_e32 v3, 0xffff, v1
	s_delay_alu instid0(VALU_DEP_1) | instskip(SKIP_1) | instid1(VALU_DEP_2)
	v_dual_lshlrev_b32 v1, 24, v1 :: v_dual_bitop2_b32 v5, 7, v3 bitop3:0x40
	v_bfe_u32 v15, v3, 3, 4
	v_and_b32_e32 v1, 0x80000000, v1
	s_delay_alu instid0(VALU_DEP_3) | instskip(NEXT) | instid1(VALU_DEP_3)
	v_clz_i32_u32_e32 v7, v5
	v_cmp_eq_u32_e32 vcc_lo, 0, v15
	s_delay_alu instid0(VALU_DEP_2) | instskip(NEXT) | instid1(VALU_DEP_1)
	v_min_u32_e32 v7, 32, v7
	v_subrev_nc_u32_e32 v11, 28, v7
	v_sub_nc_u32_e32 v7, 29, v7
	s_delay_alu instid0(VALU_DEP_2) | instskip(NEXT) | instid1(VALU_DEP_2)
	v_lshlrev_b32_e32 v3, v11, v3
	v_cndmask_b32_e32 v7, v15, v7, vcc_lo
	s_delay_alu instid0(VALU_DEP_2) | instskip(NEXT) | instid1(VALU_DEP_1)
	v_and_b32_e32 v3, 7, v3
	v_cndmask_b32_e32 v3, v5, v3, vcc_lo
	s_delay_alu instid0(VALU_DEP_3) | instskip(NEXT) | instid1(VALU_DEP_2)
	v_lshl_add_u32 v5, v7, 23, 0x3b800000
	v_lshlrev_b32_e32 v3, 20, v3
	s_delay_alu instid0(VALU_DEP_1) | instskip(NEXT) | instid1(VALU_DEP_1)
	v_or3_b32 v1, v1, v5, v3
	v_trunc_f32_e32 v1, v1
	s_delay_alu instid0(VALU_DEP_1) | instskip(SKIP_1) | instid1(VALU_DEP_2)
	v_mul_f32_e64 v3, 0x2f800000, |v1|
	v_ashrrev_i32_e32 v42, 31, v1
	v_floor_f32_e32 v3, v3
	s_delay_alu instid0(VALU_DEP_2) | instskip(NEXT) | instid1(VALU_DEP_2)
	v_mov_b32_e32 v43, v42
	v_fma_f32 v5, 0xcf800000, v3, |v1|
	v_cvt_u32_f32_e32 v1, v3
	s_delay_alu instid0(VALU_DEP_2) | instskip(NEXT) | instid1(VALU_DEP_2)
	v_cvt_u32_f32_e32 v3, v5
	v_xor_b32_e32 v45, v1, v42
	s_delay_alu instid0(VALU_DEP_2) | instskip(NEXT) | instid1(VALU_DEP_1)
	v_xor_b32_e32 v44, v3, v42
	v_sub_nc_u64_e32 v[44:45], v[44:45], v[42:43]
.LBB95_4321:
	s_or_b32 exec_lo, exec_lo, s9
.LBB95_4322:
	s_mov_b32 s9, -1
.LBB95_4323:
	s_mov_b32 s22, 0
.LBB95_4324:
	s_delay_alu instid0(SALU_CYCLE_1)
	s_and_b32 vcc_lo, exec_lo, s22
	s_cbranch_vccz .LBB95_4355
; %bb.4325:
	s_cmp_gt_i32 s59, 22
	s_cbranch_scc0 .LBB95_4333
; %bb.4326:
	s_cmp_lt_i32 s59, 24
	s_cbranch_scc1 .LBB95_4336
; %bb.4327:
	s_cmp_gt_i32 s59, 24
	s_cbranch_scc0 .LBB95_4337
; %bb.4328:
	global_load_u8 v1, v[32:33], off
	s_mov_b32 s9, 0
	s_mov_b32 s1, exec_lo
	s_wait_loadcnt 0x0
	v_cmpx_lt_i16_e32 0x7f, v1
	s_xor_b32 s1, exec_lo, s1
	s_cbranch_execz .LBB95_4349
; %bb.4329:
	v_cmp_ne_u16_e32 vcc_lo, 0x80, v1
	s_and_b32 s9, vcc_lo, exec_lo
	s_and_not1_saveexec_b32 s1, s1
	s_cbranch_execnz .LBB95_4350
.LBB95_4330:
	s_or_b32 exec_lo, exec_lo, s1
	v_mov_b64_e32 v[44:45], 0
	s_and_saveexec_b32 s1, s9
	s_cbranch_execz .LBB95_4332
.LBB95_4331:
	v_and_b32_e32 v3, 0xffff, v1
	s_delay_alu instid0(VALU_DEP_1) | instskip(SKIP_1) | instid1(VALU_DEP_2)
	v_dual_lshlrev_b32 v1, 24, v1 :: v_dual_bitop2_b32 v5, 3, v3 bitop3:0x40
	v_bfe_u32 v15, v3, 2, 5
	v_and_b32_e32 v1, 0x80000000, v1
	s_delay_alu instid0(VALU_DEP_3) | instskip(NEXT) | instid1(VALU_DEP_3)
	v_clz_i32_u32_e32 v7, v5
	v_cmp_eq_u32_e32 vcc_lo, 0, v15
	s_delay_alu instid0(VALU_DEP_2) | instskip(NEXT) | instid1(VALU_DEP_1)
	v_min_u32_e32 v7, 32, v7
	v_subrev_nc_u32_e32 v11, 29, v7
	v_sub_nc_u32_e32 v7, 30, v7
	s_delay_alu instid0(VALU_DEP_2) | instskip(NEXT) | instid1(VALU_DEP_2)
	v_lshlrev_b32_e32 v3, v11, v3
	v_cndmask_b32_e32 v7, v15, v7, vcc_lo
	s_delay_alu instid0(VALU_DEP_2) | instskip(NEXT) | instid1(VALU_DEP_1)
	v_and_b32_e32 v3, 3, v3
	v_cndmask_b32_e32 v3, v5, v3, vcc_lo
	s_delay_alu instid0(VALU_DEP_3) | instskip(NEXT) | instid1(VALU_DEP_2)
	v_lshl_add_u32 v5, v7, 23, 0x37800000
	v_lshlrev_b32_e32 v3, 21, v3
	s_delay_alu instid0(VALU_DEP_1) | instskip(NEXT) | instid1(VALU_DEP_1)
	v_or3_b32 v1, v1, v5, v3
	v_trunc_f32_e32 v1, v1
	s_delay_alu instid0(VALU_DEP_1) | instskip(SKIP_1) | instid1(VALU_DEP_2)
	v_mul_f32_e64 v3, 0x2f800000, |v1|
	v_ashrrev_i32_e32 v42, 31, v1
	v_floor_f32_e32 v3, v3
	s_delay_alu instid0(VALU_DEP_2) | instskip(NEXT) | instid1(VALU_DEP_2)
	v_mov_b32_e32 v43, v42
	v_fma_f32 v5, 0xcf800000, v3, |v1|
	v_cvt_u32_f32_e32 v1, v3
	s_delay_alu instid0(VALU_DEP_2) | instskip(NEXT) | instid1(VALU_DEP_2)
	v_cvt_u32_f32_e32 v3, v5
	v_xor_b32_e32 v45, v1, v42
	s_delay_alu instid0(VALU_DEP_2) | instskip(NEXT) | instid1(VALU_DEP_1)
	v_xor_b32_e32 v44, v3, v42
	v_sub_nc_u64_e32 v[44:45], v[44:45], v[42:43]
.LBB95_4332:
	s_or_b32 exec_lo, exec_lo, s1
	s_mov_b32 s1, 0
	s_branch .LBB95_4338
.LBB95_4333:
	s_mov_b32 s1, -1
                                        ; implicit-def: $vgpr44_vgpr45
	s_branch .LBB95_4344
.LBB95_4334:
	s_and_not1_saveexec_b32 s9, s9
	s_cbranch_execz .LBB95_4319
.LBB95_4335:
	v_cmp_ne_u16_e32 vcc_lo, 0, v1
	s_and_not1_b32 s22, s22, exec_lo
	s_and_b32 s23, vcc_lo, exec_lo
	s_delay_alu instid0(SALU_CYCLE_1)
	s_or_b32 s22, s22, s23
	s_or_b32 exec_lo, exec_lo, s9
	v_mov_b64_e32 v[44:45], 0
	s_and_saveexec_b32 s9, s22
	s_cbranch_execnz .LBB95_4320
	s_branch .LBB95_4321
.LBB95_4336:
	s_mov_b32 s1, -1
                                        ; implicit-def: $vgpr44_vgpr45
	s_branch .LBB95_4341
.LBB95_4337:
	s_mov_b32 s1, -1
                                        ; implicit-def: $vgpr44_vgpr45
.LBB95_4338:
	s_delay_alu instid0(SALU_CYCLE_1)
	s_and_b32 vcc_lo, exec_lo, s1
	s_cbranch_vccz .LBB95_4340
; %bb.4339:
	global_load_u8 v1, v[32:33], off
	s_wait_loadcnt 0x0
	v_lshlrev_b32_e32 v1, 24, v1
	s_delay_alu instid0(VALU_DEP_1) | instskip(NEXT) | instid1(VALU_DEP_1)
	v_and_b32_e32 v3, 0x7f000000, v1
	v_clz_i32_u32_e32 v5, v3
	v_add_nc_u32_e32 v11, 0x1000000, v3
	v_cmp_ne_u32_e32 vcc_lo, 0, v3
	s_delay_alu instid0(VALU_DEP_3) | instskip(NEXT) | instid1(VALU_DEP_1)
	v_min_u32_e32 v5, 32, v5
	v_sub_nc_u32_e64 v5, v5, 4 clamp
	s_delay_alu instid0(VALU_DEP_1) | instskip(NEXT) | instid1(VALU_DEP_1)
	v_dual_lshlrev_b32 v7, v5, v3 :: v_dual_lshlrev_b32 v5, 23, v5
	v_lshrrev_b32_e32 v7, 4, v7
	s_delay_alu instid0(VALU_DEP_1) | instskip(NEXT) | instid1(VALU_DEP_1)
	v_dual_sub_nc_u32 v5, v7, v5 :: v_dual_ashrrev_i32 v7, 8, v11
	v_add_nc_u32_e32 v5, 0x3c000000, v5
	s_delay_alu instid0(VALU_DEP_1) | instskip(NEXT) | instid1(VALU_DEP_1)
	v_and_or_b32 v5, 0x7f800000, v7, v5
	v_cndmask_b32_e32 v3, 0, v5, vcc_lo
	s_delay_alu instid0(VALU_DEP_1) | instskip(NEXT) | instid1(VALU_DEP_1)
	v_and_or_b32 v1, 0x80000000, v1, v3
	v_trunc_f32_e32 v1, v1
	s_delay_alu instid0(VALU_DEP_1) | instskip(SKIP_2) | instid1(VALU_DEP_2)
	v_mul_f32_e64 v3, 0x2f800000, |v1|
	s_wait_xcnt 0x1
	v_ashrrev_i32_e32 v42, 31, v1
	v_floor_f32_e32 v3, v3
	s_delay_alu instid0(VALU_DEP_2) | instskip(NEXT) | instid1(VALU_DEP_2)
	v_mov_b32_e32 v43, v42
	v_fma_f32 v5, 0xcf800000, v3, |v1|
	v_cvt_u32_f32_e32 v1, v3
	s_delay_alu instid0(VALU_DEP_2) | instskip(NEXT) | instid1(VALU_DEP_2)
	v_cvt_u32_f32_e32 v3, v5
	v_xor_b32_e32 v45, v1, v42
	s_delay_alu instid0(VALU_DEP_2) | instskip(NEXT) | instid1(VALU_DEP_1)
	v_xor_b32_e32 v44, v3, v42
	v_sub_nc_u64_e32 v[44:45], v[44:45], v[42:43]
.LBB95_4340:
	s_mov_b32 s1, 0
.LBB95_4341:
	s_delay_alu instid0(SALU_CYCLE_1)
	s_and_not1_b32 vcc_lo, exec_lo, s1
	s_cbranch_vccnz .LBB95_4343
; %bb.4342:
	global_load_u8 v1, v[32:33], off
	s_wait_loadcnt 0x0
	v_lshlrev_b32_e32 v3, 25, v1
	v_lshlrev_b16 v1, 8, v1
	s_delay_alu instid0(VALU_DEP_1) | instskip(SKIP_1) | instid1(VALU_DEP_2)
	v_and_or_b32 v7, 0x7f00, v1, 0.5
	v_bfe_i32 v1, v1, 0, 16
	v_add_f32_e32 v7, -0.5, v7
	v_lshrrev_b32_e32 v5, 4, v3
	v_cmp_gt_u32_e32 vcc_lo, 0x8000000, v3
	s_delay_alu instid0(VALU_DEP_2) | instskip(NEXT) | instid1(VALU_DEP_1)
	v_or_b32_e32 v5, 0x70000000, v5
	v_mul_f32_e32 v5, 0x7800000, v5
	s_delay_alu instid0(VALU_DEP_1) | instskip(NEXT) | instid1(VALU_DEP_1)
	v_cndmask_b32_e32 v3, v5, v7, vcc_lo
	v_and_or_b32 v1, 0x80000000, v1, v3
	s_delay_alu instid0(VALU_DEP_1) | instskip(NEXT) | instid1(VALU_DEP_1)
	v_trunc_f32_e32 v1, v1
	v_mul_f32_e64 v3, 0x2f800000, |v1|
	s_wait_xcnt 0x1
	v_ashrrev_i32_e32 v42, 31, v1
	s_delay_alu instid0(VALU_DEP_2) | instskip(NEXT) | instid1(VALU_DEP_2)
	v_floor_f32_e32 v3, v3
	v_mov_b32_e32 v43, v42
	s_delay_alu instid0(VALU_DEP_2) | instskip(SKIP_1) | instid1(VALU_DEP_2)
	v_fma_f32 v5, 0xcf800000, v3, |v1|
	v_cvt_u32_f32_e32 v1, v3
	v_cvt_u32_f32_e32 v3, v5
	s_delay_alu instid0(VALU_DEP_2) | instskip(NEXT) | instid1(VALU_DEP_2)
	v_xor_b32_e32 v45, v1, v42
	v_xor_b32_e32 v44, v3, v42
	s_delay_alu instid0(VALU_DEP_1)
	v_sub_nc_u64_e32 v[44:45], v[44:45], v[42:43]
.LBB95_4343:
	s_mov_b32 s1, 0
	s_mov_b32 s9, -1
.LBB95_4344:
	s_and_not1_b32 vcc_lo, exec_lo, s1
	s_mov_b32 s1, 0
	s_cbranch_vccnz .LBB95_4355
; %bb.4345:
	s_cmp_gt_i32 s59, 14
	s_cbranch_scc0 .LBB95_4348
; %bb.4346:
	s_cmp_eq_u32 s59, 15
	s_cbranch_scc0 .LBB95_4351
; %bb.4347:
	global_load_u16 v1, v[32:33], off
	s_mov_b32 s0, 0
	s_mov_b32 s9, -1
	s_wait_loadcnt 0x0
	v_lshlrev_b32_e32 v1, 16, v1
	s_delay_alu instid0(VALU_DEP_1) | instskip(NEXT) | instid1(VALU_DEP_1)
	v_trunc_f32_e32 v1, v1
	v_mul_f32_e64 v3, 0x2f800000, |v1|
	s_wait_xcnt 0x1
	v_ashrrev_i32_e32 v42, 31, v1
	s_delay_alu instid0(VALU_DEP_2) | instskip(NEXT) | instid1(VALU_DEP_2)
	v_floor_f32_e32 v3, v3
	v_mov_b32_e32 v43, v42
	s_delay_alu instid0(VALU_DEP_2) | instskip(SKIP_1) | instid1(VALU_DEP_2)
	v_fma_f32 v5, 0xcf800000, v3, |v1|
	v_cvt_u32_f32_e32 v1, v3
	v_cvt_u32_f32_e32 v3, v5
	s_delay_alu instid0(VALU_DEP_2) | instskip(NEXT) | instid1(VALU_DEP_2)
	v_xor_b32_e32 v45, v1, v42
	v_xor_b32_e32 v44, v3, v42
	s_delay_alu instid0(VALU_DEP_1)
	v_sub_nc_u64_e32 v[44:45], v[44:45], v[42:43]
	s_branch .LBB95_4353
.LBB95_4348:
	s_mov_b32 s1, -1
	s_branch .LBB95_4352
.LBB95_4349:
	s_and_not1_saveexec_b32 s1, s1
	s_cbranch_execz .LBB95_4330
.LBB95_4350:
	v_cmp_ne_u16_e32 vcc_lo, 0, v1
	s_and_not1_b32 s9, s9, exec_lo
	s_and_b32 s22, vcc_lo, exec_lo
	s_delay_alu instid0(SALU_CYCLE_1)
	s_or_b32 s9, s9, s22
	s_or_b32 exec_lo, exec_lo, s1
	v_mov_b64_e32 v[44:45], 0
	s_and_saveexec_b32 s1, s9
	s_cbranch_execnz .LBB95_4331
	s_branch .LBB95_4332
.LBB95_4351:
	s_mov_b32 s0, -1
.LBB95_4352:
                                        ; implicit-def: $vgpr44_vgpr45
.LBB95_4353:
	s_and_b32 vcc_lo, exec_lo, s1
	s_mov_b32 s1, 0
	s_cbranch_vccz .LBB95_4355
; %bb.4354:
	s_cmp_lg_u32 s59, 11
	s_mov_b32 s1, -1
	s_cselect_b32 s0, -1, 0
.LBB95_4355:
	s_delay_alu instid0(SALU_CYCLE_1)
	s_and_b32 vcc_lo, exec_lo, s0
	s_cbranch_vccnz .LBB95_4443
; %bb.4356:
	s_and_not1_b32 vcc_lo, exec_lo, s1
	s_cbranch_vccnz .LBB95_4358
.LBB95_4357:
	global_load_u8 v1, v[32:33], off
	s_mov_b32 s0, 0
	s_mov_b32 s9, -1
	s_wait_loadcnt 0x1
	v_mov_b32_e32 v45, s0
	s_wait_loadcnt 0x0
	v_cmp_ne_u16_e32 vcc_lo, 0, v1
	v_cndmask_b32_e64 v44, 0, 1, vcc_lo
.LBB95_4358:
	s_mov_b32 s0, 0
.LBB95_4359:
	s_delay_alu instid0(SALU_CYCLE_1)
	s_and_b32 vcc_lo, exec_lo, s0
	s_cbranch_vccz .LBB95_4408
; %bb.4360:
	s_cmp_lt_i32 s59, 5
	s_cbranch_scc1 .LBB95_4365
; %bb.4361:
	s_cmp_lt_i32 s59, 8
	s_cbranch_scc1 .LBB95_4366
	;; [unrolled: 3-line block ×3, first 2 shown]
; %bb.4363:
	s_cmp_gt_i32 s59, 9
	s_cbranch_scc0 .LBB95_4368
; %bb.4364:
	global_load_b64 v[42:43], v[32:33], off
	s_mov_b32 s0, 0
	s_wait_loadcnt 0x0
	v_trunc_f64_e32 v[42:43], v[42:43]
	s_delay_alu instid0(VALU_DEP_1) | instskip(NEXT) | instid1(VALU_DEP_1)
	v_ldexp_f64 v[44:45], v[42:43], 0xffffffe0
	v_floor_f64_e32 v[44:45], v[44:45]
	s_delay_alu instid0(VALU_DEP_1) | instskip(SKIP_1) | instid1(VALU_DEP_2)
	v_fmamk_f64 v[42:43], v[44:45], 0xc1f00000, v[42:43]
	v_cvt_i32_f64_e32 v45, v[44:45]
	v_cvt_u32_f64_e32 v44, v[42:43]
	s_branch .LBB95_4369
.LBB95_4365:
	s_mov_b32 s0, -1
                                        ; implicit-def: $vgpr44_vgpr45
	s_branch .LBB95_4387
.LBB95_4366:
	s_mov_b32 s0, -1
                                        ; implicit-def: $vgpr44_vgpr45
	s_branch .LBB95_4375
.LBB95_4367:
	s_mov_b32 s0, -1
                                        ; implicit-def: $vgpr44_vgpr45
	s_branch .LBB95_4372
.LBB95_4368:
	s_mov_b32 s0, -1
                                        ; implicit-def: $vgpr44_vgpr45
.LBB95_4369:
	s_delay_alu instid0(SALU_CYCLE_1)
	s_and_not1_b32 vcc_lo, exec_lo, s0
	s_cbranch_vccnz .LBB95_4371
; %bb.4370:
	global_load_b32 v1, v[32:33], off
	s_wait_loadcnt 0x0
	v_trunc_f32_e32 v1, v1
	s_delay_alu instid0(VALU_DEP_1) | instskip(SKIP_2) | instid1(VALU_DEP_2)
	v_mul_f32_e64 v3, 0x2f800000, |v1|
	s_wait_xcnt 0x1
	v_ashrrev_i32_e32 v42, 31, v1
	v_floor_f32_e32 v3, v3
	s_delay_alu instid0(VALU_DEP_1) | instskip(SKIP_1) | instid1(VALU_DEP_4)
	v_fma_f32 v5, 0xcf800000, v3, |v1|
	v_cvt_u32_f32_e32 v1, v3
	v_mov_b32_e32 v43, v42
	s_delay_alu instid0(VALU_DEP_3) | instskip(NEXT) | instid1(VALU_DEP_3)
	v_cvt_u32_f32_e32 v3, v5
	v_xor_b32_e32 v45, v1, v42
	s_delay_alu instid0(VALU_DEP_2) | instskip(NEXT) | instid1(VALU_DEP_1)
	v_xor_b32_e32 v44, v3, v42
	v_sub_nc_u64_e32 v[44:45], v[44:45], v[42:43]
.LBB95_4371:
	s_mov_b32 s0, 0
.LBB95_4372:
	s_delay_alu instid0(SALU_CYCLE_1)
	s_and_not1_b32 vcc_lo, exec_lo, s0
	s_cbranch_vccnz .LBB95_4374
; %bb.4373:
	global_load_b32 v1, v[32:33], off
	s_wait_loadcnt 0x0
	v_cvt_f32_f16_e32 v1, v1
	s_delay_alu instid0(VALU_DEP_1) | instskip(NEXT) | instid1(VALU_DEP_1)
	v_cvt_i32_f32_e32 v44, v1
	v_ashrrev_i32_e32 v45, 31, v44
.LBB95_4374:
	s_mov_b32 s0, 0
.LBB95_4375:
	s_delay_alu instid0(SALU_CYCLE_1)
	s_and_not1_b32 vcc_lo, exec_lo, s0
	s_cbranch_vccnz .LBB95_4386
; %bb.4376:
	s_cmp_lt_i32 s59, 6
	s_cbranch_scc1 .LBB95_4379
; %bb.4377:
	s_cmp_gt_i32 s59, 6
	s_cbranch_scc0 .LBB95_4380
; %bb.4378:
	global_load_b64 v[42:43], v[32:33], off
	s_mov_b32 s0, 0
	s_wait_loadcnt 0x0
	v_trunc_f64_e32 v[42:43], v[42:43]
	s_delay_alu instid0(VALU_DEP_1) | instskip(NEXT) | instid1(VALU_DEP_1)
	v_ldexp_f64 v[44:45], v[42:43], 0xffffffe0
	v_floor_f64_e32 v[44:45], v[44:45]
	s_delay_alu instid0(VALU_DEP_1) | instskip(SKIP_1) | instid1(VALU_DEP_2)
	v_fmamk_f64 v[42:43], v[44:45], 0xc1f00000, v[42:43]
	v_cvt_i32_f64_e32 v45, v[44:45]
	v_cvt_u32_f64_e32 v44, v[42:43]
	s_branch .LBB95_4381
.LBB95_4379:
	s_mov_b32 s0, -1
                                        ; implicit-def: $vgpr44_vgpr45
	s_branch .LBB95_4384
.LBB95_4380:
	s_mov_b32 s0, -1
                                        ; implicit-def: $vgpr44_vgpr45
.LBB95_4381:
	s_delay_alu instid0(SALU_CYCLE_1)
	s_and_not1_b32 vcc_lo, exec_lo, s0
	s_cbranch_vccnz .LBB95_4383
; %bb.4382:
	global_load_b32 v1, v[32:33], off
	s_wait_loadcnt 0x0
	v_trunc_f32_e32 v1, v1
	s_delay_alu instid0(VALU_DEP_1) | instskip(SKIP_2) | instid1(VALU_DEP_2)
	v_mul_f32_e64 v3, 0x2f800000, |v1|
	s_wait_xcnt 0x1
	v_ashrrev_i32_e32 v42, 31, v1
	v_floor_f32_e32 v3, v3
	s_delay_alu instid0(VALU_DEP_1) | instskip(SKIP_1) | instid1(VALU_DEP_4)
	v_fma_f32 v5, 0xcf800000, v3, |v1|
	v_cvt_u32_f32_e32 v1, v3
	v_mov_b32_e32 v43, v42
	s_delay_alu instid0(VALU_DEP_3) | instskip(NEXT) | instid1(VALU_DEP_3)
	v_cvt_u32_f32_e32 v3, v5
	v_xor_b32_e32 v45, v1, v42
	s_delay_alu instid0(VALU_DEP_2) | instskip(NEXT) | instid1(VALU_DEP_1)
	v_xor_b32_e32 v44, v3, v42
	v_sub_nc_u64_e32 v[44:45], v[44:45], v[42:43]
.LBB95_4383:
	s_mov_b32 s0, 0
.LBB95_4384:
	s_delay_alu instid0(SALU_CYCLE_1)
	s_and_not1_b32 vcc_lo, exec_lo, s0
	s_cbranch_vccnz .LBB95_4386
; %bb.4385:
	global_load_u16 v1, v[32:33], off
	s_wait_loadcnt 0x0
	v_cvt_f32_f16_e32 v1, v1
	s_delay_alu instid0(VALU_DEP_1) | instskip(NEXT) | instid1(VALU_DEP_1)
	v_cvt_i32_f32_e32 v44, v1
	v_ashrrev_i32_e32 v45, 31, v44
.LBB95_4386:
	s_mov_b32 s0, 0
.LBB95_4387:
	s_delay_alu instid0(SALU_CYCLE_1)
	s_and_not1_b32 vcc_lo, exec_lo, s0
	s_cbranch_vccnz .LBB95_4407
; %bb.4388:
	s_cmp_lt_i32 s59, 2
	s_cbranch_scc1 .LBB95_4392
; %bb.4389:
	s_cmp_lt_i32 s59, 3
	s_cbranch_scc1 .LBB95_4393
; %bb.4390:
	s_cmp_gt_i32 s59, 3
	s_cbranch_scc0 .LBB95_4394
; %bb.4391:
	s_wait_loadcnt 0x0
	global_load_b64 v[44:45], v[32:33], off
	s_mov_b32 s0, 0
	s_branch .LBB95_4395
.LBB95_4392:
	s_mov_b32 s0, -1
                                        ; implicit-def: $vgpr44_vgpr45
	s_branch .LBB95_4401
.LBB95_4393:
	s_mov_b32 s0, -1
                                        ; implicit-def: $vgpr44_vgpr45
	s_branch .LBB95_4398
.LBB95_4394:
	s_mov_b32 s0, -1
                                        ; implicit-def: $vgpr44_vgpr45
.LBB95_4395:
	s_delay_alu instid0(SALU_CYCLE_1)
	s_and_not1_b32 vcc_lo, exec_lo, s0
	s_cbranch_vccnz .LBB95_4397
; %bb.4396:
	s_wait_loadcnt 0x0
	global_load_b32 v44, v[32:33], off
	s_wait_loadcnt 0x0
	v_ashrrev_i32_e32 v45, 31, v44
.LBB95_4397:
	s_mov_b32 s0, 0
.LBB95_4398:
	s_delay_alu instid0(SALU_CYCLE_1)
	s_and_not1_b32 vcc_lo, exec_lo, s0
	s_cbranch_vccnz .LBB95_4400
; %bb.4399:
	global_load_u16 v1, v[32:33], off
	s_wait_loadcnt 0x0
	v_bfe_i32 v44, v1, 0, 16
	s_delay_alu instid0(VALU_DEP_1)
	v_ashrrev_i32_e32 v45, 31, v44
.LBB95_4400:
	s_mov_b32 s0, 0
.LBB95_4401:
	s_delay_alu instid0(SALU_CYCLE_1)
	s_and_not1_b32 vcc_lo, exec_lo, s0
	s_cbranch_vccnz .LBB95_4407
; %bb.4402:
	s_cmp_gt_i32 s59, 0
	s_mov_b32 s0, 0
	s_cbranch_scc0 .LBB95_4404
; %bb.4403:
	global_load_i8 v1, v[32:33], off
	s_wait_loadcnt 0x0
	v_bfe_i32 v44, v1, 0, 16
	s_delay_alu instid0(VALU_DEP_1)
	v_ashrrev_i32_e32 v45, 31, v44
	s_branch .LBB95_4405
.LBB95_4404:
	s_mov_b32 s0, -1
                                        ; implicit-def: $vgpr44_vgpr45
.LBB95_4405:
	s_delay_alu instid0(SALU_CYCLE_1)
	s_and_not1_b32 vcc_lo, exec_lo, s0
	s_cbranch_vccnz .LBB95_4407
; %bb.4406:
	global_load_u8 v1, v[32:33], off
	s_mov_b32 s0, 0
	s_wait_loadcnt 0x1
	v_mov_b32_e32 v45, s0
	s_wait_loadcnt 0x0
	v_and_b32_e32 v44, 0xffff, v1
.LBB95_4407:
	s_mov_b32 s9, -1
.LBB95_4408:
	s_delay_alu instid0(SALU_CYCLE_1)
	s_and_not1_b32 vcc_lo, exec_lo, s9
	s_cbranch_vccnz .LBB95_4417
; %bb.4409:
	s_mov_b32 s0, exec_lo
	s_wait_loadcnt 0x0
	v_cmpx_ne_u64_e64 v[40:41], v[8:9]
	s_xor_b32 s0, exec_lo, s0
	s_cbranch_execnz .LBB95_4577
.LBB95_4410:
	s_or_saveexec_b32 s47, s0
	s_mov_b32 s1, 0
	s_mov_b32 s9, 0
                                        ; implicit-def: $vgpr42_vgpr43
                                        ; implicit-def: $sgpr0
	s_xor_b32 exec_lo, exec_lo, s47
	s_cbranch_execz .LBB95_5088
; %bb.4411:
	s_mov_b32 s48, s43
	s_mov_b32 s0, exec_lo
	v_cmpx_ne_u64_e64 v[38:39], v[12:13]
	s_xor_b32 s0, exec_lo, s0
	s_cbranch_execnz .LBB95_4705
; %bb.4412:
	s_or_saveexec_b32 s49, s0
                                        ; implicit-def: $vgpr42_vgpr43
                                        ; implicit-def: $sgpr0
	s_delay_alu instid0(SALU_CYCLE_1)
	s_xor_b32 exec_lo, exec_lo, s49
	s_cbranch_execz .LBB95_5087
.LBB95_4413:
	v_sub_nc_u64_e32 v[32:33], v[34:35], v[36:37]
	s_mov_b32 s50, s48
	s_delay_alu instid0(VALU_DEP_1) | instskip(SKIP_2) | instid1(SALU_CYCLE_1)
	v_cmp_gt_i64_e32 vcc_lo, v[8:9], v[32:33]
	v_cmp_lt_i64_e64 s0, s[18:19], v[32:33]
	s_or_b32 s0, vcc_lo, s0
	s_and_saveexec_b32 s1, s0
	s_delay_alu instid0(SALU_CYCLE_1)
	s_xor_b32 s0, exec_lo, s1
	s_cbranch_execnz .LBB95_4833
; %bb.4414:
	s_or_saveexec_b32 s51, s0
	s_mov_b32 s1, 0
                                        ; implicit-def: $vgpr42_vgpr43
                                        ; implicit-def: $sgpr0
	s_xor_b32 exec_lo, exec_lo, s51
	s_cbranch_execz .LBB95_5086
.LBB95_4415:
	v_mov_b64_e32 v[32:33], 0
	s_and_saveexec_b32 s52, s46
	s_cbranch_execz .LBB95_4428
; %bb.4416:
	v_mul_u64_e32 v[40:41], v[44:45], v[12:13]
	s_mov_b32 s9, s1
	v_mov_b64_e32 v[32:33], 0
	s_lshl_b64 s[24:25], s[8:9], 3
	v_mov_b32_e32 v38, 0
	s_add_nc_u64 s[24:25], s[2:3], s[24:25]
	s_mov_b64 s[22:23], 0xffffffff
	s_add_nc_u64 s[24:25], s[24:25], 0x298
	s_mov_b32 s9, s44
	s_branch .LBB95_4424
.LBB95_4417:
	s_mov_b32 s1, 0
	s_mov_b32 s9, 0
                                        ; implicit-def: $vgpr42_vgpr43
                                        ; implicit-def: $sgpr0
.LBB95_4418:
	s_wait_xcnt 0x0
	s_and_not1_b32 s2, s41, exec_lo
	s_and_b32 s3, s43, exec_lo
	s_and_b32 s9, s9, exec_lo
	;; [unrolled: 1-line block ×3, first 2 shown]
	s_or_b32 s41, s2, s3
.LBB95_4419:
	s_or_b32 exec_lo, exec_lo, s42
	s_wait_xcnt 0x0
	s_and_not1_b32 s2, s39, exec_lo
	s_and_b32 s3, s41, exec_lo
	s_and_b32 s8, s9, exec_lo
	;; [unrolled: 1-line block ×3, first 2 shown]
	s_or_b32 s39, s2, s3
.LBB95_4420:
	s_or_b32 exec_lo, exec_lo, s40
	s_delay_alu instid0(SALU_CYCLE_1)
	s_and_not1_b32 s2, s37, exec_lo
	s_and_b32 s3, s39, exec_lo
	s_and_b32 s8, s8, exec_lo
	;; [unrolled: 1-line block ×3, first 2 shown]
	s_or_b32 s37, s2, s3
.LBB95_4421:
	s_or_b32 exec_lo, exec_lo, s38
	s_delay_alu instid0(SALU_CYCLE_1)
	s_and_not1_b32 s2, s33, exec_lo
	s_and_b32 s3, s37, exec_lo
	s_and_b32 s8, s8, exec_lo
	;; [unrolled: 1-line block ×3, first 2 shown]
	s_or_b32 s33, s2, s3
.LBB95_4422:
	s_or_b32 exec_lo, exec_lo, s36
	s_branch .LBB95_3533
.LBB95_4423:                            ;   in Loop: Header=BB95_4424 Depth=1
	s_or_b32 exec_lo, exec_lo, s0
	s_delay_alu instid0(VALU_DEP_1)
	v_mul_u64_e32 v[44:45], s[26:27], v[42:43]
	s_load_b64 s[26:27], s[24:25], 0x40
	s_add_co_i32 s9, s9, -1
	s_wait_xcnt 0x0
	s_add_nc_u64 s[24:25], s[24:25], -8
	s_cmp_eq_u32 s9, 0
	s_delay_alu instid0(VALU_DEP_1) | instskip(SKIP_1) | instid1(VALU_DEP_1)
	v_sub_nc_u64_e32 v[40:41], v[40:41], v[44:45]
	s_wait_kmcnt 0x0
	v_mad_nc_u64_u32 v[32:33], v40, s26, v[32:33]
	s_delay_alu instid0(VALU_DEP_1) | instskip(NEXT) | instid1(VALU_DEP_1)
	v_mad_u32 v1, v41, s26, v33
	v_mad_u32 v33, v40, s27, v1
	v_mov_b64_e32 v[40:41], v[42:43]
	s_cbranch_scc1 .LBB95_4428
.LBB95_4424:                            ; =>This Inner Loop Header: Depth=1
	s_load_b64 s[26:27], s[24:25], 0x0
                                        ; implicit-def: $vgpr42_vgpr43
	s_mov_b32 s0, exec_lo
	s_wait_kmcnt 0x0
	s_delay_alu instid0(VALU_DEP_1) | instskip(NEXT) | instid1(VALU_DEP_1)
	v_or_b32_e32 v39, s27, v41
	v_cmpx_ne_u64_e32 0, v[38:39]
	s_xor_b32 s53, exec_lo, s0
	s_cbranch_execz .LBB95_4426
; %bb.4425:                             ;   in Loop: Header=BB95_4424 Depth=1
	s_ashr_i32 s28, s27, 31
	v_dual_mov_b32 v47, v38 :: v_dual_ashrrev_i32 v42, 31, v41
	s_mov_b32 s29, s28
	v_mov_b32_e32 v55, v38
	s_add_nc_u64 s[30:31], s[26:27], s[28:29]
	s_delay_alu instid0(VALU_DEP_2) | instskip(SKIP_1) | instid1(SALU_CYCLE_1)
	v_mov_b32_e32 v43, v42
	s_xor_b64 s[30:31], s[30:31], s[28:29]
	s_cvt_f32_u32 s0, s30
	s_cvt_f32_u32 s29, s31
	s_sub_nc_u64 s[62:63], 0, s[30:31]
	v_add_nc_u64_e32 v[44:45], v[40:41], v[42:43]
	v_mov_b32_e32 v51, v38
	s_fmamk_f32 s0, s29, 0x4f800000, s0
	s_delay_alu instid0(SALU_CYCLE_3) | instskip(NEXT) | instid1(VALU_DEP_2)
	v_s_rcp_f32 s0, s0
	v_xor_b32_e32 v46, v44, v42
	s_delay_alu instid0(VALU_DEP_3) | instskip(NEXT) | instid1(TRANS32_DEP_1)
	v_xor_b32_e32 v50, v45, v42
	s_mul_f32 s0, s0, 0x5f7ffffc
	s_delay_alu instid0(SALU_CYCLE_3) | instskip(NEXT) | instid1(SALU_CYCLE_3)
	s_mul_f32 s29, s0, 0x2f800000
	s_trunc_f32 s29, s29
	s_delay_alu instid0(SALU_CYCLE_3) | instskip(SKIP_1) | instid1(SALU_CYCLE_2)
	s_fmamk_f32 s0, s29, 0xcf800000, s0
	s_cvt_u32_f32 s61, s29
	s_cvt_u32_f32 s60, s0
	s_delay_alu instid0(SALU_CYCLE_3) | instskip(NEXT) | instid1(SALU_CYCLE_1)
	s_mul_u64 s[64:65], s[62:63], s[60:61]
	s_mul_hi_u32 s67, s60, s65
	s_mul_i32 s66, s60, s65
	s_mul_hi_u32 s0, s60, s64
	s_mul_i32 s54, s61, s64
	s_add_nc_u64 s[66:67], s[0:1], s[66:67]
	s_mul_hi_u32 s29, s61, s64
	s_mul_hi_u32 s68, s61, s65
	s_add_co_u32 s0, s66, s54
	s_add_co_ci_u32 s0, s67, s29
	s_mul_i32 s64, s61, s65
	s_add_co_ci_u32 s65, s68, 0
	s_delay_alu instid0(SALU_CYCLE_1) | instskip(NEXT) | instid1(SALU_CYCLE_1)
	s_add_nc_u64 s[64:65], s[0:1], s[64:65]
	s_add_co_u32 s60, s60, s64
	s_cselect_b32 s0, -1, 0
	s_delay_alu instid0(SALU_CYCLE_1) | instskip(SKIP_1) | instid1(SALU_CYCLE_1)
	s_cmp_lg_u32 s0, 0
	s_add_co_ci_u32 s61, s61, s65
	s_mul_u64 s[62:63], s[62:63], s[60:61]
	s_delay_alu instid0(SALU_CYCLE_1)
	s_mul_hi_u32 s65, s60, s63
	s_mul_i32 s64, s60, s63
	s_mul_hi_u32 s0, s60, s62
	s_mul_i32 s54, s61, s62
	s_add_nc_u64 s[64:65], s[0:1], s[64:65]
	s_mul_hi_u32 s29, s61, s62
	s_mul_hi_u32 s66, s61, s63
	s_add_co_u32 s0, s64, s54
	s_add_co_ci_u32 s0, s65, s29
	s_mul_i32 s62, s61, s63
	s_add_co_ci_u32 s63, s66, 0
	s_delay_alu instid0(SALU_CYCLE_1) | instskip(NEXT) | instid1(SALU_CYCLE_1)
	s_add_nc_u64 s[62:63], s[0:1], s[62:63]
	s_add_co_u32 s54, s60, s62
	s_cselect_b32 s0, -1, 0
	v_mul_hi_u32 v54, v46, s54
	s_cmp_lg_u32 s0, 0
	s_add_co_ci_u32 s0, s61, s63
	s_and_b64 s[60:61], s[54:55], s[22:23]
	v_mul_u64_e32 v[48:49], s[0:1], v[46:47]
	v_mul_u64_e32 v[44:45], s[60:61], v[50:51]
	v_mul_u64_e32 v[52:53], s[0:1], v[50:51]
	s_delay_alu instid0(VALU_DEP_3) | instskip(NEXT) | instid1(VALU_DEP_1)
	v_add_nc_u64_e32 v[48:49], v[54:55], v[48:49]
	v_add_co_u32 v1, vcc_lo, v48, v44
	s_delay_alu instid0(VALU_DEP_2) | instskip(NEXT) | instid1(VALU_DEP_4)
	v_add_co_ci_u32_e32 v54, vcc_lo, v49, v45, vcc_lo
	v_add_co_ci_u32_e32 v53, vcc_lo, 0, v53, vcc_lo
	s_delay_alu instid0(VALU_DEP_1) | instskip(NEXT) | instid1(VALU_DEP_1)
	v_add_nc_u64_e32 v[44:45], v[54:55], v[52:53]
	v_mul_u64_e32 v[48:49], s[30:31], v[44:45]
	s_delay_alu instid0(VALU_DEP_1) | instskip(NEXT) | instid1(VALU_DEP_2)
	v_sub_nc_u32_e32 v1, v50, v49
	v_sub_co_u32 v3, vcc_lo, v46, v48
	s_delay_alu instid0(VALU_DEP_1) | instskip(NEXT) | instid1(VALU_DEP_3)
	v_sub_co_ci_u32_e64 v7, null, v50, v49, vcc_lo
	v_subrev_co_ci_u32_e64 v1, null, s31, v1, vcc_lo
	s_delay_alu instid0(VALU_DEP_3) | instskip(SKIP_1) | instid1(VALU_DEP_3)
	v_sub_co_u32 v5, s0, v3, s30
	v_add_nc_u64_e32 v[46:47], 2, v[44:45]
	v_subrev_co_ci_u32_e64 v1, null, 0, v1, s0
	s_delay_alu instid0(VALU_DEP_3) | instskip(SKIP_2) | instid1(VALU_DEP_4)
	v_cmp_le_u32_e32 vcc_lo, s30, v5
	v_add_nc_u64_e32 v[48:49], 1, v[44:45]
	v_cndmask_b32_e64 v5, 0, -1, vcc_lo
	v_cmp_le_u32_e32 vcc_lo, s31, v1
	v_cndmask_b32_e64 v11, 0, -1, vcc_lo
	v_cmp_le_u32_e32 vcc_lo, s30, v3
	v_cndmask_b32_e64 v3, 0, -1, vcc_lo
	v_cmp_le_u32_e32 vcc_lo, s31, v7
	v_cndmask_b32_e64 v15, 0, -1, vcc_lo
	v_cmp_eq_u32_e32 vcc_lo, s31, v1
	v_cndmask_b32_e32 v1, v11, v5, vcc_lo
	v_cmp_eq_u32_e32 vcc_lo, s31, v7
	s_delay_alu instid0(VALU_DEP_4) | instskip(NEXT) | instid1(VALU_DEP_3)
	v_cndmask_b32_e32 v3, v15, v3, vcc_lo
	v_cmp_ne_u32_e32 vcc_lo, 0, v1
	s_delay_alu instid0(VALU_DEP_2) | instskip(SKIP_1) | instid1(VALU_DEP_1)
	v_cmp_ne_u32_e64 s0, 0, v3
	v_dual_cndmask_b32 v1, v49, v47, vcc_lo :: v_dual_cndmask_b32 v3, v48, v46, vcc_lo
	v_dual_cndmask_b32 v1, v45, v1, s0 :: v_dual_bitop2_b32 v42, s28, v42 bitop3:0x14
	s_delay_alu instid0(VALU_DEP_1) | instskip(NEXT) | instid1(VALU_DEP_2)
	v_dual_cndmask_b32 v3, v44, v3, s0 :: v_dual_mov_b32 v43, v42
	v_xor_b32_e32 v45, v1, v42
	s_delay_alu instid0(VALU_DEP_2) | instskip(NEXT) | instid1(VALU_DEP_1)
	v_xor_b32_e32 v44, v3, v42
	v_sub_nc_u64_e32 v[42:43], v[44:45], v[42:43]
.LBB95_4426:                            ;   in Loop: Header=BB95_4424 Depth=1
	s_and_not1_saveexec_b32 s0, s53
	s_cbranch_execz .LBB95_4423
; %bb.4427:                             ;   in Loop: Header=BB95_4424 Depth=1
	v_cvt_f32_u32_e32 v1, s26
	s_sub_co_i32 s28, 0, s26
	v_mov_b32_e32 v43, v38
	s_delay_alu instid0(VALU_DEP_2) | instskip(SKIP_1) | instid1(TRANS32_DEP_1)
	v_rcp_iflag_f32_e32 v1, v1
	v_nop
	v_mul_f32_e32 v1, 0x4f7ffffe, v1
	s_delay_alu instid0(VALU_DEP_1) | instskip(NEXT) | instid1(VALU_DEP_1)
	v_cvt_u32_f32_e32 v1, v1
	v_mul_lo_u32 v3, s28, v1
	s_delay_alu instid0(VALU_DEP_1) | instskip(NEXT) | instid1(VALU_DEP_1)
	v_mul_hi_u32 v3, v1, v3
	v_add_nc_u32_e32 v1, v1, v3
	s_delay_alu instid0(VALU_DEP_1) | instskip(NEXT) | instid1(VALU_DEP_1)
	v_mul_hi_u32 v1, v40, v1
	v_mul_lo_u32 v3, v1, s26
	s_delay_alu instid0(VALU_DEP_1) | instskip(NEXT) | instid1(VALU_DEP_1)
	v_sub_nc_u32_e32 v3, v40, v3
	v_subrev_nc_u32_e32 v7, s26, v3
	v_cmp_le_u32_e32 vcc_lo, s26, v3
	s_delay_alu instid0(VALU_DEP_2) | instskip(NEXT) | instid1(VALU_DEP_1)
	v_dual_add_nc_u32 v5, 1, v1 :: v_dual_cndmask_b32 v3, v3, v7, vcc_lo
	v_cndmask_b32_e32 v1, v1, v5, vcc_lo
	s_delay_alu instid0(VALU_DEP_2) | instskip(NEXT) | instid1(VALU_DEP_2)
	v_cmp_le_u32_e32 vcc_lo, s26, v3
	v_add_nc_u32_e32 v5, 1, v1
	s_delay_alu instid0(VALU_DEP_1)
	v_cndmask_b32_e32 v42, v1, v5, vcc_lo
	s_branch .LBB95_4423
.LBB95_4428:
	s_or_b32 exec_lo, exec_lo, s52
	s_mov_b32 s22, -1
	s_mov_b32 s52, s50
	s_mov_b32 s0, exec_lo
	v_cmpx_gt_i64_e64 v[34:35], v[36:37]
	s_cbranch_execz .LBB95_4435
; %bb.4429:
	s_delay_alu instid0(VALU_DEP_2) | instskip(SKIP_2) | instid1(VALU_DEP_1)
	v_lshlrev_b64_e32 v[32:33], 3, v[32:33]
	s_mov_b32 s9, 0
	s_xor_b32 s22, s45, -1
                                        ; implicit-def: $sgpr1
                                        ; implicit-def: $sgpr24
                                        ; implicit-def: $sgpr23
	v_lshl_add_u64 v[36:37], v[36:37], 3, v[32:33]
	s_wait_kmcnt 0x0
	v_add_nc_u64_e32 v[38:39], s[20:21], v[32:33]
	s_delay_alu instid0(VALU_DEP_2) | instskip(NEXT) | instid1(VALU_DEP_2)
	v_add_nc_u64_e32 v[36:37], s[20:21], v[36:37]
	v_lshl_add_u64 v[34:35], v[34:35], 3, v[38:39]
	s_delay_alu instid0(VALU_DEP_2)
	v_add_nc_u64_e32 v[32:33], 8, v[36:37]
	s_branch .LBB95_4431
.LBB95_4430:                            ;   in Loop: Header=BB95_4431 Depth=1
	s_or_b32 exec_lo, exec_lo, s25
	s_xor_b32 s25, s23, -1
	s_and_b32 s26, exec_lo, s24
	s_delay_alu instid0(SALU_CYCLE_1) | instskip(SKIP_2) | instid1(SALU_CYCLE_1)
	s_or_b32 s9, s26, s9
	s_and_not1_b32 s1, s1, exec_lo
	s_and_b32 s25, s25, exec_lo
	s_or_b32 s1, s1, s25
	s_and_not1_b32 exec_lo, exec_lo, s9
	s_cbranch_execz .LBB95_4433
.LBB95_4431:                            ; =>This Inner Loop Header: Depth=1
	s_or_b32 s23, s23, exec_lo
	s_or_b32 s24, s24, exec_lo
	s_mov_b32 s25, exec_lo
	s_delay_alu instid0(VALU_DEP_1)
	v_cmpx_lt_u64_e64 v[32:33], v[34:35]
	s_cbranch_execz .LBB95_4430
; %bb.4432:                             ;   in Loop: Header=BB95_4431 Depth=1
	global_load_b128 v[36:39], v[32:33], off offset:-8
	s_wait_xcnt 0x0
	v_add_nc_u64_e32 v[32:33], 8, v[32:33]
	s_and_not1_b32 s24, s24, exec_lo
	s_and_not1_b32 s23, s23, exec_lo
	s_wait_loadcnt 0x0
	v_cmp_ge_i64_e32 vcc_lo, v[36:37], v[38:39]
	s_or_b32 s26, s22, vcc_lo
	s_delay_alu instid0(SALU_CYCLE_1) | instskip(NEXT) | instid1(SALU_CYCLE_1)
	s_and_b32 s26, s26, exec_lo
	s_or_b32 s24, s24, s26
	s_branch .LBB95_4430
.LBB95_4433:
	s_or_b32 exec_lo, exec_lo, s9
	s_mov_b32 s9, -1
	s_mov_b32 s22, s50
	s_and_saveexec_b32 s23, s1
	s_delay_alu instid0(SALU_CYCLE_1)
	s_xor_b32 s1, exec_lo, s23
	s_cbranch_execnz .LBB95_4448
.LBB95_4434:
	s_or_b32 exec_lo, exec_lo, s1
	s_delay_alu instid0(SALU_CYCLE_1) | instskip(SKIP_1) | instid1(SALU_CYCLE_1)
	s_and_not1_b32 s1, s50, exec_lo
	s_and_b32 s22, s22, exec_lo
	s_or_b32 s52, s1, s22
	s_or_not1_b32 s22, s9, exec_lo
.LBB95_4435:
	s_or_b32 exec_lo, exec_lo, s0
	s_mov_b32 s1, 0
	s_mov_b32 s9, 0
                                        ; implicit-def: $vgpr42_vgpr43
                                        ; implicit-def: $sgpr0
	s_and_saveexec_b32 s53, s22
	s_cbranch_execz .LBB95_5085
; %bb.4436:
	v_mov_b32_e32 v31, 0
	s_cmp_lt_i32 s55, 11
	s_delay_alu instid0(VALU_DEP_1)
	v_add_nc_u64_e32 v[32:33], s[6:7], v[30:31]
	s_cbranch_scc1 .LBB95_4444
; %bb.4437:
	s_cmp_gt_i32 s55, 25
	s_cbranch_scc0 .LBB95_4445
; %bb.4438:
	s_cmp_gt_i32 s55, 28
	s_cbranch_scc0 .LBB95_4446
	;; [unrolled: 3-line block ×4, first 2 shown]
; %bb.4441:
	s_cmp_eq_u32 s55, 46
	s_mov_b32 s22, 0
	s_cbranch_scc0 .LBB95_4450
; %bb.4442:
	global_load_b32 v1, v[32:33], off
	s_mov_b32 s0, 0
	s_mov_b32 s9, -1
	s_wait_loadcnt 0x0
	v_lshlrev_b32_e32 v1, 16, v1
	s_delay_alu instid0(VALU_DEP_1) | instskip(NEXT) | instid1(VALU_DEP_1)
	v_trunc_f32_e32 v1, v1
	v_mul_f32_e64 v3, 0x2f800000, |v1|
	v_ashrrev_i32_e32 v30, 31, v1
	s_delay_alu instid0(VALU_DEP_2) | instskip(NEXT) | instid1(VALU_DEP_2)
	v_floor_f32_e32 v3, v3
	v_mov_b32_e32 v31, v30
	s_delay_alu instid0(VALU_DEP_2) | instskip(SKIP_1) | instid1(VALU_DEP_2)
	v_fma_f32 v5, 0xcf800000, v3, |v1|
	v_cvt_u32_f32_e32 v1, v3
	v_cvt_u32_f32_e32 v3, v5
	s_delay_alu instid0(VALU_DEP_2) | instskip(NEXT) | instid1(VALU_DEP_2)
	v_xor_b32_e32 v35, v1, v30
	v_xor_b32_e32 v34, v3, v30
	s_delay_alu instid0(VALU_DEP_1)
	v_sub_nc_u64_e32 v[30:31], v[34:35], v[30:31]
	s_branch .LBB95_4452
.LBB95_4443:
	s_or_b32 s43, s43, exec_lo
	s_trap 2
	s_cbranch_execz .LBB95_4357
	s_branch .LBB95_4358
.LBB95_4444:
	s_mov_b32 s0, -1
	s_mov_b32 s54, s52
                                        ; implicit-def: $vgpr30_vgpr31
	s_branch .LBB95_4514
.LBB95_4445:
	s_mov_b32 s22, -1
	s_mov_b32 s0, 0
                                        ; implicit-def: $vgpr30_vgpr31
	s_branch .LBB95_4479
.LBB95_4446:
	s_mov_b32 s22, -1
	s_mov_b32 s0, 0
                                        ; implicit-def: $vgpr30_vgpr31
	s_branch .LBB95_4462
.LBB95_4447:
	s_mov_b32 s22, -1
	s_mov_b32 s0, 0
                                        ; implicit-def: $vgpr30_vgpr31
	s_branch .LBB95_4457
.LBB95_4448:
	s_or_b32 s22, s50, exec_lo
	s_xor_b32 s9, exec_lo, -1
	s_trap 2
	s_branch .LBB95_4434
.LBB95_4449:
	s_mov_b32 s22, -1
	s_mov_b32 s0, 0
	s_branch .LBB95_4451
.LBB95_4450:
	s_mov_b32 s0, -1
.LBB95_4451:
                                        ; implicit-def: $vgpr30_vgpr31
.LBB95_4452:
	s_and_b32 vcc_lo, exec_lo, s22
	s_cbranch_vccz .LBB95_4456
; %bb.4453:
	s_cmp_eq_u32 s55, 44
	s_cbranch_scc0 .LBB95_4455
; %bb.4454:
	global_load_u8 v1, v[32:33], off
	s_mov_b32 s0, 0
	s_mov_b32 s9, -1
	s_wait_loadcnt 0x0
	v_lshlrev_b32_e32 v3, 23, v1
	v_cmp_ne_u32_e32 vcc_lo, 0, v1
	s_delay_alu instid0(VALU_DEP_2) | instskip(NEXT) | instid1(VALU_DEP_1)
	v_trunc_f32_e32 v3, v3
	v_mul_f32_e64 v5, 0x2f800000, |v3|
	v_ashrrev_i32_e32 v30, 31, v3
	s_delay_alu instid0(VALU_DEP_2) | instskip(NEXT) | instid1(VALU_DEP_2)
	v_floor_f32_e32 v5, v5
	v_mov_b32_e32 v31, v30
	s_delay_alu instid0(VALU_DEP_2) | instskip(SKIP_1) | instid1(VALU_DEP_2)
	v_fma_f32 v7, 0xcf800000, v5, |v3|
	v_cvt_u32_f32_e32 v3, v5
	v_cvt_u32_f32_e32 v5, v7
	s_delay_alu instid0(VALU_DEP_2) | instskip(NEXT) | instid1(VALU_DEP_2)
	v_xor_b32_e32 v35, v3, v30
	v_xor_b32_e32 v34, v5, v30
	s_delay_alu instid0(VALU_DEP_1) | instskip(NEXT) | instid1(VALU_DEP_1)
	v_sub_nc_u64_e32 v[30:31], v[34:35], v[30:31]
	v_dual_cndmask_b32 v31, 0, v31 :: v_dual_cndmask_b32 v30, 0, v30
	s_branch .LBB95_4456
.LBB95_4455:
	s_mov_b32 s0, -1
                                        ; implicit-def: $vgpr30_vgpr31
.LBB95_4456:
	s_mov_b32 s22, 0
.LBB95_4457:
	s_delay_alu instid0(SALU_CYCLE_1)
	s_and_b32 vcc_lo, exec_lo, s22
	s_cbranch_vccz .LBB95_4461
; %bb.4458:
	s_cmp_eq_u32 s55, 29
	s_cbranch_scc0 .LBB95_4460
; %bb.4459:
	global_load_b64 v[30:31], v[32:33], off
	s_mov_b32 s0, 0
	s_mov_b32 s9, -1
	s_branch .LBB95_4461
.LBB95_4460:
	s_mov_b32 s0, -1
                                        ; implicit-def: $vgpr30_vgpr31
.LBB95_4461:
	s_mov_b32 s22, 0
.LBB95_4462:
	s_delay_alu instid0(SALU_CYCLE_1)
	s_and_b32 vcc_lo, exec_lo, s22
	s_cbranch_vccz .LBB95_4478
; %bb.4463:
	s_cmp_lt_i32 s55, 27
	s_cbranch_scc1 .LBB95_4466
; %bb.4464:
	s_cmp_gt_i32 s55, 27
	s_cbranch_scc0 .LBB95_4467
; %bb.4465:
	s_wait_loadcnt 0x0
	global_load_b32 v30, v[32:33], off
	v_mov_b32_e32 v31, 0
	s_mov_b32 s9, 0
	s_branch .LBB95_4468
.LBB95_4466:
	s_mov_b32 s9, -1
                                        ; implicit-def: $vgpr30_vgpr31
	s_branch .LBB95_4471
.LBB95_4467:
	s_mov_b32 s9, -1
                                        ; implicit-def: $vgpr30_vgpr31
.LBB95_4468:
	s_delay_alu instid0(SALU_CYCLE_1)
	s_and_not1_b32 vcc_lo, exec_lo, s9
	s_cbranch_vccnz .LBB95_4470
; %bb.4469:
	global_load_u16 v1, v[32:33], off
	s_mov_b32 s9, 0
	s_wait_loadcnt 0x1
	v_mov_b32_e32 v31, s9
	s_wait_loadcnt 0x0
	v_and_b32_e32 v30, 0xffff, v1
.LBB95_4470:
	s_mov_b32 s9, 0
.LBB95_4471:
	s_delay_alu instid0(SALU_CYCLE_1)
	s_and_not1_b32 vcc_lo, exec_lo, s9
	s_cbranch_vccnz .LBB95_4477
; %bb.4472:
	global_load_u8 v1, v[32:33], off
	s_mov_b32 s22, 0
	s_mov_b32 s9, exec_lo
	s_wait_loadcnt 0x0
	v_cmpx_lt_i16_e32 0x7f, v1
	s_xor_b32 s9, exec_lo, s9
	s_cbranch_execz .LBB95_4489
; %bb.4473:
	v_cmp_ne_u16_e32 vcc_lo, 0x80, v1
	s_and_b32 s22, vcc_lo, exec_lo
	s_and_not1_saveexec_b32 s9, s9
	s_cbranch_execnz .LBB95_4490
.LBB95_4474:
	s_or_b32 exec_lo, exec_lo, s9
	v_mov_b64_e32 v[30:31], 0
	s_and_saveexec_b32 s9, s22
	s_cbranch_execz .LBB95_4476
.LBB95_4475:
	v_and_b32_e32 v3, 0xffff, v1
	s_delay_alu instid0(VALU_DEP_1) | instskip(SKIP_1) | instid1(VALU_DEP_2)
	v_dual_lshlrev_b32 v1, 24, v1 :: v_dual_bitop2_b32 v5, 7, v3 bitop3:0x40
	v_bfe_u32 v15, v3, 3, 4
	v_and_b32_e32 v1, 0x80000000, v1
	s_delay_alu instid0(VALU_DEP_3) | instskip(NEXT) | instid1(VALU_DEP_3)
	v_clz_i32_u32_e32 v7, v5
	v_cmp_eq_u32_e32 vcc_lo, 0, v15
	s_delay_alu instid0(VALU_DEP_2) | instskip(NEXT) | instid1(VALU_DEP_1)
	v_min_u32_e32 v7, 32, v7
	v_subrev_nc_u32_e32 v11, 28, v7
	v_sub_nc_u32_e32 v7, 29, v7
	s_delay_alu instid0(VALU_DEP_2) | instskip(NEXT) | instid1(VALU_DEP_2)
	v_lshlrev_b32_e32 v3, v11, v3
	v_cndmask_b32_e32 v7, v15, v7, vcc_lo
	s_delay_alu instid0(VALU_DEP_2) | instskip(NEXT) | instid1(VALU_DEP_1)
	v_and_b32_e32 v3, 7, v3
	v_cndmask_b32_e32 v3, v5, v3, vcc_lo
	s_delay_alu instid0(VALU_DEP_3) | instskip(NEXT) | instid1(VALU_DEP_2)
	v_lshl_add_u32 v5, v7, 23, 0x3b800000
	v_lshlrev_b32_e32 v3, 20, v3
	s_delay_alu instid0(VALU_DEP_1) | instskip(NEXT) | instid1(VALU_DEP_1)
	v_or3_b32 v1, v1, v5, v3
	v_trunc_f32_e32 v1, v1
	s_delay_alu instid0(VALU_DEP_1) | instskip(SKIP_1) | instid1(VALU_DEP_2)
	v_mul_f32_e64 v3, 0x2f800000, |v1|
	v_ashrrev_i32_e32 v30, 31, v1
	v_floor_f32_e32 v3, v3
	s_delay_alu instid0(VALU_DEP_2) | instskip(NEXT) | instid1(VALU_DEP_2)
	v_mov_b32_e32 v31, v30
	v_fma_f32 v5, 0xcf800000, v3, |v1|
	v_cvt_u32_f32_e32 v1, v3
	s_delay_alu instid0(VALU_DEP_2) | instskip(NEXT) | instid1(VALU_DEP_2)
	v_cvt_u32_f32_e32 v3, v5
	v_xor_b32_e32 v35, v1, v30
	s_delay_alu instid0(VALU_DEP_2) | instskip(NEXT) | instid1(VALU_DEP_1)
	v_xor_b32_e32 v34, v3, v30
	v_sub_nc_u64_e32 v[30:31], v[34:35], v[30:31]
.LBB95_4476:
	s_or_b32 exec_lo, exec_lo, s9
.LBB95_4477:
	s_mov_b32 s9, -1
.LBB95_4478:
	s_mov_b32 s22, 0
.LBB95_4479:
	s_delay_alu instid0(SALU_CYCLE_1)
	s_and_b32 vcc_lo, exec_lo, s22
	s_cbranch_vccz .LBB95_4510
; %bb.4480:
	s_cmp_gt_i32 s55, 22
	s_cbranch_scc0 .LBB95_4488
; %bb.4481:
	s_cmp_lt_i32 s55, 24
	s_cbranch_scc1 .LBB95_4491
; %bb.4482:
	s_cmp_gt_i32 s55, 24
	s_cbranch_scc0 .LBB95_4492
; %bb.4483:
	global_load_u8 v1, v[32:33], off
	s_mov_b32 s9, 0
	s_mov_b32 s1, exec_lo
	s_wait_loadcnt 0x0
	v_cmpx_lt_i16_e32 0x7f, v1
	s_xor_b32 s1, exec_lo, s1
	s_cbranch_execz .LBB95_4504
; %bb.4484:
	v_cmp_ne_u16_e32 vcc_lo, 0x80, v1
	s_and_b32 s9, vcc_lo, exec_lo
	s_and_not1_saveexec_b32 s1, s1
	s_cbranch_execnz .LBB95_4505
.LBB95_4485:
	s_or_b32 exec_lo, exec_lo, s1
	v_mov_b64_e32 v[30:31], 0
	s_and_saveexec_b32 s1, s9
	s_cbranch_execz .LBB95_4487
.LBB95_4486:
	v_and_b32_e32 v3, 0xffff, v1
	s_delay_alu instid0(VALU_DEP_1) | instskip(SKIP_1) | instid1(VALU_DEP_2)
	v_dual_lshlrev_b32 v1, 24, v1 :: v_dual_bitop2_b32 v5, 3, v3 bitop3:0x40
	v_bfe_u32 v15, v3, 2, 5
	v_and_b32_e32 v1, 0x80000000, v1
	s_delay_alu instid0(VALU_DEP_3) | instskip(NEXT) | instid1(VALU_DEP_3)
	v_clz_i32_u32_e32 v7, v5
	v_cmp_eq_u32_e32 vcc_lo, 0, v15
	s_delay_alu instid0(VALU_DEP_2) | instskip(NEXT) | instid1(VALU_DEP_1)
	v_min_u32_e32 v7, 32, v7
	v_subrev_nc_u32_e32 v11, 29, v7
	v_sub_nc_u32_e32 v7, 30, v7
	s_delay_alu instid0(VALU_DEP_2) | instskip(NEXT) | instid1(VALU_DEP_2)
	v_lshlrev_b32_e32 v3, v11, v3
	v_cndmask_b32_e32 v7, v15, v7, vcc_lo
	s_delay_alu instid0(VALU_DEP_2) | instskip(NEXT) | instid1(VALU_DEP_1)
	v_and_b32_e32 v3, 3, v3
	v_cndmask_b32_e32 v3, v5, v3, vcc_lo
	s_delay_alu instid0(VALU_DEP_3) | instskip(NEXT) | instid1(VALU_DEP_2)
	v_lshl_add_u32 v5, v7, 23, 0x37800000
	v_lshlrev_b32_e32 v3, 21, v3
	s_delay_alu instid0(VALU_DEP_1) | instskip(NEXT) | instid1(VALU_DEP_1)
	v_or3_b32 v1, v1, v5, v3
	v_trunc_f32_e32 v1, v1
	s_delay_alu instid0(VALU_DEP_1) | instskip(SKIP_1) | instid1(VALU_DEP_2)
	v_mul_f32_e64 v3, 0x2f800000, |v1|
	v_ashrrev_i32_e32 v30, 31, v1
	v_floor_f32_e32 v3, v3
	s_delay_alu instid0(VALU_DEP_2) | instskip(NEXT) | instid1(VALU_DEP_2)
	v_mov_b32_e32 v31, v30
	v_fma_f32 v5, 0xcf800000, v3, |v1|
	v_cvt_u32_f32_e32 v1, v3
	s_delay_alu instid0(VALU_DEP_2) | instskip(NEXT) | instid1(VALU_DEP_2)
	v_cvt_u32_f32_e32 v3, v5
	v_xor_b32_e32 v35, v1, v30
	s_delay_alu instid0(VALU_DEP_2) | instskip(NEXT) | instid1(VALU_DEP_1)
	v_xor_b32_e32 v34, v3, v30
	v_sub_nc_u64_e32 v[30:31], v[34:35], v[30:31]
.LBB95_4487:
	s_or_b32 exec_lo, exec_lo, s1
	s_mov_b32 s1, 0
	s_branch .LBB95_4493
.LBB95_4488:
	s_mov_b32 s1, -1
                                        ; implicit-def: $vgpr30_vgpr31
	s_branch .LBB95_4499
.LBB95_4489:
	s_and_not1_saveexec_b32 s9, s9
	s_cbranch_execz .LBB95_4474
.LBB95_4490:
	v_cmp_ne_u16_e32 vcc_lo, 0, v1
	s_and_not1_b32 s22, s22, exec_lo
	s_and_b32 s23, vcc_lo, exec_lo
	s_delay_alu instid0(SALU_CYCLE_1)
	s_or_b32 s22, s22, s23
	s_or_b32 exec_lo, exec_lo, s9
	v_mov_b64_e32 v[30:31], 0
	s_and_saveexec_b32 s9, s22
	s_cbranch_execnz .LBB95_4475
	s_branch .LBB95_4476
.LBB95_4491:
	s_mov_b32 s1, -1
                                        ; implicit-def: $vgpr30_vgpr31
	s_branch .LBB95_4496
.LBB95_4492:
	s_mov_b32 s1, -1
                                        ; implicit-def: $vgpr30_vgpr31
.LBB95_4493:
	s_delay_alu instid0(SALU_CYCLE_1)
	s_and_b32 vcc_lo, exec_lo, s1
	s_cbranch_vccz .LBB95_4495
; %bb.4494:
	global_load_u8 v1, v[32:33], off
	s_wait_loadcnt 0x0
	v_lshlrev_b32_e32 v1, 24, v1
	s_delay_alu instid0(VALU_DEP_1) | instskip(NEXT) | instid1(VALU_DEP_1)
	v_and_b32_e32 v3, 0x7f000000, v1
	v_clz_i32_u32_e32 v5, v3
	v_add_nc_u32_e32 v11, 0x1000000, v3
	v_cmp_ne_u32_e32 vcc_lo, 0, v3
	s_delay_alu instid0(VALU_DEP_3) | instskip(NEXT) | instid1(VALU_DEP_1)
	v_min_u32_e32 v5, 32, v5
	v_sub_nc_u32_e64 v5, v5, 4 clamp
	s_delay_alu instid0(VALU_DEP_1) | instskip(NEXT) | instid1(VALU_DEP_1)
	v_dual_lshlrev_b32 v7, v5, v3 :: v_dual_lshlrev_b32 v5, 23, v5
	v_lshrrev_b32_e32 v7, 4, v7
	s_delay_alu instid0(VALU_DEP_1) | instskip(NEXT) | instid1(VALU_DEP_1)
	v_dual_sub_nc_u32 v5, v7, v5 :: v_dual_ashrrev_i32 v7, 8, v11
	v_add_nc_u32_e32 v5, 0x3c000000, v5
	s_delay_alu instid0(VALU_DEP_1) | instskip(NEXT) | instid1(VALU_DEP_1)
	v_and_or_b32 v5, 0x7f800000, v7, v5
	v_cndmask_b32_e32 v3, 0, v5, vcc_lo
	s_delay_alu instid0(VALU_DEP_1) | instskip(NEXT) | instid1(VALU_DEP_1)
	v_and_or_b32 v1, 0x80000000, v1, v3
	v_trunc_f32_e32 v1, v1
	s_delay_alu instid0(VALU_DEP_1) | instskip(SKIP_1) | instid1(VALU_DEP_2)
	v_mul_f32_e64 v3, 0x2f800000, |v1|
	v_ashrrev_i32_e32 v30, 31, v1
	v_floor_f32_e32 v3, v3
	s_delay_alu instid0(VALU_DEP_2) | instskip(NEXT) | instid1(VALU_DEP_2)
	v_mov_b32_e32 v31, v30
	v_fma_f32 v5, 0xcf800000, v3, |v1|
	v_cvt_u32_f32_e32 v1, v3
	s_delay_alu instid0(VALU_DEP_2) | instskip(NEXT) | instid1(VALU_DEP_2)
	v_cvt_u32_f32_e32 v3, v5
	v_xor_b32_e32 v35, v1, v30
	s_delay_alu instid0(VALU_DEP_2) | instskip(NEXT) | instid1(VALU_DEP_1)
	v_xor_b32_e32 v34, v3, v30
	v_sub_nc_u64_e32 v[30:31], v[34:35], v[30:31]
.LBB95_4495:
	s_mov_b32 s1, 0
.LBB95_4496:
	s_delay_alu instid0(SALU_CYCLE_1)
	s_and_not1_b32 vcc_lo, exec_lo, s1
	s_cbranch_vccnz .LBB95_4498
; %bb.4497:
	global_load_u8 v1, v[32:33], off
	s_wait_loadcnt 0x0
	v_lshlrev_b32_e32 v3, 25, v1
	v_lshlrev_b16 v1, 8, v1
	s_delay_alu instid0(VALU_DEP_1) | instskip(SKIP_1) | instid1(VALU_DEP_2)
	v_and_or_b32 v7, 0x7f00, v1, 0.5
	v_bfe_i32 v1, v1, 0, 16
	v_add_f32_e32 v7, -0.5, v7
	v_lshrrev_b32_e32 v5, 4, v3
	v_cmp_gt_u32_e32 vcc_lo, 0x8000000, v3
	s_delay_alu instid0(VALU_DEP_2) | instskip(NEXT) | instid1(VALU_DEP_1)
	v_or_b32_e32 v5, 0x70000000, v5
	v_mul_f32_e32 v5, 0x7800000, v5
	s_delay_alu instid0(VALU_DEP_1) | instskip(NEXT) | instid1(VALU_DEP_1)
	v_cndmask_b32_e32 v3, v5, v7, vcc_lo
	v_and_or_b32 v1, 0x80000000, v1, v3
	s_delay_alu instid0(VALU_DEP_1) | instskip(NEXT) | instid1(VALU_DEP_1)
	v_trunc_f32_e32 v1, v1
	v_mul_f32_e64 v3, 0x2f800000, |v1|
	v_ashrrev_i32_e32 v30, 31, v1
	s_delay_alu instid0(VALU_DEP_2) | instskip(NEXT) | instid1(VALU_DEP_2)
	v_floor_f32_e32 v3, v3
	v_mov_b32_e32 v31, v30
	s_delay_alu instid0(VALU_DEP_2) | instskip(SKIP_1) | instid1(VALU_DEP_2)
	v_fma_f32 v5, 0xcf800000, v3, |v1|
	v_cvt_u32_f32_e32 v1, v3
	v_cvt_u32_f32_e32 v3, v5
	s_delay_alu instid0(VALU_DEP_2) | instskip(NEXT) | instid1(VALU_DEP_2)
	v_xor_b32_e32 v35, v1, v30
	v_xor_b32_e32 v34, v3, v30
	s_delay_alu instid0(VALU_DEP_1)
	v_sub_nc_u64_e32 v[30:31], v[34:35], v[30:31]
.LBB95_4498:
	s_mov_b32 s1, 0
	s_mov_b32 s9, -1
.LBB95_4499:
	s_and_not1_b32 vcc_lo, exec_lo, s1
	s_mov_b32 s1, 0
	s_cbranch_vccnz .LBB95_4510
; %bb.4500:
	s_cmp_gt_i32 s55, 14
	s_cbranch_scc0 .LBB95_4503
; %bb.4501:
	s_cmp_eq_u32 s55, 15
	s_cbranch_scc0 .LBB95_4506
; %bb.4502:
	global_load_u16 v1, v[32:33], off
	s_mov_b32 s0, 0
	s_mov_b32 s9, -1
	s_wait_loadcnt 0x0
	v_lshlrev_b32_e32 v1, 16, v1
	s_delay_alu instid0(VALU_DEP_1) | instskip(NEXT) | instid1(VALU_DEP_1)
	v_trunc_f32_e32 v1, v1
	v_mul_f32_e64 v3, 0x2f800000, |v1|
	v_ashrrev_i32_e32 v30, 31, v1
	s_delay_alu instid0(VALU_DEP_2) | instskip(NEXT) | instid1(VALU_DEP_2)
	v_floor_f32_e32 v3, v3
	v_mov_b32_e32 v31, v30
	s_delay_alu instid0(VALU_DEP_2) | instskip(SKIP_1) | instid1(VALU_DEP_2)
	v_fma_f32 v5, 0xcf800000, v3, |v1|
	v_cvt_u32_f32_e32 v1, v3
	v_cvt_u32_f32_e32 v3, v5
	s_delay_alu instid0(VALU_DEP_2) | instskip(NEXT) | instid1(VALU_DEP_2)
	v_xor_b32_e32 v35, v1, v30
	v_xor_b32_e32 v34, v3, v30
	s_delay_alu instid0(VALU_DEP_1)
	v_sub_nc_u64_e32 v[30:31], v[34:35], v[30:31]
	s_branch .LBB95_4508
.LBB95_4503:
	s_mov_b32 s1, -1
	s_branch .LBB95_4507
.LBB95_4504:
	s_and_not1_saveexec_b32 s1, s1
	s_cbranch_execz .LBB95_4485
.LBB95_4505:
	v_cmp_ne_u16_e32 vcc_lo, 0, v1
	s_and_not1_b32 s9, s9, exec_lo
	s_and_b32 s22, vcc_lo, exec_lo
	s_delay_alu instid0(SALU_CYCLE_1)
	s_or_b32 s9, s9, s22
	s_or_b32 exec_lo, exec_lo, s1
	v_mov_b64_e32 v[30:31], 0
	s_and_saveexec_b32 s1, s9
	s_cbranch_execnz .LBB95_4486
	s_branch .LBB95_4487
.LBB95_4506:
	s_mov_b32 s0, -1
.LBB95_4507:
                                        ; implicit-def: $vgpr30_vgpr31
.LBB95_4508:
	s_and_b32 vcc_lo, exec_lo, s1
	s_mov_b32 s1, 0
	s_cbranch_vccz .LBB95_4510
; %bb.4509:
	s_cmp_lg_u32 s55, 11
	s_mov_b32 s1, -1
	s_cselect_b32 s0, -1, 0
.LBB95_4510:
	s_delay_alu instid0(SALU_CYCLE_1)
	s_and_b32 vcc_lo, exec_lo, s0
	s_mov_b32 s54, s52
	s_cbranch_vccnz .LBB95_4575
; %bb.4511:
	s_and_not1_b32 vcc_lo, exec_lo, s1
	s_cbranch_vccnz .LBB95_4513
.LBB95_4512:
	global_load_u8 v1, v[32:33], off
	s_mov_b32 s0, 0
	s_mov_b32 s9, -1
	s_wait_loadcnt 0x1
	v_mov_b32_e32 v31, s0
	s_wait_loadcnt 0x0
	v_cmp_ne_u16_e32 vcc_lo, 0, v1
	v_cndmask_b32_e64 v30, 0, 1, vcc_lo
.LBB95_4513:
	s_mov_b32 s0, 0
.LBB95_4514:
	s_delay_alu instid0(SALU_CYCLE_1)
	s_and_b32 vcc_lo, exec_lo, s0
	s_cbranch_vccz .LBB95_4563
; %bb.4515:
	s_cmp_lt_i32 s55, 5
	s_cbranch_scc1 .LBB95_4520
; %bb.4516:
	s_cmp_lt_i32 s55, 8
	s_cbranch_scc1 .LBB95_4521
	;; [unrolled: 3-line block ×3, first 2 shown]
; %bb.4518:
	s_cmp_gt_i32 s55, 9
	s_cbranch_scc0 .LBB95_4523
; %bb.4519:
	s_wait_loadcnt 0x0
	global_load_b64 v[30:31], v[32:33], off
	s_mov_b32 s0, 0
	s_wait_loadcnt 0x0
	v_trunc_f64_e32 v[30:31], v[30:31]
	s_delay_alu instid0(VALU_DEP_1) | instskip(NEXT) | instid1(VALU_DEP_1)
	v_ldexp_f64 v[34:35], v[30:31], 0xffffffe0
	v_floor_f64_e32 v[34:35], v[34:35]
	s_delay_alu instid0(VALU_DEP_1) | instskip(SKIP_1) | instid1(VALU_DEP_2)
	v_fmamk_f64 v[36:37], v[34:35], 0xc1f00000, v[30:31]
	v_cvt_i32_f64_e32 v31, v[34:35]
	v_cvt_u32_f64_e32 v30, v[36:37]
	s_branch .LBB95_4524
.LBB95_4520:
	s_mov_b32 s0, -1
                                        ; implicit-def: $vgpr30_vgpr31
	s_branch .LBB95_4542
.LBB95_4521:
	s_mov_b32 s0, -1
                                        ; implicit-def: $vgpr30_vgpr31
	s_branch .LBB95_4530
.LBB95_4522:
	s_mov_b32 s0, -1
                                        ; implicit-def: $vgpr30_vgpr31
	s_branch .LBB95_4527
.LBB95_4523:
	s_mov_b32 s0, -1
                                        ; implicit-def: $vgpr30_vgpr31
.LBB95_4524:
	s_delay_alu instid0(SALU_CYCLE_1)
	s_and_not1_b32 vcc_lo, exec_lo, s0
	s_cbranch_vccnz .LBB95_4526
; %bb.4525:
	global_load_b32 v1, v[32:33], off
	s_wait_loadcnt 0x0
	v_trunc_f32_e32 v1, v1
	s_delay_alu instid0(VALU_DEP_1) | instskip(SKIP_1) | instid1(VALU_DEP_2)
	v_mul_f32_e64 v3, 0x2f800000, |v1|
	v_ashrrev_i32_e32 v30, 31, v1
	v_floor_f32_e32 v3, v3
	s_delay_alu instid0(VALU_DEP_1) | instskip(SKIP_1) | instid1(VALU_DEP_4)
	v_fma_f32 v5, 0xcf800000, v3, |v1|
	v_cvt_u32_f32_e32 v1, v3
	v_mov_b32_e32 v31, v30
	s_delay_alu instid0(VALU_DEP_3) | instskip(NEXT) | instid1(VALU_DEP_3)
	v_cvt_u32_f32_e32 v3, v5
	v_xor_b32_e32 v35, v1, v30
	s_delay_alu instid0(VALU_DEP_2) | instskip(NEXT) | instid1(VALU_DEP_1)
	v_xor_b32_e32 v34, v3, v30
	v_sub_nc_u64_e32 v[30:31], v[34:35], v[30:31]
.LBB95_4526:
	s_mov_b32 s0, 0
.LBB95_4527:
	s_delay_alu instid0(SALU_CYCLE_1)
	s_and_not1_b32 vcc_lo, exec_lo, s0
	s_cbranch_vccnz .LBB95_4529
; %bb.4528:
	global_load_b32 v1, v[32:33], off
	s_wait_loadcnt 0x0
	v_cvt_f32_f16_e32 v1, v1
	s_delay_alu instid0(VALU_DEP_1) | instskip(NEXT) | instid1(VALU_DEP_1)
	v_cvt_i32_f32_e32 v30, v1
	v_ashrrev_i32_e32 v31, 31, v30
.LBB95_4529:
	s_mov_b32 s0, 0
.LBB95_4530:
	s_delay_alu instid0(SALU_CYCLE_1)
	s_and_not1_b32 vcc_lo, exec_lo, s0
	s_cbranch_vccnz .LBB95_4541
; %bb.4531:
	s_cmp_lt_i32 s55, 6
	s_cbranch_scc1 .LBB95_4534
; %bb.4532:
	s_cmp_gt_i32 s55, 6
	s_cbranch_scc0 .LBB95_4535
; %bb.4533:
	s_wait_loadcnt 0x0
	global_load_b64 v[30:31], v[32:33], off
	s_mov_b32 s0, 0
	s_wait_loadcnt 0x0
	v_trunc_f64_e32 v[30:31], v[30:31]
	s_delay_alu instid0(VALU_DEP_1) | instskip(NEXT) | instid1(VALU_DEP_1)
	v_ldexp_f64 v[34:35], v[30:31], 0xffffffe0
	v_floor_f64_e32 v[34:35], v[34:35]
	s_delay_alu instid0(VALU_DEP_1) | instskip(SKIP_1) | instid1(VALU_DEP_2)
	v_fmamk_f64 v[36:37], v[34:35], 0xc1f00000, v[30:31]
	v_cvt_i32_f64_e32 v31, v[34:35]
	v_cvt_u32_f64_e32 v30, v[36:37]
	s_branch .LBB95_4536
.LBB95_4534:
	s_mov_b32 s0, -1
                                        ; implicit-def: $vgpr30_vgpr31
	s_branch .LBB95_4539
.LBB95_4535:
	s_mov_b32 s0, -1
                                        ; implicit-def: $vgpr30_vgpr31
.LBB95_4536:
	s_delay_alu instid0(SALU_CYCLE_1)
	s_and_not1_b32 vcc_lo, exec_lo, s0
	s_cbranch_vccnz .LBB95_4538
; %bb.4537:
	global_load_b32 v1, v[32:33], off
	s_wait_loadcnt 0x0
	v_trunc_f32_e32 v1, v1
	s_delay_alu instid0(VALU_DEP_1) | instskip(SKIP_1) | instid1(VALU_DEP_2)
	v_mul_f32_e64 v3, 0x2f800000, |v1|
	v_ashrrev_i32_e32 v30, 31, v1
	v_floor_f32_e32 v3, v3
	s_delay_alu instid0(VALU_DEP_1) | instskip(SKIP_1) | instid1(VALU_DEP_4)
	v_fma_f32 v5, 0xcf800000, v3, |v1|
	v_cvt_u32_f32_e32 v1, v3
	v_mov_b32_e32 v31, v30
	s_delay_alu instid0(VALU_DEP_3) | instskip(NEXT) | instid1(VALU_DEP_3)
	v_cvt_u32_f32_e32 v3, v5
	v_xor_b32_e32 v35, v1, v30
	s_delay_alu instid0(VALU_DEP_2) | instskip(NEXT) | instid1(VALU_DEP_1)
	v_xor_b32_e32 v34, v3, v30
	v_sub_nc_u64_e32 v[30:31], v[34:35], v[30:31]
.LBB95_4538:
	s_mov_b32 s0, 0
.LBB95_4539:
	s_delay_alu instid0(SALU_CYCLE_1)
	s_and_not1_b32 vcc_lo, exec_lo, s0
	s_cbranch_vccnz .LBB95_4541
; %bb.4540:
	global_load_u16 v1, v[32:33], off
	s_wait_loadcnt 0x0
	v_cvt_f32_f16_e32 v1, v1
	s_delay_alu instid0(VALU_DEP_1) | instskip(NEXT) | instid1(VALU_DEP_1)
	v_cvt_i32_f32_e32 v30, v1
	v_ashrrev_i32_e32 v31, 31, v30
.LBB95_4541:
	s_mov_b32 s0, 0
.LBB95_4542:
	s_delay_alu instid0(SALU_CYCLE_1)
	s_and_not1_b32 vcc_lo, exec_lo, s0
	s_cbranch_vccnz .LBB95_4562
; %bb.4543:
	s_cmp_lt_i32 s55, 2
	s_cbranch_scc1 .LBB95_4547
; %bb.4544:
	s_cmp_lt_i32 s55, 3
	s_cbranch_scc1 .LBB95_4548
; %bb.4545:
	s_cmp_gt_i32 s55, 3
	s_cbranch_scc0 .LBB95_4549
; %bb.4546:
	s_wait_loadcnt 0x0
	global_load_b64 v[30:31], v[32:33], off
	s_mov_b32 s0, 0
	s_branch .LBB95_4550
.LBB95_4547:
	s_mov_b32 s0, -1
                                        ; implicit-def: $vgpr30_vgpr31
	s_branch .LBB95_4556
.LBB95_4548:
	s_mov_b32 s0, -1
                                        ; implicit-def: $vgpr30_vgpr31
	s_branch .LBB95_4553
.LBB95_4549:
	s_mov_b32 s0, -1
                                        ; implicit-def: $vgpr30_vgpr31
.LBB95_4550:
	s_delay_alu instid0(SALU_CYCLE_1)
	s_and_not1_b32 vcc_lo, exec_lo, s0
	s_cbranch_vccnz .LBB95_4552
; %bb.4551:
	s_wait_loadcnt 0x0
	global_load_b32 v30, v[32:33], off
	s_wait_loadcnt 0x0
	v_ashrrev_i32_e32 v31, 31, v30
.LBB95_4552:
	s_mov_b32 s0, 0
.LBB95_4553:
	s_delay_alu instid0(SALU_CYCLE_1)
	s_and_not1_b32 vcc_lo, exec_lo, s0
	s_cbranch_vccnz .LBB95_4555
; %bb.4554:
	global_load_u16 v1, v[32:33], off
	s_wait_loadcnt 0x0
	v_bfe_i32 v30, v1, 0, 16
	s_delay_alu instid0(VALU_DEP_1)
	v_ashrrev_i32_e32 v31, 31, v30
.LBB95_4555:
	s_mov_b32 s0, 0
.LBB95_4556:
	s_delay_alu instid0(SALU_CYCLE_1)
	s_and_not1_b32 vcc_lo, exec_lo, s0
	s_cbranch_vccnz .LBB95_4562
; %bb.4557:
	s_cmp_gt_i32 s55, 0
	s_mov_b32 s0, 0
	s_cbranch_scc0 .LBB95_4559
; %bb.4558:
	global_load_i8 v1, v[32:33], off
	s_wait_loadcnt 0x0
	v_bfe_i32 v30, v1, 0, 16
	s_delay_alu instid0(VALU_DEP_1)
	v_ashrrev_i32_e32 v31, 31, v30
	s_branch .LBB95_4560
.LBB95_4559:
	s_mov_b32 s0, -1
                                        ; implicit-def: $vgpr30_vgpr31
.LBB95_4560:
	s_delay_alu instid0(SALU_CYCLE_1)
	s_and_not1_b32 vcc_lo, exec_lo, s0
	s_cbranch_vccnz .LBB95_4562
; %bb.4561:
	global_load_u8 v1, v[32:33], off
	s_mov_b32 s0, 0
	s_wait_loadcnt 0x1
	v_mov_b32_e32 v31, s0
	s_wait_loadcnt 0x0
	v_and_b32_e32 v30, 0xffff, v1
.LBB95_4562:
	s_mov_b32 s9, -1
.LBB95_4563:
	s_delay_alu instid0(SALU_CYCLE_1)
	s_and_not1_b32 vcc_lo, exec_lo, s9
	s_cbranch_vccnz .LBB95_5083
; %bb.4564:
	v_mov_b32_e32 v29, 0
	s_cmp_lt_i32 s56, 11
	s_wait_xcnt 0x0
	s_delay_alu instid0(VALU_DEP_1)
	v_add_nc_u64_e32 v[32:33], s[10:11], v[28:29]
	s_cbranch_scc1 .LBB95_4571
; %bb.4565:
	s_cmp_gt_i32 s56, 25
	s_mov_b32 s1, 0
	s_cbranch_scc0 .LBB95_4572
; %bb.4566:
	s_cmp_gt_i32 s56, 28
	s_cbranch_scc0 .LBB95_4573
; %bb.4567:
	s_cmp_gt_i32 s56, 43
	s_cbranch_scc0 .LBB95_4574
; %bb.4568:
	s_cmp_gt_i32 s56, 45
	s_cbranch_scc0 .LBB95_4576
; %bb.4569:
	s_cmp_eq_u32 s56, 46
	s_mov_b32 s22, 0
	s_cbranch_scc0 .LBB95_4578
; %bb.4570:
	global_load_b32 v1, v[32:33], off
	s_mov_b32 s0, 0
	s_mov_b32 s9, -1
	s_wait_loadcnt 0x0
	v_lshlrev_b32_e32 v1, 16, v1
	s_delay_alu instid0(VALU_DEP_1) | instskip(NEXT) | instid1(VALU_DEP_1)
	v_trunc_f32_e32 v1, v1
	v_mul_f32_e64 v3, 0x2f800000, |v1|
	v_ashrrev_i32_e32 v28, 31, v1
	s_delay_alu instid0(VALU_DEP_2) | instskip(NEXT) | instid1(VALU_DEP_2)
	v_floor_f32_e32 v3, v3
	v_mov_b32_e32 v29, v28
	s_delay_alu instid0(VALU_DEP_2) | instskip(SKIP_1) | instid1(VALU_DEP_2)
	v_fma_f32 v5, 0xcf800000, v3, |v1|
	v_cvt_u32_f32_e32 v1, v3
	v_cvt_u32_f32_e32 v3, v5
	s_delay_alu instid0(VALU_DEP_2) | instskip(NEXT) | instid1(VALU_DEP_2)
	v_xor_b32_e32 v35, v1, v28
	v_xor_b32_e32 v34, v3, v28
	s_delay_alu instid0(VALU_DEP_1)
	v_sub_nc_u64_e32 v[28:29], v[34:35], v[28:29]
	s_branch .LBB95_4580
.LBB95_4571:
	s_mov_b32 s0, -1
	s_mov_b32 s9, 0
                                        ; implicit-def: $vgpr28_vgpr29
	s_branch .LBB95_4642
.LBB95_4572:
	s_mov_b32 s22, -1
	s_mov_b32 s9, 0
	s_mov_b32 s0, 0
                                        ; implicit-def: $vgpr28_vgpr29
	s_branch .LBB95_4607
.LBB95_4573:
	s_mov_b32 s22, -1
	s_mov_b32 s9, 0
	s_mov_b32 s0, 0
                                        ; implicit-def: $vgpr28_vgpr29
	s_branch .LBB95_4590
.LBB95_4574:
	s_mov_b32 s22, -1
	s_mov_b32 s9, 0
	s_mov_b32 s0, 0
                                        ; implicit-def: $vgpr28_vgpr29
	s_branch .LBB95_4585
.LBB95_4575:
	s_or_b32 s54, s52, exec_lo
	s_trap 2
	s_cbranch_execz .LBB95_4512
	s_branch .LBB95_4513
.LBB95_4576:
	s_mov_b32 s22, -1
	s_mov_b32 s9, 0
	s_mov_b32 s0, 0
	s_branch .LBB95_4579
.LBB95_4577:
	s_or_b32 s43, s43, exec_lo
	s_trap 2
                                        ; implicit-def: $vgpr38_vgpr39
                                        ; implicit-def: $vgpr36_vgpr37
                                        ; implicit-def: $vgpr34_vgpr35
                                        ; implicit-def: $vgpr44_vgpr45
                                        ; implicit-def: $vgpr6
                                        ; implicit-def: $vgpr4
                                        ; implicit-def: $vgpr24
                                        ; implicit-def: $vgpr22
                                        ; implicit-def: $vgpr28
                                        ; implicit-def: $vgpr26
                                        ; implicit-def: $vgpr2
                                        ; implicit-def: $vgpr30
                                        ; implicit-def: $vgpr14
                                        ; implicit-def: $vgpr10
                                        ; implicit-def: $vgpr18
                                        ; implicit-def: $vgpr16
                                        ; implicit-def: $vgpr0
                                        ; implicit-def: $vgpr20
                                        ; implicit-def: $vgpr8_vgpr9
                                        ; implicit-def: $vgpr12_vgpr13
	s_branch .LBB95_4410
.LBB95_4578:
	s_mov_b32 s0, -1
	s_mov_b32 s9, 0
.LBB95_4579:
                                        ; implicit-def: $vgpr28_vgpr29
.LBB95_4580:
	s_and_b32 vcc_lo, exec_lo, s22
	s_cbranch_vccz .LBB95_4584
; %bb.4581:
	s_cmp_eq_u32 s56, 44
	s_cbranch_scc0 .LBB95_4583
; %bb.4582:
	global_load_u8 v1, v[32:33], off
	s_mov_b32 s0, 0
	s_mov_b32 s9, -1
	s_wait_loadcnt 0x0
	v_lshlrev_b32_e32 v3, 23, v1
	v_cmp_ne_u32_e32 vcc_lo, 0, v1
	s_delay_alu instid0(VALU_DEP_2) | instskip(NEXT) | instid1(VALU_DEP_1)
	v_trunc_f32_e32 v3, v3
	v_mul_f32_e64 v5, 0x2f800000, |v3|
	v_ashrrev_i32_e32 v28, 31, v3
	s_delay_alu instid0(VALU_DEP_2) | instskip(NEXT) | instid1(VALU_DEP_2)
	v_floor_f32_e32 v5, v5
	v_mov_b32_e32 v29, v28
	s_delay_alu instid0(VALU_DEP_2) | instskip(SKIP_1) | instid1(VALU_DEP_2)
	v_fma_f32 v7, 0xcf800000, v5, |v3|
	v_cvt_u32_f32_e32 v3, v5
	v_cvt_u32_f32_e32 v5, v7
	s_delay_alu instid0(VALU_DEP_2) | instskip(NEXT) | instid1(VALU_DEP_2)
	v_xor_b32_e32 v35, v3, v28
	v_xor_b32_e32 v34, v5, v28
	s_delay_alu instid0(VALU_DEP_1) | instskip(NEXT) | instid1(VALU_DEP_1)
	v_sub_nc_u64_e32 v[28:29], v[34:35], v[28:29]
	v_dual_cndmask_b32 v29, 0, v29 :: v_dual_cndmask_b32 v28, 0, v28
	s_branch .LBB95_4584
.LBB95_4583:
	s_mov_b32 s0, -1
                                        ; implicit-def: $vgpr28_vgpr29
.LBB95_4584:
	s_mov_b32 s22, 0
.LBB95_4585:
	s_delay_alu instid0(SALU_CYCLE_1)
	s_and_b32 vcc_lo, exec_lo, s22
	s_cbranch_vccz .LBB95_4589
; %bb.4586:
	s_cmp_eq_u32 s56, 29
	s_cbranch_scc0 .LBB95_4588
; %bb.4587:
	global_load_b64 v[28:29], v[32:33], off
	s_mov_b32 s0, 0
	s_mov_b32 s9, -1
	s_branch .LBB95_4589
.LBB95_4588:
	s_mov_b32 s0, -1
                                        ; implicit-def: $vgpr28_vgpr29
.LBB95_4589:
	s_mov_b32 s22, 0
.LBB95_4590:
	s_delay_alu instid0(SALU_CYCLE_1)
	s_and_b32 vcc_lo, exec_lo, s22
	s_cbranch_vccz .LBB95_4606
; %bb.4591:
	s_cmp_lt_i32 s56, 27
	s_cbranch_scc1 .LBB95_4594
; %bb.4592:
	s_cmp_gt_i32 s56, 27
	s_cbranch_scc0 .LBB95_4595
; %bb.4593:
	s_wait_loadcnt 0x0
	global_load_b32 v28, v[32:33], off
	v_mov_b32_e32 v29, 0
	s_mov_b32 s9, 0
	s_branch .LBB95_4596
.LBB95_4594:
	s_mov_b32 s9, -1
                                        ; implicit-def: $vgpr28_vgpr29
	s_branch .LBB95_4599
.LBB95_4595:
	s_mov_b32 s9, -1
                                        ; implicit-def: $vgpr28_vgpr29
.LBB95_4596:
	s_delay_alu instid0(SALU_CYCLE_1)
	s_and_not1_b32 vcc_lo, exec_lo, s9
	s_cbranch_vccnz .LBB95_4598
; %bb.4597:
	global_load_u16 v1, v[32:33], off
	s_mov_b32 s9, 0
	s_wait_loadcnt 0x1
	v_mov_b32_e32 v29, s9
	s_wait_loadcnt 0x0
	v_and_b32_e32 v28, 0xffff, v1
.LBB95_4598:
	s_mov_b32 s9, 0
.LBB95_4599:
	s_delay_alu instid0(SALU_CYCLE_1)
	s_and_not1_b32 vcc_lo, exec_lo, s9
	s_cbranch_vccnz .LBB95_4605
; %bb.4600:
	global_load_u8 v1, v[32:33], off
	s_mov_b32 s22, 0
	s_mov_b32 s9, exec_lo
	s_wait_loadcnt 0x0
	v_cmpx_lt_i16_e32 0x7f, v1
	s_xor_b32 s9, exec_lo, s9
	s_cbranch_execz .LBB95_4617
; %bb.4601:
	v_cmp_ne_u16_e32 vcc_lo, 0x80, v1
	s_and_b32 s22, vcc_lo, exec_lo
	s_and_not1_saveexec_b32 s9, s9
	s_cbranch_execnz .LBB95_4618
.LBB95_4602:
	s_or_b32 exec_lo, exec_lo, s9
	v_mov_b64_e32 v[28:29], 0
	s_and_saveexec_b32 s9, s22
	s_cbranch_execz .LBB95_4604
.LBB95_4603:
	v_and_b32_e32 v3, 0xffff, v1
	s_delay_alu instid0(VALU_DEP_1) | instskip(SKIP_1) | instid1(VALU_DEP_2)
	v_dual_lshlrev_b32 v1, 24, v1 :: v_dual_bitop2_b32 v5, 7, v3 bitop3:0x40
	v_bfe_u32 v15, v3, 3, 4
	v_and_b32_e32 v1, 0x80000000, v1
	s_delay_alu instid0(VALU_DEP_3) | instskip(NEXT) | instid1(VALU_DEP_3)
	v_clz_i32_u32_e32 v7, v5
	v_cmp_eq_u32_e32 vcc_lo, 0, v15
	s_delay_alu instid0(VALU_DEP_2) | instskip(NEXT) | instid1(VALU_DEP_1)
	v_min_u32_e32 v7, 32, v7
	v_subrev_nc_u32_e32 v11, 28, v7
	v_sub_nc_u32_e32 v7, 29, v7
	s_delay_alu instid0(VALU_DEP_2) | instskip(NEXT) | instid1(VALU_DEP_2)
	v_lshlrev_b32_e32 v3, v11, v3
	v_cndmask_b32_e32 v7, v15, v7, vcc_lo
	s_delay_alu instid0(VALU_DEP_2) | instskip(NEXT) | instid1(VALU_DEP_1)
	v_and_b32_e32 v3, 7, v3
	v_cndmask_b32_e32 v3, v5, v3, vcc_lo
	s_delay_alu instid0(VALU_DEP_3) | instskip(NEXT) | instid1(VALU_DEP_2)
	v_lshl_add_u32 v5, v7, 23, 0x3b800000
	v_lshlrev_b32_e32 v3, 20, v3
	s_delay_alu instid0(VALU_DEP_1) | instskip(NEXT) | instid1(VALU_DEP_1)
	v_or3_b32 v1, v1, v5, v3
	v_trunc_f32_e32 v1, v1
	s_delay_alu instid0(VALU_DEP_1) | instskip(SKIP_1) | instid1(VALU_DEP_2)
	v_mul_f32_e64 v3, 0x2f800000, |v1|
	v_ashrrev_i32_e32 v28, 31, v1
	v_floor_f32_e32 v3, v3
	s_delay_alu instid0(VALU_DEP_2) | instskip(NEXT) | instid1(VALU_DEP_2)
	v_mov_b32_e32 v29, v28
	v_fma_f32 v5, 0xcf800000, v3, |v1|
	v_cvt_u32_f32_e32 v1, v3
	s_delay_alu instid0(VALU_DEP_2) | instskip(NEXT) | instid1(VALU_DEP_2)
	v_cvt_u32_f32_e32 v3, v5
	v_xor_b32_e32 v35, v1, v28
	s_delay_alu instid0(VALU_DEP_2) | instskip(NEXT) | instid1(VALU_DEP_1)
	v_xor_b32_e32 v34, v3, v28
	v_sub_nc_u64_e32 v[28:29], v[34:35], v[28:29]
.LBB95_4604:
	s_or_b32 exec_lo, exec_lo, s9
.LBB95_4605:
	s_mov_b32 s9, -1
.LBB95_4606:
	s_mov_b32 s22, 0
.LBB95_4607:
	s_delay_alu instid0(SALU_CYCLE_1)
	s_and_b32 vcc_lo, exec_lo, s22
	s_cbranch_vccz .LBB95_4638
; %bb.4608:
	s_cmp_gt_i32 s56, 22
	s_cbranch_scc0 .LBB95_4616
; %bb.4609:
	s_cmp_lt_i32 s56, 24
	s_cbranch_scc1 .LBB95_4619
; %bb.4610:
	s_cmp_gt_i32 s56, 24
	s_cbranch_scc0 .LBB95_4620
; %bb.4611:
	global_load_u8 v1, v[32:33], off
	s_mov_b32 s9, 0
	s_mov_b32 s1, exec_lo
	s_wait_loadcnt 0x0
	v_cmpx_lt_i16_e32 0x7f, v1
	s_xor_b32 s1, exec_lo, s1
	s_cbranch_execz .LBB95_4632
; %bb.4612:
	v_cmp_ne_u16_e32 vcc_lo, 0x80, v1
	s_and_b32 s9, vcc_lo, exec_lo
	s_and_not1_saveexec_b32 s1, s1
	s_cbranch_execnz .LBB95_4633
.LBB95_4613:
	s_or_b32 exec_lo, exec_lo, s1
	v_mov_b64_e32 v[28:29], 0
	s_and_saveexec_b32 s1, s9
	s_cbranch_execz .LBB95_4615
.LBB95_4614:
	v_and_b32_e32 v3, 0xffff, v1
	s_delay_alu instid0(VALU_DEP_1) | instskip(SKIP_1) | instid1(VALU_DEP_2)
	v_dual_lshlrev_b32 v1, 24, v1 :: v_dual_bitop2_b32 v5, 3, v3 bitop3:0x40
	v_bfe_u32 v15, v3, 2, 5
	v_and_b32_e32 v1, 0x80000000, v1
	s_delay_alu instid0(VALU_DEP_3) | instskip(NEXT) | instid1(VALU_DEP_3)
	v_clz_i32_u32_e32 v7, v5
	v_cmp_eq_u32_e32 vcc_lo, 0, v15
	s_delay_alu instid0(VALU_DEP_2) | instskip(NEXT) | instid1(VALU_DEP_1)
	v_min_u32_e32 v7, 32, v7
	v_subrev_nc_u32_e32 v11, 29, v7
	v_sub_nc_u32_e32 v7, 30, v7
	s_delay_alu instid0(VALU_DEP_2) | instskip(NEXT) | instid1(VALU_DEP_2)
	v_lshlrev_b32_e32 v3, v11, v3
	v_cndmask_b32_e32 v7, v15, v7, vcc_lo
	s_delay_alu instid0(VALU_DEP_2) | instskip(NEXT) | instid1(VALU_DEP_1)
	v_and_b32_e32 v3, 3, v3
	v_cndmask_b32_e32 v3, v5, v3, vcc_lo
	s_delay_alu instid0(VALU_DEP_3) | instskip(NEXT) | instid1(VALU_DEP_2)
	v_lshl_add_u32 v5, v7, 23, 0x37800000
	v_lshlrev_b32_e32 v3, 21, v3
	s_delay_alu instid0(VALU_DEP_1) | instskip(NEXT) | instid1(VALU_DEP_1)
	v_or3_b32 v1, v1, v5, v3
	v_trunc_f32_e32 v1, v1
	s_delay_alu instid0(VALU_DEP_1) | instskip(SKIP_1) | instid1(VALU_DEP_2)
	v_mul_f32_e64 v3, 0x2f800000, |v1|
	v_ashrrev_i32_e32 v28, 31, v1
	v_floor_f32_e32 v3, v3
	s_delay_alu instid0(VALU_DEP_2) | instskip(NEXT) | instid1(VALU_DEP_2)
	v_mov_b32_e32 v29, v28
	v_fma_f32 v5, 0xcf800000, v3, |v1|
	v_cvt_u32_f32_e32 v1, v3
	s_delay_alu instid0(VALU_DEP_2) | instskip(NEXT) | instid1(VALU_DEP_2)
	v_cvt_u32_f32_e32 v3, v5
	v_xor_b32_e32 v35, v1, v28
	s_delay_alu instid0(VALU_DEP_2) | instskip(NEXT) | instid1(VALU_DEP_1)
	v_xor_b32_e32 v34, v3, v28
	v_sub_nc_u64_e32 v[28:29], v[34:35], v[28:29]
.LBB95_4615:
	s_or_b32 exec_lo, exec_lo, s1
	s_mov_b32 s1, 0
	s_branch .LBB95_4621
.LBB95_4616:
	s_mov_b32 s1, -1
                                        ; implicit-def: $vgpr28_vgpr29
	s_branch .LBB95_4627
.LBB95_4617:
	s_and_not1_saveexec_b32 s9, s9
	s_cbranch_execz .LBB95_4602
.LBB95_4618:
	v_cmp_ne_u16_e32 vcc_lo, 0, v1
	s_and_not1_b32 s22, s22, exec_lo
	s_and_b32 s23, vcc_lo, exec_lo
	s_delay_alu instid0(SALU_CYCLE_1)
	s_or_b32 s22, s22, s23
	s_or_b32 exec_lo, exec_lo, s9
	v_mov_b64_e32 v[28:29], 0
	s_and_saveexec_b32 s9, s22
	s_cbranch_execnz .LBB95_4603
	s_branch .LBB95_4604
.LBB95_4619:
	s_mov_b32 s1, -1
                                        ; implicit-def: $vgpr28_vgpr29
	s_branch .LBB95_4624
.LBB95_4620:
	s_mov_b32 s1, -1
                                        ; implicit-def: $vgpr28_vgpr29
.LBB95_4621:
	s_delay_alu instid0(SALU_CYCLE_1)
	s_and_b32 vcc_lo, exec_lo, s1
	s_cbranch_vccz .LBB95_4623
; %bb.4622:
	global_load_u8 v1, v[32:33], off
	s_wait_loadcnt 0x0
	v_lshlrev_b32_e32 v1, 24, v1
	s_delay_alu instid0(VALU_DEP_1) | instskip(NEXT) | instid1(VALU_DEP_1)
	v_and_b32_e32 v3, 0x7f000000, v1
	v_clz_i32_u32_e32 v5, v3
	v_add_nc_u32_e32 v11, 0x1000000, v3
	v_cmp_ne_u32_e32 vcc_lo, 0, v3
	s_delay_alu instid0(VALU_DEP_3) | instskip(NEXT) | instid1(VALU_DEP_1)
	v_min_u32_e32 v5, 32, v5
	v_sub_nc_u32_e64 v5, v5, 4 clamp
	s_delay_alu instid0(VALU_DEP_1) | instskip(NEXT) | instid1(VALU_DEP_1)
	v_dual_lshlrev_b32 v7, v5, v3 :: v_dual_lshlrev_b32 v5, 23, v5
	v_lshrrev_b32_e32 v7, 4, v7
	s_delay_alu instid0(VALU_DEP_1) | instskip(NEXT) | instid1(VALU_DEP_1)
	v_dual_sub_nc_u32 v5, v7, v5 :: v_dual_ashrrev_i32 v7, 8, v11
	v_add_nc_u32_e32 v5, 0x3c000000, v5
	s_delay_alu instid0(VALU_DEP_1) | instskip(NEXT) | instid1(VALU_DEP_1)
	v_and_or_b32 v5, 0x7f800000, v7, v5
	v_cndmask_b32_e32 v3, 0, v5, vcc_lo
	s_delay_alu instid0(VALU_DEP_1) | instskip(NEXT) | instid1(VALU_DEP_1)
	v_and_or_b32 v1, 0x80000000, v1, v3
	v_trunc_f32_e32 v1, v1
	s_delay_alu instid0(VALU_DEP_1) | instskip(SKIP_1) | instid1(VALU_DEP_2)
	v_mul_f32_e64 v3, 0x2f800000, |v1|
	v_ashrrev_i32_e32 v28, 31, v1
	v_floor_f32_e32 v3, v3
	s_delay_alu instid0(VALU_DEP_2) | instskip(NEXT) | instid1(VALU_DEP_2)
	v_mov_b32_e32 v29, v28
	v_fma_f32 v5, 0xcf800000, v3, |v1|
	v_cvt_u32_f32_e32 v1, v3
	s_delay_alu instid0(VALU_DEP_2) | instskip(NEXT) | instid1(VALU_DEP_2)
	v_cvt_u32_f32_e32 v3, v5
	v_xor_b32_e32 v35, v1, v28
	s_delay_alu instid0(VALU_DEP_2) | instskip(NEXT) | instid1(VALU_DEP_1)
	v_xor_b32_e32 v34, v3, v28
	v_sub_nc_u64_e32 v[28:29], v[34:35], v[28:29]
.LBB95_4623:
	s_mov_b32 s1, 0
.LBB95_4624:
	s_delay_alu instid0(SALU_CYCLE_1)
	s_and_not1_b32 vcc_lo, exec_lo, s1
	s_cbranch_vccnz .LBB95_4626
; %bb.4625:
	global_load_u8 v1, v[32:33], off
	s_wait_loadcnt 0x0
	v_lshlrev_b32_e32 v3, 25, v1
	v_lshlrev_b16 v1, 8, v1
	s_delay_alu instid0(VALU_DEP_1) | instskip(SKIP_1) | instid1(VALU_DEP_2)
	v_and_or_b32 v7, 0x7f00, v1, 0.5
	v_bfe_i32 v1, v1, 0, 16
	v_add_f32_e32 v7, -0.5, v7
	v_lshrrev_b32_e32 v5, 4, v3
	v_cmp_gt_u32_e32 vcc_lo, 0x8000000, v3
	s_delay_alu instid0(VALU_DEP_2) | instskip(NEXT) | instid1(VALU_DEP_1)
	v_or_b32_e32 v5, 0x70000000, v5
	v_mul_f32_e32 v5, 0x7800000, v5
	s_delay_alu instid0(VALU_DEP_1) | instskip(NEXT) | instid1(VALU_DEP_1)
	v_cndmask_b32_e32 v3, v5, v7, vcc_lo
	v_and_or_b32 v1, 0x80000000, v1, v3
	s_delay_alu instid0(VALU_DEP_1) | instskip(NEXT) | instid1(VALU_DEP_1)
	v_trunc_f32_e32 v1, v1
	v_mul_f32_e64 v3, 0x2f800000, |v1|
	v_ashrrev_i32_e32 v28, 31, v1
	s_delay_alu instid0(VALU_DEP_2) | instskip(NEXT) | instid1(VALU_DEP_2)
	v_floor_f32_e32 v3, v3
	v_mov_b32_e32 v29, v28
	s_delay_alu instid0(VALU_DEP_2) | instskip(SKIP_1) | instid1(VALU_DEP_2)
	v_fma_f32 v5, 0xcf800000, v3, |v1|
	v_cvt_u32_f32_e32 v1, v3
	v_cvt_u32_f32_e32 v3, v5
	s_delay_alu instid0(VALU_DEP_2) | instskip(NEXT) | instid1(VALU_DEP_2)
	v_xor_b32_e32 v35, v1, v28
	v_xor_b32_e32 v34, v3, v28
	s_delay_alu instid0(VALU_DEP_1)
	v_sub_nc_u64_e32 v[28:29], v[34:35], v[28:29]
.LBB95_4626:
	s_mov_b32 s1, 0
	s_mov_b32 s9, -1
.LBB95_4627:
	s_and_not1_b32 vcc_lo, exec_lo, s1
	s_mov_b32 s1, 0
	s_cbranch_vccnz .LBB95_4638
; %bb.4628:
	s_cmp_gt_i32 s56, 14
	s_cbranch_scc0 .LBB95_4631
; %bb.4629:
	s_cmp_eq_u32 s56, 15
	s_cbranch_scc0 .LBB95_4634
; %bb.4630:
	global_load_u16 v1, v[32:33], off
	s_mov_b32 s0, 0
	s_mov_b32 s9, -1
	s_wait_loadcnt 0x0
	v_lshlrev_b32_e32 v1, 16, v1
	s_delay_alu instid0(VALU_DEP_1) | instskip(NEXT) | instid1(VALU_DEP_1)
	v_trunc_f32_e32 v1, v1
	v_mul_f32_e64 v3, 0x2f800000, |v1|
	v_ashrrev_i32_e32 v28, 31, v1
	s_delay_alu instid0(VALU_DEP_2) | instskip(NEXT) | instid1(VALU_DEP_2)
	v_floor_f32_e32 v3, v3
	v_mov_b32_e32 v29, v28
	s_delay_alu instid0(VALU_DEP_2) | instskip(SKIP_1) | instid1(VALU_DEP_2)
	v_fma_f32 v5, 0xcf800000, v3, |v1|
	v_cvt_u32_f32_e32 v1, v3
	v_cvt_u32_f32_e32 v3, v5
	s_delay_alu instid0(VALU_DEP_2) | instskip(NEXT) | instid1(VALU_DEP_2)
	v_xor_b32_e32 v35, v1, v28
	v_xor_b32_e32 v34, v3, v28
	s_delay_alu instid0(VALU_DEP_1)
	v_sub_nc_u64_e32 v[28:29], v[34:35], v[28:29]
	s_branch .LBB95_4636
.LBB95_4631:
	s_mov_b32 s1, -1
	s_branch .LBB95_4635
.LBB95_4632:
	s_and_not1_saveexec_b32 s1, s1
	s_cbranch_execz .LBB95_4613
.LBB95_4633:
	v_cmp_ne_u16_e32 vcc_lo, 0, v1
	s_and_not1_b32 s9, s9, exec_lo
	s_and_b32 s22, vcc_lo, exec_lo
	s_delay_alu instid0(SALU_CYCLE_1)
	s_or_b32 s9, s9, s22
	s_or_b32 exec_lo, exec_lo, s1
	v_mov_b64_e32 v[28:29], 0
	s_and_saveexec_b32 s1, s9
	s_cbranch_execnz .LBB95_4614
	s_branch .LBB95_4615
.LBB95_4634:
	s_mov_b32 s0, -1
.LBB95_4635:
                                        ; implicit-def: $vgpr28_vgpr29
.LBB95_4636:
	s_and_b32 vcc_lo, exec_lo, s1
	s_mov_b32 s1, 0
	s_cbranch_vccz .LBB95_4638
; %bb.4637:
	s_cmp_lg_u32 s56, 11
	s_mov_b32 s1, -1
	s_cselect_b32 s0, -1, 0
.LBB95_4638:
	s_delay_alu instid0(SALU_CYCLE_1)
	s_and_b32 vcc_lo, exec_lo, s0
	s_cbranch_vccnz .LBB95_4703
; %bb.4639:
	s_and_not1_b32 vcc_lo, exec_lo, s1
	s_cbranch_vccnz .LBB95_4641
.LBB95_4640:
	global_load_u8 v1, v[32:33], off
	s_mov_b32 s0, 0
	s_mov_b32 s9, -1
	s_wait_loadcnt 0x1
	v_mov_b32_e32 v29, s0
	s_wait_loadcnt 0x0
	v_cmp_ne_u16_e32 vcc_lo, 0, v1
	v_cndmask_b32_e64 v28, 0, 1, vcc_lo
.LBB95_4641:
	s_mov_b32 s0, 0
.LBB95_4642:
	s_delay_alu instid0(SALU_CYCLE_1)
	s_and_b32 vcc_lo, exec_lo, s0
	s_cbranch_vccz .LBB95_4691
; %bb.4643:
	s_cmp_lt_i32 s56, 5
	s_cbranch_scc1 .LBB95_4648
; %bb.4644:
	s_cmp_lt_i32 s56, 8
	s_cbranch_scc1 .LBB95_4649
	;; [unrolled: 3-line block ×3, first 2 shown]
; %bb.4646:
	s_cmp_gt_i32 s56, 9
	s_cbranch_scc0 .LBB95_4651
; %bb.4647:
	s_wait_loadcnt 0x0
	global_load_b64 v[28:29], v[32:33], off
	s_mov_b32 s0, 0
	s_wait_loadcnt 0x0
	v_trunc_f64_e32 v[28:29], v[28:29]
	s_delay_alu instid0(VALU_DEP_1) | instskip(NEXT) | instid1(VALU_DEP_1)
	v_ldexp_f64 v[34:35], v[28:29], 0xffffffe0
	v_floor_f64_e32 v[34:35], v[34:35]
	s_delay_alu instid0(VALU_DEP_1) | instskip(SKIP_1) | instid1(VALU_DEP_2)
	v_fmamk_f64 v[36:37], v[34:35], 0xc1f00000, v[28:29]
	v_cvt_i32_f64_e32 v29, v[34:35]
	v_cvt_u32_f64_e32 v28, v[36:37]
	s_branch .LBB95_4652
.LBB95_4648:
	s_mov_b32 s0, -1
                                        ; implicit-def: $vgpr28_vgpr29
	s_branch .LBB95_4670
.LBB95_4649:
	s_mov_b32 s0, -1
                                        ; implicit-def: $vgpr28_vgpr29
	s_branch .LBB95_4658
.LBB95_4650:
	s_mov_b32 s0, -1
                                        ; implicit-def: $vgpr28_vgpr29
	s_branch .LBB95_4655
.LBB95_4651:
	s_mov_b32 s0, -1
                                        ; implicit-def: $vgpr28_vgpr29
.LBB95_4652:
	s_delay_alu instid0(SALU_CYCLE_1)
	s_and_not1_b32 vcc_lo, exec_lo, s0
	s_cbranch_vccnz .LBB95_4654
; %bb.4653:
	global_load_b32 v1, v[32:33], off
	s_wait_loadcnt 0x0
	v_trunc_f32_e32 v1, v1
	s_delay_alu instid0(VALU_DEP_1) | instskip(SKIP_1) | instid1(VALU_DEP_2)
	v_mul_f32_e64 v3, 0x2f800000, |v1|
	v_ashrrev_i32_e32 v28, 31, v1
	v_floor_f32_e32 v3, v3
	s_delay_alu instid0(VALU_DEP_1) | instskip(SKIP_1) | instid1(VALU_DEP_4)
	v_fma_f32 v5, 0xcf800000, v3, |v1|
	v_cvt_u32_f32_e32 v1, v3
	v_mov_b32_e32 v29, v28
	s_delay_alu instid0(VALU_DEP_3) | instskip(NEXT) | instid1(VALU_DEP_3)
	v_cvt_u32_f32_e32 v3, v5
	v_xor_b32_e32 v35, v1, v28
	s_delay_alu instid0(VALU_DEP_2) | instskip(NEXT) | instid1(VALU_DEP_1)
	v_xor_b32_e32 v34, v3, v28
	v_sub_nc_u64_e32 v[28:29], v[34:35], v[28:29]
.LBB95_4654:
	s_mov_b32 s0, 0
.LBB95_4655:
	s_delay_alu instid0(SALU_CYCLE_1)
	s_and_not1_b32 vcc_lo, exec_lo, s0
	s_cbranch_vccnz .LBB95_4657
; %bb.4656:
	global_load_b32 v1, v[32:33], off
	s_wait_loadcnt 0x0
	v_cvt_f32_f16_e32 v1, v1
	s_delay_alu instid0(VALU_DEP_1) | instskip(NEXT) | instid1(VALU_DEP_1)
	v_cvt_i32_f32_e32 v28, v1
	v_ashrrev_i32_e32 v29, 31, v28
.LBB95_4657:
	s_mov_b32 s0, 0
.LBB95_4658:
	s_delay_alu instid0(SALU_CYCLE_1)
	s_and_not1_b32 vcc_lo, exec_lo, s0
	s_cbranch_vccnz .LBB95_4669
; %bb.4659:
	s_cmp_lt_i32 s56, 6
	s_cbranch_scc1 .LBB95_4662
; %bb.4660:
	s_cmp_gt_i32 s56, 6
	s_cbranch_scc0 .LBB95_4663
; %bb.4661:
	s_wait_loadcnt 0x0
	global_load_b64 v[28:29], v[32:33], off
	s_mov_b32 s0, 0
	s_wait_loadcnt 0x0
	v_trunc_f64_e32 v[28:29], v[28:29]
	s_delay_alu instid0(VALU_DEP_1) | instskip(NEXT) | instid1(VALU_DEP_1)
	v_ldexp_f64 v[34:35], v[28:29], 0xffffffe0
	v_floor_f64_e32 v[34:35], v[34:35]
	s_delay_alu instid0(VALU_DEP_1) | instskip(SKIP_1) | instid1(VALU_DEP_2)
	v_fmamk_f64 v[36:37], v[34:35], 0xc1f00000, v[28:29]
	v_cvt_i32_f64_e32 v29, v[34:35]
	v_cvt_u32_f64_e32 v28, v[36:37]
	s_branch .LBB95_4664
.LBB95_4662:
	s_mov_b32 s0, -1
                                        ; implicit-def: $vgpr28_vgpr29
	s_branch .LBB95_4667
.LBB95_4663:
	s_mov_b32 s0, -1
                                        ; implicit-def: $vgpr28_vgpr29
.LBB95_4664:
	s_delay_alu instid0(SALU_CYCLE_1)
	s_and_not1_b32 vcc_lo, exec_lo, s0
	s_cbranch_vccnz .LBB95_4666
; %bb.4665:
	global_load_b32 v1, v[32:33], off
	s_wait_loadcnt 0x0
	v_trunc_f32_e32 v1, v1
	s_delay_alu instid0(VALU_DEP_1) | instskip(SKIP_1) | instid1(VALU_DEP_2)
	v_mul_f32_e64 v3, 0x2f800000, |v1|
	v_ashrrev_i32_e32 v28, 31, v1
	v_floor_f32_e32 v3, v3
	s_delay_alu instid0(VALU_DEP_1) | instskip(SKIP_1) | instid1(VALU_DEP_4)
	v_fma_f32 v5, 0xcf800000, v3, |v1|
	v_cvt_u32_f32_e32 v1, v3
	v_mov_b32_e32 v29, v28
	s_delay_alu instid0(VALU_DEP_3) | instskip(NEXT) | instid1(VALU_DEP_3)
	v_cvt_u32_f32_e32 v3, v5
	v_xor_b32_e32 v35, v1, v28
	s_delay_alu instid0(VALU_DEP_2) | instskip(NEXT) | instid1(VALU_DEP_1)
	v_xor_b32_e32 v34, v3, v28
	v_sub_nc_u64_e32 v[28:29], v[34:35], v[28:29]
.LBB95_4666:
	s_mov_b32 s0, 0
.LBB95_4667:
	s_delay_alu instid0(SALU_CYCLE_1)
	s_and_not1_b32 vcc_lo, exec_lo, s0
	s_cbranch_vccnz .LBB95_4669
; %bb.4668:
	global_load_u16 v1, v[32:33], off
	s_wait_loadcnt 0x0
	v_cvt_f32_f16_e32 v1, v1
	s_delay_alu instid0(VALU_DEP_1) | instskip(NEXT) | instid1(VALU_DEP_1)
	v_cvt_i32_f32_e32 v28, v1
	v_ashrrev_i32_e32 v29, 31, v28
.LBB95_4669:
	s_mov_b32 s0, 0
.LBB95_4670:
	s_delay_alu instid0(SALU_CYCLE_1)
	s_and_not1_b32 vcc_lo, exec_lo, s0
	s_cbranch_vccnz .LBB95_4690
; %bb.4671:
	s_cmp_lt_i32 s56, 2
	s_cbranch_scc1 .LBB95_4675
; %bb.4672:
	s_cmp_lt_i32 s56, 3
	s_cbranch_scc1 .LBB95_4676
; %bb.4673:
	s_cmp_gt_i32 s56, 3
	s_cbranch_scc0 .LBB95_4677
; %bb.4674:
	s_wait_loadcnt 0x0
	global_load_b64 v[28:29], v[32:33], off
	s_mov_b32 s0, 0
	s_branch .LBB95_4678
.LBB95_4675:
	s_mov_b32 s0, -1
                                        ; implicit-def: $vgpr28_vgpr29
	s_branch .LBB95_4684
.LBB95_4676:
	s_mov_b32 s0, -1
                                        ; implicit-def: $vgpr28_vgpr29
	s_branch .LBB95_4681
.LBB95_4677:
	s_mov_b32 s0, -1
                                        ; implicit-def: $vgpr28_vgpr29
.LBB95_4678:
	s_delay_alu instid0(SALU_CYCLE_1)
	s_and_not1_b32 vcc_lo, exec_lo, s0
	s_cbranch_vccnz .LBB95_4680
; %bb.4679:
	s_wait_loadcnt 0x0
	global_load_b32 v28, v[32:33], off
	s_wait_loadcnt 0x0
	v_ashrrev_i32_e32 v29, 31, v28
.LBB95_4680:
	s_mov_b32 s0, 0
.LBB95_4681:
	s_delay_alu instid0(SALU_CYCLE_1)
	s_and_not1_b32 vcc_lo, exec_lo, s0
	s_cbranch_vccnz .LBB95_4683
; %bb.4682:
	global_load_u16 v1, v[32:33], off
	s_wait_loadcnt 0x0
	v_bfe_i32 v28, v1, 0, 16
	s_delay_alu instid0(VALU_DEP_1)
	v_ashrrev_i32_e32 v29, 31, v28
.LBB95_4683:
	s_mov_b32 s0, 0
.LBB95_4684:
	s_delay_alu instid0(SALU_CYCLE_1)
	s_and_not1_b32 vcc_lo, exec_lo, s0
	s_cbranch_vccnz .LBB95_4690
; %bb.4685:
	s_cmp_gt_i32 s56, 0
	s_mov_b32 s0, 0
	s_cbranch_scc0 .LBB95_4687
; %bb.4686:
	global_load_i8 v1, v[32:33], off
	s_wait_loadcnt 0x0
	v_bfe_i32 v28, v1, 0, 16
	s_delay_alu instid0(VALU_DEP_1)
	v_ashrrev_i32_e32 v29, 31, v28
	s_branch .LBB95_4688
.LBB95_4687:
	s_mov_b32 s0, -1
                                        ; implicit-def: $vgpr28_vgpr29
.LBB95_4688:
	s_delay_alu instid0(SALU_CYCLE_1)
	s_and_not1_b32 vcc_lo, exec_lo, s0
	s_cbranch_vccnz .LBB95_4690
; %bb.4689:
	global_load_u8 v1, v[32:33], off
	s_mov_b32 s0, 0
	s_wait_loadcnt 0x1
	v_mov_b32_e32 v29, s0
	s_wait_loadcnt 0x0
	v_and_b32_e32 v28, 0xffff, v1
.LBB95_4690:
	s_mov_b32 s9, -1
.LBB95_4691:
	s_delay_alu instid0(SALU_CYCLE_1)
	s_and_not1_b32 vcc_lo, exec_lo, s9
	s_cbranch_vccnz .LBB95_5083
; %bb.4692:
	v_mov_b32_e32 v27, 0
	s_cmp_lt_i32 s57, 11
	s_wait_xcnt 0x0
	s_delay_alu instid0(VALU_DEP_1)
	v_add_nc_u64_e32 v[32:33], s[12:13], v[26:27]
	s_cbranch_scc1 .LBB95_4699
; %bb.4693:
	s_cmp_gt_i32 s57, 25
	s_mov_b32 s1, 0
	s_cbranch_scc0 .LBB95_4700
; %bb.4694:
	s_cmp_gt_i32 s57, 28
	s_cbranch_scc0 .LBB95_4701
; %bb.4695:
	s_cmp_gt_i32 s57, 43
	;; [unrolled: 3-line block ×3, first 2 shown]
	s_cbranch_scc0 .LBB95_4704
; %bb.4697:
	s_cmp_eq_u32 s57, 46
	s_mov_b32 s22, 0
	s_cbranch_scc0 .LBB95_4706
; %bb.4698:
	global_load_b32 v1, v[32:33], off
	s_mov_b32 s0, 0
	s_mov_b32 s9, -1
	s_wait_loadcnt 0x0
	v_lshlrev_b32_e32 v1, 16, v1
	s_delay_alu instid0(VALU_DEP_1) | instskip(NEXT) | instid1(VALU_DEP_1)
	v_trunc_f32_e32 v1, v1
	v_mul_f32_e64 v3, 0x2f800000, |v1|
	v_ashrrev_i32_e32 v26, 31, v1
	s_delay_alu instid0(VALU_DEP_2) | instskip(NEXT) | instid1(VALU_DEP_2)
	v_floor_f32_e32 v3, v3
	v_mov_b32_e32 v27, v26
	s_delay_alu instid0(VALU_DEP_2) | instskip(SKIP_1) | instid1(VALU_DEP_2)
	v_fma_f32 v5, 0xcf800000, v3, |v1|
	v_cvt_u32_f32_e32 v1, v3
	v_cvt_u32_f32_e32 v3, v5
	s_delay_alu instid0(VALU_DEP_2) | instskip(NEXT) | instid1(VALU_DEP_2)
	v_xor_b32_e32 v35, v1, v26
	v_xor_b32_e32 v34, v3, v26
	s_delay_alu instid0(VALU_DEP_1)
	v_sub_nc_u64_e32 v[26:27], v[34:35], v[26:27]
	s_branch .LBB95_4708
.LBB95_4699:
	s_mov_b32 s0, -1
	s_mov_b32 s9, 0
                                        ; implicit-def: $vgpr26_vgpr27
	s_branch .LBB95_4770
.LBB95_4700:
	s_mov_b32 s22, -1
	s_mov_b32 s9, 0
	s_mov_b32 s0, 0
                                        ; implicit-def: $vgpr26_vgpr27
	s_branch .LBB95_4735
.LBB95_4701:
	s_mov_b32 s22, -1
	s_mov_b32 s9, 0
	s_mov_b32 s0, 0
                                        ; implicit-def: $vgpr26_vgpr27
	s_branch .LBB95_4718
.LBB95_4702:
	s_mov_b32 s22, -1
	s_mov_b32 s9, 0
	s_mov_b32 s0, 0
                                        ; implicit-def: $vgpr26_vgpr27
	s_branch .LBB95_4713
.LBB95_4703:
	s_or_b32 s54, s54, exec_lo
	s_trap 2
	s_cbranch_execz .LBB95_4640
	s_branch .LBB95_4641
.LBB95_4704:
	s_mov_b32 s22, -1
	s_mov_b32 s9, 0
	s_mov_b32 s0, 0
	s_branch .LBB95_4707
.LBB95_4705:
	s_or_b32 s48, s43, exec_lo
	s_trap 2
                                        ; implicit-def: $vgpr36_vgpr37
                                        ; implicit-def: $vgpr34_vgpr35
                                        ; implicit-def: $vgpr44_vgpr45
                                        ; implicit-def: $vgpr6
                                        ; implicit-def: $vgpr4
                                        ; implicit-def: $vgpr24
                                        ; implicit-def: $vgpr22
                                        ; implicit-def: $vgpr28
                                        ; implicit-def: $vgpr26
                                        ; implicit-def: $vgpr2
                                        ; implicit-def: $vgpr30
                                        ; implicit-def: $vgpr14
                                        ; implicit-def: $vgpr10
                                        ; implicit-def: $vgpr18
                                        ; implicit-def: $vgpr16
                                        ; implicit-def: $vgpr0
                                        ; implicit-def: $vgpr20
                                        ; implicit-def: $vgpr8_vgpr9
                                        ; implicit-def: $vgpr12_vgpr13
	s_or_saveexec_b32 s49, s0
                                        ; implicit-def: $vgpr42_vgpr43
                                        ; implicit-def: $sgpr0
	s_delay_alu instid0(SALU_CYCLE_1)
	s_xor_b32 exec_lo, exec_lo, s49
	s_cbranch_execz .LBB95_5087
	s_branch .LBB95_4413
.LBB95_4706:
	s_mov_b32 s0, -1
	s_mov_b32 s9, 0
.LBB95_4707:
                                        ; implicit-def: $vgpr26_vgpr27
.LBB95_4708:
	s_and_b32 vcc_lo, exec_lo, s22
	s_cbranch_vccz .LBB95_4712
; %bb.4709:
	s_cmp_eq_u32 s57, 44
	s_cbranch_scc0 .LBB95_4711
; %bb.4710:
	global_load_u8 v1, v[32:33], off
	s_mov_b32 s0, 0
	s_mov_b32 s9, -1
	s_wait_loadcnt 0x0
	v_lshlrev_b32_e32 v3, 23, v1
	v_cmp_ne_u32_e32 vcc_lo, 0, v1
	s_delay_alu instid0(VALU_DEP_2) | instskip(NEXT) | instid1(VALU_DEP_1)
	v_trunc_f32_e32 v3, v3
	v_mul_f32_e64 v5, 0x2f800000, |v3|
	v_ashrrev_i32_e32 v26, 31, v3
	s_delay_alu instid0(VALU_DEP_2) | instskip(NEXT) | instid1(VALU_DEP_2)
	v_floor_f32_e32 v5, v5
	v_mov_b32_e32 v27, v26
	s_delay_alu instid0(VALU_DEP_2) | instskip(SKIP_1) | instid1(VALU_DEP_2)
	v_fma_f32 v7, 0xcf800000, v5, |v3|
	v_cvt_u32_f32_e32 v3, v5
	v_cvt_u32_f32_e32 v5, v7
	s_delay_alu instid0(VALU_DEP_2) | instskip(NEXT) | instid1(VALU_DEP_2)
	v_xor_b32_e32 v35, v3, v26
	v_xor_b32_e32 v34, v5, v26
	s_delay_alu instid0(VALU_DEP_1) | instskip(NEXT) | instid1(VALU_DEP_1)
	v_sub_nc_u64_e32 v[26:27], v[34:35], v[26:27]
	v_dual_cndmask_b32 v27, 0, v27 :: v_dual_cndmask_b32 v26, 0, v26
	s_branch .LBB95_4712
.LBB95_4711:
	s_mov_b32 s0, -1
                                        ; implicit-def: $vgpr26_vgpr27
.LBB95_4712:
	s_mov_b32 s22, 0
.LBB95_4713:
	s_delay_alu instid0(SALU_CYCLE_1)
	s_and_b32 vcc_lo, exec_lo, s22
	s_cbranch_vccz .LBB95_4717
; %bb.4714:
	s_cmp_eq_u32 s57, 29
	s_cbranch_scc0 .LBB95_4716
; %bb.4715:
	global_load_b64 v[26:27], v[32:33], off
	s_mov_b32 s0, 0
	s_mov_b32 s9, -1
	s_branch .LBB95_4717
.LBB95_4716:
	s_mov_b32 s0, -1
                                        ; implicit-def: $vgpr26_vgpr27
.LBB95_4717:
	s_mov_b32 s22, 0
.LBB95_4718:
	s_delay_alu instid0(SALU_CYCLE_1)
	s_and_b32 vcc_lo, exec_lo, s22
	s_cbranch_vccz .LBB95_4734
; %bb.4719:
	s_cmp_lt_i32 s57, 27
	s_cbranch_scc1 .LBB95_4722
; %bb.4720:
	s_cmp_gt_i32 s57, 27
	s_cbranch_scc0 .LBB95_4723
; %bb.4721:
	s_wait_loadcnt 0x0
	global_load_b32 v26, v[32:33], off
	v_mov_b32_e32 v27, 0
	s_mov_b32 s9, 0
	s_branch .LBB95_4724
.LBB95_4722:
	s_mov_b32 s9, -1
                                        ; implicit-def: $vgpr26_vgpr27
	s_branch .LBB95_4727
.LBB95_4723:
	s_mov_b32 s9, -1
                                        ; implicit-def: $vgpr26_vgpr27
.LBB95_4724:
	s_delay_alu instid0(SALU_CYCLE_1)
	s_and_not1_b32 vcc_lo, exec_lo, s9
	s_cbranch_vccnz .LBB95_4726
; %bb.4725:
	global_load_u16 v1, v[32:33], off
	s_mov_b32 s9, 0
	s_wait_loadcnt 0x1
	v_mov_b32_e32 v27, s9
	s_wait_loadcnt 0x0
	v_and_b32_e32 v26, 0xffff, v1
.LBB95_4726:
	s_mov_b32 s9, 0
.LBB95_4727:
	s_delay_alu instid0(SALU_CYCLE_1)
	s_and_not1_b32 vcc_lo, exec_lo, s9
	s_cbranch_vccnz .LBB95_4733
; %bb.4728:
	global_load_u8 v1, v[32:33], off
	s_mov_b32 s22, 0
	s_mov_b32 s9, exec_lo
	s_wait_loadcnt 0x0
	v_cmpx_lt_i16_e32 0x7f, v1
	s_xor_b32 s9, exec_lo, s9
	s_cbranch_execz .LBB95_4745
; %bb.4729:
	v_cmp_ne_u16_e32 vcc_lo, 0x80, v1
	s_and_b32 s22, vcc_lo, exec_lo
	s_and_not1_saveexec_b32 s9, s9
	s_cbranch_execnz .LBB95_4746
.LBB95_4730:
	s_or_b32 exec_lo, exec_lo, s9
	v_mov_b64_e32 v[26:27], 0
	s_and_saveexec_b32 s9, s22
	s_cbranch_execz .LBB95_4732
.LBB95_4731:
	v_and_b32_e32 v3, 0xffff, v1
	s_delay_alu instid0(VALU_DEP_1) | instskip(SKIP_1) | instid1(VALU_DEP_2)
	v_dual_lshlrev_b32 v1, 24, v1 :: v_dual_bitop2_b32 v5, 7, v3 bitop3:0x40
	v_bfe_u32 v15, v3, 3, 4
	v_and_b32_e32 v1, 0x80000000, v1
	s_delay_alu instid0(VALU_DEP_3) | instskip(NEXT) | instid1(VALU_DEP_3)
	v_clz_i32_u32_e32 v7, v5
	v_cmp_eq_u32_e32 vcc_lo, 0, v15
	s_delay_alu instid0(VALU_DEP_2) | instskip(NEXT) | instid1(VALU_DEP_1)
	v_min_u32_e32 v7, 32, v7
	v_subrev_nc_u32_e32 v11, 28, v7
	v_sub_nc_u32_e32 v7, 29, v7
	s_delay_alu instid0(VALU_DEP_2) | instskip(NEXT) | instid1(VALU_DEP_2)
	v_lshlrev_b32_e32 v3, v11, v3
	v_cndmask_b32_e32 v7, v15, v7, vcc_lo
	s_delay_alu instid0(VALU_DEP_2) | instskip(NEXT) | instid1(VALU_DEP_1)
	v_and_b32_e32 v3, 7, v3
	v_cndmask_b32_e32 v3, v5, v3, vcc_lo
	s_delay_alu instid0(VALU_DEP_3) | instskip(NEXT) | instid1(VALU_DEP_2)
	v_lshl_add_u32 v5, v7, 23, 0x3b800000
	v_lshlrev_b32_e32 v3, 20, v3
	s_delay_alu instid0(VALU_DEP_1) | instskip(NEXT) | instid1(VALU_DEP_1)
	v_or3_b32 v1, v1, v5, v3
	v_trunc_f32_e32 v1, v1
	s_delay_alu instid0(VALU_DEP_1) | instskip(SKIP_1) | instid1(VALU_DEP_2)
	v_mul_f32_e64 v3, 0x2f800000, |v1|
	v_ashrrev_i32_e32 v26, 31, v1
	v_floor_f32_e32 v3, v3
	s_delay_alu instid0(VALU_DEP_2) | instskip(NEXT) | instid1(VALU_DEP_2)
	v_mov_b32_e32 v27, v26
	v_fma_f32 v5, 0xcf800000, v3, |v1|
	v_cvt_u32_f32_e32 v1, v3
	s_delay_alu instid0(VALU_DEP_2) | instskip(NEXT) | instid1(VALU_DEP_2)
	v_cvt_u32_f32_e32 v3, v5
	v_xor_b32_e32 v35, v1, v26
	s_delay_alu instid0(VALU_DEP_2) | instskip(NEXT) | instid1(VALU_DEP_1)
	v_xor_b32_e32 v34, v3, v26
	v_sub_nc_u64_e32 v[26:27], v[34:35], v[26:27]
.LBB95_4732:
	s_or_b32 exec_lo, exec_lo, s9
.LBB95_4733:
	s_mov_b32 s9, -1
.LBB95_4734:
	s_mov_b32 s22, 0
.LBB95_4735:
	s_delay_alu instid0(SALU_CYCLE_1)
	s_and_b32 vcc_lo, exec_lo, s22
	s_cbranch_vccz .LBB95_4766
; %bb.4736:
	s_cmp_gt_i32 s57, 22
	s_cbranch_scc0 .LBB95_4744
; %bb.4737:
	s_cmp_lt_i32 s57, 24
	s_cbranch_scc1 .LBB95_4747
; %bb.4738:
	s_cmp_gt_i32 s57, 24
	s_cbranch_scc0 .LBB95_4748
; %bb.4739:
	global_load_u8 v1, v[32:33], off
	s_mov_b32 s9, 0
	s_mov_b32 s1, exec_lo
	s_wait_loadcnt 0x0
	v_cmpx_lt_i16_e32 0x7f, v1
	s_xor_b32 s1, exec_lo, s1
	s_cbranch_execz .LBB95_4760
; %bb.4740:
	v_cmp_ne_u16_e32 vcc_lo, 0x80, v1
	s_and_b32 s9, vcc_lo, exec_lo
	s_and_not1_saveexec_b32 s1, s1
	s_cbranch_execnz .LBB95_4761
.LBB95_4741:
	s_or_b32 exec_lo, exec_lo, s1
	v_mov_b64_e32 v[26:27], 0
	s_and_saveexec_b32 s1, s9
	s_cbranch_execz .LBB95_4743
.LBB95_4742:
	v_and_b32_e32 v3, 0xffff, v1
	s_delay_alu instid0(VALU_DEP_1) | instskip(SKIP_1) | instid1(VALU_DEP_2)
	v_dual_lshlrev_b32 v1, 24, v1 :: v_dual_bitop2_b32 v5, 3, v3 bitop3:0x40
	v_bfe_u32 v15, v3, 2, 5
	v_and_b32_e32 v1, 0x80000000, v1
	s_delay_alu instid0(VALU_DEP_3) | instskip(NEXT) | instid1(VALU_DEP_3)
	v_clz_i32_u32_e32 v7, v5
	v_cmp_eq_u32_e32 vcc_lo, 0, v15
	s_delay_alu instid0(VALU_DEP_2) | instskip(NEXT) | instid1(VALU_DEP_1)
	v_min_u32_e32 v7, 32, v7
	v_subrev_nc_u32_e32 v11, 29, v7
	v_sub_nc_u32_e32 v7, 30, v7
	s_delay_alu instid0(VALU_DEP_2) | instskip(NEXT) | instid1(VALU_DEP_2)
	v_lshlrev_b32_e32 v3, v11, v3
	v_cndmask_b32_e32 v7, v15, v7, vcc_lo
	s_delay_alu instid0(VALU_DEP_2) | instskip(NEXT) | instid1(VALU_DEP_1)
	v_and_b32_e32 v3, 3, v3
	v_cndmask_b32_e32 v3, v5, v3, vcc_lo
	s_delay_alu instid0(VALU_DEP_3) | instskip(NEXT) | instid1(VALU_DEP_2)
	v_lshl_add_u32 v5, v7, 23, 0x37800000
	v_lshlrev_b32_e32 v3, 21, v3
	s_delay_alu instid0(VALU_DEP_1) | instskip(NEXT) | instid1(VALU_DEP_1)
	v_or3_b32 v1, v1, v5, v3
	v_trunc_f32_e32 v1, v1
	s_delay_alu instid0(VALU_DEP_1) | instskip(SKIP_1) | instid1(VALU_DEP_2)
	v_mul_f32_e64 v3, 0x2f800000, |v1|
	v_ashrrev_i32_e32 v26, 31, v1
	v_floor_f32_e32 v3, v3
	s_delay_alu instid0(VALU_DEP_2) | instskip(NEXT) | instid1(VALU_DEP_2)
	v_mov_b32_e32 v27, v26
	v_fma_f32 v5, 0xcf800000, v3, |v1|
	v_cvt_u32_f32_e32 v1, v3
	s_delay_alu instid0(VALU_DEP_2) | instskip(NEXT) | instid1(VALU_DEP_2)
	v_cvt_u32_f32_e32 v3, v5
	v_xor_b32_e32 v35, v1, v26
	s_delay_alu instid0(VALU_DEP_2) | instskip(NEXT) | instid1(VALU_DEP_1)
	v_xor_b32_e32 v34, v3, v26
	v_sub_nc_u64_e32 v[26:27], v[34:35], v[26:27]
.LBB95_4743:
	s_or_b32 exec_lo, exec_lo, s1
	s_mov_b32 s1, 0
	s_branch .LBB95_4749
.LBB95_4744:
	s_mov_b32 s1, -1
                                        ; implicit-def: $vgpr26_vgpr27
	s_branch .LBB95_4755
.LBB95_4745:
	s_and_not1_saveexec_b32 s9, s9
	s_cbranch_execz .LBB95_4730
.LBB95_4746:
	v_cmp_ne_u16_e32 vcc_lo, 0, v1
	s_and_not1_b32 s22, s22, exec_lo
	s_and_b32 s23, vcc_lo, exec_lo
	s_delay_alu instid0(SALU_CYCLE_1)
	s_or_b32 s22, s22, s23
	s_or_b32 exec_lo, exec_lo, s9
	v_mov_b64_e32 v[26:27], 0
	s_and_saveexec_b32 s9, s22
	s_cbranch_execnz .LBB95_4731
	s_branch .LBB95_4732
.LBB95_4747:
	s_mov_b32 s1, -1
                                        ; implicit-def: $vgpr26_vgpr27
	s_branch .LBB95_4752
.LBB95_4748:
	s_mov_b32 s1, -1
                                        ; implicit-def: $vgpr26_vgpr27
.LBB95_4749:
	s_delay_alu instid0(SALU_CYCLE_1)
	s_and_b32 vcc_lo, exec_lo, s1
	s_cbranch_vccz .LBB95_4751
; %bb.4750:
	global_load_u8 v1, v[32:33], off
	s_wait_loadcnt 0x0
	v_lshlrev_b32_e32 v1, 24, v1
	s_delay_alu instid0(VALU_DEP_1) | instskip(NEXT) | instid1(VALU_DEP_1)
	v_and_b32_e32 v3, 0x7f000000, v1
	v_clz_i32_u32_e32 v5, v3
	v_add_nc_u32_e32 v11, 0x1000000, v3
	v_cmp_ne_u32_e32 vcc_lo, 0, v3
	s_delay_alu instid0(VALU_DEP_3) | instskip(NEXT) | instid1(VALU_DEP_1)
	v_min_u32_e32 v5, 32, v5
	v_sub_nc_u32_e64 v5, v5, 4 clamp
	s_delay_alu instid0(VALU_DEP_1) | instskip(NEXT) | instid1(VALU_DEP_1)
	v_dual_lshlrev_b32 v7, v5, v3 :: v_dual_lshlrev_b32 v5, 23, v5
	v_lshrrev_b32_e32 v7, 4, v7
	s_delay_alu instid0(VALU_DEP_1) | instskip(NEXT) | instid1(VALU_DEP_1)
	v_dual_sub_nc_u32 v5, v7, v5 :: v_dual_ashrrev_i32 v7, 8, v11
	v_add_nc_u32_e32 v5, 0x3c000000, v5
	s_delay_alu instid0(VALU_DEP_1) | instskip(NEXT) | instid1(VALU_DEP_1)
	v_and_or_b32 v5, 0x7f800000, v7, v5
	v_cndmask_b32_e32 v3, 0, v5, vcc_lo
	s_delay_alu instid0(VALU_DEP_1) | instskip(NEXT) | instid1(VALU_DEP_1)
	v_and_or_b32 v1, 0x80000000, v1, v3
	v_trunc_f32_e32 v1, v1
	s_delay_alu instid0(VALU_DEP_1) | instskip(SKIP_1) | instid1(VALU_DEP_2)
	v_mul_f32_e64 v3, 0x2f800000, |v1|
	v_ashrrev_i32_e32 v26, 31, v1
	v_floor_f32_e32 v3, v3
	s_delay_alu instid0(VALU_DEP_2) | instskip(NEXT) | instid1(VALU_DEP_2)
	v_mov_b32_e32 v27, v26
	v_fma_f32 v5, 0xcf800000, v3, |v1|
	v_cvt_u32_f32_e32 v1, v3
	s_delay_alu instid0(VALU_DEP_2) | instskip(NEXT) | instid1(VALU_DEP_2)
	v_cvt_u32_f32_e32 v3, v5
	v_xor_b32_e32 v35, v1, v26
	s_delay_alu instid0(VALU_DEP_2) | instskip(NEXT) | instid1(VALU_DEP_1)
	v_xor_b32_e32 v34, v3, v26
	v_sub_nc_u64_e32 v[26:27], v[34:35], v[26:27]
.LBB95_4751:
	s_mov_b32 s1, 0
.LBB95_4752:
	s_delay_alu instid0(SALU_CYCLE_1)
	s_and_not1_b32 vcc_lo, exec_lo, s1
	s_cbranch_vccnz .LBB95_4754
; %bb.4753:
	global_load_u8 v1, v[32:33], off
	s_wait_loadcnt 0x0
	v_lshlrev_b32_e32 v3, 25, v1
	v_lshlrev_b16 v1, 8, v1
	s_delay_alu instid0(VALU_DEP_1) | instskip(SKIP_1) | instid1(VALU_DEP_2)
	v_and_or_b32 v7, 0x7f00, v1, 0.5
	v_bfe_i32 v1, v1, 0, 16
	v_add_f32_e32 v7, -0.5, v7
	v_lshrrev_b32_e32 v5, 4, v3
	v_cmp_gt_u32_e32 vcc_lo, 0x8000000, v3
	s_delay_alu instid0(VALU_DEP_2) | instskip(NEXT) | instid1(VALU_DEP_1)
	v_or_b32_e32 v5, 0x70000000, v5
	v_mul_f32_e32 v5, 0x7800000, v5
	s_delay_alu instid0(VALU_DEP_1) | instskip(NEXT) | instid1(VALU_DEP_1)
	v_cndmask_b32_e32 v3, v5, v7, vcc_lo
	v_and_or_b32 v1, 0x80000000, v1, v3
	s_delay_alu instid0(VALU_DEP_1) | instskip(NEXT) | instid1(VALU_DEP_1)
	v_trunc_f32_e32 v1, v1
	v_mul_f32_e64 v3, 0x2f800000, |v1|
	v_ashrrev_i32_e32 v26, 31, v1
	s_delay_alu instid0(VALU_DEP_2) | instskip(NEXT) | instid1(VALU_DEP_2)
	v_floor_f32_e32 v3, v3
	v_mov_b32_e32 v27, v26
	s_delay_alu instid0(VALU_DEP_2) | instskip(SKIP_1) | instid1(VALU_DEP_2)
	v_fma_f32 v5, 0xcf800000, v3, |v1|
	v_cvt_u32_f32_e32 v1, v3
	v_cvt_u32_f32_e32 v3, v5
	s_delay_alu instid0(VALU_DEP_2) | instskip(NEXT) | instid1(VALU_DEP_2)
	v_xor_b32_e32 v35, v1, v26
	v_xor_b32_e32 v34, v3, v26
	s_delay_alu instid0(VALU_DEP_1)
	v_sub_nc_u64_e32 v[26:27], v[34:35], v[26:27]
.LBB95_4754:
	s_mov_b32 s1, 0
	s_mov_b32 s9, -1
.LBB95_4755:
	s_and_not1_b32 vcc_lo, exec_lo, s1
	s_mov_b32 s1, 0
	s_cbranch_vccnz .LBB95_4766
; %bb.4756:
	s_cmp_gt_i32 s57, 14
	s_cbranch_scc0 .LBB95_4759
; %bb.4757:
	s_cmp_eq_u32 s57, 15
	s_cbranch_scc0 .LBB95_4762
; %bb.4758:
	global_load_u16 v1, v[32:33], off
	s_mov_b32 s0, 0
	s_mov_b32 s9, -1
	s_wait_loadcnt 0x0
	v_lshlrev_b32_e32 v1, 16, v1
	s_delay_alu instid0(VALU_DEP_1) | instskip(NEXT) | instid1(VALU_DEP_1)
	v_trunc_f32_e32 v1, v1
	v_mul_f32_e64 v3, 0x2f800000, |v1|
	v_ashrrev_i32_e32 v26, 31, v1
	s_delay_alu instid0(VALU_DEP_2) | instskip(NEXT) | instid1(VALU_DEP_2)
	v_floor_f32_e32 v3, v3
	v_mov_b32_e32 v27, v26
	s_delay_alu instid0(VALU_DEP_2) | instskip(SKIP_1) | instid1(VALU_DEP_2)
	v_fma_f32 v5, 0xcf800000, v3, |v1|
	v_cvt_u32_f32_e32 v1, v3
	v_cvt_u32_f32_e32 v3, v5
	s_delay_alu instid0(VALU_DEP_2) | instskip(NEXT) | instid1(VALU_DEP_2)
	v_xor_b32_e32 v35, v1, v26
	v_xor_b32_e32 v34, v3, v26
	s_delay_alu instid0(VALU_DEP_1)
	v_sub_nc_u64_e32 v[26:27], v[34:35], v[26:27]
	s_branch .LBB95_4764
.LBB95_4759:
	s_mov_b32 s1, -1
	s_branch .LBB95_4763
.LBB95_4760:
	s_and_not1_saveexec_b32 s1, s1
	s_cbranch_execz .LBB95_4741
.LBB95_4761:
	v_cmp_ne_u16_e32 vcc_lo, 0, v1
	s_and_not1_b32 s9, s9, exec_lo
	s_and_b32 s22, vcc_lo, exec_lo
	s_delay_alu instid0(SALU_CYCLE_1)
	s_or_b32 s9, s9, s22
	s_or_b32 exec_lo, exec_lo, s1
	v_mov_b64_e32 v[26:27], 0
	s_and_saveexec_b32 s1, s9
	s_cbranch_execnz .LBB95_4742
	s_branch .LBB95_4743
.LBB95_4762:
	s_mov_b32 s0, -1
.LBB95_4763:
                                        ; implicit-def: $vgpr26_vgpr27
.LBB95_4764:
	s_and_b32 vcc_lo, exec_lo, s1
	s_mov_b32 s1, 0
	s_cbranch_vccz .LBB95_4766
; %bb.4765:
	s_cmp_lg_u32 s57, 11
	s_mov_b32 s1, -1
	s_cselect_b32 s0, -1, 0
.LBB95_4766:
	s_delay_alu instid0(SALU_CYCLE_1)
	s_and_b32 vcc_lo, exec_lo, s0
	s_cbranch_vccnz .LBB95_4831
; %bb.4767:
	s_and_not1_b32 vcc_lo, exec_lo, s1
	s_cbranch_vccnz .LBB95_4769
.LBB95_4768:
	global_load_u8 v1, v[32:33], off
	s_mov_b32 s0, 0
	s_mov_b32 s9, -1
	s_wait_loadcnt 0x1
	v_mov_b32_e32 v27, s0
	s_wait_loadcnt 0x0
	v_cmp_ne_u16_e32 vcc_lo, 0, v1
	v_cndmask_b32_e64 v26, 0, 1, vcc_lo
.LBB95_4769:
	s_mov_b32 s0, 0
.LBB95_4770:
	s_delay_alu instid0(SALU_CYCLE_1)
	s_and_b32 vcc_lo, exec_lo, s0
	s_cbranch_vccz .LBB95_4819
; %bb.4771:
	s_cmp_lt_i32 s57, 5
	s_cbranch_scc1 .LBB95_4776
; %bb.4772:
	s_cmp_lt_i32 s57, 8
	s_cbranch_scc1 .LBB95_4777
	;; [unrolled: 3-line block ×3, first 2 shown]
; %bb.4774:
	s_cmp_gt_i32 s57, 9
	s_cbranch_scc0 .LBB95_4779
; %bb.4775:
	s_wait_loadcnt 0x0
	global_load_b64 v[26:27], v[32:33], off
	s_mov_b32 s0, 0
	s_wait_loadcnt 0x0
	v_trunc_f64_e32 v[26:27], v[26:27]
	s_delay_alu instid0(VALU_DEP_1) | instskip(NEXT) | instid1(VALU_DEP_1)
	v_ldexp_f64 v[34:35], v[26:27], 0xffffffe0
	v_floor_f64_e32 v[34:35], v[34:35]
	s_delay_alu instid0(VALU_DEP_1) | instskip(SKIP_1) | instid1(VALU_DEP_2)
	v_fmamk_f64 v[36:37], v[34:35], 0xc1f00000, v[26:27]
	v_cvt_i32_f64_e32 v27, v[34:35]
	v_cvt_u32_f64_e32 v26, v[36:37]
	s_branch .LBB95_4780
.LBB95_4776:
	s_mov_b32 s0, -1
                                        ; implicit-def: $vgpr26_vgpr27
	s_branch .LBB95_4798
.LBB95_4777:
	s_mov_b32 s0, -1
                                        ; implicit-def: $vgpr26_vgpr27
	s_branch .LBB95_4786
.LBB95_4778:
	s_mov_b32 s0, -1
                                        ; implicit-def: $vgpr26_vgpr27
	s_branch .LBB95_4783
.LBB95_4779:
	s_mov_b32 s0, -1
                                        ; implicit-def: $vgpr26_vgpr27
.LBB95_4780:
	s_delay_alu instid0(SALU_CYCLE_1)
	s_and_not1_b32 vcc_lo, exec_lo, s0
	s_cbranch_vccnz .LBB95_4782
; %bb.4781:
	global_load_b32 v1, v[32:33], off
	s_wait_loadcnt 0x0
	v_trunc_f32_e32 v1, v1
	s_delay_alu instid0(VALU_DEP_1) | instskip(SKIP_1) | instid1(VALU_DEP_2)
	v_mul_f32_e64 v3, 0x2f800000, |v1|
	v_ashrrev_i32_e32 v26, 31, v1
	v_floor_f32_e32 v3, v3
	s_delay_alu instid0(VALU_DEP_1) | instskip(SKIP_1) | instid1(VALU_DEP_4)
	v_fma_f32 v5, 0xcf800000, v3, |v1|
	v_cvt_u32_f32_e32 v1, v3
	v_mov_b32_e32 v27, v26
	s_delay_alu instid0(VALU_DEP_3) | instskip(NEXT) | instid1(VALU_DEP_3)
	v_cvt_u32_f32_e32 v3, v5
	v_xor_b32_e32 v35, v1, v26
	s_delay_alu instid0(VALU_DEP_2) | instskip(NEXT) | instid1(VALU_DEP_1)
	v_xor_b32_e32 v34, v3, v26
	v_sub_nc_u64_e32 v[26:27], v[34:35], v[26:27]
.LBB95_4782:
	s_mov_b32 s0, 0
.LBB95_4783:
	s_delay_alu instid0(SALU_CYCLE_1)
	s_and_not1_b32 vcc_lo, exec_lo, s0
	s_cbranch_vccnz .LBB95_4785
; %bb.4784:
	global_load_b32 v1, v[32:33], off
	s_wait_loadcnt 0x0
	v_cvt_f32_f16_e32 v1, v1
	s_delay_alu instid0(VALU_DEP_1) | instskip(NEXT) | instid1(VALU_DEP_1)
	v_cvt_i32_f32_e32 v26, v1
	v_ashrrev_i32_e32 v27, 31, v26
.LBB95_4785:
	s_mov_b32 s0, 0
.LBB95_4786:
	s_delay_alu instid0(SALU_CYCLE_1)
	s_and_not1_b32 vcc_lo, exec_lo, s0
	s_cbranch_vccnz .LBB95_4797
; %bb.4787:
	s_cmp_lt_i32 s57, 6
	s_cbranch_scc1 .LBB95_4790
; %bb.4788:
	s_cmp_gt_i32 s57, 6
	s_cbranch_scc0 .LBB95_4791
; %bb.4789:
	s_wait_loadcnt 0x0
	global_load_b64 v[26:27], v[32:33], off
	s_mov_b32 s0, 0
	s_wait_loadcnt 0x0
	v_trunc_f64_e32 v[26:27], v[26:27]
	s_delay_alu instid0(VALU_DEP_1) | instskip(NEXT) | instid1(VALU_DEP_1)
	v_ldexp_f64 v[34:35], v[26:27], 0xffffffe0
	v_floor_f64_e32 v[34:35], v[34:35]
	s_delay_alu instid0(VALU_DEP_1) | instskip(SKIP_1) | instid1(VALU_DEP_2)
	v_fmamk_f64 v[36:37], v[34:35], 0xc1f00000, v[26:27]
	v_cvt_i32_f64_e32 v27, v[34:35]
	v_cvt_u32_f64_e32 v26, v[36:37]
	s_branch .LBB95_4792
.LBB95_4790:
	s_mov_b32 s0, -1
                                        ; implicit-def: $vgpr26_vgpr27
	s_branch .LBB95_4795
.LBB95_4791:
	s_mov_b32 s0, -1
                                        ; implicit-def: $vgpr26_vgpr27
.LBB95_4792:
	s_delay_alu instid0(SALU_CYCLE_1)
	s_and_not1_b32 vcc_lo, exec_lo, s0
	s_cbranch_vccnz .LBB95_4794
; %bb.4793:
	global_load_b32 v1, v[32:33], off
	s_wait_loadcnt 0x0
	v_trunc_f32_e32 v1, v1
	s_delay_alu instid0(VALU_DEP_1) | instskip(SKIP_1) | instid1(VALU_DEP_2)
	v_mul_f32_e64 v3, 0x2f800000, |v1|
	v_ashrrev_i32_e32 v26, 31, v1
	v_floor_f32_e32 v3, v3
	s_delay_alu instid0(VALU_DEP_1) | instskip(SKIP_1) | instid1(VALU_DEP_4)
	v_fma_f32 v5, 0xcf800000, v3, |v1|
	v_cvt_u32_f32_e32 v1, v3
	v_mov_b32_e32 v27, v26
	s_delay_alu instid0(VALU_DEP_3) | instskip(NEXT) | instid1(VALU_DEP_3)
	v_cvt_u32_f32_e32 v3, v5
	v_xor_b32_e32 v35, v1, v26
	s_delay_alu instid0(VALU_DEP_2) | instskip(NEXT) | instid1(VALU_DEP_1)
	v_xor_b32_e32 v34, v3, v26
	v_sub_nc_u64_e32 v[26:27], v[34:35], v[26:27]
.LBB95_4794:
	s_mov_b32 s0, 0
.LBB95_4795:
	s_delay_alu instid0(SALU_CYCLE_1)
	s_and_not1_b32 vcc_lo, exec_lo, s0
	s_cbranch_vccnz .LBB95_4797
; %bb.4796:
	global_load_u16 v1, v[32:33], off
	s_wait_loadcnt 0x0
	v_cvt_f32_f16_e32 v1, v1
	s_delay_alu instid0(VALU_DEP_1) | instskip(NEXT) | instid1(VALU_DEP_1)
	v_cvt_i32_f32_e32 v26, v1
	v_ashrrev_i32_e32 v27, 31, v26
.LBB95_4797:
	s_mov_b32 s0, 0
.LBB95_4798:
	s_delay_alu instid0(SALU_CYCLE_1)
	s_and_not1_b32 vcc_lo, exec_lo, s0
	s_cbranch_vccnz .LBB95_4818
; %bb.4799:
	s_cmp_lt_i32 s57, 2
	s_cbranch_scc1 .LBB95_4803
; %bb.4800:
	s_cmp_lt_i32 s57, 3
	s_cbranch_scc1 .LBB95_4804
; %bb.4801:
	s_cmp_gt_i32 s57, 3
	s_cbranch_scc0 .LBB95_4805
; %bb.4802:
	s_wait_loadcnt 0x0
	global_load_b64 v[26:27], v[32:33], off
	s_mov_b32 s0, 0
	s_branch .LBB95_4806
.LBB95_4803:
	s_mov_b32 s0, -1
                                        ; implicit-def: $vgpr26_vgpr27
	s_branch .LBB95_4812
.LBB95_4804:
	s_mov_b32 s0, -1
                                        ; implicit-def: $vgpr26_vgpr27
	s_branch .LBB95_4809
.LBB95_4805:
	s_mov_b32 s0, -1
                                        ; implicit-def: $vgpr26_vgpr27
.LBB95_4806:
	s_delay_alu instid0(SALU_CYCLE_1)
	s_and_not1_b32 vcc_lo, exec_lo, s0
	s_cbranch_vccnz .LBB95_4808
; %bb.4807:
	s_wait_loadcnt 0x0
	global_load_b32 v26, v[32:33], off
	s_wait_loadcnt 0x0
	v_ashrrev_i32_e32 v27, 31, v26
.LBB95_4808:
	s_mov_b32 s0, 0
.LBB95_4809:
	s_delay_alu instid0(SALU_CYCLE_1)
	s_and_not1_b32 vcc_lo, exec_lo, s0
	s_cbranch_vccnz .LBB95_4811
; %bb.4810:
	global_load_u16 v1, v[32:33], off
	s_wait_loadcnt 0x0
	v_bfe_i32 v26, v1, 0, 16
	s_delay_alu instid0(VALU_DEP_1)
	v_ashrrev_i32_e32 v27, 31, v26
.LBB95_4811:
	s_mov_b32 s0, 0
.LBB95_4812:
	s_delay_alu instid0(SALU_CYCLE_1)
	s_and_not1_b32 vcc_lo, exec_lo, s0
	s_cbranch_vccnz .LBB95_4818
; %bb.4813:
	s_cmp_gt_i32 s57, 0
	s_mov_b32 s0, 0
	s_cbranch_scc0 .LBB95_4815
; %bb.4814:
	global_load_i8 v1, v[32:33], off
	s_wait_loadcnt 0x0
	v_bfe_i32 v26, v1, 0, 16
	s_delay_alu instid0(VALU_DEP_1)
	v_ashrrev_i32_e32 v27, 31, v26
	s_branch .LBB95_4816
.LBB95_4815:
	s_mov_b32 s0, -1
                                        ; implicit-def: $vgpr26_vgpr27
.LBB95_4816:
	s_delay_alu instid0(SALU_CYCLE_1)
	s_and_not1_b32 vcc_lo, exec_lo, s0
	s_cbranch_vccnz .LBB95_4818
; %bb.4817:
	global_load_u8 v1, v[32:33], off
	s_mov_b32 s0, 0
	s_wait_loadcnt 0x1
	v_mov_b32_e32 v27, s0
	s_wait_loadcnt 0x0
	v_and_b32_e32 v26, 0xffff, v1
.LBB95_4818:
	s_mov_b32 s9, -1
.LBB95_4819:
	s_delay_alu instid0(SALU_CYCLE_1)
	s_and_not1_b32 vcc_lo, exec_lo, s9
	s_cbranch_vccnz .LBB95_5083
; %bb.4820:
	v_mov_b32_e32 v25, 0
	s_cmp_lt_i32 s58, 11
	s_wait_xcnt 0x0
	s_delay_alu instid0(VALU_DEP_1)
	v_add_nc_u64_e32 v[32:33], s[14:15], v[24:25]
	s_cbranch_scc1 .LBB95_4827
; %bb.4821:
	s_cmp_gt_i32 s58, 25
	s_mov_b32 s1, 0
	s_cbranch_scc0 .LBB95_4828
; %bb.4822:
	s_cmp_gt_i32 s58, 28
	s_cbranch_scc0 .LBB95_4829
; %bb.4823:
	s_cmp_gt_i32 s58, 43
	;; [unrolled: 3-line block ×3, first 2 shown]
	s_cbranch_scc0 .LBB95_4832
; %bb.4825:
	s_cmp_eq_u32 s58, 46
	s_mov_b32 s22, 0
	s_cbranch_scc0 .LBB95_4834
; %bb.4826:
	global_load_b32 v1, v[32:33], off
	s_mov_b32 s0, 0
	s_mov_b32 s9, -1
	s_wait_loadcnt 0x0
	v_lshlrev_b32_e32 v1, 16, v1
	s_delay_alu instid0(VALU_DEP_1) | instskip(NEXT) | instid1(VALU_DEP_1)
	v_trunc_f32_e32 v1, v1
	v_mul_f32_e64 v3, 0x2f800000, |v1|
	v_ashrrev_i32_e32 v24, 31, v1
	s_delay_alu instid0(VALU_DEP_2) | instskip(NEXT) | instid1(VALU_DEP_2)
	v_floor_f32_e32 v3, v3
	v_mov_b32_e32 v25, v24
	s_delay_alu instid0(VALU_DEP_2) | instskip(SKIP_1) | instid1(VALU_DEP_2)
	v_fma_f32 v5, 0xcf800000, v3, |v1|
	v_cvt_u32_f32_e32 v1, v3
	v_cvt_u32_f32_e32 v3, v5
	s_delay_alu instid0(VALU_DEP_2) | instskip(NEXT) | instid1(VALU_DEP_2)
	v_xor_b32_e32 v35, v1, v24
	v_xor_b32_e32 v34, v3, v24
	s_delay_alu instid0(VALU_DEP_1)
	v_sub_nc_u64_e32 v[24:25], v[34:35], v[24:25]
	s_branch .LBB95_4836
.LBB95_4827:
	s_mov_b32 s0, -1
	s_mov_b32 s9, 0
                                        ; implicit-def: $vgpr24_vgpr25
	s_branch .LBB95_4898
.LBB95_4828:
	s_mov_b32 s22, -1
	s_mov_b32 s9, 0
	s_mov_b32 s0, 0
                                        ; implicit-def: $vgpr24_vgpr25
	s_branch .LBB95_4863
.LBB95_4829:
	s_mov_b32 s22, -1
	s_mov_b32 s9, 0
	s_mov_b32 s0, 0
                                        ; implicit-def: $vgpr24_vgpr25
	s_branch .LBB95_4846
.LBB95_4830:
	s_mov_b32 s22, -1
	s_mov_b32 s9, 0
	s_mov_b32 s0, 0
                                        ; implicit-def: $vgpr24_vgpr25
	s_branch .LBB95_4841
.LBB95_4831:
	s_or_b32 s54, s54, exec_lo
	s_trap 2
	s_cbranch_execz .LBB95_4768
	s_branch .LBB95_4769
.LBB95_4832:
	s_mov_b32 s22, -1
	s_mov_b32 s9, 0
	s_mov_b32 s0, 0
	s_branch .LBB95_4835
.LBB95_4833:
	s_or_b32 s50, s48, exec_lo
	s_trap 2
                                        ; implicit-def: $vgpr36_vgpr37
                                        ; implicit-def: $vgpr34_vgpr35
                                        ; implicit-def: $vgpr44_vgpr45
                                        ; implicit-def: $vgpr6
                                        ; implicit-def: $vgpr4
                                        ; implicit-def: $vgpr24
                                        ; implicit-def: $vgpr22
                                        ; implicit-def: $vgpr28
                                        ; implicit-def: $vgpr26
                                        ; implicit-def: $vgpr2
                                        ; implicit-def: $vgpr30
                                        ; implicit-def: $vgpr14
                                        ; implicit-def: $vgpr10
                                        ; implicit-def: $vgpr18
                                        ; implicit-def: $vgpr16
                                        ; implicit-def: $vgpr0
                                        ; implicit-def: $vgpr20
                                        ; implicit-def: $vgpr8_vgpr9
                                        ; implicit-def: $vgpr12_vgpr13
	s_or_saveexec_b32 s51, s0
	s_mov_b32 s1, 0
                                        ; implicit-def: $vgpr42_vgpr43
                                        ; implicit-def: $sgpr0
	s_xor_b32 exec_lo, exec_lo, s51
	s_cbranch_execz .LBB95_5086
	s_branch .LBB95_4415
.LBB95_4834:
	s_mov_b32 s0, -1
	s_mov_b32 s9, 0
.LBB95_4835:
                                        ; implicit-def: $vgpr24_vgpr25
.LBB95_4836:
	s_and_b32 vcc_lo, exec_lo, s22
	s_cbranch_vccz .LBB95_4840
; %bb.4837:
	s_cmp_eq_u32 s58, 44
	s_cbranch_scc0 .LBB95_4839
; %bb.4838:
	global_load_u8 v1, v[32:33], off
	s_mov_b32 s0, 0
	s_mov_b32 s9, -1
	s_wait_loadcnt 0x0
	v_lshlrev_b32_e32 v3, 23, v1
	v_cmp_ne_u32_e32 vcc_lo, 0, v1
	s_delay_alu instid0(VALU_DEP_2) | instskip(NEXT) | instid1(VALU_DEP_1)
	v_trunc_f32_e32 v3, v3
	v_mul_f32_e64 v5, 0x2f800000, |v3|
	v_ashrrev_i32_e32 v24, 31, v3
	s_delay_alu instid0(VALU_DEP_2) | instskip(NEXT) | instid1(VALU_DEP_2)
	v_floor_f32_e32 v5, v5
	v_mov_b32_e32 v25, v24
	s_delay_alu instid0(VALU_DEP_2) | instskip(SKIP_1) | instid1(VALU_DEP_2)
	v_fma_f32 v7, 0xcf800000, v5, |v3|
	v_cvt_u32_f32_e32 v3, v5
	v_cvt_u32_f32_e32 v5, v7
	s_delay_alu instid0(VALU_DEP_2) | instskip(NEXT) | instid1(VALU_DEP_2)
	v_xor_b32_e32 v35, v3, v24
	v_xor_b32_e32 v34, v5, v24
	s_delay_alu instid0(VALU_DEP_1) | instskip(NEXT) | instid1(VALU_DEP_1)
	v_sub_nc_u64_e32 v[24:25], v[34:35], v[24:25]
	v_dual_cndmask_b32 v25, 0, v25 :: v_dual_cndmask_b32 v24, 0, v24
	s_branch .LBB95_4840
.LBB95_4839:
	s_mov_b32 s0, -1
                                        ; implicit-def: $vgpr24_vgpr25
.LBB95_4840:
	s_mov_b32 s22, 0
.LBB95_4841:
	s_delay_alu instid0(SALU_CYCLE_1)
	s_and_b32 vcc_lo, exec_lo, s22
	s_cbranch_vccz .LBB95_4845
; %bb.4842:
	s_cmp_eq_u32 s58, 29
	s_cbranch_scc0 .LBB95_4844
; %bb.4843:
	global_load_b64 v[24:25], v[32:33], off
	s_mov_b32 s0, 0
	s_mov_b32 s9, -1
	s_branch .LBB95_4845
.LBB95_4844:
	s_mov_b32 s0, -1
                                        ; implicit-def: $vgpr24_vgpr25
.LBB95_4845:
	s_mov_b32 s22, 0
.LBB95_4846:
	s_delay_alu instid0(SALU_CYCLE_1)
	s_and_b32 vcc_lo, exec_lo, s22
	s_cbranch_vccz .LBB95_4862
; %bb.4847:
	s_cmp_lt_i32 s58, 27
	s_cbranch_scc1 .LBB95_4850
; %bb.4848:
	s_cmp_gt_i32 s58, 27
	s_cbranch_scc0 .LBB95_4851
; %bb.4849:
	s_wait_loadcnt 0x0
	global_load_b32 v24, v[32:33], off
	v_mov_b32_e32 v25, 0
	s_mov_b32 s9, 0
	s_branch .LBB95_4852
.LBB95_4850:
	s_mov_b32 s9, -1
                                        ; implicit-def: $vgpr24_vgpr25
	s_branch .LBB95_4855
.LBB95_4851:
	s_mov_b32 s9, -1
                                        ; implicit-def: $vgpr24_vgpr25
.LBB95_4852:
	s_delay_alu instid0(SALU_CYCLE_1)
	s_and_not1_b32 vcc_lo, exec_lo, s9
	s_cbranch_vccnz .LBB95_4854
; %bb.4853:
	global_load_u16 v1, v[32:33], off
	s_mov_b32 s9, 0
	s_wait_loadcnt 0x1
	v_mov_b32_e32 v25, s9
	s_wait_loadcnt 0x0
	v_and_b32_e32 v24, 0xffff, v1
.LBB95_4854:
	s_mov_b32 s9, 0
.LBB95_4855:
	s_delay_alu instid0(SALU_CYCLE_1)
	s_and_not1_b32 vcc_lo, exec_lo, s9
	s_cbranch_vccnz .LBB95_4861
; %bb.4856:
	global_load_u8 v1, v[32:33], off
	s_mov_b32 s22, 0
	s_mov_b32 s9, exec_lo
	s_wait_loadcnt 0x0
	v_cmpx_lt_i16_e32 0x7f, v1
	s_xor_b32 s9, exec_lo, s9
	s_cbranch_execz .LBB95_4873
; %bb.4857:
	v_cmp_ne_u16_e32 vcc_lo, 0x80, v1
	s_and_b32 s22, vcc_lo, exec_lo
	s_and_not1_saveexec_b32 s9, s9
	s_cbranch_execnz .LBB95_4874
.LBB95_4858:
	s_or_b32 exec_lo, exec_lo, s9
	v_mov_b64_e32 v[24:25], 0
	s_and_saveexec_b32 s9, s22
	s_cbranch_execz .LBB95_4860
.LBB95_4859:
	v_and_b32_e32 v3, 0xffff, v1
	s_delay_alu instid0(VALU_DEP_1) | instskip(SKIP_1) | instid1(VALU_DEP_2)
	v_dual_lshlrev_b32 v1, 24, v1 :: v_dual_bitop2_b32 v5, 7, v3 bitop3:0x40
	v_bfe_u32 v15, v3, 3, 4
	v_and_b32_e32 v1, 0x80000000, v1
	s_delay_alu instid0(VALU_DEP_3) | instskip(NEXT) | instid1(VALU_DEP_3)
	v_clz_i32_u32_e32 v7, v5
	v_cmp_eq_u32_e32 vcc_lo, 0, v15
	s_delay_alu instid0(VALU_DEP_2) | instskip(NEXT) | instid1(VALU_DEP_1)
	v_min_u32_e32 v7, 32, v7
	v_subrev_nc_u32_e32 v11, 28, v7
	v_sub_nc_u32_e32 v7, 29, v7
	s_delay_alu instid0(VALU_DEP_2) | instskip(NEXT) | instid1(VALU_DEP_2)
	v_lshlrev_b32_e32 v3, v11, v3
	v_cndmask_b32_e32 v7, v15, v7, vcc_lo
	s_delay_alu instid0(VALU_DEP_2) | instskip(NEXT) | instid1(VALU_DEP_1)
	v_and_b32_e32 v3, 7, v3
	v_cndmask_b32_e32 v3, v5, v3, vcc_lo
	s_delay_alu instid0(VALU_DEP_3) | instskip(NEXT) | instid1(VALU_DEP_2)
	v_lshl_add_u32 v5, v7, 23, 0x3b800000
	v_lshlrev_b32_e32 v3, 20, v3
	s_delay_alu instid0(VALU_DEP_1) | instskip(NEXT) | instid1(VALU_DEP_1)
	v_or3_b32 v1, v1, v5, v3
	v_trunc_f32_e32 v1, v1
	s_delay_alu instid0(VALU_DEP_1) | instskip(SKIP_1) | instid1(VALU_DEP_2)
	v_mul_f32_e64 v3, 0x2f800000, |v1|
	v_ashrrev_i32_e32 v24, 31, v1
	v_floor_f32_e32 v3, v3
	s_delay_alu instid0(VALU_DEP_2) | instskip(NEXT) | instid1(VALU_DEP_2)
	v_mov_b32_e32 v25, v24
	v_fma_f32 v5, 0xcf800000, v3, |v1|
	v_cvt_u32_f32_e32 v1, v3
	s_delay_alu instid0(VALU_DEP_2) | instskip(NEXT) | instid1(VALU_DEP_2)
	v_cvt_u32_f32_e32 v3, v5
	v_xor_b32_e32 v35, v1, v24
	s_delay_alu instid0(VALU_DEP_2) | instskip(NEXT) | instid1(VALU_DEP_1)
	v_xor_b32_e32 v34, v3, v24
	v_sub_nc_u64_e32 v[24:25], v[34:35], v[24:25]
.LBB95_4860:
	s_or_b32 exec_lo, exec_lo, s9
.LBB95_4861:
	s_mov_b32 s9, -1
.LBB95_4862:
	s_mov_b32 s22, 0
.LBB95_4863:
	s_delay_alu instid0(SALU_CYCLE_1)
	s_and_b32 vcc_lo, exec_lo, s22
	s_cbranch_vccz .LBB95_4894
; %bb.4864:
	s_cmp_gt_i32 s58, 22
	s_cbranch_scc0 .LBB95_4872
; %bb.4865:
	s_cmp_lt_i32 s58, 24
	s_cbranch_scc1 .LBB95_4875
; %bb.4866:
	s_cmp_gt_i32 s58, 24
	s_cbranch_scc0 .LBB95_4876
; %bb.4867:
	global_load_u8 v1, v[32:33], off
	s_mov_b32 s9, 0
	s_mov_b32 s1, exec_lo
	s_wait_loadcnt 0x0
	v_cmpx_lt_i16_e32 0x7f, v1
	s_xor_b32 s1, exec_lo, s1
	s_cbranch_execz .LBB95_4888
; %bb.4868:
	v_cmp_ne_u16_e32 vcc_lo, 0x80, v1
	s_and_b32 s9, vcc_lo, exec_lo
	s_and_not1_saveexec_b32 s1, s1
	s_cbranch_execnz .LBB95_4889
.LBB95_4869:
	s_or_b32 exec_lo, exec_lo, s1
	v_mov_b64_e32 v[24:25], 0
	s_and_saveexec_b32 s1, s9
	s_cbranch_execz .LBB95_4871
.LBB95_4870:
	v_and_b32_e32 v3, 0xffff, v1
	s_delay_alu instid0(VALU_DEP_1) | instskip(SKIP_1) | instid1(VALU_DEP_2)
	v_dual_lshlrev_b32 v1, 24, v1 :: v_dual_bitop2_b32 v5, 3, v3 bitop3:0x40
	v_bfe_u32 v15, v3, 2, 5
	v_and_b32_e32 v1, 0x80000000, v1
	s_delay_alu instid0(VALU_DEP_3) | instskip(NEXT) | instid1(VALU_DEP_3)
	v_clz_i32_u32_e32 v7, v5
	v_cmp_eq_u32_e32 vcc_lo, 0, v15
	s_delay_alu instid0(VALU_DEP_2) | instskip(NEXT) | instid1(VALU_DEP_1)
	v_min_u32_e32 v7, 32, v7
	v_subrev_nc_u32_e32 v11, 29, v7
	v_sub_nc_u32_e32 v7, 30, v7
	s_delay_alu instid0(VALU_DEP_2) | instskip(NEXT) | instid1(VALU_DEP_2)
	v_lshlrev_b32_e32 v3, v11, v3
	v_cndmask_b32_e32 v7, v15, v7, vcc_lo
	s_delay_alu instid0(VALU_DEP_2) | instskip(NEXT) | instid1(VALU_DEP_1)
	v_and_b32_e32 v3, 3, v3
	v_cndmask_b32_e32 v3, v5, v3, vcc_lo
	s_delay_alu instid0(VALU_DEP_3) | instskip(NEXT) | instid1(VALU_DEP_2)
	v_lshl_add_u32 v5, v7, 23, 0x37800000
	v_lshlrev_b32_e32 v3, 21, v3
	s_delay_alu instid0(VALU_DEP_1) | instskip(NEXT) | instid1(VALU_DEP_1)
	v_or3_b32 v1, v1, v5, v3
	v_trunc_f32_e32 v1, v1
	s_delay_alu instid0(VALU_DEP_1) | instskip(SKIP_1) | instid1(VALU_DEP_2)
	v_mul_f32_e64 v3, 0x2f800000, |v1|
	v_ashrrev_i32_e32 v24, 31, v1
	v_floor_f32_e32 v3, v3
	s_delay_alu instid0(VALU_DEP_2) | instskip(NEXT) | instid1(VALU_DEP_2)
	v_mov_b32_e32 v25, v24
	v_fma_f32 v5, 0xcf800000, v3, |v1|
	v_cvt_u32_f32_e32 v1, v3
	s_delay_alu instid0(VALU_DEP_2) | instskip(NEXT) | instid1(VALU_DEP_2)
	v_cvt_u32_f32_e32 v3, v5
	v_xor_b32_e32 v35, v1, v24
	s_delay_alu instid0(VALU_DEP_2) | instskip(NEXT) | instid1(VALU_DEP_1)
	v_xor_b32_e32 v34, v3, v24
	v_sub_nc_u64_e32 v[24:25], v[34:35], v[24:25]
.LBB95_4871:
	s_or_b32 exec_lo, exec_lo, s1
	s_mov_b32 s1, 0
	s_branch .LBB95_4877
.LBB95_4872:
	s_mov_b32 s1, -1
                                        ; implicit-def: $vgpr24_vgpr25
	s_branch .LBB95_4883
.LBB95_4873:
	s_and_not1_saveexec_b32 s9, s9
	s_cbranch_execz .LBB95_4858
.LBB95_4874:
	v_cmp_ne_u16_e32 vcc_lo, 0, v1
	s_and_not1_b32 s22, s22, exec_lo
	s_and_b32 s23, vcc_lo, exec_lo
	s_delay_alu instid0(SALU_CYCLE_1)
	s_or_b32 s22, s22, s23
	s_or_b32 exec_lo, exec_lo, s9
	v_mov_b64_e32 v[24:25], 0
	s_and_saveexec_b32 s9, s22
	s_cbranch_execnz .LBB95_4859
	s_branch .LBB95_4860
.LBB95_4875:
	s_mov_b32 s1, -1
                                        ; implicit-def: $vgpr24_vgpr25
	s_branch .LBB95_4880
.LBB95_4876:
	s_mov_b32 s1, -1
                                        ; implicit-def: $vgpr24_vgpr25
.LBB95_4877:
	s_delay_alu instid0(SALU_CYCLE_1)
	s_and_b32 vcc_lo, exec_lo, s1
	s_cbranch_vccz .LBB95_4879
; %bb.4878:
	global_load_u8 v1, v[32:33], off
	s_wait_loadcnt 0x0
	v_lshlrev_b32_e32 v1, 24, v1
	s_delay_alu instid0(VALU_DEP_1) | instskip(NEXT) | instid1(VALU_DEP_1)
	v_and_b32_e32 v3, 0x7f000000, v1
	v_clz_i32_u32_e32 v5, v3
	v_add_nc_u32_e32 v11, 0x1000000, v3
	v_cmp_ne_u32_e32 vcc_lo, 0, v3
	s_delay_alu instid0(VALU_DEP_3) | instskip(NEXT) | instid1(VALU_DEP_1)
	v_min_u32_e32 v5, 32, v5
	v_sub_nc_u32_e64 v5, v5, 4 clamp
	s_delay_alu instid0(VALU_DEP_1) | instskip(NEXT) | instid1(VALU_DEP_1)
	v_dual_lshlrev_b32 v7, v5, v3 :: v_dual_lshlrev_b32 v5, 23, v5
	v_lshrrev_b32_e32 v7, 4, v7
	s_delay_alu instid0(VALU_DEP_1) | instskip(NEXT) | instid1(VALU_DEP_1)
	v_dual_sub_nc_u32 v5, v7, v5 :: v_dual_ashrrev_i32 v7, 8, v11
	v_add_nc_u32_e32 v5, 0x3c000000, v5
	s_delay_alu instid0(VALU_DEP_1) | instskip(NEXT) | instid1(VALU_DEP_1)
	v_and_or_b32 v5, 0x7f800000, v7, v5
	v_cndmask_b32_e32 v3, 0, v5, vcc_lo
	s_delay_alu instid0(VALU_DEP_1) | instskip(NEXT) | instid1(VALU_DEP_1)
	v_and_or_b32 v1, 0x80000000, v1, v3
	v_trunc_f32_e32 v1, v1
	s_delay_alu instid0(VALU_DEP_1) | instskip(SKIP_1) | instid1(VALU_DEP_2)
	v_mul_f32_e64 v3, 0x2f800000, |v1|
	v_ashrrev_i32_e32 v24, 31, v1
	v_floor_f32_e32 v3, v3
	s_delay_alu instid0(VALU_DEP_2) | instskip(NEXT) | instid1(VALU_DEP_2)
	v_mov_b32_e32 v25, v24
	v_fma_f32 v5, 0xcf800000, v3, |v1|
	v_cvt_u32_f32_e32 v1, v3
	s_delay_alu instid0(VALU_DEP_2) | instskip(NEXT) | instid1(VALU_DEP_2)
	v_cvt_u32_f32_e32 v3, v5
	v_xor_b32_e32 v35, v1, v24
	s_delay_alu instid0(VALU_DEP_2) | instskip(NEXT) | instid1(VALU_DEP_1)
	v_xor_b32_e32 v34, v3, v24
	v_sub_nc_u64_e32 v[24:25], v[34:35], v[24:25]
.LBB95_4879:
	s_mov_b32 s1, 0
.LBB95_4880:
	s_delay_alu instid0(SALU_CYCLE_1)
	s_and_not1_b32 vcc_lo, exec_lo, s1
	s_cbranch_vccnz .LBB95_4882
; %bb.4881:
	global_load_u8 v1, v[32:33], off
	s_wait_loadcnt 0x0
	v_lshlrev_b32_e32 v3, 25, v1
	v_lshlrev_b16 v1, 8, v1
	s_delay_alu instid0(VALU_DEP_1) | instskip(SKIP_1) | instid1(VALU_DEP_2)
	v_and_or_b32 v7, 0x7f00, v1, 0.5
	v_bfe_i32 v1, v1, 0, 16
	v_add_f32_e32 v7, -0.5, v7
	v_lshrrev_b32_e32 v5, 4, v3
	v_cmp_gt_u32_e32 vcc_lo, 0x8000000, v3
	s_delay_alu instid0(VALU_DEP_2) | instskip(NEXT) | instid1(VALU_DEP_1)
	v_or_b32_e32 v5, 0x70000000, v5
	v_mul_f32_e32 v5, 0x7800000, v5
	s_delay_alu instid0(VALU_DEP_1) | instskip(NEXT) | instid1(VALU_DEP_1)
	v_cndmask_b32_e32 v3, v5, v7, vcc_lo
	v_and_or_b32 v1, 0x80000000, v1, v3
	s_delay_alu instid0(VALU_DEP_1) | instskip(NEXT) | instid1(VALU_DEP_1)
	v_trunc_f32_e32 v1, v1
	v_mul_f32_e64 v3, 0x2f800000, |v1|
	v_ashrrev_i32_e32 v24, 31, v1
	s_delay_alu instid0(VALU_DEP_2) | instskip(NEXT) | instid1(VALU_DEP_2)
	v_floor_f32_e32 v3, v3
	v_mov_b32_e32 v25, v24
	s_delay_alu instid0(VALU_DEP_2) | instskip(SKIP_1) | instid1(VALU_DEP_2)
	v_fma_f32 v5, 0xcf800000, v3, |v1|
	v_cvt_u32_f32_e32 v1, v3
	v_cvt_u32_f32_e32 v3, v5
	s_delay_alu instid0(VALU_DEP_2) | instskip(NEXT) | instid1(VALU_DEP_2)
	v_xor_b32_e32 v35, v1, v24
	v_xor_b32_e32 v34, v3, v24
	s_delay_alu instid0(VALU_DEP_1)
	v_sub_nc_u64_e32 v[24:25], v[34:35], v[24:25]
.LBB95_4882:
	s_mov_b32 s1, 0
	s_mov_b32 s9, -1
.LBB95_4883:
	s_and_not1_b32 vcc_lo, exec_lo, s1
	s_mov_b32 s1, 0
	s_cbranch_vccnz .LBB95_4894
; %bb.4884:
	s_cmp_gt_i32 s58, 14
	s_cbranch_scc0 .LBB95_4887
; %bb.4885:
	s_cmp_eq_u32 s58, 15
	s_cbranch_scc0 .LBB95_4890
; %bb.4886:
	global_load_u16 v1, v[32:33], off
	s_mov_b32 s0, 0
	s_mov_b32 s9, -1
	s_wait_loadcnt 0x0
	v_lshlrev_b32_e32 v1, 16, v1
	s_delay_alu instid0(VALU_DEP_1) | instskip(NEXT) | instid1(VALU_DEP_1)
	v_trunc_f32_e32 v1, v1
	v_mul_f32_e64 v3, 0x2f800000, |v1|
	v_ashrrev_i32_e32 v24, 31, v1
	s_delay_alu instid0(VALU_DEP_2) | instskip(NEXT) | instid1(VALU_DEP_2)
	v_floor_f32_e32 v3, v3
	v_mov_b32_e32 v25, v24
	s_delay_alu instid0(VALU_DEP_2) | instskip(SKIP_1) | instid1(VALU_DEP_2)
	v_fma_f32 v5, 0xcf800000, v3, |v1|
	v_cvt_u32_f32_e32 v1, v3
	v_cvt_u32_f32_e32 v3, v5
	s_delay_alu instid0(VALU_DEP_2) | instskip(NEXT) | instid1(VALU_DEP_2)
	v_xor_b32_e32 v35, v1, v24
	v_xor_b32_e32 v34, v3, v24
	s_delay_alu instid0(VALU_DEP_1)
	v_sub_nc_u64_e32 v[24:25], v[34:35], v[24:25]
	s_branch .LBB95_4892
.LBB95_4887:
	s_mov_b32 s1, -1
	s_branch .LBB95_4891
.LBB95_4888:
	s_and_not1_saveexec_b32 s1, s1
	s_cbranch_execz .LBB95_4869
.LBB95_4889:
	v_cmp_ne_u16_e32 vcc_lo, 0, v1
	s_and_not1_b32 s9, s9, exec_lo
	s_and_b32 s22, vcc_lo, exec_lo
	s_delay_alu instid0(SALU_CYCLE_1)
	s_or_b32 s9, s9, s22
	s_or_b32 exec_lo, exec_lo, s1
	v_mov_b64_e32 v[24:25], 0
	s_and_saveexec_b32 s1, s9
	s_cbranch_execnz .LBB95_4870
	s_branch .LBB95_4871
.LBB95_4890:
	s_mov_b32 s0, -1
.LBB95_4891:
                                        ; implicit-def: $vgpr24_vgpr25
.LBB95_4892:
	s_and_b32 vcc_lo, exec_lo, s1
	s_mov_b32 s1, 0
	s_cbranch_vccz .LBB95_4894
; %bb.4893:
	s_cmp_lg_u32 s58, 11
	s_mov_b32 s1, -1
	s_cselect_b32 s0, -1, 0
.LBB95_4894:
	s_delay_alu instid0(SALU_CYCLE_1)
	s_and_b32 vcc_lo, exec_lo, s0
	s_cbranch_vccnz .LBB95_4959
; %bb.4895:
	s_and_not1_b32 vcc_lo, exec_lo, s1
	s_cbranch_vccnz .LBB95_4897
.LBB95_4896:
	global_load_u8 v1, v[32:33], off
	s_mov_b32 s0, 0
	s_mov_b32 s9, -1
	s_wait_loadcnt 0x1
	v_mov_b32_e32 v25, s0
	s_wait_loadcnt 0x0
	v_cmp_ne_u16_e32 vcc_lo, 0, v1
	v_cndmask_b32_e64 v24, 0, 1, vcc_lo
.LBB95_4897:
	s_mov_b32 s0, 0
.LBB95_4898:
	s_delay_alu instid0(SALU_CYCLE_1)
	s_and_b32 vcc_lo, exec_lo, s0
	s_cbranch_vccz .LBB95_4947
; %bb.4899:
	s_cmp_lt_i32 s58, 5
	s_cbranch_scc1 .LBB95_4904
; %bb.4900:
	s_cmp_lt_i32 s58, 8
	s_cbranch_scc1 .LBB95_4905
; %bb.4901:
	s_cmp_lt_i32 s58, 9
	s_cbranch_scc1 .LBB95_4906
; %bb.4902:
	s_cmp_gt_i32 s58, 9
	s_cbranch_scc0 .LBB95_4907
; %bb.4903:
	s_wait_loadcnt 0x0
	global_load_b64 v[24:25], v[32:33], off
	s_mov_b32 s0, 0
	s_wait_loadcnt 0x0
	v_trunc_f64_e32 v[24:25], v[24:25]
	s_delay_alu instid0(VALU_DEP_1) | instskip(NEXT) | instid1(VALU_DEP_1)
	v_ldexp_f64 v[34:35], v[24:25], 0xffffffe0
	v_floor_f64_e32 v[34:35], v[34:35]
	s_delay_alu instid0(VALU_DEP_1) | instskip(SKIP_1) | instid1(VALU_DEP_2)
	v_fmamk_f64 v[36:37], v[34:35], 0xc1f00000, v[24:25]
	v_cvt_i32_f64_e32 v25, v[34:35]
	v_cvt_u32_f64_e32 v24, v[36:37]
	s_branch .LBB95_4908
.LBB95_4904:
	s_mov_b32 s0, -1
                                        ; implicit-def: $vgpr24_vgpr25
	s_branch .LBB95_4926
.LBB95_4905:
	s_mov_b32 s0, -1
                                        ; implicit-def: $vgpr24_vgpr25
	s_branch .LBB95_4914
.LBB95_4906:
	s_mov_b32 s0, -1
                                        ; implicit-def: $vgpr24_vgpr25
	s_branch .LBB95_4911
.LBB95_4907:
	s_mov_b32 s0, -1
                                        ; implicit-def: $vgpr24_vgpr25
.LBB95_4908:
	s_delay_alu instid0(SALU_CYCLE_1)
	s_and_not1_b32 vcc_lo, exec_lo, s0
	s_cbranch_vccnz .LBB95_4910
; %bb.4909:
	global_load_b32 v1, v[32:33], off
	s_wait_loadcnt 0x0
	v_trunc_f32_e32 v1, v1
	s_delay_alu instid0(VALU_DEP_1) | instskip(SKIP_1) | instid1(VALU_DEP_2)
	v_mul_f32_e64 v3, 0x2f800000, |v1|
	v_ashrrev_i32_e32 v24, 31, v1
	v_floor_f32_e32 v3, v3
	s_delay_alu instid0(VALU_DEP_1) | instskip(SKIP_1) | instid1(VALU_DEP_4)
	v_fma_f32 v5, 0xcf800000, v3, |v1|
	v_cvt_u32_f32_e32 v1, v3
	v_mov_b32_e32 v25, v24
	s_delay_alu instid0(VALU_DEP_3) | instskip(NEXT) | instid1(VALU_DEP_3)
	v_cvt_u32_f32_e32 v3, v5
	v_xor_b32_e32 v35, v1, v24
	s_delay_alu instid0(VALU_DEP_2) | instskip(NEXT) | instid1(VALU_DEP_1)
	v_xor_b32_e32 v34, v3, v24
	v_sub_nc_u64_e32 v[24:25], v[34:35], v[24:25]
.LBB95_4910:
	s_mov_b32 s0, 0
.LBB95_4911:
	s_delay_alu instid0(SALU_CYCLE_1)
	s_and_not1_b32 vcc_lo, exec_lo, s0
	s_cbranch_vccnz .LBB95_4913
; %bb.4912:
	global_load_b32 v1, v[32:33], off
	s_wait_loadcnt 0x0
	v_cvt_f32_f16_e32 v1, v1
	s_delay_alu instid0(VALU_DEP_1) | instskip(NEXT) | instid1(VALU_DEP_1)
	v_cvt_i32_f32_e32 v24, v1
	v_ashrrev_i32_e32 v25, 31, v24
.LBB95_4913:
	s_mov_b32 s0, 0
.LBB95_4914:
	s_delay_alu instid0(SALU_CYCLE_1)
	s_and_not1_b32 vcc_lo, exec_lo, s0
	s_cbranch_vccnz .LBB95_4925
; %bb.4915:
	s_cmp_lt_i32 s58, 6
	s_cbranch_scc1 .LBB95_4918
; %bb.4916:
	s_cmp_gt_i32 s58, 6
	s_cbranch_scc0 .LBB95_4919
; %bb.4917:
	s_wait_loadcnt 0x0
	global_load_b64 v[24:25], v[32:33], off
	s_mov_b32 s0, 0
	s_wait_loadcnt 0x0
	v_trunc_f64_e32 v[24:25], v[24:25]
	s_delay_alu instid0(VALU_DEP_1) | instskip(NEXT) | instid1(VALU_DEP_1)
	v_ldexp_f64 v[34:35], v[24:25], 0xffffffe0
	v_floor_f64_e32 v[34:35], v[34:35]
	s_delay_alu instid0(VALU_DEP_1) | instskip(SKIP_1) | instid1(VALU_DEP_2)
	v_fmamk_f64 v[36:37], v[34:35], 0xc1f00000, v[24:25]
	v_cvt_i32_f64_e32 v25, v[34:35]
	v_cvt_u32_f64_e32 v24, v[36:37]
	s_branch .LBB95_4920
.LBB95_4918:
	s_mov_b32 s0, -1
                                        ; implicit-def: $vgpr24_vgpr25
	s_branch .LBB95_4923
.LBB95_4919:
	s_mov_b32 s0, -1
                                        ; implicit-def: $vgpr24_vgpr25
.LBB95_4920:
	s_delay_alu instid0(SALU_CYCLE_1)
	s_and_not1_b32 vcc_lo, exec_lo, s0
	s_cbranch_vccnz .LBB95_4922
; %bb.4921:
	global_load_b32 v1, v[32:33], off
	s_wait_loadcnt 0x0
	v_trunc_f32_e32 v1, v1
	s_delay_alu instid0(VALU_DEP_1) | instskip(SKIP_1) | instid1(VALU_DEP_2)
	v_mul_f32_e64 v3, 0x2f800000, |v1|
	v_ashrrev_i32_e32 v24, 31, v1
	v_floor_f32_e32 v3, v3
	s_delay_alu instid0(VALU_DEP_1) | instskip(SKIP_1) | instid1(VALU_DEP_4)
	v_fma_f32 v5, 0xcf800000, v3, |v1|
	v_cvt_u32_f32_e32 v1, v3
	v_mov_b32_e32 v25, v24
	s_delay_alu instid0(VALU_DEP_3) | instskip(NEXT) | instid1(VALU_DEP_3)
	v_cvt_u32_f32_e32 v3, v5
	v_xor_b32_e32 v35, v1, v24
	s_delay_alu instid0(VALU_DEP_2) | instskip(NEXT) | instid1(VALU_DEP_1)
	v_xor_b32_e32 v34, v3, v24
	v_sub_nc_u64_e32 v[24:25], v[34:35], v[24:25]
.LBB95_4922:
	s_mov_b32 s0, 0
.LBB95_4923:
	s_delay_alu instid0(SALU_CYCLE_1)
	s_and_not1_b32 vcc_lo, exec_lo, s0
	s_cbranch_vccnz .LBB95_4925
; %bb.4924:
	global_load_u16 v1, v[32:33], off
	s_wait_loadcnt 0x0
	v_cvt_f32_f16_e32 v1, v1
	s_delay_alu instid0(VALU_DEP_1) | instskip(NEXT) | instid1(VALU_DEP_1)
	v_cvt_i32_f32_e32 v24, v1
	v_ashrrev_i32_e32 v25, 31, v24
.LBB95_4925:
	s_mov_b32 s0, 0
.LBB95_4926:
	s_delay_alu instid0(SALU_CYCLE_1)
	s_and_not1_b32 vcc_lo, exec_lo, s0
	s_cbranch_vccnz .LBB95_4946
; %bb.4927:
	s_cmp_lt_i32 s58, 2
	s_cbranch_scc1 .LBB95_4931
; %bb.4928:
	s_cmp_lt_i32 s58, 3
	s_cbranch_scc1 .LBB95_4932
; %bb.4929:
	s_cmp_gt_i32 s58, 3
	s_cbranch_scc0 .LBB95_4933
; %bb.4930:
	s_wait_loadcnt 0x0
	global_load_b64 v[24:25], v[32:33], off
	s_mov_b32 s0, 0
	s_branch .LBB95_4934
.LBB95_4931:
	s_mov_b32 s0, -1
                                        ; implicit-def: $vgpr24_vgpr25
	s_branch .LBB95_4940
.LBB95_4932:
	s_mov_b32 s0, -1
                                        ; implicit-def: $vgpr24_vgpr25
	s_branch .LBB95_4937
.LBB95_4933:
	s_mov_b32 s0, -1
                                        ; implicit-def: $vgpr24_vgpr25
.LBB95_4934:
	s_delay_alu instid0(SALU_CYCLE_1)
	s_and_not1_b32 vcc_lo, exec_lo, s0
	s_cbranch_vccnz .LBB95_4936
; %bb.4935:
	s_wait_loadcnt 0x0
	global_load_b32 v24, v[32:33], off
	s_wait_loadcnt 0x0
	v_ashrrev_i32_e32 v25, 31, v24
.LBB95_4936:
	s_mov_b32 s0, 0
.LBB95_4937:
	s_delay_alu instid0(SALU_CYCLE_1)
	s_and_not1_b32 vcc_lo, exec_lo, s0
	s_cbranch_vccnz .LBB95_4939
; %bb.4938:
	global_load_u16 v1, v[32:33], off
	s_wait_loadcnt 0x0
	v_bfe_i32 v24, v1, 0, 16
	s_delay_alu instid0(VALU_DEP_1)
	v_ashrrev_i32_e32 v25, 31, v24
.LBB95_4939:
	s_mov_b32 s0, 0
.LBB95_4940:
	s_delay_alu instid0(SALU_CYCLE_1)
	s_and_not1_b32 vcc_lo, exec_lo, s0
	s_cbranch_vccnz .LBB95_4946
; %bb.4941:
	s_cmp_gt_i32 s58, 0
	s_mov_b32 s0, 0
	s_cbranch_scc0 .LBB95_4943
; %bb.4942:
	global_load_i8 v1, v[32:33], off
	s_wait_loadcnt 0x0
	v_bfe_i32 v24, v1, 0, 16
	s_delay_alu instid0(VALU_DEP_1)
	v_ashrrev_i32_e32 v25, 31, v24
	s_branch .LBB95_4944
.LBB95_4943:
	s_mov_b32 s0, -1
                                        ; implicit-def: $vgpr24_vgpr25
.LBB95_4944:
	s_delay_alu instid0(SALU_CYCLE_1)
	s_and_not1_b32 vcc_lo, exec_lo, s0
	s_cbranch_vccnz .LBB95_4946
; %bb.4945:
	global_load_u8 v1, v[32:33], off
	s_mov_b32 s0, 0
	s_wait_loadcnt 0x1
	v_mov_b32_e32 v25, s0
	s_wait_loadcnt 0x0
	v_and_b32_e32 v24, 0xffff, v1
.LBB95_4946:
	s_mov_b32 s9, -1
.LBB95_4947:
	s_delay_alu instid0(SALU_CYCLE_1)
	s_and_not1_b32 vcc_lo, exec_lo, s9
	s_cbranch_vccnz .LBB95_5083
; %bb.4948:
	v_mov_b32_e32 v23, 0
	s_cmp_lt_i32 s59, 11
	s_delay_alu instid0(VALU_DEP_1)
	v_add_nc_u64_e32 v[22:23], s[16:17], v[22:23]
	s_cbranch_scc1 .LBB95_4955
; %bb.4949:
	s_cmp_gt_i32 s59, 25
	s_mov_b32 s1, 0
	s_cbranch_scc0 .LBB95_4956
; %bb.4950:
	s_cmp_gt_i32 s59, 28
	s_cbranch_scc0 .LBB95_4957
; %bb.4951:
	s_cmp_gt_i32 s59, 43
	;; [unrolled: 3-line block ×3, first 2 shown]
	s_cbranch_scc0 .LBB95_4960
; %bb.4953:
	s_cmp_eq_u32 s59, 46
	s_mov_b32 s22, 0
	s_cbranch_scc0 .LBB95_4961
; %bb.4954:
	global_load_b32 v1, v[22:23], off
	s_mov_b32 s0, 0
	s_mov_b32 s9, -1
	s_wait_loadcnt 0x0
	v_lshlrev_b32_e32 v1, 16, v1
	s_delay_alu instid0(VALU_DEP_1) | instskip(NEXT) | instid1(VALU_DEP_1)
	v_trunc_f32_e32 v1, v1
	v_mul_f32_e64 v3, 0x2f800000, |v1|
	s_wait_xcnt 0x1
	v_ashrrev_i32_e32 v32, 31, v1
	s_delay_alu instid0(VALU_DEP_2) | instskip(NEXT) | instid1(VALU_DEP_2)
	v_floor_f32_e32 v3, v3
	v_mov_b32_e32 v33, v32
	s_delay_alu instid0(VALU_DEP_2) | instskip(SKIP_1) | instid1(VALU_DEP_2)
	v_fma_f32 v5, 0xcf800000, v3, |v1|
	v_cvt_u32_f32_e32 v1, v3
	v_cvt_u32_f32_e32 v3, v5
	s_delay_alu instid0(VALU_DEP_2) | instskip(NEXT) | instid1(VALU_DEP_2)
	v_xor_b32_e32 v35, v1, v32
	v_xor_b32_e32 v34, v3, v32
	s_delay_alu instid0(VALU_DEP_1)
	v_sub_nc_u64_e32 v[32:33], v[34:35], v[32:33]
	s_branch .LBB95_4963
.LBB95_4955:
	s_mov_b32 s0, -1
	s_mov_b32 s9, 0
                                        ; implicit-def: $vgpr32_vgpr33
	s_branch .LBB95_5025
.LBB95_4956:
	s_mov_b32 s22, -1
	s_mov_b32 s9, 0
	s_mov_b32 s0, 0
                                        ; implicit-def: $vgpr32_vgpr33
	s_branch .LBB95_4990
.LBB95_4957:
	s_mov_b32 s22, -1
	s_mov_b32 s9, 0
	s_mov_b32 s0, 0
                                        ; implicit-def: $vgpr32_vgpr33
	s_branch .LBB95_4973
.LBB95_4958:
	s_mov_b32 s22, -1
	s_mov_b32 s9, 0
	s_mov_b32 s0, 0
                                        ; implicit-def: $vgpr32_vgpr33
	s_branch .LBB95_4968
.LBB95_4959:
	s_or_b32 s54, s54, exec_lo
	s_trap 2
	s_cbranch_execz .LBB95_4896
	s_branch .LBB95_4897
.LBB95_4960:
	s_mov_b32 s22, -1
	s_mov_b32 s9, 0
	s_mov_b32 s0, 0
	s_branch .LBB95_4962
.LBB95_4961:
	s_mov_b32 s0, -1
	s_mov_b32 s9, 0
.LBB95_4962:
                                        ; implicit-def: $vgpr32_vgpr33
.LBB95_4963:
	s_and_b32 vcc_lo, exec_lo, s22
	s_cbranch_vccz .LBB95_4967
; %bb.4964:
	s_cmp_eq_u32 s59, 44
	s_cbranch_scc0 .LBB95_4966
; %bb.4965:
	global_load_u8 v1, v[22:23], off
	s_mov_b32 s0, 0
	s_mov_b32 s9, -1
	s_wait_loadcnt 0x0
	v_lshlrev_b32_e32 v3, 23, v1
	v_cmp_ne_u32_e32 vcc_lo, 0, v1
	s_delay_alu instid0(VALU_DEP_2) | instskip(NEXT) | instid1(VALU_DEP_1)
	v_trunc_f32_e32 v3, v3
	v_mul_f32_e64 v5, 0x2f800000, |v3|
	s_wait_xcnt 0x1
	v_ashrrev_i32_e32 v32, 31, v3
	s_delay_alu instid0(VALU_DEP_2) | instskip(NEXT) | instid1(VALU_DEP_2)
	v_floor_f32_e32 v5, v5
	v_mov_b32_e32 v33, v32
	s_delay_alu instid0(VALU_DEP_2) | instskip(SKIP_1) | instid1(VALU_DEP_2)
	v_fma_f32 v7, 0xcf800000, v5, |v3|
	v_cvt_u32_f32_e32 v3, v5
	v_cvt_u32_f32_e32 v5, v7
	s_delay_alu instid0(VALU_DEP_2) | instskip(NEXT) | instid1(VALU_DEP_2)
	v_xor_b32_e32 v35, v3, v32
	v_xor_b32_e32 v34, v5, v32
	s_delay_alu instid0(VALU_DEP_1) | instskip(NEXT) | instid1(VALU_DEP_1)
	v_sub_nc_u64_e32 v[32:33], v[34:35], v[32:33]
	v_dual_cndmask_b32 v33, 0, v33 :: v_dual_cndmask_b32 v32, 0, v32
	s_branch .LBB95_4967
.LBB95_4966:
	s_mov_b32 s0, -1
                                        ; implicit-def: $vgpr32_vgpr33
.LBB95_4967:
	s_mov_b32 s22, 0
.LBB95_4968:
	s_delay_alu instid0(SALU_CYCLE_1)
	s_and_b32 vcc_lo, exec_lo, s22
	s_cbranch_vccz .LBB95_4972
; %bb.4969:
	s_cmp_eq_u32 s59, 29
	s_cbranch_scc0 .LBB95_4971
; %bb.4970:
	global_load_b64 v[32:33], v[22:23], off
	s_mov_b32 s0, 0
	s_mov_b32 s9, -1
	s_branch .LBB95_4972
.LBB95_4971:
	s_mov_b32 s0, -1
                                        ; implicit-def: $vgpr32_vgpr33
.LBB95_4972:
	s_mov_b32 s22, 0
.LBB95_4973:
	s_delay_alu instid0(SALU_CYCLE_1)
	s_and_b32 vcc_lo, exec_lo, s22
	s_cbranch_vccz .LBB95_4989
; %bb.4974:
	s_cmp_lt_i32 s59, 27
	s_cbranch_scc1 .LBB95_4977
; %bb.4975:
	s_cmp_gt_i32 s59, 27
	s_cbranch_scc0 .LBB95_4978
; %bb.4976:
	s_wait_loadcnt 0x0
	global_load_b32 v32, v[22:23], off
	v_mov_b32_e32 v33, 0
	s_mov_b32 s9, 0
	s_branch .LBB95_4979
.LBB95_4977:
	s_mov_b32 s9, -1
                                        ; implicit-def: $vgpr32_vgpr33
	s_branch .LBB95_4982
.LBB95_4978:
	s_mov_b32 s9, -1
                                        ; implicit-def: $vgpr32_vgpr33
.LBB95_4979:
	s_delay_alu instid0(SALU_CYCLE_1)
	s_and_not1_b32 vcc_lo, exec_lo, s9
	s_cbranch_vccnz .LBB95_4981
; %bb.4980:
	global_load_u16 v1, v[22:23], off
	s_mov_b32 s9, 0
	s_wait_loadcnt 0x1
	s_wait_xcnt 0x1
	v_mov_b32_e32 v33, s9
	s_wait_loadcnt 0x0
	v_and_b32_e32 v32, 0xffff, v1
.LBB95_4981:
	s_mov_b32 s9, 0
.LBB95_4982:
	s_delay_alu instid0(SALU_CYCLE_1)
	s_and_not1_b32 vcc_lo, exec_lo, s9
	s_cbranch_vccnz .LBB95_4988
; %bb.4983:
	global_load_u8 v1, v[22:23], off
	s_mov_b32 s22, 0
	s_mov_b32 s9, exec_lo
	s_wait_loadcnt 0x0
	v_cmpx_lt_i16_e32 0x7f, v1
	s_xor_b32 s9, exec_lo, s9
	s_cbranch_execz .LBB95_5000
; %bb.4984:
	v_cmp_ne_u16_e32 vcc_lo, 0x80, v1
	s_and_b32 s22, vcc_lo, exec_lo
	s_and_not1_saveexec_b32 s9, s9
	s_cbranch_execnz .LBB95_5001
.LBB95_4985:
	s_or_b32 exec_lo, exec_lo, s9
	v_mov_b64_e32 v[32:33], 0
	s_and_saveexec_b32 s9, s22
	s_cbranch_execz .LBB95_4987
.LBB95_4986:
	v_and_b32_e32 v3, 0xffff, v1
	s_delay_alu instid0(VALU_DEP_1) | instskip(SKIP_1) | instid1(VALU_DEP_2)
	v_dual_lshlrev_b32 v1, 24, v1 :: v_dual_bitop2_b32 v5, 7, v3 bitop3:0x40
	v_bfe_u32 v15, v3, 3, 4
	v_and_b32_e32 v1, 0x80000000, v1
	s_delay_alu instid0(VALU_DEP_3) | instskip(NEXT) | instid1(VALU_DEP_3)
	v_clz_i32_u32_e32 v7, v5
	v_cmp_eq_u32_e32 vcc_lo, 0, v15
	s_delay_alu instid0(VALU_DEP_2) | instskip(NEXT) | instid1(VALU_DEP_1)
	v_min_u32_e32 v7, 32, v7
	v_subrev_nc_u32_e32 v11, 28, v7
	v_sub_nc_u32_e32 v7, 29, v7
	s_delay_alu instid0(VALU_DEP_2) | instskip(NEXT) | instid1(VALU_DEP_2)
	v_lshlrev_b32_e32 v3, v11, v3
	v_cndmask_b32_e32 v7, v15, v7, vcc_lo
	s_delay_alu instid0(VALU_DEP_2) | instskip(NEXT) | instid1(VALU_DEP_1)
	v_and_b32_e32 v3, 7, v3
	v_cndmask_b32_e32 v3, v5, v3, vcc_lo
	s_delay_alu instid0(VALU_DEP_3) | instskip(NEXT) | instid1(VALU_DEP_2)
	v_lshl_add_u32 v5, v7, 23, 0x3b800000
	v_lshlrev_b32_e32 v3, 20, v3
	s_delay_alu instid0(VALU_DEP_1) | instskip(NEXT) | instid1(VALU_DEP_1)
	v_or3_b32 v1, v1, v5, v3
	v_trunc_f32_e32 v1, v1
	s_delay_alu instid0(VALU_DEP_1) | instskip(SKIP_1) | instid1(VALU_DEP_2)
	v_mul_f32_e64 v3, 0x2f800000, |v1|
	v_ashrrev_i32_e32 v32, 31, v1
	v_floor_f32_e32 v3, v3
	s_delay_alu instid0(VALU_DEP_2) | instskip(NEXT) | instid1(VALU_DEP_2)
	v_mov_b32_e32 v33, v32
	v_fma_f32 v5, 0xcf800000, v3, |v1|
	v_cvt_u32_f32_e32 v1, v3
	s_delay_alu instid0(VALU_DEP_2) | instskip(NEXT) | instid1(VALU_DEP_2)
	v_cvt_u32_f32_e32 v3, v5
	v_xor_b32_e32 v35, v1, v32
	s_delay_alu instid0(VALU_DEP_2) | instskip(NEXT) | instid1(VALU_DEP_1)
	v_xor_b32_e32 v34, v3, v32
	v_sub_nc_u64_e32 v[32:33], v[34:35], v[32:33]
.LBB95_4987:
	s_or_b32 exec_lo, exec_lo, s9
.LBB95_4988:
	s_mov_b32 s9, -1
.LBB95_4989:
	s_mov_b32 s22, 0
.LBB95_4990:
	s_delay_alu instid0(SALU_CYCLE_1)
	s_and_b32 vcc_lo, exec_lo, s22
	s_cbranch_vccz .LBB95_5021
; %bb.4991:
	s_cmp_gt_i32 s59, 22
	s_cbranch_scc0 .LBB95_4999
; %bb.4992:
	s_cmp_lt_i32 s59, 24
	s_cbranch_scc1 .LBB95_5002
; %bb.4993:
	s_cmp_gt_i32 s59, 24
	s_cbranch_scc0 .LBB95_5003
; %bb.4994:
	global_load_u8 v1, v[22:23], off
	s_mov_b32 s9, 0
	s_mov_b32 s1, exec_lo
	s_wait_loadcnt 0x0
	v_cmpx_lt_i16_e32 0x7f, v1
	s_xor_b32 s1, exec_lo, s1
	s_cbranch_execz .LBB95_5015
; %bb.4995:
	v_cmp_ne_u16_e32 vcc_lo, 0x80, v1
	s_and_b32 s9, vcc_lo, exec_lo
	s_and_not1_saveexec_b32 s1, s1
	s_cbranch_execnz .LBB95_5016
.LBB95_4996:
	s_or_b32 exec_lo, exec_lo, s1
	v_mov_b64_e32 v[32:33], 0
	s_and_saveexec_b32 s1, s9
	s_cbranch_execz .LBB95_4998
.LBB95_4997:
	v_and_b32_e32 v3, 0xffff, v1
	s_delay_alu instid0(VALU_DEP_1) | instskip(SKIP_1) | instid1(VALU_DEP_2)
	v_dual_lshlrev_b32 v1, 24, v1 :: v_dual_bitop2_b32 v5, 3, v3 bitop3:0x40
	v_bfe_u32 v15, v3, 2, 5
	v_and_b32_e32 v1, 0x80000000, v1
	s_delay_alu instid0(VALU_DEP_3) | instskip(NEXT) | instid1(VALU_DEP_3)
	v_clz_i32_u32_e32 v7, v5
	v_cmp_eq_u32_e32 vcc_lo, 0, v15
	s_delay_alu instid0(VALU_DEP_2) | instskip(NEXT) | instid1(VALU_DEP_1)
	v_min_u32_e32 v7, 32, v7
	v_subrev_nc_u32_e32 v11, 29, v7
	v_sub_nc_u32_e32 v7, 30, v7
	s_delay_alu instid0(VALU_DEP_2) | instskip(NEXT) | instid1(VALU_DEP_2)
	v_lshlrev_b32_e32 v3, v11, v3
	v_cndmask_b32_e32 v7, v15, v7, vcc_lo
	s_delay_alu instid0(VALU_DEP_2) | instskip(NEXT) | instid1(VALU_DEP_1)
	v_and_b32_e32 v3, 3, v3
	v_cndmask_b32_e32 v3, v5, v3, vcc_lo
	s_delay_alu instid0(VALU_DEP_3) | instskip(NEXT) | instid1(VALU_DEP_2)
	v_lshl_add_u32 v5, v7, 23, 0x37800000
	v_lshlrev_b32_e32 v3, 21, v3
	s_delay_alu instid0(VALU_DEP_1) | instskip(NEXT) | instid1(VALU_DEP_1)
	v_or3_b32 v1, v1, v5, v3
	v_trunc_f32_e32 v1, v1
	s_delay_alu instid0(VALU_DEP_1) | instskip(SKIP_1) | instid1(VALU_DEP_2)
	v_mul_f32_e64 v3, 0x2f800000, |v1|
	v_ashrrev_i32_e32 v32, 31, v1
	v_floor_f32_e32 v3, v3
	s_delay_alu instid0(VALU_DEP_2) | instskip(NEXT) | instid1(VALU_DEP_2)
	v_mov_b32_e32 v33, v32
	v_fma_f32 v5, 0xcf800000, v3, |v1|
	v_cvt_u32_f32_e32 v1, v3
	s_delay_alu instid0(VALU_DEP_2) | instskip(NEXT) | instid1(VALU_DEP_2)
	v_cvt_u32_f32_e32 v3, v5
	v_xor_b32_e32 v35, v1, v32
	s_delay_alu instid0(VALU_DEP_2) | instskip(NEXT) | instid1(VALU_DEP_1)
	v_xor_b32_e32 v34, v3, v32
	v_sub_nc_u64_e32 v[32:33], v[34:35], v[32:33]
.LBB95_4998:
	s_or_b32 exec_lo, exec_lo, s1
	s_mov_b32 s1, 0
	s_branch .LBB95_5004
.LBB95_4999:
	s_mov_b32 s1, -1
                                        ; implicit-def: $vgpr32_vgpr33
	s_branch .LBB95_5010
.LBB95_5000:
	s_and_not1_saveexec_b32 s9, s9
	s_cbranch_execz .LBB95_4985
.LBB95_5001:
	v_cmp_ne_u16_e32 vcc_lo, 0, v1
	s_and_not1_b32 s22, s22, exec_lo
	s_and_b32 s23, vcc_lo, exec_lo
	s_delay_alu instid0(SALU_CYCLE_1)
	s_or_b32 s22, s22, s23
	s_or_b32 exec_lo, exec_lo, s9
	v_mov_b64_e32 v[32:33], 0
	s_and_saveexec_b32 s9, s22
	s_cbranch_execnz .LBB95_4986
	s_branch .LBB95_4987
.LBB95_5002:
	s_mov_b32 s1, -1
                                        ; implicit-def: $vgpr32_vgpr33
	s_branch .LBB95_5007
.LBB95_5003:
	s_mov_b32 s1, -1
                                        ; implicit-def: $vgpr32_vgpr33
.LBB95_5004:
	s_delay_alu instid0(SALU_CYCLE_1)
	s_and_b32 vcc_lo, exec_lo, s1
	s_cbranch_vccz .LBB95_5006
; %bb.5005:
	global_load_u8 v1, v[22:23], off
	s_wait_loadcnt 0x0
	v_lshlrev_b32_e32 v1, 24, v1
	s_delay_alu instid0(VALU_DEP_1) | instskip(NEXT) | instid1(VALU_DEP_1)
	v_and_b32_e32 v3, 0x7f000000, v1
	v_clz_i32_u32_e32 v5, v3
	v_add_nc_u32_e32 v11, 0x1000000, v3
	v_cmp_ne_u32_e32 vcc_lo, 0, v3
	s_delay_alu instid0(VALU_DEP_3) | instskip(NEXT) | instid1(VALU_DEP_1)
	v_min_u32_e32 v5, 32, v5
	v_sub_nc_u32_e64 v5, v5, 4 clamp
	s_delay_alu instid0(VALU_DEP_1) | instskip(NEXT) | instid1(VALU_DEP_1)
	v_dual_lshlrev_b32 v7, v5, v3 :: v_dual_lshlrev_b32 v5, 23, v5
	v_lshrrev_b32_e32 v7, 4, v7
	s_delay_alu instid0(VALU_DEP_1) | instskip(NEXT) | instid1(VALU_DEP_1)
	v_dual_sub_nc_u32 v5, v7, v5 :: v_dual_ashrrev_i32 v7, 8, v11
	v_add_nc_u32_e32 v5, 0x3c000000, v5
	s_delay_alu instid0(VALU_DEP_1) | instskip(NEXT) | instid1(VALU_DEP_1)
	v_and_or_b32 v5, 0x7f800000, v7, v5
	v_cndmask_b32_e32 v3, 0, v5, vcc_lo
	s_delay_alu instid0(VALU_DEP_1) | instskip(NEXT) | instid1(VALU_DEP_1)
	v_and_or_b32 v1, 0x80000000, v1, v3
	v_trunc_f32_e32 v1, v1
	s_delay_alu instid0(VALU_DEP_1) | instskip(SKIP_2) | instid1(VALU_DEP_2)
	v_mul_f32_e64 v3, 0x2f800000, |v1|
	s_wait_xcnt 0x1
	v_ashrrev_i32_e32 v32, 31, v1
	v_floor_f32_e32 v3, v3
	s_delay_alu instid0(VALU_DEP_2) | instskip(NEXT) | instid1(VALU_DEP_2)
	v_mov_b32_e32 v33, v32
	v_fma_f32 v5, 0xcf800000, v3, |v1|
	v_cvt_u32_f32_e32 v1, v3
	s_delay_alu instid0(VALU_DEP_2) | instskip(NEXT) | instid1(VALU_DEP_2)
	v_cvt_u32_f32_e32 v3, v5
	v_xor_b32_e32 v35, v1, v32
	s_delay_alu instid0(VALU_DEP_2) | instskip(NEXT) | instid1(VALU_DEP_1)
	v_xor_b32_e32 v34, v3, v32
	v_sub_nc_u64_e32 v[32:33], v[34:35], v[32:33]
.LBB95_5006:
	s_mov_b32 s1, 0
.LBB95_5007:
	s_delay_alu instid0(SALU_CYCLE_1)
	s_and_not1_b32 vcc_lo, exec_lo, s1
	s_cbranch_vccnz .LBB95_5009
; %bb.5008:
	global_load_u8 v1, v[22:23], off
	s_wait_loadcnt 0x0
	v_lshlrev_b32_e32 v3, 25, v1
	v_lshlrev_b16 v1, 8, v1
	s_delay_alu instid0(VALU_DEP_1) | instskip(SKIP_1) | instid1(VALU_DEP_2)
	v_and_or_b32 v7, 0x7f00, v1, 0.5
	v_bfe_i32 v1, v1, 0, 16
	v_add_f32_e32 v7, -0.5, v7
	v_lshrrev_b32_e32 v5, 4, v3
	v_cmp_gt_u32_e32 vcc_lo, 0x8000000, v3
	s_delay_alu instid0(VALU_DEP_2) | instskip(NEXT) | instid1(VALU_DEP_1)
	v_or_b32_e32 v5, 0x70000000, v5
	v_mul_f32_e32 v5, 0x7800000, v5
	s_delay_alu instid0(VALU_DEP_1) | instskip(NEXT) | instid1(VALU_DEP_1)
	v_cndmask_b32_e32 v3, v5, v7, vcc_lo
	v_and_or_b32 v1, 0x80000000, v1, v3
	s_delay_alu instid0(VALU_DEP_1) | instskip(NEXT) | instid1(VALU_DEP_1)
	v_trunc_f32_e32 v1, v1
	v_mul_f32_e64 v3, 0x2f800000, |v1|
	s_wait_xcnt 0x1
	v_ashrrev_i32_e32 v32, 31, v1
	s_delay_alu instid0(VALU_DEP_2) | instskip(NEXT) | instid1(VALU_DEP_2)
	v_floor_f32_e32 v3, v3
	v_mov_b32_e32 v33, v32
	s_delay_alu instid0(VALU_DEP_2) | instskip(SKIP_1) | instid1(VALU_DEP_2)
	v_fma_f32 v5, 0xcf800000, v3, |v1|
	v_cvt_u32_f32_e32 v1, v3
	v_cvt_u32_f32_e32 v3, v5
	s_delay_alu instid0(VALU_DEP_2) | instskip(NEXT) | instid1(VALU_DEP_2)
	v_xor_b32_e32 v35, v1, v32
	v_xor_b32_e32 v34, v3, v32
	s_delay_alu instid0(VALU_DEP_1)
	v_sub_nc_u64_e32 v[32:33], v[34:35], v[32:33]
.LBB95_5009:
	s_mov_b32 s1, 0
	s_mov_b32 s9, -1
.LBB95_5010:
	s_and_not1_b32 vcc_lo, exec_lo, s1
	s_mov_b32 s1, 0
	s_cbranch_vccnz .LBB95_5021
; %bb.5011:
	s_cmp_gt_i32 s59, 14
	s_cbranch_scc0 .LBB95_5014
; %bb.5012:
	s_cmp_eq_u32 s59, 15
	s_cbranch_scc0 .LBB95_5017
; %bb.5013:
	global_load_u16 v1, v[22:23], off
	s_mov_b32 s0, 0
	s_mov_b32 s9, -1
	s_wait_loadcnt 0x0
	v_lshlrev_b32_e32 v1, 16, v1
	s_delay_alu instid0(VALU_DEP_1) | instskip(NEXT) | instid1(VALU_DEP_1)
	v_trunc_f32_e32 v1, v1
	v_mul_f32_e64 v3, 0x2f800000, |v1|
	s_wait_xcnt 0x1
	v_ashrrev_i32_e32 v32, 31, v1
	s_delay_alu instid0(VALU_DEP_2) | instskip(NEXT) | instid1(VALU_DEP_2)
	v_floor_f32_e32 v3, v3
	v_mov_b32_e32 v33, v32
	s_delay_alu instid0(VALU_DEP_2) | instskip(SKIP_1) | instid1(VALU_DEP_2)
	v_fma_f32 v5, 0xcf800000, v3, |v1|
	v_cvt_u32_f32_e32 v1, v3
	v_cvt_u32_f32_e32 v3, v5
	s_delay_alu instid0(VALU_DEP_2) | instskip(NEXT) | instid1(VALU_DEP_2)
	v_xor_b32_e32 v35, v1, v32
	v_xor_b32_e32 v34, v3, v32
	s_delay_alu instid0(VALU_DEP_1)
	v_sub_nc_u64_e32 v[32:33], v[34:35], v[32:33]
	s_branch .LBB95_5019
.LBB95_5014:
	s_mov_b32 s1, -1
	s_branch .LBB95_5018
.LBB95_5015:
	s_and_not1_saveexec_b32 s1, s1
	s_cbranch_execz .LBB95_4996
.LBB95_5016:
	v_cmp_ne_u16_e32 vcc_lo, 0, v1
	s_and_not1_b32 s9, s9, exec_lo
	s_and_b32 s22, vcc_lo, exec_lo
	s_delay_alu instid0(SALU_CYCLE_1)
	s_or_b32 s9, s9, s22
	s_or_b32 exec_lo, exec_lo, s1
	v_mov_b64_e32 v[32:33], 0
	s_and_saveexec_b32 s1, s9
	s_cbranch_execnz .LBB95_4997
	s_branch .LBB95_4998
.LBB95_5017:
	s_mov_b32 s0, -1
.LBB95_5018:
                                        ; implicit-def: $vgpr32_vgpr33
.LBB95_5019:
	s_and_b32 vcc_lo, exec_lo, s1
	s_mov_b32 s1, 0
	s_cbranch_vccz .LBB95_5021
; %bb.5020:
	s_cmp_lg_u32 s59, 11
	s_mov_b32 s1, -1
	s_cselect_b32 s0, -1, 0
.LBB95_5021:
	s_delay_alu instid0(SALU_CYCLE_1)
	s_and_b32 vcc_lo, exec_lo, s0
	s_cbranch_vccnz .LBB95_5109
; %bb.5022:
	s_and_not1_b32 vcc_lo, exec_lo, s1
	s_cbranch_vccnz .LBB95_5024
.LBB95_5023:
	global_load_u8 v1, v[22:23], off
	s_mov_b32 s0, 0
	s_mov_b32 s9, -1
	s_wait_loadcnt 0x1
	s_wait_xcnt 0x1
	v_mov_b32_e32 v33, s0
	s_wait_loadcnt 0x0
	v_cmp_ne_u16_e32 vcc_lo, 0, v1
	v_cndmask_b32_e64 v32, 0, 1, vcc_lo
.LBB95_5024:
	s_mov_b32 s0, 0
.LBB95_5025:
	s_delay_alu instid0(SALU_CYCLE_1)
	s_and_b32 vcc_lo, exec_lo, s0
	s_cbranch_vccz .LBB95_5074
; %bb.5026:
	s_cmp_lt_i32 s59, 5
	s_cbranch_scc1 .LBB95_5031
; %bb.5027:
	s_cmp_lt_i32 s59, 8
	s_cbranch_scc1 .LBB95_5032
	;; [unrolled: 3-line block ×3, first 2 shown]
; %bb.5029:
	s_cmp_gt_i32 s59, 9
	s_cbranch_scc0 .LBB95_5034
; %bb.5030:
	s_wait_loadcnt 0x0
	global_load_b64 v[32:33], v[22:23], off
	s_mov_b32 s0, 0
	s_wait_loadcnt 0x0
	v_trunc_f64_e32 v[32:33], v[32:33]
	s_delay_alu instid0(VALU_DEP_1) | instskip(NEXT) | instid1(VALU_DEP_1)
	v_ldexp_f64 v[34:35], v[32:33], 0xffffffe0
	v_floor_f64_e32 v[34:35], v[34:35]
	s_delay_alu instid0(VALU_DEP_1) | instskip(SKIP_1) | instid1(VALU_DEP_2)
	v_fmamk_f64 v[36:37], v[34:35], 0xc1f00000, v[32:33]
	v_cvt_i32_f64_e32 v33, v[34:35]
	v_cvt_u32_f64_e32 v32, v[36:37]
	s_branch .LBB95_5035
.LBB95_5031:
	s_mov_b32 s0, -1
                                        ; implicit-def: $vgpr32_vgpr33
	s_branch .LBB95_5053
.LBB95_5032:
	s_mov_b32 s0, -1
                                        ; implicit-def: $vgpr32_vgpr33
	s_branch .LBB95_5041
.LBB95_5033:
	s_mov_b32 s0, -1
                                        ; implicit-def: $vgpr32_vgpr33
	s_branch .LBB95_5038
.LBB95_5034:
	s_mov_b32 s0, -1
                                        ; implicit-def: $vgpr32_vgpr33
.LBB95_5035:
	s_delay_alu instid0(SALU_CYCLE_1)
	s_and_not1_b32 vcc_lo, exec_lo, s0
	s_cbranch_vccnz .LBB95_5037
; %bb.5036:
	global_load_b32 v1, v[22:23], off
	s_wait_loadcnt 0x0
	v_trunc_f32_e32 v1, v1
	s_delay_alu instid0(VALU_DEP_1) | instskip(SKIP_2) | instid1(VALU_DEP_2)
	v_mul_f32_e64 v3, 0x2f800000, |v1|
	s_wait_xcnt 0x1
	v_ashrrev_i32_e32 v32, 31, v1
	v_floor_f32_e32 v3, v3
	s_delay_alu instid0(VALU_DEP_1) | instskip(SKIP_1) | instid1(VALU_DEP_4)
	v_fma_f32 v5, 0xcf800000, v3, |v1|
	v_cvt_u32_f32_e32 v1, v3
	v_mov_b32_e32 v33, v32
	s_delay_alu instid0(VALU_DEP_3) | instskip(NEXT) | instid1(VALU_DEP_3)
	v_cvt_u32_f32_e32 v3, v5
	v_xor_b32_e32 v35, v1, v32
	s_delay_alu instid0(VALU_DEP_2) | instskip(NEXT) | instid1(VALU_DEP_1)
	v_xor_b32_e32 v34, v3, v32
	v_sub_nc_u64_e32 v[32:33], v[34:35], v[32:33]
.LBB95_5037:
	s_mov_b32 s0, 0
.LBB95_5038:
	s_delay_alu instid0(SALU_CYCLE_1)
	s_and_not1_b32 vcc_lo, exec_lo, s0
	s_cbranch_vccnz .LBB95_5040
; %bb.5039:
	global_load_b32 v1, v[22:23], off
	s_wait_loadcnt 0x0
	v_cvt_f32_f16_e32 v1, v1
	s_wait_xcnt 0x1
	s_delay_alu instid0(VALU_DEP_1) | instskip(NEXT) | instid1(VALU_DEP_1)
	v_cvt_i32_f32_e32 v32, v1
	v_ashrrev_i32_e32 v33, 31, v32
.LBB95_5040:
	s_mov_b32 s0, 0
.LBB95_5041:
	s_delay_alu instid0(SALU_CYCLE_1)
	s_and_not1_b32 vcc_lo, exec_lo, s0
	s_cbranch_vccnz .LBB95_5052
; %bb.5042:
	s_cmp_lt_i32 s59, 6
	s_cbranch_scc1 .LBB95_5045
; %bb.5043:
	s_cmp_gt_i32 s59, 6
	s_cbranch_scc0 .LBB95_5046
; %bb.5044:
	s_wait_loadcnt 0x0
	global_load_b64 v[32:33], v[22:23], off
	s_mov_b32 s0, 0
	s_wait_loadcnt 0x0
	v_trunc_f64_e32 v[32:33], v[32:33]
	s_delay_alu instid0(VALU_DEP_1) | instskip(NEXT) | instid1(VALU_DEP_1)
	v_ldexp_f64 v[34:35], v[32:33], 0xffffffe0
	v_floor_f64_e32 v[34:35], v[34:35]
	s_delay_alu instid0(VALU_DEP_1) | instskip(SKIP_1) | instid1(VALU_DEP_2)
	v_fmamk_f64 v[36:37], v[34:35], 0xc1f00000, v[32:33]
	v_cvt_i32_f64_e32 v33, v[34:35]
	v_cvt_u32_f64_e32 v32, v[36:37]
	s_branch .LBB95_5047
.LBB95_5045:
	s_mov_b32 s0, -1
                                        ; implicit-def: $vgpr32_vgpr33
	s_branch .LBB95_5050
.LBB95_5046:
	s_mov_b32 s0, -1
                                        ; implicit-def: $vgpr32_vgpr33
.LBB95_5047:
	s_delay_alu instid0(SALU_CYCLE_1)
	s_and_not1_b32 vcc_lo, exec_lo, s0
	s_cbranch_vccnz .LBB95_5049
; %bb.5048:
	global_load_b32 v1, v[22:23], off
	s_wait_loadcnt 0x0
	v_trunc_f32_e32 v1, v1
	s_delay_alu instid0(VALU_DEP_1) | instskip(SKIP_2) | instid1(VALU_DEP_2)
	v_mul_f32_e64 v3, 0x2f800000, |v1|
	s_wait_xcnt 0x1
	v_ashrrev_i32_e32 v32, 31, v1
	v_floor_f32_e32 v3, v3
	s_delay_alu instid0(VALU_DEP_1) | instskip(SKIP_1) | instid1(VALU_DEP_4)
	v_fma_f32 v5, 0xcf800000, v3, |v1|
	v_cvt_u32_f32_e32 v1, v3
	v_mov_b32_e32 v33, v32
	s_delay_alu instid0(VALU_DEP_3) | instskip(NEXT) | instid1(VALU_DEP_3)
	v_cvt_u32_f32_e32 v3, v5
	v_xor_b32_e32 v35, v1, v32
	s_delay_alu instid0(VALU_DEP_2) | instskip(NEXT) | instid1(VALU_DEP_1)
	v_xor_b32_e32 v34, v3, v32
	v_sub_nc_u64_e32 v[32:33], v[34:35], v[32:33]
.LBB95_5049:
	s_mov_b32 s0, 0
.LBB95_5050:
	s_delay_alu instid0(SALU_CYCLE_1)
	s_and_not1_b32 vcc_lo, exec_lo, s0
	s_cbranch_vccnz .LBB95_5052
; %bb.5051:
	global_load_u16 v1, v[22:23], off
	s_wait_loadcnt 0x0
	v_cvt_f32_f16_e32 v1, v1
	s_wait_xcnt 0x1
	s_delay_alu instid0(VALU_DEP_1) | instskip(NEXT) | instid1(VALU_DEP_1)
	v_cvt_i32_f32_e32 v32, v1
	v_ashrrev_i32_e32 v33, 31, v32
.LBB95_5052:
	s_mov_b32 s0, 0
.LBB95_5053:
	s_delay_alu instid0(SALU_CYCLE_1)
	s_and_not1_b32 vcc_lo, exec_lo, s0
	s_cbranch_vccnz .LBB95_5073
; %bb.5054:
	s_cmp_lt_i32 s59, 2
	s_cbranch_scc1 .LBB95_5058
; %bb.5055:
	s_cmp_lt_i32 s59, 3
	s_cbranch_scc1 .LBB95_5059
; %bb.5056:
	s_cmp_gt_i32 s59, 3
	s_cbranch_scc0 .LBB95_5060
; %bb.5057:
	s_wait_loadcnt 0x0
	global_load_b64 v[32:33], v[22:23], off
	s_mov_b32 s0, 0
	s_branch .LBB95_5061
.LBB95_5058:
	s_mov_b32 s0, -1
                                        ; implicit-def: $vgpr32_vgpr33
	s_branch .LBB95_5067
.LBB95_5059:
	s_mov_b32 s0, -1
                                        ; implicit-def: $vgpr32_vgpr33
	s_branch .LBB95_5064
.LBB95_5060:
	s_mov_b32 s0, -1
                                        ; implicit-def: $vgpr32_vgpr33
.LBB95_5061:
	s_delay_alu instid0(SALU_CYCLE_1)
	s_and_not1_b32 vcc_lo, exec_lo, s0
	s_cbranch_vccnz .LBB95_5063
; %bb.5062:
	s_wait_loadcnt 0x0
	global_load_b32 v32, v[22:23], off
	s_wait_loadcnt 0x0
	v_ashrrev_i32_e32 v33, 31, v32
.LBB95_5063:
	s_mov_b32 s0, 0
.LBB95_5064:
	s_delay_alu instid0(SALU_CYCLE_1)
	s_and_not1_b32 vcc_lo, exec_lo, s0
	s_cbranch_vccnz .LBB95_5066
; %bb.5065:
	global_load_u16 v1, v[22:23], off
	s_wait_loadcnt 0x0
	s_wait_xcnt 0x1
	v_bfe_i32 v32, v1, 0, 16
	s_delay_alu instid0(VALU_DEP_1)
	v_ashrrev_i32_e32 v33, 31, v32
.LBB95_5066:
	s_mov_b32 s0, 0
.LBB95_5067:
	s_delay_alu instid0(SALU_CYCLE_1)
	s_and_not1_b32 vcc_lo, exec_lo, s0
	s_cbranch_vccnz .LBB95_5073
; %bb.5068:
	s_cmp_gt_i32 s59, 0
	s_mov_b32 s0, 0
	s_cbranch_scc0 .LBB95_5070
; %bb.5069:
	global_load_i8 v1, v[22:23], off
	s_wait_loadcnt 0x0
	s_wait_xcnt 0x1
	v_bfe_i32 v32, v1, 0, 16
	s_delay_alu instid0(VALU_DEP_1)
	v_ashrrev_i32_e32 v33, 31, v32
	s_branch .LBB95_5071
.LBB95_5070:
	s_mov_b32 s0, -1
                                        ; implicit-def: $vgpr32_vgpr33
.LBB95_5071:
	s_delay_alu instid0(SALU_CYCLE_1)
	s_and_not1_b32 vcc_lo, exec_lo, s0
	s_cbranch_vccnz .LBB95_5073
; %bb.5072:
	global_load_u8 v1, v[22:23], off
	s_mov_b32 s0, 0
	s_wait_loadcnt 0x1
	s_wait_xcnt 0x1
	v_mov_b32_e32 v33, s0
	s_wait_loadcnt 0x0
	v_and_b32_e32 v32, 0xffff, v1
.LBB95_5073:
	s_mov_b32 s9, -1
.LBB95_5074:
	s_delay_alu instid0(SALU_CYCLE_1)
	s_and_not1_b32 vcc_lo, exec_lo, s9
	s_cbranch_vccnz .LBB95_5083
; %bb.5075:
	s_mov_b32 s0, exec_lo
	s_wait_loadcnt 0x0
	v_cmpx_ne_u64_e64 v[30:31], v[8:9]
	s_xor_b32 s0, exec_lo, s0
	s_cbranch_execnz .LBB95_5243
.LBB95_5076:
	s_or_saveexec_b32 s60, s0
	s_mov_b32 s1, 0
	s_mov_b32 s9, 0
                                        ; implicit-def: $vgpr42_vgpr43
                                        ; implicit-def: $sgpr0
	s_xor_b32 exec_lo, exec_lo, s60
	s_cbranch_execz .LBB95_5754
; %bb.5077:
	s_mov_b32 s61, s54
	s_mov_b32 s0, exec_lo
	v_cmpx_ne_u64_e64 v[28:29], v[12:13]
	s_xor_b32 s0, exec_lo, s0
	s_cbranch_execnz .LBB95_5371
; %bb.5078:
	s_or_saveexec_b32 s62, s0
                                        ; implicit-def: $vgpr42_vgpr43
                                        ; implicit-def: $sgpr0
	s_delay_alu instid0(SALU_CYCLE_1)
	s_xor_b32 exec_lo, exec_lo, s62
	s_cbranch_execz .LBB95_5753
.LBB95_5079:
	v_sub_nc_u64_e32 v[22:23], v[24:25], v[26:27]
	s_mov_b32 s63, s61
	s_delay_alu instid0(VALU_DEP_1) | instskip(SKIP_2) | instid1(SALU_CYCLE_1)
	v_cmp_gt_i64_e32 vcc_lo, v[8:9], v[22:23]
	v_cmp_lt_i64_e64 s0, s[18:19], v[22:23]
	s_or_b32 s0, vcc_lo, s0
	s_and_saveexec_b32 s1, s0
	s_delay_alu instid0(SALU_CYCLE_1)
	s_xor_b32 s0, exec_lo, s1
	s_cbranch_execnz .LBB95_5499
.LBB95_5080:
	s_or_saveexec_b32 s64, s0
	s_mov_b32 s1, 0
	s_mov_b32 s22, 0
                                        ; implicit-def: $vgpr42_vgpr43
                                        ; implicit-def: $sgpr0
	s_xor_b32 exec_lo, exec_lo, s64
	s_cbranch_execz .LBB95_5752
; %bb.5081:
	v_mov_b64_e32 v[22:23], 0
	s_and_saveexec_b32 s65, s46
	s_cbranch_execz .LBB95_5094
; %bb.5082:
	v_mul_u64_e32 v[30:31], v[32:33], v[12:13]
	s_mov_b32 s9, s1
	v_mov_b64_e32 v[22:23], 0
	s_lshl_b64 s[24:25], s[8:9], 3
	v_mov_b32_e32 v28, 0
	s_add_nc_u64 s[24:25], s[2:3], s[24:25]
	s_mov_b64 s[22:23], 0xffffffff
	s_add_nc_u64 s[24:25], s[24:25], 0x298
	s_mov_b32 s9, s44
	s_branch .LBB95_5090
.LBB95_5083:
	s_mov_b32 s1, 0
	s_mov_b32 s9, 0
                                        ; implicit-def: $vgpr42_vgpr43
                                        ; implicit-def: $sgpr0
.LBB95_5084:
	s_and_not1_b32 s2, s52, exec_lo
	s_and_b32 s3, s54, exec_lo
	s_and_b32 s9, s9, exec_lo
	;; [unrolled: 1-line block ×3, first 2 shown]
	s_or_b32 s52, s2, s3
.LBB95_5085:
	s_wait_xcnt 0x0
	s_or_b32 exec_lo, exec_lo, s53
	s_delay_alu instid0(SALU_CYCLE_1)
	s_and_not1_b32 s2, s50, exec_lo
	s_and_b32 s3, s52, exec_lo
	s_and_b32 s9, s9, exec_lo
	;; [unrolled: 1-line block ×3, first 2 shown]
	s_or_b32 s50, s2, s3
.LBB95_5086:
	s_or_b32 exec_lo, exec_lo, s51
	s_delay_alu instid0(SALU_CYCLE_1)
	s_and_not1_b32 s2, s48, exec_lo
	s_and_b32 s3, s50, exec_lo
	s_and_b32 s9, s9, exec_lo
	s_and_b32 s1, s1, exec_lo
	s_or_b32 s48, s2, s3
.LBB95_5087:
	s_or_b32 exec_lo, exec_lo, s49
	s_delay_alu instid0(SALU_CYCLE_1)
	s_and_not1_b32 s2, s43, exec_lo
	s_and_b32 s3, s48, exec_lo
	s_and_b32 s9, s9, exec_lo
	;; [unrolled: 1-line block ×3, first 2 shown]
	s_or_b32 s43, s2, s3
.LBB95_5088:
	s_or_b32 exec_lo, exec_lo, s47
	s_branch .LBB95_4418
.LBB95_5089:                            ;   in Loop: Header=BB95_5090 Depth=1
	s_or_b32 exec_lo, exec_lo, s0
	s_delay_alu instid0(VALU_DEP_1)
	v_mul_u64_e32 v[34:35], s[26:27], v[32:33]
	s_load_b64 s[26:27], s[24:25], 0x40
	s_add_co_i32 s9, s9, -1
	s_wait_xcnt 0x0
	s_add_nc_u64 s[24:25], s[24:25], -8
	s_cmp_eq_u32 s9, 0
	s_delay_alu instid0(VALU_DEP_1) | instskip(SKIP_1) | instid1(VALU_DEP_1)
	v_sub_nc_u64_e32 v[30:31], v[30:31], v[34:35]
	s_wait_kmcnt 0x0
	v_mad_nc_u64_u32 v[22:23], v30, s26, v[22:23]
	s_delay_alu instid0(VALU_DEP_1) | instskip(NEXT) | instid1(VALU_DEP_1)
	v_mad_u32 v1, v31, s26, v23
	v_mad_u32 v23, v30, s27, v1
	v_mov_b64_e32 v[30:31], v[32:33]
	s_cbranch_scc1 .LBB95_5094
.LBB95_5090:                            ; =>This Inner Loop Header: Depth=1
	s_load_b64 s[26:27], s[24:25], 0x0
                                        ; implicit-def: $vgpr32_vgpr33
	s_mov_b32 s0, exec_lo
	s_wait_kmcnt 0x0
	s_delay_alu instid0(VALU_DEP_1) | instskip(NEXT) | instid1(VALU_DEP_1)
	v_or_b32_e32 v29, s27, v31
	v_cmpx_ne_u64_e32 0, v[28:29]
	s_xor_b32 s66, exec_lo, s0
	s_cbranch_execz .LBB95_5092
; %bb.5091:                             ;   in Loop: Header=BB95_5090 Depth=1
	s_ashr_i32 s28, s27, 31
	v_dual_mov_b32 v37, v28 :: v_dual_ashrrev_i32 v32, 31, v31
	s_mov_b32 s29, s28
	v_mov_b32_e32 v45, v28
	s_add_nc_u64 s[30:31], s[26:27], s[28:29]
	s_delay_alu instid0(VALU_DEP_2) | instskip(SKIP_1) | instid1(SALU_CYCLE_1)
	v_mov_b32_e32 v33, v32
	s_xor_b64 s[30:31], s[30:31], s[28:29]
	s_cvt_f32_u32 s0, s30
	s_cvt_f32_u32 s29, s31
	s_sub_nc_u64 s[70:71], 0, s[30:31]
	v_add_nc_u64_e32 v[34:35], v[30:31], v[32:33]
	v_mov_b32_e32 v41, v28
	s_fmamk_f32 s0, s29, 0x4f800000, s0
	s_delay_alu instid0(SALU_CYCLE_3) | instskip(NEXT) | instid1(VALU_DEP_2)
	v_s_rcp_f32 s0, s0
	v_xor_b32_e32 v36, v34, v32
	s_delay_alu instid0(VALU_DEP_3) | instskip(SKIP_1) | instid1(TRANS32_DEP_1)
	v_xor_b32_e32 v40, v35, v32
	v_xor_b32_e32 v32, s28, v32
	s_mul_f32 s0, s0, 0x5f7ffffc
	s_delay_alu instid0(VALU_DEP_1) | instskip(NEXT) | instid1(SALU_CYCLE_2)
	v_mov_b32_e32 v33, v32
	s_mul_f32 s29, s0, 0x2f800000
	s_delay_alu instid0(SALU_CYCLE_3) | instskip(NEXT) | instid1(SALU_CYCLE_3)
	s_trunc_f32 s29, s29
	s_fmamk_f32 s0, s29, 0xcf800000, s0
	s_cvt_u32_f32 s69, s29
	s_delay_alu instid0(SALU_CYCLE_2) | instskip(NEXT) | instid1(SALU_CYCLE_3)
	s_cvt_u32_f32 s68, s0
	s_mul_u64 s[72:73], s[70:71], s[68:69]
	s_delay_alu instid0(SALU_CYCLE_1)
	s_mul_hi_u32 s75, s68, s73
	s_mul_i32 s74, s68, s73
	s_mul_hi_u32 s0, s68, s72
	s_mul_i32 s67, s69, s72
	s_add_nc_u64 s[74:75], s[0:1], s[74:75]
	s_mul_hi_u32 s29, s69, s72
	s_mul_hi_u32 s76, s69, s73
	s_add_co_u32 s0, s74, s67
	s_add_co_ci_u32 s0, s75, s29
	s_mul_i32 s72, s69, s73
	s_add_co_ci_u32 s73, s76, 0
	s_delay_alu instid0(SALU_CYCLE_1) | instskip(NEXT) | instid1(SALU_CYCLE_1)
	s_add_nc_u64 s[72:73], s[0:1], s[72:73]
	s_add_co_u32 s68, s68, s72
	s_cselect_b32 s0, -1, 0
	s_delay_alu instid0(SALU_CYCLE_1) | instskip(SKIP_1) | instid1(SALU_CYCLE_1)
	s_cmp_lg_u32 s0, 0
	s_add_co_ci_u32 s69, s69, s73
	s_mul_u64 s[70:71], s[70:71], s[68:69]
	s_delay_alu instid0(SALU_CYCLE_1)
	s_mul_hi_u32 s73, s68, s71
	s_mul_i32 s72, s68, s71
	s_mul_hi_u32 s0, s68, s70
	s_mul_i32 s67, s69, s70
	s_add_nc_u64 s[72:73], s[0:1], s[72:73]
	s_mul_hi_u32 s29, s69, s70
	s_mul_hi_u32 s74, s69, s71
	s_add_co_u32 s0, s72, s67
	s_add_co_ci_u32 s0, s73, s29
	s_mul_i32 s70, s69, s71
	s_add_co_ci_u32 s71, s74, 0
	s_delay_alu instid0(SALU_CYCLE_1) | instskip(NEXT) | instid1(SALU_CYCLE_1)
	s_add_nc_u64 s[70:71], s[0:1], s[70:71]
	s_add_co_u32 s68, s68, s70
	s_cselect_b32 s0, -1, 0
	v_mul_hi_u32 v44, v36, s68
	s_cmp_lg_u32 s0, 0
	s_add_co_ci_u32 s0, s69, s71
	s_and_b64 s[70:71], s[68:69], s[22:23]
	v_mul_u64_e32 v[38:39], s[0:1], v[36:37]
	v_mul_u64_e32 v[34:35], s[70:71], v[40:41]
	v_mul_u64_e32 v[42:43], s[0:1], v[40:41]
	s_delay_alu instid0(VALU_DEP_3) | instskip(NEXT) | instid1(VALU_DEP_1)
	v_add_nc_u64_e32 v[38:39], v[44:45], v[38:39]
	v_add_co_u32 v1, vcc_lo, v38, v34
	s_delay_alu instid0(VALU_DEP_2) | instskip(NEXT) | instid1(VALU_DEP_4)
	v_add_co_ci_u32_e32 v44, vcc_lo, v39, v35, vcc_lo
	v_add_co_ci_u32_e32 v43, vcc_lo, 0, v43, vcc_lo
	s_delay_alu instid0(VALU_DEP_1) | instskip(NEXT) | instid1(VALU_DEP_1)
	v_add_nc_u64_e32 v[34:35], v[44:45], v[42:43]
	v_mul_u64_e32 v[38:39], s[30:31], v[34:35]
	s_delay_alu instid0(VALU_DEP_1) | instskip(SKIP_1) | instid1(VALU_DEP_3)
	v_sub_co_u32 v3, vcc_lo, v36, v38
	v_add_nc_u64_e32 v[36:37], 2, v[34:35]
	v_sub_nc_u32_e32 v1, v40, v39
	v_sub_co_ci_u32_e64 v7, null, v40, v39, vcc_lo
	s_delay_alu instid0(VALU_DEP_4) | instskip(NEXT) | instid1(VALU_DEP_3)
	v_sub_co_u32 v5, s0, v3, s30
	v_subrev_co_ci_u32_e64 v1, null, s31, v1, vcc_lo
	v_add_nc_u64_e32 v[38:39], 1, v[34:35]
	s_delay_alu instid0(VALU_DEP_3) | instskip(NEXT) | instid1(VALU_DEP_3)
	v_cmp_le_u32_e32 vcc_lo, s30, v5
	v_subrev_co_ci_u32_e64 v1, null, 0, v1, s0
	v_cndmask_b32_e64 v5, 0, -1, vcc_lo
	s_delay_alu instid0(VALU_DEP_2)
	v_cmp_le_u32_e32 vcc_lo, s31, v1
	v_cndmask_b32_e64 v11, 0, -1, vcc_lo
	v_cmp_le_u32_e32 vcc_lo, s30, v3
	v_cndmask_b32_e64 v3, 0, -1, vcc_lo
	;; [unrolled: 2-line block ×3, first 2 shown]
	v_cmp_eq_u32_e32 vcc_lo, s31, v1
	v_cndmask_b32_e32 v1, v11, v5, vcc_lo
	v_cmp_eq_u32_e32 vcc_lo, s31, v7
	s_delay_alu instid0(VALU_DEP_4) | instskip(NEXT) | instid1(VALU_DEP_3)
	v_cndmask_b32_e32 v3, v15, v3, vcc_lo
	v_cmp_ne_u32_e32 vcc_lo, 0, v1
	s_delay_alu instid0(VALU_DEP_2) | instskip(SKIP_1) | instid1(VALU_DEP_1)
	v_cmp_ne_u32_e64 s0, 0, v3
	v_dual_cndmask_b32 v3, v38, v36, vcc_lo :: v_dual_cndmask_b32 v1, v39, v37, vcc_lo
	v_dual_cndmask_b32 v3, v34, v3, s0 :: v_dual_cndmask_b32 v1, v35, v1, s0
	s_delay_alu instid0(VALU_DEP_1) | instskip(NEXT) | instid1(VALU_DEP_2)
	v_xor_b32_e32 v34, v3, v32
	v_xor_b32_e32 v35, v1, v32
	s_delay_alu instid0(VALU_DEP_1)
	v_sub_nc_u64_e32 v[32:33], v[34:35], v[32:33]
.LBB95_5092:                            ;   in Loop: Header=BB95_5090 Depth=1
	s_and_not1_saveexec_b32 s0, s66
	s_cbranch_execz .LBB95_5089
; %bb.5093:                             ;   in Loop: Header=BB95_5090 Depth=1
	v_cvt_f32_u32_e32 v1, s26
	s_sub_co_i32 s28, 0, s26
	v_mov_b32_e32 v33, v28
	s_delay_alu instid0(VALU_DEP_2) | instskip(SKIP_1) | instid1(TRANS32_DEP_1)
	v_rcp_iflag_f32_e32 v1, v1
	v_nop
	v_mul_f32_e32 v1, 0x4f7ffffe, v1
	s_delay_alu instid0(VALU_DEP_1) | instskip(NEXT) | instid1(VALU_DEP_1)
	v_cvt_u32_f32_e32 v1, v1
	v_mul_lo_u32 v3, s28, v1
	s_delay_alu instid0(VALU_DEP_1) | instskip(NEXT) | instid1(VALU_DEP_1)
	v_mul_hi_u32 v3, v1, v3
	v_add_nc_u32_e32 v1, v1, v3
	s_delay_alu instid0(VALU_DEP_1) | instskip(NEXT) | instid1(VALU_DEP_1)
	v_mul_hi_u32 v1, v30, v1
	v_mul_lo_u32 v3, v1, s26
	s_delay_alu instid0(VALU_DEP_1) | instskip(NEXT) | instid1(VALU_DEP_1)
	v_sub_nc_u32_e32 v3, v30, v3
	v_subrev_nc_u32_e32 v7, s26, v3
	v_cmp_le_u32_e32 vcc_lo, s26, v3
	s_delay_alu instid0(VALU_DEP_2) | instskip(NEXT) | instid1(VALU_DEP_1)
	v_dual_add_nc_u32 v5, 1, v1 :: v_dual_cndmask_b32 v3, v3, v7, vcc_lo
	v_cndmask_b32_e32 v1, v1, v5, vcc_lo
	s_delay_alu instid0(VALU_DEP_2) | instskip(NEXT) | instid1(VALU_DEP_2)
	v_cmp_le_u32_e32 vcc_lo, s26, v3
	v_add_nc_u32_e32 v5, 1, v1
	s_delay_alu instid0(VALU_DEP_1)
	v_cndmask_b32_e32 v32, v1, v5, vcc_lo
	s_branch .LBB95_5089
.LBB95_5094:
	s_or_b32 exec_lo, exec_lo, s65
	s_mov_b32 s23, -1
	s_mov_b32 s1, s63
	s_mov_b32 s0, exec_lo
	v_cmpx_gt_i64_e64 v[24:25], v[26:27]
	s_cbranch_execz .LBB95_5101
; %bb.5095:
	s_delay_alu instid0(VALU_DEP_2) | instskip(SKIP_2) | instid1(VALU_DEP_1)
	v_lshlrev_b64_e32 v[22:23], 3, v[22:23]
	s_mov_b32 s9, 0
	s_xor_b32 s22, s45, -1
                                        ; implicit-def: $sgpr1
                                        ; implicit-def: $sgpr24
                                        ; implicit-def: $sgpr23
	v_lshl_add_u64 v[26:27], v[26:27], 3, v[22:23]
	s_wait_kmcnt 0x0
	v_add_nc_u64_e32 v[28:29], s[20:21], v[22:23]
	s_delay_alu instid0(VALU_DEP_2) | instskip(NEXT) | instid1(VALU_DEP_2)
	v_add_nc_u64_e32 v[26:27], s[20:21], v[26:27]
	v_lshl_add_u64 v[24:25], v[24:25], 3, v[28:29]
	s_delay_alu instid0(VALU_DEP_2)
	v_add_nc_u64_e32 v[22:23], 8, v[26:27]
	s_branch .LBB95_5097
.LBB95_5096:                            ;   in Loop: Header=BB95_5097 Depth=1
	s_or_b32 exec_lo, exec_lo, s25
	s_xor_b32 s25, s23, -1
	s_and_b32 s26, exec_lo, s24
	s_delay_alu instid0(SALU_CYCLE_1) | instskip(SKIP_2) | instid1(SALU_CYCLE_1)
	s_or_b32 s9, s26, s9
	s_and_not1_b32 s1, s1, exec_lo
	s_and_b32 s25, s25, exec_lo
	s_or_b32 s1, s1, s25
	s_and_not1_b32 exec_lo, exec_lo, s9
	s_cbranch_execz .LBB95_5099
.LBB95_5097:                            ; =>This Inner Loop Header: Depth=1
	s_or_b32 s23, s23, exec_lo
	s_or_b32 s24, s24, exec_lo
	s_mov_b32 s25, exec_lo
	s_delay_alu instid0(VALU_DEP_1)
	v_cmpx_lt_u64_e64 v[22:23], v[24:25]
	s_cbranch_execz .LBB95_5096
; %bb.5098:                             ;   in Loop: Header=BB95_5097 Depth=1
	global_load_b128 v[26:29], v[22:23], off offset:-8
	s_wait_xcnt 0x0
	v_add_nc_u64_e32 v[22:23], 8, v[22:23]
	s_and_not1_b32 s24, s24, exec_lo
	s_and_not1_b32 s23, s23, exec_lo
	s_wait_loadcnt 0x0
	v_cmp_ge_i64_e32 vcc_lo, v[26:27], v[28:29]
	s_or_b32 s26, s22, vcc_lo
	s_delay_alu instid0(SALU_CYCLE_1) | instskip(NEXT) | instid1(SALU_CYCLE_1)
	s_and_b32 s26, s26, exec_lo
	s_or_b32 s24, s24, s26
	s_branch .LBB95_5096
.LBB95_5099:
	s_or_b32 exec_lo, exec_lo, s9
	s_mov_b32 s9, -1
	s_mov_b32 s22, s63
	s_and_saveexec_b32 s23, s1
	s_delay_alu instid0(SALU_CYCLE_1)
	s_xor_b32 s1, exec_lo, s23
	s_cbranch_execnz .LBB95_5114
.LBB95_5100:
	s_or_b32 exec_lo, exec_lo, s1
	s_delay_alu instid0(SALU_CYCLE_1)
	s_and_not1_b32 s1, s63, exec_lo
	s_and_b32 s22, s22, exec_lo
	s_or_not1_b32 s23, s9, exec_lo
	s_or_b32 s1, s1, s22
.LBB95_5101:
	s_or_b32 exec_lo, exec_lo, s0
	s_mov_b32 s9, 0
	s_mov_b32 s24, 0
                                        ; implicit-def: $vgpr42_vgpr43
                                        ; implicit-def: $sgpr0
	s_and_saveexec_b32 s22, s23
	s_cbranch_execz .LBB95_5751
; %bb.5102:
	v_mov_b32_e32 v21, 0
	s_cmp_lt_i32 s55, 11
	s_delay_alu instid0(VALU_DEP_1)
	v_add_nc_u64_e32 v[22:23], s[6:7], v[20:21]
	s_cbranch_scc1 .LBB95_5110
; %bb.5103:
	s_cmp_gt_i32 s55, 25
	s_mov_b32 s6, 0
	s_cbranch_scc0 .LBB95_5111
; %bb.5104:
	s_cmp_gt_i32 s55, 28
	s_cbranch_scc0 .LBB95_5112
; %bb.5105:
	s_cmp_gt_i32 s55, 43
	;; [unrolled: 3-line block ×3, first 2 shown]
	s_cbranch_scc0 .LBB95_5115
; %bb.5107:
	s_cmp_eq_u32 s55, 46
	s_cbranch_scc0 .LBB95_5116
; %bb.5108:
	global_load_b32 v1, v[22:23], off
	s_mov_b32 s0, 0
	s_mov_b32 s7, -1
	s_wait_loadcnt 0x0
	v_lshlrev_b32_e32 v1, 16, v1
	s_delay_alu instid0(VALU_DEP_1) | instskip(NEXT) | instid1(VALU_DEP_1)
	v_trunc_f32_e32 v1, v1
	v_mul_f32_e64 v3, 0x2f800000, |v1|
	v_ashrrev_i32_e32 v20, 31, v1
	s_delay_alu instid0(VALU_DEP_2) | instskip(NEXT) | instid1(VALU_DEP_2)
	v_floor_f32_e32 v3, v3
	v_mov_b32_e32 v21, v20
	s_delay_alu instid0(VALU_DEP_2) | instskip(SKIP_1) | instid1(VALU_DEP_2)
	v_fma_f32 v5, 0xcf800000, v3, |v1|
	v_cvt_u32_f32_e32 v1, v3
	v_cvt_u32_f32_e32 v3, v5
	s_delay_alu instid0(VALU_DEP_2) | instskip(NEXT) | instid1(VALU_DEP_2)
	v_xor_b32_e32 v25, v1, v20
	v_xor_b32_e32 v24, v3, v20
	s_delay_alu instid0(VALU_DEP_1)
	v_sub_nc_u64_e32 v[20:21], v[24:25], v[20:21]
	s_branch .LBB95_5118
.LBB95_5109:
	s_or_b32 s54, s54, exec_lo
	s_trap 2
	s_cbranch_execz .LBB95_5023
	s_branch .LBB95_5024
.LBB95_5110:
	s_mov_b32 s0, -1
	s_mov_b32 s7, 0
	s_mov_b32 s23, s1
                                        ; implicit-def: $vgpr20_vgpr21
	s_branch .LBB95_5180
.LBB95_5111:
	s_mov_b32 s9, -1
	s_mov_b32 s7, 0
	s_mov_b32 s0, 0
                                        ; implicit-def: $vgpr20_vgpr21
	s_branch .LBB95_5145
.LBB95_5112:
	s_mov_b32 s9, -1
	s_mov_b32 s7, 0
	s_mov_b32 s0, 0
                                        ; implicit-def: $vgpr20_vgpr21
	s_branch .LBB95_5128
.LBB95_5113:
	s_mov_b32 s9, -1
	s_mov_b32 s7, 0
	s_mov_b32 s0, 0
                                        ; implicit-def: $vgpr20_vgpr21
	s_branch .LBB95_5123
.LBB95_5114:
	s_or_b32 s22, s63, exec_lo
	s_xor_b32 s9, exec_lo, -1
	s_trap 2
	s_branch .LBB95_5100
.LBB95_5115:
	s_mov_b32 s9, -1
	s_mov_b32 s7, 0
	s_mov_b32 s0, 0
	s_branch .LBB95_5117
.LBB95_5116:
	s_mov_b32 s0, -1
	s_mov_b32 s7, 0
.LBB95_5117:
                                        ; implicit-def: $vgpr20_vgpr21
.LBB95_5118:
	s_and_b32 vcc_lo, exec_lo, s9
	s_cbranch_vccz .LBB95_5122
; %bb.5119:
	s_cmp_eq_u32 s55, 44
	s_cbranch_scc0 .LBB95_5121
; %bb.5120:
	global_load_u8 v1, v[22:23], off
	s_mov_b32 s0, 0
	s_mov_b32 s7, -1
	s_wait_loadcnt 0x0
	v_lshlrev_b32_e32 v3, 23, v1
	v_cmp_ne_u32_e32 vcc_lo, 0, v1
	s_delay_alu instid0(VALU_DEP_2) | instskip(NEXT) | instid1(VALU_DEP_1)
	v_trunc_f32_e32 v3, v3
	v_mul_f32_e64 v5, 0x2f800000, |v3|
	v_ashrrev_i32_e32 v20, 31, v3
	s_delay_alu instid0(VALU_DEP_2) | instskip(NEXT) | instid1(VALU_DEP_2)
	v_floor_f32_e32 v5, v5
	v_mov_b32_e32 v21, v20
	s_delay_alu instid0(VALU_DEP_2) | instskip(SKIP_1) | instid1(VALU_DEP_2)
	v_fma_f32 v7, 0xcf800000, v5, |v3|
	v_cvt_u32_f32_e32 v3, v5
	v_cvt_u32_f32_e32 v5, v7
	s_delay_alu instid0(VALU_DEP_2) | instskip(NEXT) | instid1(VALU_DEP_2)
	v_xor_b32_e32 v25, v3, v20
	v_xor_b32_e32 v24, v5, v20
	s_delay_alu instid0(VALU_DEP_1) | instskip(NEXT) | instid1(VALU_DEP_1)
	v_sub_nc_u64_e32 v[20:21], v[24:25], v[20:21]
	v_dual_cndmask_b32 v21, 0, v21 :: v_dual_cndmask_b32 v20, 0, v20
	s_branch .LBB95_5122
.LBB95_5121:
	s_mov_b32 s0, -1
                                        ; implicit-def: $vgpr20_vgpr21
.LBB95_5122:
	s_mov_b32 s9, 0
.LBB95_5123:
	s_delay_alu instid0(SALU_CYCLE_1)
	s_and_b32 vcc_lo, exec_lo, s9
	s_cbranch_vccz .LBB95_5127
; %bb.5124:
	s_cmp_eq_u32 s55, 29
	s_cbranch_scc0 .LBB95_5126
; %bb.5125:
	global_load_b64 v[20:21], v[22:23], off
	s_mov_b32 s0, 0
	s_mov_b32 s7, -1
	s_branch .LBB95_5127
.LBB95_5126:
	s_mov_b32 s0, -1
                                        ; implicit-def: $vgpr20_vgpr21
.LBB95_5127:
	s_mov_b32 s9, 0
.LBB95_5128:
	s_delay_alu instid0(SALU_CYCLE_1)
	s_and_b32 vcc_lo, exec_lo, s9
	s_cbranch_vccz .LBB95_5144
; %bb.5129:
	s_cmp_lt_i32 s55, 27
	s_cbranch_scc1 .LBB95_5132
; %bb.5130:
	s_cmp_gt_i32 s55, 27
	s_cbranch_scc0 .LBB95_5133
; %bb.5131:
	s_wait_loadcnt 0x0
	global_load_b32 v20, v[22:23], off
	v_mov_b32_e32 v21, 0
	s_mov_b32 s7, 0
	s_branch .LBB95_5134
.LBB95_5132:
	s_mov_b32 s7, -1
                                        ; implicit-def: $vgpr20_vgpr21
	s_branch .LBB95_5137
.LBB95_5133:
	s_mov_b32 s7, -1
                                        ; implicit-def: $vgpr20_vgpr21
.LBB95_5134:
	s_delay_alu instid0(SALU_CYCLE_1)
	s_and_not1_b32 vcc_lo, exec_lo, s7
	s_cbranch_vccnz .LBB95_5136
; %bb.5135:
	global_load_u16 v1, v[22:23], off
	s_mov_b32 s7, 0
	s_wait_loadcnt 0x1
	v_mov_b32_e32 v21, s7
	s_wait_loadcnt 0x0
	v_and_b32_e32 v20, 0xffff, v1
.LBB95_5136:
	s_mov_b32 s7, 0
.LBB95_5137:
	s_delay_alu instid0(SALU_CYCLE_1)
	s_and_not1_b32 vcc_lo, exec_lo, s7
	s_cbranch_vccnz .LBB95_5143
; %bb.5138:
	global_load_u8 v1, v[22:23], off
	s_mov_b32 s9, 0
	s_mov_b32 s7, exec_lo
	s_wait_loadcnt 0x0
	v_cmpx_lt_i16_e32 0x7f, v1
	s_xor_b32 s7, exec_lo, s7
	s_cbranch_execz .LBB95_5155
; %bb.5139:
	v_cmp_ne_u16_e32 vcc_lo, 0x80, v1
	s_and_b32 s9, vcc_lo, exec_lo
	s_and_not1_saveexec_b32 s7, s7
	s_cbranch_execnz .LBB95_5156
.LBB95_5140:
	s_or_b32 exec_lo, exec_lo, s7
	v_mov_b64_e32 v[20:21], 0
	s_and_saveexec_b32 s7, s9
	s_cbranch_execz .LBB95_5142
.LBB95_5141:
	v_and_b32_e32 v3, 0xffff, v1
	s_delay_alu instid0(VALU_DEP_1) | instskip(SKIP_1) | instid1(VALU_DEP_2)
	v_dual_lshlrev_b32 v1, 24, v1 :: v_dual_bitop2_b32 v5, 7, v3 bitop3:0x40
	v_bfe_u32 v15, v3, 3, 4
	v_and_b32_e32 v1, 0x80000000, v1
	s_delay_alu instid0(VALU_DEP_3) | instskip(NEXT) | instid1(VALU_DEP_3)
	v_clz_i32_u32_e32 v7, v5
	v_cmp_eq_u32_e32 vcc_lo, 0, v15
	s_delay_alu instid0(VALU_DEP_2) | instskip(NEXT) | instid1(VALU_DEP_1)
	v_min_u32_e32 v7, 32, v7
	v_subrev_nc_u32_e32 v11, 28, v7
	v_sub_nc_u32_e32 v7, 29, v7
	s_delay_alu instid0(VALU_DEP_2) | instskip(NEXT) | instid1(VALU_DEP_2)
	v_lshlrev_b32_e32 v3, v11, v3
	v_cndmask_b32_e32 v7, v15, v7, vcc_lo
	s_delay_alu instid0(VALU_DEP_2) | instskip(NEXT) | instid1(VALU_DEP_1)
	v_and_b32_e32 v3, 7, v3
	v_cndmask_b32_e32 v3, v5, v3, vcc_lo
	s_delay_alu instid0(VALU_DEP_3) | instskip(NEXT) | instid1(VALU_DEP_2)
	v_lshl_add_u32 v5, v7, 23, 0x3b800000
	v_lshlrev_b32_e32 v3, 20, v3
	s_delay_alu instid0(VALU_DEP_1) | instskip(NEXT) | instid1(VALU_DEP_1)
	v_or3_b32 v1, v1, v5, v3
	v_trunc_f32_e32 v1, v1
	s_delay_alu instid0(VALU_DEP_1) | instskip(SKIP_1) | instid1(VALU_DEP_2)
	v_mul_f32_e64 v3, 0x2f800000, |v1|
	v_ashrrev_i32_e32 v20, 31, v1
	v_floor_f32_e32 v3, v3
	s_delay_alu instid0(VALU_DEP_2) | instskip(NEXT) | instid1(VALU_DEP_2)
	v_mov_b32_e32 v21, v20
	v_fma_f32 v5, 0xcf800000, v3, |v1|
	v_cvt_u32_f32_e32 v1, v3
	s_delay_alu instid0(VALU_DEP_2) | instskip(NEXT) | instid1(VALU_DEP_2)
	v_cvt_u32_f32_e32 v3, v5
	v_xor_b32_e32 v25, v1, v20
	s_delay_alu instid0(VALU_DEP_2) | instskip(NEXT) | instid1(VALU_DEP_1)
	v_xor_b32_e32 v24, v3, v20
	v_sub_nc_u64_e32 v[20:21], v[24:25], v[20:21]
.LBB95_5142:
	s_or_b32 exec_lo, exec_lo, s7
.LBB95_5143:
	s_mov_b32 s7, -1
.LBB95_5144:
	s_mov_b32 s9, 0
.LBB95_5145:
	s_delay_alu instid0(SALU_CYCLE_1)
	s_and_b32 vcc_lo, exec_lo, s9
	s_cbranch_vccz .LBB95_5176
; %bb.5146:
	s_cmp_gt_i32 s55, 22
	s_cbranch_scc0 .LBB95_5154
; %bb.5147:
	s_cmp_lt_i32 s55, 24
	s_cbranch_scc1 .LBB95_5157
; %bb.5148:
	s_cmp_gt_i32 s55, 24
	s_cbranch_scc0 .LBB95_5158
; %bb.5149:
	global_load_u8 v1, v[22:23], off
	s_mov_b32 s7, 0
	s_mov_b32 s6, exec_lo
	s_wait_loadcnt 0x0
	v_cmpx_lt_i16_e32 0x7f, v1
	s_xor_b32 s6, exec_lo, s6
	s_cbranch_execz .LBB95_5170
; %bb.5150:
	v_cmp_ne_u16_e32 vcc_lo, 0x80, v1
	s_and_b32 s7, vcc_lo, exec_lo
	s_and_not1_saveexec_b32 s6, s6
	s_cbranch_execnz .LBB95_5171
.LBB95_5151:
	s_or_b32 exec_lo, exec_lo, s6
	v_mov_b64_e32 v[20:21], 0
	s_and_saveexec_b32 s6, s7
	s_cbranch_execz .LBB95_5153
.LBB95_5152:
	v_and_b32_e32 v3, 0xffff, v1
	s_delay_alu instid0(VALU_DEP_1) | instskip(SKIP_1) | instid1(VALU_DEP_2)
	v_dual_lshlrev_b32 v1, 24, v1 :: v_dual_bitop2_b32 v5, 3, v3 bitop3:0x40
	v_bfe_u32 v15, v3, 2, 5
	v_and_b32_e32 v1, 0x80000000, v1
	s_delay_alu instid0(VALU_DEP_3) | instskip(NEXT) | instid1(VALU_DEP_3)
	v_clz_i32_u32_e32 v7, v5
	v_cmp_eq_u32_e32 vcc_lo, 0, v15
	s_delay_alu instid0(VALU_DEP_2) | instskip(NEXT) | instid1(VALU_DEP_1)
	v_min_u32_e32 v7, 32, v7
	v_subrev_nc_u32_e32 v11, 29, v7
	v_sub_nc_u32_e32 v7, 30, v7
	s_delay_alu instid0(VALU_DEP_2) | instskip(NEXT) | instid1(VALU_DEP_2)
	v_lshlrev_b32_e32 v3, v11, v3
	v_cndmask_b32_e32 v7, v15, v7, vcc_lo
	s_delay_alu instid0(VALU_DEP_2) | instskip(NEXT) | instid1(VALU_DEP_1)
	v_and_b32_e32 v3, 3, v3
	v_cndmask_b32_e32 v3, v5, v3, vcc_lo
	s_delay_alu instid0(VALU_DEP_3) | instskip(NEXT) | instid1(VALU_DEP_2)
	v_lshl_add_u32 v5, v7, 23, 0x37800000
	v_lshlrev_b32_e32 v3, 21, v3
	s_delay_alu instid0(VALU_DEP_1) | instskip(NEXT) | instid1(VALU_DEP_1)
	v_or3_b32 v1, v1, v5, v3
	v_trunc_f32_e32 v1, v1
	s_delay_alu instid0(VALU_DEP_1) | instskip(SKIP_1) | instid1(VALU_DEP_2)
	v_mul_f32_e64 v3, 0x2f800000, |v1|
	v_ashrrev_i32_e32 v20, 31, v1
	v_floor_f32_e32 v3, v3
	s_delay_alu instid0(VALU_DEP_2) | instskip(NEXT) | instid1(VALU_DEP_2)
	v_mov_b32_e32 v21, v20
	v_fma_f32 v5, 0xcf800000, v3, |v1|
	v_cvt_u32_f32_e32 v1, v3
	s_delay_alu instid0(VALU_DEP_2) | instskip(NEXT) | instid1(VALU_DEP_2)
	v_cvt_u32_f32_e32 v3, v5
	v_xor_b32_e32 v25, v1, v20
	s_delay_alu instid0(VALU_DEP_2) | instskip(NEXT) | instid1(VALU_DEP_1)
	v_xor_b32_e32 v24, v3, v20
	v_sub_nc_u64_e32 v[20:21], v[24:25], v[20:21]
.LBB95_5153:
	s_or_b32 exec_lo, exec_lo, s6
	s_mov_b32 s6, 0
	s_branch .LBB95_5159
.LBB95_5154:
	s_mov_b32 s6, -1
                                        ; implicit-def: $vgpr20_vgpr21
	s_branch .LBB95_5165
.LBB95_5155:
	s_and_not1_saveexec_b32 s7, s7
	s_cbranch_execz .LBB95_5140
.LBB95_5156:
	v_cmp_ne_u16_e32 vcc_lo, 0, v1
	s_and_not1_b32 s9, s9, exec_lo
	s_and_b32 s23, vcc_lo, exec_lo
	s_delay_alu instid0(SALU_CYCLE_1)
	s_or_b32 s9, s9, s23
	s_or_b32 exec_lo, exec_lo, s7
	v_mov_b64_e32 v[20:21], 0
	s_and_saveexec_b32 s7, s9
	s_cbranch_execnz .LBB95_5141
	s_branch .LBB95_5142
.LBB95_5157:
	s_mov_b32 s6, -1
                                        ; implicit-def: $vgpr20_vgpr21
	s_branch .LBB95_5162
.LBB95_5158:
	s_mov_b32 s6, -1
                                        ; implicit-def: $vgpr20_vgpr21
.LBB95_5159:
	s_delay_alu instid0(SALU_CYCLE_1)
	s_and_b32 vcc_lo, exec_lo, s6
	s_cbranch_vccz .LBB95_5161
; %bb.5160:
	global_load_u8 v1, v[22:23], off
	s_wait_loadcnt 0x0
	v_lshlrev_b32_e32 v1, 24, v1
	s_delay_alu instid0(VALU_DEP_1) | instskip(NEXT) | instid1(VALU_DEP_1)
	v_and_b32_e32 v3, 0x7f000000, v1
	v_clz_i32_u32_e32 v5, v3
	v_add_nc_u32_e32 v11, 0x1000000, v3
	v_cmp_ne_u32_e32 vcc_lo, 0, v3
	s_delay_alu instid0(VALU_DEP_3) | instskip(NEXT) | instid1(VALU_DEP_1)
	v_min_u32_e32 v5, 32, v5
	v_sub_nc_u32_e64 v5, v5, 4 clamp
	s_delay_alu instid0(VALU_DEP_1) | instskip(NEXT) | instid1(VALU_DEP_1)
	v_dual_lshlrev_b32 v7, v5, v3 :: v_dual_lshlrev_b32 v5, 23, v5
	v_lshrrev_b32_e32 v7, 4, v7
	s_delay_alu instid0(VALU_DEP_1) | instskip(NEXT) | instid1(VALU_DEP_1)
	v_dual_sub_nc_u32 v5, v7, v5 :: v_dual_ashrrev_i32 v7, 8, v11
	v_add_nc_u32_e32 v5, 0x3c000000, v5
	s_delay_alu instid0(VALU_DEP_1) | instskip(NEXT) | instid1(VALU_DEP_1)
	v_and_or_b32 v5, 0x7f800000, v7, v5
	v_cndmask_b32_e32 v3, 0, v5, vcc_lo
	s_delay_alu instid0(VALU_DEP_1) | instskip(NEXT) | instid1(VALU_DEP_1)
	v_and_or_b32 v1, 0x80000000, v1, v3
	v_trunc_f32_e32 v1, v1
	s_delay_alu instid0(VALU_DEP_1) | instskip(SKIP_1) | instid1(VALU_DEP_2)
	v_mul_f32_e64 v3, 0x2f800000, |v1|
	v_ashrrev_i32_e32 v20, 31, v1
	v_floor_f32_e32 v3, v3
	s_delay_alu instid0(VALU_DEP_2) | instskip(NEXT) | instid1(VALU_DEP_2)
	v_mov_b32_e32 v21, v20
	v_fma_f32 v5, 0xcf800000, v3, |v1|
	v_cvt_u32_f32_e32 v1, v3
	s_delay_alu instid0(VALU_DEP_2) | instskip(NEXT) | instid1(VALU_DEP_2)
	v_cvt_u32_f32_e32 v3, v5
	v_xor_b32_e32 v25, v1, v20
	s_delay_alu instid0(VALU_DEP_2) | instskip(NEXT) | instid1(VALU_DEP_1)
	v_xor_b32_e32 v24, v3, v20
	v_sub_nc_u64_e32 v[20:21], v[24:25], v[20:21]
.LBB95_5161:
	s_mov_b32 s6, 0
.LBB95_5162:
	s_delay_alu instid0(SALU_CYCLE_1)
	s_and_not1_b32 vcc_lo, exec_lo, s6
	s_cbranch_vccnz .LBB95_5164
; %bb.5163:
	global_load_u8 v1, v[22:23], off
	s_wait_loadcnt 0x0
	v_lshlrev_b32_e32 v3, 25, v1
	v_lshlrev_b16 v1, 8, v1
	s_delay_alu instid0(VALU_DEP_1) | instskip(SKIP_1) | instid1(VALU_DEP_2)
	v_and_or_b32 v7, 0x7f00, v1, 0.5
	v_bfe_i32 v1, v1, 0, 16
	v_add_f32_e32 v7, -0.5, v7
	v_lshrrev_b32_e32 v5, 4, v3
	v_cmp_gt_u32_e32 vcc_lo, 0x8000000, v3
	s_delay_alu instid0(VALU_DEP_2) | instskip(NEXT) | instid1(VALU_DEP_1)
	v_or_b32_e32 v5, 0x70000000, v5
	v_mul_f32_e32 v5, 0x7800000, v5
	s_delay_alu instid0(VALU_DEP_1) | instskip(NEXT) | instid1(VALU_DEP_1)
	v_cndmask_b32_e32 v3, v5, v7, vcc_lo
	v_and_or_b32 v1, 0x80000000, v1, v3
	s_delay_alu instid0(VALU_DEP_1) | instskip(NEXT) | instid1(VALU_DEP_1)
	v_trunc_f32_e32 v1, v1
	v_mul_f32_e64 v3, 0x2f800000, |v1|
	v_ashrrev_i32_e32 v20, 31, v1
	s_delay_alu instid0(VALU_DEP_2) | instskip(NEXT) | instid1(VALU_DEP_2)
	v_floor_f32_e32 v3, v3
	v_mov_b32_e32 v21, v20
	s_delay_alu instid0(VALU_DEP_2) | instskip(SKIP_1) | instid1(VALU_DEP_2)
	v_fma_f32 v5, 0xcf800000, v3, |v1|
	v_cvt_u32_f32_e32 v1, v3
	v_cvt_u32_f32_e32 v3, v5
	s_delay_alu instid0(VALU_DEP_2) | instskip(NEXT) | instid1(VALU_DEP_2)
	v_xor_b32_e32 v25, v1, v20
	v_xor_b32_e32 v24, v3, v20
	s_delay_alu instid0(VALU_DEP_1)
	v_sub_nc_u64_e32 v[20:21], v[24:25], v[20:21]
.LBB95_5164:
	s_mov_b32 s6, 0
	s_mov_b32 s7, -1
.LBB95_5165:
	s_and_not1_b32 vcc_lo, exec_lo, s6
	s_mov_b32 s6, 0
	s_cbranch_vccnz .LBB95_5176
; %bb.5166:
	s_cmp_gt_i32 s55, 14
	s_cbranch_scc0 .LBB95_5169
; %bb.5167:
	s_cmp_eq_u32 s55, 15
	s_cbranch_scc0 .LBB95_5172
; %bb.5168:
	global_load_u16 v1, v[22:23], off
	s_mov_b32 s0, 0
	s_mov_b32 s7, -1
	s_wait_loadcnt 0x0
	v_lshlrev_b32_e32 v1, 16, v1
	s_delay_alu instid0(VALU_DEP_1) | instskip(NEXT) | instid1(VALU_DEP_1)
	v_trunc_f32_e32 v1, v1
	v_mul_f32_e64 v3, 0x2f800000, |v1|
	v_ashrrev_i32_e32 v20, 31, v1
	s_delay_alu instid0(VALU_DEP_2) | instskip(NEXT) | instid1(VALU_DEP_2)
	v_floor_f32_e32 v3, v3
	v_mov_b32_e32 v21, v20
	s_delay_alu instid0(VALU_DEP_2) | instskip(SKIP_1) | instid1(VALU_DEP_2)
	v_fma_f32 v5, 0xcf800000, v3, |v1|
	v_cvt_u32_f32_e32 v1, v3
	v_cvt_u32_f32_e32 v3, v5
	s_delay_alu instid0(VALU_DEP_2) | instskip(NEXT) | instid1(VALU_DEP_2)
	v_xor_b32_e32 v25, v1, v20
	v_xor_b32_e32 v24, v3, v20
	s_delay_alu instid0(VALU_DEP_1)
	v_sub_nc_u64_e32 v[20:21], v[24:25], v[20:21]
	s_branch .LBB95_5174
.LBB95_5169:
	s_mov_b32 s6, -1
	s_branch .LBB95_5173
.LBB95_5170:
	s_and_not1_saveexec_b32 s6, s6
	s_cbranch_execz .LBB95_5151
.LBB95_5171:
	v_cmp_ne_u16_e32 vcc_lo, 0, v1
	s_and_not1_b32 s7, s7, exec_lo
	s_and_b32 s9, vcc_lo, exec_lo
	s_delay_alu instid0(SALU_CYCLE_1)
	s_or_b32 s7, s7, s9
	s_or_b32 exec_lo, exec_lo, s6
	v_mov_b64_e32 v[20:21], 0
	s_and_saveexec_b32 s6, s7
	s_cbranch_execnz .LBB95_5152
	s_branch .LBB95_5153
.LBB95_5172:
	s_mov_b32 s0, -1
.LBB95_5173:
                                        ; implicit-def: $vgpr20_vgpr21
.LBB95_5174:
	s_and_b32 vcc_lo, exec_lo, s6
	s_mov_b32 s6, 0
	s_cbranch_vccz .LBB95_5176
; %bb.5175:
	s_cmp_lg_u32 s55, 11
	s_mov_b32 s6, -1
	s_cselect_b32 s0, -1, 0
.LBB95_5176:
	s_delay_alu instid0(SALU_CYCLE_1)
	s_and_b32 vcc_lo, exec_lo, s0
	s_mov_b32 s23, s1
	s_cbranch_vccnz .LBB95_5241
; %bb.5177:
	s_and_not1_b32 vcc_lo, exec_lo, s6
	s_cbranch_vccnz .LBB95_5179
.LBB95_5178:
	global_load_u8 v1, v[22:23], off
	s_mov_b32 s0, 0
	s_mov_b32 s7, -1
	s_wait_loadcnt 0x1
	v_mov_b32_e32 v21, s0
	s_wait_loadcnt 0x0
	v_cmp_ne_u16_e32 vcc_lo, 0, v1
	v_cndmask_b32_e64 v20, 0, 1, vcc_lo
.LBB95_5179:
	s_mov_b32 s0, 0
.LBB95_5180:
	s_delay_alu instid0(SALU_CYCLE_1)
	s_and_b32 vcc_lo, exec_lo, s0
	s_cbranch_vccz .LBB95_5229
; %bb.5181:
	s_cmp_lt_i32 s55, 5
	s_cbranch_scc1 .LBB95_5186
; %bb.5182:
	s_cmp_lt_i32 s55, 8
	s_cbranch_scc1 .LBB95_5187
	;; [unrolled: 3-line block ×3, first 2 shown]
; %bb.5184:
	s_cmp_gt_i32 s55, 9
	s_cbranch_scc0 .LBB95_5189
; %bb.5185:
	s_wait_loadcnt 0x0
	global_load_b64 v[20:21], v[22:23], off
	s_mov_b32 s0, 0
	s_wait_loadcnt 0x0
	v_trunc_f64_e32 v[20:21], v[20:21]
	s_delay_alu instid0(VALU_DEP_1) | instskip(NEXT) | instid1(VALU_DEP_1)
	v_ldexp_f64 v[24:25], v[20:21], 0xffffffe0
	v_floor_f64_e32 v[24:25], v[24:25]
	s_delay_alu instid0(VALU_DEP_1) | instskip(SKIP_1) | instid1(VALU_DEP_2)
	v_fmamk_f64 v[26:27], v[24:25], 0xc1f00000, v[20:21]
	v_cvt_i32_f64_e32 v21, v[24:25]
	v_cvt_u32_f64_e32 v20, v[26:27]
	s_branch .LBB95_5190
.LBB95_5186:
	s_mov_b32 s0, -1
                                        ; implicit-def: $vgpr20_vgpr21
	s_branch .LBB95_5208
.LBB95_5187:
	s_mov_b32 s0, -1
                                        ; implicit-def: $vgpr20_vgpr21
	s_branch .LBB95_5196
.LBB95_5188:
	s_mov_b32 s0, -1
                                        ; implicit-def: $vgpr20_vgpr21
	s_branch .LBB95_5193
.LBB95_5189:
	s_mov_b32 s0, -1
                                        ; implicit-def: $vgpr20_vgpr21
.LBB95_5190:
	s_delay_alu instid0(SALU_CYCLE_1)
	s_and_not1_b32 vcc_lo, exec_lo, s0
	s_cbranch_vccnz .LBB95_5192
; %bb.5191:
	global_load_b32 v1, v[22:23], off
	s_wait_loadcnt 0x0
	v_trunc_f32_e32 v1, v1
	s_delay_alu instid0(VALU_DEP_1) | instskip(SKIP_1) | instid1(VALU_DEP_2)
	v_mul_f32_e64 v3, 0x2f800000, |v1|
	v_ashrrev_i32_e32 v20, 31, v1
	v_floor_f32_e32 v3, v3
	s_delay_alu instid0(VALU_DEP_1) | instskip(SKIP_1) | instid1(VALU_DEP_4)
	v_fma_f32 v5, 0xcf800000, v3, |v1|
	v_cvt_u32_f32_e32 v1, v3
	v_mov_b32_e32 v21, v20
	s_delay_alu instid0(VALU_DEP_3) | instskip(NEXT) | instid1(VALU_DEP_3)
	v_cvt_u32_f32_e32 v3, v5
	v_xor_b32_e32 v25, v1, v20
	s_delay_alu instid0(VALU_DEP_2) | instskip(NEXT) | instid1(VALU_DEP_1)
	v_xor_b32_e32 v24, v3, v20
	v_sub_nc_u64_e32 v[20:21], v[24:25], v[20:21]
.LBB95_5192:
	s_mov_b32 s0, 0
.LBB95_5193:
	s_delay_alu instid0(SALU_CYCLE_1)
	s_and_not1_b32 vcc_lo, exec_lo, s0
	s_cbranch_vccnz .LBB95_5195
; %bb.5194:
	global_load_b32 v1, v[22:23], off
	s_wait_loadcnt 0x0
	v_cvt_f32_f16_e32 v1, v1
	s_delay_alu instid0(VALU_DEP_1) | instskip(NEXT) | instid1(VALU_DEP_1)
	v_cvt_i32_f32_e32 v20, v1
	v_ashrrev_i32_e32 v21, 31, v20
.LBB95_5195:
	s_mov_b32 s0, 0
.LBB95_5196:
	s_delay_alu instid0(SALU_CYCLE_1)
	s_and_not1_b32 vcc_lo, exec_lo, s0
	s_cbranch_vccnz .LBB95_5207
; %bb.5197:
	s_cmp_lt_i32 s55, 6
	s_cbranch_scc1 .LBB95_5200
; %bb.5198:
	s_cmp_gt_i32 s55, 6
	s_cbranch_scc0 .LBB95_5201
; %bb.5199:
	s_wait_loadcnt 0x0
	global_load_b64 v[20:21], v[22:23], off
	s_mov_b32 s0, 0
	s_wait_loadcnt 0x0
	v_trunc_f64_e32 v[20:21], v[20:21]
	s_delay_alu instid0(VALU_DEP_1) | instskip(NEXT) | instid1(VALU_DEP_1)
	v_ldexp_f64 v[24:25], v[20:21], 0xffffffe0
	v_floor_f64_e32 v[24:25], v[24:25]
	s_delay_alu instid0(VALU_DEP_1) | instskip(SKIP_1) | instid1(VALU_DEP_2)
	v_fmamk_f64 v[26:27], v[24:25], 0xc1f00000, v[20:21]
	v_cvt_i32_f64_e32 v21, v[24:25]
	v_cvt_u32_f64_e32 v20, v[26:27]
	s_branch .LBB95_5202
.LBB95_5200:
	s_mov_b32 s0, -1
                                        ; implicit-def: $vgpr20_vgpr21
	s_branch .LBB95_5205
.LBB95_5201:
	s_mov_b32 s0, -1
                                        ; implicit-def: $vgpr20_vgpr21
.LBB95_5202:
	s_delay_alu instid0(SALU_CYCLE_1)
	s_and_not1_b32 vcc_lo, exec_lo, s0
	s_cbranch_vccnz .LBB95_5204
; %bb.5203:
	global_load_b32 v1, v[22:23], off
	s_wait_loadcnt 0x0
	v_trunc_f32_e32 v1, v1
	s_delay_alu instid0(VALU_DEP_1) | instskip(SKIP_1) | instid1(VALU_DEP_2)
	v_mul_f32_e64 v3, 0x2f800000, |v1|
	v_ashrrev_i32_e32 v20, 31, v1
	v_floor_f32_e32 v3, v3
	s_delay_alu instid0(VALU_DEP_1) | instskip(SKIP_1) | instid1(VALU_DEP_4)
	v_fma_f32 v5, 0xcf800000, v3, |v1|
	v_cvt_u32_f32_e32 v1, v3
	v_mov_b32_e32 v21, v20
	s_delay_alu instid0(VALU_DEP_3) | instskip(NEXT) | instid1(VALU_DEP_3)
	v_cvt_u32_f32_e32 v3, v5
	v_xor_b32_e32 v25, v1, v20
	s_delay_alu instid0(VALU_DEP_2) | instskip(NEXT) | instid1(VALU_DEP_1)
	v_xor_b32_e32 v24, v3, v20
	v_sub_nc_u64_e32 v[20:21], v[24:25], v[20:21]
.LBB95_5204:
	s_mov_b32 s0, 0
.LBB95_5205:
	s_delay_alu instid0(SALU_CYCLE_1)
	s_and_not1_b32 vcc_lo, exec_lo, s0
	s_cbranch_vccnz .LBB95_5207
; %bb.5206:
	global_load_u16 v1, v[22:23], off
	s_wait_loadcnt 0x0
	v_cvt_f32_f16_e32 v1, v1
	s_delay_alu instid0(VALU_DEP_1) | instskip(NEXT) | instid1(VALU_DEP_1)
	v_cvt_i32_f32_e32 v20, v1
	v_ashrrev_i32_e32 v21, 31, v20
.LBB95_5207:
	s_mov_b32 s0, 0
.LBB95_5208:
	s_delay_alu instid0(SALU_CYCLE_1)
	s_and_not1_b32 vcc_lo, exec_lo, s0
	s_cbranch_vccnz .LBB95_5228
; %bb.5209:
	s_cmp_lt_i32 s55, 2
	s_cbranch_scc1 .LBB95_5213
; %bb.5210:
	s_cmp_lt_i32 s55, 3
	s_cbranch_scc1 .LBB95_5214
; %bb.5211:
	s_cmp_gt_i32 s55, 3
	s_cbranch_scc0 .LBB95_5215
; %bb.5212:
	s_wait_loadcnt 0x0
	global_load_b64 v[20:21], v[22:23], off
	s_mov_b32 s0, 0
	s_branch .LBB95_5216
.LBB95_5213:
	s_mov_b32 s0, -1
                                        ; implicit-def: $vgpr20_vgpr21
	s_branch .LBB95_5222
.LBB95_5214:
	s_mov_b32 s0, -1
                                        ; implicit-def: $vgpr20_vgpr21
	s_branch .LBB95_5219
.LBB95_5215:
	s_mov_b32 s0, -1
                                        ; implicit-def: $vgpr20_vgpr21
.LBB95_5216:
	s_delay_alu instid0(SALU_CYCLE_1)
	s_and_not1_b32 vcc_lo, exec_lo, s0
	s_cbranch_vccnz .LBB95_5218
; %bb.5217:
	s_wait_loadcnt 0x0
	global_load_b32 v20, v[22:23], off
	s_wait_loadcnt 0x0
	v_ashrrev_i32_e32 v21, 31, v20
.LBB95_5218:
	s_mov_b32 s0, 0
.LBB95_5219:
	s_delay_alu instid0(SALU_CYCLE_1)
	s_and_not1_b32 vcc_lo, exec_lo, s0
	s_cbranch_vccnz .LBB95_5221
; %bb.5220:
	global_load_u16 v1, v[22:23], off
	s_wait_loadcnt 0x0
	v_bfe_i32 v20, v1, 0, 16
	s_delay_alu instid0(VALU_DEP_1)
	v_ashrrev_i32_e32 v21, 31, v20
.LBB95_5221:
	s_mov_b32 s0, 0
.LBB95_5222:
	s_delay_alu instid0(SALU_CYCLE_1)
	s_and_not1_b32 vcc_lo, exec_lo, s0
	s_cbranch_vccnz .LBB95_5228
; %bb.5223:
	s_cmp_gt_i32 s55, 0
	s_mov_b32 s0, 0
	s_cbranch_scc0 .LBB95_5225
; %bb.5224:
	global_load_i8 v1, v[22:23], off
	s_wait_loadcnt 0x0
	v_bfe_i32 v20, v1, 0, 16
	s_delay_alu instid0(VALU_DEP_1)
	v_ashrrev_i32_e32 v21, 31, v20
	s_branch .LBB95_5226
.LBB95_5225:
	s_mov_b32 s0, -1
                                        ; implicit-def: $vgpr20_vgpr21
.LBB95_5226:
	s_delay_alu instid0(SALU_CYCLE_1)
	s_and_not1_b32 vcc_lo, exec_lo, s0
	s_cbranch_vccnz .LBB95_5228
; %bb.5227:
	global_load_u8 v1, v[22:23], off
	s_mov_b32 s0, 0
	s_wait_loadcnt 0x1
	v_mov_b32_e32 v21, s0
	s_wait_loadcnt 0x0
	v_and_b32_e32 v20, 0xffff, v1
.LBB95_5228:
	s_mov_b32 s7, -1
.LBB95_5229:
	s_delay_alu instid0(SALU_CYCLE_1)
	s_and_not1_b32 vcc_lo, exec_lo, s7
	s_cbranch_vccnz .LBB95_5749
; %bb.5230:
	v_mov_b32_e32 v19, 0
	s_cmp_lt_i32 s56, 11
	s_wait_xcnt 0x0
	s_delay_alu instid0(VALU_DEP_1)
	v_add_nc_u64_e32 v[22:23], s[10:11], v[18:19]
	s_cbranch_scc1 .LBB95_5237
; %bb.5231:
	s_cmp_gt_i32 s56, 25
	s_mov_b32 s6, 0
	s_cbranch_scc0 .LBB95_5238
; %bb.5232:
	s_cmp_gt_i32 s56, 28
	s_cbranch_scc0 .LBB95_5239
; %bb.5233:
	s_cmp_gt_i32 s56, 43
	;; [unrolled: 3-line block ×3, first 2 shown]
	s_cbranch_scc0 .LBB95_5242
; %bb.5235:
	s_cmp_eq_u32 s56, 46
	s_mov_b32 s9, 0
	s_cbranch_scc0 .LBB95_5244
; %bb.5236:
	global_load_b32 v1, v[22:23], off
	s_mov_b32 s0, 0
	s_mov_b32 s7, -1
	s_wait_loadcnt 0x0
	v_lshlrev_b32_e32 v1, 16, v1
	s_delay_alu instid0(VALU_DEP_1) | instskip(NEXT) | instid1(VALU_DEP_1)
	v_trunc_f32_e32 v1, v1
	v_mul_f32_e64 v3, 0x2f800000, |v1|
	v_ashrrev_i32_e32 v18, 31, v1
	s_delay_alu instid0(VALU_DEP_2) | instskip(NEXT) | instid1(VALU_DEP_2)
	v_floor_f32_e32 v3, v3
	v_mov_b32_e32 v19, v18
	s_delay_alu instid0(VALU_DEP_2) | instskip(SKIP_1) | instid1(VALU_DEP_2)
	v_fma_f32 v5, 0xcf800000, v3, |v1|
	v_cvt_u32_f32_e32 v1, v3
	v_cvt_u32_f32_e32 v3, v5
	s_delay_alu instid0(VALU_DEP_2) | instskip(NEXT) | instid1(VALU_DEP_2)
	v_xor_b32_e32 v25, v1, v18
	v_xor_b32_e32 v24, v3, v18
	s_delay_alu instid0(VALU_DEP_1)
	v_sub_nc_u64_e32 v[18:19], v[24:25], v[18:19]
	s_branch .LBB95_5246
.LBB95_5237:
	s_mov_b32 s0, -1
	s_mov_b32 s7, 0
                                        ; implicit-def: $vgpr18_vgpr19
	s_branch .LBB95_5308
.LBB95_5238:
	s_mov_b32 s9, -1
	s_mov_b32 s7, 0
	s_mov_b32 s0, 0
                                        ; implicit-def: $vgpr18_vgpr19
	s_branch .LBB95_5273
.LBB95_5239:
	s_mov_b32 s9, -1
	s_mov_b32 s7, 0
	s_mov_b32 s0, 0
                                        ; implicit-def: $vgpr18_vgpr19
	s_branch .LBB95_5256
.LBB95_5240:
	s_mov_b32 s9, -1
	s_mov_b32 s7, 0
	s_mov_b32 s0, 0
                                        ; implicit-def: $vgpr18_vgpr19
	s_branch .LBB95_5251
.LBB95_5241:
	s_or_b32 s23, s1, exec_lo
	s_trap 2
	s_cbranch_execz .LBB95_5178
	s_branch .LBB95_5179
.LBB95_5242:
	s_mov_b32 s9, -1
	s_mov_b32 s7, 0
	s_mov_b32 s0, 0
	s_branch .LBB95_5245
.LBB95_5243:
	s_or_b32 s54, s54, exec_lo
	s_trap 2
                                        ; implicit-def: $vgpr28_vgpr29
                                        ; implicit-def: $vgpr26_vgpr27
                                        ; implicit-def: $vgpr24_vgpr25
                                        ; implicit-def: $vgpr32_vgpr33
                                        ; implicit-def: $vgpr6
                                        ; implicit-def: $vgpr4
                                        ; implicit-def: $vgpr2
                                        ; implicit-def: $vgpr14
                                        ; implicit-def: $vgpr10
                                        ; implicit-def: $vgpr18
                                        ; implicit-def: $vgpr16
                                        ; implicit-def: $vgpr0
                                        ; implicit-def: $vgpr20
                                        ; implicit-def: $vgpr8_vgpr9
                                        ; implicit-def: $vgpr12_vgpr13
	s_branch .LBB95_5076
.LBB95_5244:
	s_mov_b32 s0, -1
	s_mov_b32 s7, 0
.LBB95_5245:
                                        ; implicit-def: $vgpr18_vgpr19
.LBB95_5246:
	s_and_b32 vcc_lo, exec_lo, s9
	s_cbranch_vccz .LBB95_5250
; %bb.5247:
	s_cmp_eq_u32 s56, 44
	s_cbranch_scc0 .LBB95_5249
; %bb.5248:
	global_load_u8 v1, v[22:23], off
	s_mov_b32 s0, 0
	s_mov_b32 s7, -1
	s_wait_loadcnt 0x0
	v_lshlrev_b32_e32 v3, 23, v1
	v_cmp_ne_u32_e32 vcc_lo, 0, v1
	s_delay_alu instid0(VALU_DEP_2) | instskip(NEXT) | instid1(VALU_DEP_1)
	v_trunc_f32_e32 v3, v3
	v_mul_f32_e64 v5, 0x2f800000, |v3|
	v_ashrrev_i32_e32 v18, 31, v3
	s_delay_alu instid0(VALU_DEP_2) | instskip(NEXT) | instid1(VALU_DEP_2)
	v_floor_f32_e32 v5, v5
	v_mov_b32_e32 v19, v18
	s_delay_alu instid0(VALU_DEP_2) | instskip(SKIP_1) | instid1(VALU_DEP_2)
	v_fma_f32 v7, 0xcf800000, v5, |v3|
	v_cvt_u32_f32_e32 v3, v5
	v_cvt_u32_f32_e32 v5, v7
	s_delay_alu instid0(VALU_DEP_2) | instskip(NEXT) | instid1(VALU_DEP_2)
	v_xor_b32_e32 v25, v3, v18
	v_xor_b32_e32 v24, v5, v18
	s_delay_alu instid0(VALU_DEP_1) | instskip(NEXT) | instid1(VALU_DEP_1)
	v_sub_nc_u64_e32 v[18:19], v[24:25], v[18:19]
	v_dual_cndmask_b32 v19, 0, v19 :: v_dual_cndmask_b32 v18, 0, v18
	s_branch .LBB95_5250
.LBB95_5249:
	s_mov_b32 s0, -1
                                        ; implicit-def: $vgpr18_vgpr19
.LBB95_5250:
	s_mov_b32 s9, 0
.LBB95_5251:
	s_delay_alu instid0(SALU_CYCLE_1)
	s_and_b32 vcc_lo, exec_lo, s9
	s_cbranch_vccz .LBB95_5255
; %bb.5252:
	s_cmp_eq_u32 s56, 29
	s_cbranch_scc0 .LBB95_5254
; %bb.5253:
	global_load_b64 v[18:19], v[22:23], off
	s_mov_b32 s0, 0
	s_mov_b32 s7, -1
	s_branch .LBB95_5255
.LBB95_5254:
	s_mov_b32 s0, -1
                                        ; implicit-def: $vgpr18_vgpr19
.LBB95_5255:
	s_mov_b32 s9, 0
.LBB95_5256:
	s_delay_alu instid0(SALU_CYCLE_1)
	s_and_b32 vcc_lo, exec_lo, s9
	s_cbranch_vccz .LBB95_5272
; %bb.5257:
	s_cmp_lt_i32 s56, 27
	s_cbranch_scc1 .LBB95_5260
; %bb.5258:
	s_cmp_gt_i32 s56, 27
	s_cbranch_scc0 .LBB95_5261
; %bb.5259:
	s_wait_loadcnt 0x0
	global_load_b32 v18, v[22:23], off
	v_mov_b32_e32 v19, 0
	s_mov_b32 s7, 0
	s_branch .LBB95_5262
.LBB95_5260:
	s_mov_b32 s7, -1
                                        ; implicit-def: $vgpr18_vgpr19
	s_branch .LBB95_5265
.LBB95_5261:
	s_mov_b32 s7, -1
                                        ; implicit-def: $vgpr18_vgpr19
.LBB95_5262:
	s_delay_alu instid0(SALU_CYCLE_1)
	s_and_not1_b32 vcc_lo, exec_lo, s7
	s_cbranch_vccnz .LBB95_5264
; %bb.5263:
	global_load_u16 v1, v[22:23], off
	s_mov_b32 s7, 0
	s_wait_loadcnt 0x1
	v_mov_b32_e32 v19, s7
	s_wait_loadcnt 0x0
	v_and_b32_e32 v18, 0xffff, v1
.LBB95_5264:
	s_mov_b32 s7, 0
.LBB95_5265:
	s_delay_alu instid0(SALU_CYCLE_1)
	s_and_not1_b32 vcc_lo, exec_lo, s7
	s_cbranch_vccnz .LBB95_5271
; %bb.5266:
	global_load_u8 v1, v[22:23], off
	s_mov_b32 s9, 0
	s_mov_b32 s7, exec_lo
	s_wait_loadcnt 0x0
	v_cmpx_lt_i16_e32 0x7f, v1
	s_xor_b32 s7, exec_lo, s7
	s_cbranch_execz .LBB95_5283
; %bb.5267:
	v_cmp_ne_u16_e32 vcc_lo, 0x80, v1
	s_and_b32 s9, vcc_lo, exec_lo
	s_and_not1_saveexec_b32 s7, s7
	s_cbranch_execnz .LBB95_5284
.LBB95_5268:
	s_or_b32 exec_lo, exec_lo, s7
	v_mov_b64_e32 v[18:19], 0
	s_and_saveexec_b32 s7, s9
	s_cbranch_execz .LBB95_5270
.LBB95_5269:
	v_and_b32_e32 v3, 0xffff, v1
	s_delay_alu instid0(VALU_DEP_1) | instskip(SKIP_1) | instid1(VALU_DEP_2)
	v_dual_lshlrev_b32 v1, 24, v1 :: v_dual_bitop2_b32 v5, 7, v3 bitop3:0x40
	v_bfe_u32 v15, v3, 3, 4
	v_and_b32_e32 v1, 0x80000000, v1
	s_delay_alu instid0(VALU_DEP_3) | instskip(NEXT) | instid1(VALU_DEP_3)
	v_clz_i32_u32_e32 v7, v5
	v_cmp_eq_u32_e32 vcc_lo, 0, v15
	s_delay_alu instid0(VALU_DEP_2) | instskip(NEXT) | instid1(VALU_DEP_1)
	v_min_u32_e32 v7, 32, v7
	v_subrev_nc_u32_e32 v11, 28, v7
	v_sub_nc_u32_e32 v7, 29, v7
	s_delay_alu instid0(VALU_DEP_2) | instskip(NEXT) | instid1(VALU_DEP_2)
	v_lshlrev_b32_e32 v3, v11, v3
	v_cndmask_b32_e32 v7, v15, v7, vcc_lo
	s_delay_alu instid0(VALU_DEP_2) | instskip(NEXT) | instid1(VALU_DEP_1)
	v_and_b32_e32 v3, 7, v3
	v_cndmask_b32_e32 v3, v5, v3, vcc_lo
	s_delay_alu instid0(VALU_DEP_3) | instskip(NEXT) | instid1(VALU_DEP_2)
	v_lshl_add_u32 v5, v7, 23, 0x3b800000
	v_lshlrev_b32_e32 v3, 20, v3
	s_delay_alu instid0(VALU_DEP_1) | instskip(NEXT) | instid1(VALU_DEP_1)
	v_or3_b32 v1, v1, v5, v3
	v_trunc_f32_e32 v1, v1
	s_delay_alu instid0(VALU_DEP_1) | instskip(SKIP_1) | instid1(VALU_DEP_2)
	v_mul_f32_e64 v3, 0x2f800000, |v1|
	v_ashrrev_i32_e32 v18, 31, v1
	v_floor_f32_e32 v3, v3
	s_delay_alu instid0(VALU_DEP_2) | instskip(NEXT) | instid1(VALU_DEP_2)
	v_mov_b32_e32 v19, v18
	v_fma_f32 v5, 0xcf800000, v3, |v1|
	v_cvt_u32_f32_e32 v1, v3
	s_delay_alu instid0(VALU_DEP_2) | instskip(NEXT) | instid1(VALU_DEP_2)
	v_cvt_u32_f32_e32 v3, v5
	v_xor_b32_e32 v25, v1, v18
	s_delay_alu instid0(VALU_DEP_2) | instskip(NEXT) | instid1(VALU_DEP_1)
	v_xor_b32_e32 v24, v3, v18
	v_sub_nc_u64_e32 v[18:19], v[24:25], v[18:19]
.LBB95_5270:
	s_or_b32 exec_lo, exec_lo, s7
.LBB95_5271:
	s_mov_b32 s7, -1
.LBB95_5272:
	s_mov_b32 s9, 0
.LBB95_5273:
	s_delay_alu instid0(SALU_CYCLE_1)
	s_and_b32 vcc_lo, exec_lo, s9
	s_cbranch_vccz .LBB95_5304
; %bb.5274:
	s_cmp_gt_i32 s56, 22
	s_cbranch_scc0 .LBB95_5282
; %bb.5275:
	s_cmp_lt_i32 s56, 24
	s_cbranch_scc1 .LBB95_5285
; %bb.5276:
	s_cmp_gt_i32 s56, 24
	s_cbranch_scc0 .LBB95_5286
; %bb.5277:
	global_load_u8 v1, v[22:23], off
	s_mov_b32 s7, 0
	s_mov_b32 s6, exec_lo
	s_wait_loadcnt 0x0
	v_cmpx_lt_i16_e32 0x7f, v1
	s_xor_b32 s6, exec_lo, s6
	s_cbranch_execz .LBB95_5298
; %bb.5278:
	v_cmp_ne_u16_e32 vcc_lo, 0x80, v1
	s_and_b32 s7, vcc_lo, exec_lo
	s_and_not1_saveexec_b32 s6, s6
	s_cbranch_execnz .LBB95_5299
.LBB95_5279:
	s_or_b32 exec_lo, exec_lo, s6
	v_mov_b64_e32 v[18:19], 0
	s_and_saveexec_b32 s6, s7
	s_cbranch_execz .LBB95_5281
.LBB95_5280:
	v_and_b32_e32 v3, 0xffff, v1
	s_delay_alu instid0(VALU_DEP_1) | instskip(SKIP_1) | instid1(VALU_DEP_2)
	v_dual_lshlrev_b32 v1, 24, v1 :: v_dual_bitop2_b32 v5, 3, v3 bitop3:0x40
	v_bfe_u32 v15, v3, 2, 5
	v_and_b32_e32 v1, 0x80000000, v1
	s_delay_alu instid0(VALU_DEP_3) | instskip(NEXT) | instid1(VALU_DEP_3)
	v_clz_i32_u32_e32 v7, v5
	v_cmp_eq_u32_e32 vcc_lo, 0, v15
	s_delay_alu instid0(VALU_DEP_2) | instskip(NEXT) | instid1(VALU_DEP_1)
	v_min_u32_e32 v7, 32, v7
	v_subrev_nc_u32_e32 v11, 29, v7
	v_sub_nc_u32_e32 v7, 30, v7
	s_delay_alu instid0(VALU_DEP_2) | instskip(NEXT) | instid1(VALU_DEP_2)
	v_lshlrev_b32_e32 v3, v11, v3
	v_cndmask_b32_e32 v7, v15, v7, vcc_lo
	s_delay_alu instid0(VALU_DEP_2) | instskip(NEXT) | instid1(VALU_DEP_1)
	v_and_b32_e32 v3, 3, v3
	v_cndmask_b32_e32 v3, v5, v3, vcc_lo
	s_delay_alu instid0(VALU_DEP_3) | instskip(NEXT) | instid1(VALU_DEP_2)
	v_lshl_add_u32 v5, v7, 23, 0x37800000
	v_lshlrev_b32_e32 v3, 21, v3
	s_delay_alu instid0(VALU_DEP_1) | instskip(NEXT) | instid1(VALU_DEP_1)
	v_or3_b32 v1, v1, v5, v3
	v_trunc_f32_e32 v1, v1
	s_delay_alu instid0(VALU_DEP_1) | instskip(SKIP_1) | instid1(VALU_DEP_2)
	v_mul_f32_e64 v3, 0x2f800000, |v1|
	v_ashrrev_i32_e32 v18, 31, v1
	v_floor_f32_e32 v3, v3
	s_delay_alu instid0(VALU_DEP_2) | instskip(NEXT) | instid1(VALU_DEP_2)
	v_mov_b32_e32 v19, v18
	v_fma_f32 v5, 0xcf800000, v3, |v1|
	v_cvt_u32_f32_e32 v1, v3
	s_delay_alu instid0(VALU_DEP_2) | instskip(NEXT) | instid1(VALU_DEP_2)
	v_cvt_u32_f32_e32 v3, v5
	v_xor_b32_e32 v25, v1, v18
	s_delay_alu instid0(VALU_DEP_2) | instskip(NEXT) | instid1(VALU_DEP_1)
	v_xor_b32_e32 v24, v3, v18
	v_sub_nc_u64_e32 v[18:19], v[24:25], v[18:19]
.LBB95_5281:
	s_or_b32 exec_lo, exec_lo, s6
	s_mov_b32 s6, 0
	s_branch .LBB95_5287
.LBB95_5282:
	s_mov_b32 s6, -1
                                        ; implicit-def: $vgpr18_vgpr19
	s_branch .LBB95_5293
.LBB95_5283:
	s_and_not1_saveexec_b32 s7, s7
	s_cbranch_execz .LBB95_5268
.LBB95_5284:
	v_cmp_ne_u16_e32 vcc_lo, 0, v1
	s_and_not1_b32 s9, s9, exec_lo
	s_and_b32 s10, vcc_lo, exec_lo
	s_delay_alu instid0(SALU_CYCLE_1)
	s_or_b32 s9, s9, s10
	s_or_b32 exec_lo, exec_lo, s7
	v_mov_b64_e32 v[18:19], 0
	s_and_saveexec_b32 s7, s9
	s_cbranch_execnz .LBB95_5269
	s_branch .LBB95_5270
.LBB95_5285:
	s_mov_b32 s6, -1
                                        ; implicit-def: $vgpr18_vgpr19
	s_branch .LBB95_5290
.LBB95_5286:
	s_mov_b32 s6, -1
                                        ; implicit-def: $vgpr18_vgpr19
.LBB95_5287:
	s_delay_alu instid0(SALU_CYCLE_1)
	s_and_b32 vcc_lo, exec_lo, s6
	s_cbranch_vccz .LBB95_5289
; %bb.5288:
	global_load_u8 v1, v[22:23], off
	s_wait_loadcnt 0x0
	v_lshlrev_b32_e32 v1, 24, v1
	s_delay_alu instid0(VALU_DEP_1) | instskip(NEXT) | instid1(VALU_DEP_1)
	v_and_b32_e32 v3, 0x7f000000, v1
	v_clz_i32_u32_e32 v5, v3
	v_add_nc_u32_e32 v11, 0x1000000, v3
	v_cmp_ne_u32_e32 vcc_lo, 0, v3
	s_delay_alu instid0(VALU_DEP_3) | instskip(NEXT) | instid1(VALU_DEP_1)
	v_min_u32_e32 v5, 32, v5
	v_sub_nc_u32_e64 v5, v5, 4 clamp
	s_delay_alu instid0(VALU_DEP_1) | instskip(NEXT) | instid1(VALU_DEP_1)
	v_dual_lshlrev_b32 v7, v5, v3 :: v_dual_lshlrev_b32 v5, 23, v5
	v_lshrrev_b32_e32 v7, 4, v7
	s_delay_alu instid0(VALU_DEP_1) | instskip(NEXT) | instid1(VALU_DEP_1)
	v_dual_sub_nc_u32 v5, v7, v5 :: v_dual_ashrrev_i32 v7, 8, v11
	v_add_nc_u32_e32 v5, 0x3c000000, v5
	s_delay_alu instid0(VALU_DEP_1) | instskip(NEXT) | instid1(VALU_DEP_1)
	v_and_or_b32 v5, 0x7f800000, v7, v5
	v_cndmask_b32_e32 v3, 0, v5, vcc_lo
	s_delay_alu instid0(VALU_DEP_1) | instskip(NEXT) | instid1(VALU_DEP_1)
	v_and_or_b32 v1, 0x80000000, v1, v3
	v_trunc_f32_e32 v1, v1
	s_delay_alu instid0(VALU_DEP_1) | instskip(SKIP_1) | instid1(VALU_DEP_2)
	v_mul_f32_e64 v3, 0x2f800000, |v1|
	v_ashrrev_i32_e32 v18, 31, v1
	v_floor_f32_e32 v3, v3
	s_delay_alu instid0(VALU_DEP_2) | instskip(NEXT) | instid1(VALU_DEP_2)
	v_mov_b32_e32 v19, v18
	v_fma_f32 v5, 0xcf800000, v3, |v1|
	v_cvt_u32_f32_e32 v1, v3
	s_delay_alu instid0(VALU_DEP_2) | instskip(NEXT) | instid1(VALU_DEP_2)
	v_cvt_u32_f32_e32 v3, v5
	v_xor_b32_e32 v25, v1, v18
	s_delay_alu instid0(VALU_DEP_2) | instskip(NEXT) | instid1(VALU_DEP_1)
	v_xor_b32_e32 v24, v3, v18
	v_sub_nc_u64_e32 v[18:19], v[24:25], v[18:19]
.LBB95_5289:
	s_mov_b32 s6, 0
.LBB95_5290:
	s_delay_alu instid0(SALU_CYCLE_1)
	s_and_not1_b32 vcc_lo, exec_lo, s6
	s_cbranch_vccnz .LBB95_5292
; %bb.5291:
	global_load_u8 v1, v[22:23], off
	s_wait_loadcnt 0x0
	v_lshlrev_b32_e32 v3, 25, v1
	v_lshlrev_b16 v1, 8, v1
	s_delay_alu instid0(VALU_DEP_1) | instskip(SKIP_1) | instid1(VALU_DEP_2)
	v_and_or_b32 v7, 0x7f00, v1, 0.5
	v_bfe_i32 v1, v1, 0, 16
	v_add_f32_e32 v7, -0.5, v7
	v_lshrrev_b32_e32 v5, 4, v3
	v_cmp_gt_u32_e32 vcc_lo, 0x8000000, v3
	s_delay_alu instid0(VALU_DEP_2) | instskip(NEXT) | instid1(VALU_DEP_1)
	v_or_b32_e32 v5, 0x70000000, v5
	v_mul_f32_e32 v5, 0x7800000, v5
	s_delay_alu instid0(VALU_DEP_1) | instskip(NEXT) | instid1(VALU_DEP_1)
	v_cndmask_b32_e32 v3, v5, v7, vcc_lo
	v_and_or_b32 v1, 0x80000000, v1, v3
	s_delay_alu instid0(VALU_DEP_1) | instskip(NEXT) | instid1(VALU_DEP_1)
	v_trunc_f32_e32 v1, v1
	v_mul_f32_e64 v3, 0x2f800000, |v1|
	v_ashrrev_i32_e32 v18, 31, v1
	s_delay_alu instid0(VALU_DEP_2) | instskip(NEXT) | instid1(VALU_DEP_2)
	v_floor_f32_e32 v3, v3
	v_mov_b32_e32 v19, v18
	s_delay_alu instid0(VALU_DEP_2) | instskip(SKIP_1) | instid1(VALU_DEP_2)
	v_fma_f32 v5, 0xcf800000, v3, |v1|
	v_cvt_u32_f32_e32 v1, v3
	v_cvt_u32_f32_e32 v3, v5
	s_delay_alu instid0(VALU_DEP_2) | instskip(NEXT) | instid1(VALU_DEP_2)
	v_xor_b32_e32 v25, v1, v18
	v_xor_b32_e32 v24, v3, v18
	s_delay_alu instid0(VALU_DEP_1)
	v_sub_nc_u64_e32 v[18:19], v[24:25], v[18:19]
.LBB95_5292:
	s_mov_b32 s6, 0
	s_mov_b32 s7, -1
.LBB95_5293:
	s_and_not1_b32 vcc_lo, exec_lo, s6
	s_mov_b32 s6, 0
	s_cbranch_vccnz .LBB95_5304
; %bb.5294:
	s_cmp_gt_i32 s56, 14
	s_cbranch_scc0 .LBB95_5297
; %bb.5295:
	s_cmp_eq_u32 s56, 15
	s_cbranch_scc0 .LBB95_5300
; %bb.5296:
	global_load_u16 v1, v[22:23], off
	s_mov_b32 s0, 0
	s_mov_b32 s7, -1
	s_wait_loadcnt 0x0
	v_lshlrev_b32_e32 v1, 16, v1
	s_delay_alu instid0(VALU_DEP_1) | instskip(NEXT) | instid1(VALU_DEP_1)
	v_trunc_f32_e32 v1, v1
	v_mul_f32_e64 v3, 0x2f800000, |v1|
	v_ashrrev_i32_e32 v18, 31, v1
	s_delay_alu instid0(VALU_DEP_2) | instskip(NEXT) | instid1(VALU_DEP_2)
	v_floor_f32_e32 v3, v3
	v_mov_b32_e32 v19, v18
	s_delay_alu instid0(VALU_DEP_2) | instskip(SKIP_1) | instid1(VALU_DEP_2)
	v_fma_f32 v5, 0xcf800000, v3, |v1|
	v_cvt_u32_f32_e32 v1, v3
	v_cvt_u32_f32_e32 v3, v5
	s_delay_alu instid0(VALU_DEP_2) | instskip(NEXT) | instid1(VALU_DEP_2)
	v_xor_b32_e32 v25, v1, v18
	v_xor_b32_e32 v24, v3, v18
	s_delay_alu instid0(VALU_DEP_1)
	v_sub_nc_u64_e32 v[18:19], v[24:25], v[18:19]
	s_branch .LBB95_5302
.LBB95_5297:
	s_mov_b32 s6, -1
	s_branch .LBB95_5301
.LBB95_5298:
	s_and_not1_saveexec_b32 s6, s6
	s_cbranch_execz .LBB95_5279
.LBB95_5299:
	v_cmp_ne_u16_e32 vcc_lo, 0, v1
	s_and_not1_b32 s7, s7, exec_lo
	s_and_b32 s9, vcc_lo, exec_lo
	s_delay_alu instid0(SALU_CYCLE_1)
	s_or_b32 s7, s7, s9
	s_or_b32 exec_lo, exec_lo, s6
	v_mov_b64_e32 v[18:19], 0
	s_and_saveexec_b32 s6, s7
	s_cbranch_execnz .LBB95_5280
	s_branch .LBB95_5281
.LBB95_5300:
	s_mov_b32 s0, -1
.LBB95_5301:
                                        ; implicit-def: $vgpr18_vgpr19
.LBB95_5302:
	s_and_b32 vcc_lo, exec_lo, s6
	s_mov_b32 s6, 0
	s_cbranch_vccz .LBB95_5304
; %bb.5303:
	s_cmp_lg_u32 s56, 11
	s_mov_b32 s6, -1
	s_cselect_b32 s0, -1, 0
.LBB95_5304:
	s_delay_alu instid0(SALU_CYCLE_1)
	s_and_b32 vcc_lo, exec_lo, s0
	s_cbranch_vccnz .LBB95_5369
; %bb.5305:
	s_and_not1_b32 vcc_lo, exec_lo, s6
	s_cbranch_vccnz .LBB95_5307
.LBB95_5306:
	global_load_u8 v1, v[22:23], off
	s_mov_b32 s0, 0
	s_mov_b32 s7, -1
	s_wait_loadcnt 0x1
	v_mov_b32_e32 v19, s0
	s_wait_loadcnt 0x0
	v_cmp_ne_u16_e32 vcc_lo, 0, v1
	v_cndmask_b32_e64 v18, 0, 1, vcc_lo
.LBB95_5307:
	s_mov_b32 s0, 0
.LBB95_5308:
	s_delay_alu instid0(SALU_CYCLE_1)
	s_and_b32 vcc_lo, exec_lo, s0
	s_cbranch_vccz .LBB95_5357
; %bb.5309:
	s_cmp_lt_i32 s56, 5
	s_cbranch_scc1 .LBB95_5314
; %bb.5310:
	s_cmp_lt_i32 s56, 8
	s_cbranch_scc1 .LBB95_5315
	;; [unrolled: 3-line block ×3, first 2 shown]
; %bb.5312:
	s_cmp_gt_i32 s56, 9
	s_cbranch_scc0 .LBB95_5317
; %bb.5313:
	s_wait_loadcnt 0x0
	global_load_b64 v[18:19], v[22:23], off
	s_mov_b32 s0, 0
	s_wait_loadcnt 0x0
	v_trunc_f64_e32 v[18:19], v[18:19]
	s_delay_alu instid0(VALU_DEP_1) | instskip(NEXT) | instid1(VALU_DEP_1)
	v_ldexp_f64 v[24:25], v[18:19], 0xffffffe0
	v_floor_f64_e32 v[24:25], v[24:25]
	s_delay_alu instid0(VALU_DEP_1) | instskip(SKIP_1) | instid1(VALU_DEP_2)
	v_fmamk_f64 v[26:27], v[24:25], 0xc1f00000, v[18:19]
	v_cvt_i32_f64_e32 v19, v[24:25]
	v_cvt_u32_f64_e32 v18, v[26:27]
	s_branch .LBB95_5318
.LBB95_5314:
	s_mov_b32 s0, -1
                                        ; implicit-def: $vgpr18_vgpr19
	s_branch .LBB95_5336
.LBB95_5315:
	s_mov_b32 s0, -1
                                        ; implicit-def: $vgpr18_vgpr19
	s_branch .LBB95_5324
.LBB95_5316:
	s_mov_b32 s0, -1
                                        ; implicit-def: $vgpr18_vgpr19
	s_branch .LBB95_5321
.LBB95_5317:
	s_mov_b32 s0, -1
                                        ; implicit-def: $vgpr18_vgpr19
.LBB95_5318:
	s_delay_alu instid0(SALU_CYCLE_1)
	s_and_not1_b32 vcc_lo, exec_lo, s0
	s_cbranch_vccnz .LBB95_5320
; %bb.5319:
	global_load_b32 v1, v[22:23], off
	s_wait_loadcnt 0x0
	v_trunc_f32_e32 v1, v1
	s_delay_alu instid0(VALU_DEP_1) | instskip(SKIP_1) | instid1(VALU_DEP_2)
	v_mul_f32_e64 v3, 0x2f800000, |v1|
	v_ashrrev_i32_e32 v18, 31, v1
	v_floor_f32_e32 v3, v3
	s_delay_alu instid0(VALU_DEP_1) | instskip(SKIP_1) | instid1(VALU_DEP_4)
	v_fma_f32 v5, 0xcf800000, v3, |v1|
	v_cvt_u32_f32_e32 v1, v3
	v_mov_b32_e32 v19, v18
	s_delay_alu instid0(VALU_DEP_3) | instskip(NEXT) | instid1(VALU_DEP_3)
	v_cvt_u32_f32_e32 v3, v5
	v_xor_b32_e32 v25, v1, v18
	s_delay_alu instid0(VALU_DEP_2) | instskip(NEXT) | instid1(VALU_DEP_1)
	v_xor_b32_e32 v24, v3, v18
	v_sub_nc_u64_e32 v[18:19], v[24:25], v[18:19]
.LBB95_5320:
	s_mov_b32 s0, 0
.LBB95_5321:
	s_delay_alu instid0(SALU_CYCLE_1)
	s_and_not1_b32 vcc_lo, exec_lo, s0
	s_cbranch_vccnz .LBB95_5323
; %bb.5322:
	global_load_b32 v1, v[22:23], off
	s_wait_loadcnt 0x0
	v_cvt_f32_f16_e32 v1, v1
	s_delay_alu instid0(VALU_DEP_1) | instskip(NEXT) | instid1(VALU_DEP_1)
	v_cvt_i32_f32_e32 v18, v1
	v_ashrrev_i32_e32 v19, 31, v18
.LBB95_5323:
	s_mov_b32 s0, 0
.LBB95_5324:
	s_delay_alu instid0(SALU_CYCLE_1)
	s_and_not1_b32 vcc_lo, exec_lo, s0
	s_cbranch_vccnz .LBB95_5335
; %bb.5325:
	s_cmp_lt_i32 s56, 6
	s_cbranch_scc1 .LBB95_5328
; %bb.5326:
	s_cmp_gt_i32 s56, 6
	s_cbranch_scc0 .LBB95_5329
; %bb.5327:
	s_wait_loadcnt 0x0
	global_load_b64 v[18:19], v[22:23], off
	s_mov_b32 s0, 0
	s_wait_loadcnt 0x0
	v_trunc_f64_e32 v[18:19], v[18:19]
	s_delay_alu instid0(VALU_DEP_1) | instskip(NEXT) | instid1(VALU_DEP_1)
	v_ldexp_f64 v[24:25], v[18:19], 0xffffffe0
	v_floor_f64_e32 v[24:25], v[24:25]
	s_delay_alu instid0(VALU_DEP_1) | instskip(SKIP_1) | instid1(VALU_DEP_2)
	v_fmamk_f64 v[26:27], v[24:25], 0xc1f00000, v[18:19]
	v_cvt_i32_f64_e32 v19, v[24:25]
	v_cvt_u32_f64_e32 v18, v[26:27]
	s_branch .LBB95_5330
.LBB95_5328:
	s_mov_b32 s0, -1
                                        ; implicit-def: $vgpr18_vgpr19
	s_branch .LBB95_5333
.LBB95_5329:
	s_mov_b32 s0, -1
                                        ; implicit-def: $vgpr18_vgpr19
.LBB95_5330:
	s_delay_alu instid0(SALU_CYCLE_1)
	s_and_not1_b32 vcc_lo, exec_lo, s0
	s_cbranch_vccnz .LBB95_5332
; %bb.5331:
	global_load_b32 v1, v[22:23], off
	s_wait_loadcnt 0x0
	v_trunc_f32_e32 v1, v1
	s_delay_alu instid0(VALU_DEP_1) | instskip(SKIP_1) | instid1(VALU_DEP_2)
	v_mul_f32_e64 v3, 0x2f800000, |v1|
	v_ashrrev_i32_e32 v18, 31, v1
	v_floor_f32_e32 v3, v3
	s_delay_alu instid0(VALU_DEP_1) | instskip(SKIP_1) | instid1(VALU_DEP_4)
	v_fma_f32 v5, 0xcf800000, v3, |v1|
	v_cvt_u32_f32_e32 v1, v3
	v_mov_b32_e32 v19, v18
	s_delay_alu instid0(VALU_DEP_3) | instskip(NEXT) | instid1(VALU_DEP_3)
	v_cvt_u32_f32_e32 v3, v5
	v_xor_b32_e32 v25, v1, v18
	s_delay_alu instid0(VALU_DEP_2) | instskip(NEXT) | instid1(VALU_DEP_1)
	v_xor_b32_e32 v24, v3, v18
	v_sub_nc_u64_e32 v[18:19], v[24:25], v[18:19]
.LBB95_5332:
	s_mov_b32 s0, 0
.LBB95_5333:
	s_delay_alu instid0(SALU_CYCLE_1)
	s_and_not1_b32 vcc_lo, exec_lo, s0
	s_cbranch_vccnz .LBB95_5335
; %bb.5334:
	global_load_u16 v1, v[22:23], off
	s_wait_loadcnt 0x0
	v_cvt_f32_f16_e32 v1, v1
	s_delay_alu instid0(VALU_DEP_1) | instskip(NEXT) | instid1(VALU_DEP_1)
	v_cvt_i32_f32_e32 v18, v1
	v_ashrrev_i32_e32 v19, 31, v18
.LBB95_5335:
	s_mov_b32 s0, 0
.LBB95_5336:
	s_delay_alu instid0(SALU_CYCLE_1)
	s_and_not1_b32 vcc_lo, exec_lo, s0
	s_cbranch_vccnz .LBB95_5356
; %bb.5337:
	s_cmp_lt_i32 s56, 2
	s_cbranch_scc1 .LBB95_5341
; %bb.5338:
	s_cmp_lt_i32 s56, 3
	s_cbranch_scc1 .LBB95_5342
; %bb.5339:
	s_cmp_gt_i32 s56, 3
	s_cbranch_scc0 .LBB95_5343
; %bb.5340:
	s_wait_loadcnt 0x0
	global_load_b64 v[18:19], v[22:23], off
	s_mov_b32 s0, 0
	s_branch .LBB95_5344
.LBB95_5341:
	s_mov_b32 s0, -1
                                        ; implicit-def: $vgpr18_vgpr19
	s_branch .LBB95_5350
.LBB95_5342:
	s_mov_b32 s0, -1
                                        ; implicit-def: $vgpr18_vgpr19
	s_branch .LBB95_5347
.LBB95_5343:
	s_mov_b32 s0, -1
                                        ; implicit-def: $vgpr18_vgpr19
.LBB95_5344:
	s_delay_alu instid0(SALU_CYCLE_1)
	s_and_not1_b32 vcc_lo, exec_lo, s0
	s_cbranch_vccnz .LBB95_5346
; %bb.5345:
	s_wait_loadcnt 0x0
	global_load_b32 v18, v[22:23], off
	s_wait_loadcnt 0x0
	v_ashrrev_i32_e32 v19, 31, v18
.LBB95_5346:
	s_mov_b32 s0, 0
.LBB95_5347:
	s_delay_alu instid0(SALU_CYCLE_1)
	s_and_not1_b32 vcc_lo, exec_lo, s0
	s_cbranch_vccnz .LBB95_5349
; %bb.5348:
	global_load_u16 v1, v[22:23], off
	s_wait_loadcnt 0x0
	v_bfe_i32 v18, v1, 0, 16
	s_delay_alu instid0(VALU_DEP_1)
	v_ashrrev_i32_e32 v19, 31, v18
.LBB95_5349:
	s_mov_b32 s0, 0
.LBB95_5350:
	s_delay_alu instid0(SALU_CYCLE_1)
	s_and_not1_b32 vcc_lo, exec_lo, s0
	s_cbranch_vccnz .LBB95_5356
; %bb.5351:
	s_cmp_gt_i32 s56, 0
	s_mov_b32 s0, 0
	s_cbranch_scc0 .LBB95_5353
; %bb.5352:
	global_load_i8 v1, v[22:23], off
	s_wait_loadcnt 0x0
	v_bfe_i32 v18, v1, 0, 16
	s_delay_alu instid0(VALU_DEP_1)
	v_ashrrev_i32_e32 v19, 31, v18
	s_branch .LBB95_5354
.LBB95_5353:
	s_mov_b32 s0, -1
                                        ; implicit-def: $vgpr18_vgpr19
.LBB95_5354:
	s_delay_alu instid0(SALU_CYCLE_1)
	s_and_not1_b32 vcc_lo, exec_lo, s0
	s_cbranch_vccnz .LBB95_5356
; %bb.5355:
	global_load_u8 v1, v[22:23], off
	s_mov_b32 s0, 0
	s_wait_loadcnt 0x1
	v_mov_b32_e32 v19, s0
	s_wait_loadcnt 0x0
	v_and_b32_e32 v18, 0xffff, v1
.LBB95_5356:
	s_mov_b32 s7, -1
.LBB95_5357:
	s_delay_alu instid0(SALU_CYCLE_1)
	s_and_not1_b32 vcc_lo, exec_lo, s7
	s_cbranch_vccnz .LBB95_5749
; %bb.5358:
	v_mov_b32_e32 v17, 0
	s_cmp_lt_i32 s57, 11
	s_wait_xcnt 0x0
	s_delay_alu instid0(VALU_DEP_1)
	v_add_nc_u64_e32 v[22:23], s[12:13], v[16:17]
	s_cbranch_scc1 .LBB95_5365
; %bb.5359:
	s_cmp_gt_i32 s57, 25
	s_mov_b32 s6, 0
	s_cbranch_scc0 .LBB95_5366
; %bb.5360:
	s_cmp_gt_i32 s57, 28
	s_cbranch_scc0 .LBB95_5367
; %bb.5361:
	s_cmp_gt_i32 s57, 43
	;; [unrolled: 3-line block ×3, first 2 shown]
	s_cbranch_scc0 .LBB95_5370
; %bb.5363:
	s_cmp_eq_u32 s57, 46
	s_mov_b32 s9, 0
	s_cbranch_scc0 .LBB95_5372
; %bb.5364:
	global_load_b32 v1, v[22:23], off
	s_mov_b32 s0, 0
	s_mov_b32 s7, -1
	s_wait_loadcnt 0x0
	v_lshlrev_b32_e32 v1, 16, v1
	s_delay_alu instid0(VALU_DEP_1) | instskip(NEXT) | instid1(VALU_DEP_1)
	v_trunc_f32_e32 v1, v1
	v_mul_f32_e64 v3, 0x2f800000, |v1|
	v_ashrrev_i32_e32 v16, 31, v1
	s_delay_alu instid0(VALU_DEP_2) | instskip(NEXT) | instid1(VALU_DEP_2)
	v_floor_f32_e32 v3, v3
	v_mov_b32_e32 v17, v16
	s_delay_alu instid0(VALU_DEP_2) | instskip(SKIP_1) | instid1(VALU_DEP_2)
	v_fma_f32 v5, 0xcf800000, v3, |v1|
	v_cvt_u32_f32_e32 v1, v3
	v_cvt_u32_f32_e32 v3, v5
	s_delay_alu instid0(VALU_DEP_2) | instskip(NEXT) | instid1(VALU_DEP_2)
	v_xor_b32_e32 v25, v1, v16
	v_xor_b32_e32 v24, v3, v16
	s_delay_alu instid0(VALU_DEP_1)
	v_sub_nc_u64_e32 v[16:17], v[24:25], v[16:17]
	s_branch .LBB95_5374
.LBB95_5365:
	s_mov_b32 s0, -1
	s_mov_b32 s7, 0
                                        ; implicit-def: $vgpr16_vgpr17
	s_branch .LBB95_5436
.LBB95_5366:
	s_mov_b32 s9, -1
	s_mov_b32 s7, 0
	s_mov_b32 s0, 0
                                        ; implicit-def: $vgpr16_vgpr17
	s_branch .LBB95_5401
.LBB95_5367:
	s_mov_b32 s9, -1
	s_mov_b32 s7, 0
	s_mov_b32 s0, 0
                                        ; implicit-def: $vgpr16_vgpr17
	s_branch .LBB95_5384
.LBB95_5368:
	s_mov_b32 s9, -1
	s_mov_b32 s7, 0
	s_mov_b32 s0, 0
                                        ; implicit-def: $vgpr16_vgpr17
	s_branch .LBB95_5379
.LBB95_5369:
	s_or_b32 s23, s23, exec_lo
	s_trap 2
	s_cbranch_execz .LBB95_5306
	s_branch .LBB95_5307
.LBB95_5370:
	s_mov_b32 s9, -1
	s_mov_b32 s7, 0
	s_mov_b32 s0, 0
	s_branch .LBB95_5373
.LBB95_5371:
	s_or_b32 s61, s54, exec_lo
	s_trap 2
                                        ; implicit-def: $vgpr26_vgpr27
                                        ; implicit-def: $vgpr24_vgpr25
                                        ; implicit-def: $vgpr32_vgpr33
                                        ; implicit-def: $vgpr6
                                        ; implicit-def: $vgpr4
                                        ; implicit-def: $vgpr2
                                        ; implicit-def: $vgpr14
                                        ; implicit-def: $vgpr10
                                        ; implicit-def: $vgpr18
                                        ; implicit-def: $vgpr16
                                        ; implicit-def: $vgpr0
                                        ; implicit-def: $vgpr20
                                        ; implicit-def: $vgpr8_vgpr9
                                        ; implicit-def: $vgpr12_vgpr13
	s_or_saveexec_b32 s62, s0
                                        ; implicit-def: $vgpr42_vgpr43
                                        ; implicit-def: $sgpr0
	s_delay_alu instid0(SALU_CYCLE_1)
	s_xor_b32 exec_lo, exec_lo, s62
	s_cbranch_execz .LBB95_5753
	s_branch .LBB95_5079
.LBB95_5372:
	s_mov_b32 s0, -1
	s_mov_b32 s7, 0
.LBB95_5373:
                                        ; implicit-def: $vgpr16_vgpr17
.LBB95_5374:
	s_and_b32 vcc_lo, exec_lo, s9
	s_cbranch_vccz .LBB95_5378
; %bb.5375:
	s_cmp_eq_u32 s57, 44
	s_cbranch_scc0 .LBB95_5377
; %bb.5376:
	global_load_u8 v1, v[22:23], off
	s_mov_b32 s0, 0
	s_mov_b32 s7, -1
	s_wait_loadcnt 0x0
	v_lshlrev_b32_e32 v3, 23, v1
	v_cmp_ne_u32_e32 vcc_lo, 0, v1
	s_delay_alu instid0(VALU_DEP_2) | instskip(NEXT) | instid1(VALU_DEP_1)
	v_trunc_f32_e32 v3, v3
	v_mul_f32_e64 v5, 0x2f800000, |v3|
	v_ashrrev_i32_e32 v16, 31, v3
	s_delay_alu instid0(VALU_DEP_2) | instskip(NEXT) | instid1(VALU_DEP_2)
	v_floor_f32_e32 v5, v5
	v_mov_b32_e32 v17, v16
	s_delay_alu instid0(VALU_DEP_2) | instskip(SKIP_1) | instid1(VALU_DEP_2)
	v_fma_f32 v7, 0xcf800000, v5, |v3|
	v_cvt_u32_f32_e32 v3, v5
	v_cvt_u32_f32_e32 v5, v7
	s_delay_alu instid0(VALU_DEP_2) | instskip(NEXT) | instid1(VALU_DEP_2)
	v_xor_b32_e32 v25, v3, v16
	v_xor_b32_e32 v24, v5, v16
	s_delay_alu instid0(VALU_DEP_1) | instskip(NEXT) | instid1(VALU_DEP_1)
	v_sub_nc_u64_e32 v[16:17], v[24:25], v[16:17]
	v_dual_cndmask_b32 v17, 0, v17 :: v_dual_cndmask_b32 v16, 0, v16
	s_branch .LBB95_5378
.LBB95_5377:
	s_mov_b32 s0, -1
                                        ; implicit-def: $vgpr16_vgpr17
.LBB95_5378:
	s_mov_b32 s9, 0
.LBB95_5379:
	s_delay_alu instid0(SALU_CYCLE_1)
	s_and_b32 vcc_lo, exec_lo, s9
	s_cbranch_vccz .LBB95_5383
; %bb.5380:
	s_cmp_eq_u32 s57, 29
	s_cbranch_scc0 .LBB95_5382
; %bb.5381:
	global_load_b64 v[16:17], v[22:23], off
	s_mov_b32 s0, 0
	s_mov_b32 s7, -1
	s_branch .LBB95_5383
.LBB95_5382:
	s_mov_b32 s0, -1
                                        ; implicit-def: $vgpr16_vgpr17
.LBB95_5383:
	s_mov_b32 s9, 0
.LBB95_5384:
	s_delay_alu instid0(SALU_CYCLE_1)
	s_and_b32 vcc_lo, exec_lo, s9
	s_cbranch_vccz .LBB95_5400
; %bb.5385:
	s_cmp_lt_i32 s57, 27
	s_cbranch_scc1 .LBB95_5388
; %bb.5386:
	s_cmp_gt_i32 s57, 27
	s_cbranch_scc0 .LBB95_5389
; %bb.5387:
	s_wait_loadcnt 0x0
	global_load_b32 v16, v[22:23], off
	v_mov_b32_e32 v17, 0
	s_mov_b32 s7, 0
	s_branch .LBB95_5390
.LBB95_5388:
	s_mov_b32 s7, -1
                                        ; implicit-def: $vgpr16_vgpr17
	s_branch .LBB95_5393
.LBB95_5389:
	s_mov_b32 s7, -1
                                        ; implicit-def: $vgpr16_vgpr17
.LBB95_5390:
	s_delay_alu instid0(SALU_CYCLE_1)
	s_and_not1_b32 vcc_lo, exec_lo, s7
	s_cbranch_vccnz .LBB95_5392
; %bb.5391:
	global_load_u16 v1, v[22:23], off
	s_mov_b32 s7, 0
	s_wait_loadcnt 0x1
	v_mov_b32_e32 v17, s7
	s_wait_loadcnt 0x0
	v_and_b32_e32 v16, 0xffff, v1
.LBB95_5392:
	s_mov_b32 s7, 0
.LBB95_5393:
	s_delay_alu instid0(SALU_CYCLE_1)
	s_and_not1_b32 vcc_lo, exec_lo, s7
	s_cbranch_vccnz .LBB95_5399
; %bb.5394:
	global_load_u8 v1, v[22:23], off
	s_mov_b32 s9, 0
	s_mov_b32 s7, exec_lo
	s_wait_loadcnt 0x0
	v_cmpx_lt_i16_e32 0x7f, v1
	s_xor_b32 s7, exec_lo, s7
	s_cbranch_execz .LBB95_5411
; %bb.5395:
	v_cmp_ne_u16_e32 vcc_lo, 0x80, v1
	s_and_b32 s9, vcc_lo, exec_lo
	s_and_not1_saveexec_b32 s7, s7
	s_cbranch_execnz .LBB95_5412
.LBB95_5396:
	s_or_b32 exec_lo, exec_lo, s7
	v_mov_b64_e32 v[16:17], 0
	s_and_saveexec_b32 s7, s9
	s_cbranch_execz .LBB95_5398
.LBB95_5397:
	v_and_b32_e32 v3, 0xffff, v1
	s_delay_alu instid0(VALU_DEP_1) | instskip(SKIP_1) | instid1(VALU_DEP_2)
	v_dual_lshlrev_b32 v1, 24, v1 :: v_dual_bitop2_b32 v5, 7, v3 bitop3:0x40
	v_bfe_u32 v15, v3, 3, 4
	v_and_b32_e32 v1, 0x80000000, v1
	s_delay_alu instid0(VALU_DEP_3) | instskip(NEXT) | instid1(VALU_DEP_3)
	v_clz_i32_u32_e32 v7, v5
	v_cmp_eq_u32_e32 vcc_lo, 0, v15
	s_delay_alu instid0(VALU_DEP_2) | instskip(NEXT) | instid1(VALU_DEP_1)
	v_min_u32_e32 v7, 32, v7
	v_subrev_nc_u32_e32 v11, 28, v7
	v_sub_nc_u32_e32 v7, 29, v7
	s_delay_alu instid0(VALU_DEP_2) | instskip(NEXT) | instid1(VALU_DEP_2)
	v_lshlrev_b32_e32 v3, v11, v3
	v_cndmask_b32_e32 v7, v15, v7, vcc_lo
	s_delay_alu instid0(VALU_DEP_2) | instskip(NEXT) | instid1(VALU_DEP_1)
	v_and_b32_e32 v3, 7, v3
	v_cndmask_b32_e32 v3, v5, v3, vcc_lo
	s_delay_alu instid0(VALU_DEP_3) | instskip(NEXT) | instid1(VALU_DEP_2)
	v_lshl_add_u32 v5, v7, 23, 0x3b800000
	v_lshlrev_b32_e32 v3, 20, v3
	s_delay_alu instid0(VALU_DEP_1) | instskip(NEXT) | instid1(VALU_DEP_1)
	v_or3_b32 v1, v1, v5, v3
	v_trunc_f32_e32 v1, v1
	s_delay_alu instid0(VALU_DEP_1) | instskip(SKIP_1) | instid1(VALU_DEP_2)
	v_mul_f32_e64 v3, 0x2f800000, |v1|
	v_ashrrev_i32_e32 v16, 31, v1
	v_floor_f32_e32 v3, v3
	s_delay_alu instid0(VALU_DEP_2) | instskip(NEXT) | instid1(VALU_DEP_2)
	v_mov_b32_e32 v17, v16
	v_fma_f32 v5, 0xcf800000, v3, |v1|
	v_cvt_u32_f32_e32 v1, v3
	s_delay_alu instid0(VALU_DEP_2) | instskip(NEXT) | instid1(VALU_DEP_2)
	v_cvt_u32_f32_e32 v3, v5
	v_xor_b32_e32 v25, v1, v16
	s_delay_alu instid0(VALU_DEP_2) | instskip(NEXT) | instid1(VALU_DEP_1)
	v_xor_b32_e32 v24, v3, v16
	v_sub_nc_u64_e32 v[16:17], v[24:25], v[16:17]
.LBB95_5398:
	s_or_b32 exec_lo, exec_lo, s7
.LBB95_5399:
	s_mov_b32 s7, -1
.LBB95_5400:
	s_mov_b32 s9, 0
.LBB95_5401:
	s_delay_alu instid0(SALU_CYCLE_1)
	s_and_b32 vcc_lo, exec_lo, s9
	s_cbranch_vccz .LBB95_5432
; %bb.5402:
	s_cmp_gt_i32 s57, 22
	s_cbranch_scc0 .LBB95_5410
; %bb.5403:
	s_cmp_lt_i32 s57, 24
	s_cbranch_scc1 .LBB95_5413
; %bb.5404:
	s_cmp_gt_i32 s57, 24
	s_cbranch_scc0 .LBB95_5414
; %bb.5405:
	global_load_u8 v1, v[22:23], off
	s_mov_b32 s7, 0
	s_mov_b32 s6, exec_lo
	s_wait_loadcnt 0x0
	v_cmpx_lt_i16_e32 0x7f, v1
	s_xor_b32 s6, exec_lo, s6
	s_cbranch_execz .LBB95_5426
; %bb.5406:
	v_cmp_ne_u16_e32 vcc_lo, 0x80, v1
	s_and_b32 s7, vcc_lo, exec_lo
	s_and_not1_saveexec_b32 s6, s6
	s_cbranch_execnz .LBB95_5427
.LBB95_5407:
	s_or_b32 exec_lo, exec_lo, s6
	v_mov_b64_e32 v[16:17], 0
	s_and_saveexec_b32 s6, s7
	s_cbranch_execz .LBB95_5409
.LBB95_5408:
	v_and_b32_e32 v3, 0xffff, v1
	s_delay_alu instid0(VALU_DEP_1) | instskip(SKIP_1) | instid1(VALU_DEP_2)
	v_dual_lshlrev_b32 v1, 24, v1 :: v_dual_bitop2_b32 v5, 3, v3 bitop3:0x40
	v_bfe_u32 v15, v3, 2, 5
	v_and_b32_e32 v1, 0x80000000, v1
	s_delay_alu instid0(VALU_DEP_3) | instskip(NEXT) | instid1(VALU_DEP_3)
	v_clz_i32_u32_e32 v7, v5
	v_cmp_eq_u32_e32 vcc_lo, 0, v15
	s_delay_alu instid0(VALU_DEP_2) | instskip(NEXT) | instid1(VALU_DEP_1)
	v_min_u32_e32 v7, 32, v7
	v_subrev_nc_u32_e32 v11, 29, v7
	v_sub_nc_u32_e32 v7, 30, v7
	s_delay_alu instid0(VALU_DEP_2) | instskip(NEXT) | instid1(VALU_DEP_2)
	v_lshlrev_b32_e32 v3, v11, v3
	v_cndmask_b32_e32 v7, v15, v7, vcc_lo
	s_delay_alu instid0(VALU_DEP_2) | instskip(NEXT) | instid1(VALU_DEP_1)
	v_and_b32_e32 v3, 3, v3
	v_cndmask_b32_e32 v3, v5, v3, vcc_lo
	s_delay_alu instid0(VALU_DEP_3) | instskip(NEXT) | instid1(VALU_DEP_2)
	v_lshl_add_u32 v5, v7, 23, 0x37800000
	v_lshlrev_b32_e32 v3, 21, v3
	s_delay_alu instid0(VALU_DEP_1) | instskip(NEXT) | instid1(VALU_DEP_1)
	v_or3_b32 v1, v1, v5, v3
	v_trunc_f32_e32 v1, v1
	s_delay_alu instid0(VALU_DEP_1) | instskip(SKIP_1) | instid1(VALU_DEP_2)
	v_mul_f32_e64 v3, 0x2f800000, |v1|
	v_ashrrev_i32_e32 v16, 31, v1
	v_floor_f32_e32 v3, v3
	s_delay_alu instid0(VALU_DEP_2) | instskip(NEXT) | instid1(VALU_DEP_2)
	v_mov_b32_e32 v17, v16
	v_fma_f32 v5, 0xcf800000, v3, |v1|
	v_cvt_u32_f32_e32 v1, v3
	s_delay_alu instid0(VALU_DEP_2) | instskip(NEXT) | instid1(VALU_DEP_2)
	v_cvt_u32_f32_e32 v3, v5
	v_xor_b32_e32 v25, v1, v16
	s_delay_alu instid0(VALU_DEP_2) | instskip(NEXT) | instid1(VALU_DEP_1)
	v_xor_b32_e32 v24, v3, v16
	v_sub_nc_u64_e32 v[16:17], v[24:25], v[16:17]
.LBB95_5409:
	s_or_b32 exec_lo, exec_lo, s6
	s_mov_b32 s6, 0
	s_branch .LBB95_5415
.LBB95_5410:
	s_mov_b32 s6, -1
                                        ; implicit-def: $vgpr16_vgpr17
	s_branch .LBB95_5421
.LBB95_5411:
	s_and_not1_saveexec_b32 s7, s7
	s_cbranch_execz .LBB95_5396
.LBB95_5412:
	v_cmp_ne_u16_e32 vcc_lo, 0, v1
	s_and_not1_b32 s9, s9, exec_lo
	s_and_b32 s10, vcc_lo, exec_lo
	s_delay_alu instid0(SALU_CYCLE_1)
	s_or_b32 s9, s9, s10
	s_or_b32 exec_lo, exec_lo, s7
	v_mov_b64_e32 v[16:17], 0
	s_and_saveexec_b32 s7, s9
	s_cbranch_execnz .LBB95_5397
	s_branch .LBB95_5398
.LBB95_5413:
	s_mov_b32 s6, -1
                                        ; implicit-def: $vgpr16_vgpr17
	s_branch .LBB95_5418
.LBB95_5414:
	s_mov_b32 s6, -1
                                        ; implicit-def: $vgpr16_vgpr17
.LBB95_5415:
	s_delay_alu instid0(SALU_CYCLE_1)
	s_and_b32 vcc_lo, exec_lo, s6
	s_cbranch_vccz .LBB95_5417
; %bb.5416:
	global_load_u8 v1, v[22:23], off
	s_wait_loadcnt 0x0
	v_lshlrev_b32_e32 v1, 24, v1
	s_delay_alu instid0(VALU_DEP_1) | instskip(NEXT) | instid1(VALU_DEP_1)
	v_and_b32_e32 v3, 0x7f000000, v1
	v_clz_i32_u32_e32 v5, v3
	v_add_nc_u32_e32 v11, 0x1000000, v3
	v_cmp_ne_u32_e32 vcc_lo, 0, v3
	s_delay_alu instid0(VALU_DEP_3) | instskip(NEXT) | instid1(VALU_DEP_1)
	v_min_u32_e32 v5, 32, v5
	v_sub_nc_u32_e64 v5, v5, 4 clamp
	s_delay_alu instid0(VALU_DEP_1) | instskip(NEXT) | instid1(VALU_DEP_1)
	v_dual_lshlrev_b32 v7, v5, v3 :: v_dual_lshlrev_b32 v5, 23, v5
	v_lshrrev_b32_e32 v7, 4, v7
	s_delay_alu instid0(VALU_DEP_1) | instskip(NEXT) | instid1(VALU_DEP_1)
	v_dual_sub_nc_u32 v5, v7, v5 :: v_dual_ashrrev_i32 v7, 8, v11
	v_add_nc_u32_e32 v5, 0x3c000000, v5
	s_delay_alu instid0(VALU_DEP_1) | instskip(NEXT) | instid1(VALU_DEP_1)
	v_and_or_b32 v5, 0x7f800000, v7, v5
	v_cndmask_b32_e32 v3, 0, v5, vcc_lo
	s_delay_alu instid0(VALU_DEP_1) | instskip(NEXT) | instid1(VALU_DEP_1)
	v_and_or_b32 v1, 0x80000000, v1, v3
	v_trunc_f32_e32 v1, v1
	s_delay_alu instid0(VALU_DEP_1) | instskip(SKIP_1) | instid1(VALU_DEP_2)
	v_mul_f32_e64 v3, 0x2f800000, |v1|
	v_ashrrev_i32_e32 v16, 31, v1
	v_floor_f32_e32 v3, v3
	s_delay_alu instid0(VALU_DEP_2) | instskip(NEXT) | instid1(VALU_DEP_2)
	v_mov_b32_e32 v17, v16
	v_fma_f32 v5, 0xcf800000, v3, |v1|
	v_cvt_u32_f32_e32 v1, v3
	s_delay_alu instid0(VALU_DEP_2) | instskip(NEXT) | instid1(VALU_DEP_2)
	v_cvt_u32_f32_e32 v3, v5
	v_xor_b32_e32 v25, v1, v16
	s_delay_alu instid0(VALU_DEP_2) | instskip(NEXT) | instid1(VALU_DEP_1)
	v_xor_b32_e32 v24, v3, v16
	v_sub_nc_u64_e32 v[16:17], v[24:25], v[16:17]
.LBB95_5417:
	s_mov_b32 s6, 0
.LBB95_5418:
	s_delay_alu instid0(SALU_CYCLE_1)
	s_and_not1_b32 vcc_lo, exec_lo, s6
	s_cbranch_vccnz .LBB95_5420
; %bb.5419:
	global_load_u8 v1, v[22:23], off
	s_wait_loadcnt 0x0
	v_lshlrev_b32_e32 v3, 25, v1
	v_lshlrev_b16 v1, 8, v1
	s_delay_alu instid0(VALU_DEP_1) | instskip(SKIP_1) | instid1(VALU_DEP_2)
	v_and_or_b32 v7, 0x7f00, v1, 0.5
	v_bfe_i32 v1, v1, 0, 16
	v_add_f32_e32 v7, -0.5, v7
	v_lshrrev_b32_e32 v5, 4, v3
	v_cmp_gt_u32_e32 vcc_lo, 0x8000000, v3
	s_delay_alu instid0(VALU_DEP_2) | instskip(NEXT) | instid1(VALU_DEP_1)
	v_or_b32_e32 v5, 0x70000000, v5
	v_mul_f32_e32 v5, 0x7800000, v5
	s_delay_alu instid0(VALU_DEP_1) | instskip(NEXT) | instid1(VALU_DEP_1)
	v_cndmask_b32_e32 v3, v5, v7, vcc_lo
	v_and_or_b32 v1, 0x80000000, v1, v3
	s_delay_alu instid0(VALU_DEP_1) | instskip(NEXT) | instid1(VALU_DEP_1)
	v_trunc_f32_e32 v1, v1
	v_mul_f32_e64 v3, 0x2f800000, |v1|
	v_ashrrev_i32_e32 v16, 31, v1
	s_delay_alu instid0(VALU_DEP_2) | instskip(NEXT) | instid1(VALU_DEP_2)
	v_floor_f32_e32 v3, v3
	v_mov_b32_e32 v17, v16
	s_delay_alu instid0(VALU_DEP_2) | instskip(SKIP_1) | instid1(VALU_DEP_2)
	v_fma_f32 v5, 0xcf800000, v3, |v1|
	v_cvt_u32_f32_e32 v1, v3
	v_cvt_u32_f32_e32 v3, v5
	s_delay_alu instid0(VALU_DEP_2) | instskip(NEXT) | instid1(VALU_DEP_2)
	v_xor_b32_e32 v25, v1, v16
	v_xor_b32_e32 v24, v3, v16
	s_delay_alu instid0(VALU_DEP_1)
	v_sub_nc_u64_e32 v[16:17], v[24:25], v[16:17]
.LBB95_5420:
	s_mov_b32 s6, 0
	s_mov_b32 s7, -1
.LBB95_5421:
	s_and_not1_b32 vcc_lo, exec_lo, s6
	s_mov_b32 s6, 0
	s_cbranch_vccnz .LBB95_5432
; %bb.5422:
	s_cmp_gt_i32 s57, 14
	s_cbranch_scc0 .LBB95_5425
; %bb.5423:
	s_cmp_eq_u32 s57, 15
	s_cbranch_scc0 .LBB95_5428
; %bb.5424:
	global_load_u16 v1, v[22:23], off
	s_mov_b32 s0, 0
	s_mov_b32 s7, -1
	s_wait_loadcnt 0x0
	v_lshlrev_b32_e32 v1, 16, v1
	s_delay_alu instid0(VALU_DEP_1) | instskip(NEXT) | instid1(VALU_DEP_1)
	v_trunc_f32_e32 v1, v1
	v_mul_f32_e64 v3, 0x2f800000, |v1|
	v_ashrrev_i32_e32 v16, 31, v1
	s_delay_alu instid0(VALU_DEP_2) | instskip(NEXT) | instid1(VALU_DEP_2)
	v_floor_f32_e32 v3, v3
	v_mov_b32_e32 v17, v16
	s_delay_alu instid0(VALU_DEP_2) | instskip(SKIP_1) | instid1(VALU_DEP_2)
	v_fma_f32 v5, 0xcf800000, v3, |v1|
	v_cvt_u32_f32_e32 v1, v3
	v_cvt_u32_f32_e32 v3, v5
	s_delay_alu instid0(VALU_DEP_2) | instskip(NEXT) | instid1(VALU_DEP_2)
	v_xor_b32_e32 v25, v1, v16
	v_xor_b32_e32 v24, v3, v16
	s_delay_alu instid0(VALU_DEP_1)
	v_sub_nc_u64_e32 v[16:17], v[24:25], v[16:17]
	s_branch .LBB95_5430
.LBB95_5425:
	s_mov_b32 s6, -1
	s_branch .LBB95_5429
.LBB95_5426:
	s_and_not1_saveexec_b32 s6, s6
	s_cbranch_execz .LBB95_5407
.LBB95_5427:
	v_cmp_ne_u16_e32 vcc_lo, 0, v1
	s_and_not1_b32 s7, s7, exec_lo
	s_and_b32 s9, vcc_lo, exec_lo
	s_delay_alu instid0(SALU_CYCLE_1)
	s_or_b32 s7, s7, s9
	s_or_b32 exec_lo, exec_lo, s6
	v_mov_b64_e32 v[16:17], 0
	s_and_saveexec_b32 s6, s7
	s_cbranch_execnz .LBB95_5408
	s_branch .LBB95_5409
.LBB95_5428:
	s_mov_b32 s0, -1
.LBB95_5429:
                                        ; implicit-def: $vgpr16_vgpr17
.LBB95_5430:
	s_and_b32 vcc_lo, exec_lo, s6
	s_mov_b32 s6, 0
	s_cbranch_vccz .LBB95_5432
; %bb.5431:
	s_cmp_lg_u32 s57, 11
	s_mov_b32 s6, -1
	s_cselect_b32 s0, -1, 0
.LBB95_5432:
	s_delay_alu instid0(SALU_CYCLE_1)
	s_and_b32 vcc_lo, exec_lo, s0
	s_cbranch_vccnz .LBB95_5497
; %bb.5433:
	s_and_not1_b32 vcc_lo, exec_lo, s6
	s_cbranch_vccnz .LBB95_5435
.LBB95_5434:
	global_load_u8 v1, v[22:23], off
	s_mov_b32 s0, 0
	s_mov_b32 s7, -1
	s_wait_loadcnt 0x1
	v_mov_b32_e32 v17, s0
	s_wait_loadcnt 0x0
	v_cmp_ne_u16_e32 vcc_lo, 0, v1
	v_cndmask_b32_e64 v16, 0, 1, vcc_lo
.LBB95_5435:
	s_mov_b32 s0, 0
.LBB95_5436:
	s_delay_alu instid0(SALU_CYCLE_1)
	s_and_b32 vcc_lo, exec_lo, s0
	s_cbranch_vccz .LBB95_5485
; %bb.5437:
	s_cmp_lt_i32 s57, 5
	s_cbranch_scc1 .LBB95_5442
; %bb.5438:
	s_cmp_lt_i32 s57, 8
	s_cbranch_scc1 .LBB95_5443
	;; [unrolled: 3-line block ×3, first 2 shown]
; %bb.5440:
	s_cmp_gt_i32 s57, 9
	s_cbranch_scc0 .LBB95_5445
; %bb.5441:
	s_wait_loadcnt 0x0
	global_load_b64 v[16:17], v[22:23], off
	s_mov_b32 s0, 0
	s_wait_loadcnt 0x0
	v_trunc_f64_e32 v[16:17], v[16:17]
	s_delay_alu instid0(VALU_DEP_1) | instskip(NEXT) | instid1(VALU_DEP_1)
	v_ldexp_f64 v[24:25], v[16:17], 0xffffffe0
	v_floor_f64_e32 v[24:25], v[24:25]
	s_delay_alu instid0(VALU_DEP_1) | instskip(SKIP_1) | instid1(VALU_DEP_2)
	v_fmamk_f64 v[26:27], v[24:25], 0xc1f00000, v[16:17]
	v_cvt_i32_f64_e32 v17, v[24:25]
	v_cvt_u32_f64_e32 v16, v[26:27]
	s_branch .LBB95_5446
.LBB95_5442:
	s_mov_b32 s0, -1
                                        ; implicit-def: $vgpr16_vgpr17
	s_branch .LBB95_5464
.LBB95_5443:
	s_mov_b32 s0, -1
                                        ; implicit-def: $vgpr16_vgpr17
	s_branch .LBB95_5452
.LBB95_5444:
	s_mov_b32 s0, -1
                                        ; implicit-def: $vgpr16_vgpr17
	s_branch .LBB95_5449
.LBB95_5445:
	s_mov_b32 s0, -1
                                        ; implicit-def: $vgpr16_vgpr17
.LBB95_5446:
	s_delay_alu instid0(SALU_CYCLE_1)
	s_and_not1_b32 vcc_lo, exec_lo, s0
	s_cbranch_vccnz .LBB95_5448
; %bb.5447:
	global_load_b32 v1, v[22:23], off
	s_wait_loadcnt 0x0
	v_trunc_f32_e32 v1, v1
	s_delay_alu instid0(VALU_DEP_1) | instskip(SKIP_1) | instid1(VALU_DEP_2)
	v_mul_f32_e64 v3, 0x2f800000, |v1|
	v_ashrrev_i32_e32 v16, 31, v1
	v_floor_f32_e32 v3, v3
	s_delay_alu instid0(VALU_DEP_1) | instskip(SKIP_1) | instid1(VALU_DEP_4)
	v_fma_f32 v5, 0xcf800000, v3, |v1|
	v_cvt_u32_f32_e32 v1, v3
	v_mov_b32_e32 v17, v16
	s_delay_alu instid0(VALU_DEP_3) | instskip(NEXT) | instid1(VALU_DEP_3)
	v_cvt_u32_f32_e32 v3, v5
	v_xor_b32_e32 v25, v1, v16
	s_delay_alu instid0(VALU_DEP_2) | instskip(NEXT) | instid1(VALU_DEP_1)
	v_xor_b32_e32 v24, v3, v16
	v_sub_nc_u64_e32 v[16:17], v[24:25], v[16:17]
.LBB95_5448:
	s_mov_b32 s0, 0
.LBB95_5449:
	s_delay_alu instid0(SALU_CYCLE_1)
	s_and_not1_b32 vcc_lo, exec_lo, s0
	s_cbranch_vccnz .LBB95_5451
; %bb.5450:
	global_load_b32 v1, v[22:23], off
	s_wait_loadcnt 0x0
	v_cvt_f32_f16_e32 v1, v1
	s_delay_alu instid0(VALU_DEP_1) | instskip(NEXT) | instid1(VALU_DEP_1)
	v_cvt_i32_f32_e32 v16, v1
	v_ashrrev_i32_e32 v17, 31, v16
.LBB95_5451:
	s_mov_b32 s0, 0
.LBB95_5452:
	s_delay_alu instid0(SALU_CYCLE_1)
	s_and_not1_b32 vcc_lo, exec_lo, s0
	s_cbranch_vccnz .LBB95_5463
; %bb.5453:
	s_cmp_lt_i32 s57, 6
	s_cbranch_scc1 .LBB95_5456
; %bb.5454:
	s_cmp_gt_i32 s57, 6
	s_cbranch_scc0 .LBB95_5457
; %bb.5455:
	s_wait_loadcnt 0x0
	global_load_b64 v[16:17], v[22:23], off
	s_mov_b32 s0, 0
	s_wait_loadcnt 0x0
	v_trunc_f64_e32 v[16:17], v[16:17]
	s_delay_alu instid0(VALU_DEP_1) | instskip(NEXT) | instid1(VALU_DEP_1)
	v_ldexp_f64 v[24:25], v[16:17], 0xffffffe0
	v_floor_f64_e32 v[24:25], v[24:25]
	s_delay_alu instid0(VALU_DEP_1) | instskip(SKIP_1) | instid1(VALU_DEP_2)
	v_fmamk_f64 v[26:27], v[24:25], 0xc1f00000, v[16:17]
	v_cvt_i32_f64_e32 v17, v[24:25]
	v_cvt_u32_f64_e32 v16, v[26:27]
	s_branch .LBB95_5458
.LBB95_5456:
	s_mov_b32 s0, -1
                                        ; implicit-def: $vgpr16_vgpr17
	s_branch .LBB95_5461
.LBB95_5457:
	s_mov_b32 s0, -1
                                        ; implicit-def: $vgpr16_vgpr17
.LBB95_5458:
	s_delay_alu instid0(SALU_CYCLE_1)
	s_and_not1_b32 vcc_lo, exec_lo, s0
	s_cbranch_vccnz .LBB95_5460
; %bb.5459:
	global_load_b32 v1, v[22:23], off
	s_wait_loadcnt 0x0
	v_trunc_f32_e32 v1, v1
	s_delay_alu instid0(VALU_DEP_1) | instskip(SKIP_1) | instid1(VALU_DEP_2)
	v_mul_f32_e64 v3, 0x2f800000, |v1|
	v_ashrrev_i32_e32 v16, 31, v1
	v_floor_f32_e32 v3, v3
	s_delay_alu instid0(VALU_DEP_1) | instskip(SKIP_1) | instid1(VALU_DEP_4)
	v_fma_f32 v5, 0xcf800000, v3, |v1|
	v_cvt_u32_f32_e32 v1, v3
	v_mov_b32_e32 v17, v16
	s_delay_alu instid0(VALU_DEP_3) | instskip(NEXT) | instid1(VALU_DEP_3)
	v_cvt_u32_f32_e32 v3, v5
	v_xor_b32_e32 v25, v1, v16
	s_delay_alu instid0(VALU_DEP_2) | instskip(NEXT) | instid1(VALU_DEP_1)
	v_xor_b32_e32 v24, v3, v16
	v_sub_nc_u64_e32 v[16:17], v[24:25], v[16:17]
.LBB95_5460:
	s_mov_b32 s0, 0
.LBB95_5461:
	s_delay_alu instid0(SALU_CYCLE_1)
	s_and_not1_b32 vcc_lo, exec_lo, s0
	s_cbranch_vccnz .LBB95_5463
; %bb.5462:
	global_load_u16 v1, v[22:23], off
	s_wait_loadcnt 0x0
	v_cvt_f32_f16_e32 v1, v1
	s_delay_alu instid0(VALU_DEP_1) | instskip(NEXT) | instid1(VALU_DEP_1)
	v_cvt_i32_f32_e32 v16, v1
	v_ashrrev_i32_e32 v17, 31, v16
.LBB95_5463:
	s_mov_b32 s0, 0
.LBB95_5464:
	s_delay_alu instid0(SALU_CYCLE_1)
	s_and_not1_b32 vcc_lo, exec_lo, s0
	s_cbranch_vccnz .LBB95_5484
; %bb.5465:
	s_cmp_lt_i32 s57, 2
	s_cbranch_scc1 .LBB95_5469
; %bb.5466:
	s_cmp_lt_i32 s57, 3
	s_cbranch_scc1 .LBB95_5470
; %bb.5467:
	s_cmp_gt_i32 s57, 3
	s_cbranch_scc0 .LBB95_5471
; %bb.5468:
	s_wait_loadcnt 0x0
	global_load_b64 v[16:17], v[22:23], off
	s_mov_b32 s0, 0
	s_branch .LBB95_5472
.LBB95_5469:
	s_mov_b32 s0, -1
                                        ; implicit-def: $vgpr16_vgpr17
	s_branch .LBB95_5478
.LBB95_5470:
	s_mov_b32 s0, -1
                                        ; implicit-def: $vgpr16_vgpr17
	s_branch .LBB95_5475
.LBB95_5471:
	s_mov_b32 s0, -1
                                        ; implicit-def: $vgpr16_vgpr17
.LBB95_5472:
	s_delay_alu instid0(SALU_CYCLE_1)
	s_and_not1_b32 vcc_lo, exec_lo, s0
	s_cbranch_vccnz .LBB95_5474
; %bb.5473:
	s_wait_loadcnt 0x0
	global_load_b32 v16, v[22:23], off
	s_wait_loadcnt 0x0
	v_ashrrev_i32_e32 v17, 31, v16
.LBB95_5474:
	s_mov_b32 s0, 0
.LBB95_5475:
	s_delay_alu instid0(SALU_CYCLE_1)
	s_and_not1_b32 vcc_lo, exec_lo, s0
	s_cbranch_vccnz .LBB95_5477
; %bb.5476:
	global_load_u16 v1, v[22:23], off
	s_wait_loadcnt 0x0
	v_bfe_i32 v16, v1, 0, 16
	s_delay_alu instid0(VALU_DEP_1)
	v_ashrrev_i32_e32 v17, 31, v16
.LBB95_5477:
	s_mov_b32 s0, 0
.LBB95_5478:
	s_delay_alu instid0(SALU_CYCLE_1)
	s_and_not1_b32 vcc_lo, exec_lo, s0
	s_cbranch_vccnz .LBB95_5484
; %bb.5479:
	s_cmp_gt_i32 s57, 0
	s_mov_b32 s0, 0
	s_cbranch_scc0 .LBB95_5481
; %bb.5480:
	global_load_i8 v1, v[22:23], off
	s_wait_loadcnt 0x0
	v_bfe_i32 v16, v1, 0, 16
	s_delay_alu instid0(VALU_DEP_1)
	v_ashrrev_i32_e32 v17, 31, v16
	s_branch .LBB95_5482
.LBB95_5481:
	s_mov_b32 s0, -1
                                        ; implicit-def: $vgpr16_vgpr17
.LBB95_5482:
	s_delay_alu instid0(SALU_CYCLE_1)
	s_and_not1_b32 vcc_lo, exec_lo, s0
	s_cbranch_vccnz .LBB95_5484
; %bb.5483:
	global_load_u8 v1, v[22:23], off
	s_mov_b32 s0, 0
	s_wait_loadcnt 0x1
	v_mov_b32_e32 v17, s0
	s_wait_loadcnt 0x0
	v_and_b32_e32 v16, 0xffff, v1
.LBB95_5484:
	s_mov_b32 s7, -1
.LBB95_5485:
	s_delay_alu instid0(SALU_CYCLE_1)
	s_and_not1_b32 vcc_lo, exec_lo, s7
	s_cbranch_vccnz .LBB95_5749
; %bb.5486:
	v_mov_b32_e32 v15, 0
	s_cmp_lt_i32 s58, 11
	s_wait_xcnt 0x0
	s_delay_alu instid0(VALU_DEP_1)
	v_add_nc_u64_e32 v[22:23], s[14:15], v[14:15]
	s_cbranch_scc1 .LBB95_5493
; %bb.5487:
	s_cmp_gt_i32 s58, 25
	s_mov_b32 s6, 0
	s_cbranch_scc0 .LBB95_5494
; %bb.5488:
	s_cmp_gt_i32 s58, 28
	s_cbranch_scc0 .LBB95_5495
; %bb.5489:
	s_cmp_gt_i32 s58, 43
	;; [unrolled: 3-line block ×3, first 2 shown]
	s_cbranch_scc0 .LBB95_5498
; %bb.5491:
	s_cmp_eq_u32 s58, 46
	s_mov_b32 s9, 0
	s_cbranch_scc0 .LBB95_5500
; %bb.5492:
	global_load_b32 v1, v[22:23], off
	s_mov_b32 s0, 0
	s_mov_b32 s7, -1
	s_wait_loadcnt 0x0
	v_lshlrev_b32_e32 v1, 16, v1
	s_delay_alu instid0(VALU_DEP_1) | instskip(NEXT) | instid1(VALU_DEP_1)
	v_trunc_f32_e32 v1, v1
	v_mul_f32_e64 v3, 0x2f800000, |v1|
	v_ashrrev_i32_e32 v14, 31, v1
	s_delay_alu instid0(VALU_DEP_2) | instskip(NEXT) | instid1(VALU_DEP_2)
	v_floor_f32_e32 v3, v3
	v_mov_b32_e32 v15, v14
	s_delay_alu instid0(VALU_DEP_2) | instskip(SKIP_1) | instid1(VALU_DEP_2)
	v_fma_f32 v5, 0xcf800000, v3, |v1|
	v_cvt_u32_f32_e32 v1, v3
	v_cvt_u32_f32_e32 v3, v5
	s_delay_alu instid0(VALU_DEP_2) | instskip(NEXT) | instid1(VALU_DEP_2)
	v_xor_b32_e32 v25, v1, v14
	v_xor_b32_e32 v24, v3, v14
	s_delay_alu instid0(VALU_DEP_1)
	v_sub_nc_u64_e32 v[14:15], v[24:25], v[14:15]
	s_branch .LBB95_5502
.LBB95_5493:
	s_mov_b32 s0, -1
	s_mov_b32 s7, 0
                                        ; implicit-def: $vgpr14_vgpr15
	s_branch .LBB95_5564
.LBB95_5494:
	s_mov_b32 s9, -1
	s_mov_b32 s7, 0
	s_mov_b32 s0, 0
                                        ; implicit-def: $vgpr14_vgpr15
	s_branch .LBB95_5529
.LBB95_5495:
	s_mov_b32 s9, -1
	s_mov_b32 s7, 0
	s_mov_b32 s0, 0
                                        ; implicit-def: $vgpr14_vgpr15
	s_branch .LBB95_5512
.LBB95_5496:
	s_mov_b32 s9, -1
	s_mov_b32 s7, 0
	s_mov_b32 s0, 0
                                        ; implicit-def: $vgpr14_vgpr15
	s_branch .LBB95_5507
.LBB95_5497:
	s_or_b32 s23, s23, exec_lo
	s_trap 2
	s_cbranch_execz .LBB95_5434
	s_branch .LBB95_5435
.LBB95_5498:
	s_mov_b32 s9, -1
	s_mov_b32 s7, 0
	s_mov_b32 s0, 0
	s_branch .LBB95_5501
.LBB95_5499:
	s_or_b32 s63, s61, exec_lo
	s_trap 2
                                        ; implicit-def: $vgpr26_vgpr27
                                        ; implicit-def: $vgpr24_vgpr25
                                        ; implicit-def: $vgpr32_vgpr33
                                        ; implicit-def: $vgpr6
                                        ; implicit-def: $vgpr4
                                        ; implicit-def: $vgpr2
                                        ; implicit-def: $vgpr14
                                        ; implicit-def: $vgpr10
                                        ; implicit-def: $vgpr18
                                        ; implicit-def: $vgpr16
                                        ; implicit-def: $vgpr0
                                        ; implicit-def: $vgpr20
                                        ; implicit-def: $vgpr8_vgpr9
                                        ; implicit-def: $vgpr12_vgpr13
	s_branch .LBB95_5080
.LBB95_5500:
	s_mov_b32 s0, -1
	s_mov_b32 s7, 0
.LBB95_5501:
                                        ; implicit-def: $vgpr14_vgpr15
.LBB95_5502:
	s_and_b32 vcc_lo, exec_lo, s9
	s_cbranch_vccz .LBB95_5506
; %bb.5503:
	s_cmp_eq_u32 s58, 44
	s_cbranch_scc0 .LBB95_5505
; %bb.5504:
	global_load_u8 v1, v[22:23], off
	s_mov_b32 s0, 0
	s_mov_b32 s7, -1
	s_wait_loadcnt 0x0
	v_lshlrev_b32_e32 v3, 23, v1
	v_cmp_ne_u32_e32 vcc_lo, 0, v1
	s_delay_alu instid0(VALU_DEP_2) | instskip(NEXT) | instid1(VALU_DEP_1)
	v_trunc_f32_e32 v3, v3
	v_mul_f32_e64 v5, 0x2f800000, |v3|
	v_ashrrev_i32_e32 v14, 31, v3
	s_delay_alu instid0(VALU_DEP_2) | instskip(NEXT) | instid1(VALU_DEP_2)
	v_floor_f32_e32 v5, v5
	v_mov_b32_e32 v15, v14
	s_delay_alu instid0(VALU_DEP_2) | instskip(SKIP_1) | instid1(VALU_DEP_2)
	v_fma_f32 v7, 0xcf800000, v5, |v3|
	v_cvt_u32_f32_e32 v3, v5
	v_cvt_u32_f32_e32 v5, v7
	s_delay_alu instid0(VALU_DEP_2) | instskip(NEXT) | instid1(VALU_DEP_2)
	v_xor_b32_e32 v25, v3, v14
	v_xor_b32_e32 v24, v5, v14
	s_delay_alu instid0(VALU_DEP_1) | instskip(NEXT) | instid1(VALU_DEP_1)
	v_sub_nc_u64_e32 v[14:15], v[24:25], v[14:15]
	v_dual_cndmask_b32 v15, 0, v15 :: v_dual_cndmask_b32 v14, 0, v14
	s_branch .LBB95_5506
.LBB95_5505:
	s_mov_b32 s0, -1
                                        ; implicit-def: $vgpr14_vgpr15
.LBB95_5506:
	s_mov_b32 s9, 0
.LBB95_5507:
	s_delay_alu instid0(SALU_CYCLE_1)
	s_and_b32 vcc_lo, exec_lo, s9
	s_cbranch_vccz .LBB95_5511
; %bb.5508:
	s_cmp_eq_u32 s58, 29
	s_cbranch_scc0 .LBB95_5510
; %bb.5509:
	global_load_b64 v[14:15], v[22:23], off
	s_mov_b32 s0, 0
	s_mov_b32 s7, -1
	s_branch .LBB95_5511
.LBB95_5510:
	s_mov_b32 s0, -1
                                        ; implicit-def: $vgpr14_vgpr15
.LBB95_5511:
	s_mov_b32 s9, 0
.LBB95_5512:
	s_delay_alu instid0(SALU_CYCLE_1)
	s_and_b32 vcc_lo, exec_lo, s9
	s_cbranch_vccz .LBB95_5528
; %bb.5513:
	s_cmp_lt_i32 s58, 27
	s_cbranch_scc1 .LBB95_5516
; %bb.5514:
	s_cmp_gt_i32 s58, 27
	s_cbranch_scc0 .LBB95_5517
; %bb.5515:
	s_wait_loadcnt 0x0
	global_load_b32 v14, v[22:23], off
	v_mov_b32_e32 v15, 0
	s_mov_b32 s7, 0
	s_branch .LBB95_5518
.LBB95_5516:
	s_mov_b32 s7, -1
                                        ; implicit-def: $vgpr14_vgpr15
	s_branch .LBB95_5521
.LBB95_5517:
	s_mov_b32 s7, -1
                                        ; implicit-def: $vgpr14_vgpr15
.LBB95_5518:
	s_delay_alu instid0(SALU_CYCLE_1)
	s_and_not1_b32 vcc_lo, exec_lo, s7
	s_cbranch_vccnz .LBB95_5520
; %bb.5519:
	global_load_u16 v1, v[22:23], off
	s_mov_b32 s7, 0
	s_wait_loadcnt 0x1
	v_mov_b32_e32 v15, s7
	s_wait_loadcnt 0x0
	v_and_b32_e32 v14, 0xffff, v1
.LBB95_5520:
	s_mov_b32 s7, 0
.LBB95_5521:
	s_delay_alu instid0(SALU_CYCLE_1)
	s_and_not1_b32 vcc_lo, exec_lo, s7
	s_cbranch_vccnz .LBB95_5527
; %bb.5522:
	global_load_u8 v1, v[22:23], off
	s_mov_b32 s9, 0
	s_mov_b32 s7, exec_lo
	s_wait_loadcnt 0x0
	v_cmpx_lt_i16_e32 0x7f, v1
	s_xor_b32 s7, exec_lo, s7
	s_cbranch_execz .LBB95_5539
; %bb.5523:
	v_cmp_ne_u16_e32 vcc_lo, 0x80, v1
	s_and_b32 s9, vcc_lo, exec_lo
	s_and_not1_saveexec_b32 s7, s7
	s_cbranch_execnz .LBB95_5540
.LBB95_5524:
	s_or_b32 exec_lo, exec_lo, s7
	v_mov_b64_e32 v[14:15], 0
	s_and_saveexec_b32 s7, s9
	s_cbranch_execz .LBB95_5526
.LBB95_5525:
	v_and_b32_e32 v3, 0xffff, v1
	s_delay_alu instid0(VALU_DEP_1) | instskip(SKIP_1) | instid1(VALU_DEP_2)
	v_dual_lshlrev_b32 v1, 24, v1 :: v_dual_bitop2_b32 v5, 7, v3 bitop3:0x40
	v_bfe_u32 v14, v3, 3, 4
	v_and_b32_e32 v1, 0x80000000, v1
	s_delay_alu instid0(VALU_DEP_3) | instskip(NEXT) | instid1(VALU_DEP_3)
	v_clz_i32_u32_e32 v7, v5
	v_cmp_eq_u32_e32 vcc_lo, 0, v14
	s_delay_alu instid0(VALU_DEP_2) | instskip(NEXT) | instid1(VALU_DEP_1)
	v_min_u32_e32 v7, 32, v7
	v_subrev_nc_u32_e32 v11, 28, v7
	v_sub_nc_u32_e32 v7, 29, v7
	s_delay_alu instid0(VALU_DEP_2) | instskip(NEXT) | instid1(VALU_DEP_2)
	v_lshlrev_b32_e32 v3, v11, v3
	v_cndmask_b32_e32 v7, v14, v7, vcc_lo
	s_delay_alu instid0(VALU_DEP_2) | instskip(NEXT) | instid1(VALU_DEP_1)
	v_and_b32_e32 v3, 7, v3
	v_cndmask_b32_e32 v3, v5, v3, vcc_lo
	s_delay_alu instid0(VALU_DEP_3) | instskip(NEXT) | instid1(VALU_DEP_2)
	v_lshl_add_u32 v5, v7, 23, 0x3b800000
	v_lshlrev_b32_e32 v3, 20, v3
	s_delay_alu instid0(VALU_DEP_1) | instskip(NEXT) | instid1(VALU_DEP_1)
	v_or3_b32 v1, v1, v5, v3
	v_trunc_f32_e32 v1, v1
	s_delay_alu instid0(VALU_DEP_1) | instskip(SKIP_1) | instid1(VALU_DEP_2)
	v_mul_f32_e64 v3, 0x2f800000, |v1|
	v_ashrrev_i32_e32 v14, 31, v1
	v_floor_f32_e32 v3, v3
	s_delay_alu instid0(VALU_DEP_2) | instskip(NEXT) | instid1(VALU_DEP_2)
	v_mov_b32_e32 v15, v14
	v_fma_f32 v5, 0xcf800000, v3, |v1|
	v_cvt_u32_f32_e32 v1, v3
	s_delay_alu instid0(VALU_DEP_2) | instskip(NEXT) | instid1(VALU_DEP_2)
	v_cvt_u32_f32_e32 v3, v5
	v_xor_b32_e32 v25, v1, v14
	s_delay_alu instid0(VALU_DEP_2) | instskip(NEXT) | instid1(VALU_DEP_1)
	v_xor_b32_e32 v24, v3, v14
	v_sub_nc_u64_e32 v[14:15], v[24:25], v[14:15]
.LBB95_5526:
	s_or_b32 exec_lo, exec_lo, s7
.LBB95_5527:
	s_mov_b32 s7, -1
.LBB95_5528:
	s_mov_b32 s9, 0
.LBB95_5529:
	s_delay_alu instid0(SALU_CYCLE_1)
	s_and_b32 vcc_lo, exec_lo, s9
	s_cbranch_vccz .LBB95_5560
; %bb.5530:
	s_cmp_gt_i32 s58, 22
	s_cbranch_scc0 .LBB95_5538
; %bb.5531:
	s_cmp_lt_i32 s58, 24
	s_cbranch_scc1 .LBB95_5541
; %bb.5532:
	s_cmp_gt_i32 s58, 24
	s_cbranch_scc0 .LBB95_5542
; %bb.5533:
	global_load_u8 v1, v[22:23], off
	s_mov_b32 s7, 0
	s_mov_b32 s6, exec_lo
	s_wait_loadcnt 0x0
	v_cmpx_lt_i16_e32 0x7f, v1
	s_xor_b32 s6, exec_lo, s6
	s_cbranch_execz .LBB95_5554
; %bb.5534:
	v_cmp_ne_u16_e32 vcc_lo, 0x80, v1
	s_and_b32 s7, vcc_lo, exec_lo
	s_and_not1_saveexec_b32 s6, s6
	s_cbranch_execnz .LBB95_5555
.LBB95_5535:
	s_or_b32 exec_lo, exec_lo, s6
	v_mov_b64_e32 v[14:15], 0
	s_and_saveexec_b32 s6, s7
	s_cbranch_execz .LBB95_5537
.LBB95_5536:
	v_and_b32_e32 v3, 0xffff, v1
	s_delay_alu instid0(VALU_DEP_1) | instskip(SKIP_1) | instid1(VALU_DEP_2)
	v_dual_lshlrev_b32 v1, 24, v1 :: v_dual_bitop2_b32 v5, 3, v3 bitop3:0x40
	v_bfe_u32 v14, v3, 2, 5
	v_and_b32_e32 v1, 0x80000000, v1
	s_delay_alu instid0(VALU_DEP_3) | instskip(NEXT) | instid1(VALU_DEP_3)
	v_clz_i32_u32_e32 v7, v5
	v_cmp_eq_u32_e32 vcc_lo, 0, v14
	s_delay_alu instid0(VALU_DEP_2) | instskip(NEXT) | instid1(VALU_DEP_1)
	v_min_u32_e32 v7, 32, v7
	v_subrev_nc_u32_e32 v11, 29, v7
	v_sub_nc_u32_e32 v7, 30, v7
	s_delay_alu instid0(VALU_DEP_2) | instskip(NEXT) | instid1(VALU_DEP_2)
	v_lshlrev_b32_e32 v3, v11, v3
	v_cndmask_b32_e32 v7, v14, v7, vcc_lo
	s_delay_alu instid0(VALU_DEP_2) | instskip(NEXT) | instid1(VALU_DEP_1)
	v_and_b32_e32 v3, 3, v3
	v_cndmask_b32_e32 v3, v5, v3, vcc_lo
	s_delay_alu instid0(VALU_DEP_3) | instskip(NEXT) | instid1(VALU_DEP_2)
	v_lshl_add_u32 v5, v7, 23, 0x37800000
	v_lshlrev_b32_e32 v3, 21, v3
	s_delay_alu instid0(VALU_DEP_1) | instskip(NEXT) | instid1(VALU_DEP_1)
	v_or3_b32 v1, v1, v5, v3
	v_trunc_f32_e32 v1, v1
	s_delay_alu instid0(VALU_DEP_1) | instskip(SKIP_1) | instid1(VALU_DEP_2)
	v_mul_f32_e64 v3, 0x2f800000, |v1|
	v_ashrrev_i32_e32 v14, 31, v1
	v_floor_f32_e32 v3, v3
	s_delay_alu instid0(VALU_DEP_2) | instskip(NEXT) | instid1(VALU_DEP_2)
	v_mov_b32_e32 v15, v14
	v_fma_f32 v5, 0xcf800000, v3, |v1|
	v_cvt_u32_f32_e32 v1, v3
	s_delay_alu instid0(VALU_DEP_2) | instskip(NEXT) | instid1(VALU_DEP_2)
	v_cvt_u32_f32_e32 v3, v5
	v_xor_b32_e32 v25, v1, v14
	s_delay_alu instid0(VALU_DEP_2) | instskip(NEXT) | instid1(VALU_DEP_1)
	v_xor_b32_e32 v24, v3, v14
	v_sub_nc_u64_e32 v[14:15], v[24:25], v[14:15]
.LBB95_5537:
	s_or_b32 exec_lo, exec_lo, s6
	s_mov_b32 s6, 0
	s_branch .LBB95_5543
.LBB95_5538:
	s_mov_b32 s6, -1
                                        ; implicit-def: $vgpr14_vgpr15
	s_branch .LBB95_5549
.LBB95_5539:
	s_and_not1_saveexec_b32 s7, s7
	s_cbranch_execz .LBB95_5524
.LBB95_5540:
	v_cmp_ne_u16_e32 vcc_lo, 0, v1
	s_and_not1_b32 s9, s9, exec_lo
	s_and_b32 s10, vcc_lo, exec_lo
	s_delay_alu instid0(SALU_CYCLE_1)
	s_or_b32 s9, s9, s10
	s_or_b32 exec_lo, exec_lo, s7
	v_mov_b64_e32 v[14:15], 0
	s_and_saveexec_b32 s7, s9
	s_cbranch_execnz .LBB95_5525
	s_branch .LBB95_5526
.LBB95_5541:
	s_mov_b32 s6, -1
                                        ; implicit-def: $vgpr14_vgpr15
	s_branch .LBB95_5546
.LBB95_5542:
	s_mov_b32 s6, -1
                                        ; implicit-def: $vgpr14_vgpr15
.LBB95_5543:
	s_delay_alu instid0(SALU_CYCLE_1)
	s_and_b32 vcc_lo, exec_lo, s6
	s_cbranch_vccz .LBB95_5545
; %bb.5544:
	global_load_u8 v1, v[22:23], off
	s_wait_loadcnt 0x0
	v_lshlrev_b32_e32 v1, 24, v1
	s_delay_alu instid0(VALU_DEP_1) | instskip(NEXT) | instid1(VALU_DEP_1)
	v_and_b32_e32 v3, 0x7f000000, v1
	v_clz_i32_u32_e32 v5, v3
	v_add_nc_u32_e32 v11, 0x1000000, v3
	v_cmp_ne_u32_e32 vcc_lo, 0, v3
	s_delay_alu instid0(VALU_DEP_3) | instskip(NEXT) | instid1(VALU_DEP_1)
	v_min_u32_e32 v5, 32, v5
	v_sub_nc_u32_e64 v5, v5, 4 clamp
	s_delay_alu instid0(VALU_DEP_1) | instskip(NEXT) | instid1(VALU_DEP_1)
	v_dual_lshlrev_b32 v7, v5, v3 :: v_dual_lshlrev_b32 v5, 23, v5
	v_lshrrev_b32_e32 v7, 4, v7
	s_delay_alu instid0(VALU_DEP_1) | instskip(NEXT) | instid1(VALU_DEP_1)
	v_dual_sub_nc_u32 v5, v7, v5 :: v_dual_ashrrev_i32 v7, 8, v11
	v_add_nc_u32_e32 v5, 0x3c000000, v5
	s_delay_alu instid0(VALU_DEP_1) | instskip(NEXT) | instid1(VALU_DEP_1)
	v_and_or_b32 v5, 0x7f800000, v7, v5
	v_cndmask_b32_e32 v3, 0, v5, vcc_lo
	s_delay_alu instid0(VALU_DEP_1) | instskip(NEXT) | instid1(VALU_DEP_1)
	v_and_or_b32 v1, 0x80000000, v1, v3
	v_trunc_f32_e32 v1, v1
	s_delay_alu instid0(VALU_DEP_1) | instskip(SKIP_1) | instid1(VALU_DEP_2)
	v_mul_f32_e64 v3, 0x2f800000, |v1|
	v_ashrrev_i32_e32 v14, 31, v1
	v_floor_f32_e32 v3, v3
	s_delay_alu instid0(VALU_DEP_2) | instskip(NEXT) | instid1(VALU_DEP_2)
	v_mov_b32_e32 v15, v14
	v_fma_f32 v5, 0xcf800000, v3, |v1|
	v_cvt_u32_f32_e32 v1, v3
	s_delay_alu instid0(VALU_DEP_2) | instskip(NEXT) | instid1(VALU_DEP_2)
	v_cvt_u32_f32_e32 v3, v5
	v_xor_b32_e32 v25, v1, v14
	s_delay_alu instid0(VALU_DEP_2) | instskip(NEXT) | instid1(VALU_DEP_1)
	v_xor_b32_e32 v24, v3, v14
	v_sub_nc_u64_e32 v[14:15], v[24:25], v[14:15]
.LBB95_5545:
	s_mov_b32 s6, 0
.LBB95_5546:
	s_delay_alu instid0(SALU_CYCLE_1)
	s_and_not1_b32 vcc_lo, exec_lo, s6
	s_cbranch_vccnz .LBB95_5548
; %bb.5547:
	global_load_u8 v1, v[22:23], off
	s_wait_loadcnt 0x0
	v_lshlrev_b32_e32 v3, 25, v1
	v_lshlrev_b16 v1, 8, v1
	s_delay_alu instid0(VALU_DEP_1) | instskip(SKIP_1) | instid1(VALU_DEP_2)
	v_and_or_b32 v7, 0x7f00, v1, 0.5
	v_bfe_i32 v1, v1, 0, 16
	v_add_f32_e32 v7, -0.5, v7
	v_lshrrev_b32_e32 v5, 4, v3
	v_cmp_gt_u32_e32 vcc_lo, 0x8000000, v3
	s_delay_alu instid0(VALU_DEP_2) | instskip(NEXT) | instid1(VALU_DEP_1)
	v_or_b32_e32 v5, 0x70000000, v5
	v_mul_f32_e32 v5, 0x7800000, v5
	s_delay_alu instid0(VALU_DEP_1) | instskip(NEXT) | instid1(VALU_DEP_1)
	v_cndmask_b32_e32 v3, v5, v7, vcc_lo
	v_and_or_b32 v1, 0x80000000, v1, v3
	s_delay_alu instid0(VALU_DEP_1) | instskip(NEXT) | instid1(VALU_DEP_1)
	v_trunc_f32_e32 v1, v1
	v_mul_f32_e64 v3, 0x2f800000, |v1|
	v_ashrrev_i32_e32 v14, 31, v1
	s_delay_alu instid0(VALU_DEP_2) | instskip(NEXT) | instid1(VALU_DEP_2)
	v_floor_f32_e32 v3, v3
	v_mov_b32_e32 v15, v14
	s_delay_alu instid0(VALU_DEP_2) | instskip(SKIP_1) | instid1(VALU_DEP_2)
	v_fma_f32 v5, 0xcf800000, v3, |v1|
	v_cvt_u32_f32_e32 v1, v3
	v_cvt_u32_f32_e32 v3, v5
	s_delay_alu instid0(VALU_DEP_2) | instskip(NEXT) | instid1(VALU_DEP_2)
	v_xor_b32_e32 v25, v1, v14
	v_xor_b32_e32 v24, v3, v14
	s_delay_alu instid0(VALU_DEP_1)
	v_sub_nc_u64_e32 v[14:15], v[24:25], v[14:15]
.LBB95_5548:
	s_mov_b32 s6, 0
	s_mov_b32 s7, -1
.LBB95_5549:
	s_and_not1_b32 vcc_lo, exec_lo, s6
	s_mov_b32 s6, 0
	s_cbranch_vccnz .LBB95_5560
; %bb.5550:
	s_cmp_gt_i32 s58, 14
	s_cbranch_scc0 .LBB95_5553
; %bb.5551:
	s_cmp_eq_u32 s58, 15
	s_cbranch_scc0 .LBB95_5556
; %bb.5552:
	global_load_u16 v1, v[22:23], off
	s_mov_b32 s0, 0
	s_mov_b32 s7, -1
	s_wait_loadcnt 0x0
	v_lshlrev_b32_e32 v1, 16, v1
	s_delay_alu instid0(VALU_DEP_1) | instskip(NEXT) | instid1(VALU_DEP_1)
	v_trunc_f32_e32 v1, v1
	v_mul_f32_e64 v3, 0x2f800000, |v1|
	v_ashrrev_i32_e32 v14, 31, v1
	s_delay_alu instid0(VALU_DEP_2) | instskip(NEXT) | instid1(VALU_DEP_2)
	v_floor_f32_e32 v3, v3
	v_mov_b32_e32 v15, v14
	s_delay_alu instid0(VALU_DEP_2) | instskip(SKIP_1) | instid1(VALU_DEP_2)
	v_fma_f32 v5, 0xcf800000, v3, |v1|
	v_cvt_u32_f32_e32 v1, v3
	v_cvt_u32_f32_e32 v3, v5
	s_delay_alu instid0(VALU_DEP_2) | instskip(NEXT) | instid1(VALU_DEP_2)
	v_xor_b32_e32 v25, v1, v14
	v_xor_b32_e32 v24, v3, v14
	s_delay_alu instid0(VALU_DEP_1)
	v_sub_nc_u64_e32 v[14:15], v[24:25], v[14:15]
	s_branch .LBB95_5558
.LBB95_5553:
	s_mov_b32 s6, -1
	s_branch .LBB95_5557
.LBB95_5554:
	s_and_not1_saveexec_b32 s6, s6
	s_cbranch_execz .LBB95_5535
.LBB95_5555:
	v_cmp_ne_u16_e32 vcc_lo, 0, v1
	s_and_not1_b32 s7, s7, exec_lo
	s_and_b32 s9, vcc_lo, exec_lo
	s_delay_alu instid0(SALU_CYCLE_1)
	s_or_b32 s7, s7, s9
	s_or_b32 exec_lo, exec_lo, s6
	v_mov_b64_e32 v[14:15], 0
	s_and_saveexec_b32 s6, s7
	s_cbranch_execnz .LBB95_5536
	s_branch .LBB95_5537
.LBB95_5556:
	s_mov_b32 s0, -1
.LBB95_5557:
                                        ; implicit-def: $vgpr14_vgpr15
.LBB95_5558:
	s_and_b32 vcc_lo, exec_lo, s6
	s_mov_b32 s6, 0
	s_cbranch_vccz .LBB95_5560
; %bb.5559:
	s_cmp_lg_u32 s58, 11
	s_mov_b32 s6, -1
	s_cselect_b32 s0, -1, 0
.LBB95_5560:
	s_delay_alu instid0(SALU_CYCLE_1)
	s_and_b32 vcc_lo, exec_lo, s0
	s_cbranch_vccnz .LBB95_5625
; %bb.5561:
	s_and_not1_b32 vcc_lo, exec_lo, s6
	s_cbranch_vccnz .LBB95_5563
.LBB95_5562:
	global_load_u8 v1, v[22:23], off
	s_mov_b32 s0, 0
	s_mov_b32 s7, -1
	s_wait_loadcnt 0x1
	v_mov_b32_e32 v15, s0
	s_wait_loadcnt 0x0
	v_cmp_ne_u16_e32 vcc_lo, 0, v1
	v_cndmask_b32_e64 v14, 0, 1, vcc_lo
.LBB95_5563:
	s_mov_b32 s0, 0
.LBB95_5564:
	s_delay_alu instid0(SALU_CYCLE_1)
	s_and_b32 vcc_lo, exec_lo, s0
	s_cbranch_vccz .LBB95_5613
; %bb.5565:
	s_cmp_lt_i32 s58, 5
	s_cbranch_scc1 .LBB95_5570
; %bb.5566:
	s_cmp_lt_i32 s58, 8
	s_cbranch_scc1 .LBB95_5571
	;; [unrolled: 3-line block ×3, first 2 shown]
; %bb.5568:
	s_cmp_gt_i32 s58, 9
	s_cbranch_scc0 .LBB95_5573
; %bb.5569:
	s_wait_loadcnt 0x0
	global_load_b64 v[14:15], v[22:23], off
	s_mov_b32 s0, 0
	s_wait_loadcnt 0x0
	v_trunc_f64_e32 v[14:15], v[14:15]
	s_delay_alu instid0(VALU_DEP_1) | instskip(NEXT) | instid1(VALU_DEP_1)
	v_ldexp_f64 v[24:25], v[14:15], 0xffffffe0
	v_floor_f64_e32 v[24:25], v[24:25]
	s_delay_alu instid0(VALU_DEP_1) | instskip(SKIP_1) | instid1(VALU_DEP_2)
	v_fmamk_f64 v[26:27], v[24:25], 0xc1f00000, v[14:15]
	v_cvt_i32_f64_e32 v15, v[24:25]
	v_cvt_u32_f64_e32 v14, v[26:27]
	s_branch .LBB95_5574
.LBB95_5570:
	s_mov_b32 s0, -1
                                        ; implicit-def: $vgpr14_vgpr15
	s_branch .LBB95_5592
.LBB95_5571:
	s_mov_b32 s0, -1
                                        ; implicit-def: $vgpr14_vgpr15
	s_branch .LBB95_5580
.LBB95_5572:
	s_mov_b32 s0, -1
                                        ; implicit-def: $vgpr14_vgpr15
	s_branch .LBB95_5577
.LBB95_5573:
	s_mov_b32 s0, -1
                                        ; implicit-def: $vgpr14_vgpr15
.LBB95_5574:
	s_delay_alu instid0(SALU_CYCLE_1)
	s_and_not1_b32 vcc_lo, exec_lo, s0
	s_cbranch_vccnz .LBB95_5576
; %bb.5575:
	global_load_b32 v1, v[22:23], off
	s_wait_loadcnt 0x0
	v_trunc_f32_e32 v1, v1
	s_delay_alu instid0(VALU_DEP_1) | instskip(SKIP_1) | instid1(VALU_DEP_2)
	v_mul_f32_e64 v3, 0x2f800000, |v1|
	v_ashrrev_i32_e32 v14, 31, v1
	v_floor_f32_e32 v3, v3
	s_delay_alu instid0(VALU_DEP_1) | instskip(SKIP_1) | instid1(VALU_DEP_4)
	v_fma_f32 v5, 0xcf800000, v3, |v1|
	v_cvt_u32_f32_e32 v1, v3
	v_mov_b32_e32 v15, v14
	s_delay_alu instid0(VALU_DEP_3) | instskip(NEXT) | instid1(VALU_DEP_3)
	v_cvt_u32_f32_e32 v3, v5
	v_xor_b32_e32 v25, v1, v14
	s_delay_alu instid0(VALU_DEP_2) | instskip(NEXT) | instid1(VALU_DEP_1)
	v_xor_b32_e32 v24, v3, v14
	v_sub_nc_u64_e32 v[14:15], v[24:25], v[14:15]
.LBB95_5576:
	s_mov_b32 s0, 0
.LBB95_5577:
	s_delay_alu instid0(SALU_CYCLE_1)
	s_and_not1_b32 vcc_lo, exec_lo, s0
	s_cbranch_vccnz .LBB95_5579
; %bb.5578:
	global_load_b32 v1, v[22:23], off
	s_wait_loadcnt 0x0
	v_cvt_f32_f16_e32 v1, v1
	s_delay_alu instid0(VALU_DEP_1) | instskip(NEXT) | instid1(VALU_DEP_1)
	v_cvt_i32_f32_e32 v14, v1
	v_ashrrev_i32_e32 v15, 31, v14
.LBB95_5579:
	s_mov_b32 s0, 0
.LBB95_5580:
	s_delay_alu instid0(SALU_CYCLE_1)
	s_and_not1_b32 vcc_lo, exec_lo, s0
	s_cbranch_vccnz .LBB95_5591
; %bb.5581:
	s_cmp_lt_i32 s58, 6
	s_cbranch_scc1 .LBB95_5584
; %bb.5582:
	s_cmp_gt_i32 s58, 6
	s_cbranch_scc0 .LBB95_5585
; %bb.5583:
	s_wait_loadcnt 0x0
	global_load_b64 v[14:15], v[22:23], off
	s_mov_b32 s0, 0
	s_wait_loadcnt 0x0
	v_trunc_f64_e32 v[14:15], v[14:15]
	s_delay_alu instid0(VALU_DEP_1) | instskip(NEXT) | instid1(VALU_DEP_1)
	v_ldexp_f64 v[24:25], v[14:15], 0xffffffe0
	v_floor_f64_e32 v[24:25], v[24:25]
	s_delay_alu instid0(VALU_DEP_1) | instskip(SKIP_1) | instid1(VALU_DEP_2)
	v_fmamk_f64 v[26:27], v[24:25], 0xc1f00000, v[14:15]
	v_cvt_i32_f64_e32 v15, v[24:25]
	v_cvt_u32_f64_e32 v14, v[26:27]
	s_branch .LBB95_5586
.LBB95_5584:
	s_mov_b32 s0, -1
                                        ; implicit-def: $vgpr14_vgpr15
	s_branch .LBB95_5589
.LBB95_5585:
	s_mov_b32 s0, -1
                                        ; implicit-def: $vgpr14_vgpr15
.LBB95_5586:
	s_delay_alu instid0(SALU_CYCLE_1)
	s_and_not1_b32 vcc_lo, exec_lo, s0
	s_cbranch_vccnz .LBB95_5588
; %bb.5587:
	global_load_b32 v1, v[22:23], off
	s_wait_loadcnt 0x0
	v_trunc_f32_e32 v1, v1
	s_delay_alu instid0(VALU_DEP_1) | instskip(SKIP_1) | instid1(VALU_DEP_2)
	v_mul_f32_e64 v3, 0x2f800000, |v1|
	v_ashrrev_i32_e32 v14, 31, v1
	v_floor_f32_e32 v3, v3
	s_delay_alu instid0(VALU_DEP_1) | instskip(SKIP_1) | instid1(VALU_DEP_4)
	v_fma_f32 v5, 0xcf800000, v3, |v1|
	v_cvt_u32_f32_e32 v1, v3
	v_mov_b32_e32 v15, v14
	s_delay_alu instid0(VALU_DEP_3) | instskip(NEXT) | instid1(VALU_DEP_3)
	v_cvt_u32_f32_e32 v3, v5
	v_xor_b32_e32 v25, v1, v14
	s_delay_alu instid0(VALU_DEP_2) | instskip(NEXT) | instid1(VALU_DEP_1)
	v_xor_b32_e32 v24, v3, v14
	v_sub_nc_u64_e32 v[14:15], v[24:25], v[14:15]
.LBB95_5588:
	s_mov_b32 s0, 0
.LBB95_5589:
	s_delay_alu instid0(SALU_CYCLE_1)
	s_and_not1_b32 vcc_lo, exec_lo, s0
	s_cbranch_vccnz .LBB95_5591
; %bb.5590:
	global_load_u16 v1, v[22:23], off
	s_wait_loadcnt 0x0
	v_cvt_f32_f16_e32 v1, v1
	s_delay_alu instid0(VALU_DEP_1) | instskip(NEXT) | instid1(VALU_DEP_1)
	v_cvt_i32_f32_e32 v14, v1
	v_ashrrev_i32_e32 v15, 31, v14
.LBB95_5591:
	s_mov_b32 s0, 0
.LBB95_5592:
	s_delay_alu instid0(SALU_CYCLE_1)
	s_and_not1_b32 vcc_lo, exec_lo, s0
	s_cbranch_vccnz .LBB95_5612
; %bb.5593:
	s_cmp_lt_i32 s58, 2
	s_cbranch_scc1 .LBB95_5597
; %bb.5594:
	s_cmp_lt_i32 s58, 3
	s_cbranch_scc1 .LBB95_5598
; %bb.5595:
	s_cmp_gt_i32 s58, 3
	s_cbranch_scc0 .LBB95_5599
; %bb.5596:
	s_wait_loadcnt 0x0
	global_load_b64 v[14:15], v[22:23], off
	s_mov_b32 s0, 0
	s_branch .LBB95_5600
.LBB95_5597:
	s_mov_b32 s0, -1
                                        ; implicit-def: $vgpr14_vgpr15
	s_branch .LBB95_5606
.LBB95_5598:
	s_mov_b32 s0, -1
                                        ; implicit-def: $vgpr14_vgpr15
	s_branch .LBB95_5603
.LBB95_5599:
	s_mov_b32 s0, -1
                                        ; implicit-def: $vgpr14_vgpr15
.LBB95_5600:
	s_delay_alu instid0(SALU_CYCLE_1)
	s_and_not1_b32 vcc_lo, exec_lo, s0
	s_cbranch_vccnz .LBB95_5602
; %bb.5601:
	s_wait_loadcnt 0x0
	global_load_b32 v14, v[22:23], off
	s_wait_loadcnt 0x0
	v_ashrrev_i32_e32 v15, 31, v14
.LBB95_5602:
	s_mov_b32 s0, 0
.LBB95_5603:
	s_delay_alu instid0(SALU_CYCLE_1)
	s_and_not1_b32 vcc_lo, exec_lo, s0
	s_cbranch_vccnz .LBB95_5605
; %bb.5604:
	global_load_u16 v1, v[22:23], off
	s_wait_loadcnt 0x0
	v_bfe_i32 v14, v1, 0, 16
	s_delay_alu instid0(VALU_DEP_1)
	v_ashrrev_i32_e32 v15, 31, v14
.LBB95_5605:
	s_mov_b32 s0, 0
.LBB95_5606:
	s_delay_alu instid0(SALU_CYCLE_1)
	s_and_not1_b32 vcc_lo, exec_lo, s0
	s_cbranch_vccnz .LBB95_5612
; %bb.5607:
	s_cmp_gt_i32 s58, 0
	s_mov_b32 s0, 0
	s_cbranch_scc0 .LBB95_5609
; %bb.5608:
	global_load_i8 v1, v[22:23], off
	s_wait_loadcnt 0x0
	v_bfe_i32 v14, v1, 0, 16
	s_delay_alu instid0(VALU_DEP_1)
	v_ashrrev_i32_e32 v15, 31, v14
	s_branch .LBB95_5610
.LBB95_5609:
	s_mov_b32 s0, -1
                                        ; implicit-def: $vgpr14_vgpr15
.LBB95_5610:
	s_delay_alu instid0(SALU_CYCLE_1)
	s_and_not1_b32 vcc_lo, exec_lo, s0
	s_cbranch_vccnz .LBB95_5612
; %bb.5611:
	global_load_u8 v1, v[22:23], off
	s_mov_b32 s0, 0
	s_wait_loadcnt 0x1
	v_mov_b32_e32 v15, s0
	s_wait_loadcnt 0x0
	v_and_b32_e32 v14, 0xffff, v1
.LBB95_5612:
	s_mov_b32 s7, -1
.LBB95_5613:
	s_delay_alu instid0(SALU_CYCLE_1)
	s_and_not1_b32 vcc_lo, exec_lo, s7
	s_cbranch_vccnz .LBB95_5749
; %bb.5614:
	v_mov_b32_e32 v11, 0
	s_cmp_lt_i32 s59, 11
	s_delay_alu instid0(VALU_DEP_1)
	v_add_nc_u64_e32 v[10:11], s[16:17], v[10:11]
	s_cbranch_scc1 .LBB95_5621
; %bb.5615:
	s_cmp_gt_i32 s59, 25
	s_mov_b32 s6, 0
	s_cbranch_scc0 .LBB95_5622
; %bb.5616:
	s_cmp_gt_i32 s59, 28
	s_cbranch_scc0 .LBB95_5623
; %bb.5617:
	s_cmp_gt_i32 s59, 43
	;; [unrolled: 3-line block ×3, first 2 shown]
	s_cbranch_scc0 .LBB95_5626
; %bb.5619:
	s_cmp_eq_u32 s59, 46
	s_mov_b32 s9, 0
	s_cbranch_scc0 .LBB95_5627
; %bb.5620:
	global_load_b32 v1, v[10:11], off
	s_mov_b32 s0, 0
	s_mov_b32 s7, -1
	s_wait_loadcnt 0x0
	v_lshlrev_b32_e32 v1, 16, v1
	s_delay_alu instid0(VALU_DEP_1) | instskip(NEXT) | instid1(VALU_DEP_1)
	v_trunc_f32_e32 v1, v1
	v_mul_f32_e64 v3, 0x2f800000, |v1|
	s_wait_xcnt 0x1
	v_ashrrev_i32_e32 v22, 31, v1
	s_delay_alu instid0(VALU_DEP_2) | instskip(NEXT) | instid1(VALU_DEP_2)
	v_floor_f32_e32 v3, v3
	v_mov_b32_e32 v23, v22
	s_delay_alu instid0(VALU_DEP_2) | instskip(SKIP_1) | instid1(VALU_DEP_2)
	v_fma_f32 v5, 0xcf800000, v3, |v1|
	v_cvt_u32_f32_e32 v1, v3
	v_cvt_u32_f32_e32 v3, v5
	s_delay_alu instid0(VALU_DEP_2) | instskip(NEXT) | instid1(VALU_DEP_2)
	v_xor_b32_e32 v25, v1, v22
	v_xor_b32_e32 v24, v3, v22
	s_delay_alu instid0(VALU_DEP_1)
	v_sub_nc_u64_e32 v[22:23], v[24:25], v[22:23]
	s_branch .LBB95_5629
.LBB95_5621:
	s_mov_b32 s0, -1
	s_mov_b32 s7, 0
                                        ; implicit-def: $vgpr22_vgpr23
	s_branch .LBB95_5691
.LBB95_5622:
	s_mov_b32 s9, -1
	s_mov_b32 s7, 0
	s_mov_b32 s0, 0
                                        ; implicit-def: $vgpr22_vgpr23
	s_branch .LBB95_5656
.LBB95_5623:
	s_mov_b32 s9, -1
	s_mov_b32 s7, 0
	s_mov_b32 s0, 0
                                        ; implicit-def: $vgpr22_vgpr23
	s_branch .LBB95_5639
.LBB95_5624:
	s_mov_b32 s9, -1
	s_mov_b32 s7, 0
	s_mov_b32 s0, 0
                                        ; implicit-def: $vgpr22_vgpr23
	s_branch .LBB95_5634
.LBB95_5625:
	s_or_b32 s23, s23, exec_lo
	s_trap 2
	s_cbranch_execz .LBB95_5562
	s_branch .LBB95_5563
.LBB95_5626:
	s_mov_b32 s9, -1
	s_mov_b32 s7, 0
	s_mov_b32 s0, 0
	s_branch .LBB95_5628
.LBB95_5627:
	s_mov_b32 s0, -1
	s_mov_b32 s7, 0
.LBB95_5628:
                                        ; implicit-def: $vgpr22_vgpr23
.LBB95_5629:
	s_and_b32 vcc_lo, exec_lo, s9
	s_cbranch_vccz .LBB95_5633
; %bb.5630:
	s_cmp_eq_u32 s59, 44
	s_cbranch_scc0 .LBB95_5632
; %bb.5631:
	global_load_u8 v1, v[10:11], off
	s_mov_b32 s0, 0
	s_mov_b32 s7, -1
	s_wait_loadcnt 0x0
	v_lshlrev_b32_e32 v3, 23, v1
	v_cmp_ne_u32_e32 vcc_lo, 0, v1
	s_delay_alu instid0(VALU_DEP_2) | instskip(NEXT) | instid1(VALU_DEP_1)
	v_trunc_f32_e32 v3, v3
	v_mul_f32_e64 v5, 0x2f800000, |v3|
	s_wait_xcnt 0x1
	v_ashrrev_i32_e32 v22, 31, v3
	s_delay_alu instid0(VALU_DEP_2) | instskip(NEXT) | instid1(VALU_DEP_2)
	v_floor_f32_e32 v5, v5
	v_mov_b32_e32 v23, v22
	s_delay_alu instid0(VALU_DEP_2) | instskip(SKIP_1) | instid1(VALU_DEP_2)
	v_fma_f32 v7, 0xcf800000, v5, |v3|
	v_cvt_u32_f32_e32 v3, v5
	v_cvt_u32_f32_e32 v5, v7
	s_delay_alu instid0(VALU_DEP_2) | instskip(NEXT) | instid1(VALU_DEP_2)
	v_xor_b32_e32 v25, v3, v22
	v_xor_b32_e32 v24, v5, v22
	s_delay_alu instid0(VALU_DEP_1) | instskip(NEXT) | instid1(VALU_DEP_1)
	v_sub_nc_u64_e32 v[22:23], v[24:25], v[22:23]
	v_dual_cndmask_b32 v23, 0, v23 :: v_dual_cndmask_b32 v22, 0, v22
	s_branch .LBB95_5633
.LBB95_5632:
	s_mov_b32 s0, -1
                                        ; implicit-def: $vgpr22_vgpr23
.LBB95_5633:
	s_mov_b32 s9, 0
.LBB95_5634:
	s_delay_alu instid0(SALU_CYCLE_1)
	s_and_b32 vcc_lo, exec_lo, s9
	s_cbranch_vccz .LBB95_5638
; %bb.5635:
	s_cmp_eq_u32 s59, 29
	s_cbranch_scc0 .LBB95_5637
; %bb.5636:
	global_load_b64 v[22:23], v[10:11], off
	s_mov_b32 s0, 0
	s_mov_b32 s7, -1
	s_branch .LBB95_5638
.LBB95_5637:
	s_mov_b32 s0, -1
                                        ; implicit-def: $vgpr22_vgpr23
.LBB95_5638:
	s_mov_b32 s9, 0
.LBB95_5639:
	s_delay_alu instid0(SALU_CYCLE_1)
	s_and_b32 vcc_lo, exec_lo, s9
	s_cbranch_vccz .LBB95_5655
; %bb.5640:
	s_cmp_lt_i32 s59, 27
	s_cbranch_scc1 .LBB95_5643
; %bb.5641:
	s_cmp_gt_i32 s59, 27
	s_cbranch_scc0 .LBB95_5644
; %bb.5642:
	s_wait_loadcnt 0x0
	global_load_b32 v22, v[10:11], off
	v_mov_b32_e32 v23, 0
	s_mov_b32 s7, 0
	s_branch .LBB95_5645
.LBB95_5643:
	s_mov_b32 s7, -1
                                        ; implicit-def: $vgpr22_vgpr23
	s_branch .LBB95_5648
.LBB95_5644:
	s_mov_b32 s7, -1
                                        ; implicit-def: $vgpr22_vgpr23
.LBB95_5645:
	s_delay_alu instid0(SALU_CYCLE_1)
	s_and_not1_b32 vcc_lo, exec_lo, s7
	s_cbranch_vccnz .LBB95_5647
; %bb.5646:
	global_load_u16 v1, v[10:11], off
	s_mov_b32 s7, 0
	s_wait_loadcnt 0x1
	s_wait_xcnt 0x1
	v_mov_b32_e32 v23, s7
	s_wait_loadcnt 0x0
	v_and_b32_e32 v22, 0xffff, v1
.LBB95_5647:
	s_mov_b32 s7, 0
.LBB95_5648:
	s_delay_alu instid0(SALU_CYCLE_1)
	s_and_not1_b32 vcc_lo, exec_lo, s7
	s_cbranch_vccnz .LBB95_5654
; %bb.5649:
	global_load_u8 v1, v[10:11], off
	s_mov_b32 s9, 0
	s_mov_b32 s7, exec_lo
	s_wait_loadcnt 0x0
	v_cmpx_lt_i16_e32 0x7f, v1
	s_xor_b32 s7, exec_lo, s7
	s_cbranch_execz .LBB95_5666
; %bb.5650:
	v_cmp_ne_u16_e32 vcc_lo, 0x80, v1
	s_and_b32 s9, vcc_lo, exec_lo
	s_and_not1_saveexec_b32 s7, s7
	s_cbranch_execnz .LBB95_5667
.LBB95_5651:
	s_or_b32 exec_lo, exec_lo, s7
	v_mov_b64_e32 v[22:23], 0
	s_and_saveexec_b32 s7, s9
	s_cbranch_execz .LBB95_5653
.LBB95_5652:
	v_and_b32_e32 v3, 0xffff, v1
	s_delay_alu instid0(VALU_DEP_1) | instskip(SKIP_1) | instid1(VALU_DEP_2)
	v_dual_lshlrev_b32 v1, 24, v1 :: v_dual_bitop2_b32 v5, 7, v3 bitop3:0x40
	v_bfe_u32 v23, v3, 3, 4
	v_and_b32_e32 v1, 0x80000000, v1
	s_delay_alu instid0(VALU_DEP_3) | instskip(NEXT) | instid1(VALU_DEP_3)
	v_clz_i32_u32_e32 v7, v5
	v_cmp_eq_u32_e32 vcc_lo, 0, v23
	s_delay_alu instid0(VALU_DEP_2) | instskip(NEXT) | instid1(VALU_DEP_1)
	v_min_u32_e32 v7, 32, v7
	v_subrev_nc_u32_e32 v22, 28, v7
	v_sub_nc_u32_e32 v7, 29, v7
	s_delay_alu instid0(VALU_DEP_2) | instskip(NEXT) | instid1(VALU_DEP_2)
	v_lshlrev_b32_e32 v3, v22, v3
	v_cndmask_b32_e32 v7, v23, v7, vcc_lo
	s_delay_alu instid0(VALU_DEP_2) | instskip(NEXT) | instid1(VALU_DEP_1)
	v_and_b32_e32 v3, 7, v3
	v_cndmask_b32_e32 v3, v5, v3, vcc_lo
	s_delay_alu instid0(VALU_DEP_3) | instskip(NEXT) | instid1(VALU_DEP_2)
	v_lshl_add_u32 v5, v7, 23, 0x3b800000
	v_lshlrev_b32_e32 v3, 20, v3
	s_delay_alu instid0(VALU_DEP_1) | instskip(NEXT) | instid1(VALU_DEP_1)
	v_or3_b32 v1, v1, v5, v3
	v_trunc_f32_e32 v1, v1
	s_delay_alu instid0(VALU_DEP_1) | instskip(SKIP_1) | instid1(VALU_DEP_2)
	v_mul_f32_e64 v3, 0x2f800000, |v1|
	v_ashrrev_i32_e32 v22, 31, v1
	v_floor_f32_e32 v3, v3
	s_delay_alu instid0(VALU_DEP_2) | instskip(NEXT) | instid1(VALU_DEP_2)
	v_mov_b32_e32 v23, v22
	v_fma_f32 v5, 0xcf800000, v3, |v1|
	v_cvt_u32_f32_e32 v1, v3
	s_delay_alu instid0(VALU_DEP_2) | instskip(NEXT) | instid1(VALU_DEP_2)
	v_cvt_u32_f32_e32 v3, v5
	v_xor_b32_e32 v25, v1, v22
	s_delay_alu instid0(VALU_DEP_2) | instskip(NEXT) | instid1(VALU_DEP_1)
	v_xor_b32_e32 v24, v3, v22
	v_sub_nc_u64_e32 v[22:23], v[24:25], v[22:23]
.LBB95_5653:
	s_or_b32 exec_lo, exec_lo, s7
.LBB95_5654:
	s_mov_b32 s7, -1
.LBB95_5655:
	s_mov_b32 s9, 0
.LBB95_5656:
	s_delay_alu instid0(SALU_CYCLE_1)
	s_and_b32 vcc_lo, exec_lo, s9
	s_cbranch_vccz .LBB95_5687
; %bb.5657:
	s_cmp_gt_i32 s59, 22
	s_cbranch_scc0 .LBB95_5665
; %bb.5658:
	s_cmp_lt_i32 s59, 24
	s_cbranch_scc1 .LBB95_5668
; %bb.5659:
	s_cmp_gt_i32 s59, 24
	s_cbranch_scc0 .LBB95_5669
; %bb.5660:
	global_load_u8 v1, v[10:11], off
	s_mov_b32 s7, 0
	s_mov_b32 s6, exec_lo
	s_wait_loadcnt 0x0
	v_cmpx_lt_i16_e32 0x7f, v1
	s_xor_b32 s6, exec_lo, s6
	s_cbranch_execz .LBB95_5681
; %bb.5661:
	v_cmp_ne_u16_e32 vcc_lo, 0x80, v1
	s_and_b32 s7, vcc_lo, exec_lo
	s_and_not1_saveexec_b32 s6, s6
	s_cbranch_execnz .LBB95_5682
.LBB95_5662:
	s_or_b32 exec_lo, exec_lo, s6
	v_mov_b64_e32 v[22:23], 0
	s_and_saveexec_b32 s6, s7
	s_cbranch_execz .LBB95_5664
.LBB95_5663:
	v_and_b32_e32 v3, 0xffff, v1
	s_delay_alu instid0(VALU_DEP_1) | instskip(SKIP_1) | instid1(VALU_DEP_2)
	v_dual_lshlrev_b32 v1, 24, v1 :: v_dual_bitop2_b32 v5, 3, v3 bitop3:0x40
	v_bfe_u32 v23, v3, 2, 5
	v_and_b32_e32 v1, 0x80000000, v1
	s_delay_alu instid0(VALU_DEP_3) | instskip(NEXT) | instid1(VALU_DEP_3)
	v_clz_i32_u32_e32 v7, v5
	v_cmp_eq_u32_e32 vcc_lo, 0, v23
	s_delay_alu instid0(VALU_DEP_2) | instskip(NEXT) | instid1(VALU_DEP_1)
	v_min_u32_e32 v7, 32, v7
	v_subrev_nc_u32_e32 v22, 29, v7
	v_sub_nc_u32_e32 v7, 30, v7
	s_delay_alu instid0(VALU_DEP_2) | instskip(NEXT) | instid1(VALU_DEP_2)
	v_lshlrev_b32_e32 v3, v22, v3
	v_cndmask_b32_e32 v7, v23, v7, vcc_lo
	s_delay_alu instid0(VALU_DEP_2) | instskip(NEXT) | instid1(VALU_DEP_1)
	v_and_b32_e32 v3, 3, v3
	v_cndmask_b32_e32 v3, v5, v3, vcc_lo
	s_delay_alu instid0(VALU_DEP_3) | instskip(NEXT) | instid1(VALU_DEP_2)
	v_lshl_add_u32 v5, v7, 23, 0x37800000
	v_lshlrev_b32_e32 v3, 21, v3
	s_delay_alu instid0(VALU_DEP_1) | instskip(NEXT) | instid1(VALU_DEP_1)
	v_or3_b32 v1, v1, v5, v3
	v_trunc_f32_e32 v1, v1
	s_delay_alu instid0(VALU_DEP_1) | instskip(SKIP_1) | instid1(VALU_DEP_2)
	v_mul_f32_e64 v3, 0x2f800000, |v1|
	v_ashrrev_i32_e32 v22, 31, v1
	v_floor_f32_e32 v3, v3
	s_delay_alu instid0(VALU_DEP_2) | instskip(NEXT) | instid1(VALU_DEP_2)
	v_mov_b32_e32 v23, v22
	v_fma_f32 v5, 0xcf800000, v3, |v1|
	v_cvt_u32_f32_e32 v1, v3
	s_delay_alu instid0(VALU_DEP_2) | instskip(NEXT) | instid1(VALU_DEP_2)
	v_cvt_u32_f32_e32 v3, v5
	v_xor_b32_e32 v25, v1, v22
	s_delay_alu instid0(VALU_DEP_2) | instskip(NEXT) | instid1(VALU_DEP_1)
	v_xor_b32_e32 v24, v3, v22
	v_sub_nc_u64_e32 v[22:23], v[24:25], v[22:23]
.LBB95_5664:
	s_or_b32 exec_lo, exec_lo, s6
	s_mov_b32 s6, 0
	s_branch .LBB95_5670
.LBB95_5665:
	s_mov_b32 s6, -1
                                        ; implicit-def: $vgpr22_vgpr23
	s_branch .LBB95_5676
.LBB95_5666:
	s_and_not1_saveexec_b32 s7, s7
	s_cbranch_execz .LBB95_5651
.LBB95_5667:
	v_cmp_ne_u16_e32 vcc_lo, 0, v1
	s_and_not1_b32 s9, s9, exec_lo
	s_and_b32 s10, vcc_lo, exec_lo
	s_delay_alu instid0(SALU_CYCLE_1)
	s_or_b32 s9, s9, s10
	s_or_b32 exec_lo, exec_lo, s7
	v_mov_b64_e32 v[22:23], 0
	s_and_saveexec_b32 s7, s9
	s_cbranch_execnz .LBB95_5652
	s_branch .LBB95_5653
.LBB95_5668:
	s_mov_b32 s6, -1
                                        ; implicit-def: $vgpr22_vgpr23
	s_branch .LBB95_5673
.LBB95_5669:
	s_mov_b32 s6, -1
                                        ; implicit-def: $vgpr22_vgpr23
.LBB95_5670:
	s_delay_alu instid0(SALU_CYCLE_1)
	s_and_b32 vcc_lo, exec_lo, s6
	s_cbranch_vccz .LBB95_5672
; %bb.5671:
	global_load_u8 v1, v[10:11], off
	s_wait_loadcnt 0x0
	v_lshlrev_b32_e32 v1, 24, v1
	s_delay_alu instid0(VALU_DEP_1) | instskip(NEXT) | instid1(VALU_DEP_1)
	v_and_b32_e32 v3, 0x7f000000, v1
	v_clz_i32_u32_e32 v5, v3
	v_cmp_ne_u32_e32 vcc_lo, 0, v3
	s_wait_xcnt 0x1
	v_add_nc_u32_e32 v22, 0x1000000, v3
	s_delay_alu instid0(VALU_DEP_3) | instskip(NEXT) | instid1(VALU_DEP_1)
	v_min_u32_e32 v5, 32, v5
	v_sub_nc_u32_e64 v5, v5, 4 clamp
	s_delay_alu instid0(VALU_DEP_1) | instskip(NEXT) | instid1(VALU_DEP_1)
	v_dual_lshlrev_b32 v7, v5, v3 :: v_dual_lshlrev_b32 v5, 23, v5
	v_lshrrev_b32_e32 v7, 4, v7
	s_delay_alu instid0(VALU_DEP_1) | instskip(NEXT) | instid1(VALU_DEP_1)
	v_dual_sub_nc_u32 v5, v7, v5 :: v_dual_ashrrev_i32 v7, 8, v22
	v_add_nc_u32_e32 v5, 0x3c000000, v5
	s_delay_alu instid0(VALU_DEP_1) | instskip(NEXT) | instid1(VALU_DEP_1)
	v_and_or_b32 v5, 0x7f800000, v7, v5
	v_cndmask_b32_e32 v3, 0, v5, vcc_lo
	s_delay_alu instid0(VALU_DEP_1) | instskip(NEXT) | instid1(VALU_DEP_1)
	v_and_or_b32 v1, 0x80000000, v1, v3
	v_trunc_f32_e32 v1, v1
	s_delay_alu instid0(VALU_DEP_1) | instskip(SKIP_1) | instid1(VALU_DEP_2)
	v_mul_f32_e64 v3, 0x2f800000, |v1|
	v_ashrrev_i32_e32 v22, 31, v1
	v_floor_f32_e32 v3, v3
	s_delay_alu instid0(VALU_DEP_1) | instskip(SKIP_1) | instid1(VALU_DEP_4)
	v_fma_f32 v5, 0xcf800000, v3, |v1|
	v_cvt_u32_f32_e32 v1, v3
	v_mov_b32_e32 v23, v22
	s_delay_alu instid0(VALU_DEP_3) | instskip(NEXT) | instid1(VALU_DEP_3)
	v_cvt_u32_f32_e32 v3, v5
	v_xor_b32_e32 v25, v1, v22
	s_delay_alu instid0(VALU_DEP_2) | instskip(NEXT) | instid1(VALU_DEP_1)
	v_xor_b32_e32 v24, v3, v22
	v_sub_nc_u64_e32 v[22:23], v[24:25], v[22:23]
.LBB95_5672:
	s_mov_b32 s6, 0
.LBB95_5673:
	s_delay_alu instid0(SALU_CYCLE_1)
	s_and_not1_b32 vcc_lo, exec_lo, s6
	s_cbranch_vccnz .LBB95_5675
; %bb.5674:
	global_load_u8 v1, v[10:11], off
	s_wait_loadcnt 0x0
	v_lshlrev_b32_e32 v3, 25, v1
	v_lshlrev_b16 v1, 8, v1
	s_delay_alu instid0(VALU_DEP_1) | instskip(SKIP_1) | instid1(VALU_DEP_2)
	v_and_or_b32 v7, 0x7f00, v1, 0.5
	v_bfe_i32 v1, v1, 0, 16
	v_add_f32_e32 v7, -0.5, v7
	v_lshrrev_b32_e32 v5, 4, v3
	v_cmp_gt_u32_e32 vcc_lo, 0x8000000, v3
	s_delay_alu instid0(VALU_DEP_2) | instskip(NEXT) | instid1(VALU_DEP_1)
	v_or_b32_e32 v5, 0x70000000, v5
	v_mul_f32_e32 v5, 0x7800000, v5
	s_delay_alu instid0(VALU_DEP_1) | instskip(NEXT) | instid1(VALU_DEP_1)
	v_cndmask_b32_e32 v3, v5, v7, vcc_lo
	v_and_or_b32 v1, 0x80000000, v1, v3
	s_delay_alu instid0(VALU_DEP_1) | instskip(NEXT) | instid1(VALU_DEP_1)
	v_trunc_f32_e32 v1, v1
	v_mul_f32_e64 v3, 0x2f800000, |v1|
	s_wait_xcnt 0x1
	v_ashrrev_i32_e32 v22, 31, v1
	s_delay_alu instid0(VALU_DEP_2) | instskip(NEXT) | instid1(VALU_DEP_2)
	v_floor_f32_e32 v3, v3
	v_mov_b32_e32 v23, v22
	s_delay_alu instid0(VALU_DEP_2) | instskip(SKIP_1) | instid1(VALU_DEP_2)
	v_fma_f32 v5, 0xcf800000, v3, |v1|
	v_cvt_u32_f32_e32 v1, v3
	v_cvt_u32_f32_e32 v3, v5
	s_delay_alu instid0(VALU_DEP_2) | instskip(NEXT) | instid1(VALU_DEP_2)
	v_xor_b32_e32 v25, v1, v22
	v_xor_b32_e32 v24, v3, v22
	s_delay_alu instid0(VALU_DEP_1)
	v_sub_nc_u64_e32 v[22:23], v[24:25], v[22:23]
.LBB95_5675:
	s_mov_b32 s6, 0
	s_mov_b32 s7, -1
.LBB95_5676:
	s_and_not1_b32 vcc_lo, exec_lo, s6
	s_mov_b32 s6, 0
	s_cbranch_vccnz .LBB95_5687
; %bb.5677:
	s_cmp_gt_i32 s59, 14
	s_cbranch_scc0 .LBB95_5680
; %bb.5678:
	s_cmp_eq_u32 s59, 15
	s_cbranch_scc0 .LBB95_5683
; %bb.5679:
	global_load_u16 v1, v[10:11], off
	s_mov_b32 s0, 0
	s_mov_b32 s7, -1
	s_wait_loadcnt 0x0
	v_lshlrev_b32_e32 v1, 16, v1
	s_delay_alu instid0(VALU_DEP_1) | instskip(NEXT) | instid1(VALU_DEP_1)
	v_trunc_f32_e32 v1, v1
	v_mul_f32_e64 v3, 0x2f800000, |v1|
	s_wait_xcnt 0x1
	v_ashrrev_i32_e32 v22, 31, v1
	s_delay_alu instid0(VALU_DEP_2) | instskip(NEXT) | instid1(VALU_DEP_2)
	v_floor_f32_e32 v3, v3
	v_mov_b32_e32 v23, v22
	s_delay_alu instid0(VALU_DEP_2) | instskip(SKIP_1) | instid1(VALU_DEP_2)
	v_fma_f32 v5, 0xcf800000, v3, |v1|
	v_cvt_u32_f32_e32 v1, v3
	v_cvt_u32_f32_e32 v3, v5
	s_delay_alu instid0(VALU_DEP_2) | instskip(NEXT) | instid1(VALU_DEP_2)
	v_xor_b32_e32 v25, v1, v22
	v_xor_b32_e32 v24, v3, v22
	s_delay_alu instid0(VALU_DEP_1)
	v_sub_nc_u64_e32 v[22:23], v[24:25], v[22:23]
	s_branch .LBB95_5685
.LBB95_5680:
	s_mov_b32 s6, -1
	s_branch .LBB95_5684
.LBB95_5681:
	s_and_not1_saveexec_b32 s6, s6
	s_cbranch_execz .LBB95_5662
.LBB95_5682:
	v_cmp_ne_u16_e32 vcc_lo, 0, v1
	s_and_not1_b32 s7, s7, exec_lo
	s_and_b32 s9, vcc_lo, exec_lo
	s_delay_alu instid0(SALU_CYCLE_1)
	s_or_b32 s7, s7, s9
	s_or_b32 exec_lo, exec_lo, s6
	v_mov_b64_e32 v[22:23], 0
	s_and_saveexec_b32 s6, s7
	s_cbranch_execnz .LBB95_5663
	s_branch .LBB95_5664
.LBB95_5683:
	s_mov_b32 s0, -1
.LBB95_5684:
                                        ; implicit-def: $vgpr22_vgpr23
.LBB95_5685:
	s_and_b32 vcc_lo, exec_lo, s6
	s_mov_b32 s6, 0
	s_cbranch_vccz .LBB95_5687
; %bb.5686:
	s_cmp_lg_u32 s59, 11
	s_mov_b32 s6, -1
	s_cselect_b32 s0, -1, 0
.LBB95_5687:
	s_delay_alu instid0(SALU_CYCLE_1)
	s_and_b32 vcc_lo, exec_lo, s0
	s_cbranch_vccnz .LBB95_5816
; %bb.5688:
	s_and_not1_b32 vcc_lo, exec_lo, s6
	s_cbranch_vccnz .LBB95_5690
.LBB95_5689:
	global_load_u8 v1, v[10:11], off
	s_mov_b32 s0, 0
	s_mov_b32 s7, -1
	s_wait_loadcnt 0x1
	s_wait_xcnt 0x1
	v_mov_b32_e32 v23, s0
	s_wait_loadcnt 0x0
	v_cmp_ne_u16_e32 vcc_lo, 0, v1
	v_cndmask_b32_e64 v22, 0, 1, vcc_lo
.LBB95_5690:
	s_mov_b32 s0, 0
.LBB95_5691:
	s_delay_alu instid0(SALU_CYCLE_1)
	s_and_b32 vcc_lo, exec_lo, s0
	s_cbranch_vccz .LBB95_5740
; %bb.5692:
	s_cmp_lt_i32 s59, 5
	s_cbranch_scc1 .LBB95_5697
; %bb.5693:
	s_cmp_lt_i32 s59, 8
	s_cbranch_scc1 .LBB95_5698
	;; [unrolled: 3-line block ×3, first 2 shown]
; %bb.5695:
	s_cmp_gt_i32 s59, 9
	s_cbranch_scc0 .LBB95_5700
; %bb.5696:
	s_wait_loadcnt 0x0
	global_load_b64 v[22:23], v[10:11], off
	s_mov_b32 s0, 0
	s_wait_loadcnt 0x0
	v_trunc_f64_e32 v[22:23], v[22:23]
	s_delay_alu instid0(VALU_DEP_1) | instskip(NEXT) | instid1(VALU_DEP_1)
	v_ldexp_f64 v[24:25], v[22:23], 0xffffffe0
	v_floor_f64_e32 v[24:25], v[24:25]
	s_delay_alu instid0(VALU_DEP_1) | instskip(SKIP_1) | instid1(VALU_DEP_2)
	v_fmamk_f64 v[26:27], v[24:25], 0xc1f00000, v[22:23]
	v_cvt_i32_f64_e32 v23, v[24:25]
	v_cvt_u32_f64_e32 v22, v[26:27]
	s_branch .LBB95_5701
.LBB95_5697:
	s_mov_b32 s0, -1
                                        ; implicit-def: $vgpr22_vgpr23
	s_branch .LBB95_5719
.LBB95_5698:
	s_mov_b32 s0, -1
                                        ; implicit-def: $vgpr22_vgpr23
	s_branch .LBB95_5707
.LBB95_5699:
	s_mov_b32 s0, -1
                                        ; implicit-def: $vgpr22_vgpr23
	s_branch .LBB95_5704
.LBB95_5700:
	s_mov_b32 s0, -1
                                        ; implicit-def: $vgpr22_vgpr23
.LBB95_5701:
	s_delay_alu instid0(SALU_CYCLE_1)
	s_and_not1_b32 vcc_lo, exec_lo, s0
	s_cbranch_vccnz .LBB95_5703
; %bb.5702:
	global_load_b32 v1, v[10:11], off
	s_wait_loadcnt 0x0
	v_trunc_f32_e32 v1, v1
	s_delay_alu instid0(VALU_DEP_1) | instskip(SKIP_2) | instid1(VALU_DEP_2)
	v_mul_f32_e64 v3, 0x2f800000, |v1|
	s_wait_xcnt 0x1
	v_ashrrev_i32_e32 v22, 31, v1
	v_floor_f32_e32 v3, v3
	s_delay_alu instid0(VALU_DEP_1) | instskip(SKIP_1) | instid1(VALU_DEP_4)
	v_fma_f32 v5, 0xcf800000, v3, |v1|
	v_cvt_u32_f32_e32 v1, v3
	v_mov_b32_e32 v23, v22
	s_delay_alu instid0(VALU_DEP_3) | instskip(NEXT) | instid1(VALU_DEP_3)
	v_cvt_u32_f32_e32 v3, v5
	v_xor_b32_e32 v25, v1, v22
	s_delay_alu instid0(VALU_DEP_2) | instskip(NEXT) | instid1(VALU_DEP_1)
	v_xor_b32_e32 v24, v3, v22
	v_sub_nc_u64_e32 v[22:23], v[24:25], v[22:23]
.LBB95_5703:
	s_mov_b32 s0, 0
.LBB95_5704:
	s_delay_alu instid0(SALU_CYCLE_1)
	s_and_not1_b32 vcc_lo, exec_lo, s0
	s_cbranch_vccnz .LBB95_5706
; %bb.5705:
	global_load_b32 v1, v[10:11], off
	s_wait_loadcnt 0x0
	v_cvt_f32_f16_e32 v1, v1
	s_wait_xcnt 0x1
	s_delay_alu instid0(VALU_DEP_1) | instskip(NEXT) | instid1(VALU_DEP_1)
	v_cvt_i32_f32_e32 v22, v1
	v_ashrrev_i32_e32 v23, 31, v22
.LBB95_5706:
	s_mov_b32 s0, 0
.LBB95_5707:
	s_delay_alu instid0(SALU_CYCLE_1)
	s_and_not1_b32 vcc_lo, exec_lo, s0
	s_cbranch_vccnz .LBB95_5718
; %bb.5708:
	s_cmp_lt_i32 s59, 6
	s_cbranch_scc1 .LBB95_5711
; %bb.5709:
	s_cmp_gt_i32 s59, 6
	s_cbranch_scc0 .LBB95_5712
; %bb.5710:
	s_wait_loadcnt 0x0
	global_load_b64 v[22:23], v[10:11], off
	s_mov_b32 s0, 0
	s_wait_loadcnt 0x0
	v_trunc_f64_e32 v[22:23], v[22:23]
	s_delay_alu instid0(VALU_DEP_1) | instskip(NEXT) | instid1(VALU_DEP_1)
	v_ldexp_f64 v[24:25], v[22:23], 0xffffffe0
	v_floor_f64_e32 v[24:25], v[24:25]
	s_delay_alu instid0(VALU_DEP_1) | instskip(SKIP_1) | instid1(VALU_DEP_2)
	v_fmamk_f64 v[26:27], v[24:25], 0xc1f00000, v[22:23]
	v_cvt_i32_f64_e32 v23, v[24:25]
	v_cvt_u32_f64_e32 v22, v[26:27]
	s_branch .LBB95_5713
.LBB95_5711:
	s_mov_b32 s0, -1
                                        ; implicit-def: $vgpr22_vgpr23
	s_branch .LBB95_5716
.LBB95_5712:
	s_mov_b32 s0, -1
                                        ; implicit-def: $vgpr22_vgpr23
.LBB95_5713:
	s_delay_alu instid0(SALU_CYCLE_1)
	s_and_not1_b32 vcc_lo, exec_lo, s0
	s_cbranch_vccnz .LBB95_5715
; %bb.5714:
	global_load_b32 v1, v[10:11], off
	s_wait_loadcnt 0x0
	v_trunc_f32_e32 v1, v1
	s_delay_alu instid0(VALU_DEP_1) | instskip(SKIP_2) | instid1(VALU_DEP_2)
	v_mul_f32_e64 v3, 0x2f800000, |v1|
	s_wait_xcnt 0x1
	v_ashrrev_i32_e32 v22, 31, v1
	v_floor_f32_e32 v3, v3
	s_delay_alu instid0(VALU_DEP_1) | instskip(SKIP_1) | instid1(VALU_DEP_4)
	v_fma_f32 v5, 0xcf800000, v3, |v1|
	v_cvt_u32_f32_e32 v1, v3
	v_mov_b32_e32 v23, v22
	s_delay_alu instid0(VALU_DEP_3) | instskip(NEXT) | instid1(VALU_DEP_3)
	v_cvt_u32_f32_e32 v3, v5
	v_xor_b32_e32 v25, v1, v22
	s_delay_alu instid0(VALU_DEP_2) | instskip(NEXT) | instid1(VALU_DEP_1)
	v_xor_b32_e32 v24, v3, v22
	v_sub_nc_u64_e32 v[22:23], v[24:25], v[22:23]
.LBB95_5715:
	s_mov_b32 s0, 0
.LBB95_5716:
	s_delay_alu instid0(SALU_CYCLE_1)
	s_and_not1_b32 vcc_lo, exec_lo, s0
	s_cbranch_vccnz .LBB95_5718
; %bb.5717:
	global_load_u16 v1, v[10:11], off
	s_wait_loadcnt 0x0
	v_cvt_f32_f16_e32 v1, v1
	s_wait_xcnt 0x1
	s_delay_alu instid0(VALU_DEP_1) | instskip(NEXT) | instid1(VALU_DEP_1)
	v_cvt_i32_f32_e32 v22, v1
	v_ashrrev_i32_e32 v23, 31, v22
.LBB95_5718:
	s_mov_b32 s0, 0
.LBB95_5719:
	s_delay_alu instid0(SALU_CYCLE_1)
	s_and_not1_b32 vcc_lo, exec_lo, s0
	s_cbranch_vccnz .LBB95_5739
; %bb.5720:
	s_cmp_lt_i32 s59, 2
	s_cbranch_scc1 .LBB95_5724
; %bb.5721:
	s_cmp_lt_i32 s59, 3
	s_cbranch_scc1 .LBB95_5725
; %bb.5722:
	s_cmp_gt_i32 s59, 3
	s_cbranch_scc0 .LBB95_5726
; %bb.5723:
	s_wait_loadcnt 0x0
	global_load_b64 v[22:23], v[10:11], off
	s_mov_b32 s0, 0
	s_branch .LBB95_5727
.LBB95_5724:
	s_mov_b32 s0, -1
                                        ; implicit-def: $vgpr22_vgpr23
	s_branch .LBB95_5733
.LBB95_5725:
	s_mov_b32 s0, -1
                                        ; implicit-def: $vgpr22_vgpr23
	s_branch .LBB95_5730
.LBB95_5726:
	s_mov_b32 s0, -1
                                        ; implicit-def: $vgpr22_vgpr23
.LBB95_5727:
	s_delay_alu instid0(SALU_CYCLE_1)
	s_and_not1_b32 vcc_lo, exec_lo, s0
	s_cbranch_vccnz .LBB95_5729
; %bb.5728:
	s_wait_loadcnt 0x0
	global_load_b32 v22, v[10:11], off
	s_wait_loadcnt 0x0
	v_ashrrev_i32_e32 v23, 31, v22
.LBB95_5729:
	s_mov_b32 s0, 0
.LBB95_5730:
	s_delay_alu instid0(SALU_CYCLE_1)
	s_and_not1_b32 vcc_lo, exec_lo, s0
	s_cbranch_vccnz .LBB95_5732
; %bb.5731:
	global_load_u16 v1, v[10:11], off
	s_wait_loadcnt 0x0
	s_wait_xcnt 0x1
	v_bfe_i32 v22, v1, 0, 16
	s_delay_alu instid0(VALU_DEP_1)
	v_ashrrev_i32_e32 v23, 31, v22
.LBB95_5732:
	s_mov_b32 s0, 0
.LBB95_5733:
	s_delay_alu instid0(SALU_CYCLE_1)
	s_and_not1_b32 vcc_lo, exec_lo, s0
	s_cbranch_vccnz .LBB95_5739
; %bb.5734:
	s_cmp_gt_i32 s59, 0
	s_mov_b32 s0, 0
	s_cbranch_scc0 .LBB95_5736
; %bb.5735:
	global_load_i8 v1, v[10:11], off
	s_wait_loadcnt 0x0
	s_wait_xcnt 0x1
	v_bfe_i32 v22, v1, 0, 16
	s_delay_alu instid0(VALU_DEP_1)
	v_ashrrev_i32_e32 v23, 31, v22
	s_branch .LBB95_5737
.LBB95_5736:
	s_mov_b32 s0, -1
                                        ; implicit-def: $vgpr22_vgpr23
.LBB95_5737:
	s_delay_alu instid0(SALU_CYCLE_1)
	s_and_not1_b32 vcc_lo, exec_lo, s0
	s_cbranch_vccnz .LBB95_5739
; %bb.5738:
	global_load_u8 v1, v[10:11], off
	s_mov_b32 s0, 0
	s_wait_loadcnt 0x1
	s_wait_xcnt 0x1
	v_mov_b32_e32 v23, s0
	s_wait_loadcnt 0x0
	v_and_b32_e32 v22, 0xffff, v1
.LBB95_5739:
	s_mov_b32 s7, -1
.LBB95_5740:
	s_delay_alu instid0(SALU_CYCLE_1)
	s_and_not1_b32 vcc_lo, exec_lo, s7
	s_cbranch_vccnz .LBB95_5749
; %bb.5741:
	s_mov_b32 s0, exec_lo
	s_wait_loadcnt 0x0
	v_cmpx_ne_u64_e64 v[20:21], v[8:9]
	s_xor_b32 s0, exec_lo, s0
	s_cbranch_execnz .LBB95_6092
.LBB95_5742:
	s_or_saveexec_b32 s24, s0
	s_mov_b32 s6, 0
	s_mov_b32 s7, 0
                                        ; implicit-def: $vgpr42_vgpr43
                                        ; implicit-def: $sgpr0
	s_xor_b32 exec_lo, exec_lo, s24
	s_cbranch_execz .LBB95_6087
; %bb.5743:
	s_mov_b32 s25, s23
	s_mov_b32 s0, exec_lo
	v_cmpx_ne_u64_e64 v[18:19], v[12:13]
	s_xor_b32 s0, exec_lo, s0
	s_cbranch_execnz .LBB95_6094
; %bb.5744:
	s_or_saveexec_b32 s26, s0
                                        ; implicit-def: $vgpr42_vgpr43
                                        ; implicit-def: $sgpr0
	s_delay_alu instid0(SALU_CYCLE_1)
	s_xor_b32 exec_lo, exec_lo, s26
	s_cbranch_execz .LBB95_6086
.LBB95_5745:
	v_sub_nc_u64_e32 v[10:11], v[14:15], v[16:17]
	s_delay_alu instid0(VALU_DEP_1) | instskip(SKIP_3) | instid1(SALU_CYCLE_1)
	v_cmp_gt_i64_e32 vcc_lo, v[8:9], v[10:11]
	v_cmp_lt_i64_e64 s0, s[18:19], v[10:11]
	s_mov_b32 s18, s25
	s_or_b32 s0, vcc_lo, s0
	s_and_saveexec_b32 s6, s0
	s_delay_alu instid0(SALU_CYCLE_1)
	s_xor_b32 s0, exec_lo, s6
	s_cbranch_execnz .LBB95_6096
; %bb.5746:
	s_or_saveexec_b32 s19, s0
	s_mov_b32 s6, 0
                                        ; implicit-def: $vgpr42_vgpr43
                                        ; implicit-def: $sgpr0
	s_xor_b32 exec_lo, exec_lo, s19
	s_cbranch_execz .LBB95_6085
.LBB95_5747:
	v_mov_b64_e32 v[8:9], 0
	s_and_saveexec_b32 s27, s46
	s_cbranch_execz .LBB95_5760
; %bb.5748:
	v_mul_u64_e32 v[12:13], v[22:23], v[12:13]
	s_mov_b32 s9, 0
	v_mov_b64_e32 v[8:9], 0
	s_lshl_b64 s[10:11], s[8:9], 3
	v_mov_b32_e32 v10, 0
	s_add_nc_u64 s[10:11], s[2:3], s[10:11]
	s_mov_b64 s[6:7], 0xffffffff
	s_add_nc_u64 s[10:11], s[10:11], 0x298
	s_branch .LBB95_5756
.LBB95_5749:
	s_mov_b32 s6, 0
	s_mov_b32 s7, 0
                                        ; implicit-def: $vgpr42_vgpr43
                                        ; implicit-def: $sgpr0
.LBB95_5750:
	s_and_not1_b32 s1, s1, exec_lo
	s_and_b32 s2, s23, exec_lo
	s_and_b32 s24, s7, exec_lo
	;; [unrolled: 1-line block ×3, first 2 shown]
	s_or_b32 s1, s1, s2
.LBB95_5751:
	s_wait_xcnt 0x0
	s_or_b32 exec_lo, exec_lo, s22
	s_delay_alu instid0(SALU_CYCLE_1)
	s_and_not1_b32 s2, s63, exec_lo
	s_and_b32 s3, s1, exec_lo
	s_and_b32 s22, s24, exec_lo
	;; [unrolled: 1-line block ×3, first 2 shown]
	s_or_b32 s63, s2, s3
.LBB95_5752:
	s_or_b32 exec_lo, exec_lo, s64
	s_delay_alu instid0(SALU_CYCLE_1)
	s_and_not1_b32 s2, s61, exec_lo
	s_and_b32 s3, s63, exec_lo
	s_and_b32 s9, s22, exec_lo
	;; [unrolled: 1-line block ×3, first 2 shown]
	s_or_b32 s61, s2, s3
.LBB95_5753:
	s_or_b32 exec_lo, exec_lo, s62
	s_delay_alu instid0(SALU_CYCLE_1)
	s_and_not1_b32 s2, s54, exec_lo
	s_and_b32 s3, s61, exec_lo
	s_and_b32 s9, s9, exec_lo
	;; [unrolled: 1-line block ×3, first 2 shown]
	s_or_b32 s54, s2, s3
.LBB95_5754:
	s_or_b32 exec_lo, exec_lo, s60
	s_branch .LBB95_5084
.LBB95_5755:                            ;   in Loop: Header=BB95_5756 Depth=1
	s_or_b32 exec_lo, exec_lo, s0
	s_delay_alu instid0(VALU_DEP_1)
	v_mul_u64_e32 v[20:21], s[12:13], v[18:19]
	s_load_b64 s[12:13], s[10:11], 0x40
	s_add_co_i32 s44, s44, -1
	s_wait_xcnt 0x0
	s_add_nc_u64 s[10:11], s[10:11], -8
	s_cmp_eq_u32 s44, 0
	s_delay_alu instid0(VALU_DEP_1) | instskip(SKIP_1) | instid1(VALU_DEP_1)
	v_sub_nc_u64_e32 v[12:13], v[12:13], v[20:21]
	s_wait_kmcnt 0x0
	v_mad_nc_u64_u32 v[8:9], v12, s12, v[8:9]
	s_delay_alu instid0(VALU_DEP_1) | instskip(NEXT) | instid1(VALU_DEP_1)
	v_mad_u32 v1, v13, s12, v9
	v_mad_u32 v9, v12, s13, v1
	v_mov_b64_e32 v[12:13], v[18:19]
	s_cbranch_scc1 .LBB95_5760
.LBB95_5756:                            ; =>This Inner Loop Header: Depth=1
	s_load_b64 s[12:13], s[10:11], 0x0
                                        ; implicit-def: $vgpr18_vgpr19
	s_mov_b32 s0, exec_lo
	s_wait_kmcnt 0x0
	s_delay_alu instid0(VALU_DEP_1) | instskip(NEXT) | instid1(VALU_DEP_1)
	v_or_b32_e32 v11, s13, v13
	v_cmpx_ne_u64_e32 0, v[10:11]
	s_xor_b32 s28, exec_lo, s0
	s_cbranch_execz .LBB95_5758
; %bb.5757:                             ;   in Loop: Header=BB95_5756 Depth=1
	s_ashr_i32 s14, s13, 31
	v_dual_mov_b32 v23, v10 :: v_dual_ashrrev_i32 v18, 31, v13
	s_mov_b32 s15, s14
	v_mov_b32_e32 v31, v10
	s_add_nc_u64 s[16:17], s[12:13], s[14:15]
	s_delay_alu instid0(VALU_DEP_2) | instskip(SKIP_1) | instid1(SALU_CYCLE_1)
	v_mov_b32_e32 v19, v18
	s_xor_b64 s[16:17], s[16:17], s[14:15]
	s_cvt_f32_u32 s0, s16
	s_cvt_f32_u32 s8, s17
	s_sub_nc_u64 s[56:57], 0, s[16:17]
	v_add_nc_u64_e32 v[20:21], v[12:13], v[18:19]
	v_mov_b32_e32 v27, v10
	s_fmamk_f32 s0, s8, 0x4f800000, s0
	s_delay_alu instid0(SALU_CYCLE_3) | instskip(NEXT) | instid1(VALU_DEP_2)
	v_s_rcp_f32 s0, s0
	v_xor_b32_e32 v22, v20, v18
	s_delay_alu instid0(VALU_DEP_3) | instskip(NEXT) | instid1(TRANS32_DEP_1)
	v_xor_b32_e32 v26, v21, v18
	s_mul_f32 s0, s0, 0x5f7ffffc
	s_delay_alu instid0(SALU_CYCLE_3) | instskip(NEXT) | instid1(SALU_CYCLE_3)
	s_mul_f32 s8, s0, 0x2f800000
	s_trunc_f32 s8, s8
	s_delay_alu instid0(SALU_CYCLE_3) | instskip(SKIP_1) | instid1(SALU_CYCLE_2)
	s_fmamk_f32 s0, s8, 0xcf800000, s0
	s_cvt_u32_f32 s31, s8
	s_cvt_u32_f32 s30, s0
	s_delay_alu instid0(SALU_CYCLE_3) | instskip(NEXT) | instid1(SALU_CYCLE_1)
	s_mul_u64 s[58:59], s[56:57], s[30:31]
	s_mul_hi_u32 s67, s30, s59
	s_mul_i32 s66, s30, s59
	s_mul_hi_u32 s8, s30, s58
	s_mul_i32 s15, s31, s58
	s_add_nc_u64 s[66:67], s[8:9], s[66:67]
	s_mul_hi_u32 s0, s31, s58
	s_mul_hi_u32 s29, s31, s59
	s_add_co_u32 s8, s66, s15
	s_add_co_ci_u32 s8, s67, s0
	s_mul_i32 s58, s31, s59
	s_add_co_ci_u32 s59, s29, 0
	s_delay_alu instid0(SALU_CYCLE_1) | instskip(NEXT) | instid1(SALU_CYCLE_1)
	s_add_nc_u64 s[58:59], s[8:9], s[58:59]
	s_add_co_u32 s30, s30, s58
	s_cselect_b32 s0, -1, 0
	s_delay_alu instid0(SALU_CYCLE_1) | instskip(SKIP_1) | instid1(SALU_CYCLE_1)
	s_cmp_lg_u32 s0, 0
	s_add_co_ci_u32 s31, s31, s59
	s_mul_u64 s[56:57], s[56:57], s[30:31]
	s_delay_alu instid0(SALU_CYCLE_1)
	s_mul_hi_u32 s59, s30, s57
	s_mul_i32 s58, s30, s57
	s_mul_hi_u32 s8, s30, s56
	s_mul_i32 s15, s31, s56
	s_add_nc_u64 s[58:59], s[8:9], s[58:59]
	s_mul_hi_u32 s0, s31, s56
	s_mul_hi_u32 s29, s31, s57
	s_add_co_u32 s8, s58, s15
	s_add_co_ci_u32 s8, s59, s0
	s_mul_i32 s56, s31, s57
	s_add_co_ci_u32 s57, s29, 0
	s_delay_alu instid0(SALU_CYCLE_1) | instskip(NEXT) | instid1(SALU_CYCLE_1)
	s_add_nc_u64 s[56:57], s[8:9], s[56:57]
	s_add_co_u32 s0, s30, s56
	s_cselect_b32 s8, -1, 0
	v_mul_hi_u32 v30, v22, s0
	s_cmp_lg_u32 s8, 0
	s_add_co_ci_u32 s8, s31, s57
	s_and_b64 s[30:31], s[0:1], s[6:7]
	v_mul_u64_e32 v[24:25], s[8:9], v[22:23]
	v_mul_u64_e32 v[20:21], s[30:31], v[26:27]
	;; [unrolled: 1-line block ×3, first 2 shown]
	s_delay_alu instid0(VALU_DEP_3) | instskip(NEXT) | instid1(VALU_DEP_1)
	v_add_nc_u64_e32 v[24:25], v[30:31], v[24:25]
	v_add_co_u32 v1, vcc_lo, v24, v20
	s_delay_alu instid0(VALU_DEP_2) | instskip(NEXT) | instid1(VALU_DEP_4)
	v_add_co_ci_u32_e32 v30, vcc_lo, v25, v21, vcc_lo
	v_add_co_ci_u32_e32 v29, vcc_lo, 0, v29, vcc_lo
	s_delay_alu instid0(VALU_DEP_1) | instskip(NEXT) | instid1(VALU_DEP_1)
	v_add_nc_u64_e32 v[20:21], v[30:31], v[28:29]
	v_mul_u64_e32 v[24:25], s[16:17], v[20:21]
	s_delay_alu instid0(VALU_DEP_1) | instskip(NEXT) | instid1(VALU_DEP_2)
	v_sub_nc_u32_e32 v1, v26, v25
	v_sub_co_u32 v3, vcc_lo, v22, v24
	s_delay_alu instid0(VALU_DEP_1) | instskip(NEXT) | instid1(VALU_DEP_3)
	v_sub_co_ci_u32_e64 v7, null, v26, v25, vcc_lo
	v_subrev_co_ci_u32_e64 v1, null, s17, v1, vcc_lo
	s_delay_alu instid0(VALU_DEP_3) | instskip(SKIP_1) | instid1(VALU_DEP_3)
	v_sub_co_u32 v5, s0, v3, s16
	v_add_nc_u64_e32 v[22:23], 2, v[20:21]
	v_subrev_co_ci_u32_e64 v1, null, 0, v1, s0
	s_delay_alu instid0(VALU_DEP_3) | instskip(SKIP_2) | instid1(VALU_DEP_4)
	v_cmp_le_u32_e32 vcc_lo, s16, v5
	v_add_nc_u64_e32 v[24:25], 1, v[20:21]
	v_cndmask_b32_e64 v5, 0, -1, vcc_lo
	v_cmp_le_u32_e32 vcc_lo, s17, v1
	v_cndmask_b32_e64 v11, 0, -1, vcc_lo
	v_cmp_le_u32_e32 vcc_lo, s16, v3
	;; [unrolled: 2-line block ×3, first 2 shown]
	v_cndmask_b32_e64 v19, 0, -1, vcc_lo
	v_cmp_eq_u32_e32 vcc_lo, s17, v1
	v_cndmask_b32_e32 v1, v11, v5, vcc_lo
	v_cmp_eq_u32_e32 vcc_lo, s17, v7
	s_delay_alu instid0(VALU_DEP_4) | instskip(NEXT) | instid1(VALU_DEP_3)
	v_cndmask_b32_e32 v3, v19, v3, vcc_lo
	v_cmp_ne_u32_e32 vcc_lo, 0, v1
	s_delay_alu instid0(VALU_DEP_2) | instskip(SKIP_1) | instid1(VALU_DEP_1)
	v_cmp_ne_u32_e64 s0, 0, v3
	v_dual_cndmask_b32 v1, v25, v23, vcc_lo :: v_dual_cndmask_b32 v3, v24, v22, vcc_lo
	v_dual_cndmask_b32 v1, v21, v1, s0 :: v_dual_bitop2_b32 v18, s14, v18 bitop3:0x14
	s_delay_alu instid0(VALU_DEP_1) | instskip(NEXT) | instid1(VALU_DEP_2)
	v_dual_cndmask_b32 v3, v20, v3, s0 :: v_dual_mov_b32 v19, v18
	v_xor_b32_e32 v21, v1, v18
	s_delay_alu instid0(VALU_DEP_2) | instskip(NEXT) | instid1(VALU_DEP_1)
	v_xor_b32_e32 v20, v3, v18
	v_sub_nc_u64_e32 v[18:19], v[20:21], v[18:19]
.LBB95_5758:                            ;   in Loop: Header=BB95_5756 Depth=1
	s_and_not1_saveexec_b32 s0, s28
	s_cbranch_execz .LBB95_5755
; %bb.5759:                             ;   in Loop: Header=BB95_5756 Depth=1
	v_cvt_f32_u32_e32 v1, s12
	s_sub_co_i32 s8, 0, s12
	v_mov_b32_e32 v19, v10
	s_delay_alu instid0(VALU_DEP_2) | instskip(SKIP_1) | instid1(TRANS32_DEP_1)
	v_rcp_iflag_f32_e32 v1, v1
	v_nop
	v_mul_f32_e32 v1, 0x4f7ffffe, v1
	s_delay_alu instid0(VALU_DEP_1) | instskip(NEXT) | instid1(VALU_DEP_1)
	v_cvt_u32_f32_e32 v1, v1
	v_mul_lo_u32 v3, s8, v1
	s_delay_alu instid0(VALU_DEP_1) | instskip(NEXT) | instid1(VALU_DEP_1)
	v_mul_hi_u32 v3, v1, v3
	v_add_nc_u32_e32 v1, v1, v3
	s_delay_alu instid0(VALU_DEP_1) | instskip(NEXT) | instid1(VALU_DEP_1)
	v_mul_hi_u32 v1, v12, v1
	v_mul_lo_u32 v3, v1, s12
	s_delay_alu instid0(VALU_DEP_1) | instskip(NEXT) | instid1(VALU_DEP_1)
	v_sub_nc_u32_e32 v3, v12, v3
	v_subrev_nc_u32_e32 v7, s12, v3
	v_cmp_le_u32_e32 vcc_lo, s12, v3
	s_delay_alu instid0(VALU_DEP_2) | instskip(NEXT) | instid1(VALU_DEP_1)
	v_dual_add_nc_u32 v5, 1, v1 :: v_dual_cndmask_b32 v3, v3, v7, vcc_lo
	v_cndmask_b32_e32 v1, v1, v5, vcc_lo
	s_delay_alu instid0(VALU_DEP_2) | instskip(NEXT) | instid1(VALU_DEP_2)
	v_cmp_le_u32_e32 vcc_lo, s12, v3
	v_add_nc_u32_e32 v5, 1, v1
	s_delay_alu instid0(VALU_DEP_1)
	v_cndmask_b32_e32 v18, v1, v5, vcc_lo
	s_branch .LBB95_5755
.LBB95_5760:
	s_or_b32 exec_lo, exec_lo, s27
	s_mov_b32 s10, -1
	s_mov_b32 s6, s18
	s_mov_b32 s0, exec_lo
	v_cmpx_gt_i64_e64 v[14:15], v[16:17]
	s_cbranch_execz .LBB95_5767
; %bb.5761:
	s_delay_alu instid0(VALU_DEP_2) | instskip(SKIP_2) | instid1(VALU_DEP_1)
	v_lshlrev_b64_e32 v[8:9], 3, v[8:9]
	s_mov_b32 s7, 0
	s_xor_b32 s8, s45, -1
                                        ; implicit-def: $sgpr6
                                        ; implicit-def: $sgpr10
                                        ; implicit-def: $sgpr9
	v_lshl_add_u64 v[10:11], v[16:17], 3, v[8:9]
	s_wait_kmcnt 0x0
	v_add_nc_u64_e32 v[12:13], s[20:21], v[8:9]
	s_delay_alu instid0(VALU_DEP_2) | instskip(NEXT) | instid1(VALU_DEP_1)
	v_add_nc_u64_e32 v[10:11], s[20:21], v[10:11]
	v_add_nc_u64_e32 v[8:9], 8, v[10:11]
	s_delay_alu instid0(VALU_DEP_3)
	v_lshl_add_u64 v[10:11], v[14:15], 3, v[12:13]
	s_branch .LBB95_5763
.LBB95_5762:                            ;   in Loop: Header=BB95_5763 Depth=1
	s_or_b32 exec_lo, exec_lo, s11
	s_xor_b32 s11, s9, -1
	s_and_b32 s12, exec_lo, s10
	s_delay_alu instid0(SALU_CYCLE_1) | instskip(SKIP_2) | instid1(SALU_CYCLE_1)
	s_or_b32 s7, s12, s7
	s_and_not1_b32 s6, s6, exec_lo
	s_and_b32 s11, s11, exec_lo
	s_or_b32 s6, s6, s11
	s_and_not1_b32 exec_lo, exec_lo, s7
	s_cbranch_execz .LBB95_5765
.LBB95_5763:                            ; =>This Inner Loop Header: Depth=1
	s_or_b32 s9, s9, exec_lo
	s_or_b32 s10, s10, exec_lo
	s_mov_b32 s11, exec_lo
	s_delay_alu instid0(VALU_DEP_2)
	v_cmpx_lt_u64_e64 v[8:9], v[10:11]
	s_cbranch_execz .LBB95_5762
; %bb.5764:                             ;   in Loop: Header=BB95_5763 Depth=1
	global_load_b128 v[12:15], v[8:9], off offset:-8
	s_wait_xcnt 0x0
	v_add_nc_u64_e32 v[8:9], 8, v[8:9]
	s_and_not1_b32 s10, s10, exec_lo
	s_and_not1_b32 s9, s9, exec_lo
	s_wait_loadcnt 0x0
	v_cmp_ge_i64_e32 vcc_lo, v[12:13], v[14:15]
	s_or_b32 s12, s8, vcc_lo
	s_delay_alu instid0(SALU_CYCLE_1) | instskip(NEXT) | instid1(SALU_CYCLE_1)
	s_and_b32 s12, s12, exec_lo
	s_or_b32 s10, s10, s12
	s_branch .LBB95_5762
.LBB95_5765:
	s_or_b32 exec_lo, exec_lo, s7
	s_mov_b32 s7, -1
	s_mov_b32 s8, s18
	s_and_saveexec_b32 s9, s6
	s_delay_alu instid0(SALU_CYCLE_1)
	s_xor_b32 s6, exec_lo, s9
	s_cbranch_execnz .LBB95_6089
.LBB95_5766:
	s_or_b32 exec_lo, exec_lo, s6
	s_delay_alu instid0(SALU_CYCLE_1)
	s_and_not1_b32 s6, s18, exec_lo
	s_and_b32 s8, s8, exec_lo
	s_or_not1_b32 s10, s7, exec_lo
	s_or_b32 s6, s6, s8
.LBB95_5767:
	s_or_b32 exec_lo, exec_lo, s0
	s_mov_b32 s8, 0
	s_mov_b32 s9, 0
                                        ; implicit-def: $vgpr42_vgpr43
                                        ; implicit-def: $sgpr0
	s_and_saveexec_b32 s7, s10
	s_cbranch_execz .LBB95_6084
; %bb.5768:
	s_load_b32 s0, s[2:3], 0x320
	v_mov_b32_e32 v7, 0
	s_delay_alu instid0(VALU_DEP_1) | instskip(SKIP_2) | instid1(SALU_CYCLE_1)
	v_add_nc_u64_e32 v[6:7], s[4:5], v[6:7]
	s_wait_kmcnt 0x0
	s_and_b32 s0, s0, 0xff
	s_cmp_lt_i32 s0, 11
	s_cbranch_scc1 .LBB95_5817
; %bb.5769:
	s_and_b32 s2, 0xffff, s0
	s_mov_b32 s10, -1
	s_cmp_gt_i32 s2, 25
	s_mov_b32 s3, 0
	s_cbranch_scc0 .LBB95_5794
; %bb.5770:
	s_cmp_gt_i32 s2, 28
	s_cbranch_scc0 .LBB95_5783
; %bb.5771:
	s_cmp_gt_i32 s2, 43
	s_cbranch_scc0 .LBB95_5779
; %bb.5772:
	s_cmp_gt_i32 s2, 45
	s_cbranch_scc0 .LBB95_5775
; %bb.5773:
	s_mov_b32 s3, -1
	s_mov_b32 s10, 0
	s_cmp_eq_u32 s2, 46
	s_cbranch_scc0 .LBB95_5775
; %bb.5774:
	v_mov_b32_e32 v1, 0
	s_mov_b32 s3, 0
	s_mov_b32 s8, -1
	global_store_b32 v[6:7], v1, off
.LBB95_5775:
	s_and_b32 vcc_lo, exec_lo, s10
	s_cbranch_vccz .LBB95_5778
; %bb.5776:
	s_cmp_eq_u32 s2, 44
	s_mov_b32 s3, -1
	s_cbranch_scc0 .LBB95_5778
; %bb.5777:
	s_wait_xcnt 0x0
	v_mov_b32_e32 v1, 0
	s_mov_b32 s3, 0
	s_mov_b32 s8, -1
	global_store_b8 v[6:7], v1, off
.LBB95_5778:
	s_mov_b32 s10, 0
.LBB95_5779:
	s_delay_alu instid0(SALU_CYCLE_1)
	s_and_b32 vcc_lo, exec_lo, s10
	s_cbranch_vccz .LBB95_5782
; %bb.5780:
	s_cmp_eq_u32 s2, 29
	s_mov_b32 s3, -1
	s_cbranch_scc0 .LBB95_5782
; %bb.5781:
	v_mov_b64_e32 v[8:9], 0
	s_mov_b32 s3, 0
	s_mov_b32 s8, -1
	global_store_b64 v[6:7], v[8:9], off
.LBB95_5782:
	s_mov_b32 s10, 0
.LBB95_5783:
	s_delay_alu instid0(SALU_CYCLE_1)
	s_and_b32 vcc_lo, exec_lo, s10
	s_cbranch_vccz .LBB95_5793
; %bb.5784:
	s_cmp_lt_i32 s2, 27
	s_mov_b32 s8, -1
	s_cbranch_scc1 .LBB95_5790
; %bb.5785:
	s_cmp_gt_i32 s2, 27
	s_cbranch_scc0 .LBB95_5787
; %bb.5786:
	s_wait_xcnt 0x0
	v_mov_b32_e32 v1, 0
	s_mov_b32 s8, 0
	global_store_b32 v[6:7], v1, off
.LBB95_5787:
	s_and_not1_b32 vcc_lo, exec_lo, s8
	s_cbranch_vccnz .LBB95_5789
; %bb.5788:
	s_wait_xcnt 0x0
	v_mov_b32_e32 v1, 0
	global_store_b16 v[6:7], v1, off
.LBB95_5789:
	s_mov_b32 s8, 0
.LBB95_5790:
	s_delay_alu instid0(SALU_CYCLE_1)
	s_and_not1_b32 vcc_lo, exec_lo, s8
	s_cbranch_vccnz .LBB95_5792
; %bb.5791:
	s_wait_xcnt 0x0
	v_mov_b32_e32 v1, 0
	global_store_b8 v[6:7], v1, off
.LBB95_5792:
	s_mov_b32 s8, -1
.LBB95_5793:
	s_mov_b32 s10, 0
.LBB95_5794:
	s_delay_alu instid0(SALU_CYCLE_1)
	s_and_b32 vcc_lo, exec_lo, s10
	s_cbranch_vccz .LBB95_5812
; %bb.5795:
	s_cmp_gt_i32 s2, 22
	s_mov_b32 s9, -1
	s_cbranch_scc0 .LBB95_5805
; %bb.5796:
	s_cmp_lt_i32 s2, 24
	s_mov_b32 s8, -1
	s_cbranch_scc1 .LBB95_5802
; %bb.5797:
	s_cmp_gt_i32 s2, 24
	s_cbranch_scc0 .LBB95_5799
; %bb.5798:
	s_wait_xcnt 0x0
	v_mov_b32_e32 v1, 0
	s_mov_b32 s8, 0
	global_store_b8 v[6:7], v1, off
.LBB95_5799:
	s_and_not1_b32 vcc_lo, exec_lo, s8
	s_cbranch_vccnz .LBB95_5801
; %bb.5800:
	s_wait_xcnt 0x0
	v_mov_b32_e32 v1, 0
	global_store_b8 v[6:7], v1, off
.LBB95_5801:
	s_mov_b32 s8, 0
.LBB95_5802:
	s_delay_alu instid0(SALU_CYCLE_1)
	s_and_not1_b32 vcc_lo, exec_lo, s8
	s_cbranch_vccnz .LBB95_5804
; %bb.5803:
	s_wait_xcnt 0x0
	v_mov_b32_e32 v1, 0
	global_store_b8 v[6:7], v1, off
.LBB95_5804:
	s_mov_b32 s9, 0
	s_mov_b32 s8, -1
.LBB95_5805:
	s_and_not1_b32 vcc_lo, exec_lo, s9
	s_mov_b32 s9, 0
	s_cbranch_vccnz .LBB95_5812
; %bb.5806:
	s_cmp_gt_i32 s2, 14
	s_mov_b32 s9, -1
	s_cbranch_scc0 .LBB95_5810
; %bb.5807:
	s_cmp_eq_u32 s2, 15
	s_mov_b32 s3, -1
	s_cbranch_scc0 .LBB95_5809
; %bb.5808:
	s_wait_xcnt 0x0
	v_mov_b32_e32 v1, 0
	s_mov_b32 s3, 0
	s_mov_b32 s8, -1
	global_store_b16 v[6:7], v1, off
.LBB95_5809:
	s_mov_b32 s9, 0
.LBB95_5810:
	s_delay_alu instid0(SALU_CYCLE_1)
	s_and_b32 vcc_lo, exec_lo, s9
	s_mov_b32 s9, 0
	s_cbranch_vccz .LBB95_5812
; %bb.5811:
	s_cmp_lg_u32 s2, 11
	s_mov_b32 s9, -1
	s_cselect_b32 s3, -1, 0
.LBB95_5812:
	s_delay_alu instid0(SALU_CYCLE_1)
	s_and_b32 vcc_lo, exec_lo, s3
	s_mov_b32 s2, s6
	s_cbranch_vccnz .LBB95_6090
; %bb.5813:
	s_and_not1_b32 vcc_lo, exec_lo, s9
	s_cbranch_vccnz .LBB95_5815
.LBB95_5814:
	s_wait_xcnt 0x0
	v_mov_b32_e32 v1, 0
	s_mov_b32 s8, -1
	global_store_b8 v[6:7], v1, off
.LBB95_5815:
	s_mov_b32 s3, 0
	s_branch .LBB95_5818
.LBB95_5816:
	s_or_b32 s23, s23, exec_lo
	s_trap 2
	s_cbranch_execz .LBB95_5689
	s_branch .LBB95_5690
.LBB95_5817:
	s_mov_b32 s3, -1
	s_mov_b32 s2, s6
.LBB95_5818:
	s_and_b32 vcc_lo, exec_lo, s3
	s_cbranch_vccz .LBB95_5857
; %bb.5819:
	s_and_b32 s3, 0xffff, s0
	s_mov_b32 s8, -1
	s_cmp_lt_i32 s3, 5
	s_cbranch_scc1 .LBB95_5840
; %bb.5820:
	s_cmp_lt_i32 s3, 8
	s_cbranch_scc1 .LBB95_5830
; %bb.5821:
	;; [unrolled: 3-line block ×3, first 2 shown]
	s_cmp_gt_i32 s3, 9
	s_cbranch_scc0 .LBB95_5824
; %bb.5823:
	s_wait_xcnt 0x0
	v_mov_b32_e32 v8, 0
	s_mov_b32 s8, 0
	s_delay_alu instid0(VALU_DEP_1)
	v_dual_mov_b32 v9, v8 :: v_dual_mov_b32 v10, v8
	v_mov_b32_e32 v11, v8
	global_store_b128 v[6:7], v[8:11], off
.LBB95_5824:
	s_and_not1_b32 vcc_lo, exec_lo, s8
	s_cbranch_vccnz .LBB95_5826
; %bb.5825:
	s_wait_xcnt 0x0
	v_mov_b64_e32 v[8:9], 0
	global_store_b64 v[6:7], v[8:9], off
.LBB95_5826:
	s_mov_b32 s8, 0
.LBB95_5827:
	s_delay_alu instid0(SALU_CYCLE_1)
	s_and_not1_b32 vcc_lo, exec_lo, s8
	s_cbranch_vccnz .LBB95_5829
; %bb.5828:
	s_wait_xcnt 0x0
	v_mov_b32_e32 v1, 0
	global_store_b32 v[6:7], v1, off
.LBB95_5829:
	s_mov_b32 s8, 0
.LBB95_5830:
	s_delay_alu instid0(SALU_CYCLE_1)
	s_and_not1_b32 vcc_lo, exec_lo, s8
	s_cbranch_vccnz .LBB95_5839
; %bb.5831:
	s_cmp_lt_i32 s3, 6
	s_mov_b32 s8, -1
	s_cbranch_scc1 .LBB95_5837
; %bb.5832:
	s_cmp_gt_i32 s3, 6
	s_cbranch_scc0 .LBB95_5834
; %bb.5833:
	s_wait_xcnt 0x0
	v_mov_b64_e32 v[8:9], 0
	s_mov_b32 s8, 0
	global_store_b64 v[6:7], v[8:9], off
.LBB95_5834:
	s_and_not1_b32 vcc_lo, exec_lo, s8
	s_cbranch_vccnz .LBB95_5836
; %bb.5835:
	s_wait_xcnt 0x0
	v_mov_b32_e32 v1, 0
	global_store_b32 v[6:7], v1, off
.LBB95_5836:
	s_mov_b32 s8, 0
.LBB95_5837:
	s_delay_alu instid0(SALU_CYCLE_1)
	s_and_not1_b32 vcc_lo, exec_lo, s8
	s_cbranch_vccnz .LBB95_5839
; %bb.5838:
	s_wait_xcnt 0x0
	v_mov_b32_e32 v1, 0
	global_store_b16 v[6:7], v1, off
.LBB95_5839:
	s_mov_b32 s8, 0
.LBB95_5840:
	s_delay_alu instid0(SALU_CYCLE_1)
	s_and_not1_b32 vcc_lo, exec_lo, s8
	s_cbranch_vccnz .LBB95_5856
; %bb.5841:
	s_cmp_lt_i32 s3, 2
	s_mov_b32 s8, -1
	s_cbranch_scc1 .LBB95_5851
; %bb.5842:
	s_cmp_lt_i32 s3, 3
	s_cbranch_scc1 .LBB95_5848
; %bb.5843:
	s_cmp_gt_i32 s3, 3
	s_cbranch_scc0 .LBB95_5845
; %bb.5844:
	s_wait_xcnt 0x0
	v_mov_b64_e32 v[8:9], 0
	s_mov_b32 s8, 0
	global_store_b64 v[6:7], v[8:9], off
.LBB95_5845:
	s_and_not1_b32 vcc_lo, exec_lo, s8
	s_cbranch_vccnz .LBB95_5847
; %bb.5846:
	s_wait_xcnt 0x0
	v_mov_b32_e32 v1, 0
	global_store_b32 v[6:7], v1, off
.LBB95_5847:
	s_mov_b32 s8, 0
.LBB95_5848:
	s_delay_alu instid0(SALU_CYCLE_1)
	s_and_not1_b32 vcc_lo, exec_lo, s8
	s_cbranch_vccnz .LBB95_5850
; %bb.5849:
	s_wait_xcnt 0x0
	v_mov_b32_e32 v1, 0
	global_store_b16 v[6:7], v1, off
.LBB95_5850:
	s_mov_b32 s8, 0
.LBB95_5851:
	s_delay_alu instid0(SALU_CYCLE_1)
	s_and_not1_b32 vcc_lo, exec_lo, s8
	s_cbranch_vccnz .LBB95_5856
; %bb.5852:
	s_cmp_gt_i32 s3, 0
	s_mov_b32 s3, -1
	s_cbranch_scc0 .LBB95_5854
; %bb.5853:
	s_wait_xcnt 0x0
	v_mov_b32_e32 v1, 0
	s_mov_b32 s3, 0
	global_store_b8 v[6:7], v1, off
.LBB95_5854:
	s_and_not1_b32 vcc_lo, exec_lo, s3
	s_cbranch_vccnz .LBB95_5856
; %bb.5855:
	s_wait_xcnt 0x0
	v_mov_b32_e32 v1, 0
	global_store_b8 v[6:7], v1, off
.LBB95_5856:
	s_mov_b32 s8, -1
.LBB95_5857:
	s_delay_alu instid0(SALU_CYCLE_1)
	s_and_not1_b32 vcc_lo, exec_lo, s8
	s_cbranch_vccnz .LBB95_6082
; %bb.5858:
	v_mov_b32_e32 v5, 0
	s_and_b32 s3, 0xffff, s0
	s_delay_alu instid0(SALU_CYCLE_1) | instskip(NEXT) | instid1(VALU_DEP_1)
	s_cmp_lt_i32 s3, 11
	v_add_nc_u64_e32 v[4:5], s[4:5], v[4:5]
	s_cbranch_scc1 .LBB95_5906
; %bb.5859:
	s_mov_b32 s11, -1
	s_mov_b32 s10, 0
	s_cmp_gt_i32 s3, 25
	s_mov_b32 s9, 0
	s_mov_b32 s8, 0
	s_cbranch_scc0 .LBB95_5884
; %bb.5860:
	s_cmp_gt_i32 s3, 28
	s_cbranch_scc0 .LBB95_5873
; %bb.5861:
	s_cmp_gt_i32 s3, 43
	;; [unrolled: 3-line block ×3, first 2 shown]
	s_cbranch_scc0 .LBB95_5865
; %bb.5863:
	s_mov_b32 s8, -1
	s_mov_b32 s11, 0
	s_cmp_eq_u32 s3, 46
	s_cbranch_scc0 .LBB95_5865
; %bb.5864:
	s_wait_xcnt 0x0
	v_mov_b32_e32 v1, 0
	s_mov_b32 s8, 0
	s_mov_b32 s9, -1
	global_store_b32 v[4:5], v1, off
.LBB95_5865:
	s_and_b32 vcc_lo, exec_lo, s11
	s_cbranch_vccz .LBB95_5868
; %bb.5866:
	s_cmp_eq_u32 s3, 44
	s_mov_b32 s8, -1
	s_cbranch_scc0 .LBB95_5868
; %bb.5867:
	s_wait_xcnt 0x0
	v_mov_b32_e32 v1, 0
	s_mov_b32 s8, 0
	s_mov_b32 s9, -1
	global_store_b8 v[4:5], v1, off
.LBB95_5868:
	s_mov_b32 s11, 0
.LBB95_5869:
	s_delay_alu instid0(SALU_CYCLE_1)
	s_and_b32 vcc_lo, exec_lo, s11
	s_cbranch_vccz .LBB95_5872
; %bb.5870:
	s_cmp_eq_u32 s3, 29
	s_mov_b32 s8, -1
	s_cbranch_scc0 .LBB95_5872
; %bb.5871:
	s_wait_xcnt 0x0
	v_mov_b64_e32 v[6:7], 0
	s_mov_b32 s8, 0
	s_mov_b32 s9, -1
	global_store_b64 v[4:5], v[6:7], off
.LBB95_5872:
	s_mov_b32 s11, 0
.LBB95_5873:
	s_delay_alu instid0(SALU_CYCLE_1)
	s_and_b32 vcc_lo, exec_lo, s11
	s_cbranch_vccz .LBB95_5883
; %bb.5874:
	s_cmp_lt_i32 s3, 27
	s_mov_b32 s9, -1
	s_cbranch_scc1 .LBB95_5880
; %bb.5875:
	s_cmp_gt_i32 s3, 27
	s_cbranch_scc0 .LBB95_5877
; %bb.5876:
	s_wait_xcnt 0x0
	v_mov_b32_e32 v1, 0
	s_mov_b32 s9, 0
	global_store_b32 v[4:5], v1, off
.LBB95_5877:
	s_and_not1_b32 vcc_lo, exec_lo, s9
	s_cbranch_vccnz .LBB95_5879
; %bb.5878:
	s_wait_xcnt 0x0
	v_mov_b32_e32 v1, 0
	global_store_b16 v[4:5], v1, off
.LBB95_5879:
	s_mov_b32 s9, 0
.LBB95_5880:
	s_delay_alu instid0(SALU_CYCLE_1)
	s_and_not1_b32 vcc_lo, exec_lo, s9
	s_cbranch_vccnz .LBB95_5882
; %bb.5881:
	s_wait_xcnt 0x0
	v_mov_b32_e32 v1, 0
	global_store_b8 v[4:5], v1, off
.LBB95_5882:
	s_mov_b32 s9, -1
.LBB95_5883:
	s_mov_b32 s11, 0
.LBB95_5884:
	s_delay_alu instid0(SALU_CYCLE_1)
	s_and_b32 vcc_lo, exec_lo, s11
	s_cbranch_vccz .LBB95_5902
; %bb.5885:
	s_cmp_gt_i32 s3, 22
	s_mov_b32 s10, -1
	s_cbranch_scc0 .LBB95_5895
; %bb.5886:
	s_cmp_lt_i32 s3, 24
	s_mov_b32 s9, -1
	s_cbranch_scc1 .LBB95_5892
; %bb.5887:
	s_cmp_gt_i32 s3, 24
	s_cbranch_scc0 .LBB95_5889
; %bb.5888:
	s_wait_xcnt 0x0
	v_mov_b32_e32 v1, 0
	s_mov_b32 s9, 0
	global_store_b8 v[4:5], v1, off
.LBB95_5889:
	s_and_not1_b32 vcc_lo, exec_lo, s9
	s_cbranch_vccnz .LBB95_5891
; %bb.5890:
	s_wait_xcnt 0x0
	v_mov_b32_e32 v1, 0
	global_store_b8 v[4:5], v1, off
.LBB95_5891:
	s_mov_b32 s9, 0
.LBB95_5892:
	s_delay_alu instid0(SALU_CYCLE_1)
	s_and_not1_b32 vcc_lo, exec_lo, s9
	s_cbranch_vccnz .LBB95_5894
; %bb.5893:
	s_wait_xcnt 0x0
	v_mov_b32_e32 v1, 0
	global_store_b8 v[4:5], v1, off
.LBB95_5894:
	s_mov_b32 s10, 0
	s_mov_b32 s9, -1
.LBB95_5895:
	s_and_not1_b32 vcc_lo, exec_lo, s10
	s_mov_b32 s10, 0
	s_cbranch_vccnz .LBB95_5902
; %bb.5896:
	s_cmp_gt_i32 s3, 14
	s_mov_b32 s10, -1
	s_cbranch_scc0 .LBB95_5900
; %bb.5897:
	s_cmp_eq_u32 s3, 15
	s_mov_b32 s8, -1
	s_cbranch_scc0 .LBB95_5899
; %bb.5898:
	s_wait_xcnt 0x0
	v_mov_b32_e32 v1, 0
	s_mov_b32 s8, 0
	s_mov_b32 s9, -1
	global_store_b16 v[4:5], v1, off
.LBB95_5899:
	s_mov_b32 s10, 0
.LBB95_5900:
	s_delay_alu instid0(SALU_CYCLE_1)
	s_and_b32 vcc_lo, exec_lo, s10
	s_mov_b32 s10, 0
	s_cbranch_vccz .LBB95_5902
; %bb.5901:
	s_cmp_lg_u32 s3, 11
	s_mov_b32 s10, -1
	s_cselect_b32 s8, -1, 0
.LBB95_5902:
	s_delay_alu instid0(SALU_CYCLE_1)
	s_and_b32 vcc_lo, exec_lo, s8
	s_cbranch_vccnz .LBB95_6091
; %bb.5903:
	s_and_not1_b32 vcc_lo, exec_lo, s10
	s_cbranch_vccnz .LBB95_5905
.LBB95_5904:
	s_wait_xcnt 0x0
	v_mov_b32_e32 v1, 0
	s_mov_b32 s9, -1
	global_store_b8 v[4:5], v1, off
.LBB95_5905:
	s_mov_b32 s8, 0
	s_branch .LBB95_5907
.LBB95_5906:
	s_mov_b32 s8, -1
	s_mov_b32 s9, 0
.LBB95_5907:
	s_and_b32 vcc_lo, exec_lo, s8
	s_cbranch_vccz .LBB95_5946
; %bb.5908:
	s_cmp_lt_i32 s3, 5
	s_mov_b32 s8, -1
	s_cbranch_scc1 .LBB95_5929
; %bb.5909:
	s_cmp_lt_i32 s3, 8
	s_cbranch_scc1 .LBB95_5919
; %bb.5910:
	s_cmp_lt_i32 s3, 9
	s_cbranch_scc1 .LBB95_5916
; %bb.5911:
	s_cmp_gt_i32 s3, 9
	s_cbranch_scc0 .LBB95_5913
; %bb.5912:
	s_wait_xcnt 0x0
	v_mov_b32_e32 v6, 0
	s_mov_b32 s8, 0
	s_delay_alu instid0(VALU_DEP_1)
	v_dual_mov_b32 v7, v6 :: v_dual_mov_b32 v8, v6
	v_mov_b32_e32 v9, v6
	global_store_b128 v[4:5], v[6:9], off
.LBB95_5913:
	s_and_not1_b32 vcc_lo, exec_lo, s8
	s_cbranch_vccnz .LBB95_5915
; %bb.5914:
	s_wait_xcnt 0x0
	v_mov_b64_e32 v[6:7], 0
	global_store_b64 v[4:5], v[6:7], off
.LBB95_5915:
	s_mov_b32 s8, 0
.LBB95_5916:
	s_delay_alu instid0(SALU_CYCLE_1)
	s_and_not1_b32 vcc_lo, exec_lo, s8
	s_cbranch_vccnz .LBB95_5918
; %bb.5917:
	s_wait_xcnt 0x0
	v_mov_b32_e32 v1, 0
	global_store_b32 v[4:5], v1, off
.LBB95_5918:
	s_mov_b32 s8, 0
.LBB95_5919:
	s_delay_alu instid0(SALU_CYCLE_1)
	s_and_not1_b32 vcc_lo, exec_lo, s8
	s_cbranch_vccnz .LBB95_5928
; %bb.5920:
	s_cmp_lt_i32 s3, 6
	s_mov_b32 s8, -1
	s_cbranch_scc1 .LBB95_5926
; %bb.5921:
	s_cmp_gt_i32 s3, 6
	s_cbranch_scc0 .LBB95_5923
; %bb.5922:
	s_wait_xcnt 0x0
	v_mov_b64_e32 v[6:7], 0
	s_mov_b32 s8, 0
	global_store_b64 v[4:5], v[6:7], off
.LBB95_5923:
	s_and_not1_b32 vcc_lo, exec_lo, s8
	s_cbranch_vccnz .LBB95_5925
; %bb.5924:
	s_wait_xcnt 0x0
	v_mov_b32_e32 v1, 0
	global_store_b32 v[4:5], v1, off
.LBB95_5925:
	s_mov_b32 s8, 0
.LBB95_5926:
	s_delay_alu instid0(SALU_CYCLE_1)
	s_and_not1_b32 vcc_lo, exec_lo, s8
	s_cbranch_vccnz .LBB95_5928
; %bb.5927:
	s_wait_xcnt 0x0
	v_mov_b32_e32 v1, 0
	global_store_b16 v[4:5], v1, off
.LBB95_5928:
	s_mov_b32 s8, 0
.LBB95_5929:
	s_delay_alu instid0(SALU_CYCLE_1)
	s_and_not1_b32 vcc_lo, exec_lo, s8
	s_cbranch_vccnz .LBB95_5945
; %bb.5930:
	s_cmp_lt_i32 s3, 2
	s_mov_b32 s8, -1
	s_cbranch_scc1 .LBB95_5940
; %bb.5931:
	s_cmp_lt_i32 s3, 3
	s_cbranch_scc1 .LBB95_5937
; %bb.5932:
	s_cmp_gt_i32 s3, 3
	s_cbranch_scc0 .LBB95_5934
; %bb.5933:
	s_wait_xcnt 0x0
	v_mov_b64_e32 v[6:7], 0
	s_mov_b32 s8, 0
	global_store_b64 v[4:5], v[6:7], off
.LBB95_5934:
	s_and_not1_b32 vcc_lo, exec_lo, s8
	s_cbranch_vccnz .LBB95_5936
; %bb.5935:
	s_wait_xcnt 0x0
	v_mov_b32_e32 v1, 0
	global_store_b32 v[4:5], v1, off
.LBB95_5936:
	s_mov_b32 s8, 0
.LBB95_5937:
	s_delay_alu instid0(SALU_CYCLE_1)
	s_and_not1_b32 vcc_lo, exec_lo, s8
	s_cbranch_vccnz .LBB95_5939
; %bb.5938:
	s_wait_xcnt 0x0
	v_mov_b32_e32 v1, 0
	global_store_b16 v[4:5], v1, off
.LBB95_5939:
	s_mov_b32 s8, 0
.LBB95_5940:
	s_delay_alu instid0(SALU_CYCLE_1)
	s_and_not1_b32 vcc_lo, exec_lo, s8
	s_cbranch_vccnz .LBB95_5945
; %bb.5941:
	s_cmp_gt_i32 s3, 0
	s_mov_b32 s8, -1
	s_cbranch_scc0 .LBB95_5943
; %bb.5942:
	s_wait_xcnt 0x0
	v_mov_b32_e32 v1, 0
	s_mov_b32 s8, 0
	global_store_b8 v[4:5], v1, off
.LBB95_5943:
	s_and_not1_b32 vcc_lo, exec_lo, s8
	s_cbranch_vccnz .LBB95_5945
; %bb.5944:
	s_wait_xcnt 0x0
	v_mov_b32_e32 v1, 0
	global_store_b8 v[4:5], v1, off
.LBB95_5945:
	s_mov_b32 s9, -1
.LBB95_5946:
	s_delay_alu instid0(SALU_CYCLE_1)
	s_and_not1_b32 vcc_lo, exec_lo, s9
	s_cbranch_vccnz .LBB95_6082
; %bb.5947:
	v_mov_b32_e32 v3, 0
	s_cmp_lt_i32 s3, 11
	s_delay_alu instid0(VALU_DEP_1)
	v_add_nc_u64_e32 v[2:3], s[4:5], v[2:3]
	s_cbranch_scc1 .LBB95_5995
; %bb.5948:
	s_mov_b32 s11, -1
	s_mov_b32 s10, 0
	s_cmp_gt_i32 s3, 25
	s_mov_b32 s9, 0
	s_mov_b32 s8, 0
	s_cbranch_scc0 .LBB95_5973
; %bb.5949:
	s_cmp_gt_i32 s3, 28
	s_cbranch_scc0 .LBB95_5962
; %bb.5950:
	s_cmp_gt_i32 s3, 43
	;; [unrolled: 3-line block ×3, first 2 shown]
	s_cbranch_scc0 .LBB95_5954
; %bb.5952:
	s_mov_b32 s8, -1
	s_mov_b32 s11, 0
	s_cmp_eq_u32 s3, 46
	s_cbranch_scc0 .LBB95_5954
; %bb.5953:
	s_wait_xcnt 0x0
	v_mov_b32_e32 v1, 0
	s_mov_b32 s8, 0
	s_mov_b32 s9, -1
	global_store_b32 v[2:3], v1, off
.LBB95_5954:
	s_and_b32 vcc_lo, exec_lo, s11
	s_cbranch_vccz .LBB95_5957
; %bb.5955:
	s_cmp_eq_u32 s3, 44
	s_mov_b32 s8, -1
	s_cbranch_scc0 .LBB95_5957
; %bb.5956:
	s_wait_xcnt 0x0
	v_mov_b32_e32 v1, 0
	s_mov_b32 s8, 0
	s_mov_b32 s9, -1
	global_store_b8 v[2:3], v1, off
.LBB95_5957:
	s_mov_b32 s11, 0
.LBB95_5958:
	s_delay_alu instid0(SALU_CYCLE_1)
	s_and_b32 vcc_lo, exec_lo, s11
	s_cbranch_vccz .LBB95_5961
; %bb.5959:
	s_cmp_eq_u32 s3, 29
	s_mov_b32 s8, -1
	s_cbranch_scc0 .LBB95_5961
; %bb.5960:
	s_wait_xcnt 0x0
	v_mov_b64_e32 v[4:5], 0
	s_mov_b32 s8, 0
	s_mov_b32 s9, -1
	global_store_b64 v[2:3], v[4:5], off
.LBB95_5961:
	s_mov_b32 s11, 0
.LBB95_5962:
	s_delay_alu instid0(SALU_CYCLE_1)
	s_and_b32 vcc_lo, exec_lo, s11
	s_cbranch_vccz .LBB95_5972
; %bb.5963:
	s_cmp_lt_i32 s3, 27
	s_mov_b32 s9, -1
	s_cbranch_scc1 .LBB95_5969
; %bb.5964:
	s_cmp_gt_i32 s3, 27
	s_cbranch_scc0 .LBB95_5966
; %bb.5965:
	s_wait_xcnt 0x0
	v_mov_b32_e32 v1, 0
	s_mov_b32 s9, 0
	global_store_b32 v[2:3], v1, off
.LBB95_5966:
	s_and_not1_b32 vcc_lo, exec_lo, s9
	s_cbranch_vccnz .LBB95_5968
; %bb.5967:
	s_wait_xcnt 0x0
	v_mov_b32_e32 v1, 0
	global_store_b16 v[2:3], v1, off
.LBB95_5968:
	s_mov_b32 s9, 0
.LBB95_5969:
	s_delay_alu instid0(SALU_CYCLE_1)
	s_and_not1_b32 vcc_lo, exec_lo, s9
	s_cbranch_vccnz .LBB95_5971
; %bb.5970:
	s_wait_xcnt 0x0
	v_mov_b32_e32 v1, 0
	global_store_b8 v[2:3], v1, off
.LBB95_5971:
	s_mov_b32 s9, -1
.LBB95_5972:
	s_mov_b32 s11, 0
.LBB95_5973:
	s_delay_alu instid0(SALU_CYCLE_1)
	s_and_b32 vcc_lo, exec_lo, s11
	s_cbranch_vccz .LBB95_5991
; %bb.5974:
	s_cmp_gt_i32 s3, 22
	s_mov_b32 s10, -1
	s_cbranch_scc0 .LBB95_5984
; %bb.5975:
	s_cmp_lt_i32 s3, 24
	s_mov_b32 s9, -1
	s_cbranch_scc1 .LBB95_5981
; %bb.5976:
	s_cmp_gt_i32 s3, 24
	s_cbranch_scc0 .LBB95_5978
; %bb.5977:
	s_wait_xcnt 0x0
	v_mov_b32_e32 v1, 0
	s_mov_b32 s9, 0
	global_store_b8 v[2:3], v1, off
.LBB95_5978:
	s_and_not1_b32 vcc_lo, exec_lo, s9
	s_cbranch_vccnz .LBB95_5980
; %bb.5979:
	s_wait_xcnt 0x0
	v_mov_b32_e32 v1, 0
	global_store_b8 v[2:3], v1, off
.LBB95_5980:
	s_mov_b32 s9, 0
.LBB95_5981:
	s_delay_alu instid0(SALU_CYCLE_1)
	s_and_not1_b32 vcc_lo, exec_lo, s9
	s_cbranch_vccnz .LBB95_5983
; %bb.5982:
	s_wait_xcnt 0x0
	v_mov_b32_e32 v1, 0
	global_store_b8 v[2:3], v1, off
.LBB95_5983:
	s_mov_b32 s10, 0
	s_mov_b32 s9, -1
.LBB95_5984:
	s_and_not1_b32 vcc_lo, exec_lo, s10
	s_mov_b32 s10, 0
	s_cbranch_vccnz .LBB95_5991
; %bb.5985:
	s_cmp_gt_i32 s3, 14
	s_mov_b32 s10, -1
	s_cbranch_scc0 .LBB95_5989
; %bb.5986:
	s_cmp_eq_u32 s3, 15
	s_mov_b32 s8, -1
	s_cbranch_scc0 .LBB95_5988
; %bb.5987:
	s_wait_xcnt 0x0
	v_mov_b32_e32 v1, 0
	s_mov_b32 s8, 0
	s_mov_b32 s9, -1
	global_store_b16 v[2:3], v1, off
.LBB95_5988:
	s_mov_b32 s10, 0
.LBB95_5989:
	s_delay_alu instid0(SALU_CYCLE_1)
	s_and_b32 vcc_lo, exec_lo, s10
	s_mov_b32 s10, 0
	s_cbranch_vccz .LBB95_5991
; %bb.5990:
	s_cmp_lg_u32 s3, 11
	s_mov_b32 s10, -1
	s_cselect_b32 s8, -1, 0
.LBB95_5991:
	s_delay_alu instid0(SALU_CYCLE_1)
	s_and_b32 vcc_lo, exec_lo, s8
	s_cbranch_vccnz .LBB95_6093
; %bb.5992:
	s_and_not1_b32 vcc_lo, exec_lo, s10
	s_cbranch_vccnz .LBB95_5994
.LBB95_5993:
	s_wait_xcnt 0x0
	v_mov_b32_e32 v1, 0
	s_mov_b32 s9, -1
	global_store_b8 v[2:3], v1, off
.LBB95_5994:
	s_mov_b32 s8, 0
	s_branch .LBB95_5996
.LBB95_5995:
	s_mov_b32 s8, -1
	s_mov_b32 s9, 0
.LBB95_5996:
	s_and_b32 vcc_lo, exec_lo, s8
	s_cbranch_vccz .LBB95_6035
; %bb.5997:
	s_cmp_lt_i32 s3, 5
	s_mov_b32 s8, -1
	s_cbranch_scc1 .LBB95_6018
; %bb.5998:
	s_cmp_lt_i32 s3, 8
	s_cbranch_scc1 .LBB95_6008
; %bb.5999:
	s_cmp_lt_i32 s3, 9
	s_cbranch_scc1 .LBB95_6005
; %bb.6000:
	s_cmp_gt_i32 s3, 9
	s_cbranch_scc0 .LBB95_6002
; %bb.6001:
	s_wait_xcnt 0x0
	v_mov_b32_e32 v4, 0
	s_mov_b32 s8, 0
	s_delay_alu instid0(VALU_DEP_1)
	v_dual_mov_b32 v5, v4 :: v_dual_mov_b32 v6, v4
	v_mov_b32_e32 v7, v4
	global_store_b128 v[2:3], v[4:7], off
.LBB95_6002:
	s_and_not1_b32 vcc_lo, exec_lo, s8
	s_cbranch_vccnz .LBB95_6004
; %bb.6003:
	s_wait_xcnt 0x0
	v_mov_b64_e32 v[4:5], 0
	global_store_b64 v[2:3], v[4:5], off
.LBB95_6004:
	s_mov_b32 s8, 0
.LBB95_6005:
	s_delay_alu instid0(SALU_CYCLE_1)
	s_and_not1_b32 vcc_lo, exec_lo, s8
	s_cbranch_vccnz .LBB95_6007
; %bb.6006:
	s_wait_xcnt 0x0
	v_mov_b32_e32 v1, 0
	global_store_b32 v[2:3], v1, off
.LBB95_6007:
	s_mov_b32 s8, 0
.LBB95_6008:
	s_delay_alu instid0(SALU_CYCLE_1)
	s_and_not1_b32 vcc_lo, exec_lo, s8
	s_cbranch_vccnz .LBB95_6017
; %bb.6009:
	s_cmp_lt_i32 s3, 6
	s_mov_b32 s8, -1
	s_cbranch_scc1 .LBB95_6015
; %bb.6010:
	s_cmp_gt_i32 s3, 6
	s_cbranch_scc0 .LBB95_6012
; %bb.6011:
	s_wait_xcnt 0x0
	v_mov_b64_e32 v[4:5], 0
	s_mov_b32 s8, 0
	global_store_b64 v[2:3], v[4:5], off
.LBB95_6012:
	s_and_not1_b32 vcc_lo, exec_lo, s8
	s_cbranch_vccnz .LBB95_6014
; %bb.6013:
	s_wait_xcnt 0x0
	v_mov_b32_e32 v1, 0
	global_store_b32 v[2:3], v1, off
.LBB95_6014:
	s_mov_b32 s8, 0
.LBB95_6015:
	s_delay_alu instid0(SALU_CYCLE_1)
	s_and_not1_b32 vcc_lo, exec_lo, s8
	s_cbranch_vccnz .LBB95_6017
; %bb.6016:
	s_wait_xcnt 0x0
	v_mov_b32_e32 v1, 0
	global_store_b16 v[2:3], v1, off
.LBB95_6017:
	s_mov_b32 s8, 0
.LBB95_6018:
	s_delay_alu instid0(SALU_CYCLE_1)
	s_and_not1_b32 vcc_lo, exec_lo, s8
	s_cbranch_vccnz .LBB95_6034
; %bb.6019:
	s_cmp_lt_i32 s3, 2
	s_mov_b32 s8, -1
	s_cbranch_scc1 .LBB95_6029
; %bb.6020:
	s_cmp_lt_i32 s3, 3
	s_cbranch_scc1 .LBB95_6026
; %bb.6021:
	s_cmp_gt_i32 s3, 3
	s_cbranch_scc0 .LBB95_6023
; %bb.6022:
	s_wait_xcnt 0x0
	v_mov_b64_e32 v[4:5], 0
	s_mov_b32 s8, 0
	global_store_b64 v[2:3], v[4:5], off
.LBB95_6023:
	s_and_not1_b32 vcc_lo, exec_lo, s8
	s_cbranch_vccnz .LBB95_6025
; %bb.6024:
	s_wait_xcnt 0x0
	v_mov_b32_e32 v1, 0
	global_store_b32 v[2:3], v1, off
.LBB95_6025:
	s_mov_b32 s8, 0
.LBB95_6026:
	s_delay_alu instid0(SALU_CYCLE_1)
	s_and_not1_b32 vcc_lo, exec_lo, s8
	s_cbranch_vccnz .LBB95_6028
; %bb.6027:
	s_wait_xcnt 0x0
	v_mov_b32_e32 v1, 0
	global_store_b16 v[2:3], v1, off
.LBB95_6028:
	s_mov_b32 s8, 0
.LBB95_6029:
	s_delay_alu instid0(SALU_CYCLE_1)
	s_and_not1_b32 vcc_lo, exec_lo, s8
	s_cbranch_vccnz .LBB95_6034
; %bb.6030:
	s_cmp_gt_i32 s3, 0
	s_mov_b32 s8, -1
	s_cbranch_scc0 .LBB95_6032
; %bb.6031:
	s_wait_xcnt 0x0
	v_mov_b32_e32 v1, 0
	s_mov_b32 s8, 0
	global_store_b8 v[2:3], v1, off
.LBB95_6032:
	s_and_not1_b32 vcc_lo, exec_lo, s8
	s_cbranch_vccnz .LBB95_6034
; %bb.6033:
	s_wait_xcnt 0x0
	v_mov_b32_e32 v1, 0
	global_store_b8 v[2:3], v1, off
.LBB95_6034:
	s_mov_b32 s9, -1
.LBB95_6035:
	s_delay_alu instid0(SALU_CYCLE_1)
	s_and_not1_b32 vcc_lo, exec_lo, s9
	s_cbranch_vccnz .LBB95_6082
; %bb.6036:
	s_wait_xcnt 0x0
	v_mov_b32_e32 v1, 0
	s_cmp_lt_i32 s3, 11
	s_delay_alu instid0(VALU_DEP_1)
	v_add_nc_u64_e32 v[42:43], s[4:5], v[0:1]
	s_cbranch_scc1 .LBB95_6088
; %bb.6037:
	s_mov_b32 s8, -1
	s_mov_b32 s4, 0
	s_cmp_gt_i32 s3, 25
	s_mov_b32 s5, 0
	s_cbranch_scc0 .LBB95_6062
; %bb.6038:
	s_cmp_gt_i32 s3, 28
	s_cbranch_scc0 .LBB95_6052
; %bb.6039:
	s_cmp_gt_i32 s3, 43
	;; [unrolled: 3-line block ×3, first 2 shown]
	s_cbranch_scc0 .LBB95_6044
; %bb.6041:
	s_cmp_eq_u32 s3, 46
	s_mov_b32 s5, -1
	s_cbranch_scc0 .LBB95_6043
; %bb.6042:
	v_mov_b32_e32 v0, 0
	s_mov_b32 s5, 0
	global_store_b32 v[42:43], v0, off
.LBB95_6043:
	s_mov_b32 s8, 0
.LBB95_6044:
	s_delay_alu instid0(SALU_CYCLE_1)
	s_and_b32 vcc_lo, exec_lo, s8
	s_cbranch_vccz .LBB95_6047
; %bb.6045:
	s_cmp_eq_u32 s3, 44
	s_mov_b32 s5, -1
	s_cbranch_scc0 .LBB95_6047
; %bb.6046:
	s_wait_xcnt 0x0
	v_mov_b32_e32 v0, 0
	s_mov_b32 s5, 0
	global_store_b8 v[42:43], v0, off
.LBB95_6047:
	s_mov_b32 s8, 0
.LBB95_6048:
	s_delay_alu instid0(SALU_CYCLE_1)
	s_and_b32 vcc_lo, exec_lo, s8
	s_cbranch_vccz .LBB95_6051
; %bb.6049:
	s_cmp_eq_u32 s3, 29
	s_mov_b32 s5, -1
	s_cbranch_scc0 .LBB95_6051
; %bb.6050:
	s_wait_xcnt 0x0
	v_mov_b64_e32 v[0:1], 0
	s_mov_b32 s5, 0
	global_store_b64 v[42:43], v[0:1], off
.LBB95_6051:
	s_mov_b32 s8, 0
.LBB95_6052:
	s_delay_alu instid0(SALU_CYCLE_1)
	s_and_b32 vcc_lo, exec_lo, s8
	s_cbranch_vccz .LBB95_6061
; %bb.6053:
	s_cmp_lt_i32 s3, 27
	s_mov_b32 s8, -1
	s_cbranch_scc1 .LBB95_6059
; %bb.6054:
	s_cmp_gt_i32 s3, 27
	s_cbranch_scc0 .LBB95_6056
; %bb.6055:
	s_wait_xcnt 0x0
	v_mov_b32_e32 v0, 0
	s_mov_b32 s8, 0
	global_store_b32 v[42:43], v0, off
.LBB95_6056:
	s_and_not1_b32 vcc_lo, exec_lo, s8
	s_cbranch_vccnz .LBB95_6058
; %bb.6057:
	s_wait_xcnt 0x0
	v_mov_b32_e32 v0, 0
	global_store_b16 v[42:43], v0, off
.LBB95_6058:
	s_mov_b32 s8, 0
.LBB95_6059:
	s_delay_alu instid0(SALU_CYCLE_1)
	s_and_not1_b32 vcc_lo, exec_lo, s8
	s_cbranch_vccnz .LBB95_6061
; %bb.6060:
	s_wait_xcnt 0x0
	v_mov_b32_e32 v0, 0
	global_store_b8 v[42:43], v0, off
.LBB95_6061:
	s_mov_b32 s8, 0
.LBB95_6062:
	s_delay_alu instid0(SALU_CYCLE_1)
	s_and_b32 vcc_lo, exec_lo, s8
	s_cbranch_vccz .LBB95_6080
; %bb.6063:
	s_cmp_gt_i32 s3, 22
	s_mov_b32 s4, -1
	s_cbranch_scc0 .LBB95_6073
; %bb.6064:
	s_cmp_lt_i32 s3, 24
	s_cbranch_scc1 .LBB95_6070
; %bb.6065:
	s_cmp_gt_i32 s3, 24
	s_cbranch_scc0 .LBB95_6067
; %bb.6066:
	s_wait_xcnt 0x0
	v_mov_b32_e32 v0, 0
	s_mov_b32 s4, 0
	global_store_b8 v[42:43], v0, off
.LBB95_6067:
	s_and_not1_b32 vcc_lo, exec_lo, s4
	s_cbranch_vccnz .LBB95_6069
; %bb.6068:
	s_wait_xcnt 0x0
	v_mov_b32_e32 v0, 0
	global_store_b8 v[42:43], v0, off
.LBB95_6069:
	s_mov_b32 s4, 0
.LBB95_6070:
	s_delay_alu instid0(SALU_CYCLE_1)
	s_and_not1_b32 vcc_lo, exec_lo, s4
	s_cbranch_vccnz .LBB95_6072
; %bb.6071:
	s_wait_xcnt 0x0
	v_mov_b32_e32 v0, 0
	global_store_b8 v[42:43], v0, off
.LBB95_6072:
	s_mov_b32 s4, 0
.LBB95_6073:
	s_delay_alu instid0(SALU_CYCLE_1)
	s_and_not1_b32 vcc_lo, exec_lo, s4
	s_mov_b32 s4, 0
	s_cbranch_vccnz .LBB95_6080
; %bb.6074:
	s_cmp_gt_i32 s3, 14
	s_mov_b32 s4, -1
	s_cbranch_scc0 .LBB95_6078
; %bb.6075:
	s_cmp_eq_u32 s3, 15
	s_mov_b32 s5, -1
	s_cbranch_scc0 .LBB95_6077
; %bb.6076:
	s_wait_xcnt 0x0
	v_mov_b32_e32 v0, 0
	s_mov_b32 s5, 0
	global_store_b16 v[42:43], v0, off
.LBB95_6077:
	s_mov_b32 s4, 0
.LBB95_6078:
	s_delay_alu instid0(SALU_CYCLE_1)
	s_and_b32 vcc_lo, exec_lo, s4
	s_mov_b32 s4, 0
	s_cbranch_vccz .LBB95_6080
; %bb.6079:
	s_cmp_lg_u32 s3, 11
	s_mov_b32 s4, -1
	s_cselect_b32 s5, -1, 0
.LBB95_6080:
	s_delay_alu instid0(SALU_CYCLE_1)
	s_and_b32 vcc_lo, exec_lo, s5
	s_cbranch_vccnz .LBB95_6095
.LBB95_6081:
	s_mov_b32 s3, 0
	s_branch .LBB95_6083
.LBB95_6082:
	s_mov_b32 s3, 0
	s_mov_b32 s4, 0
                                        ; implicit-def: $vgpr42_vgpr43
                                        ; implicit-def: $sgpr0
.LBB95_6083:
	s_and_b32 s9, s3, exec_lo
	s_and_not1_b32 s3, s6, exec_lo
	s_and_b32 s2, s2, exec_lo
	s_and_b32 s8, s4, exec_lo
	s_or_b32 s6, s3, s2
.LBB95_6084:
	s_wait_xcnt 0x0
	s_or_b32 exec_lo, exec_lo, s7
	s_delay_alu instid0(SALU_CYCLE_1)
	s_and_not1_b32 s2, s18, exec_lo
	s_and_b32 s3, s6, exec_lo
	s_and_b32 s7, s9, exec_lo
	;; [unrolled: 1-line block ×3, first 2 shown]
	s_or_b32 s18, s2, s3
.LBB95_6085:
	s_or_b32 exec_lo, exec_lo, s19
	s_delay_alu instid0(SALU_CYCLE_1)
	s_and_not1_b32 s2, s25, exec_lo
	s_and_b32 s3, s18, exec_lo
	s_and_b32 s7, s7, exec_lo
	;; [unrolled: 1-line block ×3, first 2 shown]
	s_or_b32 s25, s2, s3
.LBB95_6086:
	s_or_b32 exec_lo, exec_lo, s26
	s_delay_alu instid0(SALU_CYCLE_1)
	s_and_not1_b32 s2, s23, exec_lo
	s_and_b32 s3, s25, exec_lo
	s_and_b32 s7, s7, exec_lo
	s_and_b32 s6, s6, exec_lo
	s_or_b32 s23, s2, s3
.LBB95_6087:
	s_or_b32 exec_lo, exec_lo, s24
	s_branch .LBB95_5750
.LBB95_6088:
	s_mov_b32 s4, 0
	s_mov_b32 s3, -1
	s_branch .LBB95_6083
.LBB95_6089:
	s_or_b32 s8, s18, exec_lo
	s_xor_b32 s7, exec_lo, -1
	s_trap 2
	s_branch .LBB95_5766
.LBB95_6090:
	s_or_b32 s2, s6, exec_lo
	s_trap 2
	s_cbranch_execz .LBB95_5814
	s_branch .LBB95_5815
.LBB95_6091:
	s_or_b32 s2, s2, exec_lo
	s_trap 2
	s_cbranch_execz .LBB95_5904
	s_branch .LBB95_5905
.LBB95_6092:
	s_or_b32 s23, s23, exec_lo
	s_trap 2
                                        ; implicit-def: $vgpr18_vgpr19
                                        ; implicit-def: $vgpr16_vgpr17
                                        ; implicit-def: $vgpr14_vgpr15
                                        ; implicit-def: $vgpr22_vgpr23
                                        ; implicit-def: $vgpr6
                                        ; implicit-def: $vgpr4
                                        ; implicit-def: $vgpr2
                                        ; implicit-def: $vgpr0
                                        ; implicit-def: $vgpr8_vgpr9
                                        ; implicit-def: $vgpr12_vgpr13
	s_branch .LBB95_5742
.LBB95_6093:
	s_or_b32 s2, s2, exec_lo
	s_trap 2
	s_cbranch_execz .LBB95_5993
	s_branch .LBB95_5994
.LBB95_6094:
	s_or_b32 s25, s23, exec_lo
	s_trap 2
                                        ; implicit-def: $vgpr16_vgpr17
                                        ; implicit-def: $vgpr14_vgpr15
                                        ; implicit-def: $vgpr22_vgpr23
                                        ; implicit-def: $vgpr6
                                        ; implicit-def: $vgpr4
                                        ; implicit-def: $vgpr2
                                        ; implicit-def: $vgpr0
                                        ; implicit-def: $vgpr8_vgpr9
                                        ; implicit-def: $vgpr12_vgpr13
	s_or_saveexec_b32 s26, s0
                                        ; implicit-def: $vgpr42_vgpr43
                                        ; implicit-def: $sgpr0
	s_delay_alu instid0(SALU_CYCLE_1)
	s_xor_b32 exec_lo, exec_lo, s26
	s_cbranch_execz .LBB95_6086
	s_branch .LBB95_5745
.LBB95_6095:
	s_mov_b32 s4, 0
	s_or_b32 s2, s2, exec_lo
	s_trap 2
	s_branch .LBB95_6081
.LBB95_6096:
	s_or_b32 s18, s25, exec_lo
	s_trap 2
                                        ; implicit-def: $vgpr14_vgpr15
                                        ; implicit-def: $vgpr16_vgpr17
                                        ; implicit-def: $vgpr0
                                        ; implicit-def: $vgpr6
                                        ; implicit-def: $vgpr4
                                        ; implicit-def: $vgpr22_vgpr23
                                        ; implicit-def: $vgpr12_vgpr13
                                        ; implicit-def: $vgpr2
	s_or_saveexec_b32 s19, s0
	s_mov_b32 s6, 0
                                        ; implicit-def: $vgpr42_vgpr43
                                        ; implicit-def: $sgpr0
	s_xor_b32 exec_lo, exec_lo, s19
	s_cbranch_execz .LBB95_6085
	s_branch .LBB95_5747
	.section	.rodata,"a",@progbits
	.p2align	6, 0x0
	.amdhsa_kernel _ZN2at6native32elementwise_kernel_manual_unrollILi128ELi4EZNS0_15gpu_kernel_implIZZZNS0_12_GLOBAL__N_142_validate_compressed_sparse_indices_kernelILNS3_8CDimNameE1ENS3_18CUDAKernelLauncherENS3_14EmptyVecKernelENS3_8DummyVecELm8EEEvRKNS_6TensorESB_lllENKUlvE1_clEvENKUlvE0_clEvEUllllllE_EEvRNS_18TensorIteratorBaseERKT_EUlibE0_EEviT1_
		.amdhsa_group_segment_fixed_size 0
		.amdhsa_private_segment_fixed_size 20
		.amdhsa_kernarg_size 816
		.amdhsa_user_sgpr_count 2
		.amdhsa_user_sgpr_dispatch_ptr 0
		.amdhsa_user_sgpr_queue_ptr 0
		.amdhsa_user_sgpr_kernarg_segment_ptr 1
		.amdhsa_user_sgpr_dispatch_id 0
		.amdhsa_user_sgpr_kernarg_preload_length 0
		.amdhsa_user_sgpr_kernarg_preload_offset 0
		.amdhsa_user_sgpr_private_segment_size 0
		.amdhsa_wavefront_size32 1
		.amdhsa_uses_dynamic_stack 0
		.amdhsa_enable_private_segment 1
		.amdhsa_system_sgpr_workgroup_id_x 1
		.amdhsa_system_sgpr_workgroup_id_y 0
		.amdhsa_system_sgpr_workgroup_id_z 0
		.amdhsa_system_sgpr_workgroup_info 0
		.amdhsa_system_vgpr_workitem_id 0
		.amdhsa_next_free_vgpr 67
		.amdhsa_next_free_sgpr 105
		.amdhsa_named_barrier_count 0
		.amdhsa_reserve_vcc 1
		.amdhsa_float_round_mode_32 0
		.amdhsa_float_round_mode_16_64 0
		.amdhsa_float_denorm_mode_32 3
		.amdhsa_float_denorm_mode_16_64 3
		.amdhsa_fp16_overflow 0
		.amdhsa_memory_ordered 1
		.amdhsa_forward_progress 1
		.amdhsa_inst_pref_size 255
		.amdhsa_round_robin_scheduling 0
		.amdhsa_exception_fp_ieee_invalid_op 0
		.amdhsa_exception_fp_denorm_src 0
		.amdhsa_exception_fp_ieee_div_zero 0
		.amdhsa_exception_fp_ieee_overflow 0
		.amdhsa_exception_fp_ieee_underflow 0
		.amdhsa_exception_fp_ieee_inexact 0
		.amdhsa_exception_int_div_zero 0
	.end_amdhsa_kernel
	.section	.text._ZN2at6native32elementwise_kernel_manual_unrollILi128ELi4EZNS0_15gpu_kernel_implIZZZNS0_12_GLOBAL__N_142_validate_compressed_sparse_indices_kernelILNS3_8CDimNameE1ENS3_18CUDAKernelLauncherENS3_14EmptyVecKernelENS3_8DummyVecELm8EEEvRKNS_6TensorESB_lllENKUlvE1_clEvENKUlvE0_clEvEUllllllE_EEvRNS_18TensorIteratorBaseERKT_EUlibE0_EEviT1_,"axG",@progbits,_ZN2at6native32elementwise_kernel_manual_unrollILi128ELi4EZNS0_15gpu_kernel_implIZZZNS0_12_GLOBAL__N_142_validate_compressed_sparse_indices_kernelILNS3_8CDimNameE1ENS3_18CUDAKernelLauncherENS3_14EmptyVecKernelENS3_8DummyVecELm8EEEvRKNS_6TensorESB_lllENKUlvE1_clEvENKUlvE0_clEvEUllllllE_EEvRNS_18TensorIteratorBaseERKT_EUlibE0_EEviT1_,comdat
.Lfunc_end95:
	.size	_ZN2at6native32elementwise_kernel_manual_unrollILi128ELi4EZNS0_15gpu_kernel_implIZZZNS0_12_GLOBAL__N_142_validate_compressed_sparse_indices_kernelILNS3_8CDimNameE1ENS3_18CUDAKernelLauncherENS3_14EmptyVecKernelENS3_8DummyVecELm8EEEvRKNS_6TensorESB_lllENKUlvE1_clEvENKUlvE0_clEvEUllllllE_EEvRNS_18TensorIteratorBaseERKT_EUlibE0_EEviT1_, .Lfunc_end95-_ZN2at6native32elementwise_kernel_manual_unrollILi128ELi4EZNS0_15gpu_kernel_implIZZZNS0_12_GLOBAL__N_142_validate_compressed_sparse_indices_kernelILNS3_8CDimNameE1ENS3_18CUDAKernelLauncherENS3_14EmptyVecKernelENS3_8DummyVecELm8EEEvRKNS_6TensorESB_lllENKUlvE1_clEvENKUlvE0_clEvEUllllllE_EEvRNS_18TensorIteratorBaseERKT_EUlibE0_EEviT1_
                                        ; -- End function
	.set _ZN2at6native32elementwise_kernel_manual_unrollILi128ELi4EZNS0_15gpu_kernel_implIZZZNS0_12_GLOBAL__N_142_validate_compressed_sparse_indices_kernelILNS3_8CDimNameE1ENS3_18CUDAKernelLauncherENS3_14EmptyVecKernelENS3_8DummyVecELm8EEEvRKNS_6TensorESB_lllENKUlvE1_clEvENKUlvE0_clEvEUllllllE_EEvRNS_18TensorIteratorBaseERKT_EUlibE0_EEviT1_.num_vgpr, 67
	.set _ZN2at6native32elementwise_kernel_manual_unrollILi128ELi4EZNS0_15gpu_kernel_implIZZZNS0_12_GLOBAL__N_142_validate_compressed_sparse_indices_kernelILNS3_8CDimNameE1ENS3_18CUDAKernelLauncherENS3_14EmptyVecKernelENS3_8DummyVecELm8EEEvRKNS_6TensorESB_lllENKUlvE1_clEvENKUlvE0_clEvEUllllllE_EEvRNS_18TensorIteratorBaseERKT_EUlibE0_EEviT1_.num_agpr, 0
	.set _ZN2at6native32elementwise_kernel_manual_unrollILi128ELi4EZNS0_15gpu_kernel_implIZZZNS0_12_GLOBAL__N_142_validate_compressed_sparse_indices_kernelILNS3_8CDimNameE1ENS3_18CUDAKernelLauncherENS3_14EmptyVecKernelENS3_8DummyVecELm8EEEvRKNS_6TensorESB_lllENKUlvE1_clEvENKUlvE0_clEvEUllllllE_EEvRNS_18TensorIteratorBaseERKT_EUlibE0_EEviT1_.numbered_sgpr, 105
	.set _ZN2at6native32elementwise_kernel_manual_unrollILi128ELi4EZNS0_15gpu_kernel_implIZZZNS0_12_GLOBAL__N_142_validate_compressed_sparse_indices_kernelILNS3_8CDimNameE1ENS3_18CUDAKernelLauncherENS3_14EmptyVecKernelENS3_8DummyVecELm8EEEvRKNS_6TensorESB_lllENKUlvE1_clEvENKUlvE0_clEvEUllllllE_EEvRNS_18TensorIteratorBaseERKT_EUlibE0_EEviT1_.num_named_barrier, 0
	.set _ZN2at6native32elementwise_kernel_manual_unrollILi128ELi4EZNS0_15gpu_kernel_implIZZZNS0_12_GLOBAL__N_142_validate_compressed_sparse_indices_kernelILNS3_8CDimNameE1ENS3_18CUDAKernelLauncherENS3_14EmptyVecKernelENS3_8DummyVecELm8EEEvRKNS_6TensorESB_lllENKUlvE1_clEvENKUlvE0_clEvEUllllllE_EEvRNS_18TensorIteratorBaseERKT_EUlibE0_EEviT1_.private_seg_size, 20
	.set _ZN2at6native32elementwise_kernel_manual_unrollILi128ELi4EZNS0_15gpu_kernel_implIZZZNS0_12_GLOBAL__N_142_validate_compressed_sparse_indices_kernelILNS3_8CDimNameE1ENS3_18CUDAKernelLauncherENS3_14EmptyVecKernelENS3_8DummyVecELm8EEEvRKNS_6TensorESB_lllENKUlvE1_clEvENKUlvE0_clEvEUllllllE_EEvRNS_18TensorIteratorBaseERKT_EUlibE0_EEviT1_.uses_vcc, 1
	.set _ZN2at6native32elementwise_kernel_manual_unrollILi128ELi4EZNS0_15gpu_kernel_implIZZZNS0_12_GLOBAL__N_142_validate_compressed_sparse_indices_kernelILNS3_8CDimNameE1ENS3_18CUDAKernelLauncherENS3_14EmptyVecKernelENS3_8DummyVecELm8EEEvRKNS_6TensorESB_lllENKUlvE1_clEvENKUlvE0_clEvEUllllllE_EEvRNS_18TensorIteratorBaseERKT_EUlibE0_EEviT1_.uses_flat_scratch, 0
	.set _ZN2at6native32elementwise_kernel_manual_unrollILi128ELi4EZNS0_15gpu_kernel_implIZZZNS0_12_GLOBAL__N_142_validate_compressed_sparse_indices_kernelILNS3_8CDimNameE1ENS3_18CUDAKernelLauncherENS3_14EmptyVecKernelENS3_8DummyVecELm8EEEvRKNS_6TensorESB_lllENKUlvE1_clEvENKUlvE0_clEvEUllllllE_EEvRNS_18TensorIteratorBaseERKT_EUlibE0_EEviT1_.has_dyn_sized_stack, 0
	.set _ZN2at6native32elementwise_kernel_manual_unrollILi128ELi4EZNS0_15gpu_kernel_implIZZZNS0_12_GLOBAL__N_142_validate_compressed_sparse_indices_kernelILNS3_8CDimNameE1ENS3_18CUDAKernelLauncherENS3_14EmptyVecKernelENS3_8DummyVecELm8EEEvRKNS_6TensorESB_lllENKUlvE1_clEvENKUlvE0_clEvEUllllllE_EEvRNS_18TensorIteratorBaseERKT_EUlibE0_EEviT1_.has_recursion, 0
	.set _ZN2at6native32elementwise_kernel_manual_unrollILi128ELi4EZNS0_15gpu_kernel_implIZZZNS0_12_GLOBAL__N_142_validate_compressed_sparse_indices_kernelILNS3_8CDimNameE1ENS3_18CUDAKernelLauncherENS3_14EmptyVecKernelENS3_8DummyVecELm8EEEvRKNS_6TensorESB_lllENKUlvE1_clEvENKUlvE0_clEvEUllllllE_EEvRNS_18TensorIteratorBaseERKT_EUlibE0_EEviT1_.has_indirect_call, 0
	.section	.AMDGPU.csdata,"",@progbits
; Kernel info:
; codeLenInByte = 148076
; TotalNumSgprs: 107
; NumVgprs: 67
; ScratchSize: 20
; MemoryBound: 1
; FloatMode: 240
; IeeeMode: 1
; LDSByteSize: 0 bytes/workgroup (compile time only)
; SGPRBlocks: 0
; VGPRBlocks: 4
; NumSGPRsForWavesPerEU: 107
; NumVGPRsForWavesPerEU: 67
; NamedBarCnt: 0
; Occupancy: 12
; WaveLimiterHint : 1
; COMPUTE_PGM_RSRC2:SCRATCH_EN: 1
; COMPUTE_PGM_RSRC2:USER_SGPR: 2
; COMPUTE_PGM_RSRC2:TRAP_HANDLER: 0
; COMPUTE_PGM_RSRC2:TGID_X_EN: 1
; COMPUTE_PGM_RSRC2:TGID_Y_EN: 0
; COMPUTE_PGM_RSRC2:TGID_Z_EN: 0
; COMPUTE_PGM_RSRC2:TIDIG_COMP_CNT: 0
	.section	.text._ZN2at6native29vectorized_elementwise_kernelILi16EZZZNS0_12_GLOBAL__N_142_validate_compressed_sparse_indices_kernelILNS2_8CDimNameE1ENS2_18CUDAKernelLauncherENS2_14EmptyVecKernelENS2_8DummyVecELm0EEEvRKNS_6TensorESA_lllENKUlvE0_clEvENKUlvE_clEvEUliE_St5arrayIPcLm2EEEEviT0_T1_,"axG",@progbits,_ZN2at6native29vectorized_elementwise_kernelILi16EZZZNS0_12_GLOBAL__N_142_validate_compressed_sparse_indices_kernelILNS2_8CDimNameE1ENS2_18CUDAKernelLauncherENS2_14EmptyVecKernelENS2_8DummyVecELm0EEEvRKNS_6TensorESA_lllENKUlvE0_clEvENKUlvE_clEvEUliE_St5arrayIPcLm2EEEEviT0_T1_,comdat
	.globl	_ZN2at6native29vectorized_elementwise_kernelILi16EZZZNS0_12_GLOBAL__N_142_validate_compressed_sparse_indices_kernelILNS2_8CDimNameE1ENS2_18CUDAKernelLauncherENS2_14EmptyVecKernelENS2_8DummyVecELm0EEEvRKNS_6TensorESA_lllENKUlvE0_clEvENKUlvE_clEvEUliE_St5arrayIPcLm2EEEEviT0_T1_ ; -- Begin function _ZN2at6native29vectorized_elementwise_kernelILi16EZZZNS0_12_GLOBAL__N_142_validate_compressed_sparse_indices_kernelILNS2_8CDimNameE1ENS2_18CUDAKernelLauncherENS2_14EmptyVecKernelENS2_8DummyVecELm0EEEvRKNS_6TensorESA_lllENKUlvE0_clEvENKUlvE_clEvEUliE_St5arrayIPcLm2EEEEviT0_T1_
	.p2align	8
	.type	_ZN2at6native29vectorized_elementwise_kernelILi16EZZZNS0_12_GLOBAL__N_142_validate_compressed_sparse_indices_kernelILNS2_8CDimNameE1ENS2_18CUDAKernelLauncherENS2_14EmptyVecKernelENS2_8DummyVecELm0EEEvRKNS_6TensorESA_lllENKUlvE0_clEvENKUlvE_clEvEUliE_St5arrayIPcLm2EEEEviT0_T1_,@function
_ZN2at6native29vectorized_elementwise_kernelILi16EZZZNS0_12_GLOBAL__N_142_validate_compressed_sparse_indices_kernelILNS2_8CDimNameE1ENS2_18CUDAKernelLauncherENS2_14EmptyVecKernelENS2_8DummyVecELm0EEEvRKNS_6TensorESA_lllENKUlvE0_clEvENKUlvE_clEvEUliE_St5arrayIPcLm2EEEEviT0_T1_: ; @_ZN2at6native29vectorized_elementwise_kernelILi16EZZZNS0_12_GLOBAL__N_142_validate_compressed_sparse_indices_kernelILNS2_8CDimNameE1ENS2_18CUDAKernelLauncherENS2_14EmptyVecKernelENS2_8DummyVecELm0EEEvRKNS_6TensorESA_lllENKUlvE0_clEvENKUlvE_clEvEUliE_St5arrayIPcLm2EEEEviT0_T1_
; %bb.0:
	s_clause 0x3
	s_load_b32 s3, s[0:1], 0x0
	s_load_b32 s16, s[0:1], 0x8
	s_load_b128 s[4:7], s[0:1], 0x10
	s_load_b64 s[10:11], s[0:1], 0x20
	s_wait_xcnt 0x0
	s_bfe_u32 s0, ttmp6, 0x4000c
	s_and_b32 s1, ttmp6, 15
	s_add_co_i32 s0, s0, 1
	s_getreg_b32 s2, hwreg(HW_REG_IB_STS2, 6, 4)
	s_mul_i32 s0, ttmp9, s0
	s_mov_b32 s17, 0
	s_add_co_i32 s1, s1, s0
	s_cmp_eq_u32 s2, 0
	s_get_pc_i64 s[8:9]
	s_add_nc_u64 s[8:9], s[8:9], .str.5@rel64+4
	s_cselect_b32 s0, ttmp9, s1
	s_mov_b32 s1, 0
	s_lshl_b32 s2, s0, 10
	s_mov_b32 s0, -1
	s_wait_kmcnt 0x0
	s_sub_co_i32 s5, s3, s2
	s_delay_alu instid0(SALU_CYCLE_1)
	s_cmp_gt_i32 s5, 0x3ff
	s_cbranch_scc0 .LBB96_13
; %bb.1:
	s_cmp_eq_u64 s[8:9], 0
	s_cselect_b32 s3, -1, 0
	s_cmp_lg_u64 s[8:9], 0
	s_cbranch_scc0 .LBB96_11
; %bb.2:
	s_ashr_i32 s3, s2, 31
	v_lshlrev_b32_e32 v2, 4, v0
	s_lshl_b64 s[12:13], s[2:3], 2
	s_delay_alu instid0(SALU_CYCLE_1)
	s_add_nc_u64 s[14:15], s[10:11], s[12:13]
	global_load_b32 v1, v2, s[14:15]
	s_wait_loadcnt 0x0
	v_cmp_le_i32_e32 vcc_lo, s16, v1
	v_cmp_gt_i32_e64 s0, s4, v1
	s_and_b32 s0, vcc_lo, s0
	s_delay_alu instid0(SALU_CYCLE_1)
	s_xor_b32 s3, s0, -1
	s_and_saveexec_b32 s1, s0
	s_cbranch_execz .LBB96_10
; %bb.3:
	v_mov_b32_e32 v3, 0
	s_delay_alu instid0(VALU_DEP_1)
	v_add_nc_u64_e32 v[2:3], s[14:15], v[2:3]
	global_load_b96 v[2:4], v[2:3], off offset:4
	s_wait_loadcnt 0x0
	v_cmp_le_i32_e32 vcc_lo, s16, v2
	v_cmp_gt_i32_e64 s0, s4, v2
	s_and_b32 s0, vcc_lo, s0
	s_delay_alu instid0(SALU_CYCLE_1)
	s_xor_b32 s14, s0, -1
	s_and_saveexec_b32 s15, s0
	s_cbranch_execz .LBB96_9
; %bb.4:
	v_cmp_le_i32_e32 vcc_lo, s16, v3
	v_cmp_gt_i32_e64 s0, s4, v3
	s_mov_b32 s20, -1
	s_and_b32 s0, vcc_lo, s0
	s_delay_alu instid0(SALU_CYCLE_1)
	s_xor_b32 s18, s0, -1
	s_and_saveexec_b32 s19, s0
	s_cbranch_execz .LBB96_8
; %bb.5:
	v_cmp_le_i32_e32 vcc_lo, s16, v4
	v_cmp_gt_i32_e64 s0, s4, v4
	s_and_b32 s0, vcc_lo, s0
	s_delay_alu instid0(SALU_CYCLE_1) | instskip(NEXT) | instid1(SALU_CYCLE_1)
	s_and_saveexec_b32 s21, s0
	s_xor_b32 s0, exec_lo, s21
; %bb.6:
	v_mov_b32_e32 v2, 0
	s_add_nc_u64 s[12:13], s[6:7], s[12:13]
	s_xor_b32 s20, exec_lo, -1
	s_delay_alu instid0(VALU_DEP_1)
	v_dual_mov_b32 v3, v2 :: v_dual_mov_b32 v4, v2
	v_mov_b32_e32 v5, v2
	global_store_b128 v0, v[2:5], s[12:13] scale_offset
; %bb.7:
	s_wait_xcnt 0x0
	s_or_b32 exec_lo, exec_lo, s0
	s_delay_alu instid0(SALU_CYCLE_1) | instskip(SKIP_1) | instid1(SALU_CYCLE_1)
	s_and_not1_b32 s0, s18, exec_lo
	s_and_b32 s12, s20, exec_lo
	s_or_b32 s18, s0, s12
.LBB96_8:
	s_or_b32 exec_lo, exec_lo, s19
	s_delay_alu instid0(SALU_CYCLE_1) | instskip(SKIP_1) | instid1(SALU_CYCLE_1)
	s_and_not1_b32 s0, s14, exec_lo
	s_and_b32 s12, s18, exec_lo
	s_or_b32 s14, s0, s12
.LBB96_9:
	s_or_b32 exec_lo, exec_lo, s15
	s_delay_alu instid0(SALU_CYCLE_1) | instskip(SKIP_1) | instid1(SALU_CYCLE_1)
	s_and_not1_b32 s0, s3, exec_lo
	s_and_b32 s3, s14, exec_lo
	s_or_b32 s3, s0, s3
.LBB96_10:
	s_or_b32 exec_lo, exec_lo, s1
.LBB96_11:
	s_mov_b32 s0, 0
	s_mov_b32 s1, 0
	s_and_saveexec_b32 s12, s3
	s_delay_alu instid0(SALU_CYCLE_1)
	s_xor_b32 s3, exec_lo, s12
	s_cbranch_execnz .LBB96_48
.LBB96_12:
	s_or_b32 exec_lo, exec_lo, s3
.LBB96_13:
	s_delay_alu instid0(SALU_CYCLE_1)
	s_and_b32 vcc_lo, exec_lo, s0
	s_cbranch_vccz .LBB96_37
; %bb.14:
	v_cmp_le_i32_e64 s13, s5, v0
	v_cmp_gt_i32_e64 s3, s5, v0
	v_dual_mov_b32 v1, 0 :: v_dual_mov_b32 v3, 0
	v_or_b32_e32 v7, 0x100, v0
	v_dual_mov_b32 v6, 0 :: v_dual_mov_b32 v8, 0
	s_and_saveexec_b32 s0, s3
	s_cbranch_execz .LBB96_22
; %bb.15:
	v_dual_mov_b32 v6, 0 :: v_dual_bitop2_b32 v1, s2, v0 bitop3:0x54
	v_mov_b32_e32 v3, 0
	s_mov_b32 s12, exec_lo
	global_load_b32 v8, v1, s[10:11] scale_offset
	s_wait_xcnt 0x0
	v_mov_b32_e32 v1, 0
	v_cmpx_gt_u32_e64 s5, v7
	s_cbranch_execz .LBB96_21
; %bb.16:
	v_dual_mov_b32 v3, 0 :: v_dual_add_nc_u32 v2, s2, v0
	v_or_b32_e32 v1, 0x200, v0
	global_load_b32 v6, v2, s[10:11] offset:1024 scale_offset
	v_cmp_gt_u32_e32 vcc_lo, s5, v1
	v_mov_b32_e32 v1, 0
	s_wait_xcnt 0x0
	s_and_saveexec_b32 s14, vcc_lo
	s_cbranch_execz .LBB96_20
; %bb.17:
	v_lshl_add_u64 v[4:5], v[2:3], 2, s[10:11]
	v_or_b32_e32 v1, 0x300, v0
	s_mov_b32 s10, exec_lo
	global_load_b32 v2, v[4:5], off offset:2048
	s_wait_xcnt 0x0
	v_cmpx_gt_u32_e64 s5, v1
	s_cbranch_execz .LBB96_19
; %bb.18:
	global_load_b32 v3, v[4:5], off offset:3072
.LBB96_19:
	s_wait_xcnt 0x0
	s_or_b32 exec_lo, exec_lo, s10
	s_wait_loadcnt 0x0
	v_dual_mov_b32 v1, v3 :: v_dual_mov_b32 v3, v2
.LBB96_20:
	s_or_b32 exec_lo, exec_lo, s14
.LBB96_21:
	s_delay_alu instid0(SALU_CYCLE_1)
	s_or_b32 exec_lo, exec_lo, s12
.LBB96_22:
	s_delay_alu instid0(SALU_CYCLE_1)
	s_or_b32 exec_lo, exec_lo, s0
	s_cmp_lg_u64 s[8:9], 0
	s_mov_b32 s10, 0
	s_cselect_b32 s14, -1, 0
	s_and_saveexec_b32 s8, s3
	s_cbranch_execz .LBB96_24
; %bb.23:
	s_wait_loadcnt 0x0
	v_cmp_le_i32_e32 vcc_lo, s16, v8
	v_cmp_gt_i32_e64 s0, s4, v8
	s_and_not1_b32 s9, s13, exec_lo
	s_mov_b32 s10, exec_lo
	s_and_b32 s0, vcc_lo, s0
	s_delay_alu instid0(SALU_CYCLE_1) | instskip(NEXT) | instid1(SALU_CYCLE_1)
	s_and_b32 s0, s14, s0
	s_and_b32 s0, s0, exec_lo
	s_delay_alu instid0(SALU_CYCLE_1)
	s_or_b32 s13, s9, s0
.LBB96_24:
	s_or_b32 exec_lo, exec_lo, s8
                                        ; implicit-def: $sgpr8
                                        ; implicit-def: $sgpr9
                                        ; implicit-def: $sgpr11
	s_and_saveexec_b32 s12, s13
	s_cbranch_execz .LBB96_46
; %bb.25:
	v_cmp_le_i32_e64 s18, s5, v7
	v_cmp_gt_i32_e64 s8, s5, v7
	s_mov_b32 s13, 0
	s_and_saveexec_b32 s9, s8
	s_cbranch_execz .LBB96_27
; %bb.26:
	s_wait_loadcnt 0x0
	v_cmp_le_i32_e32 vcc_lo, s16, v6
	v_cmp_gt_i32_e64 s0, s4, v6
	s_and_not1_b32 s11, s18, exec_lo
	s_mov_b32 s13, exec_lo
	s_and_b32 s0, vcc_lo, s0
	s_delay_alu instid0(SALU_CYCLE_1) | instskip(NEXT) | instid1(SALU_CYCLE_1)
	s_and_b32 s0, s14, s0
	s_and_b32 s0, s0, exec_lo
	s_delay_alu instid0(SALU_CYCLE_1)
	s_or_b32 s18, s11, s0
.LBB96_27:
	s_or_b32 exec_lo, exec_lo, s9
                                        ; implicit-def: $sgpr9
                                        ; implicit-def: $sgpr11
	s_and_saveexec_b32 s15, s18
	s_cbranch_execz .LBB96_35
; %bb.28:
	v_or_b32_e32 v2, 0x200, v0
	s_mov_b32 s18, 0
	s_delay_alu instid0(VALU_DEP_1)
	v_cmp_le_i32_e64 s20, s5, v2
	v_cmp_gt_i32_e64 s9, s5, v2
	s_and_saveexec_b32 s11, s9
; %bb.29:
	v_cmp_le_i32_e32 vcc_lo, s16, v3
	v_cmp_gt_i32_e64 s0, s4, v3
	s_and_not1_b32 s19, s20, exec_lo
	s_mov_b32 s17, exec_lo
	s_and_b32 s0, vcc_lo, s0
	s_delay_alu instid0(SALU_CYCLE_1) | instskip(NEXT) | instid1(SALU_CYCLE_1)
	s_and_b32 s0, s14, s0
	s_and_b32 s0, s0, exec_lo
	s_delay_alu instid0(SALU_CYCLE_1)
	s_or_b32 s20, s19, s0
; %bb.30:
	s_or_b32 exec_lo, exec_lo, s11
                                        ; implicit-def: $sgpr11
	s_and_saveexec_b32 s19, s20
	s_cbranch_execz .LBB96_34
; %bb.31:
	v_or_b32_e32 v2, 0x300, v0
	s_mov_b32 s0, 0
	s_delay_alu instid0(VALU_DEP_1) | instskip(SKIP_2) | instid1(SALU_CYCLE_1)
	v_cmp_le_i32_e64 s18, s5, v2
	v_cmp_gt_i32_e64 s11, s5, v2
	s_and_saveexec_b32 s5, s11
	s_xor_b32 s5, exec_lo, s5
; %bb.32:
	v_cmp_le_i32_e32 vcc_lo, s16, v1
	v_cmp_gt_i32_e64 s0, s4, v1
	s_or_b32 s18, s18, exec_lo
	s_and_b32 s0, vcc_lo, s0
	s_delay_alu instid0(SALU_CYCLE_1) | instskip(NEXT) | instid1(SALU_CYCLE_1)
	s_and_b32 s0, s14, s0
	s_xor_b32 s0, s0, -1
	s_delay_alu instid0(SALU_CYCLE_1)
	s_and_b32 s0, s0, exec_lo
; %bb.33:
	s_or_b32 exec_lo, exec_lo, s5
	s_delay_alu instid0(SALU_CYCLE_1)
	s_and_not1_b32 s4, s17, exec_lo
	s_and_b32 s0, s0, exec_lo
	s_and_b32 s18, s18, exec_lo
	s_or_b32 s17, s4, s0
.LBB96_34:
	s_or_b32 exec_lo, exec_lo, s19
	s_delay_alu instid0(SALU_CYCLE_1)
	s_and_not1_b32 s0, s13, exec_lo
	s_and_b32 s4, s17, exec_lo
	s_and_b32 s17, s18, exec_lo
	s_or_b32 s13, s0, s4
.LBB96_35:
	s_or_b32 exec_lo, exec_lo, s15
	s_delay_alu instid0(SALU_CYCLE_1)
	s_and_not1_b32 s0, s10, exec_lo
	s_and_b32 s4, s13, exec_lo
	s_and_b32 s17, s17, exec_lo
	s_or_b32 s10, s0, s4
	s_or_b32 exec_lo, exec_lo, s12
	s_and_saveexec_b32 s0, s10
	s_cbranch_execz .LBB96_47
.LBB96_36:
	s_and_not1_b32 s17, s17, exec_lo
	s_or_b32 s1, s1, exec_lo
	s_trap 2
	s_or_b32 exec_lo, exec_lo, s0
	s_and_saveexec_b32 s0, s1
	s_cbranch_execnz .LBB96_38
	s_branch .LBB96_39
.LBB96_37:
                                        ; implicit-def: $sgpr3
                                        ; implicit-def: $sgpr8
                                        ; implicit-def: $sgpr9
                                        ; implicit-def: $sgpr11
                                        ; implicit-def: $vgpr0
	s_and_saveexec_b32 s0, s1
.LBB96_38:
	; divergent unreachable
.LBB96_39:
	s_delay_alu instid0(SALU_CYCLE_1)
	s_or_b32 exec_lo, exec_lo, s0
	s_and_saveexec_b32 s0, s17
	s_cbranch_execz .LBB96_45
; %bb.40:
	s_and_b32 exec_lo, exec_lo, s3
	s_cbranch_execz .LBB96_45
; %bb.41:
	v_dual_mov_b32 v1, 0 :: v_dual_bitop2_b32 v2, s2, v0 bitop3:0x54
	global_store_b32 v2, v1, s[6:7] scale_offset
	s_wait_xcnt 0x0
	s_and_b32 exec_lo, exec_lo, s8
	s_cbranch_execz .LBB96_45
; %bb.42:
	v_add_nc_u32_e32 v0, s2, v0
	global_store_b32 v0, v1, s[6:7] offset:1024 scale_offset
	s_wait_xcnt 0x0
	s_and_b32 exec_lo, exec_lo, s9
	s_cbranch_execz .LBB96_45
; %bb.43:
	v_lshl_add_u64 v[0:1], v[0:1], 2, s[6:7]
	v_mov_b32_e32 v2, 0
	global_store_b32 v[0:1], v2, off offset:2048
	s_wait_xcnt 0x0
	s_and_b32 exec_lo, exec_lo, s11
	s_cbranch_execz .LBB96_45
; %bb.44:
	global_store_b32 v[0:1], v2, off offset:3072
.LBB96_45:
	s_endpgm
.LBB96_46:
	s_or_b32 exec_lo, exec_lo, s12
	s_and_saveexec_b32 s0, s10
	s_cbranch_execnz .LBB96_36
.LBB96_47:
	s_or_b32 exec_lo, exec_lo, s0
	s_and_saveexec_b32 s0, s1
	s_cbranch_execnz .LBB96_38
	s_branch .LBB96_39
.LBB96_48:
	s_mov_b32 s1, exec_lo
	s_trap 2
	s_branch .LBB96_12
	.section	.rodata,"a",@progbits
	.p2align	6, 0x0
	.amdhsa_kernel _ZN2at6native29vectorized_elementwise_kernelILi16EZZZNS0_12_GLOBAL__N_142_validate_compressed_sparse_indices_kernelILNS2_8CDimNameE1ENS2_18CUDAKernelLauncherENS2_14EmptyVecKernelENS2_8DummyVecELm0EEEvRKNS_6TensorESA_lllENKUlvE0_clEvENKUlvE_clEvEUliE_St5arrayIPcLm2EEEEviT0_T1_
		.amdhsa_group_segment_fixed_size 0
		.amdhsa_private_segment_fixed_size 0
		.amdhsa_kernarg_size 40
		.amdhsa_user_sgpr_count 2
		.amdhsa_user_sgpr_dispatch_ptr 0
		.amdhsa_user_sgpr_queue_ptr 0
		.amdhsa_user_sgpr_kernarg_segment_ptr 1
		.amdhsa_user_sgpr_dispatch_id 0
		.amdhsa_user_sgpr_kernarg_preload_length 0
		.amdhsa_user_sgpr_kernarg_preload_offset 0
		.amdhsa_user_sgpr_private_segment_size 0
		.amdhsa_wavefront_size32 1
		.amdhsa_uses_dynamic_stack 0
		.amdhsa_enable_private_segment 0
		.amdhsa_system_sgpr_workgroup_id_x 1
		.amdhsa_system_sgpr_workgroup_id_y 0
		.amdhsa_system_sgpr_workgroup_id_z 0
		.amdhsa_system_sgpr_workgroup_info 0
		.amdhsa_system_vgpr_workitem_id 0
		.amdhsa_next_free_vgpr 9
		.amdhsa_next_free_sgpr 22
		.amdhsa_named_barrier_count 0
		.amdhsa_reserve_vcc 1
		.amdhsa_float_round_mode_32 0
		.amdhsa_float_round_mode_16_64 0
		.amdhsa_float_denorm_mode_32 3
		.amdhsa_float_denorm_mode_16_64 3
		.amdhsa_fp16_overflow 0
		.amdhsa_memory_ordered 1
		.amdhsa_forward_progress 1
		.amdhsa_inst_pref_size 11
		.amdhsa_round_robin_scheduling 0
		.amdhsa_exception_fp_ieee_invalid_op 0
		.amdhsa_exception_fp_denorm_src 0
		.amdhsa_exception_fp_ieee_div_zero 0
		.amdhsa_exception_fp_ieee_overflow 0
		.amdhsa_exception_fp_ieee_underflow 0
		.amdhsa_exception_fp_ieee_inexact 0
		.amdhsa_exception_int_div_zero 0
	.end_amdhsa_kernel
	.section	.text._ZN2at6native29vectorized_elementwise_kernelILi16EZZZNS0_12_GLOBAL__N_142_validate_compressed_sparse_indices_kernelILNS2_8CDimNameE1ENS2_18CUDAKernelLauncherENS2_14EmptyVecKernelENS2_8DummyVecELm0EEEvRKNS_6TensorESA_lllENKUlvE0_clEvENKUlvE_clEvEUliE_St5arrayIPcLm2EEEEviT0_T1_,"axG",@progbits,_ZN2at6native29vectorized_elementwise_kernelILi16EZZZNS0_12_GLOBAL__N_142_validate_compressed_sparse_indices_kernelILNS2_8CDimNameE1ENS2_18CUDAKernelLauncherENS2_14EmptyVecKernelENS2_8DummyVecELm0EEEvRKNS_6TensorESA_lllENKUlvE0_clEvENKUlvE_clEvEUliE_St5arrayIPcLm2EEEEviT0_T1_,comdat
.Lfunc_end96:
	.size	_ZN2at6native29vectorized_elementwise_kernelILi16EZZZNS0_12_GLOBAL__N_142_validate_compressed_sparse_indices_kernelILNS2_8CDimNameE1ENS2_18CUDAKernelLauncherENS2_14EmptyVecKernelENS2_8DummyVecELm0EEEvRKNS_6TensorESA_lllENKUlvE0_clEvENKUlvE_clEvEUliE_St5arrayIPcLm2EEEEviT0_T1_, .Lfunc_end96-_ZN2at6native29vectorized_elementwise_kernelILi16EZZZNS0_12_GLOBAL__N_142_validate_compressed_sparse_indices_kernelILNS2_8CDimNameE1ENS2_18CUDAKernelLauncherENS2_14EmptyVecKernelENS2_8DummyVecELm0EEEvRKNS_6TensorESA_lllENKUlvE0_clEvENKUlvE_clEvEUliE_St5arrayIPcLm2EEEEviT0_T1_
                                        ; -- End function
	.set _ZN2at6native29vectorized_elementwise_kernelILi16EZZZNS0_12_GLOBAL__N_142_validate_compressed_sparse_indices_kernelILNS2_8CDimNameE1ENS2_18CUDAKernelLauncherENS2_14EmptyVecKernelENS2_8DummyVecELm0EEEvRKNS_6TensorESA_lllENKUlvE0_clEvENKUlvE_clEvEUliE_St5arrayIPcLm2EEEEviT0_T1_.num_vgpr, 9
	.set _ZN2at6native29vectorized_elementwise_kernelILi16EZZZNS0_12_GLOBAL__N_142_validate_compressed_sparse_indices_kernelILNS2_8CDimNameE1ENS2_18CUDAKernelLauncherENS2_14EmptyVecKernelENS2_8DummyVecELm0EEEvRKNS_6TensorESA_lllENKUlvE0_clEvENKUlvE_clEvEUliE_St5arrayIPcLm2EEEEviT0_T1_.num_agpr, 0
	.set _ZN2at6native29vectorized_elementwise_kernelILi16EZZZNS0_12_GLOBAL__N_142_validate_compressed_sparse_indices_kernelILNS2_8CDimNameE1ENS2_18CUDAKernelLauncherENS2_14EmptyVecKernelENS2_8DummyVecELm0EEEvRKNS_6TensorESA_lllENKUlvE0_clEvENKUlvE_clEvEUliE_St5arrayIPcLm2EEEEviT0_T1_.numbered_sgpr, 22
	.set _ZN2at6native29vectorized_elementwise_kernelILi16EZZZNS0_12_GLOBAL__N_142_validate_compressed_sparse_indices_kernelILNS2_8CDimNameE1ENS2_18CUDAKernelLauncherENS2_14EmptyVecKernelENS2_8DummyVecELm0EEEvRKNS_6TensorESA_lllENKUlvE0_clEvENKUlvE_clEvEUliE_St5arrayIPcLm2EEEEviT0_T1_.num_named_barrier, 0
	.set _ZN2at6native29vectorized_elementwise_kernelILi16EZZZNS0_12_GLOBAL__N_142_validate_compressed_sparse_indices_kernelILNS2_8CDimNameE1ENS2_18CUDAKernelLauncherENS2_14EmptyVecKernelENS2_8DummyVecELm0EEEvRKNS_6TensorESA_lllENKUlvE0_clEvENKUlvE_clEvEUliE_St5arrayIPcLm2EEEEviT0_T1_.private_seg_size, 0
	.set _ZN2at6native29vectorized_elementwise_kernelILi16EZZZNS0_12_GLOBAL__N_142_validate_compressed_sparse_indices_kernelILNS2_8CDimNameE1ENS2_18CUDAKernelLauncherENS2_14EmptyVecKernelENS2_8DummyVecELm0EEEvRKNS_6TensorESA_lllENKUlvE0_clEvENKUlvE_clEvEUliE_St5arrayIPcLm2EEEEviT0_T1_.uses_vcc, 1
	.set _ZN2at6native29vectorized_elementwise_kernelILi16EZZZNS0_12_GLOBAL__N_142_validate_compressed_sparse_indices_kernelILNS2_8CDimNameE1ENS2_18CUDAKernelLauncherENS2_14EmptyVecKernelENS2_8DummyVecELm0EEEvRKNS_6TensorESA_lllENKUlvE0_clEvENKUlvE_clEvEUliE_St5arrayIPcLm2EEEEviT0_T1_.uses_flat_scratch, 0
	.set _ZN2at6native29vectorized_elementwise_kernelILi16EZZZNS0_12_GLOBAL__N_142_validate_compressed_sparse_indices_kernelILNS2_8CDimNameE1ENS2_18CUDAKernelLauncherENS2_14EmptyVecKernelENS2_8DummyVecELm0EEEvRKNS_6TensorESA_lllENKUlvE0_clEvENKUlvE_clEvEUliE_St5arrayIPcLm2EEEEviT0_T1_.has_dyn_sized_stack, 0
	.set _ZN2at6native29vectorized_elementwise_kernelILi16EZZZNS0_12_GLOBAL__N_142_validate_compressed_sparse_indices_kernelILNS2_8CDimNameE1ENS2_18CUDAKernelLauncherENS2_14EmptyVecKernelENS2_8DummyVecELm0EEEvRKNS_6TensorESA_lllENKUlvE0_clEvENKUlvE_clEvEUliE_St5arrayIPcLm2EEEEviT0_T1_.has_recursion, 0
	.set _ZN2at6native29vectorized_elementwise_kernelILi16EZZZNS0_12_GLOBAL__N_142_validate_compressed_sparse_indices_kernelILNS2_8CDimNameE1ENS2_18CUDAKernelLauncherENS2_14EmptyVecKernelENS2_8DummyVecELm0EEEvRKNS_6TensorESA_lllENKUlvE0_clEvENKUlvE_clEvEUliE_St5arrayIPcLm2EEEEviT0_T1_.has_indirect_call, 0
	.section	.AMDGPU.csdata,"",@progbits
; Kernel info:
; codeLenInByte = 1384
; TotalNumSgprs: 24
; NumVgprs: 9
; ScratchSize: 0
; MemoryBound: 0
; FloatMode: 240
; IeeeMode: 1
; LDSByteSize: 0 bytes/workgroup (compile time only)
; SGPRBlocks: 0
; VGPRBlocks: 0
; NumSGPRsForWavesPerEU: 24
; NumVGPRsForWavesPerEU: 9
; NamedBarCnt: 0
; Occupancy: 16
; WaveLimiterHint : 0
; COMPUTE_PGM_RSRC2:SCRATCH_EN: 0
; COMPUTE_PGM_RSRC2:USER_SGPR: 2
; COMPUTE_PGM_RSRC2:TRAP_HANDLER: 0
; COMPUTE_PGM_RSRC2:TGID_X_EN: 1
; COMPUTE_PGM_RSRC2:TGID_Y_EN: 0
; COMPUTE_PGM_RSRC2:TGID_Z_EN: 0
; COMPUTE_PGM_RSRC2:TIDIG_COMP_CNT: 0
	.section	.text._ZN2at6native29vectorized_elementwise_kernelILi8EZZZNS0_12_GLOBAL__N_142_validate_compressed_sparse_indices_kernelILNS2_8CDimNameE1ENS2_18CUDAKernelLauncherENS2_14EmptyVecKernelENS2_8DummyVecELm0EEEvRKNS_6TensorESA_lllENKUlvE0_clEvENKUlvE_clEvEUliE_St5arrayIPcLm2EEEEviT0_T1_,"axG",@progbits,_ZN2at6native29vectorized_elementwise_kernelILi8EZZZNS0_12_GLOBAL__N_142_validate_compressed_sparse_indices_kernelILNS2_8CDimNameE1ENS2_18CUDAKernelLauncherENS2_14EmptyVecKernelENS2_8DummyVecELm0EEEvRKNS_6TensorESA_lllENKUlvE0_clEvENKUlvE_clEvEUliE_St5arrayIPcLm2EEEEviT0_T1_,comdat
	.globl	_ZN2at6native29vectorized_elementwise_kernelILi8EZZZNS0_12_GLOBAL__N_142_validate_compressed_sparse_indices_kernelILNS2_8CDimNameE1ENS2_18CUDAKernelLauncherENS2_14EmptyVecKernelENS2_8DummyVecELm0EEEvRKNS_6TensorESA_lllENKUlvE0_clEvENKUlvE_clEvEUliE_St5arrayIPcLm2EEEEviT0_T1_ ; -- Begin function _ZN2at6native29vectorized_elementwise_kernelILi8EZZZNS0_12_GLOBAL__N_142_validate_compressed_sparse_indices_kernelILNS2_8CDimNameE1ENS2_18CUDAKernelLauncherENS2_14EmptyVecKernelENS2_8DummyVecELm0EEEvRKNS_6TensorESA_lllENKUlvE0_clEvENKUlvE_clEvEUliE_St5arrayIPcLm2EEEEviT0_T1_
	.p2align	8
	.type	_ZN2at6native29vectorized_elementwise_kernelILi8EZZZNS0_12_GLOBAL__N_142_validate_compressed_sparse_indices_kernelILNS2_8CDimNameE1ENS2_18CUDAKernelLauncherENS2_14EmptyVecKernelENS2_8DummyVecELm0EEEvRKNS_6TensorESA_lllENKUlvE0_clEvENKUlvE_clEvEUliE_St5arrayIPcLm2EEEEviT0_T1_,@function
_ZN2at6native29vectorized_elementwise_kernelILi8EZZZNS0_12_GLOBAL__N_142_validate_compressed_sparse_indices_kernelILNS2_8CDimNameE1ENS2_18CUDAKernelLauncherENS2_14EmptyVecKernelENS2_8DummyVecELm0EEEvRKNS_6TensorESA_lllENKUlvE0_clEvENKUlvE_clEvEUliE_St5arrayIPcLm2EEEEviT0_T1_: ; @_ZN2at6native29vectorized_elementwise_kernelILi8EZZZNS0_12_GLOBAL__N_142_validate_compressed_sparse_indices_kernelILNS2_8CDimNameE1ENS2_18CUDAKernelLauncherENS2_14EmptyVecKernelENS2_8DummyVecELm0EEEvRKNS_6TensorESA_lllENKUlvE0_clEvENKUlvE_clEvEUliE_St5arrayIPcLm2EEEEviT0_T1_
; %bb.0:
	s_clause 0x3
	s_load_b32 s3, s[0:1], 0x0
	s_load_b32 s16, s[0:1], 0x8
	s_load_b128 s[4:7], s[0:1], 0x10
	s_load_b64 s[10:11], s[0:1], 0x20
	s_wait_xcnt 0x0
	s_bfe_u32 s0, ttmp6, 0x4000c
	s_and_b32 s1, ttmp6, 15
	s_add_co_i32 s0, s0, 1
	s_getreg_b32 s2, hwreg(HW_REG_IB_STS2, 6, 4)
	s_mul_i32 s0, ttmp9, s0
	s_mov_b32 s17, 0
	s_add_co_i32 s1, s1, s0
	s_cmp_eq_u32 s2, 0
	s_get_pc_i64 s[8:9]
	s_add_nc_u64 s[8:9], s[8:9], .str.5@rel64+4
	s_cselect_b32 s0, ttmp9, s1
	s_mov_b32 s1, 0
	s_lshl_b32 s2, s0, 10
	s_mov_b32 s0, -1
	s_wait_kmcnt 0x0
	s_sub_co_i32 s5, s3, s2
	s_delay_alu instid0(SALU_CYCLE_1)
	s_cmp_gt_i32 s5, 0x3ff
	s_cbranch_scc0 .LBB97_13
; %bb.1:
	s_cmp_eq_u64 s[8:9], 0
	s_cselect_b32 s3, -1, 0
	s_cmp_lg_u64 s[8:9], 0
	s_cbranch_scc0 .LBB97_11
; %bb.2:
	s_ashr_i32 s3, s2, 31
	v_lshlrev_b32_e32 v2, 4, v0
	s_lshl_b64 s[12:13], s[2:3], 2
	s_delay_alu instid0(SALU_CYCLE_1)
	s_add_nc_u64 s[14:15], s[10:11], s[12:13]
	global_load_b32 v1, v2, s[14:15]
	s_wait_loadcnt 0x0
	v_cmp_le_i32_e32 vcc_lo, s16, v1
	v_cmp_gt_i32_e64 s0, s4, v1
	s_and_b32 s0, vcc_lo, s0
	s_delay_alu instid0(SALU_CYCLE_1)
	s_xor_b32 s3, s0, -1
	s_and_saveexec_b32 s1, s0
	s_cbranch_execz .LBB97_10
; %bb.3:
	v_mov_b32_e32 v3, 0
	s_delay_alu instid0(VALU_DEP_1)
	v_add_nc_u64_e32 v[2:3], s[14:15], v[2:3]
	global_load_b96 v[2:4], v[2:3], off offset:4
	s_wait_loadcnt 0x0
	v_cmp_le_i32_e32 vcc_lo, s16, v2
	v_cmp_gt_i32_e64 s0, s4, v2
	s_and_b32 s0, vcc_lo, s0
	s_delay_alu instid0(SALU_CYCLE_1)
	s_xor_b32 s14, s0, -1
	s_and_saveexec_b32 s15, s0
	s_cbranch_execz .LBB97_9
; %bb.4:
	v_cmp_le_i32_e32 vcc_lo, s16, v3
	v_cmp_gt_i32_e64 s0, s4, v3
	s_mov_b32 s20, -1
	s_and_b32 s0, vcc_lo, s0
	s_delay_alu instid0(SALU_CYCLE_1)
	s_xor_b32 s18, s0, -1
	s_and_saveexec_b32 s19, s0
	s_cbranch_execz .LBB97_8
; %bb.5:
	v_cmp_le_i32_e32 vcc_lo, s16, v4
	v_cmp_gt_i32_e64 s0, s4, v4
	s_and_b32 s0, vcc_lo, s0
	s_delay_alu instid0(SALU_CYCLE_1) | instskip(NEXT) | instid1(SALU_CYCLE_1)
	s_and_saveexec_b32 s21, s0
	s_xor_b32 s0, exec_lo, s21
; %bb.6:
	v_mov_b32_e32 v2, 0
	s_add_nc_u64 s[12:13], s[6:7], s[12:13]
	s_xor_b32 s20, exec_lo, -1
	s_delay_alu instid0(VALU_DEP_1)
	v_dual_mov_b32 v3, v2 :: v_dual_mov_b32 v4, v2
	v_mov_b32_e32 v5, v2
	global_store_b128 v0, v[2:5], s[12:13] scale_offset
; %bb.7:
	s_wait_xcnt 0x0
	s_or_b32 exec_lo, exec_lo, s0
	s_delay_alu instid0(SALU_CYCLE_1) | instskip(SKIP_1) | instid1(SALU_CYCLE_1)
	s_and_not1_b32 s0, s18, exec_lo
	s_and_b32 s12, s20, exec_lo
	s_or_b32 s18, s0, s12
.LBB97_8:
	s_or_b32 exec_lo, exec_lo, s19
	s_delay_alu instid0(SALU_CYCLE_1) | instskip(SKIP_1) | instid1(SALU_CYCLE_1)
	s_and_not1_b32 s0, s14, exec_lo
	s_and_b32 s12, s18, exec_lo
	s_or_b32 s14, s0, s12
.LBB97_9:
	s_or_b32 exec_lo, exec_lo, s15
	s_delay_alu instid0(SALU_CYCLE_1) | instskip(SKIP_1) | instid1(SALU_CYCLE_1)
	s_and_not1_b32 s0, s3, exec_lo
	s_and_b32 s3, s14, exec_lo
	s_or_b32 s3, s0, s3
.LBB97_10:
	s_or_b32 exec_lo, exec_lo, s1
.LBB97_11:
	s_mov_b32 s0, 0
	s_mov_b32 s1, 0
	s_and_saveexec_b32 s12, s3
	s_delay_alu instid0(SALU_CYCLE_1)
	s_xor_b32 s3, exec_lo, s12
	s_cbranch_execnz .LBB97_48
.LBB97_12:
	s_or_b32 exec_lo, exec_lo, s3
.LBB97_13:
	s_delay_alu instid0(SALU_CYCLE_1)
	s_and_b32 vcc_lo, exec_lo, s0
	s_cbranch_vccz .LBB97_37
; %bb.14:
	v_cmp_le_i32_e64 s13, s5, v0
	v_cmp_gt_i32_e64 s3, s5, v0
	v_dual_mov_b32 v1, 0 :: v_dual_mov_b32 v3, 0
	v_or_b32_e32 v7, 0x100, v0
	v_dual_mov_b32 v6, 0 :: v_dual_mov_b32 v8, 0
	s_and_saveexec_b32 s0, s3
	s_cbranch_execz .LBB97_22
; %bb.15:
	v_dual_mov_b32 v6, 0 :: v_dual_bitop2_b32 v1, s2, v0 bitop3:0x54
	v_mov_b32_e32 v3, 0
	s_mov_b32 s12, exec_lo
	global_load_b32 v8, v1, s[10:11] scale_offset
	s_wait_xcnt 0x0
	v_mov_b32_e32 v1, 0
	v_cmpx_gt_u32_e64 s5, v7
	s_cbranch_execz .LBB97_21
; %bb.16:
	v_dual_mov_b32 v3, 0 :: v_dual_add_nc_u32 v2, s2, v0
	v_or_b32_e32 v1, 0x200, v0
	global_load_b32 v6, v2, s[10:11] offset:1024 scale_offset
	v_cmp_gt_u32_e32 vcc_lo, s5, v1
	v_mov_b32_e32 v1, 0
	s_wait_xcnt 0x0
	s_and_saveexec_b32 s14, vcc_lo
	s_cbranch_execz .LBB97_20
; %bb.17:
	v_lshl_add_u64 v[4:5], v[2:3], 2, s[10:11]
	v_or_b32_e32 v1, 0x300, v0
	s_mov_b32 s10, exec_lo
	global_load_b32 v2, v[4:5], off offset:2048
	s_wait_xcnt 0x0
	v_cmpx_gt_u32_e64 s5, v1
	s_cbranch_execz .LBB97_19
; %bb.18:
	global_load_b32 v3, v[4:5], off offset:3072
.LBB97_19:
	s_wait_xcnt 0x0
	s_or_b32 exec_lo, exec_lo, s10
	s_wait_loadcnt 0x0
	v_dual_mov_b32 v1, v3 :: v_dual_mov_b32 v3, v2
.LBB97_20:
	s_or_b32 exec_lo, exec_lo, s14
.LBB97_21:
	s_delay_alu instid0(SALU_CYCLE_1)
	s_or_b32 exec_lo, exec_lo, s12
.LBB97_22:
	s_delay_alu instid0(SALU_CYCLE_1)
	s_or_b32 exec_lo, exec_lo, s0
	s_cmp_lg_u64 s[8:9], 0
	s_mov_b32 s10, 0
	s_cselect_b32 s14, -1, 0
	s_and_saveexec_b32 s8, s3
	s_cbranch_execz .LBB97_24
; %bb.23:
	s_wait_loadcnt 0x0
	v_cmp_le_i32_e32 vcc_lo, s16, v8
	v_cmp_gt_i32_e64 s0, s4, v8
	s_and_not1_b32 s9, s13, exec_lo
	s_mov_b32 s10, exec_lo
	s_and_b32 s0, vcc_lo, s0
	s_delay_alu instid0(SALU_CYCLE_1) | instskip(NEXT) | instid1(SALU_CYCLE_1)
	s_and_b32 s0, s14, s0
	s_and_b32 s0, s0, exec_lo
	s_delay_alu instid0(SALU_CYCLE_1)
	s_or_b32 s13, s9, s0
.LBB97_24:
	s_or_b32 exec_lo, exec_lo, s8
                                        ; implicit-def: $sgpr8
                                        ; implicit-def: $sgpr9
                                        ; implicit-def: $sgpr11
	s_and_saveexec_b32 s12, s13
	s_cbranch_execz .LBB97_46
; %bb.25:
	v_cmp_le_i32_e64 s18, s5, v7
	v_cmp_gt_i32_e64 s8, s5, v7
	s_mov_b32 s13, 0
	s_and_saveexec_b32 s9, s8
	s_cbranch_execz .LBB97_27
; %bb.26:
	s_wait_loadcnt 0x0
	v_cmp_le_i32_e32 vcc_lo, s16, v6
	v_cmp_gt_i32_e64 s0, s4, v6
	s_and_not1_b32 s11, s18, exec_lo
	s_mov_b32 s13, exec_lo
	s_and_b32 s0, vcc_lo, s0
	s_delay_alu instid0(SALU_CYCLE_1) | instskip(NEXT) | instid1(SALU_CYCLE_1)
	s_and_b32 s0, s14, s0
	s_and_b32 s0, s0, exec_lo
	s_delay_alu instid0(SALU_CYCLE_1)
	s_or_b32 s18, s11, s0
.LBB97_27:
	s_or_b32 exec_lo, exec_lo, s9
                                        ; implicit-def: $sgpr9
                                        ; implicit-def: $sgpr11
	s_and_saveexec_b32 s15, s18
	s_cbranch_execz .LBB97_35
; %bb.28:
	v_or_b32_e32 v2, 0x200, v0
	s_mov_b32 s18, 0
	s_delay_alu instid0(VALU_DEP_1)
	v_cmp_le_i32_e64 s20, s5, v2
	v_cmp_gt_i32_e64 s9, s5, v2
	s_and_saveexec_b32 s11, s9
; %bb.29:
	v_cmp_le_i32_e32 vcc_lo, s16, v3
	v_cmp_gt_i32_e64 s0, s4, v3
	s_and_not1_b32 s19, s20, exec_lo
	s_mov_b32 s17, exec_lo
	s_and_b32 s0, vcc_lo, s0
	s_delay_alu instid0(SALU_CYCLE_1) | instskip(NEXT) | instid1(SALU_CYCLE_1)
	s_and_b32 s0, s14, s0
	s_and_b32 s0, s0, exec_lo
	s_delay_alu instid0(SALU_CYCLE_1)
	s_or_b32 s20, s19, s0
; %bb.30:
	s_or_b32 exec_lo, exec_lo, s11
                                        ; implicit-def: $sgpr11
	s_and_saveexec_b32 s19, s20
	s_cbranch_execz .LBB97_34
; %bb.31:
	v_or_b32_e32 v2, 0x300, v0
	s_mov_b32 s0, 0
	s_delay_alu instid0(VALU_DEP_1) | instskip(SKIP_2) | instid1(SALU_CYCLE_1)
	v_cmp_le_i32_e64 s18, s5, v2
	v_cmp_gt_i32_e64 s11, s5, v2
	s_and_saveexec_b32 s5, s11
	s_xor_b32 s5, exec_lo, s5
; %bb.32:
	v_cmp_le_i32_e32 vcc_lo, s16, v1
	v_cmp_gt_i32_e64 s0, s4, v1
	s_or_b32 s18, s18, exec_lo
	s_and_b32 s0, vcc_lo, s0
	s_delay_alu instid0(SALU_CYCLE_1) | instskip(NEXT) | instid1(SALU_CYCLE_1)
	s_and_b32 s0, s14, s0
	s_xor_b32 s0, s0, -1
	s_delay_alu instid0(SALU_CYCLE_1)
	s_and_b32 s0, s0, exec_lo
; %bb.33:
	s_or_b32 exec_lo, exec_lo, s5
	s_delay_alu instid0(SALU_CYCLE_1)
	s_and_not1_b32 s4, s17, exec_lo
	s_and_b32 s0, s0, exec_lo
	s_and_b32 s18, s18, exec_lo
	s_or_b32 s17, s4, s0
.LBB97_34:
	s_or_b32 exec_lo, exec_lo, s19
	s_delay_alu instid0(SALU_CYCLE_1)
	s_and_not1_b32 s0, s13, exec_lo
	s_and_b32 s4, s17, exec_lo
	s_and_b32 s17, s18, exec_lo
	s_or_b32 s13, s0, s4
.LBB97_35:
	s_or_b32 exec_lo, exec_lo, s15
	s_delay_alu instid0(SALU_CYCLE_1)
	s_and_not1_b32 s0, s10, exec_lo
	s_and_b32 s4, s13, exec_lo
	s_and_b32 s17, s17, exec_lo
	s_or_b32 s10, s0, s4
	s_or_b32 exec_lo, exec_lo, s12
	s_and_saveexec_b32 s0, s10
	s_cbranch_execz .LBB97_47
.LBB97_36:
	s_and_not1_b32 s17, s17, exec_lo
	s_or_b32 s1, s1, exec_lo
	s_trap 2
	s_or_b32 exec_lo, exec_lo, s0
	s_and_saveexec_b32 s0, s1
	s_cbranch_execnz .LBB97_38
	s_branch .LBB97_39
.LBB97_37:
                                        ; implicit-def: $sgpr3
                                        ; implicit-def: $sgpr8
                                        ; implicit-def: $sgpr9
                                        ; implicit-def: $sgpr11
                                        ; implicit-def: $vgpr0
	s_and_saveexec_b32 s0, s1
.LBB97_38:
	; divergent unreachable
.LBB97_39:
	s_delay_alu instid0(SALU_CYCLE_1)
	s_or_b32 exec_lo, exec_lo, s0
	s_and_saveexec_b32 s0, s17
	s_cbranch_execz .LBB97_45
; %bb.40:
	s_and_b32 exec_lo, exec_lo, s3
	s_cbranch_execz .LBB97_45
; %bb.41:
	v_dual_mov_b32 v1, 0 :: v_dual_bitop2_b32 v2, s2, v0 bitop3:0x54
	global_store_b32 v2, v1, s[6:7] scale_offset
	s_wait_xcnt 0x0
	s_and_b32 exec_lo, exec_lo, s8
	s_cbranch_execz .LBB97_45
; %bb.42:
	v_add_nc_u32_e32 v0, s2, v0
	global_store_b32 v0, v1, s[6:7] offset:1024 scale_offset
	s_wait_xcnt 0x0
	s_and_b32 exec_lo, exec_lo, s9
	s_cbranch_execz .LBB97_45
; %bb.43:
	v_lshl_add_u64 v[0:1], v[0:1], 2, s[6:7]
	v_mov_b32_e32 v2, 0
	global_store_b32 v[0:1], v2, off offset:2048
	s_wait_xcnt 0x0
	s_and_b32 exec_lo, exec_lo, s11
	s_cbranch_execz .LBB97_45
; %bb.44:
	global_store_b32 v[0:1], v2, off offset:3072
.LBB97_45:
	s_endpgm
.LBB97_46:
	s_or_b32 exec_lo, exec_lo, s12
	s_and_saveexec_b32 s0, s10
	s_cbranch_execnz .LBB97_36
.LBB97_47:
	s_or_b32 exec_lo, exec_lo, s0
	s_and_saveexec_b32 s0, s1
	s_cbranch_execnz .LBB97_38
	s_branch .LBB97_39
.LBB97_48:
	s_mov_b32 s1, exec_lo
	s_trap 2
	s_branch .LBB97_12
	.section	.rodata,"a",@progbits
	.p2align	6, 0x0
	.amdhsa_kernel _ZN2at6native29vectorized_elementwise_kernelILi8EZZZNS0_12_GLOBAL__N_142_validate_compressed_sparse_indices_kernelILNS2_8CDimNameE1ENS2_18CUDAKernelLauncherENS2_14EmptyVecKernelENS2_8DummyVecELm0EEEvRKNS_6TensorESA_lllENKUlvE0_clEvENKUlvE_clEvEUliE_St5arrayIPcLm2EEEEviT0_T1_
		.amdhsa_group_segment_fixed_size 0
		.amdhsa_private_segment_fixed_size 0
		.amdhsa_kernarg_size 40
		.amdhsa_user_sgpr_count 2
		.amdhsa_user_sgpr_dispatch_ptr 0
		.amdhsa_user_sgpr_queue_ptr 0
		.amdhsa_user_sgpr_kernarg_segment_ptr 1
		.amdhsa_user_sgpr_dispatch_id 0
		.amdhsa_user_sgpr_kernarg_preload_length 0
		.amdhsa_user_sgpr_kernarg_preload_offset 0
		.amdhsa_user_sgpr_private_segment_size 0
		.amdhsa_wavefront_size32 1
		.amdhsa_uses_dynamic_stack 0
		.amdhsa_enable_private_segment 0
		.amdhsa_system_sgpr_workgroup_id_x 1
		.amdhsa_system_sgpr_workgroup_id_y 0
		.amdhsa_system_sgpr_workgroup_id_z 0
		.amdhsa_system_sgpr_workgroup_info 0
		.amdhsa_system_vgpr_workitem_id 0
		.amdhsa_next_free_vgpr 9
		.amdhsa_next_free_sgpr 22
		.amdhsa_named_barrier_count 0
		.amdhsa_reserve_vcc 1
		.amdhsa_float_round_mode_32 0
		.amdhsa_float_round_mode_16_64 0
		.amdhsa_float_denorm_mode_32 3
		.amdhsa_float_denorm_mode_16_64 3
		.amdhsa_fp16_overflow 0
		.amdhsa_memory_ordered 1
		.amdhsa_forward_progress 1
		.amdhsa_inst_pref_size 11
		.amdhsa_round_robin_scheduling 0
		.amdhsa_exception_fp_ieee_invalid_op 0
		.amdhsa_exception_fp_denorm_src 0
		.amdhsa_exception_fp_ieee_div_zero 0
		.amdhsa_exception_fp_ieee_overflow 0
		.amdhsa_exception_fp_ieee_underflow 0
		.amdhsa_exception_fp_ieee_inexact 0
		.amdhsa_exception_int_div_zero 0
	.end_amdhsa_kernel
	.section	.text._ZN2at6native29vectorized_elementwise_kernelILi8EZZZNS0_12_GLOBAL__N_142_validate_compressed_sparse_indices_kernelILNS2_8CDimNameE1ENS2_18CUDAKernelLauncherENS2_14EmptyVecKernelENS2_8DummyVecELm0EEEvRKNS_6TensorESA_lllENKUlvE0_clEvENKUlvE_clEvEUliE_St5arrayIPcLm2EEEEviT0_T1_,"axG",@progbits,_ZN2at6native29vectorized_elementwise_kernelILi8EZZZNS0_12_GLOBAL__N_142_validate_compressed_sparse_indices_kernelILNS2_8CDimNameE1ENS2_18CUDAKernelLauncherENS2_14EmptyVecKernelENS2_8DummyVecELm0EEEvRKNS_6TensorESA_lllENKUlvE0_clEvENKUlvE_clEvEUliE_St5arrayIPcLm2EEEEviT0_T1_,comdat
.Lfunc_end97:
	.size	_ZN2at6native29vectorized_elementwise_kernelILi8EZZZNS0_12_GLOBAL__N_142_validate_compressed_sparse_indices_kernelILNS2_8CDimNameE1ENS2_18CUDAKernelLauncherENS2_14EmptyVecKernelENS2_8DummyVecELm0EEEvRKNS_6TensorESA_lllENKUlvE0_clEvENKUlvE_clEvEUliE_St5arrayIPcLm2EEEEviT0_T1_, .Lfunc_end97-_ZN2at6native29vectorized_elementwise_kernelILi8EZZZNS0_12_GLOBAL__N_142_validate_compressed_sparse_indices_kernelILNS2_8CDimNameE1ENS2_18CUDAKernelLauncherENS2_14EmptyVecKernelENS2_8DummyVecELm0EEEvRKNS_6TensorESA_lllENKUlvE0_clEvENKUlvE_clEvEUliE_St5arrayIPcLm2EEEEviT0_T1_
                                        ; -- End function
	.set _ZN2at6native29vectorized_elementwise_kernelILi8EZZZNS0_12_GLOBAL__N_142_validate_compressed_sparse_indices_kernelILNS2_8CDimNameE1ENS2_18CUDAKernelLauncherENS2_14EmptyVecKernelENS2_8DummyVecELm0EEEvRKNS_6TensorESA_lllENKUlvE0_clEvENKUlvE_clEvEUliE_St5arrayIPcLm2EEEEviT0_T1_.num_vgpr, 9
	.set _ZN2at6native29vectorized_elementwise_kernelILi8EZZZNS0_12_GLOBAL__N_142_validate_compressed_sparse_indices_kernelILNS2_8CDimNameE1ENS2_18CUDAKernelLauncherENS2_14EmptyVecKernelENS2_8DummyVecELm0EEEvRKNS_6TensorESA_lllENKUlvE0_clEvENKUlvE_clEvEUliE_St5arrayIPcLm2EEEEviT0_T1_.num_agpr, 0
	.set _ZN2at6native29vectorized_elementwise_kernelILi8EZZZNS0_12_GLOBAL__N_142_validate_compressed_sparse_indices_kernelILNS2_8CDimNameE1ENS2_18CUDAKernelLauncherENS2_14EmptyVecKernelENS2_8DummyVecELm0EEEvRKNS_6TensorESA_lllENKUlvE0_clEvENKUlvE_clEvEUliE_St5arrayIPcLm2EEEEviT0_T1_.numbered_sgpr, 22
	.set _ZN2at6native29vectorized_elementwise_kernelILi8EZZZNS0_12_GLOBAL__N_142_validate_compressed_sparse_indices_kernelILNS2_8CDimNameE1ENS2_18CUDAKernelLauncherENS2_14EmptyVecKernelENS2_8DummyVecELm0EEEvRKNS_6TensorESA_lllENKUlvE0_clEvENKUlvE_clEvEUliE_St5arrayIPcLm2EEEEviT0_T1_.num_named_barrier, 0
	.set _ZN2at6native29vectorized_elementwise_kernelILi8EZZZNS0_12_GLOBAL__N_142_validate_compressed_sparse_indices_kernelILNS2_8CDimNameE1ENS2_18CUDAKernelLauncherENS2_14EmptyVecKernelENS2_8DummyVecELm0EEEvRKNS_6TensorESA_lllENKUlvE0_clEvENKUlvE_clEvEUliE_St5arrayIPcLm2EEEEviT0_T1_.private_seg_size, 0
	.set _ZN2at6native29vectorized_elementwise_kernelILi8EZZZNS0_12_GLOBAL__N_142_validate_compressed_sparse_indices_kernelILNS2_8CDimNameE1ENS2_18CUDAKernelLauncherENS2_14EmptyVecKernelENS2_8DummyVecELm0EEEvRKNS_6TensorESA_lllENKUlvE0_clEvENKUlvE_clEvEUliE_St5arrayIPcLm2EEEEviT0_T1_.uses_vcc, 1
	.set _ZN2at6native29vectorized_elementwise_kernelILi8EZZZNS0_12_GLOBAL__N_142_validate_compressed_sparse_indices_kernelILNS2_8CDimNameE1ENS2_18CUDAKernelLauncherENS2_14EmptyVecKernelENS2_8DummyVecELm0EEEvRKNS_6TensorESA_lllENKUlvE0_clEvENKUlvE_clEvEUliE_St5arrayIPcLm2EEEEviT0_T1_.uses_flat_scratch, 0
	.set _ZN2at6native29vectorized_elementwise_kernelILi8EZZZNS0_12_GLOBAL__N_142_validate_compressed_sparse_indices_kernelILNS2_8CDimNameE1ENS2_18CUDAKernelLauncherENS2_14EmptyVecKernelENS2_8DummyVecELm0EEEvRKNS_6TensorESA_lllENKUlvE0_clEvENKUlvE_clEvEUliE_St5arrayIPcLm2EEEEviT0_T1_.has_dyn_sized_stack, 0
	.set _ZN2at6native29vectorized_elementwise_kernelILi8EZZZNS0_12_GLOBAL__N_142_validate_compressed_sparse_indices_kernelILNS2_8CDimNameE1ENS2_18CUDAKernelLauncherENS2_14EmptyVecKernelENS2_8DummyVecELm0EEEvRKNS_6TensorESA_lllENKUlvE0_clEvENKUlvE_clEvEUliE_St5arrayIPcLm2EEEEviT0_T1_.has_recursion, 0
	.set _ZN2at6native29vectorized_elementwise_kernelILi8EZZZNS0_12_GLOBAL__N_142_validate_compressed_sparse_indices_kernelILNS2_8CDimNameE1ENS2_18CUDAKernelLauncherENS2_14EmptyVecKernelENS2_8DummyVecELm0EEEvRKNS_6TensorESA_lllENKUlvE0_clEvENKUlvE_clEvEUliE_St5arrayIPcLm2EEEEviT0_T1_.has_indirect_call, 0
	.section	.AMDGPU.csdata,"",@progbits
; Kernel info:
; codeLenInByte = 1384
; TotalNumSgprs: 24
; NumVgprs: 9
; ScratchSize: 0
; MemoryBound: 0
; FloatMode: 240
; IeeeMode: 1
; LDSByteSize: 0 bytes/workgroup (compile time only)
; SGPRBlocks: 0
; VGPRBlocks: 0
; NumSGPRsForWavesPerEU: 24
; NumVGPRsForWavesPerEU: 9
; NamedBarCnt: 0
; Occupancy: 16
; WaveLimiterHint : 0
; COMPUTE_PGM_RSRC2:SCRATCH_EN: 0
; COMPUTE_PGM_RSRC2:USER_SGPR: 2
; COMPUTE_PGM_RSRC2:TRAP_HANDLER: 0
; COMPUTE_PGM_RSRC2:TGID_X_EN: 1
; COMPUTE_PGM_RSRC2:TGID_Y_EN: 0
; COMPUTE_PGM_RSRC2:TGID_Z_EN: 0
; COMPUTE_PGM_RSRC2:TIDIG_COMP_CNT: 0
	.section	.text._ZN2at6native29vectorized_elementwise_kernelILi4EZZZNS0_12_GLOBAL__N_142_validate_compressed_sparse_indices_kernelILNS2_8CDimNameE1ENS2_18CUDAKernelLauncherENS2_14EmptyVecKernelENS2_8DummyVecELm0EEEvRKNS_6TensorESA_lllENKUlvE0_clEvENKUlvE_clEvEUliE_St5arrayIPcLm2EEEEviT0_T1_,"axG",@progbits,_ZN2at6native29vectorized_elementwise_kernelILi4EZZZNS0_12_GLOBAL__N_142_validate_compressed_sparse_indices_kernelILNS2_8CDimNameE1ENS2_18CUDAKernelLauncherENS2_14EmptyVecKernelENS2_8DummyVecELm0EEEvRKNS_6TensorESA_lllENKUlvE0_clEvENKUlvE_clEvEUliE_St5arrayIPcLm2EEEEviT0_T1_,comdat
	.globl	_ZN2at6native29vectorized_elementwise_kernelILi4EZZZNS0_12_GLOBAL__N_142_validate_compressed_sparse_indices_kernelILNS2_8CDimNameE1ENS2_18CUDAKernelLauncherENS2_14EmptyVecKernelENS2_8DummyVecELm0EEEvRKNS_6TensorESA_lllENKUlvE0_clEvENKUlvE_clEvEUliE_St5arrayIPcLm2EEEEviT0_T1_ ; -- Begin function _ZN2at6native29vectorized_elementwise_kernelILi4EZZZNS0_12_GLOBAL__N_142_validate_compressed_sparse_indices_kernelILNS2_8CDimNameE1ENS2_18CUDAKernelLauncherENS2_14EmptyVecKernelENS2_8DummyVecELm0EEEvRKNS_6TensorESA_lllENKUlvE0_clEvENKUlvE_clEvEUliE_St5arrayIPcLm2EEEEviT0_T1_
	.p2align	8
	.type	_ZN2at6native29vectorized_elementwise_kernelILi4EZZZNS0_12_GLOBAL__N_142_validate_compressed_sparse_indices_kernelILNS2_8CDimNameE1ENS2_18CUDAKernelLauncherENS2_14EmptyVecKernelENS2_8DummyVecELm0EEEvRKNS_6TensorESA_lllENKUlvE0_clEvENKUlvE_clEvEUliE_St5arrayIPcLm2EEEEviT0_T1_,@function
_ZN2at6native29vectorized_elementwise_kernelILi4EZZZNS0_12_GLOBAL__N_142_validate_compressed_sparse_indices_kernelILNS2_8CDimNameE1ENS2_18CUDAKernelLauncherENS2_14EmptyVecKernelENS2_8DummyVecELm0EEEvRKNS_6TensorESA_lllENKUlvE0_clEvENKUlvE_clEvEUliE_St5arrayIPcLm2EEEEviT0_T1_: ; @_ZN2at6native29vectorized_elementwise_kernelILi4EZZZNS0_12_GLOBAL__N_142_validate_compressed_sparse_indices_kernelILNS2_8CDimNameE1ENS2_18CUDAKernelLauncherENS2_14EmptyVecKernelENS2_8DummyVecELm0EEEvRKNS_6TensorESA_lllENKUlvE0_clEvENKUlvE_clEvEUliE_St5arrayIPcLm2EEEEviT0_T1_
; %bb.0:
	s_clause 0x3
	s_load_b32 s3, s[0:1], 0x0
	s_load_b32 s16, s[0:1], 0x8
	s_load_b128 s[4:7], s[0:1], 0x10
	s_load_b64 s[10:11], s[0:1], 0x20
	s_wait_xcnt 0x0
	s_bfe_u32 s0, ttmp6, 0x4000c
	s_and_b32 s1, ttmp6, 15
	s_add_co_i32 s0, s0, 1
	s_getreg_b32 s2, hwreg(HW_REG_IB_STS2, 6, 4)
	s_mul_i32 s0, ttmp9, s0
	s_mov_b32 s17, 0
	s_add_co_i32 s1, s1, s0
	s_cmp_eq_u32 s2, 0
	s_get_pc_i64 s[8:9]
	s_add_nc_u64 s[8:9], s[8:9], .str.5@rel64+4
	s_cselect_b32 s0, ttmp9, s1
	s_mov_b32 s1, 0
	s_lshl_b32 s2, s0, 10
	s_mov_b32 s0, -1
	s_wait_kmcnt 0x0
	s_sub_co_i32 s5, s3, s2
	s_delay_alu instid0(SALU_CYCLE_1)
	s_cmp_gt_i32 s5, 0x3ff
	s_cbranch_scc0 .LBB98_13
; %bb.1:
	s_cmp_eq_u64 s[8:9], 0
	s_cselect_b32 s3, -1, 0
	s_cmp_lg_u64 s[8:9], 0
	s_cbranch_scc0 .LBB98_11
; %bb.2:
	s_ashr_i32 s3, s2, 31
	v_lshlrev_b32_e32 v2, 4, v0
	s_lshl_b64 s[12:13], s[2:3], 2
	s_delay_alu instid0(SALU_CYCLE_1)
	s_add_nc_u64 s[14:15], s[10:11], s[12:13]
	global_load_b32 v1, v2, s[14:15]
	s_wait_loadcnt 0x0
	v_cmp_le_i32_e32 vcc_lo, s16, v1
	v_cmp_gt_i32_e64 s0, s4, v1
	s_and_b32 s0, vcc_lo, s0
	s_delay_alu instid0(SALU_CYCLE_1)
	s_xor_b32 s3, s0, -1
	s_and_saveexec_b32 s1, s0
	s_cbranch_execz .LBB98_10
; %bb.3:
	v_mov_b32_e32 v3, 0
	s_delay_alu instid0(VALU_DEP_1)
	v_add_nc_u64_e32 v[2:3], s[14:15], v[2:3]
	global_load_b96 v[2:4], v[2:3], off offset:4
	s_wait_loadcnt 0x0
	v_cmp_le_i32_e32 vcc_lo, s16, v2
	v_cmp_gt_i32_e64 s0, s4, v2
	s_and_b32 s0, vcc_lo, s0
	s_delay_alu instid0(SALU_CYCLE_1)
	s_xor_b32 s14, s0, -1
	s_and_saveexec_b32 s15, s0
	s_cbranch_execz .LBB98_9
; %bb.4:
	v_cmp_le_i32_e32 vcc_lo, s16, v3
	v_cmp_gt_i32_e64 s0, s4, v3
	s_mov_b32 s20, -1
	s_and_b32 s0, vcc_lo, s0
	s_delay_alu instid0(SALU_CYCLE_1)
	s_xor_b32 s18, s0, -1
	s_and_saveexec_b32 s19, s0
	s_cbranch_execz .LBB98_8
; %bb.5:
	v_cmp_le_i32_e32 vcc_lo, s16, v4
	v_cmp_gt_i32_e64 s0, s4, v4
	s_and_b32 s0, vcc_lo, s0
	s_delay_alu instid0(SALU_CYCLE_1) | instskip(NEXT) | instid1(SALU_CYCLE_1)
	s_and_saveexec_b32 s21, s0
	s_xor_b32 s0, exec_lo, s21
; %bb.6:
	v_mov_b32_e32 v2, 0
	s_add_nc_u64 s[12:13], s[6:7], s[12:13]
	s_xor_b32 s20, exec_lo, -1
	s_delay_alu instid0(VALU_DEP_1)
	v_dual_mov_b32 v3, v2 :: v_dual_mov_b32 v4, v2
	v_mov_b32_e32 v5, v2
	global_store_b128 v0, v[2:5], s[12:13] scale_offset
; %bb.7:
	s_wait_xcnt 0x0
	s_or_b32 exec_lo, exec_lo, s0
	s_delay_alu instid0(SALU_CYCLE_1) | instskip(SKIP_1) | instid1(SALU_CYCLE_1)
	s_and_not1_b32 s0, s18, exec_lo
	s_and_b32 s12, s20, exec_lo
	s_or_b32 s18, s0, s12
.LBB98_8:
	s_or_b32 exec_lo, exec_lo, s19
	s_delay_alu instid0(SALU_CYCLE_1) | instskip(SKIP_1) | instid1(SALU_CYCLE_1)
	s_and_not1_b32 s0, s14, exec_lo
	s_and_b32 s12, s18, exec_lo
	s_or_b32 s14, s0, s12
.LBB98_9:
	s_or_b32 exec_lo, exec_lo, s15
	s_delay_alu instid0(SALU_CYCLE_1) | instskip(SKIP_1) | instid1(SALU_CYCLE_1)
	s_and_not1_b32 s0, s3, exec_lo
	s_and_b32 s3, s14, exec_lo
	s_or_b32 s3, s0, s3
.LBB98_10:
	s_or_b32 exec_lo, exec_lo, s1
.LBB98_11:
	s_mov_b32 s0, 0
	s_mov_b32 s1, 0
	s_and_saveexec_b32 s12, s3
	s_delay_alu instid0(SALU_CYCLE_1)
	s_xor_b32 s3, exec_lo, s12
	s_cbranch_execnz .LBB98_48
.LBB98_12:
	s_or_b32 exec_lo, exec_lo, s3
.LBB98_13:
	s_delay_alu instid0(SALU_CYCLE_1)
	s_and_b32 vcc_lo, exec_lo, s0
	s_cbranch_vccz .LBB98_37
; %bb.14:
	v_cmp_le_i32_e64 s13, s5, v0
	v_cmp_gt_i32_e64 s3, s5, v0
	v_dual_mov_b32 v1, 0 :: v_dual_mov_b32 v3, 0
	v_or_b32_e32 v7, 0x100, v0
	v_dual_mov_b32 v6, 0 :: v_dual_mov_b32 v8, 0
	s_and_saveexec_b32 s0, s3
	s_cbranch_execz .LBB98_22
; %bb.15:
	v_dual_mov_b32 v6, 0 :: v_dual_bitop2_b32 v1, s2, v0 bitop3:0x54
	v_mov_b32_e32 v3, 0
	s_mov_b32 s12, exec_lo
	global_load_b32 v8, v1, s[10:11] scale_offset
	s_wait_xcnt 0x0
	v_mov_b32_e32 v1, 0
	v_cmpx_gt_u32_e64 s5, v7
	s_cbranch_execz .LBB98_21
; %bb.16:
	v_dual_mov_b32 v3, 0 :: v_dual_add_nc_u32 v2, s2, v0
	v_or_b32_e32 v1, 0x200, v0
	global_load_b32 v6, v2, s[10:11] offset:1024 scale_offset
	v_cmp_gt_u32_e32 vcc_lo, s5, v1
	v_mov_b32_e32 v1, 0
	s_wait_xcnt 0x0
	s_and_saveexec_b32 s14, vcc_lo
	s_cbranch_execz .LBB98_20
; %bb.17:
	v_lshl_add_u64 v[4:5], v[2:3], 2, s[10:11]
	v_or_b32_e32 v1, 0x300, v0
	s_mov_b32 s10, exec_lo
	global_load_b32 v2, v[4:5], off offset:2048
	s_wait_xcnt 0x0
	v_cmpx_gt_u32_e64 s5, v1
	s_cbranch_execz .LBB98_19
; %bb.18:
	global_load_b32 v3, v[4:5], off offset:3072
.LBB98_19:
	s_wait_xcnt 0x0
	s_or_b32 exec_lo, exec_lo, s10
	s_wait_loadcnt 0x0
	v_dual_mov_b32 v1, v3 :: v_dual_mov_b32 v3, v2
.LBB98_20:
	s_or_b32 exec_lo, exec_lo, s14
.LBB98_21:
	s_delay_alu instid0(SALU_CYCLE_1)
	s_or_b32 exec_lo, exec_lo, s12
.LBB98_22:
	s_delay_alu instid0(SALU_CYCLE_1)
	s_or_b32 exec_lo, exec_lo, s0
	s_cmp_lg_u64 s[8:9], 0
	s_mov_b32 s10, 0
	s_cselect_b32 s14, -1, 0
	s_and_saveexec_b32 s8, s3
	s_cbranch_execz .LBB98_24
; %bb.23:
	s_wait_loadcnt 0x0
	v_cmp_le_i32_e32 vcc_lo, s16, v8
	v_cmp_gt_i32_e64 s0, s4, v8
	s_and_not1_b32 s9, s13, exec_lo
	s_mov_b32 s10, exec_lo
	s_and_b32 s0, vcc_lo, s0
	s_delay_alu instid0(SALU_CYCLE_1) | instskip(NEXT) | instid1(SALU_CYCLE_1)
	s_and_b32 s0, s14, s0
	s_and_b32 s0, s0, exec_lo
	s_delay_alu instid0(SALU_CYCLE_1)
	s_or_b32 s13, s9, s0
.LBB98_24:
	s_or_b32 exec_lo, exec_lo, s8
                                        ; implicit-def: $sgpr8
                                        ; implicit-def: $sgpr9
                                        ; implicit-def: $sgpr11
	s_and_saveexec_b32 s12, s13
	s_cbranch_execz .LBB98_46
; %bb.25:
	v_cmp_le_i32_e64 s18, s5, v7
	v_cmp_gt_i32_e64 s8, s5, v7
	s_mov_b32 s13, 0
	s_and_saveexec_b32 s9, s8
	s_cbranch_execz .LBB98_27
; %bb.26:
	s_wait_loadcnt 0x0
	v_cmp_le_i32_e32 vcc_lo, s16, v6
	v_cmp_gt_i32_e64 s0, s4, v6
	s_and_not1_b32 s11, s18, exec_lo
	s_mov_b32 s13, exec_lo
	s_and_b32 s0, vcc_lo, s0
	s_delay_alu instid0(SALU_CYCLE_1) | instskip(NEXT) | instid1(SALU_CYCLE_1)
	s_and_b32 s0, s14, s0
	s_and_b32 s0, s0, exec_lo
	s_delay_alu instid0(SALU_CYCLE_1)
	s_or_b32 s18, s11, s0
.LBB98_27:
	s_or_b32 exec_lo, exec_lo, s9
                                        ; implicit-def: $sgpr9
                                        ; implicit-def: $sgpr11
	s_and_saveexec_b32 s15, s18
	s_cbranch_execz .LBB98_35
; %bb.28:
	v_or_b32_e32 v2, 0x200, v0
	s_mov_b32 s18, 0
	s_delay_alu instid0(VALU_DEP_1)
	v_cmp_le_i32_e64 s20, s5, v2
	v_cmp_gt_i32_e64 s9, s5, v2
	s_and_saveexec_b32 s11, s9
; %bb.29:
	v_cmp_le_i32_e32 vcc_lo, s16, v3
	v_cmp_gt_i32_e64 s0, s4, v3
	s_and_not1_b32 s19, s20, exec_lo
	s_mov_b32 s17, exec_lo
	s_and_b32 s0, vcc_lo, s0
	s_delay_alu instid0(SALU_CYCLE_1) | instskip(NEXT) | instid1(SALU_CYCLE_1)
	s_and_b32 s0, s14, s0
	s_and_b32 s0, s0, exec_lo
	s_delay_alu instid0(SALU_CYCLE_1)
	s_or_b32 s20, s19, s0
; %bb.30:
	s_or_b32 exec_lo, exec_lo, s11
                                        ; implicit-def: $sgpr11
	s_and_saveexec_b32 s19, s20
	s_cbranch_execz .LBB98_34
; %bb.31:
	v_or_b32_e32 v2, 0x300, v0
	s_mov_b32 s0, 0
	s_delay_alu instid0(VALU_DEP_1) | instskip(SKIP_2) | instid1(SALU_CYCLE_1)
	v_cmp_le_i32_e64 s18, s5, v2
	v_cmp_gt_i32_e64 s11, s5, v2
	s_and_saveexec_b32 s5, s11
	s_xor_b32 s5, exec_lo, s5
; %bb.32:
	v_cmp_le_i32_e32 vcc_lo, s16, v1
	v_cmp_gt_i32_e64 s0, s4, v1
	s_or_b32 s18, s18, exec_lo
	s_and_b32 s0, vcc_lo, s0
	s_delay_alu instid0(SALU_CYCLE_1) | instskip(NEXT) | instid1(SALU_CYCLE_1)
	s_and_b32 s0, s14, s0
	s_xor_b32 s0, s0, -1
	s_delay_alu instid0(SALU_CYCLE_1)
	s_and_b32 s0, s0, exec_lo
; %bb.33:
	s_or_b32 exec_lo, exec_lo, s5
	s_delay_alu instid0(SALU_CYCLE_1)
	s_and_not1_b32 s4, s17, exec_lo
	s_and_b32 s0, s0, exec_lo
	s_and_b32 s18, s18, exec_lo
	s_or_b32 s17, s4, s0
.LBB98_34:
	s_or_b32 exec_lo, exec_lo, s19
	s_delay_alu instid0(SALU_CYCLE_1)
	s_and_not1_b32 s0, s13, exec_lo
	s_and_b32 s4, s17, exec_lo
	s_and_b32 s17, s18, exec_lo
	s_or_b32 s13, s0, s4
.LBB98_35:
	s_or_b32 exec_lo, exec_lo, s15
	s_delay_alu instid0(SALU_CYCLE_1)
	s_and_not1_b32 s0, s10, exec_lo
	s_and_b32 s4, s13, exec_lo
	s_and_b32 s17, s17, exec_lo
	s_or_b32 s10, s0, s4
	s_or_b32 exec_lo, exec_lo, s12
	s_and_saveexec_b32 s0, s10
	s_cbranch_execz .LBB98_47
.LBB98_36:
	s_and_not1_b32 s17, s17, exec_lo
	s_or_b32 s1, s1, exec_lo
	s_trap 2
	s_or_b32 exec_lo, exec_lo, s0
	s_and_saveexec_b32 s0, s1
	s_cbranch_execnz .LBB98_38
	s_branch .LBB98_39
.LBB98_37:
                                        ; implicit-def: $sgpr3
                                        ; implicit-def: $sgpr8
                                        ; implicit-def: $sgpr9
                                        ; implicit-def: $sgpr11
                                        ; implicit-def: $vgpr0
	s_and_saveexec_b32 s0, s1
.LBB98_38:
	; divergent unreachable
.LBB98_39:
	s_delay_alu instid0(SALU_CYCLE_1)
	s_or_b32 exec_lo, exec_lo, s0
	s_and_saveexec_b32 s0, s17
	s_cbranch_execz .LBB98_45
; %bb.40:
	s_and_b32 exec_lo, exec_lo, s3
	s_cbranch_execz .LBB98_45
; %bb.41:
	v_dual_mov_b32 v1, 0 :: v_dual_bitop2_b32 v2, s2, v0 bitop3:0x54
	global_store_b32 v2, v1, s[6:7] scale_offset
	s_wait_xcnt 0x0
	s_and_b32 exec_lo, exec_lo, s8
	s_cbranch_execz .LBB98_45
; %bb.42:
	v_add_nc_u32_e32 v0, s2, v0
	global_store_b32 v0, v1, s[6:7] offset:1024 scale_offset
	s_wait_xcnt 0x0
	s_and_b32 exec_lo, exec_lo, s9
	s_cbranch_execz .LBB98_45
; %bb.43:
	v_lshl_add_u64 v[0:1], v[0:1], 2, s[6:7]
	v_mov_b32_e32 v2, 0
	global_store_b32 v[0:1], v2, off offset:2048
	s_wait_xcnt 0x0
	s_and_b32 exec_lo, exec_lo, s11
	s_cbranch_execz .LBB98_45
; %bb.44:
	global_store_b32 v[0:1], v2, off offset:3072
.LBB98_45:
	s_endpgm
.LBB98_46:
	s_or_b32 exec_lo, exec_lo, s12
	s_and_saveexec_b32 s0, s10
	s_cbranch_execnz .LBB98_36
.LBB98_47:
	s_or_b32 exec_lo, exec_lo, s0
	s_and_saveexec_b32 s0, s1
	s_cbranch_execnz .LBB98_38
	s_branch .LBB98_39
.LBB98_48:
	s_mov_b32 s1, exec_lo
	s_trap 2
	s_branch .LBB98_12
	.section	.rodata,"a",@progbits
	.p2align	6, 0x0
	.amdhsa_kernel _ZN2at6native29vectorized_elementwise_kernelILi4EZZZNS0_12_GLOBAL__N_142_validate_compressed_sparse_indices_kernelILNS2_8CDimNameE1ENS2_18CUDAKernelLauncherENS2_14EmptyVecKernelENS2_8DummyVecELm0EEEvRKNS_6TensorESA_lllENKUlvE0_clEvENKUlvE_clEvEUliE_St5arrayIPcLm2EEEEviT0_T1_
		.amdhsa_group_segment_fixed_size 0
		.amdhsa_private_segment_fixed_size 0
		.amdhsa_kernarg_size 40
		.amdhsa_user_sgpr_count 2
		.amdhsa_user_sgpr_dispatch_ptr 0
		.amdhsa_user_sgpr_queue_ptr 0
		.amdhsa_user_sgpr_kernarg_segment_ptr 1
		.amdhsa_user_sgpr_dispatch_id 0
		.amdhsa_user_sgpr_kernarg_preload_length 0
		.amdhsa_user_sgpr_kernarg_preload_offset 0
		.amdhsa_user_sgpr_private_segment_size 0
		.amdhsa_wavefront_size32 1
		.amdhsa_uses_dynamic_stack 0
		.amdhsa_enable_private_segment 0
		.amdhsa_system_sgpr_workgroup_id_x 1
		.amdhsa_system_sgpr_workgroup_id_y 0
		.amdhsa_system_sgpr_workgroup_id_z 0
		.amdhsa_system_sgpr_workgroup_info 0
		.amdhsa_system_vgpr_workitem_id 0
		.amdhsa_next_free_vgpr 9
		.amdhsa_next_free_sgpr 22
		.amdhsa_named_barrier_count 0
		.amdhsa_reserve_vcc 1
		.amdhsa_float_round_mode_32 0
		.amdhsa_float_round_mode_16_64 0
		.amdhsa_float_denorm_mode_32 3
		.amdhsa_float_denorm_mode_16_64 3
		.amdhsa_fp16_overflow 0
		.amdhsa_memory_ordered 1
		.amdhsa_forward_progress 1
		.amdhsa_inst_pref_size 11
		.amdhsa_round_robin_scheduling 0
		.amdhsa_exception_fp_ieee_invalid_op 0
		.amdhsa_exception_fp_denorm_src 0
		.amdhsa_exception_fp_ieee_div_zero 0
		.amdhsa_exception_fp_ieee_overflow 0
		.amdhsa_exception_fp_ieee_underflow 0
		.amdhsa_exception_fp_ieee_inexact 0
		.amdhsa_exception_int_div_zero 0
	.end_amdhsa_kernel
	.section	.text._ZN2at6native29vectorized_elementwise_kernelILi4EZZZNS0_12_GLOBAL__N_142_validate_compressed_sparse_indices_kernelILNS2_8CDimNameE1ENS2_18CUDAKernelLauncherENS2_14EmptyVecKernelENS2_8DummyVecELm0EEEvRKNS_6TensorESA_lllENKUlvE0_clEvENKUlvE_clEvEUliE_St5arrayIPcLm2EEEEviT0_T1_,"axG",@progbits,_ZN2at6native29vectorized_elementwise_kernelILi4EZZZNS0_12_GLOBAL__N_142_validate_compressed_sparse_indices_kernelILNS2_8CDimNameE1ENS2_18CUDAKernelLauncherENS2_14EmptyVecKernelENS2_8DummyVecELm0EEEvRKNS_6TensorESA_lllENKUlvE0_clEvENKUlvE_clEvEUliE_St5arrayIPcLm2EEEEviT0_T1_,comdat
.Lfunc_end98:
	.size	_ZN2at6native29vectorized_elementwise_kernelILi4EZZZNS0_12_GLOBAL__N_142_validate_compressed_sparse_indices_kernelILNS2_8CDimNameE1ENS2_18CUDAKernelLauncherENS2_14EmptyVecKernelENS2_8DummyVecELm0EEEvRKNS_6TensorESA_lllENKUlvE0_clEvENKUlvE_clEvEUliE_St5arrayIPcLm2EEEEviT0_T1_, .Lfunc_end98-_ZN2at6native29vectorized_elementwise_kernelILi4EZZZNS0_12_GLOBAL__N_142_validate_compressed_sparse_indices_kernelILNS2_8CDimNameE1ENS2_18CUDAKernelLauncherENS2_14EmptyVecKernelENS2_8DummyVecELm0EEEvRKNS_6TensorESA_lllENKUlvE0_clEvENKUlvE_clEvEUliE_St5arrayIPcLm2EEEEviT0_T1_
                                        ; -- End function
	.set _ZN2at6native29vectorized_elementwise_kernelILi4EZZZNS0_12_GLOBAL__N_142_validate_compressed_sparse_indices_kernelILNS2_8CDimNameE1ENS2_18CUDAKernelLauncherENS2_14EmptyVecKernelENS2_8DummyVecELm0EEEvRKNS_6TensorESA_lllENKUlvE0_clEvENKUlvE_clEvEUliE_St5arrayIPcLm2EEEEviT0_T1_.num_vgpr, 9
	.set _ZN2at6native29vectorized_elementwise_kernelILi4EZZZNS0_12_GLOBAL__N_142_validate_compressed_sparse_indices_kernelILNS2_8CDimNameE1ENS2_18CUDAKernelLauncherENS2_14EmptyVecKernelENS2_8DummyVecELm0EEEvRKNS_6TensorESA_lllENKUlvE0_clEvENKUlvE_clEvEUliE_St5arrayIPcLm2EEEEviT0_T1_.num_agpr, 0
	.set _ZN2at6native29vectorized_elementwise_kernelILi4EZZZNS0_12_GLOBAL__N_142_validate_compressed_sparse_indices_kernelILNS2_8CDimNameE1ENS2_18CUDAKernelLauncherENS2_14EmptyVecKernelENS2_8DummyVecELm0EEEvRKNS_6TensorESA_lllENKUlvE0_clEvENKUlvE_clEvEUliE_St5arrayIPcLm2EEEEviT0_T1_.numbered_sgpr, 22
	.set _ZN2at6native29vectorized_elementwise_kernelILi4EZZZNS0_12_GLOBAL__N_142_validate_compressed_sparse_indices_kernelILNS2_8CDimNameE1ENS2_18CUDAKernelLauncherENS2_14EmptyVecKernelENS2_8DummyVecELm0EEEvRKNS_6TensorESA_lllENKUlvE0_clEvENKUlvE_clEvEUliE_St5arrayIPcLm2EEEEviT0_T1_.num_named_barrier, 0
	.set _ZN2at6native29vectorized_elementwise_kernelILi4EZZZNS0_12_GLOBAL__N_142_validate_compressed_sparse_indices_kernelILNS2_8CDimNameE1ENS2_18CUDAKernelLauncherENS2_14EmptyVecKernelENS2_8DummyVecELm0EEEvRKNS_6TensorESA_lllENKUlvE0_clEvENKUlvE_clEvEUliE_St5arrayIPcLm2EEEEviT0_T1_.private_seg_size, 0
	.set _ZN2at6native29vectorized_elementwise_kernelILi4EZZZNS0_12_GLOBAL__N_142_validate_compressed_sparse_indices_kernelILNS2_8CDimNameE1ENS2_18CUDAKernelLauncherENS2_14EmptyVecKernelENS2_8DummyVecELm0EEEvRKNS_6TensorESA_lllENKUlvE0_clEvENKUlvE_clEvEUliE_St5arrayIPcLm2EEEEviT0_T1_.uses_vcc, 1
	.set _ZN2at6native29vectorized_elementwise_kernelILi4EZZZNS0_12_GLOBAL__N_142_validate_compressed_sparse_indices_kernelILNS2_8CDimNameE1ENS2_18CUDAKernelLauncherENS2_14EmptyVecKernelENS2_8DummyVecELm0EEEvRKNS_6TensorESA_lllENKUlvE0_clEvENKUlvE_clEvEUliE_St5arrayIPcLm2EEEEviT0_T1_.uses_flat_scratch, 0
	.set _ZN2at6native29vectorized_elementwise_kernelILi4EZZZNS0_12_GLOBAL__N_142_validate_compressed_sparse_indices_kernelILNS2_8CDimNameE1ENS2_18CUDAKernelLauncherENS2_14EmptyVecKernelENS2_8DummyVecELm0EEEvRKNS_6TensorESA_lllENKUlvE0_clEvENKUlvE_clEvEUliE_St5arrayIPcLm2EEEEviT0_T1_.has_dyn_sized_stack, 0
	.set _ZN2at6native29vectorized_elementwise_kernelILi4EZZZNS0_12_GLOBAL__N_142_validate_compressed_sparse_indices_kernelILNS2_8CDimNameE1ENS2_18CUDAKernelLauncherENS2_14EmptyVecKernelENS2_8DummyVecELm0EEEvRKNS_6TensorESA_lllENKUlvE0_clEvENKUlvE_clEvEUliE_St5arrayIPcLm2EEEEviT0_T1_.has_recursion, 0
	.set _ZN2at6native29vectorized_elementwise_kernelILi4EZZZNS0_12_GLOBAL__N_142_validate_compressed_sparse_indices_kernelILNS2_8CDimNameE1ENS2_18CUDAKernelLauncherENS2_14EmptyVecKernelENS2_8DummyVecELm0EEEvRKNS_6TensorESA_lllENKUlvE0_clEvENKUlvE_clEvEUliE_St5arrayIPcLm2EEEEviT0_T1_.has_indirect_call, 0
	.section	.AMDGPU.csdata,"",@progbits
; Kernel info:
; codeLenInByte = 1384
; TotalNumSgprs: 24
; NumVgprs: 9
; ScratchSize: 0
; MemoryBound: 0
; FloatMode: 240
; IeeeMode: 1
; LDSByteSize: 0 bytes/workgroup (compile time only)
; SGPRBlocks: 0
; VGPRBlocks: 0
; NumSGPRsForWavesPerEU: 24
; NumVGPRsForWavesPerEU: 9
; NamedBarCnt: 0
; Occupancy: 16
; WaveLimiterHint : 0
; COMPUTE_PGM_RSRC2:SCRATCH_EN: 0
; COMPUTE_PGM_RSRC2:USER_SGPR: 2
; COMPUTE_PGM_RSRC2:TRAP_HANDLER: 0
; COMPUTE_PGM_RSRC2:TGID_X_EN: 1
; COMPUTE_PGM_RSRC2:TGID_Y_EN: 0
; COMPUTE_PGM_RSRC2:TGID_Z_EN: 0
; COMPUTE_PGM_RSRC2:TIDIG_COMP_CNT: 0
	.section	.text._ZN2at6native29vectorized_elementwise_kernelILi2EZZZNS0_12_GLOBAL__N_142_validate_compressed_sparse_indices_kernelILNS2_8CDimNameE1ENS2_18CUDAKernelLauncherENS2_14EmptyVecKernelENS2_8DummyVecELm0EEEvRKNS_6TensorESA_lllENKUlvE0_clEvENKUlvE_clEvEUliE_St5arrayIPcLm2EEEEviT0_T1_,"axG",@progbits,_ZN2at6native29vectorized_elementwise_kernelILi2EZZZNS0_12_GLOBAL__N_142_validate_compressed_sparse_indices_kernelILNS2_8CDimNameE1ENS2_18CUDAKernelLauncherENS2_14EmptyVecKernelENS2_8DummyVecELm0EEEvRKNS_6TensorESA_lllENKUlvE0_clEvENKUlvE_clEvEUliE_St5arrayIPcLm2EEEEviT0_T1_,comdat
	.globl	_ZN2at6native29vectorized_elementwise_kernelILi2EZZZNS0_12_GLOBAL__N_142_validate_compressed_sparse_indices_kernelILNS2_8CDimNameE1ENS2_18CUDAKernelLauncherENS2_14EmptyVecKernelENS2_8DummyVecELm0EEEvRKNS_6TensorESA_lllENKUlvE0_clEvENKUlvE_clEvEUliE_St5arrayIPcLm2EEEEviT0_T1_ ; -- Begin function _ZN2at6native29vectorized_elementwise_kernelILi2EZZZNS0_12_GLOBAL__N_142_validate_compressed_sparse_indices_kernelILNS2_8CDimNameE1ENS2_18CUDAKernelLauncherENS2_14EmptyVecKernelENS2_8DummyVecELm0EEEvRKNS_6TensorESA_lllENKUlvE0_clEvENKUlvE_clEvEUliE_St5arrayIPcLm2EEEEviT0_T1_
	.p2align	8
	.type	_ZN2at6native29vectorized_elementwise_kernelILi2EZZZNS0_12_GLOBAL__N_142_validate_compressed_sparse_indices_kernelILNS2_8CDimNameE1ENS2_18CUDAKernelLauncherENS2_14EmptyVecKernelENS2_8DummyVecELm0EEEvRKNS_6TensorESA_lllENKUlvE0_clEvENKUlvE_clEvEUliE_St5arrayIPcLm2EEEEviT0_T1_,@function
_ZN2at6native29vectorized_elementwise_kernelILi2EZZZNS0_12_GLOBAL__N_142_validate_compressed_sparse_indices_kernelILNS2_8CDimNameE1ENS2_18CUDAKernelLauncherENS2_14EmptyVecKernelENS2_8DummyVecELm0EEEvRKNS_6TensorESA_lllENKUlvE0_clEvENKUlvE_clEvEUliE_St5arrayIPcLm2EEEEviT0_T1_: ; @_ZN2at6native29vectorized_elementwise_kernelILi2EZZZNS0_12_GLOBAL__N_142_validate_compressed_sparse_indices_kernelILNS2_8CDimNameE1ENS2_18CUDAKernelLauncherENS2_14EmptyVecKernelENS2_8DummyVecELm0EEEvRKNS_6TensorESA_lllENKUlvE0_clEvENKUlvE_clEvEUliE_St5arrayIPcLm2EEEEviT0_T1_
; %bb.0:
	s_clause 0x3
	s_load_b32 s3, s[0:1], 0x0
	s_load_b32 s16, s[0:1], 0x8
	s_load_b128 s[4:7], s[0:1], 0x10
	s_load_b64 s[10:11], s[0:1], 0x20
	s_wait_xcnt 0x0
	s_bfe_u32 s0, ttmp6, 0x4000c
	s_and_b32 s1, ttmp6, 15
	s_add_co_i32 s0, s0, 1
	s_getreg_b32 s2, hwreg(HW_REG_IB_STS2, 6, 4)
	s_mul_i32 s0, ttmp9, s0
	s_mov_b32 s17, 0
	s_add_co_i32 s1, s1, s0
	s_cmp_eq_u32 s2, 0
	s_get_pc_i64 s[8:9]
	s_add_nc_u64 s[8:9], s[8:9], .str.5@rel64+4
	s_cselect_b32 s0, ttmp9, s1
	s_mov_b32 s1, 0
	s_lshl_b32 s2, s0, 10
	s_mov_b32 s0, -1
	s_wait_kmcnt 0x0
	s_sub_co_i32 s5, s3, s2
	s_delay_alu instid0(SALU_CYCLE_1)
	s_cmp_gt_i32 s5, 0x3ff
	s_cbranch_scc0 .LBB99_13
; %bb.1:
	s_cmp_eq_u64 s[8:9], 0
	s_cselect_b32 s3, -1, 0
	s_cmp_lg_u64 s[8:9], 0
	s_cbranch_scc0 .LBB99_11
; %bb.2:
	s_ashr_i32 s3, s2, 31
	v_lshlrev_b32_e32 v2, 3, v0
	s_lshl_b64 s[12:13], s[2:3], 2
	s_delay_alu instid0(SALU_CYCLE_1)
	s_add_nc_u64 s[14:15], s[10:11], s[12:13]
	global_load_b32 v1, v2, s[14:15]
	s_wait_loadcnt 0x0
	v_cmp_le_i32_e32 vcc_lo, s16, v1
	v_cmp_gt_i32_e64 s0, s4, v1
	s_and_b32 s0, vcc_lo, s0
	s_delay_alu instid0(SALU_CYCLE_1)
	s_xor_b32 s3, s0, -1
	s_and_saveexec_b32 s1, s0
	s_cbranch_execz .LBB99_10
; %bb.3:
	v_mov_b32_e32 v3, 0
	s_delay_alu instid0(VALU_DEP_1)
	v_add_nc_u64_e32 v[2:3], s[14:15], v[2:3]
	global_load_b32 v1, v[2:3], off offset:4
	s_wait_loadcnt 0x0
	v_cmp_le_i32_e32 vcc_lo, s16, v1
	v_cmp_gt_i32_e64 s0, s4, v1
	s_and_b32 s0, vcc_lo, s0
	s_delay_alu instid0(SALU_CYCLE_1)
	s_xor_b32 s14, s0, -1
	s_and_saveexec_b32 s15, s0
	s_cbranch_execz .LBB99_9
; %bb.4:
	global_load_b64 v[2:3], v[2:3], off offset:2048
	s_mov_b32 s20, -1
	s_wait_loadcnt 0x0
	v_cmp_le_i32_e32 vcc_lo, s16, v2
	v_cmp_gt_i32_e64 s0, s4, v2
	s_and_b32 s0, vcc_lo, s0
	s_delay_alu instid0(SALU_CYCLE_1)
	s_xor_b32 s18, s0, -1
	s_and_saveexec_b32 s19, s0
	s_cbranch_execz .LBB99_8
; %bb.5:
	v_cmp_le_i32_e32 vcc_lo, s16, v3
	v_cmp_gt_i32_e64 s0, s4, v3
	s_and_b32 s0, vcc_lo, s0
	s_delay_alu instid0(SALU_CYCLE_1) | instskip(NEXT) | instid1(SALU_CYCLE_1)
	s_and_saveexec_b32 s21, s0
	s_xor_b32 s0, exec_lo, s21
; %bb.6:
	v_mov_b64_e32 v[2:3], 0
	s_add_nc_u64 s[12:13], s[6:7], s[12:13]
	s_xor_b32 s20, exec_lo, -1
	s_clause 0x1
	global_store_b64 v0, v[2:3], s[12:13] scale_offset
	global_store_b64 v0, v[2:3], s[12:13] offset:2048 scale_offset
; %bb.7:
	s_wait_xcnt 0x0
	s_or_b32 exec_lo, exec_lo, s0
	s_delay_alu instid0(SALU_CYCLE_1) | instskip(SKIP_1) | instid1(SALU_CYCLE_1)
	s_and_not1_b32 s0, s18, exec_lo
	s_and_b32 s12, s20, exec_lo
	s_or_b32 s18, s0, s12
.LBB99_8:
	s_or_b32 exec_lo, exec_lo, s19
	s_delay_alu instid0(SALU_CYCLE_1) | instskip(SKIP_1) | instid1(SALU_CYCLE_1)
	s_and_not1_b32 s0, s14, exec_lo
	s_and_b32 s12, s18, exec_lo
	s_or_b32 s14, s0, s12
.LBB99_9:
	s_or_b32 exec_lo, exec_lo, s15
	s_delay_alu instid0(SALU_CYCLE_1) | instskip(SKIP_1) | instid1(SALU_CYCLE_1)
	s_and_not1_b32 s0, s3, exec_lo
	s_and_b32 s3, s14, exec_lo
	s_or_b32 s3, s0, s3
.LBB99_10:
	s_or_b32 exec_lo, exec_lo, s1
.LBB99_11:
	s_mov_b32 s0, 0
	s_mov_b32 s1, 0
	s_and_saveexec_b32 s12, s3
	s_delay_alu instid0(SALU_CYCLE_1)
	s_xor_b32 s3, exec_lo, s12
	s_cbranch_execnz .LBB99_48
.LBB99_12:
	s_or_b32 exec_lo, exec_lo, s3
.LBB99_13:
	s_delay_alu instid0(SALU_CYCLE_1)
	s_and_b32 vcc_lo, exec_lo, s0
	s_cbranch_vccz .LBB99_37
; %bb.14:
	v_cmp_le_i32_e64 s13, s5, v0
	v_cmp_gt_i32_e64 s3, s5, v0
	v_dual_mov_b32 v1, 0 :: v_dual_mov_b32 v3, 0
	v_or_b32_e32 v7, 0x100, v0
	v_dual_mov_b32 v6, 0 :: v_dual_mov_b32 v8, 0
	s_and_saveexec_b32 s0, s3
	s_cbranch_execz .LBB99_22
; %bb.15:
	v_dual_mov_b32 v6, 0 :: v_dual_bitop2_b32 v1, s2, v0 bitop3:0x54
	v_mov_b32_e32 v3, 0
	s_mov_b32 s12, exec_lo
	global_load_b32 v8, v1, s[10:11] scale_offset
	s_wait_xcnt 0x0
	v_mov_b32_e32 v1, 0
	v_cmpx_gt_u32_e64 s5, v7
	s_cbranch_execz .LBB99_21
; %bb.16:
	v_dual_mov_b32 v3, 0 :: v_dual_add_nc_u32 v2, s2, v0
	v_or_b32_e32 v1, 0x200, v0
	global_load_b32 v6, v2, s[10:11] offset:1024 scale_offset
	v_cmp_gt_u32_e32 vcc_lo, s5, v1
	v_mov_b32_e32 v1, 0
	s_wait_xcnt 0x0
	s_and_saveexec_b32 s14, vcc_lo
	s_cbranch_execz .LBB99_20
; %bb.17:
	v_lshl_add_u64 v[4:5], v[2:3], 2, s[10:11]
	v_or_b32_e32 v1, 0x300, v0
	s_mov_b32 s10, exec_lo
	global_load_b32 v2, v[4:5], off offset:2048
	s_wait_xcnt 0x0
	v_cmpx_gt_u32_e64 s5, v1
	s_cbranch_execz .LBB99_19
; %bb.18:
	global_load_b32 v3, v[4:5], off offset:3072
.LBB99_19:
	s_wait_xcnt 0x0
	s_or_b32 exec_lo, exec_lo, s10
	s_wait_loadcnt 0x0
	v_dual_mov_b32 v1, v3 :: v_dual_mov_b32 v3, v2
.LBB99_20:
	s_or_b32 exec_lo, exec_lo, s14
.LBB99_21:
	s_delay_alu instid0(SALU_CYCLE_1)
	s_or_b32 exec_lo, exec_lo, s12
.LBB99_22:
	s_delay_alu instid0(SALU_CYCLE_1)
	s_or_b32 exec_lo, exec_lo, s0
	s_cmp_lg_u64 s[8:9], 0
	s_mov_b32 s10, 0
	s_cselect_b32 s14, -1, 0
	s_and_saveexec_b32 s8, s3
	s_cbranch_execz .LBB99_24
; %bb.23:
	s_wait_loadcnt 0x0
	v_cmp_le_i32_e32 vcc_lo, s16, v8
	v_cmp_gt_i32_e64 s0, s4, v8
	s_and_not1_b32 s9, s13, exec_lo
	s_mov_b32 s10, exec_lo
	s_and_b32 s0, vcc_lo, s0
	s_delay_alu instid0(SALU_CYCLE_1) | instskip(NEXT) | instid1(SALU_CYCLE_1)
	s_and_b32 s0, s14, s0
	s_and_b32 s0, s0, exec_lo
	s_delay_alu instid0(SALU_CYCLE_1)
	s_or_b32 s13, s9, s0
.LBB99_24:
	s_or_b32 exec_lo, exec_lo, s8
                                        ; implicit-def: $sgpr8
                                        ; implicit-def: $sgpr9
                                        ; implicit-def: $sgpr11
	s_and_saveexec_b32 s12, s13
	s_cbranch_execz .LBB99_46
; %bb.25:
	v_cmp_le_i32_e64 s18, s5, v7
	v_cmp_gt_i32_e64 s8, s5, v7
	s_mov_b32 s13, 0
	s_and_saveexec_b32 s9, s8
	s_cbranch_execz .LBB99_27
; %bb.26:
	s_wait_loadcnt 0x0
	v_cmp_le_i32_e32 vcc_lo, s16, v6
	v_cmp_gt_i32_e64 s0, s4, v6
	s_and_not1_b32 s11, s18, exec_lo
	s_mov_b32 s13, exec_lo
	s_and_b32 s0, vcc_lo, s0
	s_delay_alu instid0(SALU_CYCLE_1) | instskip(NEXT) | instid1(SALU_CYCLE_1)
	s_and_b32 s0, s14, s0
	s_and_b32 s0, s0, exec_lo
	s_delay_alu instid0(SALU_CYCLE_1)
	s_or_b32 s18, s11, s0
.LBB99_27:
	s_or_b32 exec_lo, exec_lo, s9
                                        ; implicit-def: $sgpr9
                                        ; implicit-def: $sgpr11
	s_and_saveexec_b32 s15, s18
	s_cbranch_execz .LBB99_35
; %bb.28:
	v_or_b32_e32 v2, 0x200, v0
	s_mov_b32 s18, 0
	s_delay_alu instid0(VALU_DEP_1)
	v_cmp_le_i32_e64 s20, s5, v2
	v_cmp_gt_i32_e64 s9, s5, v2
	s_and_saveexec_b32 s11, s9
; %bb.29:
	v_cmp_le_i32_e32 vcc_lo, s16, v3
	v_cmp_gt_i32_e64 s0, s4, v3
	s_and_not1_b32 s19, s20, exec_lo
	s_mov_b32 s17, exec_lo
	s_and_b32 s0, vcc_lo, s0
	s_delay_alu instid0(SALU_CYCLE_1) | instskip(NEXT) | instid1(SALU_CYCLE_1)
	s_and_b32 s0, s14, s0
	s_and_b32 s0, s0, exec_lo
	s_delay_alu instid0(SALU_CYCLE_1)
	s_or_b32 s20, s19, s0
; %bb.30:
	s_or_b32 exec_lo, exec_lo, s11
                                        ; implicit-def: $sgpr11
	s_and_saveexec_b32 s19, s20
	s_cbranch_execz .LBB99_34
; %bb.31:
	v_or_b32_e32 v2, 0x300, v0
	s_mov_b32 s0, 0
	s_delay_alu instid0(VALU_DEP_1) | instskip(SKIP_2) | instid1(SALU_CYCLE_1)
	v_cmp_le_i32_e64 s18, s5, v2
	v_cmp_gt_i32_e64 s11, s5, v2
	s_and_saveexec_b32 s5, s11
	s_xor_b32 s5, exec_lo, s5
; %bb.32:
	v_cmp_le_i32_e32 vcc_lo, s16, v1
	v_cmp_gt_i32_e64 s0, s4, v1
	s_or_b32 s18, s18, exec_lo
	s_and_b32 s0, vcc_lo, s0
	s_delay_alu instid0(SALU_CYCLE_1) | instskip(NEXT) | instid1(SALU_CYCLE_1)
	s_and_b32 s0, s14, s0
	s_xor_b32 s0, s0, -1
	s_delay_alu instid0(SALU_CYCLE_1)
	s_and_b32 s0, s0, exec_lo
; %bb.33:
	s_or_b32 exec_lo, exec_lo, s5
	s_delay_alu instid0(SALU_CYCLE_1)
	s_and_not1_b32 s4, s17, exec_lo
	s_and_b32 s0, s0, exec_lo
	s_and_b32 s18, s18, exec_lo
	s_or_b32 s17, s4, s0
.LBB99_34:
	s_or_b32 exec_lo, exec_lo, s19
	s_delay_alu instid0(SALU_CYCLE_1)
	s_and_not1_b32 s0, s13, exec_lo
	s_and_b32 s4, s17, exec_lo
	s_and_b32 s17, s18, exec_lo
	s_or_b32 s13, s0, s4
.LBB99_35:
	s_or_b32 exec_lo, exec_lo, s15
	s_delay_alu instid0(SALU_CYCLE_1)
	s_and_not1_b32 s0, s10, exec_lo
	s_and_b32 s4, s13, exec_lo
	s_and_b32 s17, s17, exec_lo
	s_or_b32 s10, s0, s4
	s_or_b32 exec_lo, exec_lo, s12
	s_and_saveexec_b32 s0, s10
	s_cbranch_execz .LBB99_47
.LBB99_36:
	s_and_not1_b32 s17, s17, exec_lo
	s_or_b32 s1, s1, exec_lo
	s_trap 2
	s_or_b32 exec_lo, exec_lo, s0
	s_and_saveexec_b32 s0, s1
	s_cbranch_execnz .LBB99_38
	s_branch .LBB99_39
.LBB99_37:
                                        ; implicit-def: $sgpr3
                                        ; implicit-def: $sgpr8
                                        ; implicit-def: $sgpr9
                                        ; implicit-def: $sgpr11
                                        ; implicit-def: $vgpr0
	s_and_saveexec_b32 s0, s1
.LBB99_38:
	; divergent unreachable
.LBB99_39:
	s_delay_alu instid0(SALU_CYCLE_1)
	s_or_b32 exec_lo, exec_lo, s0
	s_and_saveexec_b32 s0, s17
	s_cbranch_execz .LBB99_45
; %bb.40:
	s_and_b32 exec_lo, exec_lo, s3
	s_cbranch_execz .LBB99_45
; %bb.41:
	v_dual_mov_b32 v1, 0 :: v_dual_bitop2_b32 v2, s2, v0 bitop3:0x54
	global_store_b32 v2, v1, s[6:7] scale_offset
	s_wait_xcnt 0x0
	s_and_b32 exec_lo, exec_lo, s8
	s_cbranch_execz .LBB99_45
; %bb.42:
	v_add_nc_u32_e32 v0, s2, v0
	global_store_b32 v0, v1, s[6:7] offset:1024 scale_offset
	s_wait_xcnt 0x0
	s_and_b32 exec_lo, exec_lo, s9
	s_cbranch_execz .LBB99_45
; %bb.43:
	v_lshl_add_u64 v[0:1], v[0:1], 2, s[6:7]
	v_mov_b32_e32 v2, 0
	global_store_b32 v[0:1], v2, off offset:2048
	s_wait_xcnt 0x0
	s_and_b32 exec_lo, exec_lo, s11
	s_cbranch_execz .LBB99_45
; %bb.44:
	global_store_b32 v[0:1], v2, off offset:3072
.LBB99_45:
	s_endpgm
.LBB99_46:
	s_or_b32 exec_lo, exec_lo, s12
	s_and_saveexec_b32 s0, s10
	s_cbranch_execnz .LBB99_36
.LBB99_47:
	s_or_b32 exec_lo, exec_lo, s0
	s_and_saveexec_b32 s0, s1
	s_cbranch_execnz .LBB99_38
	s_branch .LBB99_39
.LBB99_48:
	s_mov_b32 s1, exec_lo
	s_trap 2
	s_branch .LBB99_12
	.section	.rodata,"a",@progbits
	.p2align	6, 0x0
	.amdhsa_kernel _ZN2at6native29vectorized_elementwise_kernelILi2EZZZNS0_12_GLOBAL__N_142_validate_compressed_sparse_indices_kernelILNS2_8CDimNameE1ENS2_18CUDAKernelLauncherENS2_14EmptyVecKernelENS2_8DummyVecELm0EEEvRKNS_6TensorESA_lllENKUlvE0_clEvENKUlvE_clEvEUliE_St5arrayIPcLm2EEEEviT0_T1_
		.amdhsa_group_segment_fixed_size 0
		.amdhsa_private_segment_fixed_size 0
		.amdhsa_kernarg_size 40
		.amdhsa_user_sgpr_count 2
		.amdhsa_user_sgpr_dispatch_ptr 0
		.amdhsa_user_sgpr_queue_ptr 0
		.amdhsa_user_sgpr_kernarg_segment_ptr 1
		.amdhsa_user_sgpr_dispatch_id 0
		.amdhsa_user_sgpr_kernarg_preload_length 0
		.amdhsa_user_sgpr_kernarg_preload_offset 0
		.amdhsa_user_sgpr_private_segment_size 0
		.amdhsa_wavefront_size32 1
		.amdhsa_uses_dynamic_stack 0
		.amdhsa_enable_private_segment 0
		.amdhsa_system_sgpr_workgroup_id_x 1
		.amdhsa_system_sgpr_workgroup_id_y 0
		.amdhsa_system_sgpr_workgroup_id_z 0
		.amdhsa_system_sgpr_workgroup_info 0
		.amdhsa_system_vgpr_workitem_id 0
		.amdhsa_next_free_vgpr 9
		.amdhsa_next_free_sgpr 22
		.amdhsa_named_barrier_count 0
		.amdhsa_reserve_vcc 1
		.amdhsa_float_round_mode_32 0
		.amdhsa_float_round_mode_16_64 0
		.amdhsa_float_denorm_mode_32 3
		.amdhsa_float_denorm_mode_16_64 3
		.amdhsa_fp16_overflow 0
		.amdhsa_memory_ordered 1
		.amdhsa_forward_progress 1
		.amdhsa_inst_pref_size 11
		.amdhsa_round_robin_scheduling 0
		.amdhsa_exception_fp_ieee_invalid_op 0
		.amdhsa_exception_fp_denorm_src 0
		.amdhsa_exception_fp_ieee_div_zero 0
		.amdhsa_exception_fp_ieee_overflow 0
		.amdhsa_exception_fp_ieee_underflow 0
		.amdhsa_exception_fp_ieee_inexact 0
		.amdhsa_exception_int_div_zero 0
	.end_amdhsa_kernel
	.section	.text._ZN2at6native29vectorized_elementwise_kernelILi2EZZZNS0_12_GLOBAL__N_142_validate_compressed_sparse_indices_kernelILNS2_8CDimNameE1ENS2_18CUDAKernelLauncherENS2_14EmptyVecKernelENS2_8DummyVecELm0EEEvRKNS_6TensorESA_lllENKUlvE0_clEvENKUlvE_clEvEUliE_St5arrayIPcLm2EEEEviT0_T1_,"axG",@progbits,_ZN2at6native29vectorized_elementwise_kernelILi2EZZZNS0_12_GLOBAL__N_142_validate_compressed_sparse_indices_kernelILNS2_8CDimNameE1ENS2_18CUDAKernelLauncherENS2_14EmptyVecKernelENS2_8DummyVecELm0EEEvRKNS_6TensorESA_lllENKUlvE0_clEvENKUlvE_clEvEUliE_St5arrayIPcLm2EEEEviT0_T1_,comdat
.Lfunc_end99:
	.size	_ZN2at6native29vectorized_elementwise_kernelILi2EZZZNS0_12_GLOBAL__N_142_validate_compressed_sparse_indices_kernelILNS2_8CDimNameE1ENS2_18CUDAKernelLauncherENS2_14EmptyVecKernelENS2_8DummyVecELm0EEEvRKNS_6TensorESA_lllENKUlvE0_clEvENKUlvE_clEvEUliE_St5arrayIPcLm2EEEEviT0_T1_, .Lfunc_end99-_ZN2at6native29vectorized_elementwise_kernelILi2EZZZNS0_12_GLOBAL__N_142_validate_compressed_sparse_indices_kernelILNS2_8CDimNameE1ENS2_18CUDAKernelLauncherENS2_14EmptyVecKernelENS2_8DummyVecELm0EEEvRKNS_6TensorESA_lllENKUlvE0_clEvENKUlvE_clEvEUliE_St5arrayIPcLm2EEEEviT0_T1_
                                        ; -- End function
	.set _ZN2at6native29vectorized_elementwise_kernelILi2EZZZNS0_12_GLOBAL__N_142_validate_compressed_sparse_indices_kernelILNS2_8CDimNameE1ENS2_18CUDAKernelLauncherENS2_14EmptyVecKernelENS2_8DummyVecELm0EEEvRKNS_6TensorESA_lllENKUlvE0_clEvENKUlvE_clEvEUliE_St5arrayIPcLm2EEEEviT0_T1_.num_vgpr, 9
	.set _ZN2at6native29vectorized_elementwise_kernelILi2EZZZNS0_12_GLOBAL__N_142_validate_compressed_sparse_indices_kernelILNS2_8CDimNameE1ENS2_18CUDAKernelLauncherENS2_14EmptyVecKernelENS2_8DummyVecELm0EEEvRKNS_6TensorESA_lllENKUlvE0_clEvENKUlvE_clEvEUliE_St5arrayIPcLm2EEEEviT0_T1_.num_agpr, 0
	.set _ZN2at6native29vectorized_elementwise_kernelILi2EZZZNS0_12_GLOBAL__N_142_validate_compressed_sparse_indices_kernelILNS2_8CDimNameE1ENS2_18CUDAKernelLauncherENS2_14EmptyVecKernelENS2_8DummyVecELm0EEEvRKNS_6TensorESA_lllENKUlvE0_clEvENKUlvE_clEvEUliE_St5arrayIPcLm2EEEEviT0_T1_.numbered_sgpr, 22
	.set _ZN2at6native29vectorized_elementwise_kernelILi2EZZZNS0_12_GLOBAL__N_142_validate_compressed_sparse_indices_kernelILNS2_8CDimNameE1ENS2_18CUDAKernelLauncherENS2_14EmptyVecKernelENS2_8DummyVecELm0EEEvRKNS_6TensorESA_lllENKUlvE0_clEvENKUlvE_clEvEUliE_St5arrayIPcLm2EEEEviT0_T1_.num_named_barrier, 0
	.set _ZN2at6native29vectorized_elementwise_kernelILi2EZZZNS0_12_GLOBAL__N_142_validate_compressed_sparse_indices_kernelILNS2_8CDimNameE1ENS2_18CUDAKernelLauncherENS2_14EmptyVecKernelENS2_8DummyVecELm0EEEvRKNS_6TensorESA_lllENKUlvE0_clEvENKUlvE_clEvEUliE_St5arrayIPcLm2EEEEviT0_T1_.private_seg_size, 0
	.set _ZN2at6native29vectorized_elementwise_kernelILi2EZZZNS0_12_GLOBAL__N_142_validate_compressed_sparse_indices_kernelILNS2_8CDimNameE1ENS2_18CUDAKernelLauncherENS2_14EmptyVecKernelENS2_8DummyVecELm0EEEvRKNS_6TensorESA_lllENKUlvE0_clEvENKUlvE_clEvEUliE_St5arrayIPcLm2EEEEviT0_T1_.uses_vcc, 1
	.set _ZN2at6native29vectorized_elementwise_kernelILi2EZZZNS0_12_GLOBAL__N_142_validate_compressed_sparse_indices_kernelILNS2_8CDimNameE1ENS2_18CUDAKernelLauncherENS2_14EmptyVecKernelENS2_8DummyVecELm0EEEvRKNS_6TensorESA_lllENKUlvE0_clEvENKUlvE_clEvEUliE_St5arrayIPcLm2EEEEviT0_T1_.uses_flat_scratch, 0
	.set _ZN2at6native29vectorized_elementwise_kernelILi2EZZZNS0_12_GLOBAL__N_142_validate_compressed_sparse_indices_kernelILNS2_8CDimNameE1ENS2_18CUDAKernelLauncherENS2_14EmptyVecKernelENS2_8DummyVecELm0EEEvRKNS_6TensorESA_lllENKUlvE0_clEvENKUlvE_clEvEUliE_St5arrayIPcLm2EEEEviT0_T1_.has_dyn_sized_stack, 0
	.set _ZN2at6native29vectorized_elementwise_kernelILi2EZZZNS0_12_GLOBAL__N_142_validate_compressed_sparse_indices_kernelILNS2_8CDimNameE1ENS2_18CUDAKernelLauncherENS2_14EmptyVecKernelENS2_8DummyVecELm0EEEvRKNS_6TensorESA_lllENKUlvE0_clEvENKUlvE_clEvEUliE_St5arrayIPcLm2EEEEviT0_T1_.has_recursion, 0
	.set _ZN2at6native29vectorized_elementwise_kernelILi2EZZZNS0_12_GLOBAL__N_142_validate_compressed_sparse_indices_kernelILNS2_8CDimNameE1ENS2_18CUDAKernelLauncherENS2_14EmptyVecKernelENS2_8DummyVecELm0EEEvRKNS_6TensorESA_lllENKUlvE0_clEvENKUlvE_clEvEUliE_St5arrayIPcLm2EEEEviT0_T1_.has_indirect_call, 0
	.section	.AMDGPU.csdata,"",@progbits
; Kernel info:
; codeLenInByte = 1400
; TotalNumSgprs: 24
; NumVgprs: 9
; ScratchSize: 0
; MemoryBound: 0
; FloatMode: 240
; IeeeMode: 1
; LDSByteSize: 0 bytes/workgroup (compile time only)
; SGPRBlocks: 0
; VGPRBlocks: 0
; NumSGPRsForWavesPerEU: 24
; NumVGPRsForWavesPerEU: 9
; NamedBarCnt: 0
; Occupancy: 16
; WaveLimiterHint : 1
; COMPUTE_PGM_RSRC2:SCRATCH_EN: 0
; COMPUTE_PGM_RSRC2:USER_SGPR: 2
; COMPUTE_PGM_RSRC2:TRAP_HANDLER: 0
; COMPUTE_PGM_RSRC2:TGID_X_EN: 1
; COMPUTE_PGM_RSRC2:TGID_Y_EN: 0
; COMPUTE_PGM_RSRC2:TGID_Z_EN: 0
; COMPUTE_PGM_RSRC2:TIDIG_COMP_CNT: 0
	.section	.text._ZN2at6native27unrolled_elementwise_kernelIZZZNS0_12_GLOBAL__N_142_validate_compressed_sparse_indices_kernelILNS2_8CDimNameE1ENS2_18CUDAKernelLauncherENS2_14EmptyVecKernelENS2_8DummyVecELm0EEEvRKNS_6TensorESA_lllENKUlvE0_clEvENKUlvE_clEvEUliE_St5arrayIPcLm2EELi4E23TrivialOffsetCalculatorILi1EjESI_NS0_6memory15LoadWithoutCastENSJ_16StoreWithoutCastEEEviT_T0_T2_T3_T4_T5_,"axG",@progbits,_ZN2at6native27unrolled_elementwise_kernelIZZZNS0_12_GLOBAL__N_142_validate_compressed_sparse_indices_kernelILNS2_8CDimNameE1ENS2_18CUDAKernelLauncherENS2_14EmptyVecKernelENS2_8DummyVecELm0EEEvRKNS_6TensorESA_lllENKUlvE0_clEvENKUlvE_clEvEUliE_St5arrayIPcLm2EELi4E23TrivialOffsetCalculatorILi1EjESI_NS0_6memory15LoadWithoutCastENSJ_16StoreWithoutCastEEEviT_T0_T2_T3_T4_T5_,comdat
	.globl	_ZN2at6native27unrolled_elementwise_kernelIZZZNS0_12_GLOBAL__N_142_validate_compressed_sparse_indices_kernelILNS2_8CDimNameE1ENS2_18CUDAKernelLauncherENS2_14EmptyVecKernelENS2_8DummyVecELm0EEEvRKNS_6TensorESA_lllENKUlvE0_clEvENKUlvE_clEvEUliE_St5arrayIPcLm2EELi4E23TrivialOffsetCalculatorILi1EjESI_NS0_6memory15LoadWithoutCastENSJ_16StoreWithoutCastEEEviT_T0_T2_T3_T4_T5_ ; -- Begin function _ZN2at6native27unrolled_elementwise_kernelIZZZNS0_12_GLOBAL__N_142_validate_compressed_sparse_indices_kernelILNS2_8CDimNameE1ENS2_18CUDAKernelLauncherENS2_14EmptyVecKernelENS2_8DummyVecELm0EEEvRKNS_6TensorESA_lllENKUlvE0_clEvENKUlvE_clEvEUliE_St5arrayIPcLm2EELi4E23TrivialOffsetCalculatorILi1EjESI_NS0_6memory15LoadWithoutCastENSJ_16StoreWithoutCastEEEviT_T0_T2_T3_T4_T5_
	.p2align	8
	.type	_ZN2at6native27unrolled_elementwise_kernelIZZZNS0_12_GLOBAL__N_142_validate_compressed_sparse_indices_kernelILNS2_8CDimNameE1ENS2_18CUDAKernelLauncherENS2_14EmptyVecKernelENS2_8DummyVecELm0EEEvRKNS_6TensorESA_lllENKUlvE0_clEvENKUlvE_clEvEUliE_St5arrayIPcLm2EELi4E23TrivialOffsetCalculatorILi1EjESI_NS0_6memory15LoadWithoutCastENSJ_16StoreWithoutCastEEEviT_T0_T2_T3_T4_T5_,@function
_ZN2at6native27unrolled_elementwise_kernelIZZZNS0_12_GLOBAL__N_142_validate_compressed_sparse_indices_kernelILNS2_8CDimNameE1ENS2_18CUDAKernelLauncherENS2_14EmptyVecKernelENS2_8DummyVecELm0EEEvRKNS_6TensorESA_lllENKUlvE0_clEvENKUlvE_clEvEUliE_St5arrayIPcLm2EELi4E23TrivialOffsetCalculatorILi1EjESI_NS0_6memory15LoadWithoutCastENSJ_16StoreWithoutCastEEEviT_T0_T2_T3_T4_T5_: ; @_ZN2at6native27unrolled_elementwise_kernelIZZZNS0_12_GLOBAL__N_142_validate_compressed_sparse_indices_kernelILNS2_8CDimNameE1ENS2_18CUDAKernelLauncherENS2_14EmptyVecKernelENS2_8DummyVecELm0EEEvRKNS_6TensorESA_lllENKUlvE0_clEvENKUlvE_clEvEUliE_St5arrayIPcLm2EELi4E23TrivialOffsetCalculatorILi1EjESI_NS0_6memory15LoadWithoutCastENSJ_16StoreWithoutCastEEEviT_T0_T2_T3_T4_T5_
; %bb.0:
	s_load_b32 s2, s[0:1], 0x0
	s_bfe_u32 s3, ttmp6, 0x4000c
	s_clause 0x1
	s_load_b128 s[4:7], s[0:1], 0x10
	s_load_b64 s[8:9], s[0:1], 0x20
	s_add_co_i32 s3, s3, 1
	s_wait_kmcnt 0x0
	s_and_b32 s5, ttmp6, 15
	s_mul_i32 s3, ttmp9, s3
	s_getreg_b32 s10, hwreg(HW_REG_IB_STS2, 6, 4)
	s_add_co_i32 s5, s5, s3
	s_cmp_eq_u32 s10, 0
	v_dual_mov_b32 v2, 0 :: v_dual_mov_b32 v5, 0
	s_cselect_b32 s3, ttmp9, s5
	v_dual_mov_b32 v6, 0 :: v_dual_mov_b32 v3, 0
	s_lshl_b32 s3, s3, 10
	v_or_b32_e32 v1, 0x100, v0
	s_mov_b32 s5, 0
	s_sub_co_i32 s10, s2, s3
	s_delay_alu instid0(SALU_CYCLE_1)
	v_cmp_le_i32_e64 s12, s10, v0
	v_cmp_gt_i32_e32 vcc_lo, s10, v0
	s_and_saveexec_b32 s11, vcc_lo
	s_cbranch_execz .LBB100_8
; %bb.1:
	v_dual_mov_b32 v6, 0 :: v_dual_bitop2_b32 v2, s3, v0 bitop3:0x54
	v_or_b32_e32 v4, 0x100, v0
	v_mov_b32_e32 v5, 0
	s_mov_b32 s13, exec_lo
	global_load_b32 v3, v2, s[8:9] scale_offset
	s_wait_xcnt 0x0
	v_mov_b32_e32 v2, 0
	v_cmpx_gt_u32_e64 s10, v4
	s_cbranch_execz .LBB100_7
; %bb.2:
	v_dual_mov_b32 v5, 0 :: v_dual_add_nc_u32 v2, s3, v4
	v_or_b32_e32 v4, 0x200, v0
	s_mov_b32 s14, exec_lo
	global_load_b32 v6, v2, s[8:9] scale_offset
	s_wait_xcnt 0x0
	v_mov_b32_e32 v2, 0
	v_cmpx_gt_u32_e64 s10, v4
	s_cbranch_execz .LBB100_6
; %bb.3:
	v_add_nc_u32_e32 v2, s3, v4
	v_or_b32_e32 v4, 0x300, v0
	s_mov_b32 s15, exec_lo
	global_load_b32 v5, v2, s[8:9] scale_offset
	s_wait_xcnt 0x0
	v_mov_b32_e32 v2, 0
	v_cmpx_gt_u32_e64 s10, v4
	s_cbranch_execz .LBB100_5
; %bb.4:
	v_add_nc_u32_e32 v2, s3, v4
	global_load_b32 v2, v2, s[8:9] scale_offset
.LBB100_5:
	s_wait_xcnt 0x0
	s_or_b32 exec_lo, exec_lo, s15
.LBB100_6:
	s_delay_alu instid0(SALU_CYCLE_1)
	s_or_b32 exec_lo, exec_lo, s14
.LBB100_7:
	s_delay_alu instid0(SALU_CYCLE_1)
	s_or_b32 exec_lo, exec_lo, s13
.LBB100_8:
	s_delay_alu instid0(SALU_CYCLE_1) | instskip(SKIP_4) | instid1(SALU_CYCLE_1)
	s_or_b32 exec_lo, exec_lo, s11
	s_load_b32 s13, s[0:1], 0x8
	s_wait_xcnt 0x0
	s_get_pc_i64 s[0:1]
	s_add_nc_u64 s[0:1], s[0:1], .str.5@rel64+4
	s_cmp_lg_u64 s[0:1], 0
	s_cselect_b32 s14, -1, 0
	s_and_saveexec_b32 s2, vcc_lo
	s_cbranch_execz .LBB100_10
; %bb.9:
	s_wait_loadcnt 0x0
	s_wait_kmcnt 0x0
	v_cmp_le_i32_e64 s0, s13, v3
	v_cmp_gt_i32_e64 s1, s4, v3
	s_mov_b32 s5, exec_lo
	s_and_b32 s0, s0, s1
	s_and_not1_b32 s1, s12, exec_lo
	s_and_b32 s0, s14, s0
	s_delay_alu instid0(SALU_CYCLE_1) | instskip(NEXT) | instid1(SALU_CYCLE_1)
	s_and_b32 s0, s0, exec_lo
	s_or_b32 s12, s1, s0
.LBB100_10:
	s_or_b32 exec_lo, exec_lo, s2
	s_mov_b32 s0, 0
                                        ; implicit-def: $sgpr2
                                        ; implicit-def: $sgpr8
                                        ; implicit-def: $sgpr9
                                        ; implicit-def: $vgpr4
                                        ; implicit-def: $vgpr3
	s_and_saveexec_b32 s11, s12
	s_cbranch_execz .LBB100_23
; %bb.11:
	v_cmp_le_i32_e64 s17, s10, v1
	v_cmp_gt_i32_e64 s2, s10, v1
	s_mov_b32 s16, 0
	s_mov_b32 s12, 0
	s_and_saveexec_b32 s8, s2
	s_cbranch_execz .LBB100_13
; %bb.12:
	s_wait_loadcnt 0x0
	s_wait_kmcnt 0x0
	v_cmp_le_i32_e64 s0, s13, v6
	v_cmp_gt_i32_e64 s1, s4, v6
	s_mov_b32 s12, exec_lo
	s_and_b32 s0, s0, s1
	s_and_not1_b32 s1, s17, exec_lo
	s_and_b32 s0, s14, s0
	s_delay_alu instid0(SALU_CYCLE_1) | instskip(NEXT) | instid1(SALU_CYCLE_1)
	s_and_b32 s0, s0, exec_lo
	s_or_b32 s17, s1, s0
.LBB100_13:
	s_or_b32 exec_lo, exec_lo, s8
                                        ; implicit-def: $sgpr8
                                        ; implicit-def: $sgpr9
                                        ; implicit-def: $vgpr4
                                        ; implicit-def: $vgpr3
	s_and_saveexec_b32 s15, s17
	s_cbranch_execz .LBB100_21
; %bb.14:
	s_wait_loadcnt 0x0
	v_or_b32_e32 v3, 0x200, v0
	s_mov_b32 s17, 0
	s_delay_alu instid0(VALU_DEP_1)
	v_cmp_le_i32_e64 s19, s10, v3
	v_cmp_gt_i32_e64 s8, s10, v3
	s_and_saveexec_b32 s9, s8
	s_cbranch_execz .LBB100_16
; %bb.15:
	s_wait_kmcnt 0x0
	v_cmp_le_i32_e64 s0, s13, v5
	v_cmp_gt_i32_e64 s1, s4, v5
	s_mov_b32 s16, exec_lo
	s_and_b32 s0, s0, s1
	s_and_not1_b32 s1, s19, exec_lo
	s_and_b32 s0, s14, s0
	s_delay_alu instid0(SALU_CYCLE_1) | instskip(NEXT) | instid1(SALU_CYCLE_1)
	s_and_b32 s0, s0, exec_lo
	s_or_b32 s19, s1, s0
.LBB100_16:
	s_or_b32 exec_lo, exec_lo, s9
                                        ; implicit-def: $sgpr9
                                        ; implicit-def: $vgpr4
	s_and_saveexec_b32 s18, s19
	s_cbranch_execz .LBB100_20
; %bb.17:
	v_or_b32_e32 v4, 0x300, v0
	s_mov_b32 s0, 0
	s_delay_alu instid0(VALU_DEP_1) | instskip(SKIP_2) | instid1(SALU_CYCLE_1)
	v_cmp_le_i32_e64 s17, s10, v4
	v_cmp_gt_i32_e64 s9, s10, v4
	s_and_saveexec_b32 s1, s9
	s_xor_b32 s10, exec_lo, s1
	s_cbranch_execz .LBB100_19
; %bb.18:
	s_wait_kmcnt 0x0
	v_cmp_le_i32_e64 s0, s13, v2
	v_cmp_gt_i32_e64 s1, s4, v2
	s_or_b32 s17, s17, exec_lo
	s_and_b32 s0, s0, s1
	s_delay_alu instid0(SALU_CYCLE_1) | instskip(NEXT) | instid1(SALU_CYCLE_1)
	s_and_b32 s0, s14, s0
	s_xor_b32 s0, s0, -1
	s_delay_alu instid0(SALU_CYCLE_1)
	s_and_b32 s0, s0, exec_lo
.LBB100_19:
	s_or_b32 exec_lo, exec_lo, s10
	s_delay_alu instid0(SALU_CYCLE_1)
	s_and_not1_b32 s1, s16, exec_lo
	s_and_b32 s0, s0, exec_lo
	s_and_b32 s17, s17, exec_lo
	s_or_b32 s16, s1, s0
.LBB100_20:
	s_or_b32 exec_lo, exec_lo, s18
	s_delay_alu instid0(SALU_CYCLE_1)
	s_and_not1_b32 s0, s12, exec_lo
	s_and_b32 s1, s16, exec_lo
	s_and_b32 s16, s17, exec_lo
	s_or_b32 s12, s0, s1
.LBB100_21:
	s_or_b32 exec_lo, exec_lo, s15
	s_delay_alu instid0(SALU_CYCLE_1)
	s_and_not1_b32 s1, s5, exec_lo
	s_and_b32 s4, s12, exec_lo
	s_and_b32 s0, s16, exec_lo
	s_or_b32 s5, s1, s4
	s_or_b32 exec_lo, exec_lo, s11
	s_and_saveexec_b32 s1, s5
	s_cbranch_execz .LBB100_24
.LBB100_22:
	s_trap 2
	; divergent unreachable
	s_and_not1_b32 s0, s0, exec_lo
	s_or_b32 exec_lo, exec_lo, s1
	s_and_saveexec_b32 s1, s0
	s_cbranch_execnz .LBB100_25
	s_branch .LBB100_30
.LBB100_23:
	s_or_b32 exec_lo, exec_lo, s11
	s_and_saveexec_b32 s1, s5
	s_cbranch_execnz .LBB100_22
.LBB100_24:
	s_or_b32 exec_lo, exec_lo, s1
	s_and_saveexec_b32 s1, s0
	s_cbranch_execz .LBB100_30
.LBB100_25:
	s_and_b32 exec_lo, exec_lo, vcc_lo
	s_cbranch_execz .LBB100_30
; %bb.26:
	s_wait_loadcnt 0x0
	v_dual_mov_b32 v0, 0 :: v_dual_bitop2_b32 v2, s3, v0 bitop3:0x54
	global_store_b32 v2, v0, s[6:7] scale_offset
	s_wait_xcnt 0x0
	s_and_b32 exec_lo, exec_lo, s2
	s_cbranch_execz .LBB100_30
; %bb.27:
	v_add_nc_u32_e32 v1, s3, v1
	global_store_b32 v1, v0, s[6:7] scale_offset
	s_wait_xcnt 0x0
	s_and_b32 exec_lo, exec_lo, s8
	s_cbranch_execz .LBB100_30
; %bb.28:
	v_dual_mov_b32 v0, 0 :: v_dual_add_nc_u32 v1, s3, v3
	global_store_b32 v1, v0, s[6:7] scale_offset
	s_wait_xcnt 0x0
	s_and_b32 exec_lo, exec_lo, s9
	s_cbranch_execz .LBB100_30
; %bb.29:
	v_add_nc_u32_e32 v1, s3, v4
	global_store_b32 v1, v0, s[6:7] scale_offset
	s_endpgm
.LBB100_30:
	s_endpgm
	.section	.rodata,"a",@progbits
	.p2align	6, 0x0
	.amdhsa_kernel _ZN2at6native27unrolled_elementwise_kernelIZZZNS0_12_GLOBAL__N_142_validate_compressed_sparse_indices_kernelILNS2_8CDimNameE1ENS2_18CUDAKernelLauncherENS2_14EmptyVecKernelENS2_8DummyVecELm0EEEvRKNS_6TensorESA_lllENKUlvE0_clEvENKUlvE_clEvEUliE_St5arrayIPcLm2EELi4E23TrivialOffsetCalculatorILi1EjESI_NS0_6memory15LoadWithoutCastENSJ_16StoreWithoutCastEEEviT_T0_T2_T3_T4_T5_
		.amdhsa_group_segment_fixed_size 0
		.amdhsa_private_segment_fixed_size 0
		.amdhsa_kernarg_size 44
		.amdhsa_user_sgpr_count 2
		.amdhsa_user_sgpr_dispatch_ptr 0
		.amdhsa_user_sgpr_queue_ptr 0
		.amdhsa_user_sgpr_kernarg_segment_ptr 1
		.amdhsa_user_sgpr_dispatch_id 0
		.amdhsa_user_sgpr_kernarg_preload_length 0
		.amdhsa_user_sgpr_kernarg_preload_offset 0
		.amdhsa_user_sgpr_private_segment_size 0
		.amdhsa_wavefront_size32 1
		.amdhsa_uses_dynamic_stack 0
		.amdhsa_enable_private_segment 0
		.amdhsa_system_sgpr_workgroup_id_x 1
		.amdhsa_system_sgpr_workgroup_id_y 0
		.amdhsa_system_sgpr_workgroup_id_z 0
		.amdhsa_system_sgpr_workgroup_info 0
		.amdhsa_system_vgpr_workitem_id 0
		.amdhsa_next_free_vgpr 7
		.amdhsa_next_free_sgpr 20
		.amdhsa_named_barrier_count 0
		.amdhsa_reserve_vcc 1
		.amdhsa_float_round_mode_32 0
		.amdhsa_float_round_mode_16_64 0
		.amdhsa_float_denorm_mode_32 3
		.amdhsa_float_denorm_mode_16_64 3
		.amdhsa_fp16_overflow 0
		.amdhsa_memory_ordered 1
		.amdhsa_forward_progress 1
		.amdhsa_inst_pref_size 8
		.amdhsa_round_robin_scheduling 0
		.amdhsa_exception_fp_ieee_invalid_op 0
		.amdhsa_exception_fp_denorm_src 0
		.amdhsa_exception_fp_ieee_div_zero 0
		.amdhsa_exception_fp_ieee_overflow 0
		.amdhsa_exception_fp_ieee_underflow 0
		.amdhsa_exception_fp_ieee_inexact 0
		.amdhsa_exception_int_div_zero 0
	.end_amdhsa_kernel
	.section	.text._ZN2at6native27unrolled_elementwise_kernelIZZZNS0_12_GLOBAL__N_142_validate_compressed_sparse_indices_kernelILNS2_8CDimNameE1ENS2_18CUDAKernelLauncherENS2_14EmptyVecKernelENS2_8DummyVecELm0EEEvRKNS_6TensorESA_lllENKUlvE0_clEvENKUlvE_clEvEUliE_St5arrayIPcLm2EELi4E23TrivialOffsetCalculatorILi1EjESI_NS0_6memory15LoadWithoutCastENSJ_16StoreWithoutCastEEEviT_T0_T2_T3_T4_T5_,"axG",@progbits,_ZN2at6native27unrolled_elementwise_kernelIZZZNS0_12_GLOBAL__N_142_validate_compressed_sparse_indices_kernelILNS2_8CDimNameE1ENS2_18CUDAKernelLauncherENS2_14EmptyVecKernelENS2_8DummyVecELm0EEEvRKNS_6TensorESA_lllENKUlvE0_clEvENKUlvE_clEvEUliE_St5arrayIPcLm2EELi4E23TrivialOffsetCalculatorILi1EjESI_NS0_6memory15LoadWithoutCastENSJ_16StoreWithoutCastEEEviT_T0_T2_T3_T4_T5_,comdat
.Lfunc_end100:
	.size	_ZN2at6native27unrolled_elementwise_kernelIZZZNS0_12_GLOBAL__N_142_validate_compressed_sparse_indices_kernelILNS2_8CDimNameE1ENS2_18CUDAKernelLauncherENS2_14EmptyVecKernelENS2_8DummyVecELm0EEEvRKNS_6TensorESA_lllENKUlvE0_clEvENKUlvE_clEvEUliE_St5arrayIPcLm2EELi4E23TrivialOffsetCalculatorILi1EjESI_NS0_6memory15LoadWithoutCastENSJ_16StoreWithoutCastEEEviT_T0_T2_T3_T4_T5_, .Lfunc_end100-_ZN2at6native27unrolled_elementwise_kernelIZZZNS0_12_GLOBAL__N_142_validate_compressed_sparse_indices_kernelILNS2_8CDimNameE1ENS2_18CUDAKernelLauncherENS2_14EmptyVecKernelENS2_8DummyVecELm0EEEvRKNS_6TensorESA_lllENKUlvE0_clEvENKUlvE_clEvEUliE_St5arrayIPcLm2EELi4E23TrivialOffsetCalculatorILi1EjESI_NS0_6memory15LoadWithoutCastENSJ_16StoreWithoutCastEEEviT_T0_T2_T3_T4_T5_
                                        ; -- End function
	.set _ZN2at6native27unrolled_elementwise_kernelIZZZNS0_12_GLOBAL__N_142_validate_compressed_sparse_indices_kernelILNS2_8CDimNameE1ENS2_18CUDAKernelLauncherENS2_14EmptyVecKernelENS2_8DummyVecELm0EEEvRKNS_6TensorESA_lllENKUlvE0_clEvENKUlvE_clEvEUliE_St5arrayIPcLm2EELi4E23TrivialOffsetCalculatorILi1EjESI_NS0_6memory15LoadWithoutCastENSJ_16StoreWithoutCastEEEviT_T0_T2_T3_T4_T5_.num_vgpr, 7
	.set _ZN2at6native27unrolled_elementwise_kernelIZZZNS0_12_GLOBAL__N_142_validate_compressed_sparse_indices_kernelILNS2_8CDimNameE1ENS2_18CUDAKernelLauncherENS2_14EmptyVecKernelENS2_8DummyVecELm0EEEvRKNS_6TensorESA_lllENKUlvE0_clEvENKUlvE_clEvEUliE_St5arrayIPcLm2EELi4E23TrivialOffsetCalculatorILi1EjESI_NS0_6memory15LoadWithoutCastENSJ_16StoreWithoutCastEEEviT_T0_T2_T3_T4_T5_.num_agpr, 0
	.set _ZN2at6native27unrolled_elementwise_kernelIZZZNS0_12_GLOBAL__N_142_validate_compressed_sparse_indices_kernelILNS2_8CDimNameE1ENS2_18CUDAKernelLauncherENS2_14EmptyVecKernelENS2_8DummyVecELm0EEEvRKNS_6TensorESA_lllENKUlvE0_clEvENKUlvE_clEvEUliE_St5arrayIPcLm2EELi4E23TrivialOffsetCalculatorILi1EjESI_NS0_6memory15LoadWithoutCastENSJ_16StoreWithoutCastEEEviT_T0_T2_T3_T4_T5_.numbered_sgpr, 20
	.set _ZN2at6native27unrolled_elementwise_kernelIZZZNS0_12_GLOBAL__N_142_validate_compressed_sparse_indices_kernelILNS2_8CDimNameE1ENS2_18CUDAKernelLauncherENS2_14EmptyVecKernelENS2_8DummyVecELm0EEEvRKNS_6TensorESA_lllENKUlvE0_clEvENKUlvE_clEvEUliE_St5arrayIPcLm2EELi4E23TrivialOffsetCalculatorILi1EjESI_NS0_6memory15LoadWithoutCastENSJ_16StoreWithoutCastEEEviT_T0_T2_T3_T4_T5_.num_named_barrier, 0
	.set _ZN2at6native27unrolled_elementwise_kernelIZZZNS0_12_GLOBAL__N_142_validate_compressed_sparse_indices_kernelILNS2_8CDimNameE1ENS2_18CUDAKernelLauncherENS2_14EmptyVecKernelENS2_8DummyVecELm0EEEvRKNS_6TensorESA_lllENKUlvE0_clEvENKUlvE_clEvEUliE_St5arrayIPcLm2EELi4E23TrivialOffsetCalculatorILi1EjESI_NS0_6memory15LoadWithoutCastENSJ_16StoreWithoutCastEEEviT_T0_T2_T3_T4_T5_.private_seg_size, 0
	.set _ZN2at6native27unrolled_elementwise_kernelIZZZNS0_12_GLOBAL__N_142_validate_compressed_sparse_indices_kernelILNS2_8CDimNameE1ENS2_18CUDAKernelLauncherENS2_14EmptyVecKernelENS2_8DummyVecELm0EEEvRKNS_6TensorESA_lllENKUlvE0_clEvENKUlvE_clEvEUliE_St5arrayIPcLm2EELi4E23TrivialOffsetCalculatorILi1EjESI_NS0_6memory15LoadWithoutCastENSJ_16StoreWithoutCastEEEviT_T0_T2_T3_T4_T5_.uses_vcc, 1
	.set _ZN2at6native27unrolled_elementwise_kernelIZZZNS0_12_GLOBAL__N_142_validate_compressed_sparse_indices_kernelILNS2_8CDimNameE1ENS2_18CUDAKernelLauncherENS2_14EmptyVecKernelENS2_8DummyVecELm0EEEvRKNS_6TensorESA_lllENKUlvE0_clEvENKUlvE_clEvEUliE_St5arrayIPcLm2EELi4E23TrivialOffsetCalculatorILi1EjESI_NS0_6memory15LoadWithoutCastENSJ_16StoreWithoutCastEEEviT_T0_T2_T3_T4_T5_.uses_flat_scratch, 0
	.set _ZN2at6native27unrolled_elementwise_kernelIZZZNS0_12_GLOBAL__N_142_validate_compressed_sparse_indices_kernelILNS2_8CDimNameE1ENS2_18CUDAKernelLauncherENS2_14EmptyVecKernelENS2_8DummyVecELm0EEEvRKNS_6TensorESA_lllENKUlvE0_clEvENKUlvE_clEvEUliE_St5arrayIPcLm2EELi4E23TrivialOffsetCalculatorILi1EjESI_NS0_6memory15LoadWithoutCastENSJ_16StoreWithoutCastEEEviT_T0_T2_T3_T4_T5_.has_dyn_sized_stack, 0
	.set _ZN2at6native27unrolled_elementwise_kernelIZZZNS0_12_GLOBAL__N_142_validate_compressed_sparse_indices_kernelILNS2_8CDimNameE1ENS2_18CUDAKernelLauncherENS2_14EmptyVecKernelENS2_8DummyVecELm0EEEvRKNS_6TensorESA_lllENKUlvE0_clEvENKUlvE_clEvEUliE_St5arrayIPcLm2EELi4E23TrivialOffsetCalculatorILi1EjESI_NS0_6memory15LoadWithoutCastENSJ_16StoreWithoutCastEEEviT_T0_T2_T3_T4_T5_.has_recursion, 0
	.set _ZN2at6native27unrolled_elementwise_kernelIZZZNS0_12_GLOBAL__N_142_validate_compressed_sparse_indices_kernelILNS2_8CDimNameE1ENS2_18CUDAKernelLauncherENS2_14EmptyVecKernelENS2_8DummyVecELm0EEEvRKNS_6TensorESA_lllENKUlvE0_clEvENKUlvE_clEvEUliE_St5arrayIPcLm2EELi4E23TrivialOffsetCalculatorILi1EjESI_NS0_6memory15LoadWithoutCastENSJ_16StoreWithoutCastEEEviT_T0_T2_T3_T4_T5_.has_indirect_call, 0
	.section	.AMDGPU.csdata,"",@progbits
; Kernel info:
; codeLenInByte = 1004
; TotalNumSgprs: 22
; NumVgprs: 7
; ScratchSize: 0
; MemoryBound: 0
; FloatMode: 240
; IeeeMode: 1
; LDSByteSize: 0 bytes/workgroup (compile time only)
; SGPRBlocks: 0
; VGPRBlocks: 0
; NumSGPRsForWavesPerEU: 22
; NumVGPRsForWavesPerEU: 7
; NamedBarCnt: 0
; Occupancy: 16
; WaveLimiterHint : 0
; COMPUTE_PGM_RSRC2:SCRATCH_EN: 0
; COMPUTE_PGM_RSRC2:USER_SGPR: 2
; COMPUTE_PGM_RSRC2:TRAP_HANDLER: 0
; COMPUTE_PGM_RSRC2:TGID_X_EN: 1
; COMPUTE_PGM_RSRC2:TGID_Y_EN: 0
; COMPUTE_PGM_RSRC2:TGID_Z_EN: 0
; COMPUTE_PGM_RSRC2:TIDIG_COMP_CNT: 0
	.section	.text._ZN2at6native32elementwise_kernel_manual_unrollILi128ELi4EZNS0_22gpu_kernel_impl_nocastIZZZNS0_12_GLOBAL__N_142_validate_compressed_sparse_indices_kernelILNS3_8CDimNameE1ENS3_18CUDAKernelLauncherENS3_14EmptyVecKernelENS3_8DummyVecELm0EEEvRKNS_6TensorESB_lllENKUlvE0_clEvENKUlvE_clEvEUliE_EEvRNS_18TensorIteratorBaseERKT_EUlibE_EEviT1_,"axG",@progbits,_ZN2at6native32elementwise_kernel_manual_unrollILi128ELi4EZNS0_22gpu_kernel_impl_nocastIZZZNS0_12_GLOBAL__N_142_validate_compressed_sparse_indices_kernelILNS3_8CDimNameE1ENS3_18CUDAKernelLauncherENS3_14EmptyVecKernelENS3_8DummyVecELm0EEEvRKNS_6TensorESB_lllENKUlvE0_clEvENKUlvE_clEvEUliE_EEvRNS_18TensorIteratorBaseERKT_EUlibE_EEviT1_,comdat
	.globl	_ZN2at6native32elementwise_kernel_manual_unrollILi128ELi4EZNS0_22gpu_kernel_impl_nocastIZZZNS0_12_GLOBAL__N_142_validate_compressed_sparse_indices_kernelILNS3_8CDimNameE1ENS3_18CUDAKernelLauncherENS3_14EmptyVecKernelENS3_8DummyVecELm0EEEvRKNS_6TensorESB_lllENKUlvE0_clEvENKUlvE_clEvEUliE_EEvRNS_18TensorIteratorBaseERKT_EUlibE_EEviT1_ ; -- Begin function _ZN2at6native32elementwise_kernel_manual_unrollILi128ELi4EZNS0_22gpu_kernel_impl_nocastIZZZNS0_12_GLOBAL__N_142_validate_compressed_sparse_indices_kernelILNS3_8CDimNameE1ENS3_18CUDAKernelLauncherENS3_14EmptyVecKernelENS3_8DummyVecELm0EEEvRKNS_6TensorESB_lllENKUlvE0_clEvENKUlvE_clEvEUliE_EEvRNS_18TensorIteratorBaseERKT_EUlibE_EEviT1_
	.p2align	8
	.type	_ZN2at6native32elementwise_kernel_manual_unrollILi128ELi4EZNS0_22gpu_kernel_impl_nocastIZZZNS0_12_GLOBAL__N_142_validate_compressed_sparse_indices_kernelILNS3_8CDimNameE1ENS3_18CUDAKernelLauncherENS3_14EmptyVecKernelENS3_8DummyVecELm0EEEvRKNS_6TensorESB_lllENKUlvE0_clEvENKUlvE_clEvEUliE_EEvRNS_18TensorIteratorBaseERKT_EUlibE_EEviT1_,@function
_ZN2at6native32elementwise_kernel_manual_unrollILi128ELi4EZNS0_22gpu_kernel_impl_nocastIZZZNS0_12_GLOBAL__N_142_validate_compressed_sparse_indices_kernelILNS3_8CDimNameE1ENS3_18CUDAKernelLauncherENS3_14EmptyVecKernelENS3_8DummyVecELm0EEEvRKNS_6TensorESB_lllENKUlvE0_clEvENKUlvE_clEvEUliE_EEvRNS_18TensorIteratorBaseERKT_EUlibE_EEviT1_: ; @_ZN2at6native32elementwise_kernel_manual_unrollILi128ELi4EZNS0_22gpu_kernel_impl_nocastIZZZNS0_12_GLOBAL__N_142_validate_compressed_sparse_indices_kernelILNS3_8CDimNameE1ENS3_18CUDAKernelLauncherENS3_14EmptyVecKernelENS3_8DummyVecELm0EEEvRKNS_6TensorESB_lllENKUlvE0_clEvENKUlvE_clEvEUliE_EEvRNS_18TensorIteratorBaseERKT_EUlibE_EEviT1_
; %bb.0:
	s_clause 0x1
	s_load_b32 s30, s[0:1], 0x8
	s_load_b32 s40, s[0:1], 0x0
	s_bfe_u32 s2, ttmp6, 0x4000c
	s_and_b32 s3, ttmp6, 15
	s_add_co_i32 s2, s2, 1
	s_getreg_b32 s4, hwreg(HW_REG_IB_STS2, 6, 4)
	s_mul_i32 s2, ttmp9, s2
	s_mov_b32 s33, 0
	s_add_co_i32 s3, s3, s2
	s_cmp_eq_u32 s4, 0
	s_mov_b32 s24, -1
	s_cselect_b32 s2, ttmp9, s3
	s_add_nc_u64 s[16:17], s[0:1], 8
	v_lshl_or_b32 v0, s2, 9, v0
	s_mov_b32 s10, 0
	s_get_pc_i64 s[2:3]
	s_add_nc_u64 s[2:3], s[2:3], .str.5@rel64+4
	s_wait_xcnt 0x0
	s_mov_b32 s0, exec_lo
	v_or_b32_e32 v1, 0x180, v0
	s_wait_kmcnt 0x0
	s_add_co_i32 s31, s30, -1
	s_delay_alu instid0(SALU_CYCLE_1)
	s_cmp_gt_u32 s31, 1
	s_cselect_b32 s34, -1, 0
	v_cmpx_le_i32_e64 s40, v1
	s_xor_b32 s35, exec_lo, s0
	s_cbranch_execz .LBB101_31
; %bb.1:
	s_clause 0x5
	s_load_b128 s[8:11], s[16:17], 0x4
	s_load_b64 s[0:1], s[16:17], 0x14
	s_load_b32 s36, s[16:17], 0x158
	s_load_b32 s37, s[16:17], 0x160
	s_load_b128 s[12:15], s[16:17], 0xc4
	s_load_b128 s[4:7], s[16:17], 0x148
	s_cmp_lg_u32 s30, 0
	s_mov_b32 s19, 0
	s_cselect_b32 s42, -1, 0
	s_min_u32 s41, s31, 15
	s_cmp_gt_u32 s30, 1
	s_add_nc_u64 s[22:23], s[16:17], 0xc4
	s_cselect_b32 s39, -1, 0
	s_cmp_lg_u64 s[2:3], 0
	s_mov_b32 s21, s19
	s_cselect_b32 s38, -1, 0
	s_mov_b32 s43, exec_lo
	s_wait_kmcnt 0x0
	s_mov_b32 s18, s9
	s_mov_b32 s20, s0
	s_mov_b32 s9, s19
	v_cmpx_gt_i32_e64 s40, v0
	s_cbranch_execz .LBB101_7
; %bb.2:
	s_and_not1_b32 vcc_lo, exec_lo, s34
	s_cbranch_vccnz .LBB101_14
; %bb.3:
	s_and_not1_b32 vcc_lo, exec_lo, s42
	s_cbranch_vccnz .LBB101_16
; %bb.4:
	s_add_co_i32 s0, s41, 1
	s_cmp_eq_u32 s31, 2
	s_cbranch_scc1 .LBB101_17
; %bb.5:
	v_dual_mov_b32 v2, 0 :: v_dual_mov_b32 v3, 0
	v_mov_b32_e32 v1, v0
	s_and_b32 s24, s0, 28
	s_mov_b32 s9, 0
	s_mov_b64 s[26:27], s[16:17]
	s_mov_b64 s[28:29], s[22:23]
.LBB101_6:                              ; =>This Inner Loop Header: Depth=1
	s_clause 0x1
	s_load_b256 s[44:51], s[26:27], 0x4
	s_load_b128 s[60:63], s[26:27], 0x24
	s_load_b256 s[52:59], s[28:29], 0x0
	s_add_co_i32 s9, s9, 4
	s_wait_xcnt 0x0
	s_add_nc_u64 s[26:27], s[26:27], 48
	s_cmp_lg_u32 s24, s9
	s_add_nc_u64 s[28:29], s[28:29], 32
	s_wait_kmcnt 0x0
	v_mul_hi_u32 v4, s45, v1
	s_delay_alu instid0(VALU_DEP_1) | instskip(NEXT) | instid1(VALU_DEP_1)
	v_add_nc_u32_e32 v4, v1, v4
	v_lshrrev_b32_e32 v4, s46, v4
	s_delay_alu instid0(VALU_DEP_1) | instskip(NEXT) | instid1(VALU_DEP_1)
	v_mul_hi_u32 v5, s48, v4
	v_add_nc_u32_e32 v5, v4, v5
	s_delay_alu instid0(VALU_DEP_1) | instskip(NEXT) | instid1(VALU_DEP_1)
	v_lshrrev_b32_e32 v5, s49, v5
	v_mul_hi_u32 v6, s51, v5
	s_delay_alu instid0(VALU_DEP_1) | instskip(SKIP_1) | instid1(VALU_DEP_1)
	v_add_nc_u32_e32 v6, v5, v6
	v_mul_lo_u32 v7, v4, s44
	v_sub_nc_u32_e32 v1, v1, v7
	v_mul_lo_u32 v7, v5, s47
	s_delay_alu instid0(VALU_DEP_4) | instskip(NEXT) | instid1(VALU_DEP_3)
	v_lshrrev_b32_e32 v6, s60, v6
	v_mad_u32 v3, v1, s53, v3
	v_mad_u32 v1, v1, s52, v2
	s_delay_alu instid0(VALU_DEP_4) | instskip(NEXT) | instid1(VALU_DEP_4)
	v_sub_nc_u32_e32 v2, v4, v7
	v_mul_hi_u32 v8, s62, v6
	v_mul_lo_u32 v4, v6, s50
	s_delay_alu instid0(VALU_DEP_3) | instskip(SKIP_1) | instid1(VALU_DEP_4)
	v_mad_u32 v3, v2, s55, v3
	v_mad_u32 v2, v2, s54, v1
	v_add_nc_u32_e32 v7, v6, v8
	s_delay_alu instid0(VALU_DEP_1) | instskip(NEXT) | instid1(VALU_DEP_1)
	v_dual_sub_nc_u32 v4, v5, v4 :: v_dual_lshrrev_b32 v1, s63, v7
	v_mad_u32 v3, v4, s57, v3
	s_delay_alu instid0(VALU_DEP_4) | instskip(NEXT) | instid1(VALU_DEP_3)
	v_mad_u32 v2, v4, s56, v2
	v_mul_lo_u32 v5, v1, s61
	s_delay_alu instid0(VALU_DEP_1) | instskip(NEXT) | instid1(VALU_DEP_1)
	v_sub_nc_u32_e32 v4, v6, v5
	v_mad_u32 v3, v4, s59, v3
	s_delay_alu instid0(VALU_DEP_4)
	v_mad_u32 v2, v4, s58, v2
	s_cbranch_scc1 .LBB101_6
	s_branch .LBB101_18
.LBB101_7:
	s_or_b32 exec_lo, exec_lo, s43
                                        ; implicit-def: $vgpr2
	s_and_saveexec_b32 s43, s24
	s_cbranch_execz .LBB101_27
.LBB101_8:
	s_mov_b32 s0, -1
	s_mov_b32 s44, s9
	s_mov_b32 s45, exec_lo
	v_cmpx_gt_i32_e64 s40, v0
	s_cbranch_execz .LBB101_115
; %bb.9:
	s_and_not1_b32 vcc_lo, exec_lo, s34
	s_cbranch_vccnz .LBB101_15
; %bb.10:
	s_and_not1_b32 vcc_lo, exec_lo, s42
	s_cbranch_vccnz .LBB101_104
; %bb.11:
	s_add_co_i32 s0, s41, 1
	s_cmp_eq_u32 s31, 2
	s_cbranch_scc1 .LBB101_105
; %bb.12:
	v_dual_mov_b32 v2, 0 :: v_dual_mov_b32 v3, 0
	v_mov_b32_e32 v1, v0
	s_and_b32 s24, s0, 28
	s_mov_b32 s25, 0
	s_mov_b64 s[26:27], s[16:17]
	s_mov_b64 s[28:29], s[22:23]
.LBB101_13:                             ; =>This Inner Loop Header: Depth=1
	s_clause 0x1
	s_load_b256 s[48:55], s[26:27], 0x4
	s_load_b128 s[64:67], s[26:27], 0x24
	s_load_b256 s[56:63], s[28:29], 0x0
	s_add_co_i32 s25, s25, 4
	s_wait_xcnt 0x0
	s_add_nc_u64 s[26:27], s[26:27], 48
	s_cmp_eq_u32 s24, s25
	s_add_nc_u64 s[28:29], s[28:29], 32
	s_wait_kmcnt 0x0
	v_mul_hi_u32 v4, s49, v1
	s_delay_alu instid0(VALU_DEP_1) | instskip(NEXT) | instid1(VALU_DEP_1)
	v_add_nc_u32_e32 v4, v1, v4
	v_lshrrev_b32_e32 v4, s50, v4
	s_delay_alu instid0(VALU_DEP_1) | instskip(NEXT) | instid1(VALU_DEP_1)
	v_mul_hi_u32 v5, s52, v4
	v_add_nc_u32_e32 v5, v4, v5
	s_delay_alu instid0(VALU_DEP_1) | instskip(NEXT) | instid1(VALU_DEP_1)
	v_lshrrev_b32_e32 v5, s53, v5
	v_mul_hi_u32 v6, s55, v5
	s_delay_alu instid0(VALU_DEP_1) | instskip(SKIP_1) | instid1(VALU_DEP_1)
	v_add_nc_u32_e32 v6, v5, v6
	v_mul_lo_u32 v7, v4, s48
	v_sub_nc_u32_e32 v1, v1, v7
	v_mul_lo_u32 v7, v5, s51
	s_delay_alu instid0(VALU_DEP_4) | instskip(NEXT) | instid1(VALU_DEP_3)
	v_lshrrev_b32_e32 v6, s64, v6
	v_mad_u32 v3, v1, s57, v3
	v_mad_u32 v1, v1, s56, v2
	s_delay_alu instid0(VALU_DEP_4) | instskip(NEXT) | instid1(VALU_DEP_4)
	v_sub_nc_u32_e32 v2, v4, v7
	v_mul_hi_u32 v8, s66, v6
	v_mul_lo_u32 v4, v6, s54
	s_delay_alu instid0(VALU_DEP_3) | instskip(SKIP_1) | instid1(VALU_DEP_4)
	v_mad_u32 v3, v2, s59, v3
	v_mad_u32 v2, v2, s58, v1
	v_add_nc_u32_e32 v7, v6, v8
	s_delay_alu instid0(VALU_DEP_1) | instskip(NEXT) | instid1(VALU_DEP_1)
	v_dual_sub_nc_u32 v4, v5, v4 :: v_dual_lshrrev_b32 v1, s67, v7
	v_mad_u32 v3, v4, s61, v3
	s_delay_alu instid0(VALU_DEP_4) | instskip(NEXT) | instid1(VALU_DEP_3)
	v_mad_u32 v2, v4, s60, v2
	v_mul_lo_u32 v5, v1, s65
	s_delay_alu instid0(VALU_DEP_1) | instskip(NEXT) | instid1(VALU_DEP_1)
	v_sub_nc_u32_e32 v4, v6, v5
	v_mad_u32 v3, v4, s63, v3
	s_delay_alu instid0(VALU_DEP_4)
	v_mad_u32 v2, v4, s62, v2
	s_cbranch_scc0 .LBB101_13
	s_branch .LBB101_106
.LBB101_14:
                                        ; implicit-def: $vgpr3
	s_branch .LBB101_22
.LBB101_15:
                                        ; implicit-def: $vgpr3
	s_and_not1_b32 vcc_lo, exec_lo, s0
	s_cbranch_vccz .LBB101_110
	s_branch .LBB101_112
.LBB101_16:
	v_dual_mov_b32 v3, 0 :: v_dual_mov_b32 v2, 0
	s_branch .LBB101_21
.LBB101_17:
	v_mov_b64_e32 v[2:3], 0
	v_mov_b32_e32 v1, v0
	s_mov_b32 s24, 0
.LBB101_18:
	s_and_b32 s0, s0, 3
	s_mov_b32 s25, 0
	s_cmp_eq_u32 s0, 0
	s_cbranch_scc1 .LBB101_21
; %bb.19:
	s_lshl_b32 s26, s24, 3
	s_mov_b32 s27, s25
	s_mul_u64 s[28:29], s[24:25], 12
	s_add_nc_u64 s[26:27], s[16:17], s[26:27]
	s_delay_alu instid0(SALU_CYCLE_1)
	s_add_nc_u64 s[24:25], s[26:27], 0xc4
	s_add_nc_u64 s[26:27], s[16:17], s[28:29]
.LBB101_20:                             ; =>This Inner Loop Header: Depth=1
	s_load_b96 s[44:46], s[26:27], 0x4
	s_load_b64 s[28:29], s[24:25], 0x0
	s_add_co_i32 s0, s0, -1
	s_wait_xcnt 0x0
	s_add_nc_u64 s[26:27], s[26:27], 12
	s_cmp_lg_u32 s0, 0
	s_add_nc_u64 s[24:25], s[24:25], 8
	s_wait_kmcnt 0x0
	v_mul_hi_u32 v4, s45, v1
	s_delay_alu instid0(VALU_DEP_1) | instskip(NEXT) | instid1(VALU_DEP_1)
	v_add_nc_u32_e32 v4, v1, v4
	v_lshrrev_b32_e32 v4, s46, v4
	s_delay_alu instid0(VALU_DEP_1) | instskip(NEXT) | instid1(VALU_DEP_1)
	v_mul_lo_u32 v5, v4, s44
	v_sub_nc_u32_e32 v1, v1, v5
	s_delay_alu instid0(VALU_DEP_1)
	v_mad_u32 v3, v1, s29, v3
	v_mad_u32 v2, v1, s28, v2
	v_mov_b32_e32 v1, v4
	s_cbranch_scc1 .LBB101_20
.LBB101_21:
	s_cbranch_execnz .LBB101_24
.LBB101_22:
	v_mov_b32_e32 v1, 0
	s_and_not1_b32 vcc_lo, exec_lo, s39
	s_delay_alu instid0(VALU_DEP_1) | instskip(NEXT) | instid1(VALU_DEP_1)
	v_mul_u64_e32 v[2:3], s[18:19], v[0:1]
	v_add_nc_u32_e32 v2, v0, v3
	s_delay_alu instid0(VALU_DEP_1) | instskip(NEXT) | instid1(VALU_DEP_1)
	v_lshrrev_b32_e32 v4, s10, v2
	v_mul_lo_u32 v2, v4, s8
	s_delay_alu instid0(VALU_DEP_1) | instskip(NEXT) | instid1(VALU_DEP_1)
	v_sub_nc_u32_e32 v2, v0, v2
	v_mul_lo_u32 v3, v2, s13
	v_mul_lo_u32 v2, v2, s12
	s_cbranch_vccnz .LBB101_24
; %bb.23:
	v_mov_b32_e32 v5, v1
	s_delay_alu instid0(VALU_DEP_1) | instskip(NEXT) | instid1(VALU_DEP_1)
	v_mul_u64_e32 v[6:7], s[20:21], v[4:5]
	v_add_nc_u32_e32 v1, v4, v7
	s_delay_alu instid0(VALU_DEP_1) | instskip(NEXT) | instid1(VALU_DEP_1)
	v_lshrrev_b32_e32 v1, s1, v1
	v_mul_lo_u32 v1, v1, s11
	s_delay_alu instid0(VALU_DEP_1) | instskip(NEXT) | instid1(VALU_DEP_1)
	v_sub_nc_u32_e32 v1, v4, v1
	v_mad_u32 v2, v1, s14, v2
	v_mad_u32 v3, v1, s15, v3
.LBB101_24:
	global_load_b32 v1, v3, s[6:7]
	s_wait_loadcnt 0x0
	v_cmp_le_i32_e32 vcc_lo, s36, v1
	v_cmp_gt_i32_e64 s0, s37, v1
	s_and_b32 s9, vcc_lo, s0
	s_mov_b32 s0, 0
	s_and_b32 s25, s38, s9
	s_mov_b32 s9, -1
	s_and_saveexec_b32 s24, s25
; %bb.25:
	v_dual_mov_b32 v1, 0 :: v_dual_add_nc_u32 v0, 0x80, v0
	s_mov_b32 s0, exec_lo
	s_xor_b32 s9, exec_lo, -1
	global_store_b32 v2, v1, s[4:5]
; %bb.26:
	s_wait_xcnt 0x0
	s_or_b32 exec_lo, exec_lo, s24
	s_delay_alu instid0(SALU_CYCLE_1)
	s_and_b32 s9, s9, exec_lo
	s_or_not1_b32 s24, s0, exec_lo
	s_or_b32 exec_lo, exec_lo, s43
                                        ; implicit-def: $vgpr2
	s_and_saveexec_b32 s43, s24
	s_cbranch_execnz .LBB101_8
.LBB101_27:
	s_or_b32 exec_lo, exec_lo, s43
	s_mov_b32 s0, 0
	s_and_saveexec_b32 s1, s9
	s_cbranch_execnz .LBB101_156
.LBB101_28:
	s_or_b32 exec_lo, exec_lo, s1
	s_and_saveexec_b32 s1, s19
	s_delay_alu instid0(SALU_CYCLE_1)
	s_xor_b32 s1, exec_lo, s1
	s_cbranch_execz .LBB101_30
.LBB101_29:
	v_mov_b32_e32 v0, 0
	global_store_b32 v2, v0, s[4:5]
.LBB101_30:
	s_wait_xcnt 0x0
	s_or_b32 exec_lo, exec_lo, s1
	s_delay_alu instid0(SALU_CYCLE_1)
	s_and_b32 s10, s0, exec_lo
                                        ; implicit-def: $vgpr1
                                        ; implicit-def: $vgpr0
.LBB101_31:
	s_or_saveexec_b32 s11, s35
                                        ; implicit-def: $sgpr4_sgpr5_sgpr6_sgpr7
                                        ; implicit-def: $vgpr8
                                        ; implicit-def: $vgpr6
                                        ; implicit-def: $vgpr4
                                        ; implicit-def: $vgpr2
	s_delay_alu instid0(SALU_CYCLE_1)
	s_xor_b32 exec_lo, exec_lo, s11
	s_cbranch_execz .LBB101_38
; %bb.32:
	v_cndmask_b32_e64 v8, 0, 1, s34
	s_and_not1_b32 vcc_lo, exec_lo, s34
	s_cbranch_vccnz .LBB101_41
; %bb.33:
	s_cmp_lg_u32 s30, 0
	s_mov_b32 s8, 0
	s_cbranch_scc0 .LBB101_42
; %bb.34:
	s_min_u32 s1, s31, 15
	s_delay_alu instid0(SALU_CYCLE_1)
	s_add_co_i32 s1, s1, 1
	s_cmp_eq_u32 s31, 2
	s_cbranch_scc1 .LBB101_43
; %bb.35:
	v_dual_mov_b32 v2, 0 :: v_dual_mov_b32 v3, 0
	v_mov_b32_e32 v4, v0
	s_and_b32 s0, s1, 28
	s_add_nc_u64 s[4:5], s[16:17], 0xc4
	s_mov_b32 s9, 0
	s_mov_b64 s[6:7], s[16:17]
.LBB101_36:                             ; =>This Inner Loop Header: Depth=1
	s_clause 0x1
	s_load_b256 s[20:27], s[6:7], 0x4
	s_load_b128 s[12:15], s[6:7], 0x24
	s_load_b256 s[36:43], s[4:5], 0x0
	s_add_co_i32 s9, s9, 4
	s_wait_xcnt 0x0
	s_add_nc_u64 s[6:7], s[6:7], 48
	s_cmp_lg_u32 s0, s9
	s_add_nc_u64 s[4:5], s[4:5], 32
	s_wait_kmcnt 0x0
	v_mul_hi_u32 v5, s21, v4
	s_delay_alu instid0(VALU_DEP_1) | instskip(NEXT) | instid1(VALU_DEP_1)
	v_add_nc_u32_e32 v5, v4, v5
	v_lshrrev_b32_e32 v5, s22, v5
	s_delay_alu instid0(VALU_DEP_1) | instskip(NEXT) | instid1(VALU_DEP_1)
	v_mul_hi_u32 v6, s24, v5
	v_add_nc_u32_e32 v6, v5, v6
	s_delay_alu instid0(VALU_DEP_1) | instskip(NEXT) | instid1(VALU_DEP_1)
	v_lshrrev_b32_e32 v6, s25, v6
	v_mul_hi_u32 v7, s27, v6
	s_delay_alu instid0(VALU_DEP_1) | instskip(SKIP_1) | instid1(VALU_DEP_1)
	v_add_nc_u32_e32 v7, v6, v7
	v_mul_lo_u32 v9, v5, s20
	v_sub_nc_u32_e32 v4, v4, v9
	v_mul_lo_u32 v9, v6, s23
	s_delay_alu instid0(VALU_DEP_4) | instskip(NEXT) | instid1(VALU_DEP_3)
	v_lshrrev_b32_e32 v7, s12, v7
	v_mad_u32 v3, v4, s37, v3
	v_mad_u32 v2, v4, s36, v2
	s_delay_alu instid0(VALU_DEP_4) | instskip(NEXT) | instid1(VALU_DEP_4)
	v_sub_nc_u32_e32 v4, v5, v9
	v_mul_hi_u32 v10, s14, v7
	v_mul_lo_u32 v5, v7, s26
	s_delay_alu instid0(VALU_DEP_3) | instskip(SKIP_1) | instid1(VALU_DEP_3)
	v_mad_u32 v3, v4, s39, v3
	v_mad_u32 v2, v4, s38, v2
	v_dual_add_nc_u32 v9, v7, v10 :: v_dual_sub_nc_u32 v5, v6, v5
	s_delay_alu instid0(VALU_DEP_1) | instskip(NEXT) | instid1(VALU_DEP_2)
	v_lshrrev_b32_e32 v4, s15, v9
	v_mad_u32 v3, v5, s41, v3
	s_delay_alu instid0(VALU_DEP_4) | instskip(NEXT) | instid1(VALU_DEP_3)
	v_mad_u32 v2, v5, s40, v2
	v_mul_lo_u32 v6, v4, s13
	s_delay_alu instid0(VALU_DEP_1) | instskip(NEXT) | instid1(VALU_DEP_1)
	v_sub_nc_u32_e32 v5, v7, v6
	v_mad_u32 v3, v5, s43, v3
	s_delay_alu instid0(VALU_DEP_4)
	v_mad_u32 v2, v5, s42, v2
	s_cbranch_scc1 .LBB101_36
; %bb.37:
	s_and_b32 s6, s1, 3
	s_mov_b32 s1, 0
	s_cmp_eq_u32 s6, 0
	s_cbranch_scc0 .LBB101_44
	s_branch .LBB101_46
.LBB101_38:
	s_or_b32 exec_lo, exec_lo, s11
	s_and_saveexec_b32 s0, s10
	s_cbranch_execz .LBB101_102
.LBB101_39:
	; divergent unreachable
	s_or_b32 exec_lo, exec_lo, s0
	s_and_saveexec_b32 s0, s33
	s_cbranch_execnz .LBB101_103
.LBB101_40:
	s_endpgm
.LBB101_41:
	s_mov_b32 s8, -1
                                        ; implicit-def: $vgpr3
	s_branch .LBB101_46
.LBB101_42:
	v_dual_mov_b32 v3, 0 :: v_dual_mov_b32 v2, 0
	s_branch .LBB101_46
.LBB101_43:
	v_mov_b64_e32 v[2:3], 0
	v_mov_b32_e32 v4, v0
	s_mov_b32 s0, 0
	s_and_b32 s6, s1, 3
	s_mov_b32 s1, 0
	s_cmp_eq_u32 s6, 0
	s_cbranch_scc1 .LBB101_46
.LBB101_44:
	s_lshl_b32 s4, s0, 3
	s_mov_b32 s5, s1
	s_mul_u64 s[12:13], s[0:1], 12
	s_add_nc_u64 s[4:5], s[16:17], s[4:5]
	s_delay_alu instid0(SALU_CYCLE_1)
	s_add_nc_u64 s[0:1], s[4:5], 0xc4
	s_add_nc_u64 s[4:5], s[16:17], s[12:13]
.LBB101_45:                             ; =>This Inner Loop Header: Depth=1
	s_load_b96 s[12:14], s[4:5], 0x4
	s_add_co_i32 s6, s6, -1
	s_wait_xcnt 0x0
	s_add_nc_u64 s[4:5], s[4:5], 12
	s_cmp_lg_u32 s6, 0
	s_wait_kmcnt 0x0
	v_mul_hi_u32 v5, s13, v4
	s_delay_alu instid0(VALU_DEP_1) | instskip(NEXT) | instid1(VALU_DEP_1)
	v_add_nc_u32_e32 v5, v4, v5
	v_lshrrev_b32_e32 v5, s14, v5
	s_load_b64 s[14:15], s[0:1], 0x0
	s_wait_xcnt 0x0
	s_add_nc_u64 s[0:1], s[0:1], 8
	s_delay_alu instid0(VALU_DEP_1) | instskip(NEXT) | instid1(VALU_DEP_1)
	v_mul_lo_u32 v6, v5, s12
	v_sub_nc_u32_e32 v4, v4, v6
	s_wait_kmcnt 0x0
	s_delay_alu instid0(VALU_DEP_1)
	v_mad_u32 v3, v4, s15, v3
	v_mad_u32 v2, v4, s14, v2
	v_mov_b32_e32 v4, v5
	s_cbranch_scc1 .LBB101_45
.LBB101_46:
	s_and_not1_b32 vcc_lo, exec_lo, s8
	s_cbranch_vccnz .LBB101_49
; %bb.47:
	s_clause 0x1
	s_load_b96 s[4:6], s[16:17], 0x4
	s_load_b64 s[0:1], s[16:17], 0xc4
	s_cmp_lt_u32 s30, 2
	s_wait_kmcnt 0x0
	v_mul_hi_u32 v2, s5, v0
	s_delay_alu instid0(VALU_DEP_1) | instskip(NEXT) | instid1(VALU_DEP_1)
	v_add_nc_u32_e32 v2, v0, v2
	v_lshrrev_b32_e32 v4, s6, v2
	s_delay_alu instid0(VALU_DEP_1) | instskip(NEXT) | instid1(VALU_DEP_1)
	v_mul_lo_u32 v2, v4, s4
	v_sub_nc_u32_e32 v2, v0, v2
	s_delay_alu instid0(VALU_DEP_1)
	v_mul_lo_u32 v3, v2, s1
	v_mul_lo_u32 v2, v2, s0
	s_cbranch_scc1 .LBB101_49
; %bb.48:
	s_clause 0x1
	s_load_b96 s[4:6], s[16:17], 0x10
	s_load_b64 s[0:1], s[16:17], 0xcc
	s_wait_kmcnt 0x0
	v_mul_hi_u32 v5, s5, v4
	s_delay_alu instid0(VALU_DEP_1) | instskip(NEXT) | instid1(VALU_DEP_1)
	v_add_nc_u32_e32 v5, v4, v5
	v_lshrrev_b32_e32 v5, s6, v5
	s_delay_alu instid0(VALU_DEP_1) | instskip(NEXT) | instid1(VALU_DEP_1)
	v_mul_lo_u32 v5, v5, s4
	v_sub_nc_u32_e32 v4, v4, v5
	s_delay_alu instid0(VALU_DEP_1)
	v_mad_u32 v2, v4, s0, v2
	v_mad_u32 v3, v4, s1, v3
.LBB101_49:
	v_cmp_ne_u32_e32 vcc_lo, 1, v8
	v_add_nc_u32_e32 v6, 0x80, v0
	s_cbranch_vccnz .LBB101_55
; %bb.50:
	s_cmp_lg_u32 s30, 0
	s_mov_b32 s8, 0
	s_cbranch_scc0 .LBB101_56
; %bb.51:
	s_min_u32 s1, s31, 15
	s_delay_alu instid0(SALU_CYCLE_1)
	s_add_co_i32 s1, s1, 1
	s_cmp_eq_u32 s31, 2
	s_cbranch_scc1 .LBB101_57
; %bb.52:
	v_dual_mov_b32 v4, 0 :: v_dual_mov_b32 v5, 0
	v_mov_b32_e32 v7, v6
	s_and_b32 s0, s1, 28
	s_add_nc_u64 s[4:5], s[16:17], 0xc4
	s_mov_b32 s9, 0
	s_mov_b64 s[6:7], s[16:17]
.LBB101_53:                             ; =>This Inner Loop Header: Depth=1
	s_clause 0x1
	s_load_b256 s[20:27], s[6:7], 0x4
	s_load_b128 s[12:15], s[6:7], 0x24
	s_load_b256 s[36:43], s[4:5], 0x0
	s_add_co_i32 s9, s9, 4
	s_wait_xcnt 0x0
	s_add_nc_u64 s[6:7], s[6:7], 48
	s_cmp_lg_u32 s0, s9
	s_add_nc_u64 s[4:5], s[4:5], 32
	s_wait_kmcnt 0x0
	v_mul_hi_u32 v9, s21, v7
	s_delay_alu instid0(VALU_DEP_1) | instskip(NEXT) | instid1(VALU_DEP_1)
	v_add_nc_u32_e32 v9, v7, v9
	v_lshrrev_b32_e32 v9, s22, v9
	s_delay_alu instid0(VALU_DEP_1) | instskip(NEXT) | instid1(VALU_DEP_1)
	v_mul_hi_u32 v10, s24, v9
	v_add_nc_u32_e32 v10, v9, v10
	s_delay_alu instid0(VALU_DEP_1) | instskip(NEXT) | instid1(VALU_DEP_1)
	v_lshrrev_b32_e32 v10, s25, v10
	v_mul_hi_u32 v11, s27, v10
	s_delay_alu instid0(VALU_DEP_1) | instskip(SKIP_1) | instid1(VALU_DEP_1)
	v_add_nc_u32_e32 v11, v10, v11
	v_mul_lo_u32 v12, v9, s20
	v_sub_nc_u32_e32 v7, v7, v12
	v_mul_lo_u32 v12, v10, s23
	s_delay_alu instid0(VALU_DEP_4) | instskip(NEXT) | instid1(VALU_DEP_3)
	v_lshrrev_b32_e32 v11, s12, v11
	v_mad_u32 v5, v7, s37, v5
	v_mad_u32 v4, v7, s36, v4
	s_delay_alu instid0(VALU_DEP_4) | instskip(NEXT) | instid1(VALU_DEP_4)
	v_sub_nc_u32_e32 v7, v9, v12
	v_mul_hi_u32 v13, s14, v11
	v_mul_lo_u32 v9, v11, s26
	s_delay_alu instid0(VALU_DEP_3) | instskip(SKIP_1) | instid1(VALU_DEP_4)
	v_mad_u32 v5, v7, s39, v5
	v_mad_u32 v4, v7, s38, v4
	v_add_nc_u32_e32 v12, v11, v13
	s_delay_alu instid0(VALU_DEP_1) | instskip(NEXT) | instid1(VALU_DEP_1)
	v_dual_sub_nc_u32 v9, v10, v9 :: v_dual_lshrrev_b32 v7, s15, v12
	v_mad_u32 v5, v9, s41, v5
	s_delay_alu instid0(VALU_DEP_4) | instskip(NEXT) | instid1(VALU_DEP_3)
	v_mad_u32 v4, v9, s40, v4
	v_mul_lo_u32 v10, v7, s13
	s_delay_alu instid0(VALU_DEP_1) | instskip(NEXT) | instid1(VALU_DEP_1)
	v_sub_nc_u32_e32 v9, v11, v10
	v_mad_u32 v5, v9, s43, v5
	s_delay_alu instid0(VALU_DEP_4)
	v_mad_u32 v4, v9, s42, v4
	s_cbranch_scc1 .LBB101_53
; %bb.54:
	s_and_b32 s6, s1, 3
	s_mov_b32 s1, 0
	s_cmp_eq_u32 s6, 0
	s_cbranch_scc0 .LBB101_58
	s_branch .LBB101_60
.LBB101_55:
	s_mov_b32 s8, -1
                                        ; implicit-def: $vgpr5
	s_branch .LBB101_60
.LBB101_56:
	v_dual_mov_b32 v5, 0 :: v_dual_mov_b32 v4, 0
	s_branch .LBB101_60
.LBB101_57:
	v_mov_b64_e32 v[4:5], 0
	v_mov_b32_e32 v7, v6
	s_mov_b32 s0, 0
	s_and_b32 s6, s1, 3
	s_mov_b32 s1, 0
	s_cmp_eq_u32 s6, 0
	s_cbranch_scc1 .LBB101_60
.LBB101_58:
	s_lshl_b32 s4, s0, 3
	s_mov_b32 s5, s1
	s_mul_u64 s[12:13], s[0:1], 12
	s_add_nc_u64 s[4:5], s[16:17], s[4:5]
	s_delay_alu instid0(SALU_CYCLE_1)
	s_add_nc_u64 s[0:1], s[4:5], 0xc4
	s_add_nc_u64 s[4:5], s[16:17], s[12:13]
.LBB101_59:                             ; =>This Inner Loop Header: Depth=1
	s_load_b96 s[12:14], s[4:5], 0x4
	s_add_co_i32 s6, s6, -1
	s_wait_xcnt 0x0
	s_add_nc_u64 s[4:5], s[4:5], 12
	s_cmp_lg_u32 s6, 0
	s_wait_kmcnt 0x0
	v_mul_hi_u32 v9, s13, v7
	s_delay_alu instid0(VALU_DEP_1) | instskip(NEXT) | instid1(VALU_DEP_1)
	v_add_nc_u32_e32 v9, v7, v9
	v_lshrrev_b32_e32 v9, s14, v9
	s_load_b64 s[14:15], s[0:1], 0x0
	s_wait_xcnt 0x0
	s_add_nc_u64 s[0:1], s[0:1], 8
	s_delay_alu instid0(VALU_DEP_1) | instskip(NEXT) | instid1(VALU_DEP_1)
	v_mul_lo_u32 v10, v9, s12
	v_sub_nc_u32_e32 v7, v7, v10
	s_wait_kmcnt 0x0
	s_delay_alu instid0(VALU_DEP_1)
	v_mad_u32 v5, v7, s15, v5
	v_mad_u32 v4, v7, s14, v4
	v_mov_b32_e32 v7, v9
	s_cbranch_scc1 .LBB101_59
.LBB101_60:
	s_and_not1_b32 vcc_lo, exec_lo, s8
	s_cbranch_vccnz .LBB101_63
; %bb.61:
	s_clause 0x1
	s_load_b96 s[4:6], s[16:17], 0x4
	s_load_b64 s[0:1], s[16:17], 0xc4
	s_cmp_lt_u32 s30, 2
	s_wait_kmcnt 0x0
	v_mul_hi_u32 v4, s5, v6
	s_delay_alu instid0(VALU_DEP_1) | instskip(NEXT) | instid1(VALU_DEP_1)
	v_add_nc_u32_e32 v4, v6, v4
	v_lshrrev_b32_e32 v7, s6, v4
	s_delay_alu instid0(VALU_DEP_1) | instskip(NEXT) | instid1(VALU_DEP_1)
	v_mul_lo_u32 v4, v7, s4
	v_sub_nc_u32_e32 v4, v6, v4
	s_delay_alu instid0(VALU_DEP_1)
	v_mul_lo_u32 v5, v4, s1
	v_mul_lo_u32 v4, v4, s0
	s_cbranch_scc1 .LBB101_63
; %bb.62:
	s_clause 0x1
	s_load_b96 s[4:6], s[16:17], 0x10
	s_load_b64 s[0:1], s[16:17], 0xcc
	s_wait_kmcnt 0x0
	v_mul_hi_u32 v6, s5, v7
	s_delay_alu instid0(VALU_DEP_1) | instskip(NEXT) | instid1(VALU_DEP_1)
	v_add_nc_u32_e32 v6, v7, v6
	v_lshrrev_b32_e32 v6, s6, v6
	s_delay_alu instid0(VALU_DEP_1) | instskip(NEXT) | instid1(VALU_DEP_1)
	v_mul_lo_u32 v6, v6, s4
	v_sub_nc_u32_e32 v6, v7, v6
	s_delay_alu instid0(VALU_DEP_1)
	v_mad_u32 v4, v6, s0, v4
	v_mad_u32 v5, v6, s1, v5
.LBB101_63:
	v_cmp_ne_u32_e32 vcc_lo, 1, v8
	v_add_nc_u32_e32 v0, 0x100, v0
	s_cbranch_vccnz .LBB101_69
; %bb.64:
	s_cmp_lg_u32 s30, 0
	s_mov_b32 s8, 0
	s_cbranch_scc0 .LBB101_70
; %bb.65:
	s_min_u32 s1, s31, 15
	s_delay_alu instid0(SALU_CYCLE_1)
	s_add_co_i32 s1, s1, 1
	s_cmp_eq_u32 s31, 2
	s_cbranch_scc1 .LBB101_71
; %bb.66:
	v_dual_mov_b32 v6, 0 :: v_dual_mov_b32 v7, 0
	v_mov_b32_e32 v9, v0
	s_and_b32 s0, s1, 28
	s_add_nc_u64 s[4:5], s[16:17], 0xc4
	s_mov_b32 s9, 0
	s_mov_b64 s[6:7], s[16:17]
.LBB101_67:                             ; =>This Inner Loop Header: Depth=1
	s_clause 0x1
	s_load_b256 s[20:27], s[6:7], 0x4
	s_load_b128 s[12:15], s[6:7], 0x24
	s_load_b256 s[36:43], s[4:5], 0x0
	s_add_co_i32 s9, s9, 4
	s_wait_xcnt 0x0
	s_add_nc_u64 s[6:7], s[6:7], 48
	s_cmp_lg_u32 s0, s9
	s_add_nc_u64 s[4:5], s[4:5], 32
	s_wait_kmcnt 0x0
	v_mul_hi_u32 v10, s21, v9
	s_delay_alu instid0(VALU_DEP_1) | instskip(NEXT) | instid1(VALU_DEP_1)
	v_add_nc_u32_e32 v10, v9, v10
	v_lshrrev_b32_e32 v10, s22, v10
	s_delay_alu instid0(VALU_DEP_1) | instskip(NEXT) | instid1(VALU_DEP_1)
	v_mul_hi_u32 v11, s24, v10
	v_add_nc_u32_e32 v11, v10, v11
	s_delay_alu instid0(VALU_DEP_1) | instskip(NEXT) | instid1(VALU_DEP_1)
	v_lshrrev_b32_e32 v11, s25, v11
	v_mul_hi_u32 v12, s27, v11
	s_delay_alu instid0(VALU_DEP_1) | instskip(SKIP_1) | instid1(VALU_DEP_1)
	v_add_nc_u32_e32 v12, v11, v12
	v_mul_lo_u32 v13, v10, s20
	v_sub_nc_u32_e32 v9, v9, v13
	v_mul_lo_u32 v13, v11, s23
	s_delay_alu instid0(VALU_DEP_4) | instskip(NEXT) | instid1(VALU_DEP_3)
	v_lshrrev_b32_e32 v12, s12, v12
	v_mad_u32 v7, v9, s37, v7
	v_mad_u32 v6, v9, s36, v6
	s_delay_alu instid0(VALU_DEP_4) | instskip(NEXT) | instid1(VALU_DEP_4)
	v_sub_nc_u32_e32 v9, v10, v13
	v_mul_hi_u32 v14, s14, v12
	v_mul_lo_u32 v10, v12, s26
	s_delay_alu instid0(VALU_DEP_3) | instskip(SKIP_1) | instid1(VALU_DEP_4)
	v_mad_u32 v7, v9, s39, v7
	v_mad_u32 v6, v9, s38, v6
	v_add_nc_u32_e32 v13, v12, v14
	s_delay_alu instid0(VALU_DEP_1) | instskip(NEXT) | instid1(VALU_DEP_1)
	v_dual_sub_nc_u32 v10, v11, v10 :: v_dual_lshrrev_b32 v9, s15, v13
	v_mad_u32 v7, v10, s41, v7
	s_delay_alu instid0(VALU_DEP_4) | instskip(NEXT) | instid1(VALU_DEP_3)
	v_mad_u32 v6, v10, s40, v6
	v_mul_lo_u32 v11, v9, s13
	s_delay_alu instid0(VALU_DEP_1) | instskip(NEXT) | instid1(VALU_DEP_1)
	v_sub_nc_u32_e32 v10, v12, v11
	v_mad_u32 v7, v10, s43, v7
	s_delay_alu instid0(VALU_DEP_4)
	v_mad_u32 v6, v10, s42, v6
	s_cbranch_scc1 .LBB101_67
; %bb.68:
	s_and_b32 s6, s1, 3
	s_mov_b32 s1, 0
	s_cmp_eq_u32 s6, 0
	s_cbranch_scc0 .LBB101_72
	s_branch .LBB101_74
.LBB101_69:
	s_mov_b32 s8, -1
                                        ; implicit-def: $vgpr7
	s_branch .LBB101_74
.LBB101_70:
	v_dual_mov_b32 v7, 0 :: v_dual_mov_b32 v6, 0
	s_branch .LBB101_74
.LBB101_71:
	v_mov_b64_e32 v[6:7], 0
	v_mov_b32_e32 v9, v0
	s_mov_b32 s0, 0
	s_and_b32 s6, s1, 3
	s_mov_b32 s1, 0
	s_cmp_eq_u32 s6, 0
	s_cbranch_scc1 .LBB101_74
.LBB101_72:
	s_lshl_b32 s4, s0, 3
	s_mov_b32 s5, s1
	s_mul_u64 s[12:13], s[0:1], 12
	s_add_nc_u64 s[4:5], s[16:17], s[4:5]
	s_delay_alu instid0(SALU_CYCLE_1)
	s_add_nc_u64 s[0:1], s[4:5], 0xc4
	s_add_nc_u64 s[4:5], s[16:17], s[12:13]
.LBB101_73:                             ; =>This Inner Loop Header: Depth=1
	s_load_b96 s[12:14], s[4:5], 0x4
	s_add_co_i32 s6, s6, -1
	s_wait_xcnt 0x0
	s_add_nc_u64 s[4:5], s[4:5], 12
	s_cmp_lg_u32 s6, 0
	s_wait_kmcnt 0x0
	v_mul_hi_u32 v10, s13, v9
	s_delay_alu instid0(VALU_DEP_1) | instskip(NEXT) | instid1(VALU_DEP_1)
	v_add_nc_u32_e32 v10, v9, v10
	v_lshrrev_b32_e32 v10, s14, v10
	s_load_b64 s[14:15], s[0:1], 0x0
	s_wait_xcnt 0x0
	s_add_nc_u64 s[0:1], s[0:1], 8
	s_delay_alu instid0(VALU_DEP_1) | instskip(NEXT) | instid1(VALU_DEP_1)
	v_mul_lo_u32 v11, v10, s12
	v_sub_nc_u32_e32 v9, v9, v11
	s_wait_kmcnt 0x0
	s_delay_alu instid0(VALU_DEP_1)
	v_mad_u32 v7, v9, s15, v7
	v_mad_u32 v6, v9, s14, v6
	v_mov_b32_e32 v9, v10
	s_cbranch_scc1 .LBB101_73
.LBB101_74:
	s_and_not1_b32 vcc_lo, exec_lo, s8
	s_cbranch_vccnz .LBB101_77
; %bb.75:
	s_clause 0x1
	s_load_b96 s[4:6], s[16:17], 0x4
	s_load_b64 s[0:1], s[16:17], 0xc4
	s_cmp_lt_u32 s30, 2
	s_wait_kmcnt 0x0
	v_mul_hi_u32 v6, s5, v0
	s_delay_alu instid0(VALU_DEP_1) | instskip(NEXT) | instid1(VALU_DEP_1)
	v_add_nc_u32_e32 v6, v0, v6
	v_lshrrev_b32_e32 v9, s6, v6
	s_delay_alu instid0(VALU_DEP_1) | instskip(NEXT) | instid1(VALU_DEP_1)
	v_mul_lo_u32 v6, v9, s4
	v_sub_nc_u32_e32 v0, v0, v6
	s_delay_alu instid0(VALU_DEP_1)
	v_mul_lo_u32 v7, v0, s1
	v_mul_lo_u32 v6, v0, s0
	s_cbranch_scc1 .LBB101_77
; %bb.76:
	s_clause 0x1
	s_load_b96 s[4:6], s[16:17], 0x10
	s_load_b64 s[0:1], s[16:17], 0xcc
	s_wait_kmcnt 0x0
	v_mul_hi_u32 v0, s5, v9
	s_delay_alu instid0(VALU_DEP_1) | instskip(NEXT) | instid1(VALU_DEP_1)
	v_add_nc_u32_e32 v0, v9, v0
	v_lshrrev_b32_e32 v0, s6, v0
	s_delay_alu instid0(VALU_DEP_1) | instskip(NEXT) | instid1(VALU_DEP_1)
	v_mul_lo_u32 v0, v0, s4
	v_sub_nc_u32_e32 v0, v9, v0
	s_delay_alu instid0(VALU_DEP_1)
	v_mad_u32 v6, v0, s0, v6
	v_mad_u32 v7, v0, s1, v7
.LBB101_77:
	v_cmp_ne_u32_e32 vcc_lo, 1, v8
	s_cbranch_vccnz .LBB101_83
; %bb.78:
	s_cmp_lg_u32 s30, 0
	s_mov_b32 s8, 0
	s_cbranch_scc0 .LBB101_84
; %bb.79:
	s_min_u32 s1, s31, 15
	s_delay_alu instid0(SALU_CYCLE_1)
	s_add_co_i32 s1, s1, 1
	s_cmp_eq_u32 s31, 2
	s_cbranch_scc1 .LBB101_85
; %bb.80:
	v_dual_mov_b32 v8, 0 :: v_dual_mov_b32 v9, 0
	v_mov_b32_e32 v0, v1
	s_and_b32 s0, s1, 28
	s_add_nc_u64 s[4:5], s[16:17], 0xc4
	s_mov_b32 s9, 0
	s_mov_b64 s[6:7], s[16:17]
.LBB101_81:                             ; =>This Inner Loop Header: Depth=1
	s_clause 0x1
	s_load_b256 s[20:27], s[6:7], 0x4
	s_load_b128 s[12:15], s[6:7], 0x24
	s_load_b256 s[36:43], s[4:5], 0x0
	s_add_co_i32 s9, s9, 4
	s_wait_xcnt 0x0
	s_add_nc_u64 s[6:7], s[6:7], 48
	s_cmp_lg_u32 s0, s9
	s_add_nc_u64 s[4:5], s[4:5], 32
	s_wait_kmcnt 0x0
	v_mul_hi_u32 v10, s21, v0
	s_delay_alu instid0(VALU_DEP_1) | instskip(NEXT) | instid1(VALU_DEP_1)
	v_add_nc_u32_e32 v10, v0, v10
	v_lshrrev_b32_e32 v10, s22, v10
	s_delay_alu instid0(VALU_DEP_1) | instskip(NEXT) | instid1(VALU_DEP_1)
	v_mul_hi_u32 v11, s24, v10
	v_add_nc_u32_e32 v11, v10, v11
	s_delay_alu instid0(VALU_DEP_1) | instskip(NEXT) | instid1(VALU_DEP_1)
	v_lshrrev_b32_e32 v11, s25, v11
	v_mul_hi_u32 v12, s27, v11
	s_delay_alu instid0(VALU_DEP_1) | instskip(SKIP_1) | instid1(VALU_DEP_1)
	v_add_nc_u32_e32 v12, v11, v12
	v_mul_lo_u32 v13, v10, s20
	v_sub_nc_u32_e32 v0, v0, v13
	v_mul_lo_u32 v13, v11, s23
	s_delay_alu instid0(VALU_DEP_4) | instskip(NEXT) | instid1(VALU_DEP_3)
	v_lshrrev_b32_e32 v12, s12, v12
	v_mad_u32 v9, v0, s37, v9
	v_mad_u32 v0, v0, s36, v8
	s_delay_alu instid0(VALU_DEP_4) | instskip(NEXT) | instid1(VALU_DEP_4)
	v_sub_nc_u32_e32 v8, v10, v13
	v_mul_hi_u32 v14, s14, v12
	v_mul_lo_u32 v10, v12, s26
	s_delay_alu instid0(VALU_DEP_3) | instskip(SKIP_1) | instid1(VALU_DEP_4)
	v_mad_u32 v9, v8, s39, v9
	v_mad_u32 v8, v8, s38, v0
	v_add_nc_u32_e32 v13, v12, v14
	s_delay_alu instid0(VALU_DEP_1) | instskip(NEXT) | instid1(VALU_DEP_1)
	v_dual_sub_nc_u32 v10, v11, v10 :: v_dual_lshrrev_b32 v0, s15, v13
	v_mad_u32 v9, v10, s41, v9
	s_delay_alu instid0(VALU_DEP_4) | instskip(NEXT) | instid1(VALU_DEP_3)
	v_mad_u32 v8, v10, s40, v8
	v_mul_lo_u32 v11, v0, s13
	s_delay_alu instid0(VALU_DEP_1) | instskip(NEXT) | instid1(VALU_DEP_1)
	v_sub_nc_u32_e32 v10, v12, v11
	v_mad_u32 v9, v10, s43, v9
	s_delay_alu instid0(VALU_DEP_4)
	v_mad_u32 v8, v10, s42, v8
	s_cbranch_scc1 .LBB101_81
; %bb.82:
	s_and_b32 s6, s1, 3
	s_mov_b32 s1, 0
	s_cmp_eq_u32 s6, 0
	s_cbranch_scc0 .LBB101_86
	s_branch .LBB101_88
.LBB101_83:
	s_mov_b32 s8, -1
                                        ; implicit-def: $vgpr9
	s_branch .LBB101_88
.LBB101_84:
	v_dual_mov_b32 v9, 0 :: v_dual_mov_b32 v8, 0
	s_branch .LBB101_88
.LBB101_85:
	v_mov_b64_e32 v[8:9], 0
	v_mov_b32_e32 v0, v1
	s_mov_b32 s0, 0
	s_and_b32 s6, s1, 3
	s_mov_b32 s1, 0
	s_cmp_eq_u32 s6, 0
	s_cbranch_scc1 .LBB101_88
.LBB101_86:
	s_lshl_b32 s4, s0, 3
	s_mov_b32 s5, s1
	s_mul_u64 s[12:13], s[0:1], 12
	s_add_nc_u64 s[4:5], s[16:17], s[4:5]
	s_delay_alu instid0(SALU_CYCLE_1)
	s_add_nc_u64 s[0:1], s[4:5], 0xc4
	s_add_nc_u64 s[4:5], s[16:17], s[12:13]
.LBB101_87:                             ; =>This Inner Loop Header: Depth=1
	s_load_b96 s[12:14], s[4:5], 0x4
	s_add_co_i32 s6, s6, -1
	s_wait_xcnt 0x0
	s_add_nc_u64 s[4:5], s[4:5], 12
	s_cmp_lg_u32 s6, 0
	s_wait_kmcnt 0x0
	v_mul_hi_u32 v10, s13, v0
	s_delay_alu instid0(VALU_DEP_1) | instskip(NEXT) | instid1(VALU_DEP_1)
	v_add_nc_u32_e32 v10, v0, v10
	v_lshrrev_b32_e32 v10, s14, v10
	s_load_b64 s[14:15], s[0:1], 0x0
	s_wait_xcnt 0x0
	s_add_nc_u64 s[0:1], s[0:1], 8
	s_delay_alu instid0(VALU_DEP_1) | instskip(NEXT) | instid1(VALU_DEP_1)
	v_mul_lo_u32 v11, v10, s12
	v_sub_nc_u32_e32 v0, v0, v11
	s_wait_kmcnt 0x0
	s_delay_alu instid0(VALU_DEP_1)
	v_mad_u32 v9, v0, s15, v9
	v_mad_u32 v8, v0, s14, v8
	v_mov_b32_e32 v0, v10
	s_cbranch_scc1 .LBB101_87
.LBB101_88:
	s_and_not1_b32 vcc_lo, exec_lo, s8
	s_cbranch_vccnz .LBB101_91
; %bb.89:
	s_clause 0x1
	s_load_b96 s[4:6], s[16:17], 0x4
	s_load_b64 s[0:1], s[16:17], 0xc4
	s_cmp_lt_u32 s30, 2
	s_wait_kmcnt 0x0
	v_mul_hi_u32 v0, s5, v1
	s_delay_alu instid0(VALU_DEP_1) | instskip(NEXT) | instid1(VALU_DEP_1)
	v_add_nc_u32_e32 v0, v1, v0
	v_lshrrev_b32_e32 v0, s6, v0
	s_delay_alu instid0(VALU_DEP_1) | instskip(NEXT) | instid1(VALU_DEP_1)
	v_mul_lo_u32 v8, v0, s4
	v_sub_nc_u32_e32 v1, v1, v8
	s_delay_alu instid0(VALU_DEP_1)
	v_mul_lo_u32 v9, v1, s1
	v_mul_lo_u32 v8, v1, s0
	s_cbranch_scc1 .LBB101_91
; %bb.90:
	s_clause 0x1
	s_load_b96 s[4:6], s[16:17], 0x10
	s_load_b64 s[0:1], s[16:17], 0xcc
	s_wait_kmcnt 0x0
	v_mul_hi_u32 v1, s5, v0
	s_delay_alu instid0(VALU_DEP_1) | instskip(NEXT) | instid1(VALU_DEP_1)
	v_add_nc_u32_e32 v1, v0, v1
	v_lshrrev_b32_e32 v1, s6, v1
	s_delay_alu instid0(VALU_DEP_1) | instskip(NEXT) | instid1(VALU_DEP_1)
	v_mul_lo_u32 v1, v1, s4
	v_sub_nc_u32_e32 v0, v0, v1
	s_delay_alu instid0(VALU_DEP_1)
	v_mad_u32 v8, v0, s0, v8
	v_mad_u32 v9, v0, s1, v9
.LBB101_91:
	s_clause 0x2
	s_load_b128 s[4:7], s[16:17], 0x148
	s_load_b32 s12, s[16:17], 0x158
	s_load_b64 s[8:9], s[16:17], 0x160
	s_wait_kmcnt 0x0
	global_load_b32 v0, v3, s[6:7]
	s_wait_loadcnt 0x0
	v_cmp_gt_i32_e32 vcc_lo, s12, v0
	v_cmp_le_i32_e64 s0, s8, v0
	s_or_b32 s0, vcc_lo, s0
	s_cmp_eq_u64 s[2:3], 0
	s_cselect_b32 s1, -1, 0
	s_delay_alu instid0(SALU_CYCLE_1) | instskip(SKIP_3) | instid1(SALU_CYCLE_1)
	s_or_b32 s0, s1, s0
	s_mov_b32 s1, s10
	s_wait_xcnt 0x0
	s_and_saveexec_b32 s2, s0
	s_xor_b32 s0, exec_lo, s2
	s_cbranch_execnz .LBB101_157
; %bb.92:
	s_or_saveexec_b32 s2, s0
	s_mov_b32 s0, 0
	s_xor_b32 exec_lo, exec_lo, s2
	s_cbranch_execz .LBB101_101
.LBB101_93:
	global_load_b32 v0, v5, s[6:7]
	s_mov_b32 s3, s1
	s_wait_loadcnt 0x0
	v_cmp_gt_i32_e32 vcc_lo, s12, v0
	v_cmp_le_i32_e64 s0, s8, v0
	s_or_b32 s0, vcc_lo, s0
	s_wait_xcnt 0x0
	s_and_saveexec_b32 s9, s0
	s_delay_alu instid0(SALU_CYCLE_1)
	s_xor_b32 s0, exec_lo, s9
	s_cbranch_execnz .LBB101_158
; %bb.94:
	s_or_saveexec_b32 s9, s0
	s_mov_b32 s0, 0
	s_xor_b32 exec_lo, exec_lo, s9
	s_cbranch_execz .LBB101_100
.LBB101_95:
	global_load_b32 v0, v7, s[6:7]
	s_mov_b32 s13, s3
	s_wait_loadcnt 0x0
	v_cmp_gt_i32_e32 vcc_lo, s12, v0
	v_cmp_le_i32_e64 s0, s8, v0
	s_or_b32 s0, vcc_lo, s0
	s_wait_xcnt 0x0
	s_and_saveexec_b32 s14, s0
	s_delay_alu instid0(SALU_CYCLE_1)
	s_xor_b32 s0, exec_lo, s14
	s_cbranch_execnz .LBB101_159
; %bb.96:
	s_or_saveexec_b32 s14, s0
	s_mov_b32 s0, 0
	s_xor_b32 exec_lo, exec_lo, s14
	s_cbranch_execz .LBB101_99
.LBB101_97:
	global_load_b32 v0, v9, s[6:7]
	s_wait_xcnt 0x0
	s_mov_b32 s6, -1
	s_wait_loadcnt 0x0
	v_cmp_gt_i32_e32 vcc_lo, s12, v0
	v_cmp_le_i32_e64 s0, s8, v0
	s_or_b32 s8, vcc_lo, s0
	s_mov_b32 s0, s13
	s_and_saveexec_b32 s7, s8
	s_cbranch_execnz .LBB101_160
.LBB101_98:
	s_or_b32 exec_lo, exec_lo, s7
	s_delay_alu instid0(SALU_CYCLE_1)
	s_and_not1_b32 s7, s13, exec_lo
	s_and_b32 s8, s0, exec_lo
	s_and_b32 s0, s6, exec_lo
	s_or_b32 s13, s7, s8
.LBB101_99:
	s_or_b32 exec_lo, exec_lo, s14
	s_delay_alu instid0(SALU_CYCLE_1)
	s_and_not1_b32 s3, s3, exec_lo
	s_and_b32 s6, s13, exec_lo
	s_and_b32 s0, s0, exec_lo
	s_or_b32 s3, s3, s6
.LBB101_100:
	s_or_b32 exec_lo, exec_lo, s9
	s_delay_alu instid0(SALU_CYCLE_1)
	s_and_not1_b32 s1, s1, exec_lo
	s_and_b32 s3, s3, exec_lo
	s_and_b32 s0, s0, exec_lo
	s_or_b32 s1, s1, s3
.LBB101_101:
	s_or_b32 exec_lo, exec_lo, s2
	s_delay_alu instid0(SALU_CYCLE_1)
	s_and_not1_b32 s2, s10, exec_lo
	s_and_b32 s1, s1, exec_lo
	s_and_b32 s33, s0, exec_lo
	s_or_b32 s10, s2, s1
	s_or_b32 exec_lo, exec_lo, s11
	s_and_saveexec_b32 s0, s10
	s_cbranch_execnz .LBB101_39
.LBB101_102:
	s_or_b32 exec_lo, exec_lo, s0
	s_and_saveexec_b32 s0, s33
	s_cbranch_execz .LBB101_40
.LBB101_103:
	v_mov_b32_e32 v0, 0
	s_clause 0x3
	global_store_b32 v2, v0, s[4:5]
	global_store_b32 v4, v0, s[4:5]
	;; [unrolled: 1-line block ×4, first 2 shown]
	s_endpgm
.LBB101_104:
	v_dual_mov_b32 v3, 0 :: v_dual_mov_b32 v2, 0
	s_branch .LBB101_109
.LBB101_105:
	v_mov_b64_e32 v[2:3], 0
	v_mov_b32_e32 v1, v0
	s_mov_b32 s24, 0
.LBB101_106:
	s_and_b32 s0, s0, 3
	s_mov_b32 s25, 0
	s_cmp_eq_u32 s0, 0
	s_cbranch_scc1 .LBB101_109
; %bb.107:
	s_lshl_b32 s26, s24, 3
	s_mov_b32 s27, s25
	s_mul_u64 s[28:29], s[24:25], 12
	s_add_nc_u64 s[26:27], s[16:17], s[26:27]
	s_delay_alu instid0(SALU_CYCLE_1)
	s_add_nc_u64 s[24:25], s[26:27], 0xc4
	s_add_nc_u64 s[26:27], s[16:17], s[28:29]
.LBB101_108:                            ; =>This Inner Loop Header: Depth=1
	s_load_b96 s[48:50], s[26:27], 0x4
	s_load_b64 s[28:29], s[24:25], 0x0
	s_add_co_i32 s0, s0, -1
	s_wait_xcnt 0x0
	s_add_nc_u64 s[26:27], s[26:27], 12
	s_cmp_lg_u32 s0, 0
	s_add_nc_u64 s[24:25], s[24:25], 8
	s_wait_kmcnt 0x0
	v_mul_hi_u32 v4, s49, v1
	s_delay_alu instid0(VALU_DEP_1) | instskip(NEXT) | instid1(VALU_DEP_1)
	v_add_nc_u32_e32 v4, v1, v4
	v_lshrrev_b32_e32 v4, s50, v4
	s_delay_alu instid0(VALU_DEP_1) | instskip(NEXT) | instid1(VALU_DEP_1)
	v_mul_lo_u32 v5, v4, s48
	v_sub_nc_u32_e32 v1, v1, v5
	s_delay_alu instid0(VALU_DEP_1)
	v_mad_u32 v3, v1, s29, v3
	v_mad_u32 v2, v1, s28, v2
	v_mov_b32_e32 v1, v4
	s_cbranch_scc1 .LBB101_108
.LBB101_109:
	s_cbranch_execnz .LBB101_112
.LBB101_110:
	v_mov_b32_e32 v1, 0
	s_and_not1_b32 vcc_lo, exec_lo, s39
	s_delay_alu instid0(VALU_DEP_1) | instskip(NEXT) | instid1(VALU_DEP_1)
	v_mul_u64_e32 v[2:3], s[18:19], v[0:1]
	v_add_nc_u32_e32 v2, v0, v3
	s_delay_alu instid0(VALU_DEP_1) | instskip(NEXT) | instid1(VALU_DEP_1)
	v_lshrrev_b32_e32 v4, s10, v2
	v_mul_lo_u32 v2, v4, s8
	s_delay_alu instid0(VALU_DEP_1) | instskip(NEXT) | instid1(VALU_DEP_1)
	v_sub_nc_u32_e32 v2, v0, v2
	v_mul_lo_u32 v3, v2, s13
	v_mul_lo_u32 v2, v2, s12
	s_cbranch_vccnz .LBB101_112
; %bb.111:
	v_mov_b32_e32 v5, v1
	s_delay_alu instid0(VALU_DEP_1) | instskip(NEXT) | instid1(VALU_DEP_1)
	v_mul_u64_e32 v[6:7], s[20:21], v[4:5]
	v_add_nc_u32_e32 v1, v4, v7
	s_delay_alu instid0(VALU_DEP_1) | instskip(NEXT) | instid1(VALU_DEP_1)
	v_lshrrev_b32_e32 v1, s1, v1
	v_mul_lo_u32 v1, v1, s11
	s_delay_alu instid0(VALU_DEP_1) | instskip(NEXT) | instid1(VALU_DEP_1)
	v_sub_nc_u32_e32 v1, v4, v1
	v_mad_u32 v2, v1, s14, v2
	v_mad_u32 v3, v1, s15, v3
.LBB101_112:
	global_load_b32 v1, v3, s[6:7]
	s_wait_loadcnt 0x0
	v_cmp_le_i32_e32 vcc_lo, s36, v1
	v_cmp_gt_i32_e64 s0, s37, v1
	s_and_b32 s24, vcc_lo, s0
	s_mov_b32 s0, 0
	s_and_b32 s26, s38, s24
	s_mov_b32 s24, -1
	s_wait_xcnt 0x0
	s_and_saveexec_b32 s25, s26
; %bb.113:
	v_dual_mov_b32 v1, 0 :: v_dual_add_nc_u32 v0, 0x80, v0
	s_mov_b32 s0, exec_lo
	s_xor_b32 s24, exec_lo, -1
	global_store_b32 v2, v1, s[4:5]
; %bb.114:
	s_wait_xcnt 0x0
	s_or_b32 exec_lo, exec_lo, s25
	s_delay_alu instid0(SALU_CYCLE_1)
	s_and_not1_b32 s25, s9, exec_lo
	s_and_b32 s24, s24, exec_lo
	s_or_not1_b32 s0, s0, exec_lo
	s_or_b32 s44, s25, s24
.LBB101_115:
	s_or_b32 exec_lo, exec_lo, s45
	s_mov_b32 s24, 0
                                        ; implicit-def: $vgpr2
	s_and_saveexec_b32 s45, s0
	s_cbranch_execz .LBB101_155
; %bb.116:
	s_mov_b32 s0, -1
	s_mov_b32 s28, s44
	s_mov_b32 s46, exec_lo
	v_cmpx_gt_i32_e64 s40, v0
	s_cbranch_execz .LBB101_135
; %bb.117:
	s_and_not1_b32 vcc_lo, exec_lo, s34
	s_cbranch_vccnz .LBB101_122
; %bb.118:
	s_and_not1_b32 vcc_lo, exec_lo, s42
	s_cbranch_vccnz .LBB101_123
; %bb.119:
	s_add_co_i32 s0, s41, 1
	s_cmp_eq_u32 s31, 2
	s_cbranch_scc1 .LBB101_124
; %bb.120:
	v_dual_mov_b32 v2, 0 :: v_dual_mov_b32 v3, 0
	v_mov_b32_e32 v1, v0
	s_and_b32 s24, s0, 28
	s_mov_b32 s25, 0
	s_mov_b64 s[26:27], s[16:17]
	s_mov_b64 s[28:29], s[22:23]
.LBB101_121:                            ; =>This Inner Loop Header: Depth=1
	s_clause 0x1
	s_load_b256 s[48:55], s[26:27], 0x4
	s_load_b128 s[64:67], s[26:27], 0x24
	s_load_b256 s[56:63], s[28:29], 0x0
	s_add_co_i32 s25, s25, 4
	s_wait_xcnt 0x0
	s_add_nc_u64 s[26:27], s[26:27], 48
	s_cmp_eq_u32 s24, s25
	s_add_nc_u64 s[28:29], s[28:29], 32
	s_wait_kmcnt 0x0
	v_mul_hi_u32 v4, s49, v1
	s_delay_alu instid0(VALU_DEP_1) | instskip(NEXT) | instid1(VALU_DEP_1)
	v_add_nc_u32_e32 v4, v1, v4
	v_lshrrev_b32_e32 v4, s50, v4
	s_delay_alu instid0(VALU_DEP_1) | instskip(NEXT) | instid1(VALU_DEP_1)
	v_mul_hi_u32 v5, s52, v4
	v_add_nc_u32_e32 v5, v4, v5
	s_delay_alu instid0(VALU_DEP_1) | instskip(NEXT) | instid1(VALU_DEP_1)
	v_lshrrev_b32_e32 v5, s53, v5
	v_mul_hi_u32 v6, s55, v5
	s_delay_alu instid0(VALU_DEP_1) | instskip(SKIP_1) | instid1(VALU_DEP_1)
	v_add_nc_u32_e32 v6, v5, v6
	v_mul_lo_u32 v7, v4, s48
	v_sub_nc_u32_e32 v1, v1, v7
	v_mul_lo_u32 v7, v5, s51
	s_delay_alu instid0(VALU_DEP_4) | instskip(NEXT) | instid1(VALU_DEP_3)
	v_lshrrev_b32_e32 v6, s64, v6
	v_mad_u32 v3, v1, s57, v3
	v_mad_u32 v1, v1, s56, v2
	s_delay_alu instid0(VALU_DEP_4) | instskip(NEXT) | instid1(VALU_DEP_4)
	v_sub_nc_u32_e32 v2, v4, v7
	v_mul_hi_u32 v8, s66, v6
	v_mul_lo_u32 v4, v6, s54
	s_delay_alu instid0(VALU_DEP_3) | instskip(SKIP_1) | instid1(VALU_DEP_4)
	v_mad_u32 v3, v2, s59, v3
	v_mad_u32 v2, v2, s58, v1
	v_add_nc_u32_e32 v7, v6, v8
	s_delay_alu instid0(VALU_DEP_1) | instskip(NEXT) | instid1(VALU_DEP_1)
	v_dual_sub_nc_u32 v4, v5, v4 :: v_dual_lshrrev_b32 v1, s67, v7
	v_mad_u32 v3, v4, s61, v3
	s_delay_alu instid0(VALU_DEP_4) | instskip(NEXT) | instid1(VALU_DEP_3)
	v_mad_u32 v2, v4, s60, v2
	v_mul_lo_u32 v5, v1, s65
	s_delay_alu instid0(VALU_DEP_1) | instskip(NEXT) | instid1(VALU_DEP_1)
	v_sub_nc_u32_e32 v4, v6, v5
	v_mad_u32 v3, v4, s63, v3
	s_delay_alu instid0(VALU_DEP_4)
	v_mad_u32 v2, v4, s62, v2
	s_cbranch_scc0 .LBB101_121
	s_branch .LBB101_125
.LBB101_122:
                                        ; implicit-def: $vgpr3
	s_branch .LBB101_129
.LBB101_123:
	v_dual_mov_b32 v3, 0 :: v_dual_mov_b32 v2, 0
	s_branch .LBB101_128
.LBB101_124:
	v_mov_b64_e32 v[2:3], 0
	v_mov_b32_e32 v1, v0
.LBB101_125:
	s_and_b32 s0, s0, 3
	s_mov_b32 s25, 0
	s_cmp_eq_u32 s0, 0
	s_cbranch_scc1 .LBB101_128
; %bb.126:
	s_lshl_b32 s26, s24, 3
	s_mov_b32 s27, s25
	s_mul_u64 s[28:29], s[24:25], 12
	s_add_nc_u64 s[26:27], s[16:17], s[26:27]
	s_delay_alu instid0(SALU_CYCLE_1)
	s_add_nc_u64 s[24:25], s[26:27], 0xc4
	s_add_nc_u64 s[26:27], s[16:17], s[28:29]
.LBB101_127:                            ; =>This Inner Loop Header: Depth=1
	s_load_b96 s[48:50], s[26:27], 0x4
	s_load_b64 s[28:29], s[24:25], 0x0
	s_add_co_i32 s0, s0, -1
	s_wait_xcnt 0x0
	s_add_nc_u64 s[26:27], s[26:27], 12
	s_cmp_lg_u32 s0, 0
	s_add_nc_u64 s[24:25], s[24:25], 8
	s_wait_kmcnt 0x0
	v_mul_hi_u32 v4, s49, v1
	s_delay_alu instid0(VALU_DEP_1) | instskip(NEXT) | instid1(VALU_DEP_1)
	v_add_nc_u32_e32 v4, v1, v4
	v_lshrrev_b32_e32 v4, s50, v4
	s_delay_alu instid0(VALU_DEP_1) | instskip(NEXT) | instid1(VALU_DEP_1)
	v_mul_lo_u32 v5, v4, s48
	v_sub_nc_u32_e32 v1, v1, v5
	s_delay_alu instid0(VALU_DEP_1)
	v_mad_u32 v3, v1, s29, v3
	v_mad_u32 v2, v1, s28, v2
	v_mov_b32_e32 v1, v4
	s_cbranch_scc1 .LBB101_127
.LBB101_128:
	s_mov_b32 s0, 0
.LBB101_129:
	s_delay_alu instid0(SALU_CYCLE_1)
	s_and_not1_b32 vcc_lo, exec_lo, s0
	s_cbranch_vccnz .LBB101_132
; %bb.130:
	v_mov_b32_e32 v1, 0
	s_and_not1_b32 vcc_lo, exec_lo, s39
	s_delay_alu instid0(VALU_DEP_1) | instskip(NEXT) | instid1(VALU_DEP_1)
	v_mul_u64_e32 v[2:3], s[18:19], v[0:1]
	v_add_nc_u32_e32 v2, v0, v3
	s_delay_alu instid0(VALU_DEP_1) | instskip(NEXT) | instid1(VALU_DEP_1)
	v_lshrrev_b32_e32 v4, s10, v2
	v_mul_lo_u32 v2, v4, s8
	s_delay_alu instid0(VALU_DEP_1) | instskip(NEXT) | instid1(VALU_DEP_1)
	v_sub_nc_u32_e32 v2, v0, v2
	v_mul_lo_u32 v3, v2, s13
	v_mul_lo_u32 v2, v2, s12
	s_cbranch_vccnz .LBB101_132
; %bb.131:
	v_mov_b32_e32 v5, v1
	s_delay_alu instid0(VALU_DEP_1) | instskip(NEXT) | instid1(VALU_DEP_1)
	v_mul_u64_e32 v[6:7], s[20:21], v[4:5]
	v_add_nc_u32_e32 v1, v4, v7
	s_delay_alu instid0(VALU_DEP_1) | instskip(NEXT) | instid1(VALU_DEP_1)
	v_lshrrev_b32_e32 v1, s1, v1
	v_mul_lo_u32 v1, v1, s11
	s_delay_alu instid0(VALU_DEP_1) | instskip(NEXT) | instid1(VALU_DEP_1)
	v_sub_nc_u32_e32 v1, v4, v1
	v_mad_u32 v2, v1, s14, v2
	v_mad_u32 v3, v1, s15, v3
.LBB101_132:
	global_load_b32 v1, v3, s[6:7]
	s_wait_loadcnt 0x0
	v_cmp_le_i32_e32 vcc_lo, s36, v1
	v_cmp_gt_i32_e64 s0, s37, v1
	s_and_b32 s24, vcc_lo, s0
	s_mov_b32 s0, 0
	s_and_b32 s26, s38, s24
	s_mov_b32 s24, -1
	s_wait_xcnt 0x0
	s_and_saveexec_b32 s25, s26
; %bb.133:
	v_dual_mov_b32 v1, 0 :: v_dual_add_nc_u32 v0, 0x80, v0
	s_mov_b32 s0, exec_lo
	s_xor_b32 s24, exec_lo, -1
	global_store_b32 v2, v1, s[4:5]
; %bb.134:
	s_wait_xcnt 0x0
	s_or_b32 exec_lo, exec_lo, s25
	s_delay_alu instid0(SALU_CYCLE_1)
	s_and_not1_b32 s25, s44, exec_lo
	s_and_b32 s24, s24, exec_lo
	s_or_not1_b32 s0, s0, exec_lo
	s_or_b32 s28, s25, s24
.LBB101_135:
	s_or_b32 exec_lo, exec_lo, s46
	s_mov_b32 s24, 0
                                        ; implicit-def: $vgpr2
	s_and_saveexec_b32 s29, s0
	s_cbranch_execz .LBB101_154
; %bb.136:
	v_cmp_gt_i32_e32 vcc_lo, s40, v0
	s_mov_b32 s0, s28
                                        ; implicit-def: $vgpr2
	s_and_saveexec_b32 s40, vcc_lo
	s_cbranch_execz .LBB101_153
; %bb.137:
	s_and_not1_b32 vcc_lo, exec_lo, s34
	s_cbranch_vccnz .LBB101_142
; %bb.138:
	s_and_not1_b32 vcc_lo, exec_lo, s42
	s_cbranch_vccnz .LBB101_143
; %bb.139:
	s_add_co_i32 s41, s41, 1
	s_cmp_eq_u32 s31, 2
	s_cbranch_scc1 .LBB101_144
; %bb.140:
	v_dual_mov_b32 v2, 0 :: v_dual_mov_b32 v3, 0
	v_mov_b32_e32 v1, v0
	s_and_b32 s24, s41, 28
	s_mov_b32 s0, 0
	s_mov_b64 s[26:27], s[16:17]
.LBB101_141:                            ; =>This Inner Loop Header: Depth=1
	s_clause 0x1
	s_load_b256 s[48:55], s[26:27], 0x4
	s_load_b128 s[64:67], s[26:27], 0x24
	s_load_b256 s[56:63], s[22:23], 0x0
	s_add_co_i32 s0, s0, 4
	s_wait_xcnt 0x0
	s_add_nc_u64 s[26:27], s[26:27], 48
	s_cmp_eq_u32 s24, s0
	s_add_nc_u64 s[22:23], s[22:23], 32
	s_wait_kmcnt 0x0
	v_mul_hi_u32 v4, s49, v1
	s_delay_alu instid0(VALU_DEP_1) | instskip(NEXT) | instid1(VALU_DEP_1)
	v_add_nc_u32_e32 v4, v1, v4
	v_lshrrev_b32_e32 v4, s50, v4
	s_delay_alu instid0(VALU_DEP_1) | instskip(NEXT) | instid1(VALU_DEP_1)
	v_mul_hi_u32 v5, s52, v4
	v_add_nc_u32_e32 v5, v4, v5
	s_delay_alu instid0(VALU_DEP_1) | instskip(NEXT) | instid1(VALU_DEP_1)
	v_lshrrev_b32_e32 v5, s53, v5
	v_mul_hi_u32 v6, s55, v5
	s_delay_alu instid0(VALU_DEP_1) | instskip(SKIP_1) | instid1(VALU_DEP_1)
	v_add_nc_u32_e32 v6, v5, v6
	v_mul_lo_u32 v7, v4, s48
	v_sub_nc_u32_e32 v1, v1, v7
	v_mul_lo_u32 v7, v5, s51
	s_delay_alu instid0(VALU_DEP_4) | instskip(NEXT) | instid1(VALU_DEP_3)
	v_lshrrev_b32_e32 v6, s64, v6
	v_mad_u32 v3, v1, s57, v3
	v_mad_u32 v1, v1, s56, v2
	s_delay_alu instid0(VALU_DEP_4) | instskip(NEXT) | instid1(VALU_DEP_4)
	v_sub_nc_u32_e32 v2, v4, v7
	v_mul_hi_u32 v8, s66, v6
	v_mul_lo_u32 v4, v6, s54
	s_delay_alu instid0(VALU_DEP_3) | instskip(SKIP_1) | instid1(VALU_DEP_4)
	v_mad_u32 v3, v2, s59, v3
	v_mad_u32 v2, v2, s58, v1
	v_add_nc_u32_e32 v7, v6, v8
	s_delay_alu instid0(VALU_DEP_1) | instskip(NEXT) | instid1(VALU_DEP_1)
	v_dual_sub_nc_u32 v4, v5, v4 :: v_dual_lshrrev_b32 v1, s67, v7
	v_mad_u32 v3, v4, s61, v3
	s_delay_alu instid0(VALU_DEP_4) | instskip(NEXT) | instid1(VALU_DEP_3)
	v_mad_u32 v2, v4, s60, v2
	v_mul_lo_u32 v5, v1, s65
	s_delay_alu instid0(VALU_DEP_1) | instskip(NEXT) | instid1(VALU_DEP_1)
	v_sub_nc_u32_e32 v4, v6, v5
	v_mad_u32 v3, v4, s63, v3
	s_delay_alu instid0(VALU_DEP_4)
	v_mad_u32 v2, v4, s62, v2
	s_cbranch_scc0 .LBB101_141
	s_branch .LBB101_145
.LBB101_142:
	s_mov_b32 s0, -1
                                        ; implicit-def: $vgpr3
	s_branch .LBB101_149
.LBB101_143:
	v_dual_mov_b32 v3, 0 :: v_dual_mov_b32 v2, 0
	s_branch .LBB101_148
.LBB101_144:
	v_mov_b64_e32 v[2:3], 0
	v_mov_b32_e32 v1, v0
.LBB101_145:
	s_and_b32 s0, s41, 3
	s_mov_b32 s25, 0
	s_cmp_eq_u32 s0, 0
	s_cbranch_scc1 .LBB101_148
; %bb.146:
	s_lshl_b32 s22, s24, 3
	s_mov_b32 s23, s25
	s_mul_u64 s[24:25], s[24:25], 12
	s_add_nc_u64 s[22:23], s[16:17], s[22:23]
	s_add_nc_u64 s[24:25], s[16:17], s[24:25]
	s_add_nc_u64 s[22:23], s[22:23], 0xc4
.LBB101_147:                            ; =>This Inner Loop Header: Depth=1
	s_load_b96 s[48:50], s[24:25], 0x4
	s_load_b64 s[26:27], s[22:23], 0x0
	s_add_co_i32 s0, s0, -1
	s_wait_xcnt 0x0
	s_add_nc_u64 s[24:25], s[24:25], 12
	s_cmp_lg_u32 s0, 0
	s_add_nc_u64 s[22:23], s[22:23], 8
	s_wait_kmcnt 0x0
	v_mul_hi_u32 v4, s49, v1
	s_delay_alu instid0(VALU_DEP_1) | instskip(NEXT) | instid1(VALU_DEP_1)
	v_add_nc_u32_e32 v4, v1, v4
	v_lshrrev_b32_e32 v4, s50, v4
	s_delay_alu instid0(VALU_DEP_1) | instskip(NEXT) | instid1(VALU_DEP_1)
	v_mul_lo_u32 v5, v4, s48
	v_sub_nc_u32_e32 v1, v1, v5
	s_delay_alu instid0(VALU_DEP_1)
	v_mad_u32 v3, v1, s27, v3
	v_mad_u32 v2, v1, s26, v2
	v_mov_b32_e32 v1, v4
	s_cbranch_scc1 .LBB101_147
.LBB101_148:
	s_mov_b32 s0, 0
.LBB101_149:
	s_delay_alu instid0(SALU_CYCLE_1)
	s_and_not1_b32 vcc_lo, exec_lo, s0
	s_cbranch_vccnz .LBB101_152
; %bb.150:
	v_mov_b32_e32 v1, 0
	s_and_not1_b32 vcc_lo, exec_lo, s39
	s_delay_alu instid0(VALU_DEP_1) | instskip(NEXT) | instid1(VALU_DEP_1)
	v_mul_u64_e32 v[2:3], s[18:19], v[0:1]
	v_add_nc_u32_e32 v2, v0, v3
	s_delay_alu instid0(VALU_DEP_1) | instskip(NEXT) | instid1(VALU_DEP_1)
	v_lshrrev_b32_e32 v4, s10, v2
	v_mul_lo_u32 v2, v4, s8
	s_delay_alu instid0(VALU_DEP_1) | instskip(NEXT) | instid1(VALU_DEP_1)
	v_sub_nc_u32_e32 v0, v0, v2
	v_mul_lo_u32 v3, v0, s13
	v_mul_lo_u32 v2, v0, s12
	s_cbranch_vccnz .LBB101_152
; %bb.151:
	v_mov_b32_e32 v5, v1
	s_delay_alu instid0(VALU_DEP_1) | instskip(NEXT) | instid1(VALU_DEP_1)
	v_mul_u64_e32 v[0:1], s[20:21], v[4:5]
	v_add_nc_u32_e32 v0, v4, v1
	s_delay_alu instid0(VALU_DEP_1) | instskip(NEXT) | instid1(VALU_DEP_1)
	v_lshrrev_b32_e32 v0, s1, v0
	v_mul_lo_u32 v0, v0, s11
	s_delay_alu instid0(VALU_DEP_1) | instskip(NEXT) | instid1(VALU_DEP_1)
	v_sub_nc_u32_e32 v0, v4, v0
	v_mad_u32 v2, v0, s14, v2
	v_mad_u32 v3, v0, s15, v3
.LBB101_152:
	global_load_b32 v0, v3, s[6:7]
	s_and_not1_b32 s1, s28, exec_lo
	s_mov_b32 s24, exec_lo
	s_wait_loadcnt 0x0
	v_cmp_le_i32_e32 vcc_lo, s36, v0
	v_cmp_gt_i32_e64 s0, s37, v0
	s_and_b32 s0, vcc_lo, s0
	s_delay_alu instid0(SALU_CYCLE_1) | instskip(NEXT) | instid1(SALU_CYCLE_1)
	s_and_b32 s0, s38, s0
	s_xor_b32 s0, s0, -1
	s_delay_alu instid0(SALU_CYCLE_1) | instskip(NEXT) | instid1(SALU_CYCLE_1)
	s_and_b32 s0, s0, exec_lo
	s_or_b32 s0, s1, s0
.LBB101_153:
	s_wait_xcnt 0x0
	s_or_b32 exec_lo, exec_lo, s40
	s_delay_alu instid0(SALU_CYCLE_1)
	s_and_not1_b32 s1, s28, exec_lo
	s_and_b32 s0, s0, exec_lo
	s_and_b32 s24, s24, exec_lo
	s_or_b32 s28, s1, s0
.LBB101_154:
	s_or_b32 exec_lo, exec_lo, s29
	s_delay_alu instid0(SALU_CYCLE_1)
	s_and_not1_b32 s0, s44, exec_lo
	s_and_b32 s1, s28, exec_lo
	s_and_b32 s24, s24, exec_lo
	s_or_b32 s44, s0, s1
.LBB101_155:
	s_or_b32 exec_lo, exec_lo, s45
	s_delay_alu instid0(SALU_CYCLE_1)
	s_and_not1_b32 s0, s9, exec_lo
	s_and_b32 s1, s44, exec_lo
	s_and_b32 s19, s24, exec_lo
	s_or_b32 s9, s0, s1
	s_or_b32 exec_lo, exec_lo, s43
	s_mov_b32 s0, 0
	s_and_saveexec_b32 s1, s9
	s_cbranch_execz .LBB101_28
.LBB101_156:
	s_mov_b32 s0, exec_lo
	s_and_not1_b32 s19, s19, exec_lo
	s_trap 2
	s_or_b32 exec_lo, exec_lo, s1
	s_and_saveexec_b32 s1, s19
	s_delay_alu instid0(SALU_CYCLE_1)
	s_xor_b32 s1, exec_lo, s1
	s_cbranch_execnz .LBB101_29
	s_branch .LBB101_30
.LBB101_157:
	s_or_b32 s1, s10, exec_lo
	s_trap 2
	s_or_saveexec_b32 s2, s0
	s_mov_b32 s0, 0
	s_xor_b32 exec_lo, exec_lo, s2
	s_cbranch_execnz .LBB101_93
	s_branch .LBB101_101
.LBB101_158:
	s_or_b32 s3, s1, exec_lo
	s_trap 2
	s_or_saveexec_b32 s9, s0
	s_mov_b32 s0, 0
	s_xor_b32 exec_lo, exec_lo, s9
	s_cbranch_execnz .LBB101_95
	s_branch .LBB101_100
.LBB101_159:
	s_or_b32 s13, s3, exec_lo
	s_trap 2
	s_or_saveexec_b32 s14, s0
	s_mov_b32 s0, 0
	s_xor_b32 exec_lo, exec_lo, s14
	s_cbranch_execnz .LBB101_97
	s_branch .LBB101_99
.LBB101_160:
	s_xor_b32 s6, exec_lo, -1
	s_or_b32 s0, s13, exec_lo
	s_trap 2
	s_branch .LBB101_98
	.section	.rodata,"a",@progbits
	.p2align	6, 0x0
	.amdhsa_kernel _ZN2at6native32elementwise_kernel_manual_unrollILi128ELi4EZNS0_22gpu_kernel_impl_nocastIZZZNS0_12_GLOBAL__N_142_validate_compressed_sparse_indices_kernelILNS3_8CDimNameE1ENS3_18CUDAKernelLauncherENS3_14EmptyVecKernelENS3_8DummyVecELm0EEEvRKNS_6TensorESB_lllENKUlvE0_clEvENKUlvE_clEvEUliE_EEvRNS_18TensorIteratorBaseERKT_EUlibE_EEviT1_
		.amdhsa_group_segment_fixed_size 0
		.amdhsa_private_segment_fixed_size 0
		.amdhsa_kernarg_size 368
		.amdhsa_user_sgpr_count 2
		.amdhsa_user_sgpr_dispatch_ptr 0
		.amdhsa_user_sgpr_queue_ptr 0
		.amdhsa_user_sgpr_kernarg_segment_ptr 1
		.amdhsa_user_sgpr_dispatch_id 0
		.amdhsa_user_sgpr_kernarg_preload_length 0
		.amdhsa_user_sgpr_kernarg_preload_offset 0
		.amdhsa_user_sgpr_private_segment_size 0
		.amdhsa_wavefront_size32 1
		.amdhsa_uses_dynamic_stack 0
		.amdhsa_enable_private_segment 0
		.amdhsa_system_sgpr_workgroup_id_x 1
		.amdhsa_system_sgpr_workgroup_id_y 0
		.amdhsa_system_sgpr_workgroup_id_z 0
		.amdhsa_system_sgpr_workgroup_info 0
		.amdhsa_system_vgpr_workitem_id 0
		.amdhsa_next_free_vgpr 15
		.amdhsa_next_free_sgpr 68
		.amdhsa_named_barrier_count 0
		.amdhsa_reserve_vcc 1
		.amdhsa_float_round_mode_32 0
		.amdhsa_float_round_mode_16_64 0
		.amdhsa_float_denorm_mode_32 3
		.amdhsa_float_denorm_mode_16_64 3
		.amdhsa_fp16_overflow 0
		.amdhsa_memory_ordered 1
		.amdhsa_forward_progress 1
		.amdhsa_inst_pref_size 57
		.amdhsa_round_robin_scheduling 0
		.amdhsa_exception_fp_ieee_invalid_op 0
		.amdhsa_exception_fp_denorm_src 0
		.amdhsa_exception_fp_ieee_div_zero 0
		.amdhsa_exception_fp_ieee_overflow 0
		.amdhsa_exception_fp_ieee_underflow 0
		.amdhsa_exception_fp_ieee_inexact 0
		.amdhsa_exception_int_div_zero 0
	.end_amdhsa_kernel
	.section	.text._ZN2at6native32elementwise_kernel_manual_unrollILi128ELi4EZNS0_22gpu_kernel_impl_nocastIZZZNS0_12_GLOBAL__N_142_validate_compressed_sparse_indices_kernelILNS3_8CDimNameE1ENS3_18CUDAKernelLauncherENS3_14EmptyVecKernelENS3_8DummyVecELm0EEEvRKNS_6TensorESB_lllENKUlvE0_clEvENKUlvE_clEvEUliE_EEvRNS_18TensorIteratorBaseERKT_EUlibE_EEviT1_,"axG",@progbits,_ZN2at6native32elementwise_kernel_manual_unrollILi128ELi4EZNS0_22gpu_kernel_impl_nocastIZZZNS0_12_GLOBAL__N_142_validate_compressed_sparse_indices_kernelILNS3_8CDimNameE1ENS3_18CUDAKernelLauncherENS3_14EmptyVecKernelENS3_8DummyVecELm0EEEvRKNS_6TensorESB_lllENKUlvE0_clEvENKUlvE_clEvEUliE_EEvRNS_18TensorIteratorBaseERKT_EUlibE_EEviT1_,comdat
.Lfunc_end101:
	.size	_ZN2at6native32elementwise_kernel_manual_unrollILi128ELi4EZNS0_22gpu_kernel_impl_nocastIZZZNS0_12_GLOBAL__N_142_validate_compressed_sparse_indices_kernelILNS3_8CDimNameE1ENS3_18CUDAKernelLauncherENS3_14EmptyVecKernelENS3_8DummyVecELm0EEEvRKNS_6TensorESB_lllENKUlvE0_clEvENKUlvE_clEvEUliE_EEvRNS_18TensorIteratorBaseERKT_EUlibE_EEviT1_, .Lfunc_end101-_ZN2at6native32elementwise_kernel_manual_unrollILi128ELi4EZNS0_22gpu_kernel_impl_nocastIZZZNS0_12_GLOBAL__N_142_validate_compressed_sparse_indices_kernelILNS3_8CDimNameE1ENS3_18CUDAKernelLauncherENS3_14EmptyVecKernelENS3_8DummyVecELm0EEEvRKNS_6TensorESB_lllENKUlvE0_clEvENKUlvE_clEvEUliE_EEvRNS_18TensorIteratorBaseERKT_EUlibE_EEviT1_
                                        ; -- End function
	.set _ZN2at6native32elementwise_kernel_manual_unrollILi128ELi4EZNS0_22gpu_kernel_impl_nocastIZZZNS0_12_GLOBAL__N_142_validate_compressed_sparse_indices_kernelILNS3_8CDimNameE1ENS3_18CUDAKernelLauncherENS3_14EmptyVecKernelENS3_8DummyVecELm0EEEvRKNS_6TensorESB_lllENKUlvE0_clEvENKUlvE_clEvEUliE_EEvRNS_18TensorIteratorBaseERKT_EUlibE_EEviT1_.num_vgpr, 15
	.set _ZN2at6native32elementwise_kernel_manual_unrollILi128ELi4EZNS0_22gpu_kernel_impl_nocastIZZZNS0_12_GLOBAL__N_142_validate_compressed_sparse_indices_kernelILNS3_8CDimNameE1ENS3_18CUDAKernelLauncherENS3_14EmptyVecKernelENS3_8DummyVecELm0EEEvRKNS_6TensorESB_lllENKUlvE0_clEvENKUlvE_clEvEUliE_EEvRNS_18TensorIteratorBaseERKT_EUlibE_EEviT1_.num_agpr, 0
	.set _ZN2at6native32elementwise_kernel_manual_unrollILi128ELi4EZNS0_22gpu_kernel_impl_nocastIZZZNS0_12_GLOBAL__N_142_validate_compressed_sparse_indices_kernelILNS3_8CDimNameE1ENS3_18CUDAKernelLauncherENS3_14EmptyVecKernelENS3_8DummyVecELm0EEEvRKNS_6TensorESB_lllENKUlvE0_clEvENKUlvE_clEvEUliE_EEvRNS_18TensorIteratorBaseERKT_EUlibE_EEviT1_.numbered_sgpr, 68
	.set _ZN2at6native32elementwise_kernel_manual_unrollILi128ELi4EZNS0_22gpu_kernel_impl_nocastIZZZNS0_12_GLOBAL__N_142_validate_compressed_sparse_indices_kernelILNS3_8CDimNameE1ENS3_18CUDAKernelLauncherENS3_14EmptyVecKernelENS3_8DummyVecELm0EEEvRKNS_6TensorESB_lllENKUlvE0_clEvENKUlvE_clEvEUliE_EEvRNS_18TensorIteratorBaseERKT_EUlibE_EEviT1_.num_named_barrier, 0
	.set _ZN2at6native32elementwise_kernel_manual_unrollILi128ELi4EZNS0_22gpu_kernel_impl_nocastIZZZNS0_12_GLOBAL__N_142_validate_compressed_sparse_indices_kernelILNS3_8CDimNameE1ENS3_18CUDAKernelLauncherENS3_14EmptyVecKernelENS3_8DummyVecELm0EEEvRKNS_6TensorESB_lllENKUlvE0_clEvENKUlvE_clEvEUliE_EEvRNS_18TensorIteratorBaseERKT_EUlibE_EEviT1_.private_seg_size, 0
	.set _ZN2at6native32elementwise_kernel_manual_unrollILi128ELi4EZNS0_22gpu_kernel_impl_nocastIZZZNS0_12_GLOBAL__N_142_validate_compressed_sparse_indices_kernelILNS3_8CDimNameE1ENS3_18CUDAKernelLauncherENS3_14EmptyVecKernelENS3_8DummyVecELm0EEEvRKNS_6TensorESB_lllENKUlvE0_clEvENKUlvE_clEvEUliE_EEvRNS_18TensorIteratorBaseERKT_EUlibE_EEviT1_.uses_vcc, 1
	.set _ZN2at6native32elementwise_kernel_manual_unrollILi128ELi4EZNS0_22gpu_kernel_impl_nocastIZZZNS0_12_GLOBAL__N_142_validate_compressed_sparse_indices_kernelILNS3_8CDimNameE1ENS3_18CUDAKernelLauncherENS3_14EmptyVecKernelENS3_8DummyVecELm0EEEvRKNS_6TensorESB_lllENKUlvE0_clEvENKUlvE_clEvEUliE_EEvRNS_18TensorIteratorBaseERKT_EUlibE_EEviT1_.uses_flat_scratch, 0
	.set _ZN2at6native32elementwise_kernel_manual_unrollILi128ELi4EZNS0_22gpu_kernel_impl_nocastIZZZNS0_12_GLOBAL__N_142_validate_compressed_sparse_indices_kernelILNS3_8CDimNameE1ENS3_18CUDAKernelLauncherENS3_14EmptyVecKernelENS3_8DummyVecELm0EEEvRKNS_6TensorESB_lllENKUlvE0_clEvENKUlvE_clEvEUliE_EEvRNS_18TensorIteratorBaseERKT_EUlibE_EEviT1_.has_dyn_sized_stack, 0
	.set _ZN2at6native32elementwise_kernel_manual_unrollILi128ELi4EZNS0_22gpu_kernel_impl_nocastIZZZNS0_12_GLOBAL__N_142_validate_compressed_sparse_indices_kernelILNS3_8CDimNameE1ENS3_18CUDAKernelLauncherENS3_14EmptyVecKernelENS3_8DummyVecELm0EEEvRKNS_6TensorESB_lllENKUlvE0_clEvENKUlvE_clEvEUliE_EEvRNS_18TensorIteratorBaseERKT_EUlibE_EEviT1_.has_recursion, 0
	.set _ZN2at6native32elementwise_kernel_manual_unrollILi128ELi4EZNS0_22gpu_kernel_impl_nocastIZZZNS0_12_GLOBAL__N_142_validate_compressed_sparse_indices_kernelILNS3_8CDimNameE1ENS3_18CUDAKernelLauncherENS3_14EmptyVecKernelENS3_8DummyVecELm0EEEvRKNS_6TensorESB_lllENKUlvE0_clEvENKUlvE_clEvEUliE_EEvRNS_18TensorIteratorBaseERKT_EUlibE_EEviT1_.has_indirect_call, 0
	.section	.AMDGPU.csdata,"",@progbits
; Kernel info:
; codeLenInByte = 7196
; TotalNumSgprs: 70
; NumVgprs: 15
; ScratchSize: 0
; MemoryBound: 0
; FloatMode: 240
; IeeeMode: 1
; LDSByteSize: 0 bytes/workgroup (compile time only)
; SGPRBlocks: 0
; VGPRBlocks: 0
; NumSGPRsForWavesPerEU: 70
; NumVGPRsForWavesPerEU: 15
; NamedBarCnt: 0
; Occupancy: 16
; WaveLimiterHint : 1
; COMPUTE_PGM_RSRC2:SCRATCH_EN: 0
; COMPUTE_PGM_RSRC2:USER_SGPR: 2
; COMPUTE_PGM_RSRC2:TRAP_HANDLER: 0
; COMPUTE_PGM_RSRC2:TGID_X_EN: 1
; COMPUTE_PGM_RSRC2:TGID_Y_EN: 0
; COMPUTE_PGM_RSRC2:TGID_Z_EN: 0
; COMPUTE_PGM_RSRC2:TIDIG_COMP_CNT: 0
	.section	.text._ZN2at6native32elementwise_kernel_manual_unrollILi128ELi4EZNS0_15gpu_kernel_implIZZZNS0_12_GLOBAL__N_142_validate_compressed_sparse_indices_kernelILNS3_8CDimNameE1ENS3_18CUDAKernelLauncherENS3_14EmptyVecKernelENS3_8DummyVecELm0EEEvRKNS_6TensorESB_lllENKUlvE0_clEvENKUlvE_clEvEUliE_EEvRNS_18TensorIteratorBaseERKT_EUlibE_EEviT1_,"axG",@progbits,_ZN2at6native32elementwise_kernel_manual_unrollILi128ELi4EZNS0_15gpu_kernel_implIZZZNS0_12_GLOBAL__N_142_validate_compressed_sparse_indices_kernelILNS3_8CDimNameE1ENS3_18CUDAKernelLauncherENS3_14EmptyVecKernelENS3_8DummyVecELm0EEEvRKNS_6TensorESB_lllENKUlvE0_clEvENKUlvE_clEvEUliE_EEvRNS_18TensorIteratorBaseERKT_EUlibE_EEviT1_,comdat
	.globl	_ZN2at6native32elementwise_kernel_manual_unrollILi128ELi4EZNS0_15gpu_kernel_implIZZZNS0_12_GLOBAL__N_142_validate_compressed_sparse_indices_kernelILNS3_8CDimNameE1ENS3_18CUDAKernelLauncherENS3_14EmptyVecKernelENS3_8DummyVecELm0EEEvRKNS_6TensorESB_lllENKUlvE0_clEvENKUlvE_clEvEUliE_EEvRNS_18TensorIteratorBaseERKT_EUlibE_EEviT1_ ; -- Begin function _ZN2at6native32elementwise_kernel_manual_unrollILi128ELi4EZNS0_15gpu_kernel_implIZZZNS0_12_GLOBAL__N_142_validate_compressed_sparse_indices_kernelILNS3_8CDimNameE1ENS3_18CUDAKernelLauncherENS3_14EmptyVecKernelENS3_8DummyVecELm0EEEvRKNS_6TensorESB_lllENKUlvE0_clEvENKUlvE_clEvEUliE_EEvRNS_18TensorIteratorBaseERKT_EUlibE_EEviT1_
	.p2align	8
	.type	_ZN2at6native32elementwise_kernel_manual_unrollILi128ELi4EZNS0_15gpu_kernel_implIZZZNS0_12_GLOBAL__N_142_validate_compressed_sparse_indices_kernelILNS3_8CDimNameE1ENS3_18CUDAKernelLauncherENS3_14EmptyVecKernelENS3_8DummyVecELm0EEEvRKNS_6TensorESB_lllENKUlvE0_clEvENKUlvE_clEvEUliE_EEvRNS_18TensorIteratorBaseERKT_EUlibE_EEviT1_,@function
_ZN2at6native32elementwise_kernel_manual_unrollILi128ELi4EZNS0_15gpu_kernel_implIZZZNS0_12_GLOBAL__N_142_validate_compressed_sparse_indices_kernelILNS3_8CDimNameE1ENS3_18CUDAKernelLauncherENS3_14EmptyVecKernelENS3_8DummyVecELm0EEEvRKNS_6TensorESB_lllENKUlvE0_clEvENKUlvE_clEvEUliE_EEvRNS_18TensorIteratorBaseERKT_EUlibE_EEviT1_: ; @_ZN2at6native32elementwise_kernel_manual_unrollILi128ELi4EZNS0_15gpu_kernel_implIZZZNS0_12_GLOBAL__N_142_validate_compressed_sparse_indices_kernelILNS3_8CDimNameE1ENS3_18CUDAKernelLauncherENS3_14EmptyVecKernelENS3_8DummyVecELm0EEEvRKNS_6TensorESB_lllENKUlvE0_clEvENKUlvE_clEvEUliE_EEvRNS_18TensorIteratorBaseERKT_EUlibE_EEviT1_
; %bb.0:
	s_clause 0x1
	s_load_b96 s[12:14], s[0:1], 0x28
	s_load_b96 s[8:10], s[0:1], 0x18
	s_bfe_u32 s2, ttmp6, 0x4000c
	s_wait_kmcnt 0x0
	s_clause 0x1
	s_load_b32 s13, s[0:1], 0x0
	s_load_b128 s[4:7], s[0:1], 0x8
	s_add_co_i32 s2, s2, 1
	s_and_b32 s3, ttmp6, 15
	s_wait_xcnt 0x0
	s_mul_i32 s0, ttmp9, s2
	s_getreg_b32 s11, hwreg(HW_REG_IB_STS2, 6, 4)
	s_add_co_i32 s3, s3, s0
	s_mov_b32 s1, 0
	s_bfe_u32 s2, s14, 0x80008
	s_cmp_eq_u32 s11, 0
	s_mov_b32 s11, 0
	s_cselect_b32 s0, ttmp9, s3
	s_delay_alu instid0(SALU_CYCLE_1) | instskip(SKIP_1) | instid1(VALU_DEP_1)
	v_lshl_or_b32 v4, s0, 9, v0
	s_mov_b32 s0, exec_lo
	v_or_b32_e32 v0, 0x180, v4
	s_wait_kmcnt 0x0
	s_delay_alu instid0(VALU_DEP_1)
	v_cmpx_le_i32_e64 s13, v0
	s_xor_b32 s3, exec_lo, s0
	s_cbranch_execz .LBB102_894
; %bb.1:
	s_get_pc_i64 s[22:23]
	s_add_nc_u64 s[22:23], s[22:23], .str.5@rel64+4
	s_mov_b32 s21, -1
	s_cmp_lg_u64 s[22:23], 0
	s_mov_b32 s19, 0
	s_mov_b32 s17, 0
	s_mov_b32 s16, 0
	s_cselect_b32 s11, -1, 0
	s_mov_b32 s15, 0
	s_mov_b32 s18, exec_lo
	v_cmpx_gt_i32_e64 s13, v4
	s_cbranch_execz .LBB102_221
; %bb.2:
	v_mul_lo_u32 v0, v4, s9
	s_and_b32 s0, 0xffff, s2
	s_delay_alu instid0(SALU_CYCLE_1) | instskip(NEXT) | instid1(VALU_DEP_1)
	s_cmp_lt_i32 s0, 11
	v_ashrrev_i32_e32 v1, 31, v0
	s_delay_alu instid0(VALU_DEP_1)
	v_add_nc_u64_e32 v[0:1], s[6:7], v[0:1]
	s_cbranch_scc1 .LBB102_9
; %bb.3:
	s_cmp_gt_i32 s0, 25
	s_cbranch_scc0 .LBB102_19
; %bb.4:
	s_cmp_gt_i32 s0, 28
	s_cbranch_scc0 .LBB102_23
	;; [unrolled: 3-line block ×4, first 2 shown]
; %bb.7:
	s_cmp_eq_u32 s0, 46
	s_cbranch_scc0 .LBB102_29
; %bb.8:
	global_load_b32 v2, v[0:1], off
	s_mov_b32 s15, -1
	s_wait_loadcnt 0x0
	v_lshlrev_b32_e32 v2, 16, v2
	s_delay_alu instid0(VALU_DEP_1)
	v_cvt_i32_f32_e32 v2, v2
	s_branch .LBB102_31
.LBB102_9:
                                        ; implicit-def: $vgpr2
	s_cbranch_execnz .LBB102_91
.LBB102_10:
	s_and_not1_b32 vcc_lo, exec_lo, s15
	s_cbranch_vccnz .LBB102_138
.LBB102_11:
	s_wait_loadcnt 0x0
	s_delay_alu instid0(VALU_DEP_1)
	v_cmp_le_i32_e32 vcc_lo, s10, v2
	v_cmp_gt_i32_e64 s0, s12, v2
	s_mov_b32 s16, -1
	s_mov_b32 s20, 0
	s_mov_b32 s15, 0
	s_and_b32 s0, vcc_lo, s0
	s_delay_alu instid0(SALU_CYCLE_1) | instskip(NEXT) | instid1(SALU_CYCLE_1)
	s_and_b32 s21, s11, s0
	s_and_saveexec_b32 s0, s21
	s_cbranch_execz .LBB102_219
; %bb.12:
	v_mul_lo_u32 v0, v4, s8
	s_and_b32 s16, s14, 0xff
	s_delay_alu instid0(SALU_CYCLE_1) | instskip(NEXT) | instid1(VALU_DEP_1)
	s_cmp_lt_i32 s16, 11
	v_ashrrev_i32_e32 v1, 31, v0
	s_delay_alu instid0(VALU_DEP_1)
	v_add_nc_u64_e32 v[0:1], s[4:5], v[0:1]
	s_cbranch_scc1 .LBB102_20
; %bb.13:
	s_and_b32 s20, 0xffff, s16
	s_delay_alu instid0(SALU_CYCLE_1)
	s_cmp_gt_i32 s20, 25
	s_cbranch_scc0 .LBB102_24
; %bb.14:
	s_cmp_gt_i32 s20, 28
	s_cbranch_scc0 .LBB102_26
; %bb.15:
	;; [unrolled: 3-line block ×4, first 2 shown]
	s_mov_b32 s22, 0
	s_mov_b32 s15, -1
	s_cmp_eq_u32 s20, 46
	s_mov_b32 s21, 0
	s_cbranch_scc0 .LBB102_140
; %bb.18:
	v_mov_b32_e32 v2, 0
	s_mov_b32 s21, -1
	s_mov_b32 s15, 0
	global_store_b32 v[0:1], v2, off
	s_branch .LBB102_140
.LBB102_19:
                                        ; implicit-def: $vgpr2
	s_cbranch_execnz .LBB102_58
	s_branch .LBB102_90
.LBB102_20:
	s_mov_b32 s21, 0
	s_cbranch_execnz .LBB102_179
.LBB102_21:
	s_and_not1_b32 vcc_lo, exec_lo, s21
	s_cbranch_vccnz .LBB102_217
.LBB102_22:
	v_add_nc_u32_e32 v4, 0x80, v4
	s_mov_b32 s20, -1
	s_branch .LBB102_218
.LBB102_23:
	s_mov_b32 s16, -1
                                        ; implicit-def: $vgpr2
	s_branch .LBB102_41
.LBB102_24:
	s_mov_b32 s22, -1
	s_mov_b32 s21, 0
	s_branch .LBB102_159
.LBB102_25:
	s_mov_b32 s16, -1
                                        ; implicit-def: $vgpr2
	s_branch .LBB102_36
.LBB102_26:
	s_mov_b32 s22, -1
	s_mov_b32 s21, 0
	s_branch .LBB102_148
.LBB102_27:
	s_mov_b32 s16, -1
	s_branch .LBB102_30
.LBB102_28:
	s_mov_b32 s22, -1
	s_mov_b32 s21, 0
	s_branch .LBB102_144
.LBB102_29:
	s_mov_b32 s17, -1
.LBB102_30:
                                        ; implicit-def: $vgpr2
.LBB102_31:
	s_and_b32 vcc_lo, exec_lo, s16
	s_cbranch_vccz .LBB102_35
; %bb.32:
	s_cmp_eq_u32 s0, 44
	s_cbranch_scc0 .LBB102_34
; %bb.33:
	global_load_u8 v2, v[0:1], off
	s_mov_b32 s17, 0
	s_mov_b32 s15, -1
	s_wait_loadcnt 0x0
	v_lshlrev_b32_e32 v3, 23, v2
	v_cmp_ne_u32_e32 vcc_lo, 0, v2
	s_delay_alu instid0(VALU_DEP_2) | instskip(NEXT) | instid1(VALU_DEP_1)
	v_cvt_i32_f32_e32 v3, v3
	v_cndmask_b32_e32 v2, 0, v3, vcc_lo
	s_branch .LBB102_35
.LBB102_34:
	s_mov_b32 s17, -1
                                        ; implicit-def: $vgpr2
.LBB102_35:
	s_mov_b32 s16, 0
.LBB102_36:
	s_delay_alu instid0(SALU_CYCLE_1)
	s_and_b32 vcc_lo, exec_lo, s16
	s_cbranch_vccz .LBB102_40
; %bb.37:
	s_cmp_eq_u32 s0, 29
	s_cbranch_scc0 .LBB102_39
; %bb.38:
	global_load_b32 v2, v[0:1], off
	s_mov_b32 s15, -1
	s_mov_b32 s17, 0
	s_branch .LBB102_40
.LBB102_39:
	s_mov_b32 s17, -1
                                        ; implicit-def: $vgpr2
.LBB102_40:
	s_mov_b32 s16, 0
.LBB102_41:
	s_delay_alu instid0(SALU_CYCLE_1)
	s_and_b32 vcc_lo, exec_lo, s16
	s_cbranch_vccz .LBB102_57
; %bb.42:
	s_cmp_lt_i32 s0, 27
	s_cbranch_scc1 .LBB102_45
; %bb.43:
	s_cmp_gt_i32 s0, 27
	s_cbranch_scc0 .LBB102_46
; %bb.44:
	s_wait_loadcnt 0x0
	global_load_b32 v2, v[0:1], off
	s_mov_b32 s15, 0
	s_branch .LBB102_47
.LBB102_45:
	s_mov_b32 s15, -1
                                        ; implicit-def: $vgpr2
	s_branch .LBB102_50
.LBB102_46:
	s_mov_b32 s15, -1
                                        ; implicit-def: $vgpr2
.LBB102_47:
	s_delay_alu instid0(SALU_CYCLE_1)
	s_and_not1_b32 vcc_lo, exec_lo, s15
	s_cbranch_vccnz .LBB102_49
; %bb.48:
	s_wait_loadcnt 0x0
	global_load_u16 v2, v[0:1], off
.LBB102_49:
	s_mov_b32 s15, 0
.LBB102_50:
	s_delay_alu instid0(SALU_CYCLE_1)
	s_and_not1_b32 vcc_lo, exec_lo, s15
	s_cbranch_vccnz .LBB102_56
; %bb.51:
	global_load_u8 v3, v[0:1], off
	s_mov_b32 s16, 0
	s_mov_b32 s15, exec_lo
	s_wait_loadcnt 0x0
	v_cmpx_lt_i16_e32 0x7f, v3
	s_xor_b32 s15, exec_lo, s15
	s_cbranch_execz .LBB102_67
; %bb.52:
	v_cmp_ne_u16_e32 vcc_lo, 0x80, v3
	s_and_b32 s16, vcc_lo, exec_lo
	s_and_not1_saveexec_b32 s15, s15
	s_cbranch_execnz .LBB102_68
.LBB102_53:
	s_or_b32 exec_lo, exec_lo, s15
	v_mov_b32_e32 v2, 0
	s_and_saveexec_b32 s15, s16
	s_cbranch_execz .LBB102_55
.LBB102_54:
	v_and_b32_e32 v2, 0xffff, v3
	s_delay_alu instid0(VALU_DEP_1) | instskip(SKIP_1) | instid1(VALU_DEP_2)
	v_dual_lshlrev_b32 v3, 24, v3 :: v_dual_bitop2_b32 v5, 7, v2 bitop3:0x40
	v_bfe_u32 v8, v2, 3, 4
	v_and_b32_e32 v3, 0x80000000, v3
	s_delay_alu instid0(VALU_DEP_3) | instskip(NEXT) | instid1(VALU_DEP_3)
	v_clz_i32_u32_e32 v6, v5
	v_cmp_eq_u32_e32 vcc_lo, 0, v8
	s_delay_alu instid0(VALU_DEP_2) | instskip(NEXT) | instid1(VALU_DEP_1)
	v_min_u32_e32 v6, 32, v6
	v_subrev_nc_u32_e32 v7, 28, v6
	v_sub_nc_u32_e32 v6, 29, v6
	s_delay_alu instid0(VALU_DEP_2) | instskip(NEXT) | instid1(VALU_DEP_2)
	v_lshlrev_b32_e32 v2, v7, v2
	v_cndmask_b32_e32 v6, v8, v6, vcc_lo
	s_delay_alu instid0(VALU_DEP_2) | instskip(NEXT) | instid1(VALU_DEP_1)
	v_and_b32_e32 v2, 7, v2
	v_cndmask_b32_e32 v2, v5, v2, vcc_lo
	s_delay_alu instid0(VALU_DEP_3) | instskip(NEXT) | instid1(VALU_DEP_2)
	v_lshl_add_u32 v5, v6, 23, 0x3b800000
	v_lshlrev_b32_e32 v2, 20, v2
	s_delay_alu instid0(VALU_DEP_1) | instskip(NEXT) | instid1(VALU_DEP_1)
	v_or3_b32 v2, v3, v5, v2
	v_cvt_i32_f32_e32 v2, v2
.LBB102_55:
	s_or_b32 exec_lo, exec_lo, s15
.LBB102_56:
	s_mov_b32 s15, -1
.LBB102_57:
	s_branch .LBB102_90
.LBB102_58:
	s_cmp_gt_i32 s0, 22
	s_cbranch_scc0 .LBB102_66
; %bb.59:
	s_cmp_lt_i32 s0, 24
	s_cbranch_scc1 .LBB102_69
; %bb.60:
	s_cmp_gt_i32 s0, 24
	s_cbranch_scc0 .LBB102_70
; %bb.61:
	global_load_u8 v3, v[0:1], off
	s_mov_b32 s16, 0
	s_mov_b32 s15, exec_lo
	s_wait_loadcnt 0x0
	v_cmpx_lt_i16_e32 0x7f, v3
	s_xor_b32 s15, exec_lo, s15
	s_cbranch_execz .LBB102_82
; %bb.62:
	v_cmp_ne_u16_e32 vcc_lo, 0x80, v3
	s_and_b32 s16, vcc_lo, exec_lo
	s_and_not1_saveexec_b32 s15, s15
	s_cbranch_execnz .LBB102_83
.LBB102_63:
	s_or_b32 exec_lo, exec_lo, s15
	v_mov_b32_e32 v2, 0
	s_and_saveexec_b32 s15, s16
	s_cbranch_execz .LBB102_65
.LBB102_64:
	v_and_b32_e32 v2, 0xffff, v3
	s_delay_alu instid0(VALU_DEP_1) | instskip(SKIP_1) | instid1(VALU_DEP_2)
	v_dual_lshlrev_b32 v3, 24, v3 :: v_dual_bitop2_b32 v5, 3, v2 bitop3:0x40
	v_bfe_u32 v8, v2, 2, 5
	v_and_b32_e32 v3, 0x80000000, v3
	s_delay_alu instid0(VALU_DEP_3) | instskip(NEXT) | instid1(VALU_DEP_3)
	v_clz_i32_u32_e32 v6, v5
	v_cmp_eq_u32_e32 vcc_lo, 0, v8
	s_delay_alu instid0(VALU_DEP_2) | instskip(NEXT) | instid1(VALU_DEP_1)
	v_min_u32_e32 v6, 32, v6
	v_subrev_nc_u32_e32 v7, 29, v6
	v_sub_nc_u32_e32 v6, 30, v6
	s_delay_alu instid0(VALU_DEP_2) | instskip(NEXT) | instid1(VALU_DEP_2)
	v_lshlrev_b32_e32 v2, v7, v2
	v_cndmask_b32_e32 v6, v8, v6, vcc_lo
	s_delay_alu instid0(VALU_DEP_2) | instskip(NEXT) | instid1(VALU_DEP_1)
	v_and_b32_e32 v2, 3, v2
	v_cndmask_b32_e32 v2, v5, v2, vcc_lo
	s_delay_alu instid0(VALU_DEP_3) | instskip(NEXT) | instid1(VALU_DEP_2)
	v_lshl_add_u32 v5, v6, 23, 0x37800000
	v_lshlrev_b32_e32 v2, 21, v2
	s_delay_alu instid0(VALU_DEP_1) | instskip(NEXT) | instid1(VALU_DEP_1)
	v_or3_b32 v2, v3, v5, v2
	v_cvt_i32_f32_e32 v2, v2
.LBB102_65:
	s_or_b32 exec_lo, exec_lo, s15
	s_mov_b32 s15, 0
	s_branch .LBB102_71
.LBB102_66:
	s_mov_b32 s16, -1
                                        ; implicit-def: $vgpr2
	s_branch .LBB102_77
.LBB102_67:
	s_and_not1_saveexec_b32 s15, s15
	s_cbranch_execz .LBB102_53
.LBB102_68:
	v_cmp_ne_u16_e32 vcc_lo, 0, v3
	s_and_not1_b32 s16, s16, exec_lo
	s_and_b32 s20, vcc_lo, exec_lo
	s_delay_alu instid0(SALU_CYCLE_1)
	s_or_b32 s16, s16, s20
	s_or_b32 exec_lo, exec_lo, s15
	v_mov_b32_e32 v2, 0
	s_and_saveexec_b32 s15, s16
	s_cbranch_execnz .LBB102_54
	s_branch .LBB102_55
.LBB102_69:
	s_mov_b32 s15, -1
                                        ; implicit-def: $vgpr2
	s_branch .LBB102_74
.LBB102_70:
	s_mov_b32 s15, -1
                                        ; implicit-def: $vgpr2
.LBB102_71:
	s_delay_alu instid0(SALU_CYCLE_1)
	s_and_b32 vcc_lo, exec_lo, s15
	s_cbranch_vccz .LBB102_73
; %bb.72:
	s_wait_loadcnt 0x0
	global_load_u8 v2, v[0:1], off
	s_wait_loadcnt 0x0
	v_lshlrev_b32_e32 v2, 24, v2
	s_delay_alu instid0(VALU_DEP_1) | instskip(NEXT) | instid1(VALU_DEP_1)
	v_and_b32_e32 v3, 0x7f000000, v2
	v_clz_i32_u32_e32 v5, v3
	v_add_nc_u32_e32 v7, 0x1000000, v3
	v_cmp_ne_u32_e32 vcc_lo, 0, v3
	s_delay_alu instid0(VALU_DEP_3) | instskip(NEXT) | instid1(VALU_DEP_1)
	v_min_u32_e32 v5, 32, v5
	v_sub_nc_u32_e64 v5, v5, 4 clamp
	s_delay_alu instid0(VALU_DEP_1) | instskip(NEXT) | instid1(VALU_DEP_1)
	v_dual_lshlrev_b32 v6, v5, v3 :: v_dual_lshlrev_b32 v5, 23, v5
	v_lshrrev_b32_e32 v6, 4, v6
	s_delay_alu instid0(VALU_DEP_1) | instskip(NEXT) | instid1(VALU_DEP_1)
	v_dual_sub_nc_u32 v5, v6, v5 :: v_dual_ashrrev_i32 v6, 8, v7
	v_add_nc_u32_e32 v5, 0x3c000000, v5
	s_delay_alu instid0(VALU_DEP_1) | instskip(NEXT) | instid1(VALU_DEP_1)
	v_and_or_b32 v5, 0x7f800000, v6, v5
	v_cndmask_b32_e32 v3, 0, v5, vcc_lo
	s_delay_alu instid0(VALU_DEP_1) | instskip(NEXT) | instid1(VALU_DEP_1)
	v_and_or_b32 v2, 0x80000000, v2, v3
	v_cvt_i32_f32_e32 v2, v2
.LBB102_73:
	s_mov_b32 s15, 0
.LBB102_74:
	s_delay_alu instid0(SALU_CYCLE_1)
	s_and_not1_b32 vcc_lo, exec_lo, s15
	s_cbranch_vccnz .LBB102_76
; %bb.75:
	s_wait_loadcnt 0x0
	global_load_u8 v2, v[0:1], off
	s_wait_loadcnt 0x0
	v_lshlrev_b32_e32 v3, 25, v2
	v_lshlrev_b16 v2, 8, v2
	s_delay_alu instid0(VALU_DEP_2) | instskip(NEXT) | instid1(VALU_DEP_2)
	v_cmp_gt_u32_e32 vcc_lo, 0x8000000, v3
	v_and_or_b32 v6, 0x7f00, v2, 0.5
	v_lshrrev_b32_e32 v5, 4, v3
	v_bfe_i32 v2, v2, 0, 16
	s_delay_alu instid0(VALU_DEP_3) | instskip(NEXT) | instid1(VALU_DEP_3)
	v_add_f32_e32 v6, -0.5, v6
	v_or_b32_e32 v5, 0x70000000, v5
	s_delay_alu instid0(VALU_DEP_1) | instskip(NEXT) | instid1(VALU_DEP_1)
	v_mul_f32_e32 v5, 0x7800000, v5
	v_cndmask_b32_e32 v3, v5, v6, vcc_lo
	s_delay_alu instid0(VALU_DEP_1) | instskip(NEXT) | instid1(VALU_DEP_1)
	v_and_or_b32 v2, 0x80000000, v2, v3
	v_cvt_i32_f32_e32 v2, v2
.LBB102_76:
	s_mov_b32 s16, 0
	s_mov_b32 s15, -1
.LBB102_77:
	s_and_not1_b32 vcc_lo, exec_lo, s16
	s_cbranch_vccnz .LBB102_90
; %bb.78:
	s_cmp_gt_i32 s0, 14
	s_cbranch_scc0 .LBB102_81
; %bb.79:
	s_cmp_eq_u32 s0, 15
	s_cbranch_scc0 .LBB102_84
; %bb.80:
	s_wait_loadcnt 0x0
	global_load_u16 v2, v[0:1], off
	s_mov_b32 s15, -1
	s_mov_b32 s17, 0
	s_wait_loadcnt 0x0
	v_lshlrev_b32_e32 v2, 16, v2
	s_delay_alu instid0(VALU_DEP_1)
	v_cvt_i32_f32_e32 v2, v2
	s_branch .LBB102_85
.LBB102_81:
	s_mov_b32 s16, -1
                                        ; implicit-def: $vgpr2
	s_branch .LBB102_86
.LBB102_82:
	s_and_not1_saveexec_b32 s15, s15
	s_cbranch_execz .LBB102_63
.LBB102_83:
	v_cmp_ne_u16_e32 vcc_lo, 0, v3
	s_and_not1_b32 s16, s16, exec_lo
	s_and_b32 s20, vcc_lo, exec_lo
	s_delay_alu instid0(SALU_CYCLE_1)
	s_or_b32 s16, s16, s20
	s_or_b32 exec_lo, exec_lo, s15
	v_mov_b32_e32 v2, 0
	s_and_saveexec_b32 s15, s16
	s_cbranch_execnz .LBB102_64
	s_branch .LBB102_65
.LBB102_84:
	s_mov_b32 s17, -1
                                        ; implicit-def: $vgpr2
.LBB102_85:
	s_mov_b32 s16, 0
.LBB102_86:
	s_delay_alu instid0(SALU_CYCLE_1)
	s_and_b32 vcc_lo, exec_lo, s16
	s_cbranch_vccz .LBB102_90
; %bb.87:
	s_cmp_eq_u32 s0, 11
	s_cbranch_scc0 .LBB102_89
; %bb.88:
	s_wait_loadcnt 0x0
	global_load_u8 v2, v[0:1], off
	s_mov_b32 s17, 0
	s_mov_b32 s15, -1
	s_wait_loadcnt 0x0
	v_cmp_ne_u16_e32 vcc_lo, 0, v2
	v_cndmask_b32_e64 v2, 0, 1, vcc_lo
	s_branch .LBB102_90
.LBB102_89:
	s_mov_b32 s17, -1
                                        ; implicit-def: $vgpr2
.LBB102_90:
	s_branch .LBB102_10
.LBB102_91:
	s_cmp_lt_i32 s0, 5
	s_cbranch_scc1 .LBB102_96
; %bb.92:
	s_cmp_lt_i32 s0, 8
	s_cbranch_scc1 .LBB102_97
; %bb.93:
	;; [unrolled: 3-line block ×3, first 2 shown]
	s_cmp_gt_i32 s0, 9
	s_cbranch_scc0 .LBB102_99
; %bb.95:
	s_wait_loadcnt 0x0
	global_load_b64 v[2:3], v[0:1], off
	s_mov_b32 s15, 0
	s_wait_loadcnt 0x0
	v_cvt_i32_f64_e32 v2, v[2:3]
	s_branch .LBB102_100
.LBB102_96:
                                        ; implicit-def: $vgpr2
	s_branch .LBB102_118
.LBB102_97:
	s_mov_b32 s15, -1
                                        ; implicit-def: $vgpr2
	s_branch .LBB102_106
.LBB102_98:
	s_mov_b32 s15, -1
                                        ; implicit-def: $vgpr2
	s_branch .LBB102_103
.LBB102_99:
	s_mov_b32 s15, -1
                                        ; implicit-def: $vgpr2
.LBB102_100:
	s_delay_alu instid0(SALU_CYCLE_1)
	s_and_not1_b32 vcc_lo, exec_lo, s15
	s_cbranch_vccnz .LBB102_102
; %bb.101:
	s_wait_loadcnt 0x0
	global_load_b32 v2, v[0:1], off
	s_wait_loadcnt 0x0
	v_cvt_i32_f32_e32 v2, v2
.LBB102_102:
	s_mov_b32 s15, 0
.LBB102_103:
	s_delay_alu instid0(SALU_CYCLE_1)
	s_and_not1_b32 vcc_lo, exec_lo, s15
	s_cbranch_vccnz .LBB102_105
; %bb.104:
	s_wait_loadcnt 0x0
	global_load_b32 v2, v[0:1], off
	s_wait_loadcnt 0x0
	v_cvt_f32_f16_e32 v2, v2
	s_delay_alu instid0(VALU_DEP_1)
	v_cvt_i32_f32_e32 v2, v2
.LBB102_105:
	s_mov_b32 s15, 0
.LBB102_106:
	s_delay_alu instid0(SALU_CYCLE_1)
	s_and_not1_b32 vcc_lo, exec_lo, s15
	s_cbranch_vccnz .LBB102_117
; %bb.107:
	s_cmp_lt_i32 s0, 6
	s_cbranch_scc1 .LBB102_110
; %bb.108:
	s_cmp_gt_i32 s0, 6
	s_cbranch_scc0 .LBB102_111
; %bb.109:
	s_wait_loadcnt 0x0
	global_load_b64 v[2:3], v[0:1], off
	s_mov_b32 s15, 0
	s_wait_loadcnt 0x0
	v_cvt_i32_f64_e32 v2, v[2:3]
	s_branch .LBB102_112
.LBB102_110:
	s_mov_b32 s15, -1
                                        ; implicit-def: $vgpr2
	s_branch .LBB102_115
.LBB102_111:
	s_mov_b32 s15, -1
                                        ; implicit-def: $vgpr2
.LBB102_112:
	s_delay_alu instid0(SALU_CYCLE_1)
	s_and_not1_b32 vcc_lo, exec_lo, s15
	s_cbranch_vccnz .LBB102_114
; %bb.113:
	s_wait_loadcnt 0x0
	global_load_b32 v2, v[0:1], off
	s_wait_loadcnt 0x0
	v_cvt_i32_f32_e32 v2, v2
.LBB102_114:
	s_mov_b32 s15, 0
.LBB102_115:
	s_delay_alu instid0(SALU_CYCLE_1)
	s_and_not1_b32 vcc_lo, exec_lo, s15
	s_cbranch_vccnz .LBB102_117
; %bb.116:
	s_wait_loadcnt 0x0
	global_load_u16 v2, v[0:1], off
	s_wait_loadcnt 0x0
	v_cvt_f32_f16_e32 v2, v2
	s_delay_alu instid0(VALU_DEP_1)
	v_cvt_i32_f32_e32 v2, v2
.LBB102_117:
	s_cbranch_execnz .LBB102_137
.LBB102_118:
	s_cmp_lt_i32 s0, 2
	s_cbranch_scc1 .LBB102_122
; %bb.119:
	s_cmp_lt_i32 s0, 3
	s_cbranch_scc1 .LBB102_123
; %bb.120:
	s_cmp_gt_i32 s0, 3
	s_cbranch_scc0 .LBB102_124
; %bb.121:
	s_wait_loadcnt 0x0
	global_load_b32 v2, v[0:1], off
	s_mov_b32 s15, 0
	s_branch .LBB102_125
.LBB102_122:
	s_mov_b32 s15, -1
                                        ; implicit-def: $vgpr2
	s_branch .LBB102_131
.LBB102_123:
	s_mov_b32 s15, -1
                                        ; implicit-def: $vgpr2
	s_branch .LBB102_128
.LBB102_124:
	s_mov_b32 s15, -1
                                        ; implicit-def: $vgpr2
.LBB102_125:
	s_delay_alu instid0(SALU_CYCLE_1)
	s_and_not1_b32 vcc_lo, exec_lo, s15
	s_cbranch_vccnz .LBB102_127
; %bb.126:
	s_wait_loadcnt 0x0
	global_load_b32 v2, v[0:1], off
.LBB102_127:
	s_mov_b32 s15, 0
.LBB102_128:
	s_delay_alu instid0(SALU_CYCLE_1)
	s_and_not1_b32 vcc_lo, exec_lo, s15
	s_cbranch_vccnz .LBB102_130
; %bb.129:
	s_wait_loadcnt 0x0
	global_load_i16 v2, v[0:1], off
.LBB102_130:
	s_mov_b32 s15, 0
.LBB102_131:
	s_delay_alu instid0(SALU_CYCLE_1)
	s_and_not1_b32 vcc_lo, exec_lo, s15
	s_cbranch_vccnz .LBB102_137
; %bb.132:
	s_cmp_gt_i32 s0, 0
	s_mov_b32 s0, 0
	s_cbranch_scc0 .LBB102_134
; %bb.133:
	s_wait_loadcnt 0x0
	global_load_i8 v2, v[0:1], off
	s_branch .LBB102_135
.LBB102_134:
	s_mov_b32 s0, -1
                                        ; implicit-def: $vgpr2
.LBB102_135:
	s_delay_alu instid0(SALU_CYCLE_1)
	s_and_not1_b32 vcc_lo, exec_lo, s0
	s_cbranch_vccnz .LBB102_137
; %bb.136:
	s_wait_loadcnt 0x0
	global_load_u8 v2, v[0:1], off
.LBB102_137:
	s_branch .LBB102_11
.LBB102_138:
	s_mov_b32 s20, 0
	s_mov_b32 s16, 0
	;; [unrolled: 1-line block ×3, first 2 shown]
                                        ; implicit-def: $vgpr4
	s_branch .LBB102_220
.LBB102_139:
	s_mov_b32 s22, -1
	s_mov_b32 s21, 0
.LBB102_140:
	s_and_b32 vcc_lo, exec_lo, s22
	s_cbranch_vccz .LBB102_143
; %bb.141:
	s_cmp_eq_u32 s20, 44
	s_mov_b32 s15, -1
	s_cbranch_scc0 .LBB102_143
; %bb.142:
	s_wait_xcnt 0x0
	v_mov_b32_e32 v2, 0
	s_mov_b32 s21, -1
	s_mov_b32 s15, 0
	s_mov_b32 s22, 0
	global_store_b8 v[0:1], v2, off
	s_branch .LBB102_144
.LBB102_143:
	s_mov_b32 s22, 0
.LBB102_144:
	s_delay_alu instid0(SALU_CYCLE_1)
	s_and_b32 vcc_lo, exec_lo, s22
	s_cbranch_vccz .LBB102_147
; %bb.145:
	s_cmp_eq_u32 s20, 29
	s_mov_b32 s15, -1
	s_cbranch_scc0 .LBB102_147
; %bb.146:
	s_wait_xcnt 0x0
	v_mov_b64_e32 v[2:3], 0
	s_mov_b32 s21, -1
	s_mov_b32 s15, 0
	s_mov_b32 s22, 0
	global_store_b64 v[0:1], v[2:3], off
	s_branch .LBB102_148
.LBB102_147:
	s_mov_b32 s22, 0
.LBB102_148:
	s_delay_alu instid0(SALU_CYCLE_1)
	s_and_b32 vcc_lo, exec_lo, s22
	s_cbranch_vccz .LBB102_158
; %bb.149:
	s_cmp_lt_i32 s20, 27
	s_mov_b32 s21, -1
	s_cbranch_scc1 .LBB102_155
; %bb.150:
	s_cmp_gt_i32 s20, 27
	s_cbranch_scc0 .LBB102_152
; %bb.151:
	s_wait_xcnt 0x0
	v_mov_b32_e32 v2, 0
	s_mov_b32 s21, 0
	global_store_b32 v[0:1], v2, off
.LBB102_152:
	s_and_not1_b32 vcc_lo, exec_lo, s21
	s_cbranch_vccnz .LBB102_154
; %bb.153:
	s_wait_xcnt 0x0
	v_mov_b32_e32 v2, 0
	global_store_b16 v[0:1], v2, off
.LBB102_154:
	s_mov_b32 s21, 0
.LBB102_155:
	s_delay_alu instid0(SALU_CYCLE_1)
	s_and_not1_b32 vcc_lo, exec_lo, s21
	s_cbranch_vccnz .LBB102_157
; %bb.156:
	s_wait_xcnt 0x0
	v_mov_b32_e32 v2, 0
	global_store_b8 v[0:1], v2, off
.LBB102_157:
	s_mov_b32 s21, -1
.LBB102_158:
	s_mov_b32 s22, 0
.LBB102_159:
	s_delay_alu instid0(SALU_CYCLE_1)
	s_and_b32 vcc_lo, exec_lo, s22
	s_cbranch_vccz .LBB102_178
; %bb.160:
	s_cmp_gt_i32 s20, 22
	s_mov_b32 s22, -1
	s_cbranch_scc0 .LBB102_170
; %bb.161:
	s_cmp_lt_i32 s20, 24
	s_mov_b32 s21, -1
	s_cbranch_scc1 .LBB102_167
; %bb.162:
	s_cmp_gt_i32 s20, 24
	s_cbranch_scc0 .LBB102_164
; %bb.163:
	s_wait_xcnt 0x0
	v_mov_b32_e32 v2, 0
	s_mov_b32 s21, 0
	global_store_b8 v[0:1], v2, off
.LBB102_164:
	s_and_not1_b32 vcc_lo, exec_lo, s21
	s_cbranch_vccnz .LBB102_166
; %bb.165:
	s_wait_xcnt 0x0
	v_mov_b32_e32 v2, 0
	global_store_b8 v[0:1], v2, off
.LBB102_166:
	s_mov_b32 s21, 0
.LBB102_167:
	s_delay_alu instid0(SALU_CYCLE_1)
	s_and_not1_b32 vcc_lo, exec_lo, s21
	s_cbranch_vccnz .LBB102_169
; %bb.168:
	s_wait_xcnt 0x0
	v_mov_b32_e32 v2, 0
	global_store_b8 v[0:1], v2, off
.LBB102_169:
	s_mov_b32 s22, 0
	s_mov_b32 s21, -1
.LBB102_170:
	s_and_not1_b32 vcc_lo, exec_lo, s22
	s_cbranch_vccnz .LBB102_178
; %bb.171:
	s_cmp_gt_i32 s20, 14
	s_mov_b32 s22, -1
	s_cbranch_scc0 .LBB102_175
; %bb.172:
	s_cmp_eq_u32 s20, 15
	s_mov_b32 s15, -1
	s_cbranch_scc0 .LBB102_174
; %bb.173:
	s_wait_xcnt 0x0
	v_mov_b32_e32 v2, 0
	s_mov_b32 s21, -1
	s_mov_b32 s15, 0
	global_store_b16 v[0:1], v2, off
.LBB102_174:
	s_mov_b32 s22, 0
.LBB102_175:
	s_delay_alu instid0(SALU_CYCLE_1)
	s_and_b32 vcc_lo, exec_lo, s22
	s_cbranch_vccz .LBB102_178
; %bb.176:
	s_cmp_eq_u32 s20, 11
	s_mov_b32 s15, -1
	s_cbranch_scc0 .LBB102_178
; %bb.177:
	s_wait_xcnt 0x0
	v_mov_b32_e32 v2, 0
	s_mov_b32 s21, -1
	s_mov_b32 s15, 0
	global_store_b8 v[0:1], v2, off
.LBB102_178:
	s_branch .LBB102_21
.LBB102_179:
	s_and_b32 s16, 0xffff, s16
	s_mov_b32 s20, -1
	s_cmp_lt_i32 s16, 5
	s_cbranch_scc1 .LBB102_200
; %bb.180:
	s_cmp_lt_i32 s16, 8
	s_cbranch_scc1 .LBB102_190
; %bb.181:
	;; [unrolled: 3-line block ×3, first 2 shown]
	s_cmp_gt_i32 s16, 9
	s_cbranch_scc0 .LBB102_184
; %bb.183:
	v_mov_b32_e32 v6, 0
	s_mov_b32 s20, 0
	s_delay_alu instid0(VALU_DEP_1)
	v_dual_mov_b32 v7, v6 :: v_dual_mov_b32 v8, v6
	v_mov_b32_e32 v9, v6
	global_store_b128 v[0:1], v[6:9], off
.LBB102_184:
	s_and_not1_b32 vcc_lo, exec_lo, s20
	s_cbranch_vccnz .LBB102_186
; %bb.185:
	s_wait_xcnt 0x0
	v_mov_b64_e32 v[2:3], 0
	global_store_b64 v[0:1], v[2:3], off
.LBB102_186:
	s_mov_b32 s20, 0
.LBB102_187:
	s_delay_alu instid0(SALU_CYCLE_1)
	s_and_not1_b32 vcc_lo, exec_lo, s20
	s_cbranch_vccnz .LBB102_189
; %bb.188:
	s_wait_xcnt 0x0
	v_mov_b32_e32 v2, 0
	global_store_b32 v[0:1], v2, off
.LBB102_189:
	s_mov_b32 s20, 0
.LBB102_190:
	s_delay_alu instid0(SALU_CYCLE_1)
	s_and_not1_b32 vcc_lo, exec_lo, s20
	s_cbranch_vccnz .LBB102_199
; %bb.191:
	s_cmp_lt_i32 s16, 6
	s_mov_b32 s20, -1
	s_cbranch_scc1 .LBB102_197
; %bb.192:
	s_cmp_gt_i32 s16, 6
	s_cbranch_scc0 .LBB102_194
; %bb.193:
	s_wait_xcnt 0x0
	v_mov_b64_e32 v[2:3], 0
	s_mov_b32 s20, 0
	global_store_b64 v[0:1], v[2:3], off
.LBB102_194:
	s_and_not1_b32 vcc_lo, exec_lo, s20
	s_cbranch_vccnz .LBB102_196
; %bb.195:
	s_wait_xcnt 0x0
	v_mov_b32_e32 v2, 0
	global_store_b32 v[0:1], v2, off
.LBB102_196:
	s_mov_b32 s20, 0
.LBB102_197:
	s_delay_alu instid0(SALU_CYCLE_1)
	s_and_not1_b32 vcc_lo, exec_lo, s20
	s_cbranch_vccnz .LBB102_199
; %bb.198:
	s_wait_xcnt 0x0
	v_mov_b32_e32 v2, 0
	global_store_b16 v[0:1], v2, off
.LBB102_199:
	s_mov_b32 s20, 0
.LBB102_200:
	s_delay_alu instid0(SALU_CYCLE_1)
	s_and_not1_b32 vcc_lo, exec_lo, s20
	s_cbranch_vccnz .LBB102_216
; %bb.201:
	s_cmp_lt_i32 s16, 2
	s_mov_b32 s20, -1
	s_cbranch_scc1 .LBB102_211
; %bb.202:
	s_cmp_lt_i32 s16, 3
	s_cbranch_scc1 .LBB102_208
; %bb.203:
	s_cmp_gt_i32 s16, 3
	s_cbranch_scc0 .LBB102_205
; %bb.204:
	s_wait_xcnt 0x0
	v_mov_b64_e32 v[2:3], 0
	s_mov_b32 s20, 0
	global_store_b64 v[0:1], v[2:3], off
.LBB102_205:
	s_and_not1_b32 vcc_lo, exec_lo, s20
	s_cbranch_vccnz .LBB102_207
; %bb.206:
	s_wait_xcnt 0x0
	v_mov_b32_e32 v2, 0
	global_store_b32 v[0:1], v2, off
.LBB102_207:
	s_mov_b32 s20, 0
.LBB102_208:
	s_delay_alu instid0(SALU_CYCLE_1)
	s_and_not1_b32 vcc_lo, exec_lo, s20
	s_cbranch_vccnz .LBB102_210
; %bb.209:
	s_wait_xcnt 0x0
	v_mov_b32_e32 v2, 0
	global_store_b16 v[0:1], v2, off
.LBB102_210:
	s_mov_b32 s20, 0
.LBB102_211:
	s_delay_alu instid0(SALU_CYCLE_1)
	s_and_not1_b32 vcc_lo, exec_lo, s20
	s_cbranch_vccnz .LBB102_216
; %bb.212:
	s_cmp_gt_i32 s16, 0
	s_mov_b32 s16, -1
	s_cbranch_scc0 .LBB102_214
; %bb.213:
	s_wait_xcnt 0x0
	v_mov_b32_e32 v2, 0
	s_mov_b32 s16, 0
	global_store_b8 v[0:1], v2, off
.LBB102_214:
	s_and_not1_b32 vcc_lo, exec_lo, s16
	s_cbranch_vccnz .LBB102_216
; %bb.215:
	s_wait_xcnt 0x0
	v_mov_b32_e32 v2, 0
	global_store_b8 v[0:1], v2, off
.LBB102_216:
	s_branch .LBB102_22
.LBB102_217:
	s_mov_b32 s20, 0
                                        ; implicit-def: $vgpr4
.LBB102_218:
	s_and_b32 s15, s15, exec_lo
	s_xor_b32 s16, exec_lo, -1
	s_and_b32 s20, s20, exec_lo
.LBB102_219:
	s_wait_xcnt 0x0
	s_or_b32 exec_lo, exec_lo, s0
.LBB102_220:
	s_delay_alu instid0(SALU_CYCLE_1)
	s_and_b32 s15, s15, exec_lo
	s_and_b32 s16, s16, exec_lo
	;; [unrolled: 1-line block ×3, first 2 shown]
	s_or_not1_b32 s21, s20, exec_lo
.LBB102_221:
	s_wait_xcnt 0x0
	s_or_b32 exec_lo, exec_lo, s18
	s_mov_b32 s20, 0
	s_mov_b32 s0, 0
                                        ; implicit-def: $vgpr0_vgpr1
                                        ; implicit-def: $vgpr2
	s_and_saveexec_b32 s18, s21
	s_cbranch_execz .LBB102_230
; %bb.222:
	s_mov_b32 s0, -1
	s_mov_b32 s19, s17
	s_mov_b32 s21, s16
	;; [unrolled: 1-line block ×3, first 2 shown]
	s_mov_b32 s22, exec_lo
	v_cmpx_gt_i32_e64 s13, v4
	s_cbranch_execz .LBB102_448
; %bb.223:
	v_mul_lo_u32 v0, v4, s9
	s_and_b32 s0, 0xffff, s2
	s_delay_alu instid0(SALU_CYCLE_1) | instskip(NEXT) | instid1(VALU_DEP_1)
	s_cmp_lt_i32 s0, 11
	v_ashrrev_i32_e32 v1, 31, v0
	s_delay_alu instid0(VALU_DEP_1)
	v_add_nc_u64_e32 v[0:1], s[6:7], v[0:1]
	s_cbranch_scc1 .LBB102_233
; %bb.224:
	s_cmp_gt_i32 s0, 25
	s_cbranch_scc0 .LBB102_243
; %bb.225:
	s_cmp_gt_i32 s0, 28
	s_cbranch_scc0 .LBB102_245
	;; [unrolled: 3-line block ×4, first 2 shown]
; %bb.228:
	s_cmp_eq_u32 s0, 46
	s_mov_b32 s21, 0
	s_cbranch_scc0 .LBB102_251
; %bb.229:
	s_wait_loadcnt 0x0
	global_load_b32 v2, v[0:1], off
	s_mov_b32 s20, -1
	s_mov_b32 s19, 0
	s_wait_loadcnt 0x0
	v_lshlrev_b32_e32 v2, 16, v2
	s_delay_alu instid0(VALU_DEP_1)
	v_cvt_i32_f32_e32 v2, v2
	s_branch .LBB102_253
.LBB102_230:
	s_or_b32 exec_lo, exec_lo, s18
	s_mov_b32 s13, 0
	s_and_saveexec_b32 s18, s17
	s_cbranch_execnz .LBB102_752
.LBB102_231:
	s_or_b32 exec_lo, exec_lo, s18
	s_and_saveexec_b32 s17, s19
	s_delay_alu instid0(SALU_CYCLE_1)
	s_xor_b32 s17, exec_lo, s17
	s_cbranch_execz .LBB102_753
.LBB102_232:
	s_wait_loadcnt 0x0
	global_load_u8 v2, v[0:1], off
	s_or_b32 s0, s0, exec_lo
	s_wait_loadcnt 0x0
	v_cmp_ne_u16_e32 vcc_lo, 0, v2
	v_cndmask_b32_e64 v2, 0, 1, vcc_lo
	s_wait_xcnt 0x0
	s_or_b32 exec_lo, exec_lo, s17
	s_and_saveexec_b32 s17, s20
	s_cbranch_execz .LBB102_799
	s_branch .LBB102_754
.LBB102_233:
	s_mov_b32 s20, 0
	s_mov_b32 s19, s17
                                        ; implicit-def: $vgpr2
	s_cbranch_execnz .LBB102_314
.LBB102_234:
	s_and_not1_b32 vcc_lo, exec_lo, s20
	s_cbranch_vccnz .LBB102_362
.LBB102_235:
	s_wait_loadcnt 0x0
	s_delay_alu instid0(VALU_DEP_1)
	v_cmp_le_i32_e32 vcc_lo, s10, v2
	v_cmp_gt_i32_e64 s0, s12, v2
	s_mov_b32 s23, 0
	s_mov_b32 s21, -1
	s_mov_b32 s20, s15
	s_and_b32 s0, vcc_lo, s0
	s_delay_alu instid0(SALU_CYCLE_1)
	s_and_b32 s24, s11, s0
	s_wait_xcnt 0x0
	s_and_saveexec_b32 s0, s24
	s_cbranch_execz .LBB102_446
; %bb.236:
	v_mul_lo_u32 v0, v4, s8
	s_and_b32 s21, s14, 0xff
	s_delay_alu instid0(SALU_CYCLE_1) | instskip(NEXT) | instid1(VALU_DEP_1)
	s_cmp_lt_i32 s21, 11
	v_ashrrev_i32_e32 v1, 31, v0
	s_delay_alu instid0(VALU_DEP_1)
	v_add_nc_u64_e32 v[0:1], s[4:5], v[0:1]
	s_cbranch_scc1 .LBB102_244
; %bb.237:
	s_and_b32 s23, 0xffff, s21
	s_delay_alu instid0(SALU_CYCLE_1)
	s_cmp_gt_i32 s23, 25
	s_cbranch_scc0 .LBB102_246
; %bb.238:
	s_cmp_gt_i32 s23, 28
	s_cbranch_scc0 .LBB102_248
; %bb.239:
	;; [unrolled: 3-line block ×4, first 2 shown]
	s_mov_b32 s25, 0
	s_mov_b32 s20, -1
	s_cmp_eq_u32 s23, 46
	s_mov_b32 s24, 0
	s_cbranch_scc0 .LBB102_364
; %bb.242:
	v_mov_b32_e32 v2, 0
	s_mov_b32 s24, -1
	s_mov_b32 s20, 0
	global_store_b32 v[0:1], v2, off
	s_branch .LBB102_364
.LBB102_243:
	s_mov_b32 s21, -1
	s_mov_b32 s20, 0
	s_mov_b32 s19, s17
                                        ; implicit-def: $vgpr2
	s_branch .LBB102_280
.LBB102_244:
	s_mov_b32 s23, -1
	s_mov_b32 s24, 0
	s_mov_b32 s20, s15
	s_branch .LBB102_403
.LBB102_245:
	s_mov_b32 s21, -1
	s_mov_b32 s20, 0
	s_mov_b32 s19, s17
                                        ; implicit-def: $vgpr2
	s_branch .LBB102_263
.LBB102_246:
	s_mov_b32 s25, -1
	s_mov_b32 s24, 0
	s_mov_b32 s20, s15
	s_branch .LBB102_383
.LBB102_247:
	s_mov_b32 s21, -1
	s_mov_b32 s20, 0
	s_mov_b32 s19, s17
                                        ; implicit-def: $vgpr2
	s_branch .LBB102_258
.LBB102_248:
	s_mov_b32 s25, -1
	s_mov_b32 s24, 0
	s_mov_b32 s20, s15
	s_branch .LBB102_372
.LBB102_249:
	s_mov_b32 s21, -1
	s_mov_b32 s20, 0
	s_mov_b32 s19, s17
	s_branch .LBB102_252
.LBB102_250:
	s_mov_b32 s25, -1
	s_mov_b32 s24, 0
	s_mov_b32 s20, s15
	s_branch .LBB102_368
.LBB102_251:
	s_mov_b32 s19, -1
	s_mov_b32 s20, 0
.LBB102_252:
                                        ; implicit-def: $vgpr2
.LBB102_253:
	s_and_b32 vcc_lo, exec_lo, s21
	s_cbranch_vccz .LBB102_257
; %bb.254:
	s_cmp_eq_u32 s0, 44
	s_cbranch_scc0 .LBB102_256
; %bb.255:
	s_wait_loadcnt 0x0
	global_load_u8 v2, v[0:1], off
	s_mov_b32 s19, 0
	s_mov_b32 s20, -1
	s_wait_loadcnt 0x0
	v_lshlrev_b32_e32 v3, 23, v2
	v_cmp_ne_u32_e32 vcc_lo, 0, v2
	s_delay_alu instid0(VALU_DEP_2) | instskip(NEXT) | instid1(VALU_DEP_1)
	v_cvt_i32_f32_e32 v3, v3
	v_cndmask_b32_e32 v2, 0, v3, vcc_lo
	s_branch .LBB102_257
.LBB102_256:
	s_mov_b32 s19, -1
                                        ; implicit-def: $vgpr2
.LBB102_257:
	s_mov_b32 s21, 0
.LBB102_258:
	s_delay_alu instid0(SALU_CYCLE_1)
	s_and_b32 vcc_lo, exec_lo, s21
	s_cbranch_vccz .LBB102_262
; %bb.259:
	s_cmp_eq_u32 s0, 29
	s_cbranch_scc0 .LBB102_261
; %bb.260:
	s_wait_loadcnt 0x0
	global_load_b32 v2, v[0:1], off
	s_mov_b32 s20, -1
	s_mov_b32 s19, 0
	s_branch .LBB102_262
.LBB102_261:
	s_mov_b32 s19, -1
                                        ; implicit-def: $vgpr2
.LBB102_262:
	s_mov_b32 s21, 0
.LBB102_263:
	s_delay_alu instid0(SALU_CYCLE_1)
	s_and_b32 vcc_lo, exec_lo, s21
	s_cbranch_vccz .LBB102_279
; %bb.264:
	s_cmp_lt_i32 s0, 27
	s_cbranch_scc1 .LBB102_267
; %bb.265:
	s_cmp_gt_i32 s0, 27
	s_cbranch_scc0 .LBB102_268
; %bb.266:
	s_wait_loadcnt 0x0
	global_load_b32 v2, v[0:1], off
	s_mov_b32 s20, 0
	s_branch .LBB102_269
.LBB102_267:
	s_mov_b32 s20, -1
                                        ; implicit-def: $vgpr2
	s_branch .LBB102_272
.LBB102_268:
	s_mov_b32 s20, -1
                                        ; implicit-def: $vgpr2
.LBB102_269:
	s_delay_alu instid0(SALU_CYCLE_1)
	s_and_not1_b32 vcc_lo, exec_lo, s20
	s_cbranch_vccnz .LBB102_271
; %bb.270:
	s_wait_loadcnt 0x0
	global_load_u16 v2, v[0:1], off
.LBB102_271:
	s_mov_b32 s20, 0
.LBB102_272:
	s_delay_alu instid0(SALU_CYCLE_1)
	s_and_not1_b32 vcc_lo, exec_lo, s20
	s_cbranch_vccnz .LBB102_278
; %bb.273:
	global_load_u8 v3, v[0:1], off
	s_mov_b32 s21, 0
	s_mov_b32 s20, exec_lo
	s_wait_loadcnt 0x0
	v_cmpx_lt_i16_e32 0x7f, v3
	s_xor_b32 s20, exec_lo, s20
	s_cbranch_execz .LBB102_290
; %bb.274:
	v_cmp_ne_u16_e32 vcc_lo, 0x80, v3
	s_and_b32 s21, vcc_lo, exec_lo
	s_and_not1_saveexec_b32 s20, s20
	s_cbranch_execnz .LBB102_291
.LBB102_275:
	s_or_b32 exec_lo, exec_lo, s20
	v_mov_b32_e32 v2, 0
	s_and_saveexec_b32 s20, s21
	s_cbranch_execz .LBB102_277
.LBB102_276:
	v_and_b32_e32 v2, 0xffff, v3
	s_delay_alu instid0(VALU_DEP_1) | instskip(SKIP_1) | instid1(VALU_DEP_2)
	v_dual_lshlrev_b32 v3, 24, v3 :: v_dual_bitop2_b32 v5, 7, v2 bitop3:0x40
	v_bfe_u32 v8, v2, 3, 4
	v_and_b32_e32 v3, 0x80000000, v3
	s_delay_alu instid0(VALU_DEP_3) | instskip(NEXT) | instid1(VALU_DEP_3)
	v_clz_i32_u32_e32 v6, v5
	v_cmp_eq_u32_e32 vcc_lo, 0, v8
	s_delay_alu instid0(VALU_DEP_2) | instskip(NEXT) | instid1(VALU_DEP_1)
	v_min_u32_e32 v6, 32, v6
	v_subrev_nc_u32_e32 v7, 28, v6
	v_sub_nc_u32_e32 v6, 29, v6
	s_delay_alu instid0(VALU_DEP_2) | instskip(NEXT) | instid1(VALU_DEP_2)
	v_lshlrev_b32_e32 v2, v7, v2
	v_cndmask_b32_e32 v6, v8, v6, vcc_lo
	s_delay_alu instid0(VALU_DEP_2) | instskip(NEXT) | instid1(VALU_DEP_1)
	v_and_b32_e32 v2, 7, v2
	v_cndmask_b32_e32 v2, v5, v2, vcc_lo
	s_delay_alu instid0(VALU_DEP_3) | instskip(NEXT) | instid1(VALU_DEP_2)
	v_lshl_add_u32 v5, v6, 23, 0x3b800000
	v_lshlrev_b32_e32 v2, 20, v2
	s_delay_alu instid0(VALU_DEP_1) | instskip(NEXT) | instid1(VALU_DEP_1)
	v_or3_b32 v2, v3, v5, v2
	v_cvt_i32_f32_e32 v2, v2
.LBB102_277:
	s_or_b32 exec_lo, exec_lo, s20
.LBB102_278:
	s_mov_b32 s20, -1
.LBB102_279:
	s_mov_b32 s21, 0
.LBB102_280:
	s_delay_alu instid0(SALU_CYCLE_1)
	s_and_b32 vcc_lo, exec_lo, s21
	s_cbranch_vccz .LBB102_313
; %bb.281:
	s_cmp_gt_i32 s0, 22
	s_cbranch_scc0 .LBB102_289
; %bb.282:
	s_cmp_lt_i32 s0, 24
	s_cbranch_scc1 .LBB102_292
; %bb.283:
	s_cmp_gt_i32 s0, 24
	s_cbranch_scc0 .LBB102_293
; %bb.284:
	global_load_u8 v3, v[0:1], off
	s_mov_b32 s21, 0
	s_mov_b32 s20, exec_lo
	s_wait_loadcnt 0x0
	v_cmpx_lt_i16_e32 0x7f, v3
	s_xor_b32 s20, exec_lo, s20
	s_cbranch_execz .LBB102_305
; %bb.285:
	v_cmp_ne_u16_e32 vcc_lo, 0x80, v3
	s_and_b32 s21, vcc_lo, exec_lo
	s_and_not1_saveexec_b32 s20, s20
	s_cbranch_execnz .LBB102_306
.LBB102_286:
	s_or_b32 exec_lo, exec_lo, s20
	v_mov_b32_e32 v2, 0
	s_and_saveexec_b32 s20, s21
	s_cbranch_execz .LBB102_288
.LBB102_287:
	v_and_b32_e32 v2, 0xffff, v3
	s_delay_alu instid0(VALU_DEP_1) | instskip(SKIP_1) | instid1(VALU_DEP_2)
	v_dual_lshlrev_b32 v3, 24, v3 :: v_dual_bitop2_b32 v5, 3, v2 bitop3:0x40
	v_bfe_u32 v8, v2, 2, 5
	v_and_b32_e32 v3, 0x80000000, v3
	s_delay_alu instid0(VALU_DEP_3) | instskip(NEXT) | instid1(VALU_DEP_3)
	v_clz_i32_u32_e32 v6, v5
	v_cmp_eq_u32_e32 vcc_lo, 0, v8
	s_delay_alu instid0(VALU_DEP_2) | instskip(NEXT) | instid1(VALU_DEP_1)
	v_min_u32_e32 v6, 32, v6
	v_subrev_nc_u32_e32 v7, 29, v6
	v_sub_nc_u32_e32 v6, 30, v6
	s_delay_alu instid0(VALU_DEP_2) | instskip(NEXT) | instid1(VALU_DEP_2)
	v_lshlrev_b32_e32 v2, v7, v2
	v_cndmask_b32_e32 v6, v8, v6, vcc_lo
	s_delay_alu instid0(VALU_DEP_2) | instskip(NEXT) | instid1(VALU_DEP_1)
	v_and_b32_e32 v2, 3, v2
	v_cndmask_b32_e32 v2, v5, v2, vcc_lo
	s_delay_alu instid0(VALU_DEP_3) | instskip(NEXT) | instid1(VALU_DEP_2)
	v_lshl_add_u32 v5, v6, 23, 0x37800000
	v_lshlrev_b32_e32 v2, 21, v2
	s_delay_alu instid0(VALU_DEP_1) | instskip(NEXT) | instid1(VALU_DEP_1)
	v_or3_b32 v2, v3, v5, v2
	v_cvt_i32_f32_e32 v2, v2
.LBB102_288:
	s_or_b32 exec_lo, exec_lo, s20
	s_mov_b32 s20, 0
	s_branch .LBB102_294
.LBB102_289:
	s_mov_b32 s21, -1
                                        ; implicit-def: $vgpr2
	s_branch .LBB102_300
.LBB102_290:
	s_and_not1_saveexec_b32 s20, s20
	s_cbranch_execz .LBB102_275
.LBB102_291:
	v_cmp_ne_u16_e32 vcc_lo, 0, v3
	s_and_not1_b32 s21, s21, exec_lo
	s_and_b32 s23, vcc_lo, exec_lo
	s_delay_alu instid0(SALU_CYCLE_1)
	s_or_b32 s21, s21, s23
	s_or_b32 exec_lo, exec_lo, s20
	v_mov_b32_e32 v2, 0
	s_and_saveexec_b32 s20, s21
	s_cbranch_execnz .LBB102_276
	s_branch .LBB102_277
.LBB102_292:
	s_mov_b32 s20, -1
                                        ; implicit-def: $vgpr2
	s_branch .LBB102_297
.LBB102_293:
	s_mov_b32 s20, -1
                                        ; implicit-def: $vgpr2
.LBB102_294:
	s_delay_alu instid0(SALU_CYCLE_1)
	s_and_b32 vcc_lo, exec_lo, s20
	s_cbranch_vccz .LBB102_296
; %bb.295:
	s_wait_loadcnt 0x0
	global_load_u8 v2, v[0:1], off
	s_wait_loadcnt 0x0
	v_lshlrev_b32_e32 v2, 24, v2
	s_delay_alu instid0(VALU_DEP_1) | instskip(NEXT) | instid1(VALU_DEP_1)
	v_and_b32_e32 v3, 0x7f000000, v2
	v_clz_i32_u32_e32 v5, v3
	v_add_nc_u32_e32 v7, 0x1000000, v3
	v_cmp_ne_u32_e32 vcc_lo, 0, v3
	s_delay_alu instid0(VALU_DEP_3) | instskip(NEXT) | instid1(VALU_DEP_1)
	v_min_u32_e32 v5, 32, v5
	v_sub_nc_u32_e64 v5, v5, 4 clamp
	s_delay_alu instid0(VALU_DEP_1) | instskip(NEXT) | instid1(VALU_DEP_1)
	v_dual_lshlrev_b32 v6, v5, v3 :: v_dual_lshlrev_b32 v5, 23, v5
	v_lshrrev_b32_e32 v6, 4, v6
	s_delay_alu instid0(VALU_DEP_1) | instskip(NEXT) | instid1(VALU_DEP_1)
	v_dual_sub_nc_u32 v5, v6, v5 :: v_dual_ashrrev_i32 v6, 8, v7
	v_add_nc_u32_e32 v5, 0x3c000000, v5
	s_delay_alu instid0(VALU_DEP_1) | instskip(NEXT) | instid1(VALU_DEP_1)
	v_and_or_b32 v5, 0x7f800000, v6, v5
	v_cndmask_b32_e32 v3, 0, v5, vcc_lo
	s_delay_alu instid0(VALU_DEP_1) | instskip(NEXT) | instid1(VALU_DEP_1)
	v_and_or_b32 v2, 0x80000000, v2, v3
	v_cvt_i32_f32_e32 v2, v2
.LBB102_296:
	s_mov_b32 s20, 0
.LBB102_297:
	s_delay_alu instid0(SALU_CYCLE_1)
	s_and_not1_b32 vcc_lo, exec_lo, s20
	s_cbranch_vccnz .LBB102_299
; %bb.298:
	s_wait_loadcnt 0x0
	global_load_u8 v2, v[0:1], off
	s_wait_loadcnt 0x0
	v_lshlrev_b32_e32 v3, 25, v2
	v_lshlrev_b16 v2, 8, v2
	s_delay_alu instid0(VALU_DEP_2) | instskip(NEXT) | instid1(VALU_DEP_2)
	v_cmp_gt_u32_e32 vcc_lo, 0x8000000, v3
	v_and_or_b32 v6, 0x7f00, v2, 0.5
	v_lshrrev_b32_e32 v5, 4, v3
	v_bfe_i32 v2, v2, 0, 16
	s_delay_alu instid0(VALU_DEP_3) | instskip(NEXT) | instid1(VALU_DEP_3)
	v_add_f32_e32 v6, -0.5, v6
	v_or_b32_e32 v5, 0x70000000, v5
	s_delay_alu instid0(VALU_DEP_1) | instskip(NEXT) | instid1(VALU_DEP_1)
	v_mul_f32_e32 v5, 0x7800000, v5
	v_cndmask_b32_e32 v3, v5, v6, vcc_lo
	s_delay_alu instid0(VALU_DEP_1) | instskip(NEXT) | instid1(VALU_DEP_1)
	v_and_or_b32 v2, 0x80000000, v2, v3
	v_cvt_i32_f32_e32 v2, v2
.LBB102_299:
	s_mov_b32 s21, 0
	s_mov_b32 s20, -1
.LBB102_300:
	s_and_not1_b32 vcc_lo, exec_lo, s21
	s_cbranch_vccnz .LBB102_313
; %bb.301:
	s_cmp_gt_i32 s0, 14
	s_cbranch_scc0 .LBB102_304
; %bb.302:
	s_cmp_eq_u32 s0, 15
	s_cbranch_scc0 .LBB102_307
; %bb.303:
	s_wait_loadcnt 0x0
	global_load_u16 v2, v[0:1], off
	s_mov_b32 s20, -1
	s_mov_b32 s19, 0
	s_wait_loadcnt 0x0
	v_lshlrev_b32_e32 v2, 16, v2
	s_delay_alu instid0(VALU_DEP_1)
	v_cvt_i32_f32_e32 v2, v2
	s_branch .LBB102_308
.LBB102_304:
	s_mov_b32 s21, -1
                                        ; implicit-def: $vgpr2
	s_branch .LBB102_309
.LBB102_305:
	s_and_not1_saveexec_b32 s20, s20
	s_cbranch_execz .LBB102_286
.LBB102_306:
	v_cmp_ne_u16_e32 vcc_lo, 0, v3
	s_and_not1_b32 s21, s21, exec_lo
	s_and_b32 s23, vcc_lo, exec_lo
	s_delay_alu instid0(SALU_CYCLE_1)
	s_or_b32 s21, s21, s23
	s_or_b32 exec_lo, exec_lo, s20
	v_mov_b32_e32 v2, 0
	s_and_saveexec_b32 s20, s21
	s_cbranch_execnz .LBB102_287
	s_branch .LBB102_288
.LBB102_307:
	s_mov_b32 s19, -1
                                        ; implicit-def: $vgpr2
.LBB102_308:
	s_mov_b32 s21, 0
.LBB102_309:
	s_delay_alu instid0(SALU_CYCLE_1)
	s_and_b32 vcc_lo, exec_lo, s21
	s_cbranch_vccz .LBB102_313
; %bb.310:
	s_cmp_eq_u32 s0, 11
	s_cbranch_scc0 .LBB102_312
; %bb.311:
	s_wait_loadcnt 0x0
	global_load_u8 v2, v[0:1], off
	s_mov_b32 s19, 0
	s_mov_b32 s20, -1
	s_wait_loadcnt 0x0
	v_cmp_ne_u16_e32 vcc_lo, 0, v2
	v_cndmask_b32_e64 v2, 0, 1, vcc_lo
	s_branch .LBB102_313
.LBB102_312:
	s_mov_b32 s19, -1
                                        ; implicit-def: $vgpr2
.LBB102_313:
	s_branch .LBB102_234
.LBB102_314:
	s_cmp_lt_i32 s0, 5
	s_cbranch_scc1 .LBB102_319
; %bb.315:
	s_cmp_lt_i32 s0, 8
	s_cbranch_scc1 .LBB102_320
; %bb.316:
	;; [unrolled: 3-line block ×3, first 2 shown]
	s_cmp_gt_i32 s0, 9
	s_cbranch_scc0 .LBB102_322
; %bb.318:
	s_wait_loadcnt 0x0
	global_load_b64 v[2:3], v[0:1], off
	s_mov_b32 s20, 0
	s_wait_loadcnt 0x0
	v_cvt_i32_f64_e32 v2, v[2:3]
	s_branch .LBB102_323
.LBB102_319:
	s_mov_b32 s20, -1
                                        ; implicit-def: $vgpr2
	s_branch .LBB102_341
.LBB102_320:
	s_mov_b32 s20, -1
                                        ; implicit-def: $vgpr2
	s_branch .LBB102_329
.LBB102_321:
	s_mov_b32 s20, -1
                                        ; implicit-def: $vgpr2
	s_branch .LBB102_326
.LBB102_322:
	s_mov_b32 s20, -1
                                        ; implicit-def: $vgpr2
.LBB102_323:
	s_delay_alu instid0(SALU_CYCLE_1)
	s_and_not1_b32 vcc_lo, exec_lo, s20
	s_cbranch_vccnz .LBB102_325
; %bb.324:
	s_wait_loadcnt 0x0
	global_load_b32 v2, v[0:1], off
	s_wait_loadcnt 0x0
	v_cvt_i32_f32_e32 v2, v2
.LBB102_325:
	s_mov_b32 s20, 0
.LBB102_326:
	s_delay_alu instid0(SALU_CYCLE_1)
	s_and_not1_b32 vcc_lo, exec_lo, s20
	s_cbranch_vccnz .LBB102_328
; %bb.327:
	s_wait_loadcnt 0x0
	global_load_b32 v2, v[0:1], off
	s_wait_loadcnt 0x0
	v_cvt_f32_f16_e32 v2, v2
	s_delay_alu instid0(VALU_DEP_1)
	v_cvt_i32_f32_e32 v2, v2
.LBB102_328:
	s_mov_b32 s20, 0
.LBB102_329:
	s_delay_alu instid0(SALU_CYCLE_1)
	s_and_not1_b32 vcc_lo, exec_lo, s20
	s_cbranch_vccnz .LBB102_340
; %bb.330:
	s_cmp_lt_i32 s0, 6
	s_cbranch_scc1 .LBB102_333
; %bb.331:
	s_cmp_gt_i32 s0, 6
	s_cbranch_scc0 .LBB102_334
; %bb.332:
	s_wait_loadcnt 0x0
	global_load_b64 v[2:3], v[0:1], off
	s_mov_b32 s20, 0
	s_wait_loadcnt 0x0
	v_cvt_i32_f64_e32 v2, v[2:3]
	s_branch .LBB102_335
.LBB102_333:
	s_mov_b32 s20, -1
                                        ; implicit-def: $vgpr2
	s_branch .LBB102_338
.LBB102_334:
	s_mov_b32 s20, -1
                                        ; implicit-def: $vgpr2
.LBB102_335:
	s_delay_alu instid0(SALU_CYCLE_1)
	s_and_not1_b32 vcc_lo, exec_lo, s20
	s_cbranch_vccnz .LBB102_337
; %bb.336:
	s_wait_loadcnt 0x0
	global_load_b32 v2, v[0:1], off
	s_wait_loadcnt 0x0
	v_cvt_i32_f32_e32 v2, v2
.LBB102_337:
	s_mov_b32 s20, 0
.LBB102_338:
	s_delay_alu instid0(SALU_CYCLE_1)
	s_and_not1_b32 vcc_lo, exec_lo, s20
	s_cbranch_vccnz .LBB102_340
; %bb.339:
	s_wait_loadcnt 0x0
	global_load_u16 v2, v[0:1], off
	s_wait_loadcnt 0x0
	v_cvt_f32_f16_e32 v2, v2
	s_delay_alu instid0(VALU_DEP_1)
	v_cvt_i32_f32_e32 v2, v2
.LBB102_340:
	s_mov_b32 s20, 0
.LBB102_341:
	s_delay_alu instid0(SALU_CYCLE_1)
	s_and_not1_b32 vcc_lo, exec_lo, s20
	s_cbranch_vccnz .LBB102_361
; %bb.342:
	s_cmp_lt_i32 s0, 2
	s_cbranch_scc1 .LBB102_346
; %bb.343:
	s_cmp_lt_i32 s0, 3
	s_cbranch_scc1 .LBB102_347
; %bb.344:
	s_cmp_gt_i32 s0, 3
	s_cbranch_scc0 .LBB102_348
; %bb.345:
	s_wait_loadcnt 0x0
	global_load_b32 v2, v[0:1], off
	s_mov_b32 s20, 0
	s_branch .LBB102_349
.LBB102_346:
	s_mov_b32 s20, -1
                                        ; implicit-def: $vgpr2
	s_branch .LBB102_355
.LBB102_347:
	s_mov_b32 s20, -1
                                        ; implicit-def: $vgpr2
	s_branch .LBB102_352
.LBB102_348:
	s_mov_b32 s20, -1
                                        ; implicit-def: $vgpr2
.LBB102_349:
	s_delay_alu instid0(SALU_CYCLE_1)
	s_and_not1_b32 vcc_lo, exec_lo, s20
	s_cbranch_vccnz .LBB102_351
; %bb.350:
	s_wait_loadcnt 0x0
	global_load_b32 v2, v[0:1], off
.LBB102_351:
	s_mov_b32 s20, 0
.LBB102_352:
	s_delay_alu instid0(SALU_CYCLE_1)
	s_and_not1_b32 vcc_lo, exec_lo, s20
	s_cbranch_vccnz .LBB102_354
; %bb.353:
	s_wait_loadcnt 0x0
	global_load_i16 v2, v[0:1], off
.LBB102_354:
	s_mov_b32 s20, 0
.LBB102_355:
	s_delay_alu instid0(SALU_CYCLE_1)
	s_and_not1_b32 vcc_lo, exec_lo, s20
	s_cbranch_vccnz .LBB102_361
; %bb.356:
	s_cmp_gt_i32 s0, 0
	s_mov_b32 s0, 0
	s_cbranch_scc0 .LBB102_358
; %bb.357:
	s_wait_loadcnt 0x0
	global_load_i8 v2, v[0:1], off
	s_branch .LBB102_359
.LBB102_358:
	s_mov_b32 s0, -1
                                        ; implicit-def: $vgpr2
.LBB102_359:
	s_delay_alu instid0(SALU_CYCLE_1)
	s_and_not1_b32 vcc_lo, exec_lo, s0
	s_cbranch_vccnz .LBB102_361
; %bb.360:
	s_wait_loadcnt 0x0
	global_load_u8 v2, v[0:1], off
.LBB102_361:
	s_branch .LBB102_235
.LBB102_362:
	s_mov_b32 s23, 0
	s_mov_b32 s20, s15
	;; [unrolled: 1-line block ×3, first 2 shown]
                                        ; implicit-def: $vgpr4
	s_branch .LBB102_447
.LBB102_363:
	s_mov_b32 s25, -1
	s_mov_b32 s24, 0
	s_mov_b32 s20, s15
.LBB102_364:
	s_and_b32 vcc_lo, exec_lo, s25
	s_cbranch_vccz .LBB102_367
; %bb.365:
	s_cmp_eq_u32 s23, 44
	s_mov_b32 s20, -1
	s_cbranch_scc0 .LBB102_367
; %bb.366:
	s_wait_xcnt 0x0
	v_mov_b32_e32 v2, 0
	s_mov_b32 s24, -1
	s_mov_b32 s20, 0
	global_store_b8 v[0:1], v2, off
.LBB102_367:
	s_mov_b32 s25, 0
.LBB102_368:
	s_delay_alu instid0(SALU_CYCLE_1)
	s_and_b32 vcc_lo, exec_lo, s25
	s_cbranch_vccz .LBB102_371
; %bb.369:
	s_cmp_eq_u32 s23, 29
	s_mov_b32 s20, -1
	s_cbranch_scc0 .LBB102_371
; %bb.370:
	s_wait_xcnt 0x0
	v_mov_b64_e32 v[2:3], 0
	s_mov_b32 s24, -1
	s_mov_b32 s20, 0
	s_mov_b32 s25, 0
	global_store_b64 v[0:1], v[2:3], off
	s_branch .LBB102_372
.LBB102_371:
	s_mov_b32 s25, 0
.LBB102_372:
	s_delay_alu instid0(SALU_CYCLE_1)
	s_and_b32 vcc_lo, exec_lo, s25
	s_cbranch_vccz .LBB102_382
; %bb.373:
	s_cmp_lt_i32 s23, 27
	s_mov_b32 s24, -1
	s_cbranch_scc1 .LBB102_379
; %bb.374:
	s_cmp_gt_i32 s23, 27
	s_cbranch_scc0 .LBB102_376
; %bb.375:
	s_wait_xcnt 0x0
	v_mov_b32_e32 v2, 0
	s_mov_b32 s24, 0
	global_store_b32 v[0:1], v2, off
.LBB102_376:
	s_and_not1_b32 vcc_lo, exec_lo, s24
	s_cbranch_vccnz .LBB102_378
; %bb.377:
	s_wait_xcnt 0x0
	v_mov_b32_e32 v2, 0
	global_store_b16 v[0:1], v2, off
.LBB102_378:
	s_mov_b32 s24, 0
.LBB102_379:
	s_delay_alu instid0(SALU_CYCLE_1)
	s_and_not1_b32 vcc_lo, exec_lo, s24
	s_cbranch_vccnz .LBB102_381
; %bb.380:
	s_wait_xcnt 0x0
	v_mov_b32_e32 v2, 0
	global_store_b8 v[0:1], v2, off
.LBB102_381:
	s_mov_b32 s24, -1
.LBB102_382:
	s_mov_b32 s25, 0
.LBB102_383:
	s_delay_alu instid0(SALU_CYCLE_1)
	s_and_b32 vcc_lo, exec_lo, s25
	s_cbranch_vccz .LBB102_402
; %bb.384:
	s_cmp_gt_i32 s23, 22
	s_mov_b32 s25, -1
	s_cbranch_scc0 .LBB102_394
; %bb.385:
	s_cmp_lt_i32 s23, 24
	s_mov_b32 s24, -1
	s_cbranch_scc1 .LBB102_391
; %bb.386:
	s_cmp_gt_i32 s23, 24
	s_cbranch_scc0 .LBB102_388
; %bb.387:
	s_wait_xcnt 0x0
	v_mov_b32_e32 v2, 0
	s_mov_b32 s24, 0
	global_store_b8 v[0:1], v2, off
.LBB102_388:
	s_and_not1_b32 vcc_lo, exec_lo, s24
	s_cbranch_vccnz .LBB102_390
; %bb.389:
	s_wait_xcnt 0x0
	v_mov_b32_e32 v2, 0
	global_store_b8 v[0:1], v2, off
.LBB102_390:
	s_mov_b32 s24, 0
.LBB102_391:
	s_delay_alu instid0(SALU_CYCLE_1)
	s_and_not1_b32 vcc_lo, exec_lo, s24
	s_cbranch_vccnz .LBB102_393
; %bb.392:
	s_wait_xcnt 0x0
	v_mov_b32_e32 v2, 0
	global_store_b8 v[0:1], v2, off
.LBB102_393:
	s_mov_b32 s25, 0
	s_mov_b32 s24, -1
.LBB102_394:
	s_and_not1_b32 vcc_lo, exec_lo, s25
	s_cbranch_vccnz .LBB102_402
; %bb.395:
	s_cmp_gt_i32 s23, 14
	s_mov_b32 s25, -1
	s_cbranch_scc0 .LBB102_399
; %bb.396:
	s_cmp_eq_u32 s23, 15
	s_mov_b32 s20, -1
	s_cbranch_scc0 .LBB102_398
; %bb.397:
	s_wait_xcnt 0x0
	v_mov_b32_e32 v2, 0
	s_mov_b32 s24, -1
	s_mov_b32 s20, 0
	global_store_b16 v[0:1], v2, off
.LBB102_398:
	s_mov_b32 s25, 0
.LBB102_399:
	s_delay_alu instid0(SALU_CYCLE_1)
	s_and_b32 vcc_lo, exec_lo, s25
	s_cbranch_vccz .LBB102_402
; %bb.400:
	s_cmp_eq_u32 s23, 11
	s_mov_b32 s20, -1
	s_cbranch_scc0 .LBB102_402
; %bb.401:
	s_wait_xcnt 0x0
	v_mov_b32_e32 v2, 0
	s_mov_b32 s24, -1
	s_mov_b32 s20, 0
	global_store_b8 v[0:1], v2, off
.LBB102_402:
	s_mov_b32 s23, 0
.LBB102_403:
	s_delay_alu instid0(SALU_CYCLE_1)
	s_and_b32 vcc_lo, exec_lo, s23
	s_cbranch_vccz .LBB102_442
; %bb.404:
	s_and_b32 s21, 0xffff, s21
	s_mov_b32 s23, -1
	s_cmp_lt_i32 s21, 5
	s_cbranch_scc1 .LBB102_425
; %bb.405:
	s_cmp_lt_i32 s21, 8
	s_cbranch_scc1 .LBB102_415
; %bb.406:
	;; [unrolled: 3-line block ×3, first 2 shown]
	s_cmp_gt_i32 s21, 9
	s_cbranch_scc0 .LBB102_409
; %bb.408:
	v_mov_b32_e32 v6, 0
	s_mov_b32 s23, 0
	s_delay_alu instid0(VALU_DEP_1)
	v_dual_mov_b32 v7, v6 :: v_dual_mov_b32 v8, v6
	v_mov_b32_e32 v9, v6
	global_store_b128 v[0:1], v[6:9], off
.LBB102_409:
	s_and_not1_b32 vcc_lo, exec_lo, s23
	s_cbranch_vccnz .LBB102_411
; %bb.410:
	s_wait_xcnt 0x0
	v_mov_b64_e32 v[2:3], 0
	global_store_b64 v[0:1], v[2:3], off
.LBB102_411:
	s_mov_b32 s23, 0
.LBB102_412:
	s_delay_alu instid0(SALU_CYCLE_1)
	s_and_not1_b32 vcc_lo, exec_lo, s23
	s_cbranch_vccnz .LBB102_414
; %bb.413:
	s_wait_xcnt 0x0
	v_mov_b32_e32 v2, 0
	global_store_b32 v[0:1], v2, off
.LBB102_414:
	s_mov_b32 s23, 0
.LBB102_415:
	s_delay_alu instid0(SALU_CYCLE_1)
	s_and_not1_b32 vcc_lo, exec_lo, s23
	s_cbranch_vccnz .LBB102_424
; %bb.416:
	s_cmp_lt_i32 s21, 6
	s_mov_b32 s23, -1
	s_cbranch_scc1 .LBB102_422
; %bb.417:
	s_cmp_gt_i32 s21, 6
	s_cbranch_scc0 .LBB102_419
; %bb.418:
	s_wait_xcnt 0x0
	v_mov_b64_e32 v[2:3], 0
	s_mov_b32 s23, 0
	global_store_b64 v[0:1], v[2:3], off
.LBB102_419:
	s_and_not1_b32 vcc_lo, exec_lo, s23
	s_cbranch_vccnz .LBB102_421
; %bb.420:
	s_wait_xcnt 0x0
	v_mov_b32_e32 v2, 0
	global_store_b32 v[0:1], v2, off
.LBB102_421:
	s_mov_b32 s23, 0
.LBB102_422:
	s_delay_alu instid0(SALU_CYCLE_1)
	s_and_not1_b32 vcc_lo, exec_lo, s23
	s_cbranch_vccnz .LBB102_424
; %bb.423:
	s_wait_xcnt 0x0
	v_mov_b32_e32 v2, 0
	global_store_b16 v[0:1], v2, off
.LBB102_424:
	s_mov_b32 s23, 0
.LBB102_425:
	s_delay_alu instid0(SALU_CYCLE_1)
	s_and_not1_b32 vcc_lo, exec_lo, s23
	s_cbranch_vccnz .LBB102_441
; %bb.426:
	s_cmp_lt_i32 s21, 2
	s_mov_b32 s23, -1
	s_cbranch_scc1 .LBB102_436
; %bb.427:
	s_cmp_lt_i32 s21, 3
	s_cbranch_scc1 .LBB102_433
; %bb.428:
	s_cmp_gt_i32 s21, 3
	s_cbranch_scc0 .LBB102_430
; %bb.429:
	s_wait_xcnt 0x0
	v_mov_b64_e32 v[2:3], 0
	s_mov_b32 s23, 0
	global_store_b64 v[0:1], v[2:3], off
.LBB102_430:
	s_and_not1_b32 vcc_lo, exec_lo, s23
	s_cbranch_vccnz .LBB102_432
; %bb.431:
	s_wait_xcnt 0x0
	v_mov_b32_e32 v2, 0
	global_store_b32 v[0:1], v2, off
.LBB102_432:
	s_mov_b32 s23, 0
.LBB102_433:
	s_delay_alu instid0(SALU_CYCLE_1)
	s_and_not1_b32 vcc_lo, exec_lo, s23
	s_cbranch_vccnz .LBB102_435
; %bb.434:
	s_wait_xcnt 0x0
	v_mov_b32_e32 v2, 0
	global_store_b16 v[0:1], v2, off
.LBB102_435:
	s_mov_b32 s23, 0
.LBB102_436:
	s_delay_alu instid0(SALU_CYCLE_1)
	s_and_not1_b32 vcc_lo, exec_lo, s23
	s_cbranch_vccnz .LBB102_441
; %bb.437:
	s_cmp_gt_i32 s21, 0
	s_mov_b32 s21, -1
	s_cbranch_scc0 .LBB102_439
; %bb.438:
	s_wait_xcnt 0x0
	v_mov_b32_e32 v2, 0
	s_mov_b32 s21, 0
	global_store_b8 v[0:1], v2, off
.LBB102_439:
	s_and_not1_b32 vcc_lo, exec_lo, s21
	s_cbranch_vccnz .LBB102_441
; %bb.440:
	s_wait_xcnt 0x0
	v_mov_b32_e32 v2, 0
	global_store_b8 v[0:1], v2, off
.LBB102_441:
	s_mov_b32 s24, -1
.LBB102_442:
	s_delay_alu instid0(SALU_CYCLE_1)
	s_and_not1_b32 vcc_lo, exec_lo, s24
	s_cbranch_vccnz .LBB102_444
; %bb.443:
	v_add_nc_u32_e32 v4, 0x80, v4
	s_mov_b32 s23, -1
	s_branch .LBB102_445
.LBB102_444:
	s_mov_b32 s23, 0
                                        ; implicit-def: $vgpr4
.LBB102_445:
	s_and_not1_b32 s21, s15, exec_lo
	s_and_b32 s20, s20, exec_lo
	s_and_b32 s23, s23, exec_lo
	s_or_b32 s20, s21, s20
	s_xor_b32 s21, exec_lo, -1
.LBB102_446:
	s_wait_xcnt 0x0
	s_or_b32 exec_lo, exec_lo, s0
.LBB102_447:
	s_delay_alu instid0(SALU_CYCLE_1)
	s_and_not1_b32 s0, s15, exec_lo
	s_and_b32 s20, s20, exec_lo
	s_and_b32 s21, s21, exec_lo
	s_or_b32 s20, s0, s20
	s_and_not1_b32 s0, s16, exec_lo
	s_and_not1_b32 s24, s17, exec_lo
	s_and_b32 s19, s19, exec_lo
	s_or_b32 s21, s0, s21
	s_or_b32 s19, s24, s19
	s_or_not1_b32 s0, s23, exec_lo
.LBB102_448:
	s_wait_xcnt 0x0
	s_or_b32 exec_lo, exec_lo, s22
	s_mov_b32 s23, 0
	s_mov_b32 s24, 0
	;; [unrolled: 1-line block ×3, first 2 shown]
                                        ; implicit-def: $vgpr0_vgpr1
                                        ; implicit-def: $vgpr2
	s_and_saveexec_b32 s22, s0
	s_cbranch_execz .LBB102_751
; %bb.449:
	s_mov_b32 s29, -1
	s_mov_b32 s0, s19
	s_mov_b32 s24, s21
	s_mov_b32 s25, s20
	s_mov_b32 s23, exec_lo
	v_cmpx_gt_i32_e64 s13, v4
	s_cbranch_execz .LBB102_673
; %bb.450:
	v_mul_lo_u32 v0, v4, s9
	s_and_b32 s0, 0xffff, s2
	s_delay_alu instid0(SALU_CYCLE_1) | instskip(NEXT) | instid1(VALU_DEP_1)
	s_cmp_lt_i32 s0, 11
	v_ashrrev_i32_e32 v1, 31, v0
	s_delay_alu instid0(VALU_DEP_1)
	v_add_nc_u64_e32 v[0:1], s[6:7], v[0:1]
	s_cbranch_scc1 .LBB102_457
; %bb.451:
	s_cmp_gt_i32 s0, 25
	s_cbranch_scc0 .LBB102_458
; %bb.452:
	s_cmp_gt_i32 s0, 28
	s_cbranch_scc0 .LBB102_459
	;; [unrolled: 3-line block ×4, first 2 shown]
; %bb.455:
	s_cmp_eq_u32 s0, 46
	s_mov_b32 s26, 0
	s_cbranch_scc0 .LBB102_462
; %bb.456:
	s_wait_loadcnt 0x0
	global_load_b32 v2, v[0:1], off
	s_mov_b32 s25, -1
	s_mov_b32 s24, 0
	s_wait_loadcnt 0x0
	v_lshlrev_b32_e32 v2, 16, v2
	s_delay_alu instid0(VALU_DEP_1)
	v_cvt_i32_f32_e32 v2, v2
	s_branch .LBB102_464
.LBB102_457:
	s_mov_b32 s26, -1
	s_mov_b32 s25, 0
	s_mov_b32 s24, s19
                                        ; implicit-def: $vgpr2
	s_branch .LBB102_525
.LBB102_458:
	s_mov_b32 s26, -1
	s_mov_b32 s25, 0
	s_mov_b32 s24, s19
                                        ; implicit-def: $vgpr2
	s_branch .LBB102_491
.LBB102_459:
	s_mov_b32 s26, -1
	s_mov_b32 s25, 0
	s_mov_b32 s24, s19
                                        ; implicit-def: $vgpr2
	s_branch .LBB102_474
.LBB102_460:
	s_mov_b32 s26, -1
	s_mov_b32 s25, 0
	s_mov_b32 s24, s19
                                        ; implicit-def: $vgpr2
	s_branch .LBB102_469
.LBB102_461:
	s_mov_b32 s26, -1
	s_mov_b32 s25, 0
	s_mov_b32 s24, s19
	s_branch .LBB102_463
.LBB102_462:
	s_mov_b32 s24, -1
	s_mov_b32 s25, 0
.LBB102_463:
                                        ; implicit-def: $vgpr2
.LBB102_464:
	s_and_b32 vcc_lo, exec_lo, s26
	s_cbranch_vccz .LBB102_468
; %bb.465:
	s_cmp_eq_u32 s0, 44
	s_cbranch_scc0 .LBB102_467
; %bb.466:
	s_wait_loadcnt 0x0
	global_load_u8 v2, v[0:1], off
	s_mov_b32 s24, 0
	s_mov_b32 s25, -1
	s_wait_loadcnt 0x0
	v_lshlrev_b32_e32 v3, 23, v2
	v_cmp_ne_u32_e32 vcc_lo, 0, v2
	s_delay_alu instid0(VALU_DEP_2) | instskip(NEXT) | instid1(VALU_DEP_1)
	v_cvt_i32_f32_e32 v3, v3
	v_cndmask_b32_e32 v2, 0, v3, vcc_lo
	s_branch .LBB102_468
.LBB102_467:
	s_mov_b32 s24, -1
                                        ; implicit-def: $vgpr2
.LBB102_468:
	s_mov_b32 s26, 0
.LBB102_469:
	s_delay_alu instid0(SALU_CYCLE_1)
	s_and_b32 vcc_lo, exec_lo, s26
	s_cbranch_vccz .LBB102_473
; %bb.470:
	s_cmp_eq_u32 s0, 29
	s_cbranch_scc0 .LBB102_472
; %bb.471:
	s_wait_loadcnt 0x0
	global_load_b32 v2, v[0:1], off
	s_mov_b32 s25, -1
	s_mov_b32 s24, 0
	s_branch .LBB102_473
.LBB102_472:
	s_mov_b32 s24, -1
                                        ; implicit-def: $vgpr2
.LBB102_473:
	s_mov_b32 s26, 0
.LBB102_474:
	s_delay_alu instid0(SALU_CYCLE_1)
	s_and_b32 vcc_lo, exec_lo, s26
	s_cbranch_vccz .LBB102_490
; %bb.475:
	s_cmp_lt_i32 s0, 27
	s_cbranch_scc1 .LBB102_478
; %bb.476:
	s_cmp_gt_i32 s0, 27
	s_cbranch_scc0 .LBB102_479
; %bb.477:
	s_wait_loadcnt 0x0
	global_load_b32 v2, v[0:1], off
	s_mov_b32 s25, 0
	s_branch .LBB102_480
.LBB102_478:
	s_mov_b32 s25, -1
                                        ; implicit-def: $vgpr2
	s_branch .LBB102_483
.LBB102_479:
	s_mov_b32 s25, -1
                                        ; implicit-def: $vgpr2
.LBB102_480:
	s_delay_alu instid0(SALU_CYCLE_1)
	s_and_not1_b32 vcc_lo, exec_lo, s25
	s_cbranch_vccnz .LBB102_482
; %bb.481:
	s_wait_loadcnt 0x0
	global_load_u16 v2, v[0:1], off
.LBB102_482:
	s_mov_b32 s25, 0
.LBB102_483:
	s_delay_alu instid0(SALU_CYCLE_1)
	s_and_not1_b32 vcc_lo, exec_lo, s25
	s_cbranch_vccnz .LBB102_489
; %bb.484:
	global_load_u8 v3, v[0:1], off
	s_mov_b32 s26, 0
	s_mov_b32 s25, exec_lo
	s_wait_loadcnt 0x0
	v_cmpx_lt_i16_e32 0x7f, v3
	s_xor_b32 s25, exec_lo, s25
	s_cbranch_execz .LBB102_501
; %bb.485:
	v_cmp_ne_u16_e32 vcc_lo, 0x80, v3
	s_and_b32 s26, vcc_lo, exec_lo
	s_and_not1_saveexec_b32 s25, s25
	s_cbranch_execnz .LBB102_502
.LBB102_486:
	s_or_b32 exec_lo, exec_lo, s25
	v_mov_b32_e32 v2, 0
	s_and_saveexec_b32 s25, s26
	s_cbranch_execz .LBB102_488
.LBB102_487:
	v_and_b32_e32 v2, 0xffff, v3
	s_delay_alu instid0(VALU_DEP_1) | instskip(SKIP_1) | instid1(VALU_DEP_2)
	v_dual_lshlrev_b32 v3, 24, v3 :: v_dual_bitop2_b32 v5, 7, v2 bitop3:0x40
	v_bfe_u32 v8, v2, 3, 4
	v_and_b32_e32 v3, 0x80000000, v3
	s_delay_alu instid0(VALU_DEP_3) | instskip(NEXT) | instid1(VALU_DEP_3)
	v_clz_i32_u32_e32 v6, v5
	v_cmp_eq_u32_e32 vcc_lo, 0, v8
	s_delay_alu instid0(VALU_DEP_2) | instskip(NEXT) | instid1(VALU_DEP_1)
	v_min_u32_e32 v6, 32, v6
	v_subrev_nc_u32_e32 v7, 28, v6
	v_sub_nc_u32_e32 v6, 29, v6
	s_delay_alu instid0(VALU_DEP_2) | instskip(NEXT) | instid1(VALU_DEP_2)
	v_lshlrev_b32_e32 v2, v7, v2
	v_cndmask_b32_e32 v6, v8, v6, vcc_lo
	s_delay_alu instid0(VALU_DEP_2) | instskip(NEXT) | instid1(VALU_DEP_1)
	v_and_b32_e32 v2, 7, v2
	v_cndmask_b32_e32 v2, v5, v2, vcc_lo
	s_delay_alu instid0(VALU_DEP_3) | instskip(NEXT) | instid1(VALU_DEP_2)
	v_lshl_add_u32 v5, v6, 23, 0x3b800000
	v_lshlrev_b32_e32 v2, 20, v2
	s_delay_alu instid0(VALU_DEP_1) | instskip(NEXT) | instid1(VALU_DEP_1)
	v_or3_b32 v2, v3, v5, v2
	v_cvt_i32_f32_e32 v2, v2
.LBB102_488:
	s_or_b32 exec_lo, exec_lo, s25
.LBB102_489:
	s_mov_b32 s25, -1
.LBB102_490:
	s_mov_b32 s26, 0
.LBB102_491:
	s_delay_alu instid0(SALU_CYCLE_1)
	s_and_b32 vcc_lo, exec_lo, s26
	s_cbranch_vccz .LBB102_524
; %bb.492:
	s_cmp_gt_i32 s0, 22
	s_cbranch_scc0 .LBB102_500
; %bb.493:
	s_cmp_lt_i32 s0, 24
	s_cbranch_scc1 .LBB102_503
; %bb.494:
	s_cmp_gt_i32 s0, 24
	s_cbranch_scc0 .LBB102_504
; %bb.495:
	global_load_u8 v3, v[0:1], off
	s_mov_b32 s26, 0
	s_mov_b32 s25, exec_lo
	s_wait_loadcnt 0x0
	v_cmpx_lt_i16_e32 0x7f, v3
	s_xor_b32 s25, exec_lo, s25
	s_cbranch_execz .LBB102_516
; %bb.496:
	v_cmp_ne_u16_e32 vcc_lo, 0x80, v3
	s_and_b32 s26, vcc_lo, exec_lo
	s_and_not1_saveexec_b32 s25, s25
	s_cbranch_execnz .LBB102_517
.LBB102_497:
	s_or_b32 exec_lo, exec_lo, s25
	v_mov_b32_e32 v2, 0
	s_and_saveexec_b32 s25, s26
	s_cbranch_execz .LBB102_499
.LBB102_498:
	v_and_b32_e32 v2, 0xffff, v3
	s_delay_alu instid0(VALU_DEP_1) | instskip(SKIP_1) | instid1(VALU_DEP_2)
	v_dual_lshlrev_b32 v3, 24, v3 :: v_dual_bitop2_b32 v5, 3, v2 bitop3:0x40
	v_bfe_u32 v8, v2, 2, 5
	v_and_b32_e32 v3, 0x80000000, v3
	s_delay_alu instid0(VALU_DEP_3) | instskip(NEXT) | instid1(VALU_DEP_3)
	v_clz_i32_u32_e32 v6, v5
	v_cmp_eq_u32_e32 vcc_lo, 0, v8
	s_delay_alu instid0(VALU_DEP_2) | instskip(NEXT) | instid1(VALU_DEP_1)
	v_min_u32_e32 v6, 32, v6
	v_subrev_nc_u32_e32 v7, 29, v6
	v_sub_nc_u32_e32 v6, 30, v6
	s_delay_alu instid0(VALU_DEP_2) | instskip(NEXT) | instid1(VALU_DEP_2)
	v_lshlrev_b32_e32 v2, v7, v2
	v_cndmask_b32_e32 v6, v8, v6, vcc_lo
	s_delay_alu instid0(VALU_DEP_2) | instskip(NEXT) | instid1(VALU_DEP_1)
	v_and_b32_e32 v2, 3, v2
	v_cndmask_b32_e32 v2, v5, v2, vcc_lo
	s_delay_alu instid0(VALU_DEP_3) | instskip(NEXT) | instid1(VALU_DEP_2)
	v_lshl_add_u32 v5, v6, 23, 0x37800000
	v_lshlrev_b32_e32 v2, 21, v2
	s_delay_alu instid0(VALU_DEP_1) | instskip(NEXT) | instid1(VALU_DEP_1)
	v_or3_b32 v2, v3, v5, v2
	v_cvt_i32_f32_e32 v2, v2
.LBB102_499:
	s_or_b32 exec_lo, exec_lo, s25
	s_mov_b32 s25, 0
	s_branch .LBB102_505
.LBB102_500:
	s_mov_b32 s26, -1
                                        ; implicit-def: $vgpr2
	s_branch .LBB102_511
.LBB102_501:
	s_and_not1_saveexec_b32 s25, s25
	s_cbranch_execz .LBB102_486
.LBB102_502:
	v_cmp_ne_u16_e32 vcc_lo, 0, v3
	s_and_not1_b32 s26, s26, exec_lo
	s_and_b32 s27, vcc_lo, exec_lo
	s_delay_alu instid0(SALU_CYCLE_1)
	s_or_b32 s26, s26, s27
	s_or_b32 exec_lo, exec_lo, s25
	v_mov_b32_e32 v2, 0
	s_and_saveexec_b32 s25, s26
	s_cbranch_execnz .LBB102_487
	s_branch .LBB102_488
.LBB102_503:
	s_mov_b32 s25, -1
                                        ; implicit-def: $vgpr2
	s_branch .LBB102_508
.LBB102_504:
	s_mov_b32 s25, -1
                                        ; implicit-def: $vgpr2
.LBB102_505:
	s_delay_alu instid0(SALU_CYCLE_1)
	s_and_b32 vcc_lo, exec_lo, s25
	s_cbranch_vccz .LBB102_507
; %bb.506:
	s_wait_loadcnt 0x0
	global_load_u8 v2, v[0:1], off
	s_wait_loadcnt 0x0
	v_lshlrev_b32_e32 v2, 24, v2
	s_delay_alu instid0(VALU_DEP_1) | instskip(NEXT) | instid1(VALU_DEP_1)
	v_and_b32_e32 v3, 0x7f000000, v2
	v_clz_i32_u32_e32 v5, v3
	v_add_nc_u32_e32 v7, 0x1000000, v3
	v_cmp_ne_u32_e32 vcc_lo, 0, v3
	s_delay_alu instid0(VALU_DEP_3) | instskip(NEXT) | instid1(VALU_DEP_1)
	v_min_u32_e32 v5, 32, v5
	v_sub_nc_u32_e64 v5, v5, 4 clamp
	s_delay_alu instid0(VALU_DEP_1) | instskip(NEXT) | instid1(VALU_DEP_1)
	v_dual_lshlrev_b32 v6, v5, v3 :: v_dual_lshlrev_b32 v5, 23, v5
	v_lshrrev_b32_e32 v6, 4, v6
	s_delay_alu instid0(VALU_DEP_1) | instskip(NEXT) | instid1(VALU_DEP_1)
	v_dual_sub_nc_u32 v5, v6, v5 :: v_dual_ashrrev_i32 v6, 8, v7
	v_add_nc_u32_e32 v5, 0x3c000000, v5
	s_delay_alu instid0(VALU_DEP_1) | instskip(NEXT) | instid1(VALU_DEP_1)
	v_and_or_b32 v5, 0x7f800000, v6, v5
	v_cndmask_b32_e32 v3, 0, v5, vcc_lo
	s_delay_alu instid0(VALU_DEP_1) | instskip(NEXT) | instid1(VALU_DEP_1)
	v_and_or_b32 v2, 0x80000000, v2, v3
	v_cvt_i32_f32_e32 v2, v2
.LBB102_507:
	s_mov_b32 s25, 0
.LBB102_508:
	s_delay_alu instid0(SALU_CYCLE_1)
	s_and_not1_b32 vcc_lo, exec_lo, s25
	s_cbranch_vccnz .LBB102_510
; %bb.509:
	s_wait_loadcnt 0x0
	global_load_u8 v2, v[0:1], off
	s_wait_loadcnt 0x0
	v_lshlrev_b32_e32 v3, 25, v2
	v_lshlrev_b16 v2, 8, v2
	s_delay_alu instid0(VALU_DEP_2) | instskip(NEXT) | instid1(VALU_DEP_2)
	v_cmp_gt_u32_e32 vcc_lo, 0x8000000, v3
	v_and_or_b32 v6, 0x7f00, v2, 0.5
	v_lshrrev_b32_e32 v5, 4, v3
	v_bfe_i32 v2, v2, 0, 16
	s_delay_alu instid0(VALU_DEP_3) | instskip(NEXT) | instid1(VALU_DEP_3)
	v_add_f32_e32 v6, -0.5, v6
	v_or_b32_e32 v5, 0x70000000, v5
	s_delay_alu instid0(VALU_DEP_1) | instskip(NEXT) | instid1(VALU_DEP_1)
	v_mul_f32_e32 v5, 0x7800000, v5
	v_cndmask_b32_e32 v3, v5, v6, vcc_lo
	s_delay_alu instid0(VALU_DEP_1) | instskip(NEXT) | instid1(VALU_DEP_1)
	v_and_or_b32 v2, 0x80000000, v2, v3
	v_cvt_i32_f32_e32 v2, v2
.LBB102_510:
	s_mov_b32 s26, 0
	s_mov_b32 s25, -1
.LBB102_511:
	s_and_not1_b32 vcc_lo, exec_lo, s26
	s_cbranch_vccnz .LBB102_524
; %bb.512:
	s_cmp_gt_i32 s0, 14
	s_cbranch_scc0 .LBB102_515
; %bb.513:
	s_cmp_eq_u32 s0, 15
	s_cbranch_scc0 .LBB102_518
; %bb.514:
	s_wait_loadcnt 0x0
	global_load_u16 v2, v[0:1], off
	s_mov_b32 s25, -1
	s_mov_b32 s24, 0
	s_wait_loadcnt 0x0
	v_lshlrev_b32_e32 v2, 16, v2
	s_delay_alu instid0(VALU_DEP_1)
	v_cvt_i32_f32_e32 v2, v2
	s_branch .LBB102_519
.LBB102_515:
	s_mov_b32 s26, -1
                                        ; implicit-def: $vgpr2
	s_branch .LBB102_520
.LBB102_516:
	s_and_not1_saveexec_b32 s25, s25
	s_cbranch_execz .LBB102_497
.LBB102_517:
	v_cmp_ne_u16_e32 vcc_lo, 0, v3
	s_and_not1_b32 s26, s26, exec_lo
	s_and_b32 s27, vcc_lo, exec_lo
	s_delay_alu instid0(SALU_CYCLE_1)
	s_or_b32 s26, s26, s27
	s_or_b32 exec_lo, exec_lo, s25
	v_mov_b32_e32 v2, 0
	s_and_saveexec_b32 s25, s26
	s_cbranch_execnz .LBB102_498
	s_branch .LBB102_499
.LBB102_518:
	s_mov_b32 s24, -1
                                        ; implicit-def: $vgpr2
.LBB102_519:
	s_mov_b32 s26, 0
.LBB102_520:
	s_delay_alu instid0(SALU_CYCLE_1)
	s_and_b32 vcc_lo, exec_lo, s26
	s_cbranch_vccz .LBB102_524
; %bb.521:
	s_cmp_eq_u32 s0, 11
	s_cbranch_scc0 .LBB102_523
; %bb.522:
	s_wait_loadcnt 0x0
	global_load_u8 v2, v[0:1], off
	s_mov_b32 s24, 0
	s_mov_b32 s25, -1
	s_wait_loadcnt 0x0
	v_cmp_ne_u16_e32 vcc_lo, 0, v2
	v_cndmask_b32_e64 v2, 0, 1, vcc_lo
	s_branch .LBB102_524
.LBB102_523:
	s_mov_b32 s24, -1
                                        ; implicit-def: $vgpr2
.LBB102_524:
	s_mov_b32 s26, 0
.LBB102_525:
	s_delay_alu instid0(SALU_CYCLE_1)
	s_and_b32 vcc_lo, exec_lo, s26
	s_cbranch_vccz .LBB102_574
; %bb.526:
	s_cmp_lt_i32 s0, 5
	s_cbranch_scc1 .LBB102_531
; %bb.527:
	s_cmp_lt_i32 s0, 8
	s_cbranch_scc1 .LBB102_532
; %bb.528:
	s_cmp_lt_i32 s0, 9
	s_cbranch_scc1 .LBB102_533
; %bb.529:
	s_cmp_gt_i32 s0, 9
	s_cbranch_scc0 .LBB102_534
; %bb.530:
	s_wait_loadcnt 0x0
	global_load_b64 v[2:3], v[0:1], off
	s_mov_b32 s25, 0
	s_wait_loadcnt 0x0
	v_cvt_i32_f64_e32 v2, v[2:3]
	s_branch .LBB102_535
.LBB102_531:
	s_mov_b32 s25, -1
                                        ; implicit-def: $vgpr2
	s_branch .LBB102_553
.LBB102_532:
	s_mov_b32 s25, -1
                                        ; implicit-def: $vgpr2
	s_branch .LBB102_541
.LBB102_533:
	s_mov_b32 s25, -1
                                        ; implicit-def: $vgpr2
	s_branch .LBB102_538
.LBB102_534:
	s_mov_b32 s25, -1
                                        ; implicit-def: $vgpr2
.LBB102_535:
	s_delay_alu instid0(SALU_CYCLE_1)
	s_and_not1_b32 vcc_lo, exec_lo, s25
	s_cbranch_vccnz .LBB102_537
; %bb.536:
	s_wait_loadcnt 0x0
	global_load_b32 v2, v[0:1], off
	s_wait_loadcnt 0x0
	v_cvt_i32_f32_e32 v2, v2
.LBB102_537:
	s_mov_b32 s25, 0
.LBB102_538:
	s_delay_alu instid0(SALU_CYCLE_1)
	s_and_not1_b32 vcc_lo, exec_lo, s25
	s_cbranch_vccnz .LBB102_540
; %bb.539:
	s_wait_loadcnt 0x0
	global_load_b32 v2, v[0:1], off
	s_wait_loadcnt 0x0
	v_cvt_f32_f16_e32 v2, v2
	s_delay_alu instid0(VALU_DEP_1)
	v_cvt_i32_f32_e32 v2, v2
.LBB102_540:
	s_mov_b32 s25, 0
.LBB102_541:
	s_delay_alu instid0(SALU_CYCLE_1)
	s_and_not1_b32 vcc_lo, exec_lo, s25
	s_cbranch_vccnz .LBB102_552
; %bb.542:
	s_cmp_lt_i32 s0, 6
	s_cbranch_scc1 .LBB102_545
; %bb.543:
	s_cmp_gt_i32 s0, 6
	s_cbranch_scc0 .LBB102_546
; %bb.544:
	s_wait_loadcnt 0x0
	global_load_b64 v[2:3], v[0:1], off
	s_mov_b32 s25, 0
	s_wait_loadcnt 0x0
	v_cvt_i32_f64_e32 v2, v[2:3]
	s_branch .LBB102_547
.LBB102_545:
	s_mov_b32 s25, -1
                                        ; implicit-def: $vgpr2
	s_branch .LBB102_550
.LBB102_546:
	s_mov_b32 s25, -1
                                        ; implicit-def: $vgpr2
.LBB102_547:
	s_delay_alu instid0(SALU_CYCLE_1)
	s_and_not1_b32 vcc_lo, exec_lo, s25
	s_cbranch_vccnz .LBB102_549
; %bb.548:
	s_wait_loadcnt 0x0
	global_load_b32 v2, v[0:1], off
	s_wait_loadcnt 0x0
	v_cvt_i32_f32_e32 v2, v2
.LBB102_549:
	s_mov_b32 s25, 0
.LBB102_550:
	s_delay_alu instid0(SALU_CYCLE_1)
	s_and_not1_b32 vcc_lo, exec_lo, s25
	s_cbranch_vccnz .LBB102_552
; %bb.551:
	s_wait_loadcnt 0x0
	global_load_u16 v2, v[0:1], off
	s_wait_loadcnt 0x0
	v_cvt_f32_f16_e32 v2, v2
	s_delay_alu instid0(VALU_DEP_1)
	v_cvt_i32_f32_e32 v2, v2
.LBB102_552:
	s_mov_b32 s25, 0
.LBB102_553:
	s_delay_alu instid0(SALU_CYCLE_1)
	s_and_not1_b32 vcc_lo, exec_lo, s25
	s_cbranch_vccnz .LBB102_573
; %bb.554:
	s_cmp_lt_i32 s0, 2
	s_cbranch_scc1 .LBB102_558
; %bb.555:
	s_cmp_lt_i32 s0, 3
	s_cbranch_scc1 .LBB102_559
; %bb.556:
	s_cmp_gt_i32 s0, 3
	s_cbranch_scc0 .LBB102_560
; %bb.557:
	s_wait_loadcnt 0x0
	global_load_b32 v2, v[0:1], off
	s_mov_b32 s25, 0
	s_branch .LBB102_561
.LBB102_558:
	s_mov_b32 s25, -1
                                        ; implicit-def: $vgpr2
	s_branch .LBB102_567
.LBB102_559:
	s_mov_b32 s25, -1
                                        ; implicit-def: $vgpr2
	s_branch .LBB102_564
.LBB102_560:
	s_mov_b32 s25, -1
                                        ; implicit-def: $vgpr2
.LBB102_561:
	s_delay_alu instid0(SALU_CYCLE_1)
	s_and_not1_b32 vcc_lo, exec_lo, s25
	s_cbranch_vccnz .LBB102_563
; %bb.562:
	s_wait_loadcnt 0x0
	global_load_b32 v2, v[0:1], off
.LBB102_563:
	s_mov_b32 s25, 0
.LBB102_564:
	s_delay_alu instid0(SALU_CYCLE_1)
	s_and_not1_b32 vcc_lo, exec_lo, s25
	s_cbranch_vccnz .LBB102_566
; %bb.565:
	s_wait_loadcnt 0x0
	global_load_i16 v2, v[0:1], off
.LBB102_566:
	s_mov_b32 s25, 0
.LBB102_567:
	s_delay_alu instid0(SALU_CYCLE_1)
	s_and_not1_b32 vcc_lo, exec_lo, s25
	s_cbranch_vccnz .LBB102_573
; %bb.568:
	s_cmp_gt_i32 s0, 0
	s_mov_b32 s0, 0
	s_cbranch_scc0 .LBB102_570
; %bb.569:
	s_wait_loadcnt 0x0
	global_load_i8 v2, v[0:1], off
	s_branch .LBB102_571
.LBB102_570:
	s_mov_b32 s0, -1
                                        ; implicit-def: $vgpr2
.LBB102_571:
	s_delay_alu instid0(SALU_CYCLE_1)
	s_and_not1_b32 vcc_lo, exec_lo, s0
	s_cbranch_vccnz .LBB102_573
; %bb.572:
	s_wait_loadcnt 0x0
	global_load_u8 v2, v[0:1], off
.LBB102_573:
	s_mov_b32 s25, -1
.LBB102_574:
	s_delay_alu instid0(SALU_CYCLE_1)
	s_and_not1_b32 vcc_lo, exec_lo, s25
	s_cbranch_vccnz .LBB102_583
; %bb.575:
	s_wait_loadcnt 0x0
	s_delay_alu instid0(VALU_DEP_1)
	v_cmp_le_i32_e32 vcc_lo, s10, v2
	v_cmp_gt_i32_e64 s0, s12, v2
	s_mov_b32 s26, 0
	s_mov_b32 s27, -1
	s_mov_b32 s25, s20
	s_and_b32 s0, vcc_lo, s0
	s_delay_alu instid0(SALU_CYCLE_1)
	s_and_b32 s28, s11, s0
	s_wait_xcnt 0x0
	s_and_saveexec_b32 s0, s28
	s_cbranch_execz .LBB102_671
; %bb.576:
	v_mul_lo_u32 v0, v4, s8
	s_and_b32 s26, s14, 0xff
	s_delay_alu instid0(SALU_CYCLE_1) | instskip(NEXT) | instid1(VALU_DEP_1)
	s_cmp_lt_i32 s26, 11
	v_ashrrev_i32_e32 v1, 31, v0
	s_delay_alu instid0(VALU_DEP_1)
	v_add_nc_u64_e32 v[0:1], s[4:5], v[0:1]
	s_cbranch_scc1 .LBB102_584
; %bb.577:
	s_and_b32 s27, 0xffff, s26
	s_delay_alu instid0(SALU_CYCLE_1)
	s_cmp_gt_i32 s27, 25
	s_cbranch_scc0 .LBB102_585
; %bb.578:
	s_cmp_gt_i32 s27, 28
	s_cbranch_scc0 .LBB102_586
; %bb.579:
	;; [unrolled: 3-line block ×4, first 2 shown]
	s_mov_b32 s29, 0
	s_mov_b32 s25, -1
	s_cmp_eq_u32 s27, 46
	s_mov_b32 s28, 0
	s_cbranch_scc0 .LBB102_589
; %bb.582:
	v_mov_b32_e32 v2, 0
	s_mov_b32 s28, -1
	s_mov_b32 s25, 0
	global_store_b32 v[0:1], v2, off
	s_branch .LBB102_589
.LBB102_583:
	s_mov_b32 s26, 0
	s_mov_b32 s25, s20
	;; [unrolled: 1-line block ×3, first 2 shown]
                                        ; implicit-def: $vgpr4
	s_branch .LBB102_672
.LBB102_584:
	s_mov_b32 s28, 0
	s_mov_b32 s25, s20
	s_branch .LBB102_628
.LBB102_585:
	s_mov_b32 s28, 0
	s_mov_b32 s25, s20
	s_branch .LBB102_608
.LBB102_586:
	s_mov_b32 s28, 0
	s_mov_b32 s25, s20
	s_branch .LBB102_597
.LBB102_587:
	s_mov_b32 s28, 0
	s_mov_b32 s25, s20
	s_branch .LBB102_593
.LBB102_588:
	s_mov_b32 s28, 0
	s_mov_b32 s25, s20
.LBB102_589:
	s_and_b32 vcc_lo, exec_lo, s29
	s_cbranch_vccz .LBB102_592
; %bb.590:
	s_cmp_eq_u32 s27, 44
	s_mov_b32 s25, -1
	s_cbranch_scc0 .LBB102_592
; %bb.591:
	s_wait_xcnt 0x0
	v_mov_b32_e32 v2, 0
	s_mov_b32 s28, -1
	s_mov_b32 s25, 0
	global_store_b8 v[0:1], v2, off
.LBB102_592:
	s_mov_b32 s29, 0
.LBB102_593:
	s_delay_alu instid0(SALU_CYCLE_1)
	s_and_b32 vcc_lo, exec_lo, s29
	s_cbranch_vccz .LBB102_596
; %bb.594:
	s_cmp_eq_u32 s27, 29
	s_mov_b32 s25, -1
	s_cbranch_scc0 .LBB102_596
; %bb.595:
	s_wait_xcnt 0x0
	v_mov_b64_e32 v[2:3], 0
	s_mov_b32 s28, -1
	s_mov_b32 s25, 0
	s_mov_b32 s29, 0
	global_store_b64 v[0:1], v[2:3], off
	s_branch .LBB102_597
.LBB102_596:
	s_mov_b32 s29, 0
.LBB102_597:
	s_delay_alu instid0(SALU_CYCLE_1)
	s_and_b32 vcc_lo, exec_lo, s29
	s_cbranch_vccz .LBB102_607
; %bb.598:
	s_cmp_lt_i32 s27, 27
	s_mov_b32 s28, -1
	s_cbranch_scc1 .LBB102_604
; %bb.599:
	s_cmp_gt_i32 s27, 27
	s_cbranch_scc0 .LBB102_601
; %bb.600:
	s_wait_xcnt 0x0
	v_mov_b32_e32 v2, 0
	s_mov_b32 s28, 0
	global_store_b32 v[0:1], v2, off
.LBB102_601:
	s_and_not1_b32 vcc_lo, exec_lo, s28
	s_cbranch_vccnz .LBB102_603
; %bb.602:
	s_wait_xcnt 0x0
	v_mov_b32_e32 v2, 0
	global_store_b16 v[0:1], v2, off
.LBB102_603:
	s_mov_b32 s28, 0
.LBB102_604:
	s_delay_alu instid0(SALU_CYCLE_1)
	s_and_not1_b32 vcc_lo, exec_lo, s28
	s_cbranch_vccnz .LBB102_606
; %bb.605:
	s_wait_xcnt 0x0
	v_mov_b32_e32 v2, 0
	global_store_b8 v[0:1], v2, off
.LBB102_606:
	s_mov_b32 s28, -1
.LBB102_607:
	s_mov_b32 s29, 0
.LBB102_608:
	s_delay_alu instid0(SALU_CYCLE_1)
	s_and_b32 vcc_lo, exec_lo, s29
	s_cbranch_vccz .LBB102_627
; %bb.609:
	s_cmp_gt_i32 s27, 22
	s_mov_b32 s29, -1
	s_cbranch_scc0 .LBB102_619
; %bb.610:
	s_cmp_lt_i32 s27, 24
	s_mov_b32 s28, -1
	s_cbranch_scc1 .LBB102_616
; %bb.611:
	s_cmp_gt_i32 s27, 24
	s_cbranch_scc0 .LBB102_613
; %bb.612:
	s_wait_xcnt 0x0
	v_mov_b32_e32 v2, 0
	s_mov_b32 s28, 0
	global_store_b8 v[0:1], v2, off
.LBB102_613:
	s_and_not1_b32 vcc_lo, exec_lo, s28
	s_cbranch_vccnz .LBB102_615
; %bb.614:
	s_wait_xcnt 0x0
	v_mov_b32_e32 v2, 0
	global_store_b8 v[0:1], v2, off
.LBB102_615:
	s_mov_b32 s28, 0
.LBB102_616:
	s_delay_alu instid0(SALU_CYCLE_1)
	s_and_not1_b32 vcc_lo, exec_lo, s28
	s_cbranch_vccnz .LBB102_618
; %bb.617:
	s_wait_xcnt 0x0
	v_mov_b32_e32 v2, 0
	global_store_b8 v[0:1], v2, off
.LBB102_618:
	s_mov_b32 s29, 0
	s_mov_b32 s28, -1
.LBB102_619:
	s_and_not1_b32 vcc_lo, exec_lo, s29
	s_cbranch_vccnz .LBB102_627
; %bb.620:
	s_cmp_gt_i32 s27, 14
	s_mov_b32 s29, -1
	s_cbranch_scc0 .LBB102_624
; %bb.621:
	s_cmp_eq_u32 s27, 15
	s_mov_b32 s25, -1
	s_cbranch_scc0 .LBB102_623
; %bb.622:
	s_wait_xcnt 0x0
	v_mov_b32_e32 v2, 0
	s_mov_b32 s28, -1
	s_mov_b32 s25, 0
	global_store_b16 v[0:1], v2, off
.LBB102_623:
	s_mov_b32 s29, 0
.LBB102_624:
	s_delay_alu instid0(SALU_CYCLE_1)
	s_and_b32 vcc_lo, exec_lo, s29
	s_cbranch_vccz .LBB102_627
; %bb.625:
	s_cmp_eq_u32 s27, 11
	s_mov_b32 s25, -1
	s_cbranch_scc0 .LBB102_627
; %bb.626:
	s_wait_xcnt 0x0
	v_mov_b32_e32 v2, 0
	s_mov_b32 s28, -1
	s_mov_b32 s25, 0
	global_store_b8 v[0:1], v2, off
.LBB102_627:
	s_mov_b32 s27, 0
.LBB102_628:
	s_delay_alu instid0(SALU_CYCLE_1)
	s_and_b32 vcc_lo, exec_lo, s27
	s_cbranch_vccz .LBB102_667
; %bb.629:
	s_and_b32 s26, 0xffff, s26
	s_mov_b32 s27, -1
	s_cmp_lt_i32 s26, 5
	s_cbranch_scc1 .LBB102_650
; %bb.630:
	s_cmp_lt_i32 s26, 8
	s_cbranch_scc1 .LBB102_640
; %bb.631:
	;; [unrolled: 3-line block ×3, first 2 shown]
	s_cmp_gt_i32 s26, 9
	s_cbranch_scc0 .LBB102_634
; %bb.633:
	v_mov_b32_e32 v6, 0
	s_mov_b32 s27, 0
	s_delay_alu instid0(VALU_DEP_1)
	v_dual_mov_b32 v7, v6 :: v_dual_mov_b32 v8, v6
	v_mov_b32_e32 v9, v6
	global_store_b128 v[0:1], v[6:9], off
.LBB102_634:
	s_and_not1_b32 vcc_lo, exec_lo, s27
	s_cbranch_vccnz .LBB102_636
; %bb.635:
	s_wait_xcnt 0x0
	v_mov_b64_e32 v[2:3], 0
	global_store_b64 v[0:1], v[2:3], off
.LBB102_636:
	s_mov_b32 s27, 0
.LBB102_637:
	s_delay_alu instid0(SALU_CYCLE_1)
	s_and_not1_b32 vcc_lo, exec_lo, s27
	s_cbranch_vccnz .LBB102_639
; %bb.638:
	s_wait_xcnt 0x0
	v_mov_b32_e32 v2, 0
	global_store_b32 v[0:1], v2, off
.LBB102_639:
	s_mov_b32 s27, 0
.LBB102_640:
	s_delay_alu instid0(SALU_CYCLE_1)
	s_and_not1_b32 vcc_lo, exec_lo, s27
	s_cbranch_vccnz .LBB102_649
; %bb.641:
	s_cmp_lt_i32 s26, 6
	s_mov_b32 s27, -1
	s_cbranch_scc1 .LBB102_647
; %bb.642:
	s_cmp_gt_i32 s26, 6
	s_cbranch_scc0 .LBB102_644
; %bb.643:
	s_wait_xcnt 0x0
	v_mov_b64_e32 v[2:3], 0
	s_mov_b32 s27, 0
	global_store_b64 v[0:1], v[2:3], off
.LBB102_644:
	s_and_not1_b32 vcc_lo, exec_lo, s27
	s_cbranch_vccnz .LBB102_646
; %bb.645:
	s_wait_xcnt 0x0
	v_mov_b32_e32 v2, 0
	global_store_b32 v[0:1], v2, off
.LBB102_646:
	s_mov_b32 s27, 0
.LBB102_647:
	s_delay_alu instid0(SALU_CYCLE_1)
	s_and_not1_b32 vcc_lo, exec_lo, s27
	s_cbranch_vccnz .LBB102_649
; %bb.648:
	s_wait_xcnt 0x0
	v_mov_b32_e32 v2, 0
	global_store_b16 v[0:1], v2, off
.LBB102_649:
	s_mov_b32 s27, 0
.LBB102_650:
	s_delay_alu instid0(SALU_CYCLE_1)
	s_and_not1_b32 vcc_lo, exec_lo, s27
	s_cbranch_vccnz .LBB102_666
; %bb.651:
	s_cmp_lt_i32 s26, 2
	s_mov_b32 s27, -1
	s_cbranch_scc1 .LBB102_661
; %bb.652:
	s_cmp_lt_i32 s26, 3
	s_cbranch_scc1 .LBB102_658
; %bb.653:
	s_cmp_gt_i32 s26, 3
	s_cbranch_scc0 .LBB102_655
; %bb.654:
	s_wait_xcnt 0x0
	v_mov_b64_e32 v[2:3], 0
	s_mov_b32 s27, 0
	global_store_b64 v[0:1], v[2:3], off
.LBB102_655:
	s_and_not1_b32 vcc_lo, exec_lo, s27
	s_cbranch_vccnz .LBB102_657
; %bb.656:
	s_wait_xcnt 0x0
	v_mov_b32_e32 v2, 0
	global_store_b32 v[0:1], v2, off
.LBB102_657:
	s_mov_b32 s27, 0
.LBB102_658:
	s_delay_alu instid0(SALU_CYCLE_1)
	s_and_not1_b32 vcc_lo, exec_lo, s27
	s_cbranch_vccnz .LBB102_660
; %bb.659:
	s_wait_xcnt 0x0
	v_mov_b32_e32 v2, 0
	global_store_b16 v[0:1], v2, off
.LBB102_660:
	s_mov_b32 s27, 0
.LBB102_661:
	s_delay_alu instid0(SALU_CYCLE_1)
	s_and_not1_b32 vcc_lo, exec_lo, s27
	s_cbranch_vccnz .LBB102_666
; %bb.662:
	s_cmp_gt_i32 s26, 0
	s_mov_b32 s26, -1
	s_cbranch_scc0 .LBB102_664
; %bb.663:
	s_wait_xcnt 0x0
	v_mov_b32_e32 v2, 0
	s_mov_b32 s26, 0
	global_store_b8 v[0:1], v2, off
.LBB102_664:
	s_and_not1_b32 vcc_lo, exec_lo, s26
	s_cbranch_vccnz .LBB102_666
; %bb.665:
	s_wait_xcnt 0x0
	v_mov_b32_e32 v2, 0
	global_store_b8 v[0:1], v2, off
.LBB102_666:
	s_mov_b32 s28, -1
.LBB102_667:
	s_delay_alu instid0(SALU_CYCLE_1)
	s_and_not1_b32 vcc_lo, exec_lo, s28
	s_cbranch_vccnz .LBB102_669
; %bb.668:
	v_add_nc_u32_e32 v4, 0x80, v4
	s_mov_b32 s26, -1
	s_branch .LBB102_670
.LBB102_669:
	s_mov_b32 s26, 0
                                        ; implicit-def: $vgpr4
.LBB102_670:
	s_and_not1_b32 s27, s20, exec_lo
	s_and_b32 s25, s25, exec_lo
	s_and_b32 s26, s26, exec_lo
	s_or_b32 s25, s27, s25
	s_xor_b32 s27, exec_lo, -1
.LBB102_671:
	s_wait_xcnt 0x0
	s_or_b32 exec_lo, exec_lo, s0
.LBB102_672:
	s_delay_alu instid0(SALU_CYCLE_1)
	s_and_not1_b32 s0, s20, exec_lo
	s_and_b32 s25, s25, exec_lo
	s_and_b32 s27, s27, exec_lo
	s_or_b32 s25, s0, s25
	s_and_not1_b32 s0, s21, exec_lo
	s_and_not1_b32 s28, s19, exec_lo
	s_and_b32 s29, s24, exec_lo
	s_or_b32 s24, s0, s27
	s_or_b32 s0, s28, s29
	s_or_not1_b32 s29, s26, exec_lo
.LBB102_673:
	s_wait_xcnt 0x0
	s_or_b32 exec_lo, exec_lo, s23
	s_mov_b32 s26, 0
	s_mov_b32 s27, 0
	;; [unrolled: 1-line block ×3, first 2 shown]
                                        ; implicit-def: $vgpr0_vgpr1
                                        ; implicit-def: $vgpr2
	s_and_saveexec_b32 s23, s29
	s_cbranch_execz .LBB102_750
; %bb.674:
	v_cmp_gt_i32_e32 vcc_lo, s13, v4
	s_mov_b32 s30, s0
	s_mov_b32 s29, 0
	;; [unrolled: 1-line block ×3, first 2 shown]
                                        ; implicit-def: $vgpr0_vgpr1
                                        ; implicit-def: $vgpr2
	s_and_saveexec_b32 s13, vcc_lo
	s_cbranch_execz .LBB102_749
; %bb.675:
	v_mul_lo_u32 v0, v4, s9
	s_and_b32 s26, 0xffff, s2
	s_delay_alu instid0(SALU_CYCLE_1) | instskip(NEXT) | instid1(VALU_DEP_1)
	s_cmp_lt_i32 s26, 11
	v_ashrrev_i32_e32 v1, 31, v0
	s_delay_alu instid0(VALU_DEP_1)
	v_add_nc_u64_e32 v[0:1], s[6:7], v[0:1]
	s_cbranch_scc1 .LBB102_682
; %bb.676:
	s_cmp_gt_i32 s26, 25
	s_cbranch_scc0 .LBB102_683
; %bb.677:
	s_cmp_gt_i32 s26, 28
	s_cbranch_scc0 .LBB102_684
	;; [unrolled: 3-line block ×4, first 2 shown]
; %bb.680:
	s_cmp_eq_u32 s26, 46
	s_mov_b32 s30, 0
	s_cbranch_scc0 .LBB102_687
; %bb.681:
	s_wait_loadcnt 0x0
	global_load_b32 v2, v[0:1], off
	s_mov_b32 s29, -1
	s_wait_loadcnt 0x0
	v_lshlrev_b32_e32 v2, 16, v2
	s_delay_alu instid0(VALU_DEP_1)
	v_cvt_i32_f32_e32 v2, v2
	s_branch .LBB102_689
.LBB102_682:
	s_mov_b32 s26, -1
	s_mov_b32 s27, s0
                                        ; implicit-def: $vgpr2
	s_branch .LBB102_748
.LBB102_683:
	s_mov_b32 s30, -1
	s_mov_b32 s27, s0
                                        ; implicit-def: $vgpr2
	s_branch .LBB102_716
.LBB102_684:
	s_mov_b32 s30, -1
	s_mov_b32 s27, s0
                                        ; implicit-def: $vgpr2
	s_branch .LBB102_699
.LBB102_685:
	s_mov_b32 s30, -1
	s_mov_b32 s27, s0
                                        ; implicit-def: $vgpr2
	s_branch .LBB102_694
.LBB102_686:
	s_mov_b32 s30, -1
	s_mov_b32 s27, s0
	s_branch .LBB102_688
.LBB102_687:
	s_mov_b32 s27, -1
.LBB102_688:
                                        ; implicit-def: $vgpr2
.LBB102_689:
	s_and_b32 vcc_lo, exec_lo, s30
	s_cbranch_vccz .LBB102_693
; %bb.690:
	s_cmp_eq_u32 s26, 44
	s_cbranch_scc0 .LBB102_692
; %bb.691:
	s_wait_loadcnt 0x0
	global_load_u8 v2, v[0:1], off
	s_mov_b32 s27, 0
	s_mov_b32 s29, -1
	s_wait_loadcnt 0x0
	v_lshlrev_b32_e32 v3, 23, v2
	v_cmp_ne_u32_e32 vcc_lo, 0, v2
	s_delay_alu instid0(VALU_DEP_2) | instskip(NEXT) | instid1(VALU_DEP_1)
	v_cvt_i32_f32_e32 v3, v3
	v_cndmask_b32_e32 v2, 0, v3, vcc_lo
	s_branch .LBB102_693
.LBB102_692:
	s_mov_b32 s27, -1
                                        ; implicit-def: $vgpr2
.LBB102_693:
	s_mov_b32 s30, 0
.LBB102_694:
	s_delay_alu instid0(SALU_CYCLE_1)
	s_and_b32 vcc_lo, exec_lo, s30
	s_cbranch_vccz .LBB102_698
; %bb.695:
	s_cmp_eq_u32 s26, 29
	s_cbranch_scc0 .LBB102_697
; %bb.696:
	s_wait_loadcnt 0x0
	global_load_b32 v2, v[0:1], off
	s_mov_b32 s27, 0
	s_mov_b32 s29, -1
	s_branch .LBB102_698
.LBB102_697:
	s_mov_b32 s27, -1
                                        ; implicit-def: $vgpr2
.LBB102_698:
	s_mov_b32 s30, 0
.LBB102_699:
	s_delay_alu instid0(SALU_CYCLE_1)
	s_and_b32 vcc_lo, exec_lo, s30
	s_cbranch_vccz .LBB102_715
; %bb.700:
	s_cmp_lt_i32 s26, 27
	s_cbranch_scc1 .LBB102_703
; %bb.701:
	s_cmp_gt_i32 s26, 27
	s_cbranch_scc0 .LBB102_704
; %bb.702:
	s_wait_loadcnt 0x0
	global_load_b32 v2, v[0:1], off
	s_mov_b32 s29, 0
	s_branch .LBB102_705
.LBB102_703:
	s_mov_b32 s29, -1
                                        ; implicit-def: $vgpr2
	s_branch .LBB102_708
.LBB102_704:
	s_mov_b32 s29, -1
                                        ; implicit-def: $vgpr2
.LBB102_705:
	s_delay_alu instid0(SALU_CYCLE_1)
	s_and_not1_b32 vcc_lo, exec_lo, s29
	s_cbranch_vccnz .LBB102_707
; %bb.706:
	s_wait_loadcnt 0x0
	global_load_u16 v2, v[0:1], off
.LBB102_707:
	s_mov_b32 s29, 0
.LBB102_708:
	s_delay_alu instid0(SALU_CYCLE_1)
	s_and_not1_b32 vcc_lo, exec_lo, s29
	s_cbranch_vccnz .LBB102_714
; %bb.709:
	global_load_u8 v3, v[0:1], off
	s_mov_b32 s30, 0
	s_mov_b32 s29, exec_lo
	s_wait_loadcnt 0x0
	v_cmpx_lt_i16_e32 0x7f, v3
	s_xor_b32 s29, exec_lo, s29
	s_cbranch_execz .LBB102_726
; %bb.710:
	v_cmp_ne_u16_e32 vcc_lo, 0x80, v3
	s_and_b32 s30, vcc_lo, exec_lo
	s_and_not1_saveexec_b32 s29, s29
	s_cbranch_execnz .LBB102_727
.LBB102_711:
	s_or_b32 exec_lo, exec_lo, s29
	v_mov_b32_e32 v2, 0
	s_and_saveexec_b32 s29, s30
	s_cbranch_execz .LBB102_713
.LBB102_712:
	v_and_b32_e32 v2, 0xffff, v3
	s_delay_alu instid0(VALU_DEP_1) | instskip(SKIP_1) | instid1(VALU_DEP_2)
	v_dual_lshlrev_b32 v3, 24, v3 :: v_dual_bitop2_b32 v5, 7, v2 bitop3:0x40
	v_bfe_u32 v8, v2, 3, 4
	v_and_b32_e32 v3, 0x80000000, v3
	s_delay_alu instid0(VALU_DEP_3) | instskip(NEXT) | instid1(VALU_DEP_3)
	v_clz_i32_u32_e32 v6, v5
	v_cmp_eq_u32_e32 vcc_lo, 0, v8
	s_delay_alu instid0(VALU_DEP_2) | instskip(NEXT) | instid1(VALU_DEP_1)
	v_min_u32_e32 v6, 32, v6
	v_subrev_nc_u32_e32 v7, 28, v6
	v_sub_nc_u32_e32 v6, 29, v6
	s_delay_alu instid0(VALU_DEP_2) | instskip(NEXT) | instid1(VALU_DEP_2)
	v_lshlrev_b32_e32 v2, v7, v2
	v_cndmask_b32_e32 v6, v8, v6, vcc_lo
	s_delay_alu instid0(VALU_DEP_2) | instskip(NEXT) | instid1(VALU_DEP_1)
	v_and_b32_e32 v2, 7, v2
	v_cndmask_b32_e32 v2, v5, v2, vcc_lo
	s_delay_alu instid0(VALU_DEP_3) | instskip(NEXT) | instid1(VALU_DEP_2)
	v_lshl_add_u32 v5, v6, 23, 0x3b800000
	v_lshlrev_b32_e32 v2, 20, v2
	s_delay_alu instid0(VALU_DEP_1) | instskip(NEXT) | instid1(VALU_DEP_1)
	v_or3_b32 v2, v3, v5, v2
	v_cvt_i32_f32_e32 v2, v2
.LBB102_713:
	s_or_b32 exec_lo, exec_lo, s29
.LBB102_714:
	s_mov_b32 s29, -1
.LBB102_715:
	s_mov_b32 s30, 0
.LBB102_716:
	s_delay_alu instid0(SALU_CYCLE_1)
	s_and_b32 vcc_lo, exec_lo, s30
	s_cbranch_vccz .LBB102_747
; %bb.717:
	s_cmp_gt_i32 s26, 22
	s_cbranch_scc0 .LBB102_725
; %bb.718:
	s_cmp_lt_i32 s26, 24
	s_cbranch_scc1 .LBB102_728
; %bb.719:
	s_cmp_gt_i32 s26, 24
	s_cbranch_scc0 .LBB102_729
; %bb.720:
	global_load_u8 v3, v[0:1], off
	s_mov_b32 s29, 0
	s_mov_b32 s28, exec_lo
	s_wait_loadcnt 0x0
	v_cmpx_lt_i16_e32 0x7f, v3
	s_xor_b32 s28, exec_lo, s28
	s_cbranch_execz .LBB102_741
; %bb.721:
	v_cmp_ne_u16_e32 vcc_lo, 0x80, v3
	s_and_b32 s29, vcc_lo, exec_lo
	s_and_not1_saveexec_b32 s28, s28
	s_cbranch_execnz .LBB102_742
.LBB102_722:
	s_or_b32 exec_lo, exec_lo, s28
	v_mov_b32_e32 v2, 0
	s_and_saveexec_b32 s28, s29
	s_cbranch_execz .LBB102_724
.LBB102_723:
	v_and_b32_e32 v2, 0xffff, v3
	s_delay_alu instid0(VALU_DEP_1) | instskip(SKIP_1) | instid1(VALU_DEP_2)
	v_dual_lshlrev_b32 v3, 24, v3 :: v_dual_bitop2_b32 v5, 3, v2 bitop3:0x40
	v_bfe_u32 v8, v2, 2, 5
	v_and_b32_e32 v3, 0x80000000, v3
	s_delay_alu instid0(VALU_DEP_3) | instskip(NEXT) | instid1(VALU_DEP_3)
	v_clz_i32_u32_e32 v6, v5
	v_cmp_eq_u32_e32 vcc_lo, 0, v8
	s_delay_alu instid0(VALU_DEP_2) | instskip(NEXT) | instid1(VALU_DEP_1)
	v_min_u32_e32 v6, 32, v6
	v_subrev_nc_u32_e32 v7, 29, v6
	v_sub_nc_u32_e32 v6, 30, v6
	s_delay_alu instid0(VALU_DEP_2) | instskip(NEXT) | instid1(VALU_DEP_2)
	v_lshlrev_b32_e32 v2, v7, v2
	v_cndmask_b32_e32 v6, v8, v6, vcc_lo
	s_delay_alu instid0(VALU_DEP_2) | instskip(NEXT) | instid1(VALU_DEP_1)
	v_and_b32_e32 v2, 3, v2
	v_cndmask_b32_e32 v2, v5, v2, vcc_lo
	s_delay_alu instid0(VALU_DEP_3) | instskip(NEXT) | instid1(VALU_DEP_2)
	v_lshl_add_u32 v5, v6, 23, 0x37800000
	v_lshlrev_b32_e32 v2, 21, v2
	s_delay_alu instid0(VALU_DEP_1) | instskip(NEXT) | instid1(VALU_DEP_1)
	v_or3_b32 v2, v3, v5, v2
	v_cvt_i32_f32_e32 v2, v2
.LBB102_724:
	s_or_b32 exec_lo, exec_lo, s28
	s_mov_b32 s28, 0
	s_branch .LBB102_730
.LBB102_725:
	s_mov_b32 s28, -1
                                        ; implicit-def: $vgpr2
	s_branch .LBB102_736
.LBB102_726:
	s_and_not1_saveexec_b32 s29, s29
	s_cbranch_execz .LBB102_711
.LBB102_727:
	v_cmp_ne_u16_e32 vcc_lo, 0, v3
	s_and_not1_b32 s30, s30, exec_lo
	s_and_b32 s31, vcc_lo, exec_lo
	s_delay_alu instid0(SALU_CYCLE_1)
	s_or_b32 s30, s30, s31
	s_or_b32 exec_lo, exec_lo, s29
	v_mov_b32_e32 v2, 0
	s_and_saveexec_b32 s29, s30
	s_cbranch_execnz .LBB102_712
	s_branch .LBB102_713
.LBB102_728:
	s_mov_b32 s28, -1
                                        ; implicit-def: $vgpr2
	s_branch .LBB102_733
.LBB102_729:
	s_mov_b32 s28, -1
                                        ; implicit-def: $vgpr2
.LBB102_730:
	s_delay_alu instid0(SALU_CYCLE_1)
	s_and_b32 vcc_lo, exec_lo, s28
	s_cbranch_vccz .LBB102_732
; %bb.731:
	s_wait_loadcnt 0x0
	global_load_u8 v2, v[0:1], off
	s_wait_loadcnt 0x0
	v_lshlrev_b32_e32 v2, 24, v2
	s_delay_alu instid0(VALU_DEP_1) | instskip(NEXT) | instid1(VALU_DEP_1)
	v_and_b32_e32 v3, 0x7f000000, v2
	v_clz_i32_u32_e32 v5, v3
	v_add_nc_u32_e32 v7, 0x1000000, v3
	v_cmp_ne_u32_e32 vcc_lo, 0, v3
	s_delay_alu instid0(VALU_DEP_3) | instskip(NEXT) | instid1(VALU_DEP_1)
	v_min_u32_e32 v5, 32, v5
	v_sub_nc_u32_e64 v5, v5, 4 clamp
	s_delay_alu instid0(VALU_DEP_1) | instskip(NEXT) | instid1(VALU_DEP_1)
	v_dual_lshlrev_b32 v6, v5, v3 :: v_dual_lshlrev_b32 v5, 23, v5
	v_lshrrev_b32_e32 v6, 4, v6
	s_delay_alu instid0(VALU_DEP_1) | instskip(NEXT) | instid1(VALU_DEP_1)
	v_dual_sub_nc_u32 v5, v6, v5 :: v_dual_ashrrev_i32 v6, 8, v7
	v_add_nc_u32_e32 v5, 0x3c000000, v5
	s_delay_alu instid0(VALU_DEP_1) | instskip(NEXT) | instid1(VALU_DEP_1)
	v_and_or_b32 v5, 0x7f800000, v6, v5
	v_cndmask_b32_e32 v3, 0, v5, vcc_lo
	s_delay_alu instid0(VALU_DEP_1) | instskip(NEXT) | instid1(VALU_DEP_1)
	v_and_or_b32 v2, 0x80000000, v2, v3
	v_cvt_i32_f32_e32 v2, v2
.LBB102_732:
	s_mov_b32 s28, 0
.LBB102_733:
	s_delay_alu instid0(SALU_CYCLE_1)
	s_and_not1_b32 vcc_lo, exec_lo, s28
	s_cbranch_vccnz .LBB102_735
; %bb.734:
	s_wait_loadcnt 0x0
	global_load_u8 v2, v[0:1], off
	s_wait_loadcnt 0x0
	v_lshlrev_b32_e32 v3, 25, v2
	v_lshlrev_b16 v2, 8, v2
	s_delay_alu instid0(VALU_DEP_2) | instskip(NEXT) | instid1(VALU_DEP_2)
	v_cmp_gt_u32_e32 vcc_lo, 0x8000000, v3
	v_and_or_b32 v6, 0x7f00, v2, 0.5
	v_lshrrev_b32_e32 v5, 4, v3
	v_bfe_i32 v2, v2, 0, 16
	s_delay_alu instid0(VALU_DEP_3) | instskip(NEXT) | instid1(VALU_DEP_3)
	v_add_f32_e32 v6, -0.5, v6
	v_or_b32_e32 v5, 0x70000000, v5
	s_delay_alu instid0(VALU_DEP_1) | instskip(NEXT) | instid1(VALU_DEP_1)
	v_mul_f32_e32 v5, 0x7800000, v5
	v_cndmask_b32_e32 v3, v5, v6, vcc_lo
	s_delay_alu instid0(VALU_DEP_1) | instskip(NEXT) | instid1(VALU_DEP_1)
	v_and_or_b32 v2, 0x80000000, v2, v3
	v_cvt_i32_f32_e32 v2, v2
.LBB102_735:
	s_mov_b32 s28, 0
	s_mov_b32 s29, -1
.LBB102_736:
	s_and_not1_b32 vcc_lo, exec_lo, s28
	s_mov_b32 s28, 0
	s_cbranch_vccnz .LBB102_747
; %bb.737:
	s_cmp_gt_i32 s26, 14
	s_cbranch_scc0 .LBB102_740
; %bb.738:
	s_cmp_eq_u32 s26, 15
	s_cbranch_scc0 .LBB102_743
; %bb.739:
	s_wait_loadcnt 0x0
	global_load_u16 v2, v[0:1], off
	s_mov_b32 s27, 0
	s_mov_b32 s29, -1
	s_wait_loadcnt 0x0
	v_lshlrev_b32_e32 v2, 16, v2
	s_delay_alu instid0(VALU_DEP_1)
	v_cvt_i32_f32_e32 v2, v2
	s_branch .LBB102_745
.LBB102_740:
	s_mov_b32 s28, -1
	s_branch .LBB102_744
.LBB102_741:
	s_and_not1_saveexec_b32 s28, s28
	s_cbranch_execz .LBB102_722
.LBB102_742:
	v_cmp_ne_u16_e32 vcc_lo, 0, v3
	s_and_not1_b32 s29, s29, exec_lo
	s_and_b32 s30, vcc_lo, exec_lo
	s_delay_alu instid0(SALU_CYCLE_1)
	s_or_b32 s29, s29, s30
	s_or_b32 exec_lo, exec_lo, s28
	v_mov_b32_e32 v2, 0
	s_and_saveexec_b32 s28, s29
	s_cbranch_execnz .LBB102_723
	s_branch .LBB102_724
.LBB102_743:
	s_mov_b32 s27, -1
.LBB102_744:
                                        ; implicit-def: $vgpr2
.LBB102_745:
	s_and_b32 vcc_lo, exec_lo, s28
	s_mov_b32 s28, 0
	s_cbranch_vccz .LBB102_747
; %bb.746:
	s_cmp_lg_u32 s26, 11
	s_mov_b32 s28, -1
	s_cselect_b32 s26, -1, 0
	s_and_not1_b32 s27, s27, exec_lo
	s_and_b32 s26, s26, exec_lo
	s_delay_alu instid0(SALU_CYCLE_1)
	s_or_b32 s27, s27, s26
.LBB102_747:
	s_mov_b32 s26, 0
.LBB102_748:
	s_and_not1_b32 s30, s0, exec_lo
	s_and_b32 s27, s27, exec_lo
	s_and_b32 s31, s29, exec_lo
	;; [unrolled: 1-line block ×4, first 2 shown]
	s_or_b32 s30, s30, s27
.LBB102_749:
	s_wait_xcnt 0x0
	s_or_b32 exec_lo, exec_lo, s13
	s_delay_alu instid0(SALU_CYCLE_1)
	s_and_not1_b32 s0, s0, exec_lo
	s_and_b32 s13, s30, exec_lo
	s_and_b32 s28, s31, exec_lo
	;; [unrolled: 1-line block ×4, first 2 shown]
	s_or_b32 s0, s0, s13
.LBB102_750:
	s_or_b32 exec_lo, exec_lo, s23
	s_delay_alu instid0(SALU_CYCLE_1)
	s_and_not1_b32 s13, s20, exec_lo
	s_and_b32 s20, s25, exec_lo
	s_and_not1_b32 s21, s21, exec_lo
	s_and_b32 s23, s24, exec_lo
	s_or_b32 s20, s13, s20
	s_and_not1_b32 s13, s19, exec_lo
	s_and_b32 s0, s0, exec_lo
	s_or_b32 s21, s21, s23
	s_and_b32 s25, s28, exec_lo
	s_and_b32 s24, s27, exec_lo
	;; [unrolled: 1-line block ×3, first 2 shown]
	s_or_b32 s19, s13, s0
.LBB102_751:
	s_or_b32 exec_lo, exec_lo, s22
	s_delay_alu instid0(SALU_CYCLE_1)
	s_and_not1_b32 s0, s15, exec_lo
	s_and_b32 s13, s20, exec_lo
	s_and_not1_b32 s16, s16, exec_lo
	s_and_b32 s20, s21, exec_lo
	s_or_b32 s15, s0, s13
	s_and_not1_b32 s13, s17, exec_lo
	s_and_b32 s17, s19, exec_lo
	s_or_b32 s16, s16, s20
	s_and_b32 s0, s25, exec_lo
	s_and_b32 s20, s24, exec_lo
	;; [unrolled: 1-line block ×3, first 2 shown]
	s_or_b32 s17, s13, s17
	s_or_b32 exec_lo, exec_lo, s18
	s_mov_b32 s13, 0
	s_and_saveexec_b32 s18, s17
	s_cbranch_execz .LBB102_231
.LBB102_752:
	s_mov_b32 s13, exec_lo
	s_and_not1_b32 s19, s19, exec_lo
	s_trap 2
	s_or_b32 exec_lo, exec_lo, s18
	s_and_saveexec_b32 s17, s19
	s_delay_alu instid0(SALU_CYCLE_1)
	s_xor_b32 s17, exec_lo, s17
	s_cbranch_execnz .LBB102_232
.LBB102_753:
	s_or_b32 exec_lo, exec_lo, s17
	s_and_saveexec_b32 s17, s20
	s_cbranch_execz .LBB102_799
.LBB102_754:
	s_sext_i32_i16 s18, s2
	s_delay_alu instid0(SALU_CYCLE_1)
	s_cmp_lt_i32 s18, 5
	s_cbranch_scc1 .LBB102_759
; %bb.755:
	s_cmp_lt_i32 s18, 8
	s_cbranch_scc1 .LBB102_760
; %bb.756:
	;; [unrolled: 3-line block ×3, first 2 shown]
	s_cmp_gt_i32 s18, 9
	s_cbranch_scc0 .LBB102_762
; %bb.758:
	s_wait_loadcnt 0x0
	global_load_b64 v[2:3], v[0:1], off
	s_mov_b32 s18, 0
	s_wait_loadcnt 0x0
	v_cvt_i32_f64_e32 v2, v[2:3]
	s_branch .LBB102_763
.LBB102_759:
                                        ; implicit-def: $vgpr2
	s_branch .LBB102_780
.LBB102_760:
                                        ; implicit-def: $vgpr2
	s_branch .LBB102_769
.LBB102_761:
	s_mov_b32 s18, -1
                                        ; implicit-def: $vgpr2
	s_branch .LBB102_766
.LBB102_762:
	s_mov_b32 s18, -1
                                        ; implicit-def: $vgpr2
.LBB102_763:
	s_delay_alu instid0(SALU_CYCLE_1)
	s_and_not1_b32 vcc_lo, exec_lo, s18
	s_cbranch_vccnz .LBB102_765
; %bb.764:
	s_wait_loadcnt 0x0
	global_load_b32 v2, v[0:1], off
	s_wait_loadcnt 0x0
	v_cvt_i32_f32_e32 v2, v2
.LBB102_765:
	s_mov_b32 s18, 0
.LBB102_766:
	s_delay_alu instid0(SALU_CYCLE_1)
	s_and_not1_b32 vcc_lo, exec_lo, s18
	s_cbranch_vccnz .LBB102_768
; %bb.767:
	s_wait_loadcnt 0x0
	global_load_b32 v2, v[0:1], off
	s_wait_loadcnt 0x0
	v_cvt_f32_f16_e32 v2, v2
	s_delay_alu instid0(VALU_DEP_1)
	v_cvt_i32_f32_e32 v2, v2
.LBB102_768:
	s_cbranch_execnz .LBB102_779
.LBB102_769:
	s_sext_i32_i16 s18, s2
	s_delay_alu instid0(SALU_CYCLE_1)
	s_cmp_lt_i32 s18, 6
	s_cbranch_scc1 .LBB102_772
; %bb.770:
	s_cmp_gt_i32 s18, 6
	s_cbranch_scc0 .LBB102_773
; %bb.771:
	s_wait_loadcnt 0x0
	global_load_b64 v[2:3], v[0:1], off
	s_mov_b32 s18, 0
	s_wait_loadcnt 0x0
	v_cvt_i32_f64_e32 v2, v[2:3]
	s_branch .LBB102_774
.LBB102_772:
	s_mov_b32 s18, -1
                                        ; implicit-def: $vgpr2
	s_branch .LBB102_777
.LBB102_773:
	s_mov_b32 s18, -1
                                        ; implicit-def: $vgpr2
.LBB102_774:
	s_delay_alu instid0(SALU_CYCLE_1)
	s_and_not1_b32 vcc_lo, exec_lo, s18
	s_cbranch_vccnz .LBB102_776
; %bb.775:
	s_wait_loadcnt 0x0
	global_load_b32 v2, v[0:1], off
	s_wait_loadcnt 0x0
	v_cvt_i32_f32_e32 v2, v2
.LBB102_776:
	s_mov_b32 s18, 0
.LBB102_777:
	s_delay_alu instid0(SALU_CYCLE_1)
	s_and_not1_b32 vcc_lo, exec_lo, s18
	s_cbranch_vccnz .LBB102_779
; %bb.778:
	s_wait_loadcnt 0x0
	global_load_u16 v2, v[0:1], off
	s_wait_loadcnt 0x0
	v_cvt_f32_f16_e32 v2, v2
	s_delay_alu instid0(VALU_DEP_1)
	v_cvt_i32_f32_e32 v2, v2
.LBB102_779:
	s_cbranch_execnz .LBB102_798
.LBB102_780:
	s_sext_i32_i16 s18, s2
	s_delay_alu instid0(SALU_CYCLE_1)
	s_cmp_lt_i32 s18, 2
	s_cbranch_scc1 .LBB102_784
; %bb.781:
	s_cmp_lt_i32 s18, 3
	s_cbranch_scc1 .LBB102_785
; %bb.782:
	s_cmp_gt_i32 s18, 3
	s_cbranch_scc0 .LBB102_786
; %bb.783:
	s_wait_loadcnt 0x0
	global_load_b32 v2, v[0:1], off
	s_mov_b32 s18, 0
	s_branch .LBB102_787
.LBB102_784:
                                        ; implicit-def: $vgpr2
	s_branch .LBB102_793
.LBB102_785:
	s_mov_b32 s18, -1
                                        ; implicit-def: $vgpr2
	s_branch .LBB102_790
.LBB102_786:
	s_mov_b32 s18, -1
                                        ; implicit-def: $vgpr2
.LBB102_787:
	s_delay_alu instid0(SALU_CYCLE_1)
	s_and_not1_b32 vcc_lo, exec_lo, s18
	s_cbranch_vccnz .LBB102_789
; %bb.788:
	s_wait_loadcnt 0x0
	global_load_b32 v2, v[0:1], off
.LBB102_789:
	s_mov_b32 s18, 0
.LBB102_790:
	s_delay_alu instid0(SALU_CYCLE_1)
	s_and_not1_b32 vcc_lo, exec_lo, s18
	s_cbranch_vccnz .LBB102_792
; %bb.791:
	s_wait_loadcnt 0x0
	global_load_i16 v2, v[0:1], off
.LBB102_792:
	s_cbranch_execnz .LBB102_798
.LBB102_793:
	s_sext_i32_i16 s18, s2
	s_delay_alu instid0(SALU_CYCLE_1)
	s_cmp_gt_i32 s18, 0
	s_mov_b32 s18, 0
	s_cbranch_scc0 .LBB102_795
; %bb.794:
	s_wait_loadcnt 0x0
	global_load_i8 v2, v[0:1], off
	s_branch .LBB102_796
.LBB102_795:
	s_mov_b32 s18, -1
                                        ; implicit-def: $vgpr2
.LBB102_796:
	s_delay_alu instid0(SALU_CYCLE_1)
	s_and_not1_b32 vcc_lo, exec_lo, s18
	s_cbranch_vccnz .LBB102_798
; %bb.797:
	s_wait_loadcnt 0x0
	global_load_u8 v2, v[0:1], off
.LBB102_798:
	s_or_b32 s0, s0, exec_lo
.LBB102_799:
	s_wait_xcnt 0x0
	s_or_b32 exec_lo, exec_lo, s17
	s_mov_b32 s18, 0
	s_and_saveexec_b32 s17, s0
	s_delay_alu instid0(SALU_CYCLE_1)
	s_xor_b32 s17, exec_lo, s17
	s_cbranch_execz .LBB102_801
; %bb.800:
	s_wait_loadcnt 0x0
	s_delay_alu instid0(VALU_DEP_1) | instskip(SKIP_3) | instid1(SALU_CYCLE_1)
	v_cmp_le_i32_e32 vcc_lo, s10, v2
	v_cmp_gt_i32_e64 s0, s12, v2
	s_mov_b32 s18, exec_lo
	s_and_b32 s0, vcc_lo, s0
	s_and_b32 s0, s11, s0
	s_and_not1_b32 s11, s16, exec_lo
	s_xor_b32 s0, s0, -1
	s_delay_alu instid0(SALU_CYCLE_1) | instskip(NEXT) | instid1(SALU_CYCLE_1)
	s_and_b32 s0, s0, exec_lo
	s_or_b32 s16, s11, s0
.LBB102_801:
	s_or_b32 exec_lo, exec_lo, s17
	s_and_saveexec_b32 s0, s16
	s_cbranch_execnz .LBB102_814
.LBB102_802:
	s_or_b32 exec_lo, exec_lo, s0
	s_mov_b32 s16, 0
	s_mov_b32 s17, 0
                                        ; implicit-def: $sgpr0
                                        ; implicit-def: $vgpr0_vgpr1
	s_and_saveexec_b32 s11, s18
	s_cbranch_execz .LBB102_810
; %bb.803:
	v_mul_lo_u32 v0, v4, s8
	s_and_b32 s0, s14, 0xff
	s_delay_alu instid0(SALU_CYCLE_1) | instskip(NEXT) | instid1(VALU_DEP_1)
	s_cmp_lt_i32 s0, 11
	v_ashrrev_i32_e32 v1, 31, v0
	s_delay_alu instid0(VALU_DEP_1)
	v_add_nc_u64_e32 v[0:1], s[4:5], v[0:1]
	s_cbranch_scc1 .LBB102_813
; %bb.804:
	s_and_b32 s17, 0xffff, s0
	s_mov_b32 s18, -1
	s_cmp_gt_i32 s17, 25
	s_mov_b32 s16, s15
	s_cbranch_scc0 .LBB102_834
; %bb.805:
	s_cmp_gt_i32 s17, 28
	s_mov_b32 s16, s15
	s_cbranch_scc0 .LBB102_824
; %bb.806:
	;; [unrolled: 4-line block ×4, first 2 shown]
	s_cmp_eq_u32 s17, 46
	s_mov_b32 s16, -1
	s_cbranch_scc0 .LBB102_815
; %bb.809:
	s_wait_loadcnt 0x0
	v_mov_b32_e32 v2, 0
	s_mov_b32 s16, 0
	s_mov_b32 s18, 0
	global_store_b32 v[0:1], v2, off
	s_branch .LBB102_816
.LBB102_810:
	s_or_b32 exec_lo, exec_lo, s11
	s_and_saveexec_b32 s11, s15
	s_cbranch_execnz .LBB102_854
.LBB102_811:
	s_or_b32 exec_lo, exec_lo, s11
	s_and_saveexec_b32 s11, s16
	s_delay_alu instid0(SALU_CYCLE_1)
	s_xor_b32 s11, exec_lo, s11
	s_cbranch_execz .LBB102_855
.LBB102_812:
	s_wait_loadcnt 0x0
	v_mov_b32_e32 v2, 0
	global_store_b8 v[0:1], v2, off
	s_wait_xcnt 0x0
	s_or_b32 exec_lo, exec_lo, s11
	s_and_saveexec_b32 s11, s17
	s_delay_alu instid0(SALU_CYCLE_1)
	s_xor_b32 s11, exec_lo, s11
	s_cbranch_execz .LBB102_893
	s_branch .LBB102_856
.LBB102_813:
	s_mov_b32 s19, 0
	s_mov_b32 s18, -1
	s_mov_b32 s16, s15
	s_branch .LBB102_853
.LBB102_814:
	s_or_b32 s13, s13, exec_lo
	s_and_not1_b32 s18, s18, exec_lo
	s_trap 2
	s_branch .LBB102_802
.LBB102_815:
	s_mov_b32 s18, 0
.LBB102_816:
	s_delay_alu instid0(SALU_CYCLE_1)
	s_and_b32 vcc_lo, exec_lo, s18
	s_cbranch_vccz .LBB102_819
; %bb.817:
	s_cmp_eq_u32 s17, 44
	s_mov_b32 s16, -1
	s_cbranch_scc0 .LBB102_819
; %bb.818:
	s_wait_loadcnt 0x0
	v_mov_b32_e32 v2, 0
	s_mov_b32 s16, 0
	s_mov_b32 s18, 0
	global_store_b8 v[0:1], v2, off
	s_branch .LBB102_820
.LBB102_819:
	s_mov_b32 s18, 0
.LBB102_820:
	s_delay_alu instid0(SALU_CYCLE_1)
	s_and_b32 vcc_lo, exec_lo, s18
	s_cbranch_vccz .LBB102_823
; %bb.821:
	s_cmp_eq_u32 s17, 29
	s_mov_b32 s16, -1
	s_cbranch_scc0 .LBB102_823
; %bb.822:
	s_wait_loadcnt 0x0
	v_mov_b64_e32 v[2:3], 0
	s_mov_b32 s16, 0
	s_mov_b32 s18, 0
	global_store_b64 v[0:1], v[2:3], off
	s_branch .LBB102_824
.LBB102_823:
	s_mov_b32 s18, 0
.LBB102_824:
	s_delay_alu instid0(SALU_CYCLE_1)
	s_and_b32 vcc_lo, exec_lo, s18
	s_cbranch_vccz .LBB102_833
; %bb.825:
	s_cmp_lt_i32 s17, 27
	s_mov_b32 s18, -1
	s_cbranch_scc1 .LBB102_831
; %bb.826:
	s_cmp_gt_i32 s17, 27
	s_cbranch_scc0 .LBB102_828
; %bb.827:
	s_wait_loadcnt 0x0
	v_mov_b32_e32 v2, 0
	s_mov_b32 s18, 0
	global_store_b32 v[0:1], v2, off
.LBB102_828:
	s_and_not1_b32 vcc_lo, exec_lo, s18
	s_cbranch_vccnz .LBB102_830
; %bb.829:
	s_wait_loadcnt 0x0
	v_mov_b32_e32 v2, 0
	global_store_b16 v[0:1], v2, off
.LBB102_830:
	s_mov_b32 s18, 0
.LBB102_831:
	s_delay_alu instid0(SALU_CYCLE_1)
	s_and_not1_b32 vcc_lo, exec_lo, s18
	s_cbranch_vccnz .LBB102_833
; %bb.832:
	s_wait_loadcnt 0x0
	v_mov_b32_e32 v2, 0
	global_store_b8 v[0:1], v2, off
.LBB102_833:
	s_mov_b32 s18, 0
.LBB102_834:
	s_delay_alu instid0(SALU_CYCLE_1)
	s_and_b32 vcc_lo, exec_lo, s18
	s_mov_b32 s18, 0
	s_cbranch_vccz .LBB102_852
; %bb.835:
	s_cmp_gt_i32 s17, 22
	s_mov_b32 s19, -1
	s_cbranch_scc0 .LBB102_845
; %bb.836:
	s_cmp_lt_i32 s17, 24
	s_cbranch_scc1 .LBB102_842
; %bb.837:
	s_cmp_gt_i32 s17, 24
	s_cbranch_scc0 .LBB102_839
; %bb.838:
	s_wait_loadcnt 0x0
	v_mov_b32_e32 v2, 0
	s_mov_b32 s19, 0
	global_store_b8 v[0:1], v2, off
.LBB102_839:
	s_and_not1_b32 vcc_lo, exec_lo, s19
	s_cbranch_vccnz .LBB102_841
; %bb.840:
	s_wait_loadcnt 0x0
	v_mov_b32_e32 v2, 0
	global_store_b8 v[0:1], v2, off
.LBB102_841:
	s_mov_b32 s19, 0
.LBB102_842:
	s_delay_alu instid0(SALU_CYCLE_1)
	s_and_not1_b32 vcc_lo, exec_lo, s19
	s_cbranch_vccnz .LBB102_844
; %bb.843:
	s_wait_loadcnt 0x0
	v_mov_b32_e32 v2, 0
	global_store_b8 v[0:1], v2, off
.LBB102_844:
	s_mov_b32 s19, 0
.LBB102_845:
	s_delay_alu instid0(SALU_CYCLE_1)
	s_and_not1_b32 vcc_lo, exec_lo, s19
	s_mov_b32 s19, 0
	s_cbranch_vccnz .LBB102_853
; %bb.846:
	s_cmp_gt_i32 s17, 14
	s_mov_b32 s19, -1
	s_cbranch_scc0 .LBB102_850
; %bb.847:
	s_cmp_eq_u32 s17, 15
	s_mov_b32 s16, -1
	s_cbranch_scc0 .LBB102_849
; %bb.848:
	s_wait_loadcnt 0x0
	v_mov_b32_e32 v2, 0
	s_mov_b32 s16, 0
	global_store_b16 v[0:1], v2, off
.LBB102_849:
	s_mov_b32 s19, 0
.LBB102_850:
	s_delay_alu instid0(SALU_CYCLE_1)
	s_and_b32 vcc_lo, exec_lo, s19
	s_mov_b32 s19, 0
	s_cbranch_vccz .LBB102_853
; %bb.851:
	s_cmp_lg_u32 s17, 11
	s_mov_b32 s19, -1
	s_cselect_b32 s17, -1, 0
	s_and_not1_b32 s16, s16, exec_lo
	s_and_b32 s17, s17, exec_lo
	s_delay_alu instid0(SALU_CYCLE_1)
	s_or_b32 s16, s16, s17
	s_branch .LBB102_853
.LBB102_852:
	s_mov_b32 s19, 0
.LBB102_853:
	s_and_b32 s17, s18, exec_lo
	s_and_not1_b32 s15, s15, exec_lo
	s_and_b32 s18, s16, exec_lo
	s_and_b32 s16, s19, exec_lo
	s_or_b32 s15, s15, s18
	s_wait_xcnt 0x0
	s_or_b32 exec_lo, exec_lo, s11
	s_and_saveexec_b32 s11, s15
	s_cbranch_execz .LBB102_811
.LBB102_854:
	s_or_b32 s13, s13, exec_lo
	s_and_not1_b32 s16, s16, exec_lo
	s_trap 2
	s_or_b32 exec_lo, exec_lo, s11
	s_and_saveexec_b32 s11, s16
	s_delay_alu instid0(SALU_CYCLE_1)
	s_xor_b32 s11, exec_lo, s11
	s_cbranch_execnz .LBB102_812
.LBB102_855:
	s_or_b32 exec_lo, exec_lo, s11
	s_and_saveexec_b32 s11, s17
	s_delay_alu instid0(SALU_CYCLE_1)
	s_xor_b32 s11, exec_lo, s11
	s_cbranch_execz .LBB102_893
.LBB102_856:
	s_sext_i32_i16 s16, s0
	s_mov_b32 s15, -1
	s_cmp_lt_i32 s16, 5
	s_cbranch_scc1 .LBB102_877
; %bb.857:
	s_cmp_lt_i32 s16, 8
	s_cbranch_scc1 .LBB102_867
; %bb.858:
	;; [unrolled: 3-line block ×3, first 2 shown]
	s_cmp_gt_i32 s16, 9
	s_cbranch_scc0 .LBB102_861
; %bb.860:
	s_wait_loadcnt 0x0
	v_mov_b32_e32 v2, 0
	s_mov_b32 s15, 0
	s_delay_alu instid0(VALU_DEP_1)
	v_dual_mov_b32 v3, v2 :: v_dual_mov_b32 v4, v2
	v_mov_b32_e32 v5, v2
	global_store_b128 v[0:1], v[2:5], off
.LBB102_861:
	s_and_not1_b32 vcc_lo, exec_lo, s15
	s_cbranch_vccnz .LBB102_863
; %bb.862:
	s_wait_loadcnt 0x0
	v_mov_b64_e32 v[2:3], 0
	global_store_b64 v[0:1], v[2:3], off
.LBB102_863:
	s_mov_b32 s15, 0
.LBB102_864:
	s_delay_alu instid0(SALU_CYCLE_1)
	s_and_not1_b32 vcc_lo, exec_lo, s15
	s_cbranch_vccnz .LBB102_866
; %bb.865:
	s_wait_loadcnt 0x0
	v_mov_b32_e32 v2, 0
	global_store_b32 v[0:1], v2, off
.LBB102_866:
	s_mov_b32 s15, 0
.LBB102_867:
	s_delay_alu instid0(SALU_CYCLE_1)
	s_and_not1_b32 vcc_lo, exec_lo, s15
	s_cbranch_vccnz .LBB102_876
; %bb.868:
	s_sext_i32_i16 s16, s0
	s_mov_b32 s15, -1
	s_cmp_lt_i32 s16, 6
	s_cbranch_scc1 .LBB102_874
; %bb.869:
	s_cmp_gt_i32 s16, 6
	s_cbranch_scc0 .LBB102_871
; %bb.870:
	s_wait_loadcnt 0x0
	v_mov_b64_e32 v[2:3], 0
	s_mov_b32 s15, 0
	global_store_b64 v[0:1], v[2:3], off
.LBB102_871:
	s_and_not1_b32 vcc_lo, exec_lo, s15
	s_cbranch_vccnz .LBB102_873
; %bb.872:
	s_wait_loadcnt 0x0
	v_mov_b32_e32 v2, 0
	global_store_b32 v[0:1], v2, off
.LBB102_873:
	s_mov_b32 s15, 0
.LBB102_874:
	s_delay_alu instid0(SALU_CYCLE_1)
	s_and_not1_b32 vcc_lo, exec_lo, s15
	s_cbranch_vccnz .LBB102_876
; %bb.875:
	s_wait_loadcnt 0x0
	v_mov_b32_e32 v2, 0
	global_store_b16 v[0:1], v2, off
.LBB102_876:
	s_mov_b32 s15, 0
.LBB102_877:
	s_delay_alu instid0(SALU_CYCLE_1)
	s_and_not1_b32 vcc_lo, exec_lo, s15
	s_cbranch_vccnz .LBB102_893
; %bb.878:
	s_sext_i32_i16 s16, s0
	s_mov_b32 s15, -1
	s_cmp_lt_i32 s16, 2
	s_cbranch_scc1 .LBB102_888
; %bb.879:
	s_cmp_lt_i32 s16, 3
	s_cbranch_scc1 .LBB102_885
; %bb.880:
	s_cmp_gt_i32 s16, 3
	s_cbranch_scc0 .LBB102_882
; %bb.881:
	s_wait_loadcnt 0x0
	v_mov_b64_e32 v[2:3], 0
	s_mov_b32 s15, 0
	global_store_b64 v[0:1], v[2:3], off
.LBB102_882:
	s_and_not1_b32 vcc_lo, exec_lo, s15
	s_cbranch_vccnz .LBB102_884
; %bb.883:
	s_wait_loadcnt 0x0
	v_mov_b32_e32 v2, 0
	global_store_b32 v[0:1], v2, off
.LBB102_884:
	s_mov_b32 s15, 0
.LBB102_885:
	s_delay_alu instid0(SALU_CYCLE_1)
	s_and_not1_b32 vcc_lo, exec_lo, s15
	s_cbranch_vccnz .LBB102_887
; %bb.886:
	s_wait_loadcnt 0x0
	v_mov_b32_e32 v2, 0
	global_store_b16 v[0:1], v2, off
.LBB102_887:
	s_mov_b32 s15, 0
.LBB102_888:
	s_delay_alu instid0(SALU_CYCLE_1)
	s_and_not1_b32 vcc_lo, exec_lo, s15
	s_cbranch_vccnz .LBB102_893
; %bb.889:
	s_sext_i32_i16 s0, s0
	s_delay_alu instid0(SALU_CYCLE_1)
	s_cmp_gt_i32 s0, 0
	s_mov_b32 s0, -1
	s_cbranch_scc0 .LBB102_891
; %bb.890:
	s_wait_loadcnt 0x0
	v_mov_b32_e32 v2, 0
	s_mov_b32 s0, 0
	global_store_b8 v[0:1], v2, off
.LBB102_891:
	s_and_not1_b32 vcc_lo, exec_lo, s0
	s_cbranch_vccnz .LBB102_893
; %bb.892:
	s_wait_loadcnt 0x0
	v_mov_b32_e32 v2, 0
	global_store_b8 v[0:1], v2, off
.LBB102_893:
	s_wait_xcnt 0x0
	s_or_b32 exec_lo, exec_lo, s11
	s_delay_alu instid0(SALU_CYCLE_1)
	s_and_b32 s11, s13, exec_lo
                                        ; implicit-def: $vgpr4
.LBB102_894:
	s_or_saveexec_b32 s3, s3
	s_mov_b32 s15, 0
                                        ; implicit-def: $sgpr0
                                        ; implicit-def: $vgpr2_vgpr3
	s_xor_b32 exec_lo, exec_lo, s3
	s_cbranch_execz .LBB102_1729
; %bb.895:
	v_mul_lo_u32 v0, s9, v4
	s_and_b32 s15, 0xffff, s2
	s_delay_alu instid0(SALU_CYCLE_1) | instskip(NEXT) | instid1(VALU_DEP_1)
	s_cmp_lt_i32 s15, 11
	v_ashrrev_i32_e32 v1, 31, v0
	s_wait_loadcnt 0x0
	s_delay_alu instid0(VALU_DEP_1)
	v_add_nc_u64_e32 v[2:3], s[6:7], v[0:1]
	s_cbranch_scc1 .LBB102_902
; %bb.896:
	s_cmp_gt_i32 s15, 25
	s_mov_b32 s2, 0
	s_cbranch_scc0 .LBB102_913
; %bb.897:
	s_cmp_gt_i32 s15, 28
	s_cbranch_scc0 .LBB102_914
; %bb.898:
	s_cmp_gt_i32 s15, 43
	;; [unrolled: 3-line block ×3, first 2 shown]
	s_cbranch_scc0 .LBB102_928
; %bb.900:
	s_cmp_eq_u32 s15, 46
	s_cbranch_scc0 .LBB102_931
; %bb.901:
	global_load_b32 v1, v[2:3], off
	s_mov_b32 s0, 0
	s_mov_b32 s13, -1
	s_wait_loadcnt 0x0
	v_lshlrev_b32_e32 v1, 16, v1
	s_delay_alu instid0(VALU_DEP_1)
	v_cvt_i32_f32_e32 v1, v1
	s_branch .LBB102_933
.LBB102_902:
	s_mov_b32 s13, 0
	s_mov_b32 s1, s11
                                        ; implicit-def: $vgpr1
	s_cbranch_execnz .LBB102_993
.LBB102_903:
	s_and_not1_b32 vcc_lo, exec_lo, s13
	s_cbranch_vccnz .LBB102_1038
.LBB102_904:
	s_wait_loadcnt 0x0
	s_delay_alu instid0(VALU_DEP_1)
	v_cmp_gt_i32_e32 vcc_lo, s10, v1
	v_cmp_le_i32_e64 s0, s12, v1
	s_get_pc_i64 s[16:17]
	s_add_nc_u64 s[16:17], s[16:17], .str.5@rel64+4
	s_or_b32 s0, vcc_lo, s0
	s_cmp_eq_u64 s[16:17], 0
	s_cselect_b32 s2, -1, 0
	s_delay_alu instid0(SALU_CYCLE_1) | instskip(SKIP_2) | instid1(SALU_CYCLE_1)
	s_or_b32 s0, s2, s0
	s_wait_xcnt 0x0
	s_and_saveexec_b32 s2, s0
	s_xor_b32 s0, exec_lo, s2
	s_cbranch_execnz .LBB102_1288
.LBB102_905:
	s_or_saveexec_b32 s2, s0
	s_mov_b32 s13, 0
	s_mov_b32 s17, 0
                                        ; implicit-def: $sgpr0
                                        ; implicit-def: $vgpr2_vgpr3
	s_xor_b32 exec_lo, exec_lo, s2
	s_cbranch_execz .LBB102_1727
; %bb.906:
	s_lshl_b32 s18, s9, 7
	s_cmp_lt_i32 s15, 11
	v_add_nc_u32_e32 v0, s18, v0
	s_delay_alu instid0(VALU_DEP_1) | instskip(NEXT) | instid1(VALU_DEP_1)
	v_ashrrev_i32_e32 v1, 31, v0
	v_add_nc_u64_e32 v[2:3], s[6:7], v[0:1]
	s_cbranch_scc1 .LBB102_915
; %bb.907:
	s_cmp_gt_i32 s15, 25
	s_cbranch_scc0 .LBB102_927
; %bb.908:
	s_cmp_gt_i32 s15, 28
	s_cbranch_scc0 .LBB102_929
	;; [unrolled: 3-line block ×4, first 2 shown]
; %bb.911:
	s_cmp_eq_u32 s15, 46
	s_mov_b32 s9, 0
	s_cbranch_scc0 .LBB102_1042
; %bb.912:
	global_load_b32 v1, v[2:3], off
	s_mov_b32 s0, 0
	s_mov_b32 s16, -1
	s_wait_loadcnt 0x0
	v_lshlrev_b32_e32 v1, 16, v1
	s_delay_alu instid0(VALU_DEP_1)
	v_cvt_i32_f32_e32 v1, v1
	s_branch .LBB102_1044
.LBB102_913:
	s_mov_b32 s13, 0
	s_mov_b32 s0, 0
                                        ; implicit-def: $vgpr1
	s_cbranch_execnz .LBB102_960
	s_branch .LBB102_989
.LBB102_914:
	s_mov_b32 s13, 0
	s_mov_b32 s0, 0
                                        ; implicit-def: $vgpr1
	s_cbranch_execz .LBB102_959
	s_branch .LBB102_944
.LBB102_915:
	s_mov_b32 s16, 0
	s_mov_b32 s9, s1
                                        ; implicit-def: $vgpr1
	s_cbranch_execnz .LBB102_1107
.LBB102_916:
	s_and_not1_b32 vcc_lo, exec_lo, s16
	s_cbranch_vccnz .LBB102_1155
.LBB102_917:
	s_wait_loadcnt 0x0
	s_delay_alu instid0(VALU_DEP_1) | instskip(SKIP_4) | instid1(SALU_CYCLE_1)
	v_cmp_gt_i32_e32 vcc_lo, s10, v1
	v_cmp_le_i32_e64 s0, s12, v1
	s_or_b32 s0, vcc_lo, s0
	s_wait_xcnt 0x0
	s_and_saveexec_b32 s13, s0
	s_xor_b32 s0, exec_lo, s13
	s_cbranch_execnz .LBB102_1775
.LBB102_918:
	s_or_saveexec_b32 s13, s0
	s_mov_b32 s16, 0
	s_mov_b32 s17, 0
                                        ; implicit-def: $sgpr0
                                        ; implicit-def: $vgpr2_vgpr3
	s_xor_b32 exec_lo, exec_lo, s13
	s_cbranch_execz .LBB102_1725
; %bb.919:
	v_add_nc_u32_e32 v0, s18, v0
	s_cmp_lt_i32 s15, 11
	s_delay_alu instid0(VALU_DEP_1) | instskip(NEXT) | instid1(VALU_DEP_1)
	v_ashrrev_i32_e32 v1, 31, v0
	v_add_nc_u64_e32 v[2:3], s[6:7], v[0:1]
	s_cbranch_scc1 .LBB102_930
; %bb.920:
	s_cmp_gt_i32 s15, 25
	s_cbranch_scc0 .LBB102_938
; %bb.921:
	s_cmp_gt_i32 s15, 28
	s_cbranch_scc0 .LBB102_1041
	;; [unrolled: 3-line block ×4, first 2 shown]
; %bb.924:
	s_cmp_eq_u32 s15, 46
	s_cbranch_scc0 .LBB102_1158
; %bb.925:
	global_load_b32 v1, v[2:3], off
	s_mov_b32 s0, 0
	s_mov_b32 s19, -1
	s_wait_loadcnt 0x0
	v_lshlrev_b32_e32 v1, 16, v1
	s_delay_alu instid0(VALU_DEP_1)
	v_cvt_i32_f32_e32 v1, v1
	s_branch .LBB102_1160
.LBB102_926:
	s_mov_b32 s13, 0
	s_mov_b32 s0, 0
                                        ; implicit-def: $vgpr1
	s_cbranch_execnz .LBB102_940
	s_branch .LBB102_943
.LBB102_927:
	s_mov_b32 s9, -1
	s_mov_b32 s16, 0
	s_mov_b32 s0, 0
                                        ; implicit-def: $vgpr1
	s_branch .LBB102_1072
.LBB102_928:
	s_mov_b32 s1, -1
	s_mov_b32 s13, 0
	s_mov_b32 s0, 0
	s_branch .LBB102_932
.LBB102_929:
	s_mov_b32 s9, -1
	s_mov_b32 s16, 0
	s_mov_b32 s0, 0
                                        ; implicit-def: $vgpr1
	s_branch .LBB102_1055
.LBB102_930:
	s_mov_b32 s0, -1
	s_mov_b32 s19, 0
	s_mov_b32 s16, s9
                                        ; implicit-def: $vgpr1
	s_branch .LBB102_1222
.LBB102_931:
	s_mov_b32 s0, -1
	s_mov_b32 s13, 0
.LBB102_932:
                                        ; implicit-def: $vgpr1
.LBB102_933:
	s_and_b32 vcc_lo, exec_lo, s1
	s_cbranch_vccz .LBB102_936
; %bb.934:
	s_cmp_eq_u32 s15, 44
	s_cbranch_scc0 .LBB102_939
; %bb.935:
	global_load_u8 v1, v[2:3], off
	s_mov_b32 s0, 0
	s_mov_b32 s13, -1
	s_wait_loadcnt 0x0
	v_lshlrev_b32_e32 v5, 23, v1
	v_cmp_ne_u32_e32 vcc_lo, 0, v1
	s_delay_alu instid0(VALU_DEP_2) | instskip(NEXT) | instid1(VALU_DEP_1)
	v_cvt_i32_f32_e32 v5, v5
	v_cndmask_b32_e32 v1, 0, v5, vcc_lo
.LBB102_936:
	s_branch .LBB102_943
.LBB102_937:
	s_mov_b32 s9, -1
	s_mov_b32 s16, 0
	s_mov_b32 s0, 0
                                        ; implicit-def: $vgpr1
	s_branch .LBB102_1050
.LBB102_938:
	s_mov_b32 s16, -1
	s_mov_b32 s19, 0
	s_mov_b32 s0, 0
                                        ; implicit-def: $vgpr1
	s_branch .LBB102_1187
.LBB102_939:
	s_mov_b32 s0, -1
                                        ; implicit-def: $vgpr1
	s_branch .LBB102_943
.LBB102_940:
	s_cmp_eq_u32 s15, 29
	s_cbranch_scc0 .LBB102_942
; %bb.941:
	global_load_b32 v1, v[2:3], off
	s_mov_b32 s0, 0
	s_mov_b32 s13, -1
	s_branch .LBB102_943
.LBB102_942:
	s_mov_b32 s0, -1
                                        ; implicit-def: $vgpr1
.LBB102_943:
	s_branch .LBB102_959
.LBB102_944:
	s_cmp_lt_i32 s15, 27
	s_cbranch_scc1 .LBB102_947
; %bb.945:
	s_cmp_gt_i32 s15, 27
	s_cbranch_scc0 .LBB102_948
; %bb.946:
	s_wait_loadcnt 0x0
	global_load_b32 v1, v[2:3], off
	s_mov_b32 s1, 0
	s_branch .LBB102_949
.LBB102_947:
	s_mov_b32 s1, -1
                                        ; implicit-def: $vgpr1
	s_branch .LBB102_952
.LBB102_948:
	s_mov_b32 s1, -1
                                        ; implicit-def: $vgpr1
.LBB102_949:
	s_delay_alu instid0(SALU_CYCLE_1)
	s_and_not1_b32 vcc_lo, exec_lo, s1
	s_cbranch_vccnz .LBB102_951
; %bb.950:
	s_wait_loadcnt 0x0
	global_load_u16 v1, v[2:3], off
.LBB102_951:
	s_mov_b32 s1, 0
.LBB102_952:
	s_delay_alu instid0(SALU_CYCLE_1)
	s_and_not1_b32 vcc_lo, exec_lo, s1
	s_cbranch_vccnz .LBB102_958
; %bb.953:
	global_load_u8 v5, v[2:3], off
	s_mov_b32 s13, 0
	s_mov_b32 s1, exec_lo
	s_wait_loadcnt 0x0
	v_cmpx_lt_i16_e32 0x7f, v5
	s_xor_b32 s1, exec_lo, s1
	s_cbranch_execz .LBB102_969
; %bb.954:
	v_cmp_ne_u16_e32 vcc_lo, 0x80, v5
	s_and_b32 s13, vcc_lo, exec_lo
	s_and_not1_saveexec_b32 s1, s1
	s_cbranch_execnz .LBB102_970
.LBB102_955:
	s_or_b32 exec_lo, exec_lo, s1
	v_mov_b32_e32 v1, 0
	s_and_saveexec_b32 s1, s13
	s_cbranch_execz .LBB102_957
.LBB102_956:
	v_and_b32_e32 v1, 0xffff, v5
	s_delay_alu instid0(VALU_DEP_1) | instskip(SKIP_1) | instid1(VALU_DEP_2)
	v_and_b32_e32 v6, 7, v1
	v_bfe_u32 v9, v1, 3, 4
	v_clz_i32_u32_e32 v7, v6
	s_delay_alu instid0(VALU_DEP_2) | instskip(NEXT) | instid1(VALU_DEP_2)
	v_cmp_eq_u32_e32 vcc_lo, 0, v9
	v_min_u32_e32 v7, 32, v7
	s_delay_alu instid0(VALU_DEP_1) | instskip(NEXT) | instid1(VALU_DEP_1)
	v_subrev_nc_u32_e32 v8, 28, v7
	v_dual_lshlrev_b32 v1, v8, v1 :: v_dual_sub_nc_u32 v7, 29, v7
	s_delay_alu instid0(VALU_DEP_1) | instskip(NEXT) | instid1(VALU_DEP_2)
	v_and_b32_e32 v1, 7, v1
	v_dual_lshlrev_b32 v5, 24, v5 :: v_dual_cndmask_b32 v7, v9, v7, vcc_lo
	s_delay_alu instid0(VALU_DEP_2) | instskip(NEXT) | instid1(VALU_DEP_2)
	v_cndmask_b32_e32 v1, v6, v1, vcc_lo
	v_and_b32_e32 v5, 0x80000000, v5
	s_delay_alu instid0(VALU_DEP_3) | instskip(NEXT) | instid1(VALU_DEP_3)
	v_lshl_add_u32 v6, v7, 23, 0x3b800000
	v_lshlrev_b32_e32 v1, 20, v1
	s_delay_alu instid0(VALU_DEP_1) | instskip(NEXT) | instid1(VALU_DEP_1)
	v_or3_b32 v1, v5, v6, v1
	v_cvt_i32_f32_e32 v1, v1
.LBB102_957:
	s_or_b32 exec_lo, exec_lo, s1
.LBB102_958:
	s_mov_b32 s13, -1
.LBB102_959:
	s_branch .LBB102_989
.LBB102_960:
	s_cmp_gt_i32 s15, 22
	s_cbranch_scc0 .LBB102_968
; %bb.961:
	s_cmp_lt_i32 s15, 24
	s_cbranch_scc1 .LBB102_971
; %bb.962:
	s_cmp_gt_i32 s15, 24
	s_cbranch_scc0 .LBB102_972
; %bb.963:
	global_load_u8 v5, v[2:3], off
	s_mov_b32 s1, exec_lo
	s_wait_loadcnt 0x0
	v_cmpx_lt_i16_e32 0x7f, v5
	s_xor_b32 s1, exec_lo, s1
	s_cbranch_execz .LBB102_983
; %bb.964:
	v_cmp_ne_u16_e32 vcc_lo, 0x80, v5
	s_and_b32 s2, vcc_lo, exec_lo
	s_and_not1_saveexec_b32 s1, s1
	s_cbranch_execnz .LBB102_984
.LBB102_965:
	s_or_b32 exec_lo, exec_lo, s1
	v_mov_b32_e32 v1, 0
	s_and_saveexec_b32 s1, s2
	s_cbranch_execz .LBB102_967
.LBB102_966:
	v_and_b32_e32 v1, 0xffff, v5
	s_delay_alu instid0(VALU_DEP_1) | instskip(SKIP_1) | instid1(VALU_DEP_2)
	v_and_b32_e32 v6, 3, v1
	v_bfe_u32 v9, v1, 2, 5
	v_clz_i32_u32_e32 v7, v6
	s_delay_alu instid0(VALU_DEP_2) | instskip(NEXT) | instid1(VALU_DEP_2)
	v_cmp_eq_u32_e32 vcc_lo, 0, v9
	v_min_u32_e32 v7, 32, v7
	s_delay_alu instid0(VALU_DEP_1) | instskip(NEXT) | instid1(VALU_DEP_1)
	v_subrev_nc_u32_e32 v8, 29, v7
	v_dual_lshlrev_b32 v1, v8, v1 :: v_dual_sub_nc_u32 v7, 30, v7
	s_delay_alu instid0(VALU_DEP_1) | instskip(NEXT) | instid1(VALU_DEP_2)
	v_and_b32_e32 v1, 3, v1
	v_dual_lshlrev_b32 v5, 24, v5 :: v_dual_cndmask_b32 v7, v9, v7, vcc_lo
	s_delay_alu instid0(VALU_DEP_2) | instskip(NEXT) | instid1(VALU_DEP_2)
	v_cndmask_b32_e32 v1, v6, v1, vcc_lo
	v_and_b32_e32 v5, 0x80000000, v5
	s_delay_alu instid0(VALU_DEP_3) | instskip(NEXT) | instid1(VALU_DEP_3)
	v_lshl_add_u32 v6, v7, 23, 0x37800000
	v_lshlrev_b32_e32 v1, 21, v1
	s_delay_alu instid0(VALU_DEP_1) | instskip(NEXT) | instid1(VALU_DEP_1)
	v_or3_b32 v1, v5, v6, v1
	v_cvt_i32_f32_e32 v1, v1
.LBB102_967:
	s_or_b32 exec_lo, exec_lo, s1
	s_mov_b32 s1, 0
	s_branch .LBB102_973
.LBB102_968:
                                        ; implicit-def: $vgpr1
	s_mov_b32 s2, 0
	s_branch .LBB102_979
.LBB102_969:
	s_and_not1_saveexec_b32 s1, s1
	s_cbranch_execz .LBB102_955
.LBB102_970:
	v_cmp_ne_u16_e32 vcc_lo, 0, v5
	s_and_not1_b32 s13, s13, exec_lo
	s_and_b32 s16, vcc_lo, exec_lo
	s_delay_alu instid0(SALU_CYCLE_1)
	s_or_b32 s13, s13, s16
	s_or_b32 exec_lo, exec_lo, s1
	v_mov_b32_e32 v1, 0
	s_and_saveexec_b32 s1, s13
	s_cbranch_execnz .LBB102_956
	s_branch .LBB102_957
.LBB102_971:
	s_mov_b32 s1, -1
                                        ; implicit-def: $vgpr1
	s_branch .LBB102_976
.LBB102_972:
	s_mov_b32 s1, -1
                                        ; implicit-def: $vgpr1
.LBB102_973:
	s_delay_alu instid0(SALU_CYCLE_1)
	s_and_b32 vcc_lo, exec_lo, s1
	s_cbranch_vccz .LBB102_975
; %bb.974:
	s_wait_loadcnt 0x0
	global_load_u8 v1, v[2:3], off
	s_wait_loadcnt 0x0
	v_lshlrev_b32_e32 v1, 24, v1
	s_delay_alu instid0(VALU_DEP_1) | instskip(NEXT) | instid1(VALU_DEP_1)
	v_and_b32_e32 v5, 0x7f000000, v1
	v_clz_i32_u32_e32 v6, v5
	v_cmp_ne_u32_e32 vcc_lo, 0, v5
	v_add_nc_u32_e32 v8, 0x1000000, v5
	s_delay_alu instid0(VALU_DEP_3) | instskip(NEXT) | instid1(VALU_DEP_1)
	v_min_u32_e32 v6, 32, v6
	v_sub_nc_u32_e64 v6, v6, 4 clamp
	s_delay_alu instid0(VALU_DEP_1) | instskip(NEXT) | instid1(VALU_DEP_1)
	v_dual_lshlrev_b32 v7, v6, v5 :: v_dual_lshlrev_b32 v6, 23, v6
	v_lshrrev_b32_e32 v7, 4, v7
	s_delay_alu instid0(VALU_DEP_1) | instskip(NEXT) | instid1(VALU_DEP_1)
	v_dual_sub_nc_u32 v6, v7, v6 :: v_dual_ashrrev_i32 v7, 8, v8
	v_add_nc_u32_e32 v6, 0x3c000000, v6
	s_delay_alu instid0(VALU_DEP_1) | instskip(NEXT) | instid1(VALU_DEP_1)
	v_and_or_b32 v6, 0x7f800000, v7, v6
	v_cndmask_b32_e32 v5, 0, v6, vcc_lo
	s_delay_alu instid0(VALU_DEP_1) | instskip(NEXT) | instid1(VALU_DEP_1)
	v_and_or_b32 v1, 0x80000000, v1, v5
	v_cvt_i32_f32_e32 v1, v1
.LBB102_975:
	s_mov_b32 s1, 0
.LBB102_976:
	s_delay_alu instid0(SALU_CYCLE_1)
	s_and_not1_b32 vcc_lo, exec_lo, s1
	s_cbranch_vccnz .LBB102_978
; %bb.977:
	s_wait_loadcnt 0x0
	global_load_u8 v1, v[2:3], off
	s_wait_loadcnt 0x0
	v_lshlrev_b32_e32 v5, 25, v1
	v_lshlrev_b16 v1, 8, v1
	s_delay_alu instid0(VALU_DEP_1) | instskip(SKIP_1) | instid1(VALU_DEP_2)
	v_and_or_b32 v7, 0x7f00, v1, 0.5
	v_bfe_i32 v1, v1, 0, 16
	v_dual_add_f32 v7, -0.5, v7 :: v_dual_lshrrev_b32 v6, 4, v5
	v_cmp_gt_u32_e32 vcc_lo, 0x8000000, v5
	s_delay_alu instid0(VALU_DEP_2) | instskip(NEXT) | instid1(VALU_DEP_1)
	v_or_b32_e32 v6, 0x70000000, v6
	v_mul_f32_e32 v6, 0x7800000, v6
	s_delay_alu instid0(VALU_DEP_1) | instskip(NEXT) | instid1(VALU_DEP_1)
	v_cndmask_b32_e32 v5, v6, v7, vcc_lo
	v_and_or_b32 v1, 0x80000000, v1, v5
	s_delay_alu instid0(VALU_DEP_1)
	v_cvt_i32_f32_e32 v1, v1
.LBB102_978:
	s_mov_b32 s13, -1
	s_mov_b32 s2, 0
	s_cbranch_execnz .LBB102_989
.LBB102_979:
	s_cmp_gt_i32 s15, 14
	s_cbranch_scc0 .LBB102_982
; %bb.980:
	s_cmp_eq_u32 s15, 15
	s_cbranch_scc0 .LBB102_985
; %bb.981:
	s_wait_loadcnt 0x0
	global_load_u16 v1, v[2:3], off
	s_mov_b32 s0, 0
	s_mov_b32 s13, -1
	s_wait_loadcnt 0x0
	v_lshlrev_b32_e32 v1, 16, v1
	s_delay_alu instid0(VALU_DEP_1)
	v_cvt_i32_f32_e32 v1, v1
	s_branch .LBB102_986
.LBB102_982:
	s_mov_b32 s1, -1
                                        ; implicit-def: $vgpr1
	s_branch .LBB102_987
.LBB102_983:
	s_and_not1_saveexec_b32 s1, s1
	s_cbranch_execz .LBB102_965
.LBB102_984:
	v_cmp_ne_u16_e32 vcc_lo, 0, v5
	s_and_not1_b32 s2, s2, exec_lo
	s_and_b32 s13, vcc_lo, exec_lo
	s_delay_alu instid0(SALU_CYCLE_1)
	s_or_b32 s2, s2, s13
	s_or_b32 exec_lo, exec_lo, s1
	v_mov_b32_e32 v1, 0
	s_and_saveexec_b32 s1, s2
	s_cbranch_execnz .LBB102_966
	s_branch .LBB102_967
.LBB102_985:
	s_mov_b32 s0, -1
                                        ; implicit-def: $vgpr1
.LBB102_986:
	s_mov_b32 s1, 0
.LBB102_987:
	s_delay_alu instid0(SALU_CYCLE_1)
	s_and_b32 vcc_lo, exec_lo, s1
	s_cbranch_vccz .LBB102_989
; %bb.988:
	s_cmp_lg_u32 s15, 11
	s_mov_b32 s2, -1
	s_cselect_b32 s0, -1, 0
.LBB102_989:
	s_delay_alu instid0(SALU_CYCLE_1)
	s_and_b32 vcc_lo, exec_lo, s0
	s_mov_b32 s1, s11
	s_cbranch_vccnz .LBB102_1039
; %bb.990:
	s_and_not1_b32 vcc_lo, exec_lo, s2
	s_cbranch_vccnz .LBB102_992
.LBB102_991:
	s_wait_loadcnt 0x0
	global_load_u8 v1, v[2:3], off
	s_mov_b32 s13, -1
	s_wait_loadcnt 0x0
	v_cmp_ne_u16_e32 vcc_lo, 0, v1
	v_cndmask_b32_e64 v1, 0, 1, vcc_lo
.LBB102_992:
	s_branch .LBB102_903
.LBB102_993:
	s_cmp_lt_i32 s15, 5
	s_cbranch_scc1 .LBB102_998
; %bb.994:
	s_cmp_lt_i32 s15, 8
	s_cbranch_scc1 .LBB102_999
; %bb.995:
	;; [unrolled: 3-line block ×3, first 2 shown]
	s_cmp_gt_i32 s15, 9
	s_cbranch_scc0 .LBB102_1001
; %bb.997:
	global_load_b64 v[6:7], v[2:3], off
	s_mov_b32 s0, 0
	s_wait_loadcnt 0x0
	v_cvt_i32_f64_e32 v1, v[6:7]
	s_branch .LBB102_1002
.LBB102_998:
                                        ; implicit-def: $vgpr1
	s_branch .LBB102_1019
.LBB102_999:
                                        ; implicit-def: $vgpr1
	s_branch .LBB102_1008
.LBB102_1000:
	s_mov_b32 s0, -1
                                        ; implicit-def: $vgpr1
	s_branch .LBB102_1005
.LBB102_1001:
	s_mov_b32 s0, -1
                                        ; implicit-def: $vgpr1
.LBB102_1002:
	s_delay_alu instid0(SALU_CYCLE_1)
	s_and_not1_b32 vcc_lo, exec_lo, s0
	s_cbranch_vccnz .LBB102_1004
; %bb.1003:
	s_wait_loadcnt 0x0
	global_load_b32 v1, v[2:3], off
	s_wait_loadcnt 0x0
	v_cvt_i32_f32_e32 v1, v1
.LBB102_1004:
	s_mov_b32 s0, 0
.LBB102_1005:
	s_delay_alu instid0(SALU_CYCLE_1)
	s_and_not1_b32 vcc_lo, exec_lo, s0
	s_cbranch_vccnz .LBB102_1007
; %bb.1006:
	s_wait_loadcnt 0x0
	global_load_b32 v1, v[2:3], off
	s_wait_loadcnt 0x0
	v_cvt_f32_f16_e32 v1, v1
	s_delay_alu instid0(VALU_DEP_1)
	v_cvt_i32_f32_e32 v1, v1
.LBB102_1007:
	s_cbranch_execnz .LBB102_1018
.LBB102_1008:
	s_cmp_lt_i32 s15, 6
	s_cbranch_scc1 .LBB102_1011
; %bb.1009:
	s_cmp_gt_i32 s15, 6
	s_cbranch_scc0 .LBB102_1012
; %bb.1010:
	global_load_b64 v[6:7], v[2:3], off
	s_mov_b32 s0, 0
	s_wait_loadcnt 0x0
	v_cvt_i32_f64_e32 v1, v[6:7]
	s_branch .LBB102_1013
.LBB102_1011:
	s_mov_b32 s0, -1
                                        ; implicit-def: $vgpr1
	s_branch .LBB102_1016
.LBB102_1012:
	s_mov_b32 s0, -1
                                        ; implicit-def: $vgpr1
.LBB102_1013:
	s_delay_alu instid0(SALU_CYCLE_1)
	s_and_not1_b32 vcc_lo, exec_lo, s0
	s_cbranch_vccnz .LBB102_1015
; %bb.1014:
	s_wait_loadcnt 0x0
	global_load_b32 v1, v[2:3], off
	s_wait_loadcnt 0x0
	v_cvt_i32_f32_e32 v1, v1
.LBB102_1015:
	s_mov_b32 s0, 0
.LBB102_1016:
	s_delay_alu instid0(SALU_CYCLE_1)
	s_and_not1_b32 vcc_lo, exec_lo, s0
	s_cbranch_vccnz .LBB102_1018
; %bb.1017:
	s_wait_loadcnt 0x0
	global_load_u16 v1, v[2:3], off
	s_wait_loadcnt 0x0
	v_cvt_f32_f16_e32 v1, v1
	s_delay_alu instid0(VALU_DEP_1)
	v_cvt_i32_f32_e32 v1, v1
.LBB102_1018:
	s_cbranch_execnz .LBB102_1037
.LBB102_1019:
	s_cmp_lt_i32 s15, 2
	s_cbranch_scc1 .LBB102_1023
; %bb.1020:
	s_cmp_lt_i32 s15, 3
	s_cbranch_scc1 .LBB102_1024
; %bb.1021:
	s_cmp_gt_i32 s15, 3
	s_cbranch_scc0 .LBB102_1025
; %bb.1022:
	s_wait_loadcnt 0x0
	global_load_b32 v1, v[2:3], off
	s_mov_b32 s0, 0
	s_branch .LBB102_1026
.LBB102_1023:
                                        ; implicit-def: $vgpr1
	s_branch .LBB102_1032
.LBB102_1024:
	s_mov_b32 s0, -1
                                        ; implicit-def: $vgpr1
	s_branch .LBB102_1029
.LBB102_1025:
	s_mov_b32 s0, -1
                                        ; implicit-def: $vgpr1
.LBB102_1026:
	s_delay_alu instid0(SALU_CYCLE_1)
	s_and_not1_b32 vcc_lo, exec_lo, s0
	s_cbranch_vccnz .LBB102_1028
; %bb.1027:
	s_wait_loadcnt 0x0
	global_load_b32 v1, v[2:3], off
.LBB102_1028:
	s_mov_b32 s0, 0
.LBB102_1029:
	s_delay_alu instid0(SALU_CYCLE_1)
	s_and_not1_b32 vcc_lo, exec_lo, s0
	s_cbranch_vccnz .LBB102_1031
; %bb.1030:
	s_wait_loadcnt 0x0
	global_load_i16 v1, v[2:3], off
.LBB102_1031:
	s_cbranch_execnz .LBB102_1037
.LBB102_1032:
	s_cmp_gt_i32 s15, 0
	s_mov_b32 s0, 0
	s_cbranch_scc0 .LBB102_1034
; %bb.1033:
	s_wait_loadcnt 0x0
	global_load_i8 v1, v[2:3], off
	s_branch .LBB102_1035
.LBB102_1034:
	s_mov_b32 s0, -1
                                        ; implicit-def: $vgpr1
.LBB102_1035:
	s_delay_alu instid0(SALU_CYCLE_1)
	s_and_not1_b32 vcc_lo, exec_lo, s0
	s_cbranch_vccnz .LBB102_1037
; %bb.1036:
	s_wait_loadcnt 0x0
	global_load_u8 v1, v[2:3], off
.LBB102_1037:
	s_branch .LBB102_904
.LBB102_1038:
	s_mov_b32 s13, 0
	s_mov_b32 s17, 0
                                        ; implicit-def: $sgpr0
                                        ; implicit-def: $vgpr2_vgpr3
	s_branch .LBB102_1728
.LBB102_1039:
	s_or_b32 s1, s11, exec_lo
	s_trap 2
	s_cbranch_execz .LBB102_991
	s_branch .LBB102_992
.LBB102_1040:
	s_mov_b32 s9, -1
	s_mov_b32 s16, 0
	s_mov_b32 s0, 0
	s_branch .LBB102_1043
.LBB102_1041:
	s_mov_b32 s16, -1
	s_mov_b32 s19, 0
	s_mov_b32 s0, 0
                                        ; implicit-def: $vgpr1
	s_branch .LBB102_1170
.LBB102_1042:
	s_mov_b32 s0, -1
	s_mov_b32 s16, 0
.LBB102_1043:
                                        ; implicit-def: $vgpr1
.LBB102_1044:
	s_and_b32 vcc_lo, exec_lo, s9
	s_cbranch_vccz .LBB102_1049
; %bb.1045:
	s_cmp_eq_u32 s15, 44
	s_cbranch_scc0 .LBB102_1048
; %bb.1046:
	global_load_u8 v1, v[2:3], off
	s_mov_b32 s0, 0
	s_mov_b32 s16, -1
	s_wait_loadcnt 0x0
	v_lshlrev_b32_e32 v5, 23, v1
	v_cmp_ne_u32_e32 vcc_lo, 0, v1
	s_delay_alu instid0(VALU_DEP_2) | instskip(NEXT) | instid1(VALU_DEP_1)
	v_cvt_i32_f32_e32 v5, v5
	v_cndmask_b32_e32 v1, 0, v5, vcc_lo
	s_branch .LBB102_1049
.LBB102_1047:
	s_mov_b32 s16, -1
	s_mov_b32 s19, 0
	s_mov_b32 s0, 0
                                        ; implicit-def: $vgpr1
	s_branch .LBB102_1165
.LBB102_1048:
	s_mov_b32 s0, -1
                                        ; implicit-def: $vgpr1
.LBB102_1049:
	s_mov_b32 s9, 0
.LBB102_1050:
	s_delay_alu instid0(SALU_CYCLE_1)
	s_and_b32 vcc_lo, exec_lo, s9
	s_cbranch_vccz .LBB102_1054
; %bb.1051:
	s_cmp_eq_u32 s15, 29
	s_cbranch_scc0 .LBB102_1053
; %bb.1052:
	global_load_b32 v1, v[2:3], off
	s_mov_b32 s0, 0
	s_mov_b32 s16, -1
	s_branch .LBB102_1054
.LBB102_1053:
	s_mov_b32 s0, -1
                                        ; implicit-def: $vgpr1
.LBB102_1054:
	s_mov_b32 s9, 0
.LBB102_1055:
	s_delay_alu instid0(SALU_CYCLE_1)
	s_and_b32 vcc_lo, exec_lo, s9
	s_cbranch_vccz .LBB102_1071
; %bb.1056:
	s_cmp_lt_i32 s15, 27
	s_cbranch_scc1 .LBB102_1059
; %bb.1057:
	s_cmp_gt_i32 s15, 27
	s_cbranch_scc0 .LBB102_1060
; %bb.1058:
	s_wait_loadcnt 0x0
	global_load_b32 v1, v[2:3], off
	s_mov_b32 s9, 0
	s_branch .LBB102_1061
.LBB102_1059:
	s_mov_b32 s9, -1
                                        ; implicit-def: $vgpr1
	s_branch .LBB102_1064
.LBB102_1060:
	s_mov_b32 s9, -1
                                        ; implicit-def: $vgpr1
.LBB102_1061:
	s_delay_alu instid0(SALU_CYCLE_1)
	s_and_not1_b32 vcc_lo, exec_lo, s9
	s_cbranch_vccnz .LBB102_1063
; %bb.1062:
	s_wait_loadcnt 0x0
	global_load_u16 v1, v[2:3], off
.LBB102_1063:
	s_mov_b32 s9, 0
.LBB102_1064:
	s_delay_alu instid0(SALU_CYCLE_1)
	s_and_not1_b32 vcc_lo, exec_lo, s9
	s_cbranch_vccnz .LBB102_1070
; %bb.1065:
	global_load_u8 v5, v[2:3], off
	s_mov_b32 s16, 0
	s_mov_b32 s9, exec_lo
	s_wait_loadcnt 0x0
	v_cmpx_lt_i16_e32 0x7f, v5
	s_xor_b32 s9, exec_lo, s9
	s_cbranch_execz .LBB102_1082
; %bb.1066:
	v_cmp_ne_u16_e32 vcc_lo, 0x80, v5
	s_and_b32 s16, vcc_lo, exec_lo
	s_and_not1_saveexec_b32 s9, s9
	s_cbranch_execnz .LBB102_1083
.LBB102_1067:
	s_or_b32 exec_lo, exec_lo, s9
	v_mov_b32_e32 v1, 0
	s_and_saveexec_b32 s9, s16
	s_cbranch_execz .LBB102_1069
.LBB102_1068:
	v_and_b32_e32 v1, 0xffff, v5
	s_delay_alu instid0(VALU_DEP_1) | instskip(SKIP_1) | instid1(VALU_DEP_2)
	v_and_b32_e32 v6, 7, v1
	v_bfe_u32 v9, v1, 3, 4
	v_clz_i32_u32_e32 v7, v6
	s_delay_alu instid0(VALU_DEP_2) | instskip(NEXT) | instid1(VALU_DEP_2)
	v_cmp_eq_u32_e32 vcc_lo, 0, v9
	v_min_u32_e32 v7, 32, v7
	s_delay_alu instid0(VALU_DEP_1) | instskip(NEXT) | instid1(VALU_DEP_1)
	v_subrev_nc_u32_e32 v8, 28, v7
	v_dual_lshlrev_b32 v1, v8, v1 :: v_dual_sub_nc_u32 v7, 29, v7
	s_delay_alu instid0(VALU_DEP_1) | instskip(NEXT) | instid1(VALU_DEP_2)
	v_and_b32_e32 v1, 7, v1
	v_dual_lshlrev_b32 v5, 24, v5 :: v_dual_cndmask_b32 v7, v9, v7, vcc_lo
	s_delay_alu instid0(VALU_DEP_2) | instskip(NEXT) | instid1(VALU_DEP_2)
	v_cndmask_b32_e32 v1, v6, v1, vcc_lo
	v_and_b32_e32 v5, 0x80000000, v5
	s_delay_alu instid0(VALU_DEP_3) | instskip(NEXT) | instid1(VALU_DEP_3)
	v_lshl_add_u32 v6, v7, 23, 0x3b800000
	v_lshlrev_b32_e32 v1, 20, v1
	s_delay_alu instid0(VALU_DEP_1) | instskip(NEXT) | instid1(VALU_DEP_1)
	v_or3_b32 v1, v5, v6, v1
	v_cvt_i32_f32_e32 v1, v1
.LBB102_1069:
	s_or_b32 exec_lo, exec_lo, s9
.LBB102_1070:
	s_mov_b32 s16, -1
.LBB102_1071:
	s_mov_b32 s9, 0
.LBB102_1072:
	s_delay_alu instid0(SALU_CYCLE_1)
	s_and_b32 vcc_lo, exec_lo, s9
	s_cbranch_vccz .LBB102_1103
; %bb.1073:
	s_cmp_gt_i32 s15, 22
	s_cbranch_scc0 .LBB102_1081
; %bb.1074:
	s_cmp_lt_i32 s15, 24
	s_cbranch_scc1 .LBB102_1084
; %bb.1075:
	s_cmp_gt_i32 s15, 24
	s_cbranch_scc0 .LBB102_1085
; %bb.1076:
	global_load_u8 v5, v[2:3], off
	s_mov_b32 s9, exec_lo
	s_wait_loadcnt 0x0
	v_cmpx_lt_i16_e32 0x7f, v5
	s_xor_b32 s9, exec_lo, s9
	s_cbranch_execz .LBB102_1097
; %bb.1077:
	v_cmp_ne_u16_e32 vcc_lo, 0x80, v5
	s_and_b32 s13, vcc_lo, exec_lo
	s_and_not1_saveexec_b32 s9, s9
	s_cbranch_execnz .LBB102_1098
.LBB102_1078:
	s_or_b32 exec_lo, exec_lo, s9
	v_mov_b32_e32 v1, 0
	s_and_saveexec_b32 s9, s13
	s_cbranch_execz .LBB102_1080
.LBB102_1079:
	v_and_b32_e32 v1, 0xffff, v5
	s_delay_alu instid0(VALU_DEP_1) | instskip(SKIP_1) | instid1(VALU_DEP_2)
	v_and_b32_e32 v6, 3, v1
	v_bfe_u32 v9, v1, 2, 5
	v_clz_i32_u32_e32 v7, v6
	s_delay_alu instid0(VALU_DEP_2) | instskip(NEXT) | instid1(VALU_DEP_2)
	v_cmp_eq_u32_e32 vcc_lo, 0, v9
	v_min_u32_e32 v7, 32, v7
	s_delay_alu instid0(VALU_DEP_1) | instskip(NEXT) | instid1(VALU_DEP_1)
	v_subrev_nc_u32_e32 v8, 29, v7
	v_dual_lshlrev_b32 v1, v8, v1 :: v_dual_sub_nc_u32 v7, 30, v7
	s_delay_alu instid0(VALU_DEP_1) | instskip(NEXT) | instid1(VALU_DEP_2)
	v_and_b32_e32 v1, 3, v1
	v_dual_lshlrev_b32 v5, 24, v5 :: v_dual_cndmask_b32 v7, v9, v7, vcc_lo
	s_delay_alu instid0(VALU_DEP_2) | instskip(NEXT) | instid1(VALU_DEP_2)
	v_cndmask_b32_e32 v1, v6, v1, vcc_lo
	v_and_b32_e32 v5, 0x80000000, v5
	s_delay_alu instid0(VALU_DEP_3) | instskip(NEXT) | instid1(VALU_DEP_3)
	v_lshl_add_u32 v6, v7, 23, 0x37800000
	v_lshlrev_b32_e32 v1, 21, v1
	s_delay_alu instid0(VALU_DEP_1) | instskip(NEXT) | instid1(VALU_DEP_1)
	v_or3_b32 v1, v5, v6, v1
	v_cvt_i32_f32_e32 v1, v1
.LBB102_1080:
	s_or_b32 exec_lo, exec_lo, s9
	s_mov_b32 s9, 0
	s_branch .LBB102_1086
.LBB102_1081:
	s_mov_b32 s9, -1
                                        ; implicit-def: $vgpr1
	s_branch .LBB102_1092
.LBB102_1082:
	s_and_not1_saveexec_b32 s9, s9
	s_cbranch_execz .LBB102_1067
.LBB102_1083:
	v_cmp_ne_u16_e32 vcc_lo, 0, v5
	s_and_not1_b32 s16, s16, exec_lo
	s_and_b32 s17, vcc_lo, exec_lo
	s_delay_alu instid0(SALU_CYCLE_1)
	s_or_b32 s16, s16, s17
	s_or_b32 exec_lo, exec_lo, s9
	v_mov_b32_e32 v1, 0
	s_and_saveexec_b32 s9, s16
	s_cbranch_execnz .LBB102_1068
	s_branch .LBB102_1069
.LBB102_1084:
	s_mov_b32 s9, -1
                                        ; implicit-def: $vgpr1
	s_branch .LBB102_1089
.LBB102_1085:
	s_mov_b32 s9, -1
                                        ; implicit-def: $vgpr1
.LBB102_1086:
	s_delay_alu instid0(SALU_CYCLE_1)
	s_and_b32 vcc_lo, exec_lo, s9
	s_cbranch_vccz .LBB102_1088
; %bb.1087:
	s_wait_loadcnt 0x0
	global_load_u8 v1, v[2:3], off
	s_wait_loadcnt 0x0
	v_lshlrev_b32_e32 v1, 24, v1
	s_delay_alu instid0(VALU_DEP_1) | instskip(NEXT) | instid1(VALU_DEP_1)
	v_and_b32_e32 v5, 0x7f000000, v1
	v_clz_i32_u32_e32 v6, v5
	v_cmp_ne_u32_e32 vcc_lo, 0, v5
	v_add_nc_u32_e32 v8, 0x1000000, v5
	s_delay_alu instid0(VALU_DEP_3) | instskip(NEXT) | instid1(VALU_DEP_1)
	v_min_u32_e32 v6, 32, v6
	v_sub_nc_u32_e64 v6, v6, 4 clamp
	s_delay_alu instid0(VALU_DEP_1) | instskip(NEXT) | instid1(VALU_DEP_1)
	v_dual_lshlrev_b32 v7, v6, v5 :: v_dual_lshlrev_b32 v6, 23, v6
	v_lshrrev_b32_e32 v7, 4, v7
	s_delay_alu instid0(VALU_DEP_1) | instskip(NEXT) | instid1(VALU_DEP_1)
	v_dual_sub_nc_u32 v6, v7, v6 :: v_dual_ashrrev_i32 v7, 8, v8
	v_add_nc_u32_e32 v6, 0x3c000000, v6
	s_delay_alu instid0(VALU_DEP_1) | instskip(NEXT) | instid1(VALU_DEP_1)
	v_and_or_b32 v6, 0x7f800000, v7, v6
	v_cndmask_b32_e32 v5, 0, v6, vcc_lo
	s_delay_alu instid0(VALU_DEP_1) | instskip(NEXT) | instid1(VALU_DEP_1)
	v_and_or_b32 v1, 0x80000000, v1, v5
	v_cvt_i32_f32_e32 v1, v1
.LBB102_1088:
	s_mov_b32 s9, 0
.LBB102_1089:
	s_delay_alu instid0(SALU_CYCLE_1)
	s_and_not1_b32 vcc_lo, exec_lo, s9
	s_cbranch_vccnz .LBB102_1091
; %bb.1090:
	s_wait_loadcnt 0x0
	global_load_u8 v1, v[2:3], off
	s_wait_loadcnt 0x0
	v_lshlrev_b32_e32 v5, 25, v1
	v_lshlrev_b16 v1, 8, v1
	s_delay_alu instid0(VALU_DEP_1) | instskip(SKIP_1) | instid1(VALU_DEP_2)
	v_and_or_b32 v7, 0x7f00, v1, 0.5
	v_bfe_i32 v1, v1, 0, 16
	v_dual_add_f32 v7, -0.5, v7 :: v_dual_lshrrev_b32 v6, 4, v5
	v_cmp_gt_u32_e32 vcc_lo, 0x8000000, v5
	s_delay_alu instid0(VALU_DEP_2) | instskip(NEXT) | instid1(VALU_DEP_1)
	v_or_b32_e32 v6, 0x70000000, v6
	v_mul_f32_e32 v6, 0x7800000, v6
	s_delay_alu instid0(VALU_DEP_1) | instskip(NEXT) | instid1(VALU_DEP_1)
	v_cndmask_b32_e32 v5, v6, v7, vcc_lo
	v_and_or_b32 v1, 0x80000000, v1, v5
	s_delay_alu instid0(VALU_DEP_1)
	v_cvt_i32_f32_e32 v1, v1
.LBB102_1091:
	s_mov_b32 s9, 0
	s_mov_b32 s16, -1
.LBB102_1092:
	s_and_not1_b32 vcc_lo, exec_lo, s9
	s_mov_b32 s13, 0
	s_cbranch_vccnz .LBB102_1103
; %bb.1093:
	s_cmp_gt_i32 s15, 14
	s_cbranch_scc0 .LBB102_1096
; %bb.1094:
	s_cmp_eq_u32 s15, 15
	s_cbranch_scc0 .LBB102_1099
; %bb.1095:
	s_wait_loadcnt 0x0
	global_load_u16 v1, v[2:3], off
	s_mov_b32 s0, 0
	s_mov_b32 s16, -1
	s_wait_loadcnt 0x0
	v_lshlrev_b32_e32 v1, 16, v1
	s_delay_alu instid0(VALU_DEP_1)
	v_cvt_i32_f32_e32 v1, v1
	s_branch .LBB102_1100
.LBB102_1096:
	s_mov_b32 s9, -1
                                        ; implicit-def: $vgpr1
	s_branch .LBB102_1101
.LBB102_1097:
	s_and_not1_saveexec_b32 s9, s9
	s_cbranch_execz .LBB102_1078
.LBB102_1098:
	v_cmp_ne_u16_e32 vcc_lo, 0, v5
	s_and_not1_b32 s13, s13, exec_lo
	s_and_b32 s16, vcc_lo, exec_lo
	s_delay_alu instid0(SALU_CYCLE_1)
	s_or_b32 s13, s13, s16
	s_or_b32 exec_lo, exec_lo, s9
	v_mov_b32_e32 v1, 0
	s_and_saveexec_b32 s9, s13
	s_cbranch_execnz .LBB102_1079
	s_branch .LBB102_1080
.LBB102_1099:
	s_mov_b32 s0, -1
                                        ; implicit-def: $vgpr1
.LBB102_1100:
	s_mov_b32 s9, 0
.LBB102_1101:
	s_delay_alu instid0(SALU_CYCLE_1)
	s_and_b32 vcc_lo, exec_lo, s9
	s_cbranch_vccz .LBB102_1103
; %bb.1102:
	s_cmp_lg_u32 s15, 11
	s_mov_b32 s13, -1
	s_cselect_b32 s0, -1, 0
.LBB102_1103:
	s_delay_alu instid0(SALU_CYCLE_1)
	s_and_b32 vcc_lo, exec_lo, s0
	s_mov_b32 s9, s1
	s_cbranch_vccnz .LBB102_1156
; %bb.1104:
	s_and_not1_b32 vcc_lo, exec_lo, s13
	s_cbranch_vccnz .LBB102_1106
.LBB102_1105:
	s_wait_loadcnt 0x0
	global_load_u8 v1, v[2:3], off
	s_mov_b32 s16, -1
	s_wait_loadcnt 0x0
	v_cmp_ne_u16_e32 vcc_lo, 0, v1
	v_cndmask_b32_e64 v1, 0, 1, vcc_lo
.LBB102_1106:
	s_branch .LBB102_916
.LBB102_1107:
	s_cmp_lt_i32 s15, 5
	s_cbranch_scc1 .LBB102_1112
; %bb.1108:
	s_cmp_lt_i32 s15, 8
	s_cbranch_scc1 .LBB102_1113
; %bb.1109:
	;; [unrolled: 3-line block ×3, first 2 shown]
	s_cmp_gt_i32 s15, 9
	s_cbranch_scc0 .LBB102_1115
; %bb.1111:
	global_load_b64 v[6:7], v[2:3], off
	s_mov_b32 s0, 0
	s_wait_loadcnt 0x0
	v_cvt_i32_f64_e32 v1, v[6:7]
	s_branch .LBB102_1116
.LBB102_1112:
	s_mov_b32 s0, -1
                                        ; implicit-def: $vgpr1
	s_branch .LBB102_1134
.LBB102_1113:
	s_mov_b32 s0, -1
                                        ; implicit-def: $vgpr1
	s_branch .LBB102_1122
.LBB102_1114:
	s_mov_b32 s0, -1
                                        ; implicit-def: $vgpr1
	s_branch .LBB102_1119
.LBB102_1115:
	s_mov_b32 s0, -1
                                        ; implicit-def: $vgpr1
.LBB102_1116:
	s_delay_alu instid0(SALU_CYCLE_1)
	s_and_not1_b32 vcc_lo, exec_lo, s0
	s_cbranch_vccnz .LBB102_1118
; %bb.1117:
	s_wait_loadcnt 0x0
	global_load_b32 v1, v[2:3], off
	s_wait_loadcnt 0x0
	v_cvt_i32_f32_e32 v1, v1
.LBB102_1118:
	s_mov_b32 s0, 0
.LBB102_1119:
	s_delay_alu instid0(SALU_CYCLE_1)
	s_and_not1_b32 vcc_lo, exec_lo, s0
	s_cbranch_vccnz .LBB102_1121
; %bb.1120:
	s_wait_loadcnt 0x0
	global_load_b32 v1, v[2:3], off
	s_wait_loadcnt 0x0
	v_cvt_f32_f16_e32 v1, v1
	s_delay_alu instid0(VALU_DEP_1)
	v_cvt_i32_f32_e32 v1, v1
.LBB102_1121:
	s_mov_b32 s0, 0
.LBB102_1122:
	s_delay_alu instid0(SALU_CYCLE_1)
	s_and_not1_b32 vcc_lo, exec_lo, s0
	s_cbranch_vccnz .LBB102_1133
; %bb.1123:
	s_cmp_lt_i32 s15, 6
	s_cbranch_scc1 .LBB102_1126
; %bb.1124:
	s_cmp_gt_i32 s15, 6
	s_cbranch_scc0 .LBB102_1127
; %bb.1125:
	global_load_b64 v[6:7], v[2:3], off
	s_mov_b32 s0, 0
	s_wait_loadcnt 0x0
	v_cvt_i32_f64_e32 v1, v[6:7]
	s_branch .LBB102_1128
.LBB102_1126:
	s_mov_b32 s0, -1
                                        ; implicit-def: $vgpr1
	s_branch .LBB102_1131
.LBB102_1127:
	s_mov_b32 s0, -1
                                        ; implicit-def: $vgpr1
.LBB102_1128:
	s_delay_alu instid0(SALU_CYCLE_1)
	s_and_not1_b32 vcc_lo, exec_lo, s0
	s_cbranch_vccnz .LBB102_1130
; %bb.1129:
	s_wait_loadcnt 0x0
	global_load_b32 v1, v[2:3], off
	s_wait_loadcnt 0x0
	v_cvt_i32_f32_e32 v1, v1
.LBB102_1130:
	s_mov_b32 s0, 0
.LBB102_1131:
	s_delay_alu instid0(SALU_CYCLE_1)
	s_and_not1_b32 vcc_lo, exec_lo, s0
	s_cbranch_vccnz .LBB102_1133
; %bb.1132:
	s_wait_loadcnt 0x0
	global_load_u16 v1, v[2:3], off
	s_wait_loadcnt 0x0
	v_cvt_f32_f16_e32 v1, v1
	s_delay_alu instid0(VALU_DEP_1)
	v_cvt_i32_f32_e32 v1, v1
.LBB102_1133:
	s_mov_b32 s0, 0
.LBB102_1134:
	s_delay_alu instid0(SALU_CYCLE_1)
	s_and_not1_b32 vcc_lo, exec_lo, s0
	s_cbranch_vccnz .LBB102_1154
; %bb.1135:
	s_cmp_lt_i32 s15, 2
	s_cbranch_scc1 .LBB102_1139
; %bb.1136:
	s_cmp_lt_i32 s15, 3
	s_cbranch_scc1 .LBB102_1140
; %bb.1137:
	s_cmp_gt_i32 s15, 3
	s_cbranch_scc0 .LBB102_1141
; %bb.1138:
	s_wait_loadcnt 0x0
	global_load_b32 v1, v[2:3], off
	s_mov_b32 s0, 0
	s_branch .LBB102_1142
.LBB102_1139:
	s_mov_b32 s0, -1
                                        ; implicit-def: $vgpr1
	s_branch .LBB102_1148
.LBB102_1140:
	s_mov_b32 s0, -1
                                        ; implicit-def: $vgpr1
	s_branch .LBB102_1145
.LBB102_1141:
	s_mov_b32 s0, -1
                                        ; implicit-def: $vgpr1
.LBB102_1142:
	s_delay_alu instid0(SALU_CYCLE_1)
	s_and_not1_b32 vcc_lo, exec_lo, s0
	s_cbranch_vccnz .LBB102_1144
; %bb.1143:
	s_wait_loadcnt 0x0
	global_load_b32 v1, v[2:3], off
.LBB102_1144:
	s_mov_b32 s0, 0
.LBB102_1145:
	s_delay_alu instid0(SALU_CYCLE_1)
	s_and_not1_b32 vcc_lo, exec_lo, s0
	s_cbranch_vccnz .LBB102_1147
; %bb.1146:
	s_wait_loadcnt 0x0
	global_load_i16 v1, v[2:3], off
.LBB102_1147:
	s_mov_b32 s0, 0
.LBB102_1148:
	s_delay_alu instid0(SALU_CYCLE_1)
	s_and_not1_b32 vcc_lo, exec_lo, s0
	s_cbranch_vccnz .LBB102_1154
; %bb.1149:
	s_cmp_gt_i32 s15, 0
	s_mov_b32 s0, 0
	s_cbranch_scc0 .LBB102_1151
; %bb.1150:
	s_wait_loadcnt 0x0
	global_load_i8 v1, v[2:3], off
	s_branch .LBB102_1152
.LBB102_1151:
	s_mov_b32 s0, -1
                                        ; implicit-def: $vgpr1
.LBB102_1152:
	s_delay_alu instid0(SALU_CYCLE_1)
	s_and_not1_b32 vcc_lo, exec_lo, s0
	s_cbranch_vccnz .LBB102_1154
; %bb.1153:
	s_wait_loadcnt 0x0
	global_load_u8 v1, v[2:3], off
.LBB102_1154:
	s_branch .LBB102_917
.LBB102_1155:
	s_mov_b32 s16, 0
	s_mov_b32 s17, 0
                                        ; implicit-def: $sgpr0
                                        ; implicit-def: $vgpr2_vgpr3
	s_branch .LBB102_1726
.LBB102_1156:
	s_or_b32 s9, s1, exec_lo
	s_trap 2
	s_cbranch_execz .LBB102_1105
	s_branch .LBB102_1106
.LBB102_1157:
	s_mov_b32 s16, -1
	s_mov_b32 s19, 0
	s_mov_b32 s0, 0
	s_branch .LBB102_1159
.LBB102_1158:
	s_mov_b32 s0, -1
	s_mov_b32 s19, 0
.LBB102_1159:
                                        ; implicit-def: $vgpr1
.LBB102_1160:
	s_and_b32 vcc_lo, exec_lo, s16
	s_cbranch_vccz .LBB102_1164
; %bb.1161:
	s_cmp_eq_u32 s15, 44
	s_cbranch_scc0 .LBB102_1163
; %bb.1162:
	global_load_u8 v1, v[2:3], off
	s_mov_b32 s0, 0
	s_mov_b32 s19, -1
	s_wait_loadcnt 0x0
	v_lshlrev_b32_e32 v5, 23, v1
	v_cmp_ne_u32_e32 vcc_lo, 0, v1
	s_delay_alu instid0(VALU_DEP_2) | instskip(NEXT) | instid1(VALU_DEP_1)
	v_cvt_i32_f32_e32 v5, v5
	v_cndmask_b32_e32 v1, 0, v5, vcc_lo
	s_branch .LBB102_1164
.LBB102_1163:
	s_mov_b32 s0, -1
                                        ; implicit-def: $vgpr1
.LBB102_1164:
	s_mov_b32 s16, 0
.LBB102_1165:
	s_delay_alu instid0(SALU_CYCLE_1)
	s_and_b32 vcc_lo, exec_lo, s16
	s_cbranch_vccz .LBB102_1169
; %bb.1166:
	s_cmp_eq_u32 s15, 29
	s_cbranch_scc0 .LBB102_1168
; %bb.1167:
	global_load_b32 v1, v[2:3], off
	s_mov_b32 s0, 0
	s_mov_b32 s19, -1
	s_branch .LBB102_1169
.LBB102_1168:
	s_mov_b32 s0, -1
                                        ; implicit-def: $vgpr1
.LBB102_1169:
	s_mov_b32 s16, 0
.LBB102_1170:
	s_delay_alu instid0(SALU_CYCLE_1)
	s_and_b32 vcc_lo, exec_lo, s16
	s_cbranch_vccz .LBB102_1186
; %bb.1171:
	s_cmp_lt_i32 s15, 27
	s_cbranch_scc1 .LBB102_1174
; %bb.1172:
	s_cmp_gt_i32 s15, 27
	s_cbranch_scc0 .LBB102_1175
; %bb.1173:
	s_wait_loadcnt 0x0
	global_load_b32 v1, v[2:3], off
	s_mov_b32 s16, 0
	s_branch .LBB102_1176
.LBB102_1174:
	s_mov_b32 s16, -1
                                        ; implicit-def: $vgpr1
	s_branch .LBB102_1179
.LBB102_1175:
	s_mov_b32 s16, -1
                                        ; implicit-def: $vgpr1
.LBB102_1176:
	s_delay_alu instid0(SALU_CYCLE_1)
	s_and_not1_b32 vcc_lo, exec_lo, s16
	s_cbranch_vccnz .LBB102_1178
; %bb.1177:
	s_wait_loadcnt 0x0
	global_load_u16 v1, v[2:3], off
.LBB102_1178:
	s_mov_b32 s16, 0
.LBB102_1179:
	s_delay_alu instid0(SALU_CYCLE_1)
	s_and_not1_b32 vcc_lo, exec_lo, s16
	s_cbranch_vccnz .LBB102_1185
; %bb.1180:
	global_load_u8 v5, v[2:3], off
	s_mov_b32 s19, 0
	s_mov_b32 s16, exec_lo
	s_wait_loadcnt 0x0
	v_cmpx_lt_i16_e32 0x7f, v5
	s_xor_b32 s16, exec_lo, s16
	s_cbranch_execz .LBB102_1197
; %bb.1181:
	v_cmp_ne_u16_e32 vcc_lo, 0x80, v5
	s_and_b32 s19, vcc_lo, exec_lo
	s_and_not1_saveexec_b32 s16, s16
	s_cbranch_execnz .LBB102_1198
.LBB102_1182:
	s_or_b32 exec_lo, exec_lo, s16
	v_mov_b32_e32 v1, 0
	s_and_saveexec_b32 s16, s19
	s_cbranch_execz .LBB102_1184
.LBB102_1183:
	v_and_b32_e32 v1, 0xffff, v5
	s_delay_alu instid0(VALU_DEP_1) | instskip(SKIP_1) | instid1(VALU_DEP_2)
	v_and_b32_e32 v6, 7, v1
	v_bfe_u32 v9, v1, 3, 4
	v_clz_i32_u32_e32 v7, v6
	s_delay_alu instid0(VALU_DEP_2) | instskip(NEXT) | instid1(VALU_DEP_2)
	v_cmp_eq_u32_e32 vcc_lo, 0, v9
	v_min_u32_e32 v7, 32, v7
	s_delay_alu instid0(VALU_DEP_1) | instskip(NEXT) | instid1(VALU_DEP_1)
	v_subrev_nc_u32_e32 v8, 28, v7
	v_dual_lshlrev_b32 v1, v8, v1 :: v_dual_sub_nc_u32 v7, 29, v7
	s_delay_alu instid0(VALU_DEP_1) | instskip(NEXT) | instid1(VALU_DEP_2)
	v_and_b32_e32 v1, 7, v1
	v_dual_lshlrev_b32 v5, 24, v5 :: v_dual_cndmask_b32 v7, v9, v7, vcc_lo
	s_delay_alu instid0(VALU_DEP_2) | instskip(NEXT) | instid1(VALU_DEP_2)
	v_cndmask_b32_e32 v1, v6, v1, vcc_lo
	v_and_b32_e32 v5, 0x80000000, v5
	s_delay_alu instid0(VALU_DEP_3) | instskip(NEXT) | instid1(VALU_DEP_3)
	v_lshl_add_u32 v6, v7, 23, 0x3b800000
	v_lshlrev_b32_e32 v1, 20, v1
	s_delay_alu instid0(VALU_DEP_1) | instskip(NEXT) | instid1(VALU_DEP_1)
	v_or3_b32 v1, v5, v6, v1
	v_cvt_i32_f32_e32 v1, v1
.LBB102_1184:
	s_or_b32 exec_lo, exec_lo, s16
.LBB102_1185:
	s_mov_b32 s19, -1
.LBB102_1186:
	s_mov_b32 s16, 0
.LBB102_1187:
	s_delay_alu instid0(SALU_CYCLE_1)
	s_and_b32 vcc_lo, exec_lo, s16
	s_cbranch_vccz .LBB102_1218
; %bb.1188:
	s_cmp_gt_i32 s15, 22
	s_cbranch_scc0 .LBB102_1196
; %bb.1189:
	s_cmp_lt_i32 s15, 24
	s_cbranch_scc1 .LBB102_1199
; %bb.1190:
	s_cmp_gt_i32 s15, 24
	s_cbranch_scc0 .LBB102_1200
; %bb.1191:
	global_load_u8 v5, v[2:3], off
	s_mov_b32 s16, exec_lo
	s_wait_loadcnt 0x0
	v_cmpx_lt_i16_e32 0x7f, v5
	s_xor_b32 s16, exec_lo, s16
	s_cbranch_execz .LBB102_1212
; %bb.1192:
	v_cmp_ne_u16_e32 vcc_lo, 0x80, v5
	s_and_b32 s17, vcc_lo, exec_lo
	s_and_not1_saveexec_b32 s16, s16
	s_cbranch_execnz .LBB102_1213
.LBB102_1193:
	s_or_b32 exec_lo, exec_lo, s16
	v_mov_b32_e32 v1, 0
	s_and_saveexec_b32 s16, s17
	s_cbranch_execz .LBB102_1195
.LBB102_1194:
	v_and_b32_e32 v1, 0xffff, v5
	s_delay_alu instid0(VALU_DEP_1) | instskip(SKIP_1) | instid1(VALU_DEP_2)
	v_and_b32_e32 v6, 3, v1
	v_bfe_u32 v9, v1, 2, 5
	v_clz_i32_u32_e32 v7, v6
	s_delay_alu instid0(VALU_DEP_2) | instskip(NEXT) | instid1(VALU_DEP_2)
	v_cmp_eq_u32_e32 vcc_lo, 0, v9
	v_min_u32_e32 v7, 32, v7
	s_delay_alu instid0(VALU_DEP_1) | instskip(NEXT) | instid1(VALU_DEP_1)
	v_subrev_nc_u32_e32 v8, 29, v7
	v_dual_lshlrev_b32 v1, v8, v1 :: v_dual_sub_nc_u32 v7, 30, v7
	s_delay_alu instid0(VALU_DEP_1) | instskip(NEXT) | instid1(VALU_DEP_2)
	v_and_b32_e32 v1, 3, v1
	v_dual_lshlrev_b32 v5, 24, v5 :: v_dual_cndmask_b32 v7, v9, v7, vcc_lo
	s_delay_alu instid0(VALU_DEP_2) | instskip(NEXT) | instid1(VALU_DEP_2)
	v_cndmask_b32_e32 v1, v6, v1, vcc_lo
	v_and_b32_e32 v5, 0x80000000, v5
	s_delay_alu instid0(VALU_DEP_3) | instskip(NEXT) | instid1(VALU_DEP_3)
	v_lshl_add_u32 v6, v7, 23, 0x37800000
	v_lshlrev_b32_e32 v1, 21, v1
	s_delay_alu instid0(VALU_DEP_1) | instskip(NEXT) | instid1(VALU_DEP_1)
	v_or3_b32 v1, v5, v6, v1
	v_cvt_i32_f32_e32 v1, v1
.LBB102_1195:
	s_or_b32 exec_lo, exec_lo, s16
	s_mov_b32 s16, 0
	s_branch .LBB102_1201
.LBB102_1196:
	s_mov_b32 s16, -1
                                        ; implicit-def: $vgpr1
	s_branch .LBB102_1207
.LBB102_1197:
	s_and_not1_saveexec_b32 s16, s16
	s_cbranch_execz .LBB102_1182
.LBB102_1198:
	v_cmp_ne_u16_e32 vcc_lo, 0, v5
	s_and_not1_b32 s19, s19, exec_lo
	s_and_b32 s20, vcc_lo, exec_lo
	s_delay_alu instid0(SALU_CYCLE_1)
	s_or_b32 s19, s19, s20
	s_or_b32 exec_lo, exec_lo, s16
	v_mov_b32_e32 v1, 0
	s_and_saveexec_b32 s16, s19
	s_cbranch_execnz .LBB102_1183
	s_branch .LBB102_1184
.LBB102_1199:
	s_mov_b32 s16, -1
                                        ; implicit-def: $vgpr1
	s_branch .LBB102_1204
.LBB102_1200:
	s_mov_b32 s16, -1
                                        ; implicit-def: $vgpr1
.LBB102_1201:
	s_delay_alu instid0(SALU_CYCLE_1)
	s_and_b32 vcc_lo, exec_lo, s16
	s_cbranch_vccz .LBB102_1203
; %bb.1202:
	s_wait_loadcnt 0x0
	global_load_u8 v1, v[2:3], off
	s_wait_loadcnt 0x0
	v_lshlrev_b32_e32 v1, 24, v1
	s_delay_alu instid0(VALU_DEP_1) | instskip(NEXT) | instid1(VALU_DEP_1)
	v_and_b32_e32 v5, 0x7f000000, v1
	v_clz_i32_u32_e32 v6, v5
	v_cmp_ne_u32_e32 vcc_lo, 0, v5
	v_add_nc_u32_e32 v8, 0x1000000, v5
	s_delay_alu instid0(VALU_DEP_3) | instskip(NEXT) | instid1(VALU_DEP_1)
	v_min_u32_e32 v6, 32, v6
	v_sub_nc_u32_e64 v6, v6, 4 clamp
	s_delay_alu instid0(VALU_DEP_1) | instskip(NEXT) | instid1(VALU_DEP_1)
	v_dual_lshlrev_b32 v7, v6, v5 :: v_dual_lshlrev_b32 v6, 23, v6
	v_lshrrev_b32_e32 v7, 4, v7
	s_delay_alu instid0(VALU_DEP_1) | instskip(NEXT) | instid1(VALU_DEP_1)
	v_dual_sub_nc_u32 v6, v7, v6 :: v_dual_ashrrev_i32 v7, 8, v8
	v_add_nc_u32_e32 v6, 0x3c000000, v6
	s_delay_alu instid0(VALU_DEP_1) | instskip(NEXT) | instid1(VALU_DEP_1)
	v_and_or_b32 v6, 0x7f800000, v7, v6
	v_cndmask_b32_e32 v5, 0, v6, vcc_lo
	s_delay_alu instid0(VALU_DEP_1) | instskip(NEXT) | instid1(VALU_DEP_1)
	v_and_or_b32 v1, 0x80000000, v1, v5
	v_cvt_i32_f32_e32 v1, v1
.LBB102_1203:
	s_mov_b32 s16, 0
.LBB102_1204:
	s_delay_alu instid0(SALU_CYCLE_1)
	s_and_not1_b32 vcc_lo, exec_lo, s16
	s_cbranch_vccnz .LBB102_1206
; %bb.1205:
	s_wait_loadcnt 0x0
	global_load_u8 v1, v[2:3], off
	s_wait_loadcnt 0x0
	v_lshlrev_b32_e32 v5, 25, v1
	v_lshlrev_b16 v1, 8, v1
	s_delay_alu instid0(VALU_DEP_1) | instskip(SKIP_1) | instid1(VALU_DEP_2)
	v_and_or_b32 v7, 0x7f00, v1, 0.5
	v_bfe_i32 v1, v1, 0, 16
	v_dual_add_f32 v7, -0.5, v7 :: v_dual_lshrrev_b32 v6, 4, v5
	v_cmp_gt_u32_e32 vcc_lo, 0x8000000, v5
	s_delay_alu instid0(VALU_DEP_2) | instskip(NEXT) | instid1(VALU_DEP_1)
	v_or_b32_e32 v6, 0x70000000, v6
	v_mul_f32_e32 v6, 0x7800000, v6
	s_delay_alu instid0(VALU_DEP_1) | instskip(NEXT) | instid1(VALU_DEP_1)
	v_cndmask_b32_e32 v5, v6, v7, vcc_lo
	v_and_or_b32 v1, 0x80000000, v1, v5
	s_delay_alu instid0(VALU_DEP_1)
	v_cvt_i32_f32_e32 v1, v1
.LBB102_1206:
	s_mov_b32 s16, 0
	s_mov_b32 s19, -1
.LBB102_1207:
	s_and_not1_b32 vcc_lo, exec_lo, s16
	s_mov_b32 s17, 0
	s_cbranch_vccnz .LBB102_1218
; %bb.1208:
	s_cmp_gt_i32 s15, 14
	s_cbranch_scc0 .LBB102_1211
; %bb.1209:
	s_cmp_eq_u32 s15, 15
	s_cbranch_scc0 .LBB102_1214
; %bb.1210:
	s_wait_loadcnt 0x0
	global_load_u16 v1, v[2:3], off
	s_mov_b32 s0, 0
	s_mov_b32 s19, -1
	s_wait_loadcnt 0x0
	v_lshlrev_b32_e32 v1, 16, v1
	s_delay_alu instid0(VALU_DEP_1)
	v_cvt_i32_f32_e32 v1, v1
	s_branch .LBB102_1215
.LBB102_1211:
	s_mov_b32 s16, -1
                                        ; implicit-def: $vgpr1
	s_branch .LBB102_1216
.LBB102_1212:
	s_and_not1_saveexec_b32 s16, s16
	s_cbranch_execz .LBB102_1193
.LBB102_1213:
	v_cmp_ne_u16_e32 vcc_lo, 0, v5
	s_and_not1_b32 s17, s17, exec_lo
	s_and_b32 s19, vcc_lo, exec_lo
	s_delay_alu instid0(SALU_CYCLE_1)
	s_or_b32 s17, s17, s19
	s_or_b32 exec_lo, exec_lo, s16
	v_mov_b32_e32 v1, 0
	s_and_saveexec_b32 s16, s17
	s_cbranch_execnz .LBB102_1194
	s_branch .LBB102_1195
.LBB102_1214:
	s_mov_b32 s0, -1
                                        ; implicit-def: $vgpr1
.LBB102_1215:
	s_mov_b32 s16, 0
.LBB102_1216:
	s_delay_alu instid0(SALU_CYCLE_1)
	s_and_b32 vcc_lo, exec_lo, s16
	s_cbranch_vccz .LBB102_1218
; %bb.1217:
	s_cmp_lg_u32 s15, 11
	s_mov_b32 s17, -1
	s_cselect_b32 s0, -1, 0
.LBB102_1218:
	s_delay_alu instid0(SALU_CYCLE_1)
	s_and_b32 vcc_lo, exec_lo, s0
	s_mov_b32 s16, s9
	s_cbranch_vccnz .LBB102_1285
; %bb.1219:
	s_and_not1_b32 vcc_lo, exec_lo, s17
	s_cbranch_vccnz .LBB102_1221
.LBB102_1220:
	s_wait_loadcnt 0x0
	global_load_u8 v1, v[2:3], off
	s_mov_b32 s19, -1
	s_wait_loadcnt 0x0
	v_cmp_ne_u16_e32 vcc_lo, 0, v1
	v_cndmask_b32_e64 v1, 0, 1, vcc_lo
.LBB102_1221:
	s_mov_b32 s0, 0
.LBB102_1222:
	s_delay_alu instid0(SALU_CYCLE_1)
	s_and_b32 vcc_lo, exec_lo, s0
	s_cbranch_vccz .LBB102_1271
; %bb.1223:
	s_cmp_lt_i32 s15, 5
	s_cbranch_scc1 .LBB102_1228
; %bb.1224:
	s_cmp_lt_i32 s15, 8
	s_cbranch_scc1 .LBB102_1229
	;; [unrolled: 3-line block ×3, first 2 shown]
; %bb.1226:
	s_cmp_gt_i32 s15, 9
	s_cbranch_scc0 .LBB102_1231
; %bb.1227:
	global_load_b64 v[6:7], v[2:3], off
	s_mov_b32 s0, 0
	s_wait_loadcnt 0x0
	v_cvt_i32_f64_e32 v1, v[6:7]
	s_branch .LBB102_1232
.LBB102_1228:
	s_mov_b32 s0, -1
                                        ; implicit-def: $vgpr1
	s_branch .LBB102_1250
.LBB102_1229:
	s_mov_b32 s0, -1
                                        ; implicit-def: $vgpr1
	s_branch .LBB102_1238
.LBB102_1230:
	s_mov_b32 s0, -1
                                        ; implicit-def: $vgpr1
	s_branch .LBB102_1235
.LBB102_1231:
	s_mov_b32 s0, -1
                                        ; implicit-def: $vgpr1
.LBB102_1232:
	s_delay_alu instid0(SALU_CYCLE_1)
	s_and_not1_b32 vcc_lo, exec_lo, s0
	s_cbranch_vccnz .LBB102_1234
; %bb.1233:
	s_wait_loadcnt 0x0
	global_load_b32 v1, v[2:3], off
	s_wait_loadcnt 0x0
	v_cvt_i32_f32_e32 v1, v1
.LBB102_1234:
	s_mov_b32 s0, 0
.LBB102_1235:
	s_delay_alu instid0(SALU_CYCLE_1)
	s_and_not1_b32 vcc_lo, exec_lo, s0
	s_cbranch_vccnz .LBB102_1237
; %bb.1236:
	s_wait_loadcnt 0x0
	global_load_b32 v1, v[2:3], off
	s_wait_loadcnt 0x0
	v_cvt_f32_f16_e32 v1, v1
	s_delay_alu instid0(VALU_DEP_1)
	v_cvt_i32_f32_e32 v1, v1
.LBB102_1237:
	s_mov_b32 s0, 0
.LBB102_1238:
	s_delay_alu instid0(SALU_CYCLE_1)
	s_and_not1_b32 vcc_lo, exec_lo, s0
	s_cbranch_vccnz .LBB102_1249
; %bb.1239:
	s_cmp_lt_i32 s15, 6
	s_cbranch_scc1 .LBB102_1242
; %bb.1240:
	s_cmp_gt_i32 s15, 6
	s_cbranch_scc0 .LBB102_1243
; %bb.1241:
	global_load_b64 v[6:7], v[2:3], off
	s_mov_b32 s0, 0
	s_wait_loadcnt 0x0
	v_cvt_i32_f64_e32 v1, v[6:7]
	s_branch .LBB102_1244
.LBB102_1242:
	s_mov_b32 s0, -1
                                        ; implicit-def: $vgpr1
	s_branch .LBB102_1247
.LBB102_1243:
	s_mov_b32 s0, -1
                                        ; implicit-def: $vgpr1
.LBB102_1244:
	s_delay_alu instid0(SALU_CYCLE_1)
	s_and_not1_b32 vcc_lo, exec_lo, s0
	s_cbranch_vccnz .LBB102_1246
; %bb.1245:
	s_wait_loadcnt 0x0
	global_load_b32 v1, v[2:3], off
	s_wait_loadcnt 0x0
	v_cvt_i32_f32_e32 v1, v1
.LBB102_1246:
	s_mov_b32 s0, 0
.LBB102_1247:
	s_delay_alu instid0(SALU_CYCLE_1)
	s_and_not1_b32 vcc_lo, exec_lo, s0
	s_cbranch_vccnz .LBB102_1249
; %bb.1248:
	s_wait_loadcnt 0x0
	global_load_u16 v1, v[2:3], off
	s_wait_loadcnt 0x0
	v_cvt_f32_f16_e32 v1, v1
	s_delay_alu instid0(VALU_DEP_1)
	v_cvt_i32_f32_e32 v1, v1
.LBB102_1249:
	s_mov_b32 s0, 0
.LBB102_1250:
	s_delay_alu instid0(SALU_CYCLE_1)
	s_and_not1_b32 vcc_lo, exec_lo, s0
	s_cbranch_vccnz .LBB102_1270
; %bb.1251:
	s_cmp_lt_i32 s15, 2
	s_cbranch_scc1 .LBB102_1255
; %bb.1252:
	s_cmp_lt_i32 s15, 3
	s_cbranch_scc1 .LBB102_1256
; %bb.1253:
	s_cmp_gt_i32 s15, 3
	s_cbranch_scc0 .LBB102_1257
; %bb.1254:
	s_wait_loadcnt 0x0
	global_load_b32 v1, v[2:3], off
	s_mov_b32 s0, 0
	s_branch .LBB102_1258
.LBB102_1255:
	s_mov_b32 s0, -1
                                        ; implicit-def: $vgpr1
	s_branch .LBB102_1264
.LBB102_1256:
	s_mov_b32 s0, -1
                                        ; implicit-def: $vgpr1
	s_branch .LBB102_1261
.LBB102_1257:
	s_mov_b32 s0, -1
                                        ; implicit-def: $vgpr1
.LBB102_1258:
	s_delay_alu instid0(SALU_CYCLE_1)
	s_and_not1_b32 vcc_lo, exec_lo, s0
	s_cbranch_vccnz .LBB102_1260
; %bb.1259:
	s_wait_loadcnt 0x0
	global_load_b32 v1, v[2:3], off
.LBB102_1260:
	s_mov_b32 s0, 0
.LBB102_1261:
	s_delay_alu instid0(SALU_CYCLE_1)
	s_and_not1_b32 vcc_lo, exec_lo, s0
	s_cbranch_vccnz .LBB102_1263
; %bb.1262:
	s_wait_loadcnt 0x0
	global_load_i16 v1, v[2:3], off
.LBB102_1263:
	s_mov_b32 s0, 0
.LBB102_1264:
	s_delay_alu instid0(SALU_CYCLE_1)
	s_and_not1_b32 vcc_lo, exec_lo, s0
	s_cbranch_vccnz .LBB102_1270
; %bb.1265:
	s_cmp_gt_i32 s15, 0
	s_mov_b32 s0, 0
	s_cbranch_scc0 .LBB102_1267
; %bb.1266:
	s_wait_loadcnt 0x0
	global_load_i8 v1, v[2:3], off
	s_branch .LBB102_1268
.LBB102_1267:
	s_mov_b32 s0, -1
                                        ; implicit-def: $vgpr1
.LBB102_1268:
	s_delay_alu instid0(SALU_CYCLE_1)
	s_and_not1_b32 vcc_lo, exec_lo, s0
	s_cbranch_vccnz .LBB102_1270
; %bb.1269:
	s_wait_loadcnt 0x0
	global_load_u8 v1, v[2:3], off
.LBB102_1270:
	s_mov_b32 s19, -1
.LBB102_1271:
	s_delay_alu instid0(SALU_CYCLE_1)
	s_and_not1_b32 vcc_lo, exec_lo, s19
	s_cbranch_vccnz .LBB102_1281
; %bb.1272:
	s_wait_loadcnt 0x0
	s_delay_alu instid0(VALU_DEP_1) | instskip(SKIP_4) | instid1(SALU_CYCLE_1)
	v_cmp_gt_i32_e32 vcc_lo, s10, v1
	v_cmp_le_i32_e64 s0, s12, v1
	s_or_b32 s0, vcc_lo, s0
	s_wait_xcnt 0x0
	s_and_saveexec_b32 s17, s0
	s_xor_b32 s0, exec_lo, s17
	s_cbranch_execnz .LBB102_1778
.LBB102_1273:
	s_or_saveexec_b32 s17, s0
	s_mov_b32 s19, 0
	s_mov_b32 s20, 0
                                        ; implicit-def: $sgpr0
                                        ; implicit-def: $vgpr2_vgpr3
	s_xor_b32 exec_lo, exec_lo, s17
	s_cbranch_execz .LBB102_1723
; %bb.1274:
	v_add_nc_u32_e32 v0, s18, v0
	s_cmp_lt_i32 s15, 11
	s_delay_alu instid0(VALU_DEP_1) | instskip(NEXT) | instid1(VALU_DEP_1)
	v_ashrrev_i32_e32 v1, 31, v0
	v_add_nc_u64_e32 v[0:1], s[6:7], v[0:1]
	s_cbranch_scc1 .LBB102_1282
; %bb.1275:
	s_cmp_gt_i32 s15, 25
	s_mov_b32 s7, 0
	s_cbranch_scc0 .LBB102_1283
; %bb.1276:
	s_cmp_gt_i32 s15, 28
	s_cbranch_scc0 .LBB102_1284
; %bb.1277:
	s_cmp_gt_i32 s15, 43
	;; [unrolled: 3-line block ×3, first 2 shown]
	s_cbranch_scc0 .LBB102_1287
; %bb.1279:
	s_cmp_eq_u32 s15, 46
	s_mov_b32 s6, 0
	s_cbranch_scc0 .LBB102_1289
; %bb.1280:
	global_load_b32 v2, v[0:1], off
	s_mov_b32 s0, 0
	s_mov_b32 s18, -1
	s_wait_loadcnt 0x0
	v_lshlrev_b32_e32 v2, 16, v2
	s_delay_alu instid0(VALU_DEP_1)
	v_cvt_i32_f32_e32 v2, v2
	s_branch .LBB102_1291
.LBB102_1281:
	s_mov_b32 s19, 0
	s_mov_b32 s20, 0
                                        ; implicit-def: $sgpr0
                                        ; implicit-def: $vgpr2_vgpr3
	s_branch .LBB102_1724
.LBB102_1282:
	s_mov_b32 s0, -1
	s_mov_b32 s18, 0
	s_mov_b32 s6, s16
                                        ; implicit-def: $vgpr2
	s_branch .LBB102_1353
.LBB102_1283:
	s_mov_b32 s6, -1
	s_mov_b32 s18, 0
	s_mov_b32 s0, 0
                                        ; implicit-def: $vgpr2
	s_branch .LBB102_1318
.LBB102_1284:
	s_mov_b32 s6, -1
	s_mov_b32 s18, 0
	s_mov_b32 s0, 0
                                        ; implicit-def: $vgpr2
	s_branch .LBB102_1301
.LBB102_1285:
	s_or_b32 s16, s9, exec_lo
	s_trap 2
	s_cbranch_execz .LBB102_1220
	s_branch .LBB102_1221
.LBB102_1286:
	s_mov_b32 s6, -1
	s_mov_b32 s18, 0
	s_mov_b32 s0, 0
                                        ; implicit-def: $vgpr2
	s_branch .LBB102_1296
.LBB102_1287:
	s_mov_b32 s6, -1
	s_mov_b32 s18, 0
	s_mov_b32 s0, 0
	s_branch .LBB102_1290
.LBB102_1288:
	s_or_b32 s1, s1, exec_lo
	s_trap 2
                                        ; implicit-def: $vgpr0
                                        ; implicit-def: $vgpr4
	s_branch .LBB102_905
.LBB102_1289:
	s_mov_b32 s0, -1
	s_mov_b32 s18, 0
.LBB102_1290:
                                        ; implicit-def: $vgpr2
.LBB102_1291:
	s_and_b32 vcc_lo, exec_lo, s6
	s_cbranch_vccz .LBB102_1295
; %bb.1292:
	s_cmp_eq_u32 s15, 44
	s_cbranch_scc0 .LBB102_1294
; %bb.1293:
	global_load_u8 v2, v[0:1], off
	s_mov_b32 s0, 0
	s_mov_b32 s18, -1
	s_wait_loadcnt 0x0
	v_lshlrev_b32_e32 v3, 23, v2
	v_cmp_ne_u32_e32 vcc_lo, 0, v2
	s_delay_alu instid0(VALU_DEP_2) | instskip(NEXT) | instid1(VALU_DEP_1)
	v_cvt_i32_f32_e32 v3, v3
	v_cndmask_b32_e32 v2, 0, v3, vcc_lo
	s_branch .LBB102_1295
.LBB102_1294:
	s_mov_b32 s0, -1
                                        ; implicit-def: $vgpr2
.LBB102_1295:
	s_mov_b32 s6, 0
.LBB102_1296:
	s_delay_alu instid0(SALU_CYCLE_1)
	s_and_b32 vcc_lo, exec_lo, s6
	s_cbranch_vccz .LBB102_1300
; %bb.1297:
	s_cmp_eq_u32 s15, 29
	s_cbranch_scc0 .LBB102_1299
; %bb.1298:
	global_load_b32 v2, v[0:1], off
	s_mov_b32 s0, 0
	s_mov_b32 s18, -1
	s_branch .LBB102_1300
.LBB102_1299:
	s_mov_b32 s0, -1
                                        ; implicit-def: $vgpr2
.LBB102_1300:
	s_mov_b32 s6, 0
.LBB102_1301:
	s_delay_alu instid0(SALU_CYCLE_1)
	s_and_b32 vcc_lo, exec_lo, s6
	s_cbranch_vccz .LBB102_1317
; %bb.1302:
	s_cmp_lt_i32 s15, 27
	s_cbranch_scc1 .LBB102_1305
; %bb.1303:
	s_cmp_gt_i32 s15, 27
	s_cbranch_scc0 .LBB102_1306
; %bb.1304:
	s_wait_loadcnt 0x0
	global_load_b32 v2, v[0:1], off
	s_mov_b32 s6, 0
	s_branch .LBB102_1307
.LBB102_1305:
	s_mov_b32 s6, -1
                                        ; implicit-def: $vgpr2
	s_branch .LBB102_1310
.LBB102_1306:
	s_mov_b32 s6, -1
                                        ; implicit-def: $vgpr2
.LBB102_1307:
	s_delay_alu instid0(SALU_CYCLE_1)
	s_and_not1_b32 vcc_lo, exec_lo, s6
	s_cbranch_vccnz .LBB102_1309
; %bb.1308:
	s_wait_loadcnt 0x0
	global_load_u16 v2, v[0:1], off
.LBB102_1309:
	s_mov_b32 s6, 0
.LBB102_1310:
	s_delay_alu instid0(SALU_CYCLE_1)
	s_and_not1_b32 vcc_lo, exec_lo, s6
	s_cbranch_vccnz .LBB102_1316
; %bb.1311:
	global_load_u8 v3, v[0:1], off
	s_mov_b32 s18, 0
	s_mov_b32 s6, exec_lo
	s_wait_loadcnt 0x0
	v_cmpx_lt_i16_e32 0x7f, v3
	s_xor_b32 s6, exec_lo, s6
	s_cbranch_execz .LBB102_1328
; %bb.1312:
	v_cmp_ne_u16_e32 vcc_lo, 0x80, v3
	s_and_b32 s18, vcc_lo, exec_lo
	s_and_not1_saveexec_b32 s6, s6
	s_cbranch_execnz .LBB102_1329
.LBB102_1313:
	s_or_b32 exec_lo, exec_lo, s6
	v_mov_b32_e32 v2, 0
	s_and_saveexec_b32 s6, s18
	s_cbranch_execz .LBB102_1315
.LBB102_1314:
	v_and_b32_e32 v2, 0xffff, v3
	s_delay_alu instid0(VALU_DEP_1) | instskip(SKIP_1) | instid1(VALU_DEP_2)
	v_dual_lshlrev_b32 v3, 24, v3 :: v_dual_bitop2_b32 v5, 7, v2 bitop3:0x40
	v_bfe_u32 v8, v2, 3, 4
	v_and_b32_e32 v3, 0x80000000, v3
	s_delay_alu instid0(VALU_DEP_3) | instskip(NEXT) | instid1(VALU_DEP_3)
	v_clz_i32_u32_e32 v6, v5
	v_cmp_eq_u32_e32 vcc_lo, 0, v8
	s_delay_alu instid0(VALU_DEP_2) | instskip(NEXT) | instid1(VALU_DEP_1)
	v_min_u32_e32 v6, 32, v6
	v_subrev_nc_u32_e32 v7, 28, v6
	v_sub_nc_u32_e32 v6, 29, v6
	s_delay_alu instid0(VALU_DEP_2) | instskip(NEXT) | instid1(VALU_DEP_2)
	v_lshlrev_b32_e32 v2, v7, v2
	v_cndmask_b32_e32 v6, v8, v6, vcc_lo
	s_delay_alu instid0(VALU_DEP_2) | instskip(NEXT) | instid1(VALU_DEP_1)
	v_and_b32_e32 v2, 7, v2
	v_cndmask_b32_e32 v2, v5, v2, vcc_lo
	s_delay_alu instid0(VALU_DEP_3) | instskip(NEXT) | instid1(VALU_DEP_2)
	v_lshl_add_u32 v5, v6, 23, 0x3b800000
	v_lshlrev_b32_e32 v2, 20, v2
	s_delay_alu instid0(VALU_DEP_1) | instskip(NEXT) | instid1(VALU_DEP_1)
	v_or3_b32 v2, v3, v5, v2
	v_cvt_i32_f32_e32 v2, v2
.LBB102_1315:
	s_or_b32 exec_lo, exec_lo, s6
.LBB102_1316:
	s_mov_b32 s18, -1
.LBB102_1317:
	s_mov_b32 s6, 0
.LBB102_1318:
	s_delay_alu instid0(SALU_CYCLE_1)
	s_and_b32 vcc_lo, exec_lo, s6
	s_cbranch_vccz .LBB102_1349
; %bb.1319:
	s_cmp_gt_i32 s15, 22
	s_cbranch_scc0 .LBB102_1327
; %bb.1320:
	s_cmp_lt_i32 s15, 24
	s_cbranch_scc1 .LBB102_1330
; %bb.1321:
	s_cmp_gt_i32 s15, 24
	s_cbranch_scc0 .LBB102_1331
; %bb.1322:
	global_load_u8 v3, v[0:1], off
	s_mov_b32 s6, exec_lo
	s_wait_loadcnt 0x0
	v_cmpx_lt_i16_e32 0x7f, v3
	s_xor_b32 s6, exec_lo, s6
	s_cbranch_execz .LBB102_1343
; %bb.1323:
	v_cmp_ne_u16_e32 vcc_lo, 0x80, v3
	s_and_b32 s7, vcc_lo, exec_lo
	s_and_not1_saveexec_b32 s6, s6
	s_cbranch_execnz .LBB102_1344
.LBB102_1324:
	s_or_b32 exec_lo, exec_lo, s6
	v_mov_b32_e32 v2, 0
	s_and_saveexec_b32 s6, s7
	s_cbranch_execz .LBB102_1326
.LBB102_1325:
	v_and_b32_e32 v2, 0xffff, v3
	s_delay_alu instid0(VALU_DEP_1) | instskip(SKIP_1) | instid1(VALU_DEP_2)
	v_dual_lshlrev_b32 v3, 24, v3 :: v_dual_bitop2_b32 v5, 3, v2 bitop3:0x40
	v_bfe_u32 v8, v2, 2, 5
	v_and_b32_e32 v3, 0x80000000, v3
	s_delay_alu instid0(VALU_DEP_3) | instskip(NEXT) | instid1(VALU_DEP_3)
	v_clz_i32_u32_e32 v6, v5
	v_cmp_eq_u32_e32 vcc_lo, 0, v8
	s_delay_alu instid0(VALU_DEP_2) | instskip(NEXT) | instid1(VALU_DEP_1)
	v_min_u32_e32 v6, 32, v6
	v_subrev_nc_u32_e32 v7, 29, v6
	v_sub_nc_u32_e32 v6, 30, v6
	s_delay_alu instid0(VALU_DEP_2) | instskip(NEXT) | instid1(VALU_DEP_2)
	v_lshlrev_b32_e32 v2, v7, v2
	v_cndmask_b32_e32 v6, v8, v6, vcc_lo
	s_delay_alu instid0(VALU_DEP_2) | instskip(NEXT) | instid1(VALU_DEP_1)
	v_and_b32_e32 v2, 3, v2
	v_cndmask_b32_e32 v2, v5, v2, vcc_lo
	s_delay_alu instid0(VALU_DEP_3) | instskip(NEXT) | instid1(VALU_DEP_2)
	v_lshl_add_u32 v5, v6, 23, 0x37800000
	v_lshlrev_b32_e32 v2, 21, v2
	s_delay_alu instid0(VALU_DEP_1) | instskip(NEXT) | instid1(VALU_DEP_1)
	v_or3_b32 v2, v3, v5, v2
	v_cvt_i32_f32_e32 v2, v2
.LBB102_1326:
	s_or_b32 exec_lo, exec_lo, s6
	s_mov_b32 s6, 0
	s_branch .LBB102_1332
.LBB102_1327:
	s_mov_b32 s6, -1
                                        ; implicit-def: $vgpr2
	s_branch .LBB102_1338
.LBB102_1328:
	s_and_not1_saveexec_b32 s6, s6
	s_cbranch_execz .LBB102_1313
.LBB102_1329:
	v_cmp_ne_u16_e32 vcc_lo, 0, v3
	s_and_not1_b32 s18, s18, exec_lo
	s_and_b32 s19, vcc_lo, exec_lo
	s_delay_alu instid0(SALU_CYCLE_1)
	s_or_b32 s18, s18, s19
	s_or_b32 exec_lo, exec_lo, s6
	v_mov_b32_e32 v2, 0
	s_and_saveexec_b32 s6, s18
	s_cbranch_execnz .LBB102_1314
	s_branch .LBB102_1315
.LBB102_1330:
	s_mov_b32 s6, -1
                                        ; implicit-def: $vgpr2
	s_branch .LBB102_1335
.LBB102_1331:
	s_mov_b32 s6, -1
                                        ; implicit-def: $vgpr2
.LBB102_1332:
	s_delay_alu instid0(SALU_CYCLE_1)
	s_and_b32 vcc_lo, exec_lo, s6
	s_cbranch_vccz .LBB102_1334
; %bb.1333:
	s_wait_loadcnt 0x0
	global_load_u8 v2, v[0:1], off
	s_wait_loadcnt 0x0
	v_lshlrev_b32_e32 v2, 24, v2
	s_delay_alu instid0(VALU_DEP_1) | instskip(NEXT) | instid1(VALU_DEP_1)
	v_and_b32_e32 v3, 0x7f000000, v2
	v_clz_i32_u32_e32 v5, v3
	v_add_nc_u32_e32 v7, 0x1000000, v3
	v_cmp_ne_u32_e32 vcc_lo, 0, v3
	s_delay_alu instid0(VALU_DEP_3) | instskip(NEXT) | instid1(VALU_DEP_1)
	v_min_u32_e32 v5, 32, v5
	v_sub_nc_u32_e64 v5, v5, 4 clamp
	s_delay_alu instid0(VALU_DEP_1) | instskip(NEXT) | instid1(VALU_DEP_1)
	v_dual_lshlrev_b32 v6, v5, v3 :: v_dual_lshlrev_b32 v5, 23, v5
	v_lshrrev_b32_e32 v6, 4, v6
	s_delay_alu instid0(VALU_DEP_1) | instskip(NEXT) | instid1(VALU_DEP_1)
	v_dual_sub_nc_u32 v5, v6, v5 :: v_dual_ashrrev_i32 v6, 8, v7
	v_add_nc_u32_e32 v5, 0x3c000000, v5
	s_delay_alu instid0(VALU_DEP_1) | instskip(NEXT) | instid1(VALU_DEP_1)
	v_and_or_b32 v5, 0x7f800000, v6, v5
	v_cndmask_b32_e32 v3, 0, v5, vcc_lo
	s_delay_alu instid0(VALU_DEP_1) | instskip(NEXT) | instid1(VALU_DEP_1)
	v_and_or_b32 v2, 0x80000000, v2, v3
	v_cvt_i32_f32_e32 v2, v2
.LBB102_1334:
	s_mov_b32 s6, 0
.LBB102_1335:
	s_delay_alu instid0(SALU_CYCLE_1)
	s_and_not1_b32 vcc_lo, exec_lo, s6
	s_cbranch_vccnz .LBB102_1337
; %bb.1336:
	s_wait_loadcnt 0x0
	global_load_u8 v2, v[0:1], off
	s_wait_loadcnt 0x0
	v_lshlrev_b32_e32 v3, 25, v2
	v_lshlrev_b16 v2, 8, v2
	s_delay_alu instid0(VALU_DEP_2) | instskip(NEXT) | instid1(VALU_DEP_2)
	v_cmp_gt_u32_e32 vcc_lo, 0x8000000, v3
	v_and_or_b32 v6, 0x7f00, v2, 0.5
	v_lshrrev_b32_e32 v5, 4, v3
	v_bfe_i32 v2, v2, 0, 16
	s_delay_alu instid0(VALU_DEP_3) | instskip(NEXT) | instid1(VALU_DEP_3)
	v_add_f32_e32 v6, -0.5, v6
	v_or_b32_e32 v5, 0x70000000, v5
	s_delay_alu instid0(VALU_DEP_1) | instskip(NEXT) | instid1(VALU_DEP_1)
	v_mul_f32_e32 v5, 0x7800000, v5
	v_cndmask_b32_e32 v3, v5, v6, vcc_lo
	s_delay_alu instid0(VALU_DEP_1) | instskip(NEXT) | instid1(VALU_DEP_1)
	v_and_or_b32 v2, 0x80000000, v2, v3
	v_cvt_i32_f32_e32 v2, v2
.LBB102_1337:
	s_mov_b32 s6, 0
	s_mov_b32 s18, -1
.LBB102_1338:
	s_and_not1_b32 vcc_lo, exec_lo, s6
	s_mov_b32 s7, 0
	s_cbranch_vccnz .LBB102_1349
; %bb.1339:
	s_cmp_gt_i32 s15, 14
	s_cbranch_scc0 .LBB102_1342
; %bb.1340:
	s_cmp_eq_u32 s15, 15
	s_cbranch_scc0 .LBB102_1345
; %bb.1341:
	s_wait_loadcnt 0x0
	global_load_u16 v2, v[0:1], off
	s_mov_b32 s0, 0
	s_mov_b32 s18, -1
	s_wait_loadcnt 0x0
	v_lshlrev_b32_e32 v2, 16, v2
	s_delay_alu instid0(VALU_DEP_1)
	v_cvt_i32_f32_e32 v2, v2
	s_branch .LBB102_1346
.LBB102_1342:
	s_mov_b32 s6, -1
                                        ; implicit-def: $vgpr2
	s_branch .LBB102_1347
.LBB102_1343:
	s_and_not1_saveexec_b32 s6, s6
	s_cbranch_execz .LBB102_1324
.LBB102_1344:
	v_cmp_ne_u16_e32 vcc_lo, 0, v3
	s_and_not1_b32 s7, s7, exec_lo
	s_and_b32 s18, vcc_lo, exec_lo
	s_delay_alu instid0(SALU_CYCLE_1)
	s_or_b32 s7, s7, s18
	s_or_b32 exec_lo, exec_lo, s6
	v_mov_b32_e32 v2, 0
	s_and_saveexec_b32 s6, s7
	s_cbranch_execnz .LBB102_1325
	s_branch .LBB102_1326
.LBB102_1345:
	s_mov_b32 s0, -1
                                        ; implicit-def: $vgpr2
.LBB102_1346:
	s_mov_b32 s6, 0
.LBB102_1347:
	s_delay_alu instid0(SALU_CYCLE_1)
	s_and_b32 vcc_lo, exec_lo, s6
	s_cbranch_vccz .LBB102_1349
; %bb.1348:
	s_cmp_lg_u32 s15, 11
	s_mov_b32 s7, -1
	s_cselect_b32 s0, -1, 0
.LBB102_1349:
	s_delay_alu instid0(SALU_CYCLE_1)
	s_and_b32 vcc_lo, exec_lo, s0
	s_mov_b32 s6, s16
	s_cbranch_vccnz .LBB102_1772
; %bb.1350:
	s_and_not1_b32 vcc_lo, exec_lo, s7
	s_cbranch_vccnz .LBB102_1352
.LBB102_1351:
	s_wait_loadcnt 0x0
	global_load_u8 v2, v[0:1], off
	s_mov_b32 s18, -1
	s_wait_loadcnt 0x0
	v_cmp_ne_u16_e32 vcc_lo, 0, v2
	v_cndmask_b32_e64 v2, 0, 1, vcc_lo
.LBB102_1352:
	s_mov_b32 s0, 0
.LBB102_1353:
	s_delay_alu instid0(SALU_CYCLE_1)
	s_and_b32 vcc_lo, exec_lo, s0
	s_cbranch_vccz .LBB102_1402
; %bb.1354:
	s_cmp_lt_i32 s15, 5
	s_cbranch_scc1 .LBB102_1359
; %bb.1355:
	s_cmp_lt_i32 s15, 8
	s_cbranch_scc1 .LBB102_1360
	;; [unrolled: 3-line block ×3, first 2 shown]
; %bb.1357:
	s_cmp_gt_i32 s15, 9
	s_cbranch_scc0 .LBB102_1362
; %bb.1358:
	s_wait_loadcnt 0x0
	global_load_b64 v[2:3], v[0:1], off
	s_mov_b32 s0, 0
	s_wait_loadcnt 0x0
	v_cvt_i32_f64_e32 v2, v[2:3]
	s_branch .LBB102_1363
.LBB102_1359:
	s_mov_b32 s0, -1
                                        ; implicit-def: $vgpr2
	s_branch .LBB102_1381
.LBB102_1360:
	s_mov_b32 s0, -1
                                        ; implicit-def: $vgpr2
	s_branch .LBB102_1369
.LBB102_1361:
	s_mov_b32 s0, -1
                                        ; implicit-def: $vgpr2
	s_branch .LBB102_1366
.LBB102_1362:
	s_mov_b32 s0, -1
                                        ; implicit-def: $vgpr2
.LBB102_1363:
	s_delay_alu instid0(SALU_CYCLE_1)
	s_and_not1_b32 vcc_lo, exec_lo, s0
	s_cbranch_vccnz .LBB102_1365
; %bb.1364:
	s_wait_loadcnt 0x0
	global_load_b32 v2, v[0:1], off
	s_wait_loadcnt 0x0
	v_cvt_i32_f32_e32 v2, v2
.LBB102_1365:
	s_mov_b32 s0, 0
.LBB102_1366:
	s_delay_alu instid0(SALU_CYCLE_1)
	s_and_not1_b32 vcc_lo, exec_lo, s0
	s_cbranch_vccnz .LBB102_1368
; %bb.1367:
	s_wait_loadcnt 0x0
	global_load_b32 v2, v[0:1], off
	s_wait_loadcnt 0x0
	v_cvt_f32_f16_e32 v2, v2
	s_delay_alu instid0(VALU_DEP_1)
	v_cvt_i32_f32_e32 v2, v2
.LBB102_1368:
	s_mov_b32 s0, 0
.LBB102_1369:
	s_delay_alu instid0(SALU_CYCLE_1)
	s_and_not1_b32 vcc_lo, exec_lo, s0
	s_cbranch_vccnz .LBB102_1380
; %bb.1370:
	s_cmp_lt_i32 s15, 6
	s_cbranch_scc1 .LBB102_1373
; %bb.1371:
	s_cmp_gt_i32 s15, 6
	s_cbranch_scc0 .LBB102_1374
; %bb.1372:
	s_wait_loadcnt 0x0
	global_load_b64 v[2:3], v[0:1], off
	s_mov_b32 s0, 0
	s_wait_loadcnt 0x0
	v_cvt_i32_f64_e32 v2, v[2:3]
	s_branch .LBB102_1375
.LBB102_1373:
	s_mov_b32 s0, -1
                                        ; implicit-def: $vgpr2
	s_branch .LBB102_1378
.LBB102_1374:
	s_mov_b32 s0, -1
                                        ; implicit-def: $vgpr2
.LBB102_1375:
	s_delay_alu instid0(SALU_CYCLE_1)
	s_and_not1_b32 vcc_lo, exec_lo, s0
	s_cbranch_vccnz .LBB102_1377
; %bb.1376:
	s_wait_loadcnt 0x0
	global_load_b32 v2, v[0:1], off
	s_wait_loadcnt 0x0
	v_cvt_i32_f32_e32 v2, v2
.LBB102_1377:
	s_mov_b32 s0, 0
.LBB102_1378:
	s_delay_alu instid0(SALU_CYCLE_1)
	s_and_not1_b32 vcc_lo, exec_lo, s0
	s_cbranch_vccnz .LBB102_1380
; %bb.1379:
	s_wait_loadcnt 0x0
	global_load_u16 v2, v[0:1], off
	s_wait_loadcnt 0x0
	v_cvt_f32_f16_e32 v2, v2
	s_delay_alu instid0(VALU_DEP_1)
	v_cvt_i32_f32_e32 v2, v2
.LBB102_1380:
	s_mov_b32 s0, 0
.LBB102_1381:
	s_delay_alu instid0(SALU_CYCLE_1)
	s_and_not1_b32 vcc_lo, exec_lo, s0
	s_cbranch_vccnz .LBB102_1401
; %bb.1382:
	s_cmp_lt_i32 s15, 2
	s_cbranch_scc1 .LBB102_1386
; %bb.1383:
	s_cmp_lt_i32 s15, 3
	s_cbranch_scc1 .LBB102_1387
; %bb.1384:
	s_cmp_gt_i32 s15, 3
	s_cbranch_scc0 .LBB102_1388
; %bb.1385:
	s_wait_loadcnt 0x0
	global_load_b32 v2, v[0:1], off
	s_mov_b32 s0, 0
	s_branch .LBB102_1389
.LBB102_1386:
	s_mov_b32 s0, -1
                                        ; implicit-def: $vgpr2
	s_branch .LBB102_1395
.LBB102_1387:
	s_mov_b32 s0, -1
                                        ; implicit-def: $vgpr2
	s_branch .LBB102_1392
.LBB102_1388:
	s_mov_b32 s0, -1
                                        ; implicit-def: $vgpr2
.LBB102_1389:
	s_delay_alu instid0(SALU_CYCLE_1)
	s_and_not1_b32 vcc_lo, exec_lo, s0
	s_cbranch_vccnz .LBB102_1391
; %bb.1390:
	s_wait_loadcnt 0x0
	global_load_b32 v2, v[0:1], off
.LBB102_1391:
	s_mov_b32 s0, 0
.LBB102_1392:
	s_delay_alu instid0(SALU_CYCLE_1)
	s_and_not1_b32 vcc_lo, exec_lo, s0
	s_cbranch_vccnz .LBB102_1394
; %bb.1393:
	s_wait_loadcnt 0x0
	global_load_i16 v2, v[0:1], off
.LBB102_1394:
	s_mov_b32 s0, 0
.LBB102_1395:
	s_delay_alu instid0(SALU_CYCLE_1)
	s_and_not1_b32 vcc_lo, exec_lo, s0
	s_cbranch_vccnz .LBB102_1401
; %bb.1396:
	s_cmp_gt_i32 s15, 0
	s_mov_b32 s0, 0
	s_cbranch_scc0 .LBB102_1398
; %bb.1397:
	s_wait_loadcnt 0x0
	global_load_i8 v2, v[0:1], off
	s_branch .LBB102_1399
.LBB102_1398:
	s_mov_b32 s0, -1
                                        ; implicit-def: $vgpr2
.LBB102_1399:
	s_delay_alu instid0(SALU_CYCLE_1)
	s_and_not1_b32 vcc_lo, exec_lo, s0
	s_cbranch_vccnz .LBB102_1401
; %bb.1400:
	s_wait_loadcnt 0x0
	global_load_u8 v2, v[0:1], off
.LBB102_1401:
	s_mov_b32 s18, -1
.LBB102_1402:
	s_delay_alu instid0(SALU_CYCLE_1)
	s_and_not1_b32 vcc_lo, exec_lo, s18
	s_cbranch_vccnz .LBB102_1453
; %bb.1403:
	s_wait_loadcnt 0x0
	s_delay_alu instid0(VALU_DEP_1) | instskip(SKIP_4) | instid1(SALU_CYCLE_1)
	v_cmp_gt_i32_e32 vcc_lo, s10, v2
	v_cmp_le_i32_e64 s0, s12, v2
	s_or_b32 s0, vcc_lo, s0
	s_wait_xcnt 0x0
	s_and_saveexec_b32 s7, s0
	s_xor_b32 s0, exec_lo, s7
	s_cbranch_execnz .LBB102_1780
.LBB102_1404:
	s_or_saveexec_b32 s7, s0
	s_mov_b32 s10, 0
	s_mov_b32 s12, 0
                                        ; implicit-def: $sgpr0
                                        ; implicit-def: $vgpr2_vgpr3
	s_xor_b32 exec_lo, exec_lo, s7
	s_cbranch_execz .LBB102_1721
; %bb.1405:
	v_mul_lo_u32 v0, s8, v4
	s_and_b32 s0, s14, 0xff
	s_delay_alu instid0(SALU_CYCLE_1) | instskip(NEXT) | instid1(VALU_DEP_1)
	s_cmp_lt_i32 s0, 11
	v_ashrrev_i32_e32 v1, 31, v0
	s_delay_alu instid0(VALU_DEP_1)
	v_add_nc_u64_e32 v[2:3], s[4:5], v[0:1]
	s_cbranch_scc1 .LBB102_1454
; %bb.1406:
	s_and_b32 s10, 0xffff, s0
	s_mov_b32 s18, -1
	s_mov_b32 s15, 0
	s_cmp_gt_i32 s10, 25
	s_mov_b32 s14, 0
	s_cbranch_scc0 .LBB102_1431
; %bb.1407:
	s_cmp_gt_i32 s10, 28
	s_cbranch_scc0 .LBB102_1420
; %bb.1408:
	s_cmp_gt_i32 s10, 43
	;; [unrolled: 3-line block ×3, first 2 shown]
	s_cbranch_scc0 .LBB102_1412
; %bb.1410:
	s_mov_b32 s12, -1
	s_mov_b32 s18, 0
	s_cmp_eq_u32 s10, 46
	s_cbranch_scc0 .LBB102_1412
; %bb.1411:
	v_mov_b32_e32 v1, 0
	s_mov_b32 s12, 0
	s_mov_b32 s14, -1
	global_store_b32 v[2:3], v1, off
.LBB102_1412:
	s_and_b32 vcc_lo, exec_lo, s18
	s_cbranch_vccz .LBB102_1415
; %bb.1413:
	s_cmp_eq_u32 s10, 44
	s_mov_b32 s12, -1
	s_cbranch_scc0 .LBB102_1415
; %bb.1414:
	s_wait_xcnt 0x0
	v_mov_b32_e32 v1, 0
	s_mov_b32 s12, 0
	s_mov_b32 s14, -1
	global_store_b8 v[2:3], v1, off
.LBB102_1415:
	s_mov_b32 s18, 0
.LBB102_1416:
	s_delay_alu instid0(SALU_CYCLE_1)
	s_and_b32 vcc_lo, exec_lo, s18
	s_cbranch_vccz .LBB102_1419
; %bb.1417:
	s_cmp_eq_u32 s10, 29
	s_mov_b32 s12, -1
	s_cbranch_scc0 .LBB102_1419
; %bb.1418:
	v_mov_b64_e32 v[4:5], 0
	s_mov_b32 s12, 0
	s_mov_b32 s14, -1
	global_store_b64 v[2:3], v[4:5], off
.LBB102_1419:
	s_mov_b32 s18, 0
.LBB102_1420:
	s_delay_alu instid0(SALU_CYCLE_1)
	s_and_b32 vcc_lo, exec_lo, s18
	s_cbranch_vccz .LBB102_1430
; %bb.1421:
	s_cmp_lt_i32 s10, 27
	s_mov_b32 s14, -1
	s_cbranch_scc1 .LBB102_1427
; %bb.1422:
	s_cmp_gt_i32 s10, 27
	s_cbranch_scc0 .LBB102_1424
; %bb.1423:
	s_wait_xcnt 0x0
	v_mov_b32_e32 v1, 0
	s_mov_b32 s14, 0
	global_store_b32 v[2:3], v1, off
.LBB102_1424:
	s_and_not1_b32 vcc_lo, exec_lo, s14
	s_cbranch_vccnz .LBB102_1426
; %bb.1425:
	s_wait_xcnt 0x0
	v_mov_b32_e32 v1, 0
	global_store_b16 v[2:3], v1, off
.LBB102_1426:
	s_mov_b32 s14, 0
.LBB102_1427:
	s_delay_alu instid0(SALU_CYCLE_1)
	s_and_not1_b32 vcc_lo, exec_lo, s14
	s_cbranch_vccnz .LBB102_1429
; %bb.1428:
	s_wait_xcnt 0x0
	v_mov_b32_e32 v1, 0
	global_store_b8 v[2:3], v1, off
.LBB102_1429:
	s_mov_b32 s14, -1
.LBB102_1430:
	s_mov_b32 s18, 0
.LBB102_1431:
	s_delay_alu instid0(SALU_CYCLE_1)
	s_and_b32 vcc_lo, exec_lo, s18
	s_cbranch_vccz .LBB102_1449
; %bb.1432:
	s_cmp_gt_i32 s10, 22
	s_mov_b32 s15, -1
	s_cbranch_scc0 .LBB102_1442
; %bb.1433:
	s_cmp_lt_i32 s10, 24
	s_mov_b32 s14, -1
	s_cbranch_scc1 .LBB102_1439
; %bb.1434:
	s_cmp_gt_i32 s10, 24
	s_cbranch_scc0 .LBB102_1436
; %bb.1435:
	s_wait_xcnt 0x0
	v_mov_b32_e32 v1, 0
	s_mov_b32 s14, 0
	global_store_b8 v[2:3], v1, off
.LBB102_1436:
	s_and_not1_b32 vcc_lo, exec_lo, s14
	s_cbranch_vccnz .LBB102_1438
; %bb.1437:
	s_wait_xcnt 0x0
	v_mov_b32_e32 v1, 0
	global_store_b8 v[2:3], v1, off
.LBB102_1438:
	s_mov_b32 s14, 0
.LBB102_1439:
	s_delay_alu instid0(SALU_CYCLE_1)
	s_and_not1_b32 vcc_lo, exec_lo, s14
	s_cbranch_vccnz .LBB102_1441
; %bb.1440:
	s_wait_xcnt 0x0
	v_mov_b32_e32 v1, 0
	global_store_b8 v[2:3], v1, off
.LBB102_1441:
	s_mov_b32 s15, 0
	s_mov_b32 s14, -1
.LBB102_1442:
	s_and_not1_b32 vcc_lo, exec_lo, s15
	s_mov_b32 s15, 0
	s_cbranch_vccnz .LBB102_1449
; %bb.1443:
	s_cmp_gt_i32 s10, 14
	s_mov_b32 s15, -1
	s_cbranch_scc0 .LBB102_1447
; %bb.1444:
	s_cmp_eq_u32 s10, 15
	s_mov_b32 s12, -1
	s_cbranch_scc0 .LBB102_1446
; %bb.1445:
	s_wait_xcnt 0x0
	v_mov_b32_e32 v1, 0
	s_mov_b32 s12, 0
	s_mov_b32 s14, -1
	global_store_b16 v[2:3], v1, off
.LBB102_1446:
	s_mov_b32 s15, 0
.LBB102_1447:
	s_delay_alu instid0(SALU_CYCLE_1)
	s_and_b32 vcc_lo, exec_lo, s15
	s_mov_b32 s15, 0
	s_cbranch_vccz .LBB102_1449
; %bb.1448:
	s_cmp_lg_u32 s10, 11
	s_mov_b32 s15, -1
	s_cselect_b32 s12, -1, 0
.LBB102_1449:
	s_delay_alu instid0(SALU_CYCLE_1)
	s_and_b32 vcc_lo, exec_lo, s12
	s_mov_b32 s10, s6
	s_cbranch_vccnz .LBB102_1774
; %bb.1450:
	s_and_not1_b32 vcc_lo, exec_lo, s15
	s_cbranch_vccnz .LBB102_1452
.LBB102_1451:
	s_wait_xcnt 0x0
	v_mov_b32_e32 v1, 0
	s_mov_b32 s14, -1
	global_store_b8 v[2:3], v1, off
.LBB102_1452:
	s_mov_b32 s12, 0
	s_branch .LBB102_1455
.LBB102_1453:
	s_mov_b32 s10, 0
	s_mov_b32 s12, 0
                                        ; implicit-def: $sgpr0
                                        ; implicit-def: $vgpr2_vgpr3
	s_branch .LBB102_1722
.LBB102_1454:
	s_mov_b32 s12, -1
	s_mov_b32 s14, 0
	s_mov_b32 s10, s6
.LBB102_1455:
	s_and_b32 vcc_lo, exec_lo, s12
	s_cbranch_vccz .LBB102_1494
; %bb.1456:
	s_and_b32 s12, 0xffff, s0
	s_mov_b32 s14, -1
	s_cmp_lt_i32 s12, 5
	s_cbranch_scc1 .LBB102_1477
; %bb.1457:
	s_cmp_lt_i32 s12, 8
	s_cbranch_scc1 .LBB102_1467
; %bb.1458:
	;; [unrolled: 3-line block ×3, first 2 shown]
	s_cmp_gt_i32 s12, 9
	s_cbranch_scc0 .LBB102_1461
; %bb.1460:
	s_wait_xcnt 0x0
	v_mov_b32_e32 v4, 0
	s_mov_b32 s14, 0
	s_delay_alu instid0(VALU_DEP_1)
	v_dual_mov_b32 v5, v4 :: v_dual_mov_b32 v6, v4
	v_mov_b32_e32 v7, v4
	global_store_b128 v[2:3], v[4:7], off
.LBB102_1461:
	s_and_not1_b32 vcc_lo, exec_lo, s14
	s_cbranch_vccnz .LBB102_1463
; %bb.1462:
	s_wait_xcnt 0x0
	v_mov_b64_e32 v[4:5], 0
	global_store_b64 v[2:3], v[4:5], off
.LBB102_1463:
	s_mov_b32 s14, 0
.LBB102_1464:
	s_delay_alu instid0(SALU_CYCLE_1)
	s_and_not1_b32 vcc_lo, exec_lo, s14
	s_cbranch_vccnz .LBB102_1466
; %bb.1465:
	s_wait_xcnt 0x0
	v_mov_b32_e32 v1, 0
	global_store_b32 v[2:3], v1, off
.LBB102_1466:
	s_mov_b32 s14, 0
.LBB102_1467:
	s_delay_alu instid0(SALU_CYCLE_1)
	s_and_not1_b32 vcc_lo, exec_lo, s14
	s_cbranch_vccnz .LBB102_1476
; %bb.1468:
	s_cmp_lt_i32 s12, 6
	s_mov_b32 s14, -1
	s_cbranch_scc1 .LBB102_1474
; %bb.1469:
	s_cmp_gt_i32 s12, 6
	s_cbranch_scc0 .LBB102_1471
; %bb.1470:
	s_wait_xcnt 0x0
	v_mov_b64_e32 v[4:5], 0
	s_mov_b32 s14, 0
	global_store_b64 v[2:3], v[4:5], off
.LBB102_1471:
	s_and_not1_b32 vcc_lo, exec_lo, s14
	s_cbranch_vccnz .LBB102_1473
; %bb.1472:
	s_wait_xcnt 0x0
	v_mov_b32_e32 v1, 0
	global_store_b32 v[2:3], v1, off
.LBB102_1473:
	s_mov_b32 s14, 0
.LBB102_1474:
	s_delay_alu instid0(SALU_CYCLE_1)
	s_and_not1_b32 vcc_lo, exec_lo, s14
	s_cbranch_vccnz .LBB102_1476
; %bb.1475:
	s_wait_xcnt 0x0
	v_mov_b32_e32 v1, 0
	global_store_b16 v[2:3], v1, off
.LBB102_1476:
	s_mov_b32 s14, 0
.LBB102_1477:
	s_delay_alu instid0(SALU_CYCLE_1)
	s_and_not1_b32 vcc_lo, exec_lo, s14
	s_cbranch_vccnz .LBB102_1493
; %bb.1478:
	s_cmp_lt_i32 s12, 2
	s_mov_b32 s14, -1
	s_cbranch_scc1 .LBB102_1488
; %bb.1479:
	s_cmp_lt_i32 s12, 3
	s_cbranch_scc1 .LBB102_1485
; %bb.1480:
	s_cmp_gt_i32 s12, 3
	s_cbranch_scc0 .LBB102_1482
; %bb.1481:
	s_wait_xcnt 0x0
	v_mov_b64_e32 v[4:5], 0
	s_mov_b32 s14, 0
	global_store_b64 v[2:3], v[4:5], off
.LBB102_1482:
	s_and_not1_b32 vcc_lo, exec_lo, s14
	s_cbranch_vccnz .LBB102_1484
; %bb.1483:
	s_wait_xcnt 0x0
	v_mov_b32_e32 v1, 0
	global_store_b32 v[2:3], v1, off
.LBB102_1484:
	s_mov_b32 s14, 0
.LBB102_1485:
	s_delay_alu instid0(SALU_CYCLE_1)
	s_and_not1_b32 vcc_lo, exec_lo, s14
	s_cbranch_vccnz .LBB102_1487
; %bb.1486:
	s_wait_xcnt 0x0
	v_mov_b32_e32 v1, 0
	global_store_b16 v[2:3], v1, off
.LBB102_1487:
	s_mov_b32 s14, 0
.LBB102_1488:
	s_delay_alu instid0(SALU_CYCLE_1)
	s_and_not1_b32 vcc_lo, exec_lo, s14
	s_cbranch_vccnz .LBB102_1493
; %bb.1489:
	s_cmp_gt_i32 s12, 0
	s_mov_b32 s12, -1
	s_cbranch_scc0 .LBB102_1491
; %bb.1490:
	s_wait_xcnt 0x0
	v_mov_b32_e32 v1, 0
	s_mov_b32 s12, 0
	global_store_b8 v[2:3], v1, off
.LBB102_1491:
	s_and_not1_b32 vcc_lo, exec_lo, s12
	s_cbranch_vccnz .LBB102_1493
; %bb.1492:
	s_wait_xcnt 0x0
	v_mov_b32_e32 v1, 0
	global_store_b8 v[2:3], v1, off
.LBB102_1493:
	s_mov_b32 s14, -1
.LBB102_1494:
	s_delay_alu instid0(SALU_CYCLE_1)
	s_and_not1_b32 vcc_lo, exec_lo, s14
	s_cbranch_vccnz .LBB102_1719
; %bb.1495:
	s_lshl_b32 s8, s8, 7
	s_cmp_lt_i32 s0, 11
	v_add_nc_u32_e32 v0, s8, v0
	s_wait_xcnt 0x0
	s_delay_alu instid0(VALU_DEP_1) | instskip(NEXT) | instid1(VALU_DEP_1)
	v_ashrrev_i32_e32 v1, 31, v0
	v_add_nc_u64_e32 v[2:3], s[4:5], v[0:1]
	s_cbranch_scc1 .LBB102_1543
; %bb.1496:
	s_and_b32 s12, 0xffff, s0
	s_mov_b32 s19, -1
	s_mov_b32 s18, 0
	s_cmp_gt_i32 s12, 25
	s_mov_b32 s15, 0
	s_mov_b32 s14, 0
	s_cbranch_scc0 .LBB102_1521
; %bb.1497:
	s_cmp_gt_i32 s12, 28
	s_cbranch_scc0 .LBB102_1510
; %bb.1498:
	s_cmp_gt_i32 s12, 43
	;; [unrolled: 3-line block ×3, first 2 shown]
	s_cbranch_scc0 .LBB102_1502
; %bb.1500:
	s_mov_b32 s14, -1
	s_mov_b32 s19, 0
	s_cmp_eq_u32 s12, 46
	s_cbranch_scc0 .LBB102_1502
; %bb.1501:
	v_mov_b32_e32 v1, 0
	s_mov_b32 s14, 0
	s_mov_b32 s15, -1
	global_store_b32 v[2:3], v1, off
.LBB102_1502:
	s_and_b32 vcc_lo, exec_lo, s19
	s_cbranch_vccz .LBB102_1505
; %bb.1503:
	s_cmp_eq_u32 s12, 44
	s_mov_b32 s14, -1
	s_cbranch_scc0 .LBB102_1505
; %bb.1504:
	s_wait_xcnt 0x0
	v_mov_b32_e32 v1, 0
	s_mov_b32 s14, 0
	s_mov_b32 s15, -1
	global_store_b8 v[2:3], v1, off
.LBB102_1505:
	s_mov_b32 s19, 0
.LBB102_1506:
	s_delay_alu instid0(SALU_CYCLE_1)
	s_and_b32 vcc_lo, exec_lo, s19
	s_cbranch_vccz .LBB102_1509
; %bb.1507:
	s_cmp_eq_u32 s12, 29
	s_mov_b32 s14, -1
	s_cbranch_scc0 .LBB102_1509
; %bb.1508:
	v_mov_b64_e32 v[4:5], 0
	s_mov_b32 s14, 0
	s_mov_b32 s15, -1
	global_store_b64 v[2:3], v[4:5], off
.LBB102_1509:
	s_mov_b32 s19, 0
.LBB102_1510:
	s_delay_alu instid0(SALU_CYCLE_1)
	s_and_b32 vcc_lo, exec_lo, s19
	s_cbranch_vccz .LBB102_1520
; %bb.1511:
	s_cmp_lt_i32 s12, 27
	s_mov_b32 s15, -1
	s_cbranch_scc1 .LBB102_1517
; %bb.1512:
	s_cmp_gt_i32 s12, 27
	s_cbranch_scc0 .LBB102_1514
; %bb.1513:
	s_wait_xcnt 0x0
	v_mov_b32_e32 v1, 0
	s_mov_b32 s15, 0
	global_store_b32 v[2:3], v1, off
.LBB102_1514:
	s_and_not1_b32 vcc_lo, exec_lo, s15
	s_cbranch_vccnz .LBB102_1516
; %bb.1515:
	s_wait_xcnt 0x0
	v_mov_b32_e32 v1, 0
	global_store_b16 v[2:3], v1, off
.LBB102_1516:
	s_mov_b32 s15, 0
.LBB102_1517:
	s_delay_alu instid0(SALU_CYCLE_1)
	s_and_not1_b32 vcc_lo, exec_lo, s15
	s_cbranch_vccnz .LBB102_1519
; %bb.1518:
	s_wait_xcnt 0x0
	v_mov_b32_e32 v1, 0
	global_store_b8 v[2:3], v1, off
.LBB102_1519:
	s_mov_b32 s15, -1
.LBB102_1520:
	s_mov_b32 s19, 0
.LBB102_1521:
	s_delay_alu instid0(SALU_CYCLE_1)
	s_and_b32 vcc_lo, exec_lo, s19
	s_cbranch_vccz .LBB102_1539
; %bb.1522:
	s_cmp_gt_i32 s12, 22
	s_mov_b32 s18, -1
	s_cbranch_scc0 .LBB102_1532
; %bb.1523:
	s_cmp_lt_i32 s12, 24
	s_mov_b32 s15, -1
	s_cbranch_scc1 .LBB102_1529
; %bb.1524:
	s_cmp_gt_i32 s12, 24
	s_cbranch_scc0 .LBB102_1526
; %bb.1525:
	s_wait_xcnt 0x0
	v_mov_b32_e32 v1, 0
	s_mov_b32 s15, 0
	global_store_b8 v[2:3], v1, off
.LBB102_1526:
	s_and_not1_b32 vcc_lo, exec_lo, s15
	s_cbranch_vccnz .LBB102_1528
; %bb.1527:
	s_wait_xcnt 0x0
	v_mov_b32_e32 v1, 0
	global_store_b8 v[2:3], v1, off
.LBB102_1528:
	s_mov_b32 s15, 0
.LBB102_1529:
	s_delay_alu instid0(SALU_CYCLE_1)
	s_and_not1_b32 vcc_lo, exec_lo, s15
	s_cbranch_vccnz .LBB102_1531
; %bb.1530:
	s_wait_xcnt 0x0
	v_mov_b32_e32 v1, 0
	global_store_b8 v[2:3], v1, off
.LBB102_1531:
	s_mov_b32 s18, 0
	s_mov_b32 s15, -1
.LBB102_1532:
	s_and_not1_b32 vcc_lo, exec_lo, s18
	s_mov_b32 s18, 0
	s_cbranch_vccnz .LBB102_1539
; %bb.1533:
	s_cmp_gt_i32 s12, 14
	s_mov_b32 s18, -1
	s_cbranch_scc0 .LBB102_1537
; %bb.1534:
	s_cmp_eq_u32 s12, 15
	s_mov_b32 s14, -1
	s_cbranch_scc0 .LBB102_1536
; %bb.1535:
	s_wait_xcnt 0x0
	v_mov_b32_e32 v1, 0
	s_mov_b32 s14, 0
	s_mov_b32 s15, -1
	global_store_b16 v[2:3], v1, off
.LBB102_1536:
	s_mov_b32 s18, 0
.LBB102_1537:
	s_delay_alu instid0(SALU_CYCLE_1)
	s_and_b32 vcc_lo, exec_lo, s18
	s_mov_b32 s18, 0
	s_cbranch_vccz .LBB102_1539
; %bb.1538:
	s_cmp_lg_u32 s12, 11
	s_mov_b32 s18, -1
	s_cselect_b32 s14, -1, 0
.LBB102_1539:
	s_delay_alu instid0(SALU_CYCLE_1)
	s_and_b32 vcc_lo, exec_lo, s14
	s_cbranch_vccnz .LBB102_1776
; %bb.1540:
	s_and_not1_b32 vcc_lo, exec_lo, s18
	s_cbranch_vccnz .LBB102_1542
.LBB102_1541:
	s_wait_xcnt 0x0
	v_mov_b32_e32 v1, 0
	s_mov_b32 s15, -1
	global_store_b8 v[2:3], v1, off
.LBB102_1542:
	s_mov_b32 s12, 0
	s_branch .LBB102_1544
.LBB102_1543:
	s_mov_b32 s12, -1
	s_mov_b32 s15, 0
.LBB102_1544:
	s_and_b32 vcc_lo, exec_lo, s12
	s_cbranch_vccz .LBB102_1583
; %bb.1545:
	s_and_b32 s12, 0xffff, s0
	s_mov_b32 s14, -1
	s_cmp_lt_i32 s12, 5
	s_cbranch_scc1 .LBB102_1566
; %bb.1546:
	s_cmp_lt_i32 s12, 8
	s_cbranch_scc1 .LBB102_1556
; %bb.1547:
	s_cmp_lt_i32 s12, 9
	s_cbranch_scc1 .LBB102_1553
; %bb.1548:
	s_cmp_gt_i32 s12, 9
	s_cbranch_scc0 .LBB102_1550
; %bb.1549:
	s_wait_xcnt 0x0
	v_mov_b32_e32 v4, 0
	s_mov_b32 s14, 0
	s_delay_alu instid0(VALU_DEP_1)
	v_dual_mov_b32 v5, v4 :: v_dual_mov_b32 v6, v4
	v_mov_b32_e32 v7, v4
	global_store_b128 v[2:3], v[4:7], off
.LBB102_1550:
	s_and_not1_b32 vcc_lo, exec_lo, s14
	s_cbranch_vccnz .LBB102_1552
; %bb.1551:
	s_wait_xcnt 0x0
	v_mov_b64_e32 v[4:5], 0
	global_store_b64 v[2:3], v[4:5], off
.LBB102_1552:
	s_mov_b32 s14, 0
.LBB102_1553:
	s_delay_alu instid0(SALU_CYCLE_1)
	s_and_not1_b32 vcc_lo, exec_lo, s14
	s_cbranch_vccnz .LBB102_1555
; %bb.1554:
	s_wait_xcnt 0x0
	v_mov_b32_e32 v1, 0
	global_store_b32 v[2:3], v1, off
.LBB102_1555:
	s_mov_b32 s14, 0
.LBB102_1556:
	s_delay_alu instid0(SALU_CYCLE_1)
	s_and_not1_b32 vcc_lo, exec_lo, s14
	s_cbranch_vccnz .LBB102_1565
; %bb.1557:
	s_cmp_lt_i32 s12, 6
	s_mov_b32 s14, -1
	s_cbranch_scc1 .LBB102_1563
; %bb.1558:
	s_cmp_gt_i32 s12, 6
	s_cbranch_scc0 .LBB102_1560
; %bb.1559:
	s_wait_xcnt 0x0
	v_mov_b64_e32 v[4:5], 0
	s_mov_b32 s14, 0
	global_store_b64 v[2:3], v[4:5], off
.LBB102_1560:
	s_and_not1_b32 vcc_lo, exec_lo, s14
	s_cbranch_vccnz .LBB102_1562
; %bb.1561:
	s_wait_xcnt 0x0
	v_mov_b32_e32 v1, 0
	global_store_b32 v[2:3], v1, off
.LBB102_1562:
	s_mov_b32 s14, 0
.LBB102_1563:
	s_delay_alu instid0(SALU_CYCLE_1)
	s_and_not1_b32 vcc_lo, exec_lo, s14
	s_cbranch_vccnz .LBB102_1565
; %bb.1564:
	s_wait_xcnt 0x0
	v_mov_b32_e32 v1, 0
	global_store_b16 v[2:3], v1, off
.LBB102_1565:
	s_mov_b32 s14, 0
.LBB102_1566:
	s_delay_alu instid0(SALU_CYCLE_1)
	s_and_not1_b32 vcc_lo, exec_lo, s14
	s_cbranch_vccnz .LBB102_1582
; %bb.1567:
	s_cmp_lt_i32 s12, 2
	s_mov_b32 s14, -1
	s_cbranch_scc1 .LBB102_1577
; %bb.1568:
	s_cmp_lt_i32 s12, 3
	s_cbranch_scc1 .LBB102_1574
; %bb.1569:
	s_cmp_gt_i32 s12, 3
	s_cbranch_scc0 .LBB102_1571
; %bb.1570:
	s_wait_xcnt 0x0
	v_mov_b64_e32 v[4:5], 0
	s_mov_b32 s14, 0
	global_store_b64 v[2:3], v[4:5], off
.LBB102_1571:
	s_and_not1_b32 vcc_lo, exec_lo, s14
	s_cbranch_vccnz .LBB102_1573
; %bb.1572:
	s_wait_xcnt 0x0
	v_mov_b32_e32 v1, 0
	global_store_b32 v[2:3], v1, off
.LBB102_1573:
	s_mov_b32 s14, 0
.LBB102_1574:
	s_delay_alu instid0(SALU_CYCLE_1)
	s_and_not1_b32 vcc_lo, exec_lo, s14
	s_cbranch_vccnz .LBB102_1576
; %bb.1575:
	s_wait_xcnt 0x0
	v_mov_b32_e32 v1, 0
	global_store_b16 v[2:3], v1, off
.LBB102_1576:
	s_mov_b32 s14, 0
.LBB102_1577:
	s_delay_alu instid0(SALU_CYCLE_1)
	s_and_not1_b32 vcc_lo, exec_lo, s14
	s_cbranch_vccnz .LBB102_1582
; %bb.1578:
	s_cmp_gt_i32 s12, 0
	s_mov_b32 s12, -1
	s_cbranch_scc0 .LBB102_1580
; %bb.1579:
	s_wait_xcnt 0x0
	v_mov_b32_e32 v1, 0
	s_mov_b32 s12, 0
	global_store_b8 v[2:3], v1, off
.LBB102_1580:
	s_and_not1_b32 vcc_lo, exec_lo, s12
	s_cbranch_vccnz .LBB102_1582
; %bb.1581:
	s_wait_xcnt 0x0
	v_mov_b32_e32 v1, 0
	global_store_b8 v[2:3], v1, off
.LBB102_1582:
	s_mov_b32 s15, -1
.LBB102_1583:
	s_delay_alu instid0(SALU_CYCLE_1)
	s_and_not1_b32 vcc_lo, exec_lo, s15
	s_cbranch_vccnz .LBB102_1719
; %bb.1584:
	v_add_nc_u32_e32 v0, s8, v0
	s_cmp_lt_i32 s0, 11
	s_wait_xcnt 0x0
	s_delay_alu instid0(VALU_DEP_1) | instskip(NEXT) | instid1(VALU_DEP_1)
	v_ashrrev_i32_e32 v1, 31, v0
	v_add_nc_u64_e32 v[2:3], s[4:5], v[0:1]
	s_cbranch_scc1 .LBB102_1632
; %bb.1585:
	s_and_b32 s12, 0xffff, s0
	s_mov_b32 s19, -1
	s_mov_b32 s18, 0
	s_cmp_gt_i32 s12, 25
	s_mov_b32 s15, 0
	s_mov_b32 s14, 0
	s_cbranch_scc0 .LBB102_1610
; %bb.1586:
	s_cmp_gt_i32 s12, 28
	s_cbranch_scc0 .LBB102_1599
; %bb.1587:
	s_cmp_gt_i32 s12, 43
	;; [unrolled: 3-line block ×3, first 2 shown]
	s_cbranch_scc0 .LBB102_1591
; %bb.1589:
	s_mov_b32 s14, -1
	s_mov_b32 s19, 0
	s_cmp_eq_u32 s12, 46
	s_cbranch_scc0 .LBB102_1591
; %bb.1590:
	v_mov_b32_e32 v1, 0
	s_mov_b32 s14, 0
	s_mov_b32 s15, -1
	global_store_b32 v[2:3], v1, off
.LBB102_1591:
	s_and_b32 vcc_lo, exec_lo, s19
	s_cbranch_vccz .LBB102_1594
; %bb.1592:
	s_cmp_eq_u32 s12, 44
	s_mov_b32 s14, -1
	s_cbranch_scc0 .LBB102_1594
; %bb.1593:
	s_wait_xcnt 0x0
	v_mov_b32_e32 v1, 0
	s_mov_b32 s14, 0
	s_mov_b32 s15, -1
	global_store_b8 v[2:3], v1, off
.LBB102_1594:
	s_mov_b32 s19, 0
.LBB102_1595:
	s_delay_alu instid0(SALU_CYCLE_1)
	s_and_b32 vcc_lo, exec_lo, s19
	s_cbranch_vccz .LBB102_1598
; %bb.1596:
	s_cmp_eq_u32 s12, 29
	s_mov_b32 s14, -1
	s_cbranch_scc0 .LBB102_1598
; %bb.1597:
	v_mov_b64_e32 v[4:5], 0
	s_mov_b32 s14, 0
	s_mov_b32 s15, -1
	global_store_b64 v[2:3], v[4:5], off
.LBB102_1598:
	s_mov_b32 s19, 0
.LBB102_1599:
	s_delay_alu instid0(SALU_CYCLE_1)
	s_and_b32 vcc_lo, exec_lo, s19
	s_cbranch_vccz .LBB102_1609
; %bb.1600:
	s_cmp_lt_i32 s12, 27
	s_mov_b32 s15, -1
	s_cbranch_scc1 .LBB102_1606
; %bb.1601:
	s_cmp_gt_i32 s12, 27
	s_cbranch_scc0 .LBB102_1603
; %bb.1602:
	s_wait_xcnt 0x0
	v_mov_b32_e32 v1, 0
	s_mov_b32 s15, 0
	global_store_b32 v[2:3], v1, off
.LBB102_1603:
	s_and_not1_b32 vcc_lo, exec_lo, s15
	s_cbranch_vccnz .LBB102_1605
; %bb.1604:
	s_wait_xcnt 0x0
	v_mov_b32_e32 v1, 0
	global_store_b16 v[2:3], v1, off
.LBB102_1605:
	s_mov_b32 s15, 0
.LBB102_1606:
	s_delay_alu instid0(SALU_CYCLE_1)
	s_and_not1_b32 vcc_lo, exec_lo, s15
	s_cbranch_vccnz .LBB102_1608
; %bb.1607:
	s_wait_xcnt 0x0
	v_mov_b32_e32 v1, 0
	global_store_b8 v[2:3], v1, off
.LBB102_1608:
	s_mov_b32 s15, -1
.LBB102_1609:
	s_mov_b32 s19, 0
.LBB102_1610:
	s_delay_alu instid0(SALU_CYCLE_1)
	s_and_b32 vcc_lo, exec_lo, s19
	s_cbranch_vccz .LBB102_1628
; %bb.1611:
	s_cmp_gt_i32 s12, 22
	s_mov_b32 s18, -1
	s_cbranch_scc0 .LBB102_1621
; %bb.1612:
	s_cmp_lt_i32 s12, 24
	s_mov_b32 s15, -1
	s_cbranch_scc1 .LBB102_1618
; %bb.1613:
	s_cmp_gt_i32 s12, 24
	s_cbranch_scc0 .LBB102_1615
; %bb.1614:
	s_wait_xcnt 0x0
	v_mov_b32_e32 v1, 0
	s_mov_b32 s15, 0
	global_store_b8 v[2:3], v1, off
.LBB102_1615:
	s_and_not1_b32 vcc_lo, exec_lo, s15
	s_cbranch_vccnz .LBB102_1617
; %bb.1616:
	s_wait_xcnt 0x0
	v_mov_b32_e32 v1, 0
	global_store_b8 v[2:3], v1, off
.LBB102_1617:
	s_mov_b32 s15, 0
.LBB102_1618:
	s_delay_alu instid0(SALU_CYCLE_1)
	s_and_not1_b32 vcc_lo, exec_lo, s15
	s_cbranch_vccnz .LBB102_1620
; %bb.1619:
	s_wait_xcnt 0x0
	v_mov_b32_e32 v1, 0
	global_store_b8 v[2:3], v1, off
.LBB102_1620:
	s_mov_b32 s18, 0
	s_mov_b32 s15, -1
.LBB102_1621:
	s_and_not1_b32 vcc_lo, exec_lo, s18
	s_mov_b32 s18, 0
	s_cbranch_vccnz .LBB102_1628
; %bb.1622:
	s_cmp_gt_i32 s12, 14
	s_mov_b32 s18, -1
	s_cbranch_scc0 .LBB102_1626
; %bb.1623:
	s_cmp_eq_u32 s12, 15
	s_mov_b32 s14, -1
	s_cbranch_scc0 .LBB102_1625
; %bb.1624:
	s_wait_xcnt 0x0
	v_mov_b32_e32 v1, 0
	s_mov_b32 s14, 0
	s_mov_b32 s15, -1
	global_store_b16 v[2:3], v1, off
.LBB102_1625:
	s_mov_b32 s18, 0
.LBB102_1626:
	s_delay_alu instid0(SALU_CYCLE_1)
	s_and_b32 vcc_lo, exec_lo, s18
	s_mov_b32 s18, 0
	s_cbranch_vccz .LBB102_1628
; %bb.1627:
	s_cmp_lg_u32 s12, 11
	s_mov_b32 s18, -1
	s_cselect_b32 s14, -1, 0
.LBB102_1628:
	s_delay_alu instid0(SALU_CYCLE_1)
	s_and_b32 vcc_lo, exec_lo, s14
	s_cbranch_vccnz .LBB102_1777
; %bb.1629:
	s_and_not1_b32 vcc_lo, exec_lo, s18
	s_cbranch_vccnz .LBB102_1631
.LBB102_1630:
	s_wait_xcnt 0x0
	v_mov_b32_e32 v1, 0
	s_mov_b32 s15, -1
	global_store_b8 v[2:3], v1, off
.LBB102_1631:
	s_mov_b32 s12, 0
	s_branch .LBB102_1633
.LBB102_1632:
	s_mov_b32 s12, -1
	s_mov_b32 s15, 0
.LBB102_1633:
	s_and_b32 vcc_lo, exec_lo, s12
	s_cbranch_vccz .LBB102_1672
; %bb.1634:
	s_and_b32 s12, 0xffff, s0
	s_mov_b32 s14, -1
	s_cmp_lt_i32 s12, 5
	s_cbranch_scc1 .LBB102_1655
; %bb.1635:
	s_cmp_lt_i32 s12, 8
	s_cbranch_scc1 .LBB102_1645
; %bb.1636:
	s_cmp_lt_i32 s12, 9
	s_cbranch_scc1 .LBB102_1642
; %bb.1637:
	s_cmp_gt_i32 s12, 9
	s_cbranch_scc0 .LBB102_1639
; %bb.1638:
	s_wait_xcnt 0x0
	v_mov_b32_e32 v4, 0
	s_mov_b32 s14, 0
	s_delay_alu instid0(VALU_DEP_1)
	v_dual_mov_b32 v5, v4 :: v_dual_mov_b32 v6, v4
	v_mov_b32_e32 v7, v4
	global_store_b128 v[2:3], v[4:7], off
.LBB102_1639:
	s_and_not1_b32 vcc_lo, exec_lo, s14
	s_cbranch_vccnz .LBB102_1641
; %bb.1640:
	s_wait_xcnt 0x0
	v_mov_b64_e32 v[4:5], 0
	global_store_b64 v[2:3], v[4:5], off
.LBB102_1641:
	s_mov_b32 s14, 0
.LBB102_1642:
	s_delay_alu instid0(SALU_CYCLE_1)
	s_and_not1_b32 vcc_lo, exec_lo, s14
	s_cbranch_vccnz .LBB102_1644
; %bb.1643:
	s_wait_xcnt 0x0
	v_mov_b32_e32 v1, 0
	global_store_b32 v[2:3], v1, off
.LBB102_1644:
	s_mov_b32 s14, 0
.LBB102_1645:
	s_delay_alu instid0(SALU_CYCLE_1)
	s_and_not1_b32 vcc_lo, exec_lo, s14
	s_cbranch_vccnz .LBB102_1654
; %bb.1646:
	s_cmp_lt_i32 s12, 6
	s_mov_b32 s14, -1
	s_cbranch_scc1 .LBB102_1652
; %bb.1647:
	s_cmp_gt_i32 s12, 6
	s_cbranch_scc0 .LBB102_1649
; %bb.1648:
	s_wait_xcnt 0x0
	v_mov_b64_e32 v[4:5], 0
	s_mov_b32 s14, 0
	global_store_b64 v[2:3], v[4:5], off
.LBB102_1649:
	s_and_not1_b32 vcc_lo, exec_lo, s14
	s_cbranch_vccnz .LBB102_1651
; %bb.1650:
	s_wait_xcnt 0x0
	v_mov_b32_e32 v1, 0
	global_store_b32 v[2:3], v1, off
.LBB102_1651:
	s_mov_b32 s14, 0
.LBB102_1652:
	s_delay_alu instid0(SALU_CYCLE_1)
	s_and_not1_b32 vcc_lo, exec_lo, s14
	s_cbranch_vccnz .LBB102_1654
; %bb.1653:
	s_wait_xcnt 0x0
	v_mov_b32_e32 v1, 0
	global_store_b16 v[2:3], v1, off
.LBB102_1654:
	s_mov_b32 s14, 0
.LBB102_1655:
	s_delay_alu instid0(SALU_CYCLE_1)
	s_and_not1_b32 vcc_lo, exec_lo, s14
	s_cbranch_vccnz .LBB102_1671
; %bb.1656:
	s_cmp_lt_i32 s12, 2
	s_mov_b32 s14, -1
	s_cbranch_scc1 .LBB102_1666
; %bb.1657:
	s_cmp_lt_i32 s12, 3
	s_cbranch_scc1 .LBB102_1663
; %bb.1658:
	s_cmp_gt_i32 s12, 3
	s_cbranch_scc0 .LBB102_1660
; %bb.1659:
	s_wait_xcnt 0x0
	v_mov_b64_e32 v[4:5], 0
	s_mov_b32 s14, 0
	global_store_b64 v[2:3], v[4:5], off
.LBB102_1660:
	s_and_not1_b32 vcc_lo, exec_lo, s14
	s_cbranch_vccnz .LBB102_1662
; %bb.1661:
	s_wait_xcnt 0x0
	v_mov_b32_e32 v1, 0
	global_store_b32 v[2:3], v1, off
.LBB102_1662:
	s_mov_b32 s14, 0
.LBB102_1663:
	s_delay_alu instid0(SALU_CYCLE_1)
	s_and_not1_b32 vcc_lo, exec_lo, s14
	s_cbranch_vccnz .LBB102_1665
; %bb.1664:
	s_wait_xcnt 0x0
	v_mov_b32_e32 v1, 0
	global_store_b16 v[2:3], v1, off
.LBB102_1665:
	s_mov_b32 s14, 0
.LBB102_1666:
	s_delay_alu instid0(SALU_CYCLE_1)
	s_and_not1_b32 vcc_lo, exec_lo, s14
	s_cbranch_vccnz .LBB102_1671
; %bb.1667:
	s_cmp_gt_i32 s12, 0
	s_mov_b32 s12, -1
	s_cbranch_scc0 .LBB102_1669
; %bb.1668:
	s_wait_xcnt 0x0
	v_mov_b32_e32 v1, 0
	s_mov_b32 s12, 0
	global_store_b8 v[2:3], v1, off
.LBB102_1669:
	s_and_not1_b32 vcc_lo, exec_lo, s12
	s_cbranch_vccnz .LBB102_1671
; %bb.1670:
	s_wait_xcnt 0x0
	v_mov_b32_e32 v1, 0
	global_store_b8 v[2:3], v1, off
.LBB102_1671:
	s_mov_b32 s15, -1
.LBB102_1672:
	s_delay_alu instid0(SALU_CYCLE_1)
	s_and_not1_b32 vcc_lo, exec_lo, s15
	s_cbranch_vccnz .LBB102_1719
; %bb.1673:
	v_add_nc_u32_e32 v0, s8, v0
	s_cmp_lt_i32 s0, 11
	s_wait_xcnt 0x0
	s_delay_alu instid0(VALU_DEP_1) | instskip(NEXT) | instid1(VALU_DEP_1)
	v_ashrrev_i32_e32 v1, 31, v0
	v_add_nc_u64_e32 v[2:3], s[4:5], v[0:1]
	s_cbranch_scc1 .LBB102_1773
; %bb.1674:
	s_and_b32 s5, 0xffff, s0
	s_mov_b32 s12, -1
	s_mov_b32 s4, 0
	s_cmp_gt_i32 s5, 25
	s_mov_b32 s8, 0
	s_cbranch_scc0 .LBB102_1699
; %bb.1675:
	s_cmp_gt_i32 s5, 28
	s_cbranch_scc0 .LBB102_1689
; %bb.1676:
	s_cmp_gt_i32 s5, 43
	;; [unrolled: 3-line block ×3, first 2 shown]
	s_cbranch_scc0 .LBB102_1681
; %bb.1678:
	s_cmp_eq_u32 s5, 46
	s_mov_b32 s8, -1
	s_cbranch_scc0 .LBB102_1680
; %bb.1679:
	v_mov_b32_e32 v0, 0
	s_mov_b32 s8, 0
	global_store_b32 v[2:3], v0, off
.LBB102_1680:
	s_mov_b32 s12, 0
.LBB102_1681:
	s_delay_alu instid0(SALU_CYCLE_1)
	s_and_b32 vcc_lo, exec_lo, s12
	s_cbranch_vccz .LBB102_1684
; %bb.1682:
	s_cmp_eq_u32 s5, 44
	s_mov_b32 s8, -1
	s_cbranch_scc0 .LBB102_1684
; %bb.1683:
	s_wait_xcnt 0x0
	v_mov_b32_e32 v0, 0
	s_mov_b32 s8, 0
	global_store_b8 v[2:3], v0, off
.LBB102_1684:
	s_mov_b32 s12, 0
.LBB102_1685:
	s_delay_alu instid0(SALU_CYCLE_1)
	s_and_b32 vcc_lo, exec_lo, s12
	s_cbranch_vccz .LBB102_1688
; %bb.1686:
	s_cmp_eq_u32 s5, 29
	s_mov_b32 s8, -1
	s_cbranch_scc0 .LBB102_1688
; %bb.1687:
	s_wait_xcnt 0x0
	v_mov_b64_e32 v[0:1], 0
	s_mov_b32 s8, 0
	global_store_b64 v[2:3], v[0:1], off
.LBB102_1688:
	s_mov_b32 s12, 0
.LBB102_1689:
	s_delay_alu instid0(SALU_CYCLE_1)
	s_and_b32 vcc_lo, exec_lo, s12
	s_cbranch_vccz .LBB102_1698
; %bb.1690:
	s_cmp_lt_i32 s5, 27
	s_mov_b32 s12, -1
	s_cbranch_scc1 .LBB102_1696
; %bb.1691:
	s_cmp_gt_i32 s5, 27
	s_cbranch_scc0 .LBB102_1693
; %bb.1692:
	s_wait_xcnt 0x0
	v_mov_b32_e32 v0, 0
	s_mov_b32 s12, 0
	global_store_b32 v[2:3], v0, off
.LBB102_1693:
	s_and_not1_b32 vcc_lo, exec_lo, s12
	s_cbranch_vccnz .LBB102_1695
; %bb.1694:
	s_wait_xcnt 0x0
	v_mov_b32_e32 v0, 0
	global_store_b16 v[2:3], v0, off
.LBB102_1695:
	s_mov_b32 s12, 0
.LBB102_1696:
	s_delay_alu instid0(SALU_CYCLE_1)
	s_and_not1_b32 vcc_lo, exec_lo, s12
	s_cbranch_vccnz .LBB102_1698
; %bb.1697:
	s_wait_xcnt 0x0
	v_mov_b32_e32 v0, 0
	global_store_b8 v[2:3], v0, off
.LBB102_1698:
	s_mov_b32 s12, 0
.LBB102_1699:
	s_delay_alu instid0(SALU_CYCLE_1)
	s_and_b32 vcc_lo, exec_lo, s12
	s_cbranch_vccz .LBB102_1717
; %bb.1700:
	s_cmp_gt_i32 s5, 22
	s_mov_b32 s4, -1
	s_cbranch_scc0 .LBB102_1710
; %bb.1701:
	s_cmp_lt_i32 s5, 24
	s_cbranch_scc1 .LBB102_1707
; %bb.1702:
	s_cmp_gt_i32 s5, 24
	s_cbranch_scc0 .LBB102_1704
; %bb.1703:
	s_wait_xcnt 0x0
	v_mov_b32_e32 v0, 0
	s_mov_b32 s4, 0
	global_store_b8 v[2:3], v0, off
.LBB102_1704:
	s_and_not1_b32 vcc_lo, exec_lo, s4
	s_cbranch_vccnz .LBB102_1706
; %bb.1705:
	s_wait_xcnt 0x0
	v_mov_b32_e32 v0, 0
	global_store_b8 v[2:3], v0, off
.LBB102_1706:
	s_mov_b32 s4, 0
.LBB102_1707:
	s_delay_alu instid0(SALU_CYCLE_1)
	s_and_not1_b32 vcc_lo, exec_lo, s4
	s_cbranch_vccnz .LBB102_1709
; %bb.1708:
	s_wait_xcnt 0x0
	v_mov_b32_e32 v0, 0
	global_store_b8 v[2:3], v0, off
.LBB102_1709:
	s_mov_b32 s4, 0
.LBB102_1710:
	s_delay_alu instid0(SALU_CYCLE_1)
	s_and_not1_b32 vcc_lo, exec_lo, s4
	s_mov_b32 s4, 0
	s_cbranch_vccnz .LBB102_1717
; %bb.1711:
	s_cmp_gt_i32 s5, 14
	s_mov_b32 s4, -1
	s_cbranch_scc0 .LBB102_1715
; %bb.1712:
	s_cmp_eq_u32 s5, 15
	s_mov_b32 s8, -1
	s_cbranch_scc0 .LBB102_1714
; %bb.1713:
	s_wait_xcnt 0x0
	v_mov_b32_e32 v0, 0
	s_mov_b32 s8, 0
	global_store_b16 v[2:3], v0, off
.LBB102_1714:
	s_mov_b32 s4, 0
.LBB102_1715:
	s_delay_alu instid0(SALU_CYCLE_1)
	s_and_b32 vcc_lo, exec_lo, s4
	s_mov_b32 s4, 0
	s_cbranch_vccz .LBB102_1717
; %bb.1716:
	s_cmp_lg_u32 s5, 11
	s_mov_b32 s4, -1
	s_cselect_b32 s8, -1, 0
.LBB102_1717:
	s_delay_alu instid0(SALU_CYCLE_1)
	s_and_b32 vcc_lo, exec_lo, s8
	s_cbranch_vccnz .LBB102_1779
.LBB102_1718:
	s_mov_b32 s5, 0
	s_branch .LBB102_1720
.LBB102_1719:
	s_mov_b32 s5, 0
	s_mov_b32 s4, 0
                                        ; implicit-def: $sgpr0
                                        ; implicit-def: $vgpr2_vgpr3
.LBB102_1720:
	s_and_b32 s12, s5, exec_lo
	s_and_not1_b32 s5, s6, exec_lo
	s_and_b32 s6, s10, exec_lo
	s_and_b32 s10, s4, exec_lo
	s_or_b32 s6, s5, s6
.LBB102_1721:
	s_wait_xcnt 0x0
	s_or_b32 exec_lo, exec_lo, s7
.LBB102_1722:
	s_delay_alu instid0(SALU_CYCLE_1)
	s_and_not1_b32 s4, s16, exec_lo
	s_and_b32 s5, s6, exec_lo
	s_and_b32 s20, s12, exec_lo
	s_and_b32 s19, s10, exec_lo
	s_or_b32 s16, s4, s5
.LBB102_1723:
	s_wait_xcnt 0x0
	s_or_b32 exec_lo, exec_lo, s17
.LBB102_1724:
	s_delay_alu instid0(SALU_CYCLE_1)
	s_and_not1_b32 s4, s9, exec_lo
	s_and_b32 s5, s16, exec_lo
	s_and_b32 s17, s20, exec_lo
	;; [unrolled: 1-line block ×3, first 2 shown]
	s_or_b32 s9, s4, s5
.LBB102_1725:
	s_wait_xcnt 0x0
	s_or_b32 exec_lo, exec_lo, s13
.LBB102_1726:
	s_delay_alu instid0(SALU_CYCLE_1)
	s_and_not1_b32 s1, s1, exec_lo
	s_and_b32 s4, s9, exec_lo
	s_and_b32 s17, s17, exec_lo
	s_and_b32 s13, s16, exec_lo
	s_or_b32 s1, s1, s4
.LBB102_1727:
	s_wait_xcnt 0x0
	s_or_b32 exec_lo, exec_lo, s2
.LBB102_1728:
	s_delay_alu instid0(SALU_CYCLE_1)
	s_and_not1_b32 s2, s11, exec_lo
	s_and_b32 s4, s1, exec_lo
	s_and_b32 s15, s17, exec_lo
	;; [unrolled: 1-line block ×3, first 2 shown]
	s_or_b32 s11, s2, s4
.LBB102_1729:
	s_wait_xcnt 0x0
	s_or_b32 exec_lo, exec_lo, s3
	s_and_saveexec_b32 s2, s11
	s_cbranch_execz .LBB102_1732
; %bb.1730:
	; divergent unreachable
	s_or_b32 exec_lo, exec_lo, s2
	s_and_saveexec_b32 s2, s1
	s_delay_alu instid0(SALU_CYCLE_1)
	s_xor_b32 s1, exec_lo, s2
	s_cbranch_execnz .LBB102_1733
.LBB102_1731:
	s_or_b32 exec_lo, exec_lo, s1
	s_and_saveexec_b32 s1, s15
	s_cbranch_execnz .LBB102_1734
	s_branch .LBB102_1771
.LBB102_1732:
	s_or_b32 exec_lo, exec_lo, s2
	s_and_saveexec_b32 s2, s1
	s_delay_alu instid0(SALU_CYCLE_1)
	s_xor_b32 s1, exec_lo, s2
	s_cbranch_execz .LBB102_1731
.LBB102_1733:
	v_mov_b32_e32 v0, 0
	s_wait_loadcnt 0x0
	global_store_b8 v[2:3], v0, off
	s_wait_xcnt 0x0
	s_or_b32 exec_lo, exec_lo, s1
	s_and_saveexec_b32 s1, s15
	s_cbranch_execz .LBB102_1771
.LBB102_1734:
	s_sext_i32_i16 s2, s0
	s_mov_b32 s1, -1
	s_cmp_lt_i32 s2, 5
	s_cbranch_scc1 .LBB102_1755
; %bb.1735:
	s_cmp_lt_i32 s2, 8
	s_cbranch_scc1 .LBB102_1745
; %bb.1736:
	;; [unrolled: 3-line block ×3, first 2 shown]
	s_cmp_gt_i32 s2, 9
	s_cbranch_scc0 .LBB102_1739
; %bb.1738:
	v_mov_b32_e32 v4, 0
	s_mov_b32 s1, 0
	s_delay_alu instid0(VALU_DEP_1)
	v_dual_mov_b32 v5, v4 :: v_dual_mov_b32 v6, v4
	v_mov_b32_e32 v7, v4
	s_wait_loadcnt 0x0
	global_store_b128 v[2:3], v[4:7], off
.LBB102_1739:
	s_and_not1_b32 vcc_lo, exec_lo, s1
	s_cbranch_vccnz .LBB102_1741
; %bb.1740:
	s_wait_loadcnt 0x0
	v_mov_b64_e32 v[0:1], 0
	global_store_b64 v[2:3], v[0:1], off
.LBB102_1741:
	s_mov_b32 s1, 0
.LBB102_1742:
	s_delay_alu instid0(SALU_CYCLE_1)
	s_and_not1_b32 vcc_lo, exec_lo, s1
	s_cbranch_vccnz .LBB102_1744
; %bb.1743:
	s_wait_xcnt 0x0
	v_mov_b32_e32 v0, 0
	s_wait_loadcnt 0x0
	global_store_b32 v[2:3], v0, off
.LBB102_1744:
	s_mov_b32 s1, 0
.LBB102_1745:
	s_delay_alu instid0(SALU_CYCLE_1)
	s_and_not1_b32 vcc_lo, exec_lo, s1
	s_cbranch_vccnz .LBB102_1754
; %bb.1746:
	s_sext_i32_i16 s2, s0
	s_mov_b32 s1, -1
	s_cmp_lt_i32 s2, 6
	s_cbranch_scc1 .LBB102_1752
; %bb.1747:
	s_cmp_gt_i32 s2, 6
	s_cbranch_scc0 .LBB102_1749
; %bb.1748:
	s_wait_loadcnt 0x0
	v_mov_b64_e32 v[0:1], 0
	s_mov_b32 s1, 0
	global_store_b64 v[2:3], v[0:1], off
.LBB102_1749:
	s_and_not1_b32 vcc_lo, exec_lo, s1
	s_cbranch_vccnz .LBB102_1751
; %bb.1750:
	s_wait_xcnt 0x0
	v_mov_b32_e32 v0, 0
	s_wait_loadcnt 0x0
	global_store_b32 v[2:3], v0, off
.LBB102_1751:
	s_mov_b32 s1, 0
.LBB102_1752:
	s_delay_alu instid0(SALU_CYCLE_1)
	s_and_not1_b32 vcc_lo, exec_lo, s1
	s_cbranch_vccnz .LBB102_1754
; %bb.1753:
	s_wait_xcnt 0x0
	v_mov_b32_e32 v0, 0
	s_wait_loadcnt 0x0
	global_store_b16 v[2:3], v0, off
.LBB102_1754:
	s_mov_b32 s1, 0
.LBB102_1755:
	s_delay_alu instid0(SALU_CYCLE_1)
	s_and_not1_b32 vcc_lo, exec_lo, s1
	s_cbranch_vccnz .LBB102_1771
; %bb.1756:
	s_sext_i32_i16 s2, s0
	s_mov_b32 s1, -1
	s_cmp_lt_i32 s2, 2
	s_cbranch_scc1 .LBB102_1766
; %bb.1757:
	s_cmp_lt_i32 s2, 3
	s_cbranch_scc1 .LBB102_1763
; %bb.1758:
	s_cmp_gt_i32 s2, 3
	s_cbranch_scc0 .LBB102_1760
; %bb.1759:
	s_wait_loadcnt 0x0
	v_mov_b64_e32 v[0:1], 0
	s_mov_b32 s1, 0
	global_store_b64 v[2:3], v[0:1], off
.LBB102_1760:
	s_and_not1_b32 vcc_lo, exec_lo, s1
	s_cbranch_vccnz .LBB102_1762
; %bb.1761:
	s_wait_xcnt 0x0
	v_mov_b32_e32 v0, 0
	s_wait_loadcnt 0x0
	global_store_b32 v[2:3], v0, off
.LBB102_1762:
	s_mov_b32 s1, 0
.LBB102_1763:
	s_delay_alu instid0(SALU_CYCLE_1)
	s_and_not1_b32 vcc_lo, exec_lo, s1
	s_cbranch_vccnz .LBB102_1765
; %bb.1764:
	s_wait_xcnt 0x0
	v_mov_b32_e32 v0, 0
	s_wait_loadcnt 0x0
	global_store_b16 v[2:3], v0, off
.LBB102_1765:
	s_mov_b32 s1, 0
.LBB102_1766:
	s_delay_alu instid0(SALU_CYCLE_1)
	s_and_not1_b32 vcc_lo, exec_lo, s1
	s_cbranch_vccnz .LBB102_1771
; %bb.1767:
	s_sext_i32_i16 s0, s0
	s_delay_alu instid0(SALU_CYCLE_1)
	s_cmp_gt_i32 s0, 0
	s_mov_b32 s0, -1
	s_cbranch_scc0 .LBB102_1769
; %bb.1768:
	s_wait_xcnt 0x0
	v_mov_b32_e32 v0, 0
	s_mov_b32 s0, 0
	s_wait_loadcnt 0x0
	global_store_b8 v[2:3], v0, off
.LBB102_1769:
	s_and_not1_b32 vcc_lo, exec_lo, s0
	s_cbranch_vccnz .LBB102_1771
; %bb.1770:
	s_wait_xcnt 0x0
	v_mov_b32_e32 v0, 0
	s_wait_loadcnt 0x0
	global_store_b8 v[2:3], v0, off
	s_endpgm
.LBB102_1771:
	s_endpgm
.LBB102_1772:
	s_or_b32 s6, s16, exec_lo
	s_trap 2
	s_cbranch_execz .LBB102_1351
	s_branch .LBB102_1352
.LBB102_1773:
	s_mov_b32 s4, 0
	s_mov_b32 s5, -1
	s_branch .LBB102_1720
.LBB102_1774:
	s_or_b32 s10, s6, exec_lo
	s_trap 2
	s_cbranch_execz .LBB102_1451
	s_branch .LBB102_1452
.LBB102_1775:
	s_or_b32 s9, s9, exec_lo
	s_trap 2
                                        ; implicit-def: $vgpr0
                                        ; implicit-def: $vgpr4
	s_branch .LBB102_918
.LBB102_1776:
	s_or_b32 s10, s10, exec_lo
	s_trap 2
	s_cbranch_execz .LBB102_1541
	s_branch .LBB102_1542
.LBB102_1777:
	s_or_b32 s10, s10, exec_lo
	s_trap 2
	s_cbranch_execz .LBB102_1630
	s_branch .LBB102_1631
.LBB102_1778:
	s_or_b32 s16, s16, exec_lo
	s_trap 2
                                        ; implicit-def: $vgpr0
                                        ; implicit-def: $vgpr4
	s_branch .LBB102_1273
.LBB102_1779:
	s_mov_b32 s4, 0
	s_or_b32 s10, s10, exec_lo
	s_trap 2
	s_branch .LBB102_1718
.LBB102_1780:
	s_or_b32 s6, s6, exec_lo
	s_trap 2
                                        ; implicit-def: $vgpr4
	s_branch .LBB102_1404
	.section	.rodata,"a",@progbits
	.p2align	6, 0x0
	.amdhsa_kernel _ZN2at6native32elementwise_kernel_manual_unrollILi128ELi4EZNS0_15gpu_kernel_implIZZZNS0_12_GLOBAL__N_142_validate_compressed_sparse_indices_kernelILNS3_8CDimNameE1ENS3_18CUDAKernelLauncherENS3_14EmptyVecKernelENS3_8DummyVecELm0EEEvRKNS_6TensorESB_lllENKUlvE0_clEvENKUlvE_clEvEUliE_EEvRNS_18TensorIteratorBaseERKT_EUlibE_EEviT1_
		.amdhsa_group_segment_fixed_size 0
		.amdhsa_private_segment_fixed_size 0
		.amdhsa_kernarg_size 56
		.amdhsa_user_sgpr_count 2
		.amdhsa_user_sgpr_dispatch_ptr 0
		.amdhsa_user_sgpr_queue_ptr 0
		.amdhsa_user_sgpr_kernarg_segment_ptr 1
		.amdhsa_user_sgpr_dispatch_id 0
		.amdhsa_user_sgpr_kernarg_preload_length 0
		.amdhsa_user_sgpr_kernarg_preload_offset 0
		.amdhsa_user_sgpr_private_segment_size 0
		.amdhsa_wavefront_size32 1
		.amdhsa_uses_dynamic_stack 0
		.amdhsa_enable_private_segment 0
		.amdhsa_system_sgpr_workgroup_id_x 1
		.amdhsa_system_sgpr_workgroup_id_y 0
		.amdhsa_system_sgpr_workgroup_id_z 0
		.amdhsa_system_sgpr_workgroup_info 0
		.amdhsa_system_vgpr_workitem_id 0
		.amdhsa_next_free_vgpr 10
		.amdhsa_next_free_sgpr 32
		.amdhsa_named_barrier_count 0
		.amdhsa_reserve_vcc 1
		.amdhsa_float_round_mode_32 0
		.amdhsa_float_round_mode_16_64 0
		.amdhsa_float_denorm_mode_32 3
		.amdhsa_float_denorm_mode_16_64 3
		.amdhsa_fp16_overflow 0
		.amdhsa_memory_ordered 1
		.amdhsa_forward_progress 1
		.amdhsa_inst_pref_size 219
		.amdhsa_round_robin_scheduling 0
		.amdhsa_exception_fp_ieee_invalid_op 0
		.amdhsa_exception_fp_denorm_src 0
		.amdhsa_exception_fp_ieee_div_zero 0
		.amdhsa_exception_fp_ieee_overflow 0
		.amdhsa_exception_fp_ieee_underflow 0
		.amdhsa_exception_fp_ieee_inexact 0
		.amdhsa_exception_int_div_zero 0
	.end_amdhsa_kernel
	.section	.text._ZN2at6native32elementwise_kernel_manual_unrollILi128ELi4EZNS0_15gpu_kernel_implIZZZNS0_12_GLOBAL__N_142_validate_compressed_sparse_indices_kernelILNS3_8CDimNameE1ENS3_18CUDAKernelLauncherENS3_14EmptyVecKernelENS3_8DummyVecELm0EEEvRKNS_6TensorESB_lllENKUlvE0_clEvENKUlvE_clEvEUliE_EEvRNS_18TensorIteratorBaseERKT_EUlibE_EEviT1_,"axG",@progbits,_ZN2at6native32elementwise_kernel_manual_unrollILi128ELi4EZNS0_15gpu_kernel_implIZZZNS0_12_GLOBAL__N_142_validate_compressed_sparse_indices_kernelILNS3_8CDimNameE1ENS3_18CUDAKernelLauncherENS3_14EmptyVecKernelENS3_8DummyVecELm0EEEvRKNS_6TensorESB_lllENKUlvE0_clEvENKUlvE_clEvEUliE_EEvRNS_18TensorIteratorBaseERKT_EUlibE_EEviT1_,comdat
.Lfunc_end102:
	.size	_ZN2at6native32elementwise_kernel_manual_unrollILi128ELi4EZNS0_15gpu_kernel_implIZZZNS0_12_GLOBAL__N_142_validate_compressed_sparse_indices_kernelILNS3_8CDimNameE1ENS3_18CUDAKernelLauncherENS3_14EmptyVecKernelENS3_8DummyVecELm0EEEvRKNS_6TensorESB_lllENKUlvE0_clEvENKUlvE_clEvEUliE_EEvRNS_18TensorIteratorBaseERKT_EUlibE_EEviT1_, .Lfunc_end102-_ZN2at6native32elementwise_kernel_manual_unrollILi128ELi4EZNS0_15gpu_kernel_implIZZZNS0_12_GLOBAL__N_142_validate_compressed_sparse_indices_kernelILNS3_8CDimNameE1ENS3_18CUDAKernelLauncherENS3_14EmptyVecKernelENS3_8DummyVecELm0EEEvRKNS_6TensorESB_lllENKUlvE0_clEvENKUlvE_clEvEUliE_EEvRNS_18TensorIteratorBaseERKT_EUlibE_EEviT1_
                                        ; -- End function
	.set _ZN2at6native32elementwise_kernel_manual_unrollILi128ELi4EZNS0_15gpu_kernel_implIZZZNS0_12_GLOBAL__N_142_validate_compressed_sparse_indices_kernelILNS3_8CDimNameE1ENS3_18CUDAKernelLauncherENS3_14EmptyVecKernelENS3_8DummyVecELm0EEEvRKNS_6TensorESB_lllENKUlvE0_clEvENKUlvE_clEvEUliE_EEvRNS_18TensorIteratorBaseERKT_EUlibE_EEviT1_.num_vgpr, 10
	.set _ZN2at6native32elementwise_kernel_manual_unrollILi128ELi4EZNS0_15gpu_kernel_implIZZZNS0_12_GLOBAL__N_142_validate_compressed_sparse_indices_kernelILNS3_8CDimNameE1ENS3_18CUDAKernelLauncherENS3_14EmptyVecKernelENS3_8DummyVecELm0EEEvRKNS_6TensorESB_lllENKUlvE0_clEvENKUlvE_clEvEUliE_EEvRNS_18TensorIteratorBaseERKT_EUlibE_EEviT1_.num_agpr, 0
	.set _ZN2at6native32elementwise_kernel_manual_unrollILi128ELi4EZNS0_15gpu_kernel_implIZZZNS0_12_GLOBAL__N_142_validate_compressed_sparse_indices_kernelILNS3_8CDimNameE1ENS3_18CUDAKernelLauncherENS3_14EmptyVecKernelENS3_8DummyVecELm0EEEvRKNS_6TensorESB_lllENKUlvE0_clEvENKUlvE_clEvEUliE_EEvRNS_18TensorIteratorBaseERKT_EUlibE_EEviT1_.numbered_sgpr, 32
	.set _ZN2at6native32elementwise_kernel_manual_unrollILi128ELi4EZNS0_15gpu_kernel_implIZZZNS0_12_GLOBAL__N_142_validate_compressed_sparse_indices_kernelILNS3_8CDimNameE1ENS3_18CUDAKernelLauncherENS3_14EmptyVecKernelENS3_8DummyVecELm0EEEvRKNS_6TensorESB_lllENKUlvE0_clEvENKUlvE_clEvEUliE_EEvRNS_18TensorIteratorBaseERKT_EUlibE_EEviT1_.num_named_barrier, 0
	.set _ZN2at6native32elementwise_kernel_manual_unrollILi128ELi4EZNS0_15gpu_kernel_implIZZZNS0_12_GLOBAL__N_142_validate_compressed_sparse_indices_kernelILNS3_8CDimNameE1ENS3_18CUDAKernelLauncherENS3_14EmptyVecKernelENS3_8DummyVecELm0EEEvRKNS_6TensorESB_lllENKUlvE0_clEvENKUlvE_clEvEUliE_EEvRNS_18TensorIteratorBaseERKT_EUlibE_EEviT1_.private_seg_size, 0
	.set _ZN2at6native32elementwise_kernel_manual_unrollILi128ELi4EZNS0_15gpu_kernel_implIZZZNS0_12_GLOBAL__N_142_validate_compressed_sparse_indices_kernelILNS3_8CDimNameE1ENS3_18CUDAKernelLauncherENS3_14EmptyVecKernelENS3_8DummyVecELm0EEEvRKNS_6TensorESB_lllENKUlvE0_clEvENKUlvE_clEvEUliE_EEvRNS_18TensorIteratorBaseERKT_EUlibE_EEviT1_.uses_vcc, 1
	.set _ZN2at6native32elementwise_kernel_manual_unrollILi128ELi4EZNS0_15gpu_kernel_implIZZZNS0_12_GLOBAL__N_142_validate_compressed_sparse_indices_kernelILNS3_8CDimNameE1ENS3_18CUDAKernelLauncherENS3_14EmptyVecKernelENS3_8DummyVecELm0EEEvRKNS_6TensorESB_lllENKUlvE0_clEvENKUlvE_clEvEUliE_EEvRNS_18TensorIteratorBaseERKT_EUlibE_EEviT1_.uses_flat_scratch, 0
	.set _ZN2at6native32elementwise_kernel_manual_unrollILi128ELi4EZNS0_15gpu_kernel_implIZZZNS0_12_GLOBAL__N_142_validate_compressed_sparse_indices_kernelILNS3_8CDimNameE1ENS3_18CUDAKernelLauncherENS3_14EmptyVecKernelENS3_8DummyVecELm0EEEvRKNS_6TensorESB_lllENKUlvE0_clEvENKUlvE_clEvEUliE_EEvRNS_18TensorIteratorBaseERKT_EUlibE_EEviT1_.has_dyn_sized_stack, 0
	.set _ZN2at6native32elementwise_kernel_manual_unrollILi128ELi4EZNS0_15gpu_kernel_implIZZZNS0_12_GLOBAL__N_142_validate_compressed_sparse_indices_kernelILNS3_8CDimNameE1ENS3_18CUDAKernelLauncherENS3_14EmptyVecKernelENS3_8DummyVecELm0EEEvRKNS_6TensorESB_lllENKUlvE0_clEvENKUlvE_clEvEUliE_EEvRNS_18TensorIteratorBaseERKT_EUlibE_EEviT1_.has_recursion, 0
	.set _ZN2at6native32elementwise_kernel_manual_unrollILi128ELi4EZNS0_15gpu_kernel_implIZZZNS0_12_GLOBAL__N_142_validate_compressed_sparse_indices_kernelILNS3_8CDimNameE1ENS3_18CUDAKernelLauncherENS3_14EmptyVecKernelENS3_8DummyVecELm0EEEvRKNS_6TensorESB_lllENKUlvE0_clEvENKUlvE_clEvEUliE_EEvRNS_18TensorIteratorBaseERKT_EUlibE_EEviT1_.has_indirect_call, 0
	.section	.AMDGPU.csdata,"",@progbits
; Kernel info:
; codeLenInByte = 28000
; TotalNumSgprs: 34
; NumVgprs: 10
; ScratchSize: 0
; MemoryBound: 1
; FloatMode: 240
; IeeeMode: 1
; LDSByteSize: 0 bytes/workgroup (compile time only)
; SGPRBlocks: 0
; VGPRBlocks: 0
; NumSGPRsForWavesPerEU: 34
; NumVGPRsForWavesPerEU: 10
; NamedBarCnt: 0
; Occupancy: 16
; WaveLimiterHint : 0
; COMPUTE_PGM_RSRC2:SCRATCH_EN: 0
; COMPUTE_PGM_RSRC2:USER_SGPR: 2
; COMPUTE_PGM_RSRC2:TRAP_HANDLER: 0
; COMPUTE_PGM_RSRC2:TGID_X_EN: 1
; COMPUTE_PGM_RSRC2:TGID_Y_EN: 0
; COMPUTE_PGM_RSRC2:TGID_Z_EN: 0
; COMPUTE_PGM_RSRC2:TIDIG_COMP_CNT: 0
	.section	.text._ZN2at6native32elementwise_kernel_manual_unrollILi128ELi4EZNS0_15gpu_kernel_implIZZZNS0_12_GLOBAL__N_142_validate_compressed_sparse_indices_kernelILNS3_8CDimNameE1ENS3_18CUDAKernelLauncherENS3_14EmptyVecKernelENS3_8DummyVecELm0EEEvRKNS_6TensorESB_lllENKUlvE0_clEvENKUlvE_clEvEUliE_EEvRNS_18TensorIteratorBaseERKT_EUlibE0_EEviT1_,"axG",@progbits,_ZN2at6native32elementwise_kernel_manual_unrollILi128ELi4EZNS0_15gpu_kernel_implIZZZNS0_12_GLOBAL__N_142_validate_compressed_sparse_indices_kernelILNS3_8CDimNameE1ENS3_18CUDAKernelLauncherENS3_14EmptyVecKernelENS3_8DummyVecELm0EEEvRKNS_6TensorESB_lllENKUlvE0_clEvENKUlvE_clEvEUliE_EEvRNS_18TensorIteratorBaseERKT_EUlibE0_EEviT1_,comdat
	.globl	_ZN2at6native32elementwise_kernel_manual_unrollILi128ELi4EZNS0_15gpu_kernel_implIZZZNS0_12_GLOBAL__N_142_validate_compressed_sparse_indices_kernelILNS3_8CDimNameE1ENS3_18CUDAKernelLauncherENS3_14EmptyVecKernelENS3_8DummyVecELm0EEEvRKNS_6TensorESB_lllENKUlvE0_clEvENKUlvE_clEvEUliE_EEvRNS_18TensorIteratorBaseERKT_EUlibE0_EEviT1_ ; -- Begin function _ZN2at6native32elementwise_kernel_manual_unrollILi128ELi4EZNS0_15gpu_kernel_implIZZZNS0_12_GLOBAL__N_142_validate_compressed_sparse_indices_kernelILNS3_8CDimNameE1ENS3_18CUDAKernelLauncherENS3_14EmptyVecKernelENS3_8DummyVecELm0EEEvRKNS_6TensorESB_lllENKUlvE0_clEvENKUlvE_clEvEUliE_EEvRNS_18TensorIteratorBaseERKT_EUlibE0_EEviT1_
	.p2align	8
	.type	_ZN2at6native32elementwise_kernel_manual_unrollILi128ELi4EZNS0_15gpu_kernel_implIZZZNS0_12_GLOBAL__N_142_validate_compressed_sparse_indices_kernelILNS3_8CDimNameE1ENS3_18CUDAKernelLauncherENS3_14EmptyVecKernelENS3_8DummyVecELm0EEEvRKNS_6TensorESB_lllENKUlvE0_clEvENKUlvE_clEvEUliE_EEvRNS_18TensorIteratorBaseERKT_EUlibE0_EEviT1_,@function
_ZN2at6native32elementwise_kernel_manual_unrollILi128ELi4EZNS0_15gpu_kernel_implIZZZNS0_12_GLOBAL__N_142_validate_compressed_sparse_indices_kernelILNS3_8CDimNameE1ENS3_18CUDAKernelLauncherENS3_14EmptyVecKernelENS3_8DummyVecELm0EEEvRKNS_6TensorESB_lllENKUlvE0_clEvENKUlvE_clEvEUliE_EEvRNS_18TensorIteratorBaseERKT_EUlibE0_EEviT1_: ; @_ZN2at6native32elementwise_kernel_manual_unrollILi128ELi4EZNS0_15gpu_kernel_implIZZZNS0_12_GLOBAL__N_142_validate_compressed_sparse_indices_kernelILNS3_8CDimNameE1ENS3_18CUDAKernelLauncherENS3_14EmptyVecKernelENS3_8DummyVecELm0EEEvRKNS_6TensorESB_lllENKUlvE0_clEvENKUlvE_clEvEUliE_EEvRNS_18TensorIteratorBaseERKT_EUlibE0_EEviT1_
; %bb.0:
	s_clause 0x1
	s_load_b32 s28, s[0:1], 0x8
	s_load_b32 s39, s[0:1], 0x0
	s_bfe_u32 s2, ttmp6, 0x4000c
	s_and_b32 s3, ttmp6, 15
	s_add_co_i32 s2, s2, 1
	s_getreg_b32 s4, hwreg(HW_REG_IB_STS2, 6, 4)
	s_mul_i32 s2, ttmp9, s2
	s_mov_b32 s30, 0
	s_add_co_i32 s3, s3, s2
	s_cmp_eq_u32 s4, 0
	s_mov_b32 s22, -1
	s_cselect_b32 s2, ttmp9, s3
	s_mov_b32 s10, 0
	v_lshl_or_b32 v0, s2, 9, v0
	s_add_nc_u64 s[2:3], s[0:1], 8
	s_wait_xcnt 0x0
	s_mov_b32 s0, exec_lo
	s_delay_alu instid0(VALU_DEP_1) | instskip(SKIP_2) | instid1(SALU_CYCLE_1)
	v_or_b32_e32 v9, 0x180, v0
	s_wait_kmcnt 0x0
	s_add_co_i32 s29, s28, -1
	s_cmp_gt_u32 s29, 1
	s_cselect_b32 s31, -1, 0
	v_cmpx_le_i32_e64 s39, v9
	s_xor_b32 s33, exec_lo, s0
	s_cbranch_execz .LBB103_959
; %bb.1:
	s_clause 0x6
	s_load_b128 s[8:11], s[2:3], 0x4
	s_load_b32 s34, s[2:3], 0x168
	s_load_b64 s[0:1], s[2:3], 0x14
	s_load_b32 s35, s[2:3], 0x158
	s_load_b32 s36, s[2:3], 0x160
	s_load_b128 s[12:15], s[2:3], 0xc4
	s_load_b128 s[4:7], s[2:3], 0x148
	s_cmp_lg_u32 s28, 0
	s_get_pc_i64 s[24:25]
	s_add_nc_u64 s[24:25], s[24:25], .str.5@rel64+4
	s_cselect_b32 s41, -1, 0
	s_min_u32 s40, s29, 15
	s_cmp_gt_u32 s28, 1
	s_mov_b32 s17, 0
	s_cselect_b32 s38, -1, 0
	s_add_nc_u64 s[20:21], s[2:3], 0xc4
	s_mov_b32 s19, s17
	s_mov_b32 s44, s17
	;; [unrolled: 1-line block ×4, first 2 shown]
	s_mov_b32 s45, exec_lo
	s_wait_kmcnt 0x0
	s_mov_b32 s16, s9
	s_bfe_u32 s37, s34, 0x80008
	s_cmp_lg_u64 s[24:25], 0
	s_mov_b32 s18, s0
	s_cselect_b32 s9, -1, 0
	v_cmpx_gt_i32_e64 s39, v0
	s_cbranch_execz .LBB103_236
; %bb.2:
	s_and_not1_b32 vcc_lo, exec_lo, s31
	s_cbranch_vccnz .LBB103_8
; %bb.3:
	s_and_not1_b32 vcc_lo, exec_lo, s41
	s_cbranch_vccnz .LBB103_9
; %bb.4:
	s_add_co_i32 s0, s40, 1
	s_cmp_eq_u32 s29, 2
	s_cbranch_scc1 .LBB103_10
; %bb.5:
	v_dual_mov_b32 v2, 0 :: v_dual_mov_b32 v4, 0
	v_mov_b32_e32 v1, v0
	s_and_b32 s22, s0, 28
	s_mov_b32 s23, 0
	s_mov_b64 s[24:25], s[2:3]
	s_mov_b64 s[26:27], s[20:21]
.LBB103_6:                              ; =>This Inner Loop Header: Depth=1
	s_clause 0x1
	s_load_b256 s[48:55], s[24:25], 0x4
	s_load_b128 s[64:67], s[24:25], 0x24
	s_load_b256 s[56:63], s[26:27], 0x0
	s_add_co_i32 s23, s23, 4
	s_wait_xcnt 0x0
	s_add_nc_u64 s[24:25], s[24:25], 48
	s_cmp_lg_u32 s22, s23
	s_add_nc_u64 s[26:27], s[26:27], 32
	s_wait_kmcnt 0x0
	v_mul_hi_u32 v3, s49, v1
	s_delay_alu instid0(VALU_DEP_1) | instskip(NEXT) | instid1(VALU_DEP_1)
	v_add_nc_u32_e32 v3, v1, v3
	v_lshrrev_b32_e32 v3, s50, v3
	s_delay_alu instid0(VALU_DEP_1) | instskip(NEXT) | instid1(VALU_DEP_1)
	v_mul_hi_u32 v5, s52, v3
	v_add_nc_u32_e32 v5, v3, v5
	s_delay_alu instid0(VALU_DEP_1) | instskip(NEXT) | instid1(VALU_DEP_1)
	v_lshrrev_b32_e32 v5, s53, v5
	v_mul_hi_u32 v6, s55, v5
	s_delay_alu instid0(VALU_DEP_1) | instskip(SKIP_1) | instid1(VALU_DEP_1)
	v_add_nc_u32_e32 v6, v5, v6
	v_mul_lo_u32 v7, v3, s48
	v_sub_nc_u32_e32 v1, v1, v7
	v_mul_lo_u32 v7, v5, s51
	s_delay_alu instid0(VALU_DEP_4) | instskip(NEXT) | instid1(VALU_DEP_3)
	v_lshrrev_b32_e32 v6, s64, v6
	v_mad_u32 v4, v1, s57, v4
	v_mad_u32 v1, v1, s56, v2
	s_delay_alu instid0(VALU_DEP_4) | instskip(NEXT) | instid1(VALU_DEP_4)
	v_sub_nc_u32_e32 v2, v3, v7
	v_mul_hi_u32 v8, s66, v6
	v_mul_lo_u32 v3, v6, s54
	s_delay_alu instid0(VALU_DEP_3) | instskip(SKIP_1) | instid1(VALU_DEP_3)
	v_mad_u32 v4, v2, s59, v4
	v_mad_u32 v2, v2, s58, v1
	v_dual_add_nc_u32 v7, v6, v8 :: v_dual_sub_nc_u32 v3, v5, v3
	s_delay_alu instid0(VALU_DEP_1) | instskip(NEXT) | instid1(VALU_DEP_2)
	v_lshrrev_b32_e32 v1, s67, v7
	v_mad_u32 v4, v3, s61, v4
	s_delay_alu instid0(VALU_DEP_4) | instskip(NEXT) | instid1(VALU_DEP_3)
	v_mad_u32 v2, v3, s60, v2
	v_mul_lo_u32 v5, v1, s65
	s_delay_alu instid0(VALU_DEP_1) | instskip(NEXT) | instid1(VALU_DEP_1)
	v_sub_nc_u32_e32 v3, v6, v5
	v_mad_u32 v4, v3, s63, v4
	s_delay_alu instid0(VALU_DEP_4)
	v_mad_u32 v2, v3, s62, v2
	s_cbranch_scc1 .LBB103_6
; %bb.7:
	s_delay_alu instid0(VALU_DEP_2)
	v_mov_b32_e32 v3, v4
	s_and_b32 s0, s0, 3
	s_mov_b32 s23, 0
	s_cmp_eq_u32 s0, 0
	s_cbranch_scc0 .LBB103_11
	s_branch .LBB103_14
.LBB103_8:
                                        ; implicit-def: $vgpr4
                                        ; implicit-def: $vgpr2
	s_branch .LBB103_15
.LBB103_9:
	v_dual_mov_b32 v4, 0 :: v_dual_mov_b32 v2, 0
	s_branch .LBB103_14
.LBB103_10:
	v_mov_b64_e32 v[2:3], 0
	v_mov_b32_e32 v1, v0
	s_mov_b32 s22, 0
                                        ; implicit-def: $vgpr4
	s_and_b32 s0, s0, 3
	s_mov_b32 s23, 0
	s_cmp_eq_u32 s0, 0
	s_cbranch_scc1 .LBB103_14
.LBB103_11:
	s_lshl_b32 s24, s22, 3
	s_mov_b32 s25, s23
	s_mul_u64 s[26:27], s[22:23], 12
	s_add_nc_u64 s[24:25], s[2:3], s[24:25]
	s_delay_alu instid0(SALU_CYCLE_1)
	s_add_nc_u64 s[22:23], s[24:25], 0xc4
	s_add_nc_u64 s[24:25], s[2:3], s[26:27]
.LBB103_12:                             ; =>This Inner Loop Header: Depth=1
	s_load_b96 s[48:50], s[24:25], 0x4
	s_load_b64 s[26:27], s[22:23], 0x0
	s_add_co_i32 s0, s0, -1
	s_wait_xcnt 0x0
	s_add_nc_u64 s[24:25], s[24:25], 12
	s_cmp_lg_u32 s0, 0
	s_add_nc_u64 s[22:23], s[22:23], 8
	s_wait_kmcnt 0x0
	v_mul_hi_u32 v4, s49, v1
	s_delay_alu instid0(VALU_DEP_1) | instskip(NEXT) | instid1(VALU_DEP_1)
	v_add_nc_u32_e32 v4, v1, v4
	v_lshrrev_b32_e32 v4, s50, v4
	s_delay_alu instid0(VALU_DEP_1) | instskip(NEXT) | instid1(VALU_DEP_1)
	v_mul_lo_u32 v5, v4, s48
	v_sub_nc_u32_e32 v1, v1, v5
	s_delay_alu instid0(VALU_DEP_1)
	v_mad_u32 v3, v1, s27, v3
	v_mad_u32 v2, v1, s26, v2
	v_mov_b32_e32 v1, v4
	s_cbranch_scc1 .LBB103_12
; %bb.13:
	s_delay_alu instid0(VALU_DEP_3)
	v_mov_b32_e32 v4, v3
.LBB103_14:
	s_cbranch_execnz .LBB103_17
.LBB103_15:
	v_mov_b32_e32 v1, 0
	s_and_not1_b32 vcc_lo, exec_lo, s38
	s_delay_alu instid0(VALU_DEP_1) | instskip(NEXT) | instid1(VALU_DEP_1)
	v_mul_u64_e32 v[2:3], s[16:17], v[0:1]
	v_add_nc_u32_e32 v2, v0, v3
	s_delay_alu instid0(VALU_DEP_1) | instskip(NEXT) | instid1(VALU_DEP_1)
	v_lshrrev_b32_e32 v6, s10, v2
	v_mul_lo_u32 v2, v6, s8
	s_delay_alu instid0(VALU_DEP_1) | instskip(NEXT) | instid1(VALU_DEP_1)
	v_sub_nc_u32_e32 v2, v0, v2
	v_mul_lo_u32 v4, v2, s13
	v_mul_lo_u32 v2, v2, s12
	s_cbranch_vccnz .LBB103_17
; %bb.16:
	v_mov_b32_e32 v7, v1
	s_delay_alu instid0(VALU_DEP_1) | instskip(NEXT) | instid1(VALU_DEP_1)
	v_mul_u64_e32 v[8:9], s[18:19], v[6:7]
	v_add_nc_u32_e32 v1, v6, v9
	s_delay_alu instid0(VALU_DEP_1) | instskip(NEXT) | instid1(VALU_DEP_1)
	v_lshrrev_b32_e32 v1, s1, v1
	v_mul_lo_u32 v1, v1, s11
	s_delay_alu instid0(VALU_DEP_1) | instskip(NEXT) | instid1(VALU_DEP_1)
	v_sub_nc_u32_e32 v1, v6, v1
	v_mad_u32 v2, v1, s14, v2
	v_mad_u32 v4, v1, s15, v4
.LBB103_17:
	v_mov_b32_e32 v5, 0
	s_and_b32 s0, 0xffff, s37
	s_delay_alu instid0(SALU_CYCLE_1) | instskip(NEXT) | instid1(VALU_DEP_1)
	s_cmp_lt_i32 s0, 11
	v_add_nc_u64_e32 v[4:5], s[6:7], v[4:5]
	s_cbranch_scc1 .LBB103_24
; %bb.18:
	s_cmp_gt_i32 s0, 25
	s_cbranch_scc0 .LBB103_34
; %bb.19:
	s_cmp_gt_i32 s0, 28
	s_cbranch_scc0 .LBB103_38
	;; [unrolled: 3-line block ×4, first 2 shown]
; %bb.22:
	s_cmp_eq_u32 s0, 46
	s_mov_b32 s24, 0
	s_cbranch_scc0 .LBB103_44
; %bb.23:
	global_load_b32 v1, v[4:5], off
	s_mov_b32 s23, -1
	s_mov_b32 s22, 0
	s_wait_loadcnt 0x0
	v_lshlrev_b32_e32 v1, 16, v1
	s_delay_alu instid0(VALU_DEP_1)
	v_cvt_i32_f32_e32 v1, v1
	s_branch .LBB103_46
.LBB103_24:
	s_mov_b32 s22, 0
	s_mov_b32 s23, 0
                                        ; implicit-def: $vgpr1
	s_cbranch_execnz .LBB103_106
.LBB103_25:
	s_and_not1_b32 vcc_lo, exec_lo, s23
	s_cbranch_vccnz .LBB103_153
.LBB103_26:
	s_wait_loadcnt 0x0
	s_delay_alu instid0(VALU_DEP_1)
	v_cmp_le_i32_e32 vcc_lo, s35, v1
	v_cmp_gt_i32_e64 s0, s36, v1
	s_mov_b32 s24, -1
	s_mov_b32 s23, 0
	s_mov_b32 s25, 0
	s_and_b32 s0, vcc_lo, s0
	s_delay_alu instid0(SALU_CYCLE_1) | instskip(NEXT) | instid1(SALU_CYCLE_1)
	s_and_b32 s26, s9, s0
	s_and_saveexec_b32 s0, s26
	s_cbranch_execz .LBB103_234
; %bb.27:
	v_mov_b32_e32 v3, 0
	s_and_b32 s24, s34, 0xff
	s_delay_alu instid0(SALU_CYCLE_1) | instskip(NEXT) | instid1(VALU_DEP_1)
	s_cmp_lt_i32 s24, 11
	v_add_nc_u64_e32 v[2:3], s[4:5], v[2:3]
	s_cbranch_scc1 .LBB103_35
; %bb.28:
	s_and_b32 s25, 0xffff, s24
	s_delay_alu instid0(SALU_CYCLE_1)
	s_cmp_gt_i32 s25, 25
	s_cbranch_scc0 .LBB103_39
; %bb.29:
	s_cmp_gt_i32 s25, 28
	s_cbranch_scc0 .LBB103_41
; %bb.30:
	;; [unrolled: 3-line block ×4, first 2 shown]
	s_mov_b32 s27, 0
	s_mov_b32 s23, -1
	s_cmp_eq_u32 s25, 46
	s_mov_b32 s26, 0
	s_cbranch_scc0 .LBB103_155
; %bb.33:
	v_mov_b32_e32 v1, 0
	s_mov_b32 s26, -1
	s_mov_b32 s23, 0
	global_store_b32 v[2:3], v1, off
	s_branch .LBB103_155
.LBB103_34:
	s_mov_b32 s22, 0
	s_mov_b32 s23, 0
                                        ; implicit-def: $vgpr1
	s_cbranch_execnz .LBB103_73
	s_branch .LBB103_105
.LBB103_35:
	s_mov_b32 s26, 0
	s_cbranch_execnz .LBB103_194
.LBB103_36:
	s_and_not1_b32 vcc_lo, exec_lo, s26
	s_cbranch_vccnz .LBB103_232
.LBB103_37:
	v_add_nc_u32_e32 v0, 0x80, v0
	s_mov_b32 s26, -1
	s_branch .LBB103_233
.LBB103_38:
	s_mov_b32 s24, -1
	s_mov_b32 s22, 0
	s_mov_b32 s23, 0
                                        ; implicit-def: $vgpr1
	s_branch .LBB103_56
.LBB103_39:
	s_mov_b32 s27, -1
	s_mov_b32 s26, 0
	s_branch .LBB103_174
.LBB103_40:
	s_mov_b32 s24, -1
	s_mov_b32 s22, 0
	s_mov_b32 s23, 0
                                        ; implicit-def: $vgpr1
	s_branch .LBB103_51
.LBB103_41:
	s_mov_b32 s27, -1
	s_mov_b32 s26, 0
	s_branch .LBB103_163
.LBB103_42:
	s_mov_b32 s24, -1
	s_mov_b32 s22, 0
	s_branch .LBB103_45
.LBB103_43:
	s_mov_b32 s27, -1
	s_mov_b32 s26, 0
	s_branch .LBB103_159
.LBB103_44:
	s_mov_b32 s22, -1
.LBB103_45:
	s_mov_b32 s23, 0
                                        ; implicit-def: $vgpr1
.LBB103_46:
	s_and_b32 vcc_lo, exec_lo, s24
	s_cbranch_vccz .LBB103_50
; %bb.47:
	s_cmp_eq_u32 s0, 44
	s_cbranch_scc0 .LBB103_49
; %bb.48:
	global_load_u8 v1, v[4:5], off
	s_mov_b32 s22, 0
	s_mov_b32 s23, -1
	s_wait_loadcnt 0x0
	v_lshlrev_b32_e32 v3, 23, v1
	v_cmp_ne_u32_e32 vcc_lo, 0, v1
	s_delay_alu instid0(VALU_DEP_2) | instskip(NEXT) | instid1(VALU_DEP_1)
	v_cvt_i32_f32_e32 v3, v3
	v_cndmask_b32_e32 v1, 0, v3, vcc_lo
	s_branch .LBB103_50
.LBB103_49:
	s_mov_b32 s22, -1
                                        ; implicit-def: $vgpr1
.LBB103_50:
	s_mov_b32 s24, 0
.LBB103_51:
	s_delay_alu instid0(SALU_CYCLE_1)
	s_and_b32 vcc_lo, exec_lo, s24
	s_cbranch_vccz .LBB103_55
; %bb.52:
	s_cmp_eq_u32 s0, 29
	s_cbranch_scc0 .LBB103_54
; %bb.53:
	global_load_b32 v1, v[4:5], off
	s_mov_b32 s23, -1
	s_mov_b32 s22, 0
	s_branch .LBB103_55
.LBB103_54:
	s_mov_b32 s22, -1
                                        ; implicit-def: $vgpr1
.LBB103_55:
	s_mov_b32 s24, 0
.LBB103_56:
	s_delay_alu instid0(SALU_CYCLE_1)
	s_and_b32 vcc_lo, exec_lo, s24
	s_cbranch_vccz .LBB103_72
; %bb.57:
	s_cmp_lt_i32 s0, 27
	s_cbranch_scc1 .LBB103_60
; %bb.58:
	s_cmp_gt_i32 s0, 27
	s_cbranch_scc0 .LBB103_61
; %bb.59:
	s_wait_loadcnt 0x0
	global_load_b32 v1, v[4:5], off
	s_mov_b32 s23, 0
	s_branch .LBB103_62
.LBB103_60:
	s_mov_b32 s23, -1
                                        ; implicit-def: $vgpr1
	s_branch .LBB103_65
.LBB103_61:
	s_mov_b32 s23, -1
                                        ; implicit-def: $vgpr1
.LBB103_62:
	s_delay_alu instid0(SALU_CYCLE_1)
	s_and_not1_b32 vcc_lo, exec_lo, s23
	s_cbranch_vccnz .LBB103_64
; %bb.63:
	s_wait_loadcnt 0x0
	global_load_u16 v1, v[4:5], off
.LBB103_64:
	s_mov_b32 s23, 0
.LBB103_65:
	s_delay_alu instid0(SALU_CYCLE_1)
	s_and_not1_b32 vcc_lo, exec_lo, s23
	s_cbranch_vccnz .LBB103_71
; %bb.66:
	global_load_u8 v3, v[4:5], off
	s_mov_b32 s24, 0
	s_mov_b32 s23, exec_lo
	s_wait_loadcnt 0x0
	v_cmpx_lt_i16_e32 0x7f, v3
	s_xor_b32 s23, exec_lo, s23
	s_cbranch_execz .LBB103_82
; %bb.67:
	v_cmp_ne_u16_e32 vcc_lo, 0x80, v3
	s_and_b32 s24, vcc_lo, exec_lo
	s_and_not1_saveexec_b32 s23, s23
	s_cbranch_execnz .LBB103_83
.LBB103_68:
	s_or_b32 exec_lo, exec_lo, s23
	v_mov_b32_e32 v1, 0
	s_and_saveexec_b32 s23, s24
	s_cbranch_execz .LBB103_70
.LBB103_69:
	v_and_b32_e32 v1, 0xffff, v3
	s_delay_alu instid0(VALU_DEP_1) | instskip(SKIP_1) | instid1(VALU_DEP_2)
	v_and_b32_e32 v6, 7, v1
	v_bfe_u32 v9, v1, 3, 4
	v_clz_i32_u32_e32 v7, v6
	s_delay_alu instid0(VALU_DEP_2) | instskip(NEXT) | instid1(VALU_DEP_2)
	v_cmp_eq_u32_e32 vcc_lo, 0, v9
	v_min_u32_e32 v7, 32, v7
	s_delay_alu instid0(VALU_DEP_1) | instskip(NEXT) | instid1(VALU_DEP_1)
	v_subrev_nc_u32_e32 v8, 28, v7
	v_dual_lshlrev_b32 v1, v8, v1 :: v_dual_sub_nc_u32 v7, 29, v7
	s_delay_alu instid0(VALU_DEP_1) | instskip(NEXT) | instid1(VALU_DEP_1)
	v_dual_lshlrev_b32 v3, 24, v3 :: v_dual_bitop2_b32 v1, 7, v1 bitop3:0x40
	v_dual_cndmask_b32 v1, v6, v1, vcc_lo :: v_dual_cndmask_b32 v7, v9, v7, vcc_lo
	s_delay_alu instid0(VALU_DEP_2) | instskip(NEXT) | instid1(VALU_DEP_2)
	v_and_b32_e32 v3, 0x80000000, v3
	v_lshlrev_b32_e32 v1, 20, v1
	s_delay_alu instid0(VALU_DEP_3) | instskip(NEXT) | instid1(VALU_DEP_1)
	v_lshl_add_u32 v6, v7, 23, 0x3b800000
	v_or3_b32 v1, v3, v6, v1
	s_delay_alu instid0(VALU_DEP_1)
	v_cvt_i32_f32_e32 v1, v1
.LBB103_70:
	s_or_b32 exec_lo, exec_lo, s23
.LBB103_71:
	s_mov_b32 s23, -1
.LBB103_72:
	s_branch .LBB103_105
.LBB103_73:
	s_cmp_gt_i32 s0, 22
	s_cbranch_scc0 .LBB103_81
; %bb.74:
	s_cmp_lt_i32 s0, 24
	s_cbranch_scc1 .LBB103_84
; %bb.75:
	s_cmp_gt_i32 s0, 24
	s_cbranch_scc0 .LBB103_85
; %bb.76:
	global_load_u8 v3, v[4:5], off
	s_mov_b32 s24, 0
	s_mov_b32 s23, exec_lo
	s_wait_loadcnt 0x0
	v_cmpx_lt_i16_e32 0x7f, v3
	s_xor_b32 s23, exec_lo, s23
	s_cbranch_execz .LBB103_97
; %bb.77:
	v_cmp_ne_u16_e32 vcc_lo, 0x80, v3
	s_and_b32 s24, vcc_lo, exec_lo
	s_and_not1_saveexec_b32 s23, s23
	s_cbranch_execnz .LBB103_98
.LBB103_78:
	s_or_b32 exec_lo, exec_lo, s23
	v_mov_b32_e32 v1, 0
	s_and_saveexec_b32 s23, s24
	s_cbranch_execz .LBB103_80
.LBB103_79:
	v_and_b32_e32 v1, 0xffff, v3
	s_delay_alu instid0(VALU_DEP_1) | instskip(SKIP_1) | instid1(VALU_DEP_2)
	v_and_b32_e32 v6, 3, v1
	v_bfe_u32 v9, v1, 2, 5
	v_clz_i32_u32_e32 v7, v6
	s_delay_alu instid0(VALU_DEP_2) | instskip(NEXT) | instid1(VALU_DEP_2)
	v_cmp_eq_u32_e32 vcc_lo, 0, v9
	v_min_u32_e32 v7, 32, v7
	s_delay_alu instid0(VALU_DEP_1) | instskip(NEXT) | instid1(VALU_DEP_1)
	v_subrev_nc_u32_e32 v8, 29, v7
	v_dual_lshlrev_b32 v1, v8, v1 :: v_dual_sub_nc_u32 v7, 30, v7
	s_delay_alu instid0(VALU_DEP_1) | instskip(NEXT) | instid1(VALU_DEP_1)
	v_dual_lshlrev_b32 v3, 24, v3 :: v_dual_bitop2_b32 v1, 3, v1 bitop3:0x40
	v_dual_cndmask_b32 v1, v6, v1, vcc_lo :: v_dual_cndmask_b32 v7, v9, v7, vcc_lo
	s_delay_alu instid0(VALU_DEP_2) | instskip(NEXT) | instid1(VALU_DEP_2)
	v_and_b32_e32 v3, 0x80000000, v3
	v_lshlrev_b32_e32 v1, 21, v1
	s_delay_alu instid0(VALU_DEP_3) | instskip(NEXT) | instid1(VALU_DEP_1)
	v_lshl_add_u32 v6, v7, 23, 0x37800000
	v_or3_b32 v1, v3, v6, v1
	s_delay_alu instid0(VALU_DEP_1)
	v_cvt_i32_f32_e32 v1, v1
.LBB103_80:
	s_or_b32 exec_lo, exec_lo, s23
	s_mov_b32 s23, 0
	s_branch .LBB103_86
.LBB103_81:
	s_mov_b32 s24, -1
                                        ; implicit-def: $vgpr1
	s_branch .LBB103_92
.LBB103_82:
	s_and_not1_saveexec_b32 s23, s23
	s_cbranch_execz .LBB103_68
.LBB103_83:
	v_cmp_ne_u16_e32 vcc_lo, 0, v3
	s_and_not1_b32 s24, s24, exec_lo
	s_and_b32 s25, vcc_lo, exec_lo
	s_delay_alu instid0(SALU_CYCLE_1)
	s_or_b32 s24, s24, s25
	s_or_b32 exec_lo, exec_lo, s23
	v_mov_b32_e32 v1, 0
	s_and_saveexec_b32 s23, s24
	s_cbranch_execnz .LBB103_69
	s_branch .LBB103_70
.LBB103_84:
	s_mov_b32 s23, -1
                                        ; implicit-def: $vgpr1
	s_branch .LBB103_89
.LBB103_85:
	s_mov_b32 s23, -1
                                        ; implicit-def: $vgpr1
.LBB103_86:
	s_delay_alu instid0(SALU_CYCLE_1)
	s_and_b32 vcc_lo, exec_lo, s23
	s_cbranch_vccz .LBB103_88
; %bb.87:
	s_wait_loadcnt 0x0
	global_load_u8 v1, v[4:5], off
	s_wait_loadcnt 0x0
	v_lshlrev_b32_e32 v1, 24, v1
	s_delay_alu instid0(VALU_DEP_1) | instskip(NEXT) | instid1(VALU_DEP_1)
	v_and_b32_e32 v3, 0x7f000000, v1
	v_clz_i32_u32_e32 v6, v3
	v_cmp_ne_u32_e32 vcc_lo, 0, v3
	v_add_nc_u32_e32 v8, 0x1000000, v3
	s_delay_alu instid0(VALU_DEP_3) | instskip(NEXT) | instid1(VALU_DEP_1)
	v_min_u32_e32 v6, 32, v6
	v_sub_nc_u32_e64 v6, v6, 4 clamp
	s_delay_alu instid0(VALU_DEP_1) | instskip(NEXT) | instid1(VALU_DEP_1)
	v_dual_lshlrev_b32 v7, v6, v3 :: v_dual_lshlrev_b32 v6, 23, v6
	v_lshrrev_b32_e32 v7, 4, v7
	s_delay_alu instid0(VALU_DEP_1) | instskip(NEXT) | instid1(VALU_DEP_1)
	v_dual_sub_nc_u32 v6, v7, v6 :: v_dual_ashrrev_i32 v7, 8, v8
	v_add_nc_u32_e32 v6, 0x3c000000, v6
	s_delay_alu instid0(VALU_DEP_1) | instskip(NEXT) | instid1(VALU_DEP_1)
	v_and_or_b32 v6, 0x7f800000, v7, v6
	v_cndmask_b32_e32 v3, 0, v6, vcc_lo
	s_delay_alu instid0(VALU_DEP_1) | instskip(NEXT) | instid1(VALU_DEP_1)
	v_and_or_b32 v1, 0x80000000, v1, v3
	v_cvt_i32_f32_e32 v1, v1
.LBB103_88:
	s_mov_b32 s23, 0
.LBB103_89:
	s_delay_alu instid0(SALU_CYCLE_1)
	s_and_not1_b32 vcc_lo, exec_lo, s23
	s_cbranch_vccnz .LBB103_91
; %bb.90:
	s_wait_loadcnt 0x0
	global_load_u8 v1, v[4:5], off
	s_wait_loadcnt 0x0
	v_lshlrev_b32_e32 v3, 25, v1
	v_lshlrev_b16 v1, 8, v1
	s_delay_alu instid0(VALU_DEP_1) | instskip(SKIP_1) | instid1(VALU_DEP_2)
	v_and_or_b32 v7, 0x7f00, v1, 0.5
	v_bfe_i32 v1, v1, 0, 16
	v_add_f32_e32 v7, -0.5, v7
	v_lshrrev_b32_e32 v6, 4, v3
	v_cmp_gt_u32_e32 vcc_lo, 0x8000000, v3
	s_delay_alu instid0(VALU_DEP_2) | instskip(NEXT) | instid1(VALU_DEP_1)
	v_or_b32_e32 v6, 0x70000000, v6
	v_mul_f32_e32 v6, 0x7800000, v6
	s_delay_alu instid0(VALU_DEP_1) | instskip(NEXT) | instid1(VALU_DEP_1)
	v_cndmask_b32_e32 v3, v6, v7, vcc_lo
	v_and_or_b32 v1, 0x80000000, v1, v3
	s_delay_alu instid0(VALU_DEP_1)
	v_cvt_i32_f32_e32 v1, v1
.LBB103_91:
	s_mov_b32 s24, 0
	s_mov_b32 s23, -1
.LBB103_92:
	s_and_not1_b32 vcc_lo, exec_lo, s24
	s_cbranch_vccnz .LBB103_105
; %bb.93:
	s_cmp_gt_i32 s0, 14
	s_cbranch_scc0 .LBB103_96
; %bb.94:
	s_cmp_eq_u32 s0, 15
	s_cbranch_scc0 .LBB103_99
; %bb.95:
	s_wait_loadcnt 0x0
	global_load_u16 v1, v[4:5], off
	s_mov_b32 s23, -1
	s_mov_b32 s22, 0
	s_wait_loadcnt 0x0
	v_lshlrev_b32_e32 v1, 16, v1
	s_delay_alu instid0(VALU_DEP_1)
	v_cvt_i32_f32_e32 v1, v1
	s_branch .LBB103_100
.LBB103_96:
	s_mov_b32 s24, -1
                                        ; implicit-def: $vgpr1
	s_branch .LBB103_101
.LBB103_97:
	s_and_not1_saveexec_b32 s23, s23
	s_cbranch_execz .LBB103_78
.LBB103_98:
	v_cmp_ne_u16_e32 vcc_lo, 0, v3
	s_and_not1_b32 s24, s24, exec_lo
	s_and_b32 s25, vcc_lo, exec_lo
	s_delay_alu instid0(SALU_CYCLE_1)
	s_or_b32 s24, s24, s25
	s_or_b32 exec_lo, exec_lo, s23
	v_mov_b32_e32 v1, 0
	s_and_saveexec_b32 s23, s24
	s_cbranch_execnz .LBB103_79
	s_branch .LBB103_80
.LBB103_99:
	s_mov_b32 s22, -1
                                        ; implicit-def: $vgpr1
.LBB103_100:
	s_mov_b32 s24, 0
.LBB103_101:
	s_delay_alu instid0(SALU_CYCLE_1)
	s_and_b32 vcc_lo, exec_lo, s24
	s_cbranch_vccz .LBB103_105
; %bb.102:
	s_cmp_eq_u32 s0, 11
	s_cbranch_scc0 .LBB103_104
; %bb.103:
	s_wait_loadcnt 0x0
	global_load_u8 v1, v[4:5], off
	s_mov_b32 s22, 0
	s_mov_b32 s23, -1
	s_wait_loadcnt 0x0
	v_cmp_ne_u16_e32 vcc_lo, 0, v1
	v_cndmask_b32_e64 v1, 0, 1, vcc_lo
	s_branch .LBB103_105
.LBB103_104:
	s_mov_b32 s22, -1
                                        ; implicit-def: $vgpr1
.LBB103_105:
	s_branch .LBB103_25
.LBB103_106:
	s_cmp_lt_i32 s0, 5
	s_cbranch_scc1 .LBB103_111
; %bb.107:
	s_cmp_lt_i32 s0, 8
	s_cbranch_scc1 .LBB103_112
; %bb.108:
	;; [unrolled: 3-line block ×3, first 2 shown]
	s_cmp_gt_i32 s0, 9
	s_cbranch_scc0 .LBB103_114
; %bb.110:
	global_load_b64 v[6:7], v[4:5], off
	s_mov_b32 s23, 0
	s_wait_loadcnt 0x0
	v_cvt_i32_f64_e32 v1, v[6:7]
	s_branch .LBB103_115
.LBB103_111:
                                        ; implicit-def: $vgpr1
	s_branch .LBB103_133
.LBB103_112:
	s_mov_b32 s23, -1
                                        ; implicit-def: $vgpr1
	s_branch .LBB103_121
.LBB103_113:
	s_mov_b32 s23, -1
                                        ; implicit-def: $vgpr1
	s_branch .LBB103_118
.LBB103_114:
	s_mov_b32 s23, -1
                                        ; implicit-def: $vgpr1
.LBB103_115:
	s_delay_alu instid0(SALU_CYCLE_1)
	s_and_not1_b32 vcc_lo, exec_lo, s23
	s_cbranch_vccnz .LBB103_117
; %bb.116:
	s_wait_loadcnt 0x0
	global_load_b32 v1, v[4:5], off
	s_wait_loadcnt 0x0
	v_cvt_i32_f32_e32 v1, v1
.LBB103_117:
	s_mov_b32 s23, 0
.LBB103_118:
	s_delay_alu instid0(SALU_CYCLE_1)
	s_and_not1_b32 vcc_lo, exec_lo, s23
	s_cbranch_vccnz .LBB103_120
; %bb.119:
	s_wait_loadcnt 0x0
	global_load_b32 v1, v[4:5], off
	s_wait_loadcnt 0x0
	v_cvt_f32_f16_e32 v1, v1
	s_delay_alu instid0(VALU_DEP_1)
	v_cvt_i32_f32_e32 v1, v1
.LBB103_120:
	s_mov_b32 s23, 0
.LBB103_121:
	s_delay_alu instid0(SALU_CYCLE_1)
	s_and_not1_b32 vcc_lo, exec_lo, s23
	s_cbranch_vccnz .LBB103_132
; %bb.122:
	s_cmp_lt_i32 s0, 6
	s_cbranch_scc1 .LBB103_125
; %bb.123:
	s_cmp_gt_i32 s0, 6
	s_cbranch_scc0 .LBB103_126
; %bb.124:
	global_load_b64 v[6:7], v[4:5], off
	s_mov_b32 s23, 0
	s_wait_loadcnt 0x0
	v_cvt_i32_f64_e32 v1, v[6:7]
	s_branch .LBB103_127
.LBB103_125:
	s_mov_b32 s23, -1
                                        ; implicit-def: $vgpr1
	s_branch .LBB103_130
.LBB103_126:
	s_mov_b32 s23, -1
                                        ; implicit-def: $vgpr1
.LBB103_127:
	s_delay_alu instid0(SALU_CYCLE_1)
	s_and_not1_b32 vcc_lo, exec_lo, s23
	s_cbranch_vccnz .LBB103_129
; %bb.128:
	s_wait_loadcnt 0x0
	global_load_b32 v1, v[4:5], off
	s_wait_loadcnt 0x0
	v_cvt_i32_f32_e32 v1, v1
.LBB103_129:
	s_mov_b32 s23, 0
.LBB103_130:
	s_delay_alu instid0(SALU_CYCLE_1)
	s_and_not1_b32 vcc_lo, exec_lo, s23
	s_cbranch_vccnz .LBB103_132
; %bb.131:
	s_wait_loadcnt 0x0
	global_load_u16 v1, v[4:5], off
	s_wait_loadcnt 0x0
	v_cvt_f32_f16_e32 v1, v1
	s_delay_alu instid0(VALU_DEP_1)
	v_cvt_i32_f32_e32 v1, v1
.LBB103_132:
	s_cbranch_execnz .LBB103_152
.LBB103_133:
	s_cmp_lt_i32 s0, 2
	s_cbranch_scc1 .LBB103_137
; %bb.134:
	s_cmp_lt_i32 s0, 3
	s_cbranch_scc1 .LBB103_138
; %bb.135:
	s_cmp_gt_i32 s0, 3
	s_cbranch_scc0 .LBB103_139
; %bb.136:
	s_wait_loadcnt 0x0
	global_load_b32 v1, v[4:5], off
	s_mov_b32 s23, 0
	s_branch .LBB103_140
.LBB103_137:
	s_mov_b32 s23, -1
                                        ; implicit-def: $vgpr1
	s_branch .LBB103_146
.LBB103_138:
	s_mov_b32 s23, -1
                                        ; implicit-def: $vgpr1
	s_branch .LBB103_143
.LBB103_139:
	s_mov_b32 s23, -1
                                        ; implicit-def: $vgpr1
.LBB103_140:
	s_delay_alu instid0(SALU_CYCLE_1)
	s_and_not1_b32 vcc_lo, exec_lo, s23
	s_cbranch_vccnz .LBB103_142
; %bb.141:
	s_wait_loadcnt 0x0
	global_load_b32 v1, v[4:5], off
.LBB103_142:
	s_mov_b32 s23, 0
.LBB103_143:
	s_delay_alu instid0(SALU_CYCLE_1)
	s_and_not1_b32 vcc_lo, exec_lo, s23
	s_cbranch_vccnz .LBB103_145
; %bb.144:
	s_wait_loadcnt 0x0
	global_load_i16 v1, v[4:5], off
.LBB103_145:
	s_mov_b32 s23, 0
.LBB103_146:
	s_delay_alu instid0(SALU_CYCLE_1)
	s_and_not1_b32 vcc_lo, exec_lo, s23
	s_cbranch_vccnz .LBB103_152
; %bb.147:
	s_cmp_gt_i32 s0, 0
	s_mov_b32 s0, 0
	s_cbranch_scc0 .LBB103_149
; %bb.148:
	s_wait_loadcnt 0x0
	global_load_i8 v1, v[4:5], off
	s_branch .LBB103_150
.LBB103_149:
	s_mov_b32 s0, -1
                                        ; implicit-def: $vgpr1
.LBB103_150:
	s_delay_alu instid0(SALU_CYCLE_1)
	s_and_not1_b32 vcc_lo, exec_lo, s0
	s_cbranch_vccnz .LBB103_152
; %bb.151:
	s_wait_loadcnt 0x0
	global_load_u8 v1, v[4:5], off
.LBB103_152:
	s_branch .LBB103_26
.LBB103_153:
	s_mov_b32 s23, 0
	s_mov_b32 s24, 0
	;; [unrolled: 1-line block ×3, first 2 shown]
                                        ; implicit-def: $vgpr0
	s_branch .LBB103_235
.LBB103_154:
	s_mov_b32 s27, -1
	s_mov_b32 s26, 0
.LBB103_155:
	s_and_b32 vcc_lo, exec_lo, s27
	s_cbranch_vccz .LBB103_158
; %bb.156:
	s_cmp_eq_u32 s25, 44
	s_mov_b32 s23, -1
	s_cbranch_scc0 .LBB103_158
; %bb.157:
	s_wait_xcnt 0x0
	v_mov_b32_e32 v1, 0
	s_mov_b32 s26, -1
	s_mov_b32 s23, 0
	s_mov_b32 s27, 0
	global_store_b8 v[2:3], v1, off
	s_branch .LBB103_159
.LBB103_158:
	s_mov_b32 s27, 0
.LBB103_159:
	s_delay_alu instid0(SALU_CYCLE_1)
	s_and_b32 vcc_lo, exec_lo, s27
	s_cbranch_vccz .LBB103_162
; %bb.160:
	s_cmp_eq_u32 s25, 29
	s_mov_b32 s23, -1
	s_cbranch_scc0 .LBB103_162
; %bb.161:
	v_mov_b64_e32 v[4:5], 0
	s_mov_b32 s26, -1
	s_mov_b32 s23, 0
	s_mov_b32 s27, 0
	global_store_b64 v[2:3], v[4:5], off
	s_branch .LBB103_163
.LBB103_162:
	s_mov_b32 s27, 0
.LBB103_163:
	s_delay_alu instid0(SALU_CYCLE_1)
	s_and_b32 vcc_lo, exec_lo, s27
	s_cbranch_vccz .LBB103_173
; %bb.164:
	s_cmp_lt_i32 s25, 27
	s_mov_b32 s26, -1
	s_cbranch_scc1 .LBB103_170
; %bb.165:
	s_cmp_gt_i32 s25, 27
	s_cbranch_scc0 .LBB103_167
; %bb.166:
	s_wait_xcnt 0x0
	v_mov_b32_e32 v1, 0
	s_mov_b32 s26, 0
	global_store_b32 v[2:3], v1, off
.LBB103_167:
	s_and_not1_b32 vcc_lo, exec_lo, s26
	s_cbranch_vccnz .LBB103_169
; %bb.168:
	s_wait_xcnt 0x0
	v_mov_b32_e32 v1, 0
	global_store_b16 v[2:3], v1, off
.LBB103_169:
	s_mov_b32 s26, 0
.LBB103_170:
	s_delay_alu instid0(SALU_CYCLE_1)
	s_and_not1_b32 vcc_lo, exec_lo, s26
	s_cbranch_vccnz .LBB103_172
; %bb.171:
	s_wait_xcnt 0x0
	v_mov_b32_e32 v1, 0
	global_store_b8 v[2:3], v1, off
.LBB103_172:
	s_mov_b32 s26, -1
.LBB103_173:
	s_mov_b32 s27, 0
.LBB103_174:
	s_delay_alu instid0(SALU_CYCLE_1)
	s_and_b32 vcc_lo, exec_lo, s27
	s_cbranch_vccz .LBB103_193
; %bb.175:
	s_cmp_gt_i32 s25, 22
	s_mov_b32 s27, -1
	s_cbranch_scc0 .LBB103_185
; %bb.176:
	s_cmp_lt_i32 s25, 24
	s_mov_b32 s26, -1
	s_cbranch_scc1 .LBB103_182
; %bb.177:
	s_cmp_gt_i32 s25, 24
	s_cbranch_scc0 .LBB103_179
; %bb.178:
	s_wait_xcnt 0x0
	v_mov_b32_e32 v1, 0
	s_mov_b32 s26, 0
	global_store_b8 v[2:3], v1, off
.LBB103_179:
	s_and_not1_b32 vcc_lo, exec_lo, s26
	s_cbranch_vccnz .LBB103_181
; %bb.180:
	s_wait_xcnt 0x0
	v_mov_b32_e32 v1, 0
	global_store_b8 v[2:3], v1, off
.LBB103_181:
	s_mov_b32 s26, 0
.LBB103_182:
	s_delay_alu instid0(SALU_CYCLE_1)
	s_and_not1_b32 vcc_lo, exec_lo, s26
	s_cbranch_vccnz .LBB103_184
; %bb.183:
	s_wait_xcnt 0x0
	v_mov_b32_e32 v1, 0
	global_store_b8 v[2:3], v1, off
.LBB103_184:
	s_mov_b32 s27, 0
	s_mov_b32 s26, -1
.LBB103_185:
	s_and_not1_b32 vcc_lo, exec_lo, s27
	s_cbranch_vccnz .LBB103_193
; %bb.186:
	s_cmp_gt_i32 s25, 14
	s_mov_b32 s27, -1
	s_cbranch_scc0 .LBB103_190
; %bb.187:
	s_cmp_eq_u32 s25, 15
	s_mov_b32 s23, -1
	s_cbranch_scc0 .LBB103_189
; %bb.188:
	s_wait_xcnt 0x0
	v_mov_b32_e32 v1, 0
	s_mov_b32 s26, -1
	s_mov_b32 s23, 0
	global_store_b16 v[2:3], v1, off
.LBB103_189:
	s_mov_b32 s27, 0
.LBB103_190:
	s_delay_alu instid0(SALU_CYCLE_1)
	s_and_b32 vcc_lo, exec_lo, s27
	s_cbranch_vccz .LBB103_193
; %bb.191:
	s_cmp_eq_u32 s25, 11
	s_mov_b32 s23, -1
	s_cbranch_scc0 .LBB103_193
; %bb.192:
	s_wait_xcnt 0x0
	v_mov_b32_e32 v1, 0
	s_mov_b32 s26, -1
	s_mov_b32 s23, 0
	global_store_b8 v[2:3], v1, off
.LBB103_193:
	s_branch .LBB103_36
.LBB103_194:
	s_and_b32 s24, 0xffff, s24
	s_mov_b32 s25, -1
	s_cmp_lt_i32 s24, 5
	s_cbranch_scc1 .LBB103_215
; %bb.195:
	s_cmp_lt_i32 s24, 8
	s_cbranch_scc1 .LBB103_205
; %bb.196:
	;; [unrolled: 3-line block ×3, first 2 shown]
	s_cmp_gt_i32 s24, 9
	s_cbranch_scc0 .LBB103_199
; %bb.198:
	s_wait_xcnt 0x0
	v_mov_b32_e32 v4, 0
	s_mov_b32 s25, 0
	s_delay_alu instid0(VALU_DEP_1)
	v_dual_mov_b32 v5, v4 :: v_dual_mov_b32 v6, v4
	v_mov_b32_e32 v7, v4
	global_store_b128 v[2:3], v[4:7], off
.LBB103_199:
	s_and_not1_b32 vcc_lo, exec_lo, s25
	s_cbranch_vccnz .LBB103_201
; %bb.200:
	s_wait_xcnt 0x0
	v_mov_b64_e32 v[4:5], 0
	global_store_b64 v[2:3], v[4:5], off
.LBB103_201:
	s_mov_b32 s25, 0
.LBB103_202:
	s_delay_alu instid0(SALU_CYCLE_1)
	s_and_not1_b32 vcc_lo, exec_lo, s25
	s_cbranch_vccnz .LBB103_204
; %bb.203:
	s_wait_xcnt 0x0
	v_mov_b32_e32 v1, 0
	global_store_b32 v[2:3], v1, off
.LBB103_204:
	s_mov_b32 s25, 0
.LBB103_205:
	s_delay_alu instid0(SALU_CYCLE_1)
	s_and_not1_b32 vcc_lo, exec_lo, s25
	s_cbranch_vccnz .LBB103_214
; %bb.206:
	s_cmp_lt_i32 s24, 6
	s_mov_b32 s25, -1
	s_cbranch_scc1 .LBB103_212
; %bb.207:
	s_cmp_gt_i32 s24, 6
	s_cbranch_scc0 .LBB103_209
; %bb.208:
	s_wait_xcnt 0x0
	v_mov_b64_e32 v[4:5], 0
	s_mov_b32 s25, 0
	global_store_b64 v[2:3], v[4:5], off
.LBB103_209:
	s_and_not1_b32 vcc_lo, exec_lo, s25
	s_cbranch_vccnz .LBB103_211
; %bb.210:
	s_wait_xcnt 0x0
	v_mov_b32_e32 v1, 0
	global_store_b32 v[2:3], v1, off
.LBB103_211:
	s_mov_b32 s25, 0
.LBB103_212:
	s_delay_alu instid0(SALU_CYCLE_1)
	s_and_not1_b32 vcc_lo, exec_lo, s25
	s_cbranch_vccnz .LBB103_214
; %bb.213:
	s_wait_xcnt 0x0
	v_mov_b32_e32 v1, 0
	global_store_b16 v[2:3], v1, off
.LBB103_214:
	s_mov_b32 s25, 0
.LBB103_215:
	s_delay_alu instid0(SALU_CYCLE_1)
	s_and_not1_b32 vcc_lo, exec_lo, s25
	s_cbranch_vccnz .LBB103_231
; %bb.216:
	s_cmp_lt_i32 s24, 2
	s_mov_b32 s25, -1
	s_cbranch_scc1 .LBB103_226
; %bb.217:
	s_cmp_lt_i32 s24, 3
	s_cbranch_scc1 .LBB103_223
; %bb.218:
	s_cmp_gt_i32 s24, 3
	s_cbranch_scc0 .LBB103_220
; %bb.219:
	s_wait_xcnt 0x0
	v_mov_b64_e32 v[4:5], 0
	s_mov_b32 s25, 0
	global_store_b64 v[2:3], v[4:5], off
.LBB103_220:
	s_and_not1_b32 vcc_lo, exec_lo, s25
	s_cbranch_vccnz .LBB103_222
; %bb.221:
	s_wait_xcnt 0x0
	v_mov_b32_e32 v1, 0
	global_store_b32 v[2:3], v1, off
.LBB103_222:
	s_mov_b32 s25, 0
.LBB103_223:
	s_delay_alu instid0(SALU_CYCLE_1)
	s_and_not1_b32 vcc_lo, exec_lo, s25
	s_cbranch_vccnz .LBB103_225
; %bb.224:
	s_wait_xcnt 0x0
	v_mov_b32_e32 v1, 0
	global_store_b16 v[2:3], v1, off
.LBB103_225:
	s_mov_b32 s25, 0
.LBB103_226:
	s_delay_alu instid0(SALU_CYCLE_1)
	s_and_not1_b32 vcc_lo, exec_lo, s25
	s_cbranch_vccnz .LBB103_231
; %bb.227:
	s_cmp_gt_i32 s24, 0
	s_mov_b32 s24, -1
	s_cbranch_scc0 .LBB103_229
; %bb.228:
	s_wait_xcnt 0x0
	v_mov_b32_e32 v1, 0
	s_mov_b32 s24, 0
	global_store_b8 v[2:3], v1, off
.LBB103_229:
	s_and_not1_b32 vcc_lo, exec_lo, s24
	s_cbranch_vccnz .LBB103_231
; %bb.230:
	s_wait_xcnt 0x0
	v_mov_b32_e32 v1, 0
	global_store_b8 v[2:3], v1, off
.LBB103_231:
	s_branch .LBB103_37
.LBB103_232:
	s_mov_b32 s26, 0
                                        ; implicit-def: $vgpr0
.LBB103_233:
	s_and_b32 s25, s23, exec_lo
	s_xor_b32 s24, exec_lo, -1
	s_and_b32 s23, s26, exec_lo
.LBB103_234:
	s_wait_xcnt 0x0
	s_or_b32 exec_lo, exec_lo, s0
.LBB103_235:
	s_delay_alu instid0(SALU_CYCLE_1)
	s_and_b32 s42, s25, exec_lo
	s_and_b32 s43, s24, exec_lo
	;; [unrolled: 1-line block ×3, first 2 shown]
	s_or_not1_b32 s22, s23, exec_lo
.LBB103_236:
	s_wait_xcnt 0x0
	s_or_b32 exec_lo, exec_lo, s45
	s_mov_b32 s23, 0
	s_mov_b32 s0, 0
                                        ; implicit-def: $vgpr4_vgpr5
                                        ; implicit-def: $vgpr2
                                        ; implicit-def: $vgpr1
	s_and_saveexec_b32 s45, s22
	s_cbranch_execz .LBB103_244
; %bb.237:
	s_mov_b32 s0, -1
	s_mov_b32 s46, s44
	s_mov_b32 s48, s43
	;; [unrolled: 1-line block ×3, first 2 shown]
	s_mov_b32 s49, exec_lo
	v_cmpx_gt_i32_e64 s39, v0
	s_cbranch_execz .LBB103_479
; %bb.238:
	s_and_not1_b32 vcc_lo, exec_lo, s31
	s_cbranch_vccnz .LBB103_247
; %bb.239:
	s_and_not1_b32 vcc_lo, exec_lo, s41
	s_cbranch_vccnz .LBB103_248
; %bb.240:
	s_add_co_i32 s0, s40, 1
	s_cmp_eq_u32 s29, 2
	s_cbranch_scc1 .LBB103_249
; %bb.241:
	v_dual_mov_b32 v2, 0 :: v_dual_mov_b32 v4, 0
	s_wait_loadcnt 0x0
	v_mov_b32_e32 v1, v0
	s_and_b32 s22, s0, 28
	s_mov_b64 s[24:25], s[2:3]
	s_mov_b64 s[26:27], s[20:21]
.LBB103_242:                            ; =>This Inner Loop Header: Depth=1
	s_clause 0x1
	s_load_b256 s[52:59], s[24:25], 0x4
	s_load_b128 s[68:71], s[24:25], 0x24
	s_load_b256 s[60:67], s[26:27], 0x0
	s_add_co_i32 s23, s23, 4
	s_wait_xcnt 0x0
	s_add_nc_u64 s[24:25], s[24:25], 48
	s_cmp_eq_u32 s22, s23
	s_add_nc_u64 s[26:27], s[26:27], 32
	s_wait_kmcnt 0x0
	v_mul_hi_u32 v3, s53, v1
	s_delay_alu instid0(VALU_DEP_1) | instskip(NEXT) | instid1(VALU_DEP_1)
	v_add_nc_u32_e32 v3, v1, v3
	v_lshrrev_b32_e32 v3, s54, v3
	s_delay_alu instid0(VALU_DEP_1) | instskip(NEXT) | instid1(VALU_DEP_1)
	v_mul_hi_u32 v5, s56, v3
	v_add_nc_u32_e32 v5, v3, v5
	s_delay_alu instid0(VALU_DEP_1) | instskip(NEXT) | instid1(VALU_DEP_1)
	v_lshrrev_b32_e32 v5, s57, v5
	v_mul_hi_u32 v6, s59, v5
	s_delay_alu instid0(VALU_DEP_1) | instskip(SKIP_1) | instid1(VALU_DEP_1)
	v_add_nc_u32_e32 v6, v5, v6
	v_mul_lo_u32 v7, v3, s52
	v_sub_nc_u32_e32 v1, v1, v7
	v_mul_lo_u32 v7, v5, s55
	s_delay_alu instid0(VALU_DEP_4) | instskip(NEXT) | instid1(VALU_DEP_3)
	v_lshrrev_b32_e32 v6, s68, v6
	v_mad_u32 v4, v1, s61, v4
	v_mad_u32 v1, v1, s60, v2
	s_delay_alu instid0(VALU_DEP_4) | instskip(NEXT) | instid1(VALU_DEP_4)
	v_sub_nc_u32_e32 v2, v3, v7
	v_mul_hi_u32 v8, s70, v6
	v_mul_lo_u32 v3, v6, s58
	s_delay_alu instid0(VALU_DEP_3) | instskip(SKIP_1) | instid1(VALU_DEP_3)
	v_mad_u32 v4, v2, s63, v4
	v_mad_u32 v2, v2, s62, v1
	v_dual_add_nc_u32 v7, v6, v8 :: v_dual_sub_nc_u32 v3, v5, v3
	s_delay_alu instid0(VALU_DEP_1) | instskip(NEXT) | instid1(VALU_DEP_2)
	v_lshrrev_b32_e32 v1, s71, v7
	v_mad_u32 v4, v3, s65, v4
	s_delay_alu instid0(VALU_DEP_4) | instskip(NEXT) | instid1(VALU_DEP_3)
	v_mad_u32 v2, v3, s64, v2
	v_mul_lo_u32 v5, v1, s69
	s_delay_alu instid0(VALU_DEP_1) | instskip(NEXT) | instid1(VALU_DEP_1)
	v_sub_nc_u32_e32 v3, v6, v5
	v_mad_u32 v4, v3, s67, v4
	s_delay_alu instid0(VALU_DEP_4)
	v_mad_u32 v2, v3, s66, v2
	s_cbranch_scc0 .LBB103_242
; %bb.243:
	s_delay_alu instid0(VALU_DEP_2)
	v_mov_b32_e32 v3, v4
	s_branch .LBB103_250
.LBB103_244:
	s_or_b32 exec_lo, exec_lo, s45
	s_mov_b32 s1, 0
	s_and_saveexec_b32 s6, s44
	s_cbranch_execnz .LBB103_817
.LBB103_245:
	s_or_b32 exec_lo, exec_lo, s6
	s_and_saveexec_b32 s6, s17
	s_delay_alu instid0(SALU_CYCLE_1)
	s_xor_b32 s6, exec_lo, s6
	s_cbranch_execz .LBB103_818
.LBB103_246:
	global_load_u8 v0, v[4:5], off
	s_or_b32 s0, s0, exec_lo
	s_wait_loadcnt 0x0
	v_cmp_ne_u16_e32 vcc_lo, 0, v0
	v_cndmask_b32_e64 v1, 0, 1, vcc_lo
	s_wait_xcnt 0x0
	s_or_b32 exec_lo, exec_lo, s6
	s_and_saveexec_b32 s6, s23
	s_cbranch_execz .LBB103_864
	s_branch .LBB103_819
.LBB103_247:
                                        ; implicit-def: $vgpr4
                                        ; implicit-def: $vgpr2
	s_and_not1_b32 vcc_lo, exec_lo, s0
	s_cbranch_vccnz .LBB103_257
	s_branch .LBB103_255
.LBB103_248:
	v_dual_mov_b32 v4, 0 :: v_dual_mov_b32 v2, 0
	s_branch .LBB103_254
.LBB103_249:
	v_mov_b64_e32 v[2:3], 0
	s_wait_loadcnt 0x0
	v_mov_b32_e32 v1, v0
	s_mov_b32 s22, 0
                                        ; implicit-def: $vgpr4
.LBB103_250:
	s_and_b32 s0, s0, 3
	s_mov_b32 s23, 0
	s_cmp_eq_u32 s0, 0
	s_cbranch_scc1 .LBB103_254
; %bb.251:
	s_lshl_b32 s24, s22, 3
	s_mov_b32 s25, s23
	s_mul_u64 s[26:27], s[22:23], 12
	s_add_nc_u64 s[24:25], s[2:3], s[24:25]
	s_delay_alu instid0(SALU_CYCLE_1)
	s_add_nc_u64 s[22:23], s[24:25], 0xc4
	s_add_nc_u64 s[24:25], s[2:3], s[26:27]
.LBB103_252:                            ; =>This Inner Loop Header: Depth=1
	s_load_b96 s[52:54], s[24:25], 0x4
	s_load_b64 s[26:27], s[22:23], 0x0
	s_add_co_i32 s0, s0, -1
	s_wait_xcnt 0x0
	s_add_nc_u64 s[24:25], s[24:25], 12
	s_cmp_lg_u32 s0, 0
	s_add_nc_u64 s[22:23], s[22:23], 8
	s_wait_kmcnt 0x0
	v_mul_hi_u32 v4, s53, v1
	s_delay_alu instid0(VALU_DEP_1) | instskip(NEXT) | instid1(VALU_DEP_1)
	v_add_nc_u32_e32 v4, v1, v4
	v_lshrrev_b32_e32 v4, s54, v4
	s_delay_alu instid0(VALU_DEP_1) | instskip(NEXT) | instid1(VALU_DEP_1)
	v_mul_lo_u32 v5, v4, s52
	v_sub_nc_u32_e32 v1, v1, v5
	s_delay_alu instid0(VALU_DEP_1)
	v_mad_u32 v3, v1, s27, v3
	v_mad_u32 v2, v1, s26, v2
	v_mov_b32_e32 v1, v4
	s_cbranch_scc1 .LBB103_252
; %bb.253:
	s_delay_alu instid0(VALU_DEP_3)
	v_mov_b32_e32 v4, v3
.LBB103_254:
	s_cbranch_execnz .LBB103_257
.LBB103_255:
	s_wait_loadcnt 0x0
	v_mov_b32_e32 v1, 0
	s_and_not1_b32 vcc_lo, exec_lo, s38
	s_delay_alu instid0(VALU_DEP_1) | instskip(NEXT) | instid1(VALU_DEP_1)
	v_mul_u64_e32 v[2:3], s[16:17], v[0:1]
	v_add_nc_u32_e32 v2, v0, v3
	s_delay_alu instid0(VALU_DEP_1) | instskip(NEXT) | instid1(VALU_DEP_1)
	v_lshrrev_b32_e32 v6, s10, v2
	v_mul_lo_u32 v2, v6, s8
	s_delay_alu instid0(VALU_DEP_1) | instskip(NEXT) | instid1(VALU_DEP_1)
	v_sub_nc_u32_e32 v2, v0, v2
	v_mul_lo_u32 v4, v2, s13
	v_mul_lo_u32 v2, v2, s12
	s_cbranch_vccnz .LBB103_257
; %bb.256:
	v_mov_b32_e32 v7, v1
	s_delay_alu instid0(VALU_DEP_1) | instskip(NEXT) | instid1(VALU_DEP_1)
	v_mul_u64_e32 v[8:9], s[18:19], v[6:7]
	v_add_nc_u32_e32 v1, v6, v9
	s_delay_alu instid0(VALU_DEP_1) | instskip(NEXT) | instid1(VALU_DEP_1)
	v_lshrrev_b32_e32 v1, s1, v1
	v_mul_lo_u32 v1, v1, s11
	s_delay_alu instid0(VALU_DEP_1) | instskip(NEXT) | instid1(VALU_DEP_1)
	v_sub_nc_u32_e32 v1, v6, v1
	v_mad_u32 v2, v1, s14, v2
	v_mad_u32 v4, v1, s15, v4
.LBB103_257:
	v_mov_b32_e32 v5, 0
	s_and_b32 s0, 0xffff, s37
	s_delay_alu instid0(SALU_CYCLE_1) | instskip(NEXT) | instid1(VALU_DEP_1)
	s_cmp_lt_i32 s0, 11
	v_add_nc_u64_e32 v[4:5], s[6:7], v[4:5]
	s_cbranch_scc1 .LBB103_264
; %bb.258:
	s_cmp_gt_i32 s0, 25
	s_cbranch_scc0 .LBB103_274
; %bb.259:
	s_cmp_gt_i32 s0, 28
	s_cbranch_scc0 .LBB103_276
	;; [unrolled: 3-line block ×4, first 2 shown]
; %bb.262:
	s_cmp_eq_u32 s0, 46
	s_mov_b32 s24, 0
	s_cbranch_scc0 .LBB103_282
; %bb.263:
	s_wait_loadcnt 0x0
	global_load_b32 v1, v[4:5], off
	s_mov_b32 s23, -1
	s_mov_b32 s22, 0
	s_wait_loadcnt 0x0
	v_lshlrev_b32_e32 v1, 16, v1
	s_delay_alu instid0(VALU_DEP_1)
	v_cvt_i32_f32_e32 v1, v1
	s_branch .LBB103_284
.LBB103_264:
	s_mov_b32 s23, 0
	s_mov_b32 s22, s44
                                        ; implicit-def: $vgpr1
	s_cbranch_execnz .LBB103_345
.LBB103_265:
	s_and_not1_b32 vcc_lo, exec_lo, s23
	s_cbranch_vccnz .LBB103_393
.LBB103_266:
	s_wait_loadcnt 0x0
	s_delay_alu instid0(VALU_DEP_1)
	v_cmp_le_i32_e32 vcc_lo, s35, v1
	v_cmp_gt_i32_e64 s0, s36, v1
	s_mov_b32 s23, 0
	s_mov_b32 s24, -1
	s_mov_b32 s25, s42
	s_and_b32 s0, vcc_lo, s0
	s_delay_alu instid0(SALU_CYCLE_1)
	s_and_b32 s26, s9, s0
	s_wait_xcnt 0x0
	s_and_saveexec_b32 s0, s26
	s_cbranch_execz .LBB103_477
; %bb.267:
	v_mov_b32_e32 v3, 0
	s_and_b32 s24, s34, 0xff
	s_delay_alu instid0(SALU_CYCLE_1) | instskip(NEXT) | instid1(VALU_DEP_1)
	s_cmp_lt_i32 s24, 11
	v_add_nc_u64_e32 v[2:3], s[4:5], v[2:3]
	s_cbranch_scc1 .LBB103_275
; %bb.268:
	s_and_b32 s25, 0xffff, s24
	s_delay_alu instid0(SALU_CYCLE_1)
	s_cmp_gt_i32 s25, 25
	s_cbranch_scc0 .LBB103_277
; %bb.269:
	s_cmp_gt_i32 s25, 28
	s_cbranch_scc0 .LBB103_279
; %bb.270:
	;; [unrolled: 3-line block ×4, first 2 shown]
	s_mov_b32 s27, 0
	s_mov_b32 s23, -1
	s_cmp_eq_u32 s25, 46
	s_mov_b32 s26, 0
	s_cbranch_scc0 .LBB103_395
; %bb.273:
	v_mov_b32_e32 v1, 0
	s_mov_b32 s26, -1
	s_mov_b32 s23, 0
	global_store_b32 v[2:3], v1, off
	s_branch .LBB103_395
.LBB103_274:
	s_mov_b32 s24, -1
	s_mov_b32 s23, 0
	s_mov_b32 s22, s44
                                        ; implicit-def: $vgpr1
	s_branch .LBB103_311
.LBB103_275:
	s_mov_b32 s25, -1
	s_mov_b32 s26, 0
	s_mov_b32 s23, s42
	s_branch .LBB103_434
.LBB103_276:
	s_mov_b32 s24, -1
	s_mov_b32 s23, 0
	s_mov_b32 s22, s44
                                        ; implicit-def: $vgpr1
	s_branch .LBB103_294
.LBB103_277:
	s_mov_b32 s27, -1
	s_mov_b32 s26, 0
	s_mov_b32 s23, s42
	s_branch .LBB103_414
.LBB103_278:
	s_mov_b32 s24, -1
	s_mov_b32 s23, 0
	s_mov_b32 s22, s44
                                        ; implicit-def: $vgpr1
	s_branch .LBB103_289
.LBB103_279:
	s_mov_b32 s27, -1
	s_mov_b32 s26, 0
	s_mov_b32 s23, s42
	s_branch .LBB103_403
.LBB103_280:
	s_mov_b32 s24, -1
	s_mov_b32 s23, 0
	s_mov_b32 s22, s44
	s_branch .LBB103_283
.LBB103_281:
	s_mov_b32 s27, -1
	s_mov_b32 s26, 0
	s_mov_b32 s23, s42
	s_branch .LBB103_399
.LBB103_282:
	s_mov_b32 s22, -1
	s_mov_b32 s23, 0
.LBB103_283:
                                        ; implicit-def: $vgpr1
.LBB103_284:
	s_and_b32 vcc_lo, exec_lo, s24
	s_cbranch_vccz .LBB103_288
; %bb.285:
	s_cmp_eq_u32 s0, 44
	s_cbranch_scc0 .LBB103_287
; %bb.286:
	s_wait_loadcnt 0x0
	global_load_u8 v1, v[4:5], off
	s_mov_b32 s22, 0
	s_mov_b32 s23, -1
	s_wait_loadcnt 0x0
	v_lshlrev_b32_e32 v3, 23, v1
	v_cmp_ne_u32_e32 vcc_lo, 0, v1
	s_delay_alu instid0(VALU_DEP_2) | instskip(NEXT) | instid1(VALU_DEP_1)
	v_cvt_i32_f32_e32 v3, v3
	v_cndmask_b32_e32 v1, 0, v3, vcc_lo
	s_branch .LBB103_288
.LBB103_287:
	s_mov_b32 s22, -1
                                        ; implicit-def: $vgpr1
.LBB103_288:
	s_mov_b32 s24, 0
.LBB103_289:
	s_delay_alu instid0(SALU_CYCLE_1)
	s_and_b32 vcc_lo, exec_lo, s24
	s_cbranch_vccz .LBB103_293
; %bb.290:
	s_cmp_eq_u32 s0, 29
	s_cbranch_scc0 .LBB103_292
; %bb.291:
	s_wait_loadcnt 0x0
	global_load_b32 v1, v[4:5], off
	s_mov_b32 s23, -1
	s_mov_b32 s22, 0
	s_branch .LBB103_293
.LBB103_292:
	s_mov_b32 s22, -1
                                        ; implicit-def: $vgpr1
.LBB103_293:
	s_mov_b32 s24, 0
.LBB103_294:
	s_delay_alu instid0(SALU_CYCLE_1)
	s_and_b32 vcc_lo, exec_lo, s24
	s_cbranch_vccz .LBB103_310
; %bb.295:
	s_cmp_lt_i32 s0, 27
	s_cbranch_scc1 .LBB103_298
; %bb.296:
	s_cmp_gt_i32 s0, 27
	s_cbranch_scc0 .LBB103_299
; %bb.297:
	s_wait_loadcnt 0x0
	global_load_b32 v1, v[4:5], off
	s_mov_b32 s23, 0
	s_branch .LBB103_300
.LBB103_298:
	s_mov_b32 s23, -1
                                        ; implicit-def: $vgpr1
	s_branch .LBB103_303
.LBB103_299:
	s_mov_b32 s23, -1
                                        ; implicit-def: $vgpr1
.LBB103_300:
	s_delay_alu instid0(SALU_CYCLE_1)
	s_and_not1_b32 vcc_lo, exec_lo, s23
	s_cbranch_vccnz .LBB103_302
; %bb.301:
	s_wait_loadcnt 0x0
	global_load_u16 v1, v[4:5], off
.LBB103_302:
	s_mov_b32 s23, 0
.LBB103_303:
	s_delay_alu instid0(SALU_CYCLE_1)
	s_and_not1_b32 vcc_lo, exec_lo, s23
	s_cbranch_vccnz .LBB103_309
; %bb.304:
	global_load_u8 v3, v[4:5], off
	s_mov_b32 s24, 0
	s_mov_b32 s23, exec_lo
	s_wait_loadcnt 0x0
	v_cmpx_lt_i16_e32 0x7f, v3
	s_xor_b32 s23, exec_lo, s23
	s_cbranch_execz .LBB103_321
; %bb.305:
	v_cmp_ne_u16_e32 vcc_lo, 0x80, v3
	s_and_b32 s24, vcc_lo, exec_lo
	s_and_not1_saveexec_b32 s23, s23
	s_cbranch_execnz .LBB103_322
.LBB103_306:
	s_or_b32 exec_lo, exec_lo, s23
	v_mov_b32_e32 v1, 0
	s_and_saveexec_b32 s23, s24
	s_cbranch_execz .LBB103_308
.LBB103_307:
	v_and_b32_e32 v1, 0xffff, v3
	s_delay_alu instid0(VALU_DEP_1) | instskip(SKIP_1) | instid1(VALU_DEP_2)
	v_and_b32_e32 v6, 7, v1
	v_bfe_u32 v9, v1, 3, 4
	v_clz_i32_u32_e32 v7, v6
	s_delay_alu instid0(VALU_DEP_2) | instskip(NEXT) | instid1(VALU_DEP_2)
	v_cmp_eq_u32_e32 vcc_lo, 0, v9
	v_min_u32_e32 v7, 32, v7
	s_delay_alu instid0(VALU_DEP_1) | instskip(NEXT) | instid1(VALU_DEP_1)
	v_subrev_nc_u32_e32 v8, 28, v7
	v_dual_lshlrev_b32 v1, v8, v1 :: v_dual_sub_nc_u32 v7, 29, v7
	s_delay_alu instid0(VALU_DEP_1) | instskip(NEXT) | instid1(VALU_DEP_1)
	v_dual_lshlrev_b32 v3, 24, v3 :: v_dual_bitop2_b32 v1, 7, v1 bitop3:0x40
	v_dual_cndmask_b32 v1, v6, v1, vcc_lo :: v_dual_cndmask_b32 v7, v9, v7, vcc_lo
	s_delay_alu instid0(VALU_DEP_2) | instskip(NEXT) | instid1(VALU_DEP_2)
	v_and_b32_e32 v3, 0x80000000, v3
	v_lshlrev_b32_e32 v1, 20, v1
	s_delay_alu instid0(VALU_DEP_3) | instskip(NEXT) | instid1(VALU_DEP_1)
	v_lshl_add_u32 v6, v7, 23, 0x3b800000
	v_or3_b32 v1, v3, v6, v1
	s_delay_alu instid0(VALU_DEP_1)
	v_cvt_i32_f32_e32 v1, v1
.LBB103_308:
	s_or_b32 exec_lo, exec_lo, s23
.LBB103_309:
	s_mov_b32 s23, -1
.LBB103_310:
	s_mov_b32 s24, 0
.LBB103_311:
	s_delay_alu instid0(SALU_CYCLE_1)
	s_and_b32 vcc_lo, exec_lo, s24
	s_cbranch_vccz .LBB103_344
; %bb.312:
	s_cmp_gt_i32 s0, 22
	s_cbranch_scc0 .LBB103_320
; %bb.313:
	s_cmp_lt_i32 s0, 24
	s_cbranch_scc1 .LBB103_323
; %bb.314:
	s_cmp_gt_i32 s0, 24
	s_cbranch_scc0 .LBB103_324
; %bb.315:
	global_load_u8 v3, v[4:5], off
	s_mov_b32 s24, 0
	s_mov_b32 s23, exec_lo
	s_wait_loadcnt 0x0
	v_cmpx_lt_i16_e32 0x7f, v3
	s_xor_b32 s23, exec_lo, s23
	s_cbranch_execz .LBB103_336
; %bb.316:
	v_cmp_ne_u16_e32 vcc_lo, 0x80, v3
	s_and_b32 s24, vcc_lo, exec_lo
	s_and_not1_saveexec_b32 s23, s23
	s_cbranch_execnz .LBB103_337
.LBB103_317:
	s_or_b32 exec_lo, exec_lo, s23
	v_mov_b32_e32 v1, 0
	s_and_saveexec_b32 s23, s24
	s_cbranch_execz .LBB103_319
.LBB103_318:
	v_and_b32_e32 v1, 0xffff, v3
	s_delay_alu instid0(VALU_DEP_1) | instskip(SKIP_1) | instid1(VALU_DEP_2)
	v_and_b32_e32 v6, 3, v1
	v_bfe_u32 v9, v1, 2, 5
	v_clz_i32_u32_e32 v7, v6
	s_delay_alu instid0(VALU_DEP_2) | instskip(NEXT) | instid1(VALU_DEP_2)
	v_cmp_eq_u32_e32 vcc_lo, 0, v9
	v_min_u32_e32 v7, 32, v7
	s_delay_alu instid0(VALU_DEP_1) | instskip(NEXT) | instid1(VALU_DEP_1)
	v_subrev_nc_u32_e32 v8, 29, v7
	v_dual_lshlrev_b32 v1, v8, v1 :: v_dual_sub_nc_u32 v7, 30, v7
	s_delay_alu instid0(VALU_DEP_1) | instskip(NEXT) | instid1(VALU_DEP_1)
	v_dual_lshlrev_b32 v3, 24, v3 :: v_dual_bitop2_b32 v1, 3, v1 bitop3:0x40
	v_dual_cndmask_b32 v1, v6, v1, vcc_lo :: v_dual_cndmask_b32 v7, v9, v7, vcc_lo
	s_delay_alu instid0(VALU_DEP_2) | instskip(NEXT) | instid1(VALU_DEP_2)
	v_and_b32_e32 v3, 0x80000000, v3
	v_lshlrev_b32_e32 v1, 21, v1
	s_delay_alu instid0(VALU_DEP_3) | instskip(NEXT) | instid1(VALU_DEP_1)
	v_lshl_add_u32 v6, v7, 23, 0x37800000
	v_or3_b32 v1, v3, v6, v1
	s_delay_alu instid0(VALU_DEP_1)
	v_cvt_i32_f32_e32 v1, v1
.LBB103_319:
	s_or_b32 exec_lo, exec_lo, s23
	s_mov_b32 s23, 0
	s_branch .LBB103_325
.LBB103_320:
	s_mov_b32 s24, -1
                                        ; implicit-def: $vgpr1
	s_branch .LBB103_331
.LBB103_321:
	s_and_not1_saveexec_b32 s23, s23
	s_cbranch_execz .LBB103_306
.LBB103_322:
	v_cmp_ne_u16_e32 vcc_lo, 0, v3
	s_and_not1_b32 s24, s24, exec_lo
	s_and_b32 s25, vcc_lo, exec_lo
	s_delay_alu instid0(SALU_CYCLE_1)
	s_or_b32 s24, s24, s25
	s_or_b32 exec_lo, exec_lo, s23
	v_mov_b32_e32 v1, 0
	s_and_saveexec_b32 s23, s24
	s_cbranch_execnz .LBB103_307
	s_branch .LBB103_308
.LBB103_323:
	s_mov_b32 s23, -1
                                        ; implicit-def: $vgpr1
	s_branch .LBB103_328
.LBB103_324:
	s_mov_b32 s23, -1
                                        ; implicit-def: $vgpr1
.LBB103_325:
	s_delay_alu instid0(SALU_CYCLE_1)
	s_and_b32 vcc_lo, exec_lo, s23
	s_cbranch_vccz .LBB103_327
; %bb.326:
	s_wait_loadcnt 0x0
	global_load_u8 v1, v[4:5], off
	s_wait_loadcnt 0x0
	v_lshlrev_b32_e32 v1, 24, v1
	s_delay_alu instid0(VALU_DEP_1) | instskip(NEXT) | instid1(VALU_DEP_1)
	v_and_b32_e32 v3, 0x7f000000, v1
	v_clz_i32_u32_e32 v6, v3
	v_cmp_ne_u32_e32 vcc_lo, 0, v3
	v_add_nc_u32_e32 v8, 0x1000000, v3
	s_delay_alu instid0(VALU_DEP_3) | instskip(NEXT) | instid1(VALU_DEP_1)
	v_min_u32_e32 v6, 32, v6
	v_sub_nc_u32_e64 v6, v6, 4 clamp
	s_delay_alu instid0(VALU_DEP_1) | instskip(NEXT) | instid1(VALU_DEP_1)
	v_dual_lshlrev_b32 v7, v6, v3 :: v_dual_lshlrev_b32 v6, 23, v6
	v_lshrrev_b32_e32 v7, 4, v7
	s_delay_alu instid0(VALU_DEP_1) | instskip(NEXT) | instid1(VALU_DEP_1)
	v_dual_sub_nc_u32 v6, v7, v6 :: v_dual_ashrrev_i32 v7, 8, v8
	v_add_nc_u32_e32 v6, 0x3c000000, v6
	s_delay_alu instid0(VALU_DEP_1) | instskip(NEXT) | instid1(VALU_DEP_1)
	v_and_or_b32 v6, 0x7f800000, v7, v6
	v_cndmask_b32_e32 v3, 0, v6, vcc_lo
	s_delay_alu instid0(VALU_DEP_1) | instskip(NEXT) | instid1(VALU_DEP_1)
	v_and_or_b32 v1, 0x80000000, v1, v3
	v_cvt_i32_f32_e32 v1, v1
.LBB103_327:
	s_mov_b32 s23, 0
.LBB103_328:
	s_delay_alu instid0(SALU_CYCLE_1)
	s_and_not1_b32 vcc_lo, exec_lo, s23
	s_cbranch_vccnz .LBB103_330
; %bb.329:
	s_wait_loadcnt 0x0
	global_load_u8 v1, v[4:5], off
	s_wait_loadcnt 0x0
	v_lshlrev_b32_e32 v3, 25, v1
	v_lshlrev_b16 v1, 8, v1
	s_delay_alu instid0(VALU_DEP_1) | instskip(SKIP_1) | instid1(VALU_DEP_2)
	v_and_or_b32 v7, 0x7f00, v1, 0.5
	v_bfe_i32 v1, v1, 0, 16
	v_add_f32_e32 v7, -0.5, v7
	v_lshrrev_b32_e32 v6, 4, v3
	v_cmp_gt_u32_e32 vcc_lo, 0x8000000, v3
	s_delay_alu instid0(VALU_DEP_2) | instskip(NEXT) | instid1(VALU_DEP_1)
	v_or_b32_e32 v6, 0x70000000, v6
	v_mul_f32_e32 v6, 0x7800000, v6
	s_delay_alu instid0(VALU_DEP_1) | instskip(NEXT) | instid1(VALU_DEP_1)
	v_cndmask_b32_e32 v3, v6, v7, vcc_lo
	v_and_or_b32 v1, 0x80000000, v1, v3
	s_delay_alu instid0(VALU_DEP_1)
	v_cvt_i32_f32_e32 v1, v1
.LBB103_330:
	s_mov_b32 s24, 0
	s_mov_b32 s23, -1
.LBB103_331:
	s_and_not1_b32 vcc_lo, exec_lo, s24
	s_cbranch_vccnz .LBB103_344
; %bb.332:
	s_cmp_gt_i32 s0, 14
	s_cbranch_scc0 .LBB103_335
; %bb.333:
	s_cmp_eq_u32 s0, 15
	s_cbranch_scc0 .LBB103_338
; %bb.334:
	s_wait_loadcnt 0x0
	global_load_u16 v1, v[4:5], off
	s_mov_b32 s23, -1
	s_mov_b32 s22, 0
	s_wait_loadcnt 0x0
	v_lshlrev_b32_e32 v1, 16, v1
	s_delay_alu instid0(VALU_DEP_1)
	v_cvt_i32_f32_e32 v1, v1
	s_branch .LBB103_339
.LBB103_335:
	s_mov_b32 s24, -1
                                        ; implicit-def: $vgpr1
	s_branch .LBB103_340
.LBB103_336:
	s_and_not1_saveexec_b32 s23, s23
	s_cbranch_execz .LBB103_317
.LBB103_337:
	v_cmp_ne_u16_e32 vcc_lo, 0, v3
	s_and_not1_b32 s24, s24, exec_lo
	s_and_b32 s25, vcc_lo, exec_lo
	s_delay_alu instid0(SALU_CYCLE_1)
	s_or_b32 s24, s24, s25
	s_or_b32 exec_lo, exec_lo, s23
	v_mov_b32_e32 v1, 0
	s_and_saveexec_b32 s23, s24
	s_cbranch_execnz .LBB103_318
	s_branch .LBB103_319
.LBB103_338:
	s_mov_b32 s22, -1
                                        ; implicit-def: $vgpr1
.LBB103_339:
	s_mov_b32 s24, 0
.LBB103_340:
	s_delay_alu instid0(SALU_CYCLE_1)
	s_and_b32 vcc_lo, exec_lo, s24
	s_cbranch_vccz .LBB103_344
; %bb.341:
	s_cmp_eq_u32 s0, 11
	s_cbranch_scc0 .LBB103_343
; %bb.342:
	s_wait_loadcnt 0x0
	global_load_u8 v1, v[4:5], off
	s_mov_b32 s22, 0
	s_mov_b32 s23, -1
	s_wait_loadcnt 0x0
	v_cmp_ne_u16_e32 vcc_lo, 0, v1
	v_cndmask_b32_e64 v1, 0, 1, vcc_lo
	s_branch .LBB103_344
.LBB103_343:
	s_mov_b32 s22, -1
                                        ; implicit-def: $vgpr1
.LBB103_344:
	s_branch .LBB103_265
.LBB103_345:
	s_cmp_lt_i32 s0, 5
	s_cbranch_scc1 .LBB103_350
; %bb.346:
	s_cmp_lt_i32 s0, 8
	s_cbranch_scc1 .LBB103_351
; %bb.347:
	;; [unrolled: 3-line block ×3, first 2 shown]
	s_cmp_gt_i32 s0, 9
	s_cbranch_scc0 .LBB103_353
; %bb.349:
	global_load_b64 v[6:7], v[4:5], off
	s_mov_b32 s23, 0
	s_wait_loadcnt 0x0
	v_cvt_i32_f64_e32 v1, v[6:7]
	s_branch .LBB103_354
.LBB103_350:
	s_mov_b32 s23, -1
                                        ; implicit-def: $vgpr1
	s_branch .LBB103_372
.LBB103_351:
	s_mov_b32 s23, -1
                                        ; implicit-def: $vgpr1
	s_branch .LBB103_360
.LBB103_352:
	s_mov_b32 s23, -1
                                        ; implicit-def: $vgpr1
	s_branch .LBB103_357
.LBB103_353:
	s_mov_b32 s23, -1
                                        ; implicit-def: $vgpr1
.LBB103_354:
	s_delay_alu instid0(SALU_CYCLE_1)
	s_and_not1_b32 vcc_lo, exec_lo, s23
	s_cbranch_vccnz .LBB103_356
; %bb.355:
	s_wait_loadcnt 0x0
	global_load_b32 v1, v[4:5], off
	s_wait_loadcnt 0x0
	v_cvt_i32_f32_e32 v1, v1
.LBB103_356:
	s_mov_b32 s23, 0
.LBB103_357:
	s_delay_alu instid0(SALU_CYCLE_1)
	s_and_not1_b32 vcc_lo, exec_lo, s23
	s_cbranch_vccnz .LBB103_359
; %bb.358:
	s_wait_loadcnt 0x0
	global_load_b32 v1, v[4:5], off
	s_wait_loadcnt 0x0
	v_cvt_f32_f16_e32 v1, v1
	s_delay_alu instid0(VALU_DEP_1)
	v_cvt_i32_f32_e32 v1, v1
.LBB103_359:
	s_mov_b32 s23, 0
.LBB103_360:
	s_delay_alu instid0(SALU_CYCLE_1)
	s_and_not1_b32 vcc_lo, exec_lo, s23
	s_cbranch_vccnz .LBB103_371
; %bb.361:
	s_cmp_lt_i32 s0, 6
	s_cbranch_scc1 .LBB103_364
; %bb.362:
	s_cmp_gt_i32 s0, 6
	s_cbranch_scc0 .LBB103_365
; %bb.363:
	global_load_b64 v[6:7], v[4:5], off
	s_mov_b32 s23, 0
	s_wait_loadcnt 0x0
	v_cvt_i32_f64_e32 v1, v[6:7]
	s_branch .LBB103_366
.LBB103_364:
	s_mov_b32 s23, -1
                                        ; implicit-def: $vgpr1
	s_branch .LBB103_369
.LBB103_365:
	s_mov_b32 s23, -1
                                        ; implicit-def: $vgpr1
.LBB103_366:
	s_delay_alu instid0(SALU_CYCLE_1)
	s_and_not1_b32 vcc_lo, exec_lo, s23
	s_cbranch_vccnz .LBB103_368
; %bb.367:
	s_wait_loadcnt 0x0
	global_load_b32 v1, v[4:5], off
	s_wait_loadcnt 0x0
	v_cvt_i32_f32_e32 v1, v1
.LBB103_368:
	s_mov_b32 s23, 0
.LBB103_369:
	s_delay_alu instid0(SALU_CYCLE_1)
	s_and_not1_b32 vcc_lo, exec_lo, s23
	s_cbranch_vccnz .LBB103_371
; %bb.370:
	s_wait_loadcnt 0x0
	global_load_u16 v1, v[4:5], off
	s_wait_loadcnt 0x0
	v_cvt_f32_f16_e32 v1, v1
	s_delay_alu instid0(VALU_DEP_1)
	v_cvt_i32_f32_e32 v1, v1
.LBB103_371:
	s_mov_b32 s23, 0
.LBB103_372:
	s_delay_alu instid0(SALU_CYCLE_1)
	s_and_not1_b32 vcc_lo, exec_lo, s23
	s_cbranch_vccnz .LBB103_392
; %bb.373:
	s_cmp_lt_i32 s0, 2
	s_cbranch_scc1 .LBB103_377
; %bb.374:
	s_cmp_lt_i32 s0, 3
	s_cbranch_scc1 .LBB103_378
; %bb.375:
	s_cmp_gt_i32 s0, 3
	s_cbranch_scc0 .LBB103_379
; %bb.376:
	s_wait_loadcnt 0x0
	global_load_b32 v1, v[4:5], off
	s_mov_b32 s23, 0
	s_branch .LBB103_380
.LBB103_377:
	s_mov_b32 s23, -1
                                        ; implicit-def: $vgpr1
	s_branch .LBB103_386
.LBB103_378:
	s_mov_b32 s23, -1
                                        ; implicit-def: $vgpr1
	s_branch .LBB103_383
.LBB103_379:
	s_mov_b32 s23, -1
                                        ; implicit-def: $vgpr1
.LBB103_380:
	s_delay_alu instid0(SALU_CYCLE_1)
	s_and_not1_b32 vcc_lo, exec_lo, s23
	s_cbranch_vccnz .LBB103_382
; %bb.381:
	s_wait_loadcnt 0x0
	global_load_b32 v1, v[4:5], off
.LBB103_382:
	s_mov_b32 s23, 0
.LBB103_383:
	s_delay_alu instid0(SALU_CYCLE_1)
	s_and_not1_b32 vcc_lo, exec_lo, s23
	s_cbranch_vccnz .LBB103_385
; %bb.384:
	s_wait_loadcnt 0x0
	global_load_i16 v1, v[4:5], off
.LBB103_385:
	s_mov_b32 s23, 0
.LBB103_386:
	s_delay_alu instid0(SALU_CYCLE_1)
	s_and_not1_b32 vcc_lo, exec_lo, s23
	s_cbranch_vccnz .LBB103_392
; %bb.387:
	s_cmp_gt_i32 s0, 0
	s_mov_b32 s0, 0
	s_cbranch_scc0 .LBB103_389
; %bb.388:
	s_wait_loadcnt 0x0
	global_load_i8 v1, v[4:5], off
	s_branch .LBB103_390
.LBB103_389:
	s_mov_b32 s0, -1
                                        ; implicit-def: $vgpr1
.LBB103_390:
	s_delay_alu instid0(SALU_CYCLE_1)
	s_and_not1_b32 vcc_lo, exec_lo, s0
	s_cbranch_vccnz .LBB103_392
; %bb.391:
	s_wait_loadcnt 0x0
	global_load_u8 v1, v[4:5], off
.LBB103_392:
	s_branch .LBB103_266
.LBB103_393:
	s_mov_b32 s23, 0
	s_mov_b32 s25, s42
	;; [unrolled: 1-line block ×3, first 2 shown]
                                        ; implicit-def: $vgpr0
	s_branch .LBB103_478
.LBB103_394:
	s_mov_b32 s27, -1
	s_mov_b32 s26, 0
	s_mov_b32 s23, s42
.LBB103_395:
	s_and_b32 vcc_lo, exec_lo, s27
	s_cbranch_vccz .LBB103_398
; %bb.396:
	s_cmp_eq_u32 s25, 44
	s_mov_b32 s23, -1
	s_cbranch_scc0 .LBB103_398
; %bb.397:
	s_wait_xcnt 0x0
	v_mov_b32_e32 v1, 0
	s_mov_b32 s26, -1
	s_mov_b32 s23, 0
	global_store_b8 v[2:3], v1, off
.LBB103_398:
	s_mov_b32 s27, 0
.LBB103_399:
	s_delay_alu instid0(SALU_CYCLE_1)
	s_and_b32 vcc_lo, exec_lo, s27
	s_cbranch_vccz .LBB103_402
; %bb.400:
	s_cmp_eq_u32 s25, 29
	s_mov_b32 s23, -1
	s_cbranch_scc0 .LBB103_402
; %bb.401:
	v_mov_b64_e32 v[4:5], 0
	s_mov_b32 s26, -1
	s_mov_b32 s23, 0
	s_mov_b32 s27, 0
	global_store_b64 v[2:3], v[4:5], off
	s_branch .LBB103_403
.LBB103_402:
	s_mov_b32 s27, 0
.LBB103_403:
	s_delay_alu instid0(SALU_CYCLE_1)
	s_and_b32 vcc_lo, exec_lo, s27
	s_cbranch_vccz .LBB103_413
; %bb.404:
	s_cmp_lt_i32 s25, 27
	s_mov_b32 s26, -1
	s_cbranch_scc1 .LBB103_410
; %bb.405:
	s_cmp_gt_i32 s25, 27
	s_cbranch_scc0 .LBB103_407
; %bb.406:
	s_wait_xcnt 0x0
	v_mov_b32_e32 v1, 0
	s_mov_b32 s26, 0
	global_store_b32 v[2:3], v1, off
.LBB103_407:
	s_and_not1_b32 vcc_lo, exec_lo, s26
	s_cbranch_vccnz .LBB103_409
; %bb.408:
	s_wait_xcnt 0x0
	v_mov_b32_e32 v1, 0
	global_store_b16 v[2:3], v1, off
.LBB103_409:
	s_mov_b32 s26, 0
.LBB103_410:
	s_delay_alu instid0(SALU_CYCLE_1)
	s_and_not1_b32 vcc_lo, exec_lo, s26
	s_cbranch_vccnz .LBB103_412
; %bb.411:
	s_wait_xcnt 0x0
	v_mov_b32_e32 v1, 0
	global_store_b8 v[2:3], v1, off
.LBB103_412:
	s_mov_b32 s26, -1
.LBB103_413:
	s_mov_b32 s27, 0
.LBB103_414:
	s_delay_alu instid0(SALU_CYCLE_1)
	s_and_b32 vcc_lo, exec_lo, s27
	s_cbranch_vccz .LBB103_433
; %bb.415:
	s_cmp_gt_i32 s25, 22
	s_mov_b32 s27, -1
	s_cbranch_scc0 .LBB103_425
; %bb.416:
	s_cmp_lt_i32 s25, 24
	s_mov_b32 s26, -1
	s_cbranch_scc1 .LBB103_422
; %bb.417:
	s_cmp_gt_i32 s25, 24
	s_cbranch_scc0 .LBB103_419
; %bb.418:
	s_wait_xcnt 0x0
	v_mov_b32_e32 v1, 0
	s_mov_b32 s26, 0
	global_store_b8 v[2:3], v1, off
.LBB103_419:
	s_and_not1_b32 vcc_lo, exec_lo, s26
	s_cbranch_vccnz .LBB103_421
; %bb.420:
	s_wait_xcnt 0x0
	v_mov_b32_e32 v1, 0
	global_store_b8 v[2:3], v1, off
.LBB103_421:
	s_mov_b32 s26, 0
.LBB103_422:
	s_delay_alu instid0(SALU_CYCLE_1)
	s_and_not1_b32 vcc_lo, exec_lo, s26
	s_cbranch_vccnz .LBB103_424
; %bb.423:
	s_wait_xcnt 0x0
	v_mov_b32_e32 v1, 0
	global_store_b8 v[2:3], v1, off
.LBB103_424:
	s_mov_b32 s27, 0
	s_mov_b32 s26, -1
.LBB103_425:
	s_and_not1_b32 vcc_lo, exec_lo, s27
	s_cbranch_vccnz .LBB103_433
; %bb.426:
	s_cmp_gt_i32 s25, 14
	s_mov_b32 s27, -1
	s_cbranch_scc0 .LBB103_430
; %bb.427:
	s_cmp_eq_u32 s25, 15
	s_mov_b32 s23, -1
	s_cbranch_scc0 .LBB103_429
; %bb.428:
	s_wait_xcnt 0x0
	v_mov_b32_e32 v1, 0
	s_mov_b32 s26, -1
	s_mov_b32 s23, 0
	global_store_b16 v[2:3], v1, off
.LBB103_429:
	s_mov_b32 s27, 0
.LBB103_430:
	s_delay_alu instid0(SALU_CYCLE_1)
	s_and_b32 vcc_lo, exec_lo, s27
	s_cbranch_vccz .LBB103_433
; %bb.431:
	s_cmp_eq_u32 s25, 11
	s_mov_b32 s23, -1
	s_cbranch_scc0 .LBB103_433
; %bb.432:
	s_wait_xcnt 0x0
	v_mov_b32_e32 v1, 0
	s_mov_b32 s26, -1
	s_mov_b32 s23, 0
	global_store_b8 v[2:3], v1, off
.LBB103_433:
	s_mov_b32 s25, 0
.LBB103_434:
	s_delay_alu instid0(SALU_CYCLE_1)
	s_and_b32 vcc_lo, exec_lo, s25
	s_cbranch_vccz .LBB103_473
; %bb.435:
	s_and_b32 s24, 0xffff, s24
	s_mov_b32 s25, -1
	s_cmp_lt_i32 s24, 5
	s_cbranch_scc1 .LBB103_456
; %bb.436:
	s_cmp_lt_i32 s24, 8
	s_cbranch_scc1 .LBB103_446
; %bb.437:
	;; [unrolled: 3-line block ×3, first 2 shown]
	s_cmp_gt_i32 s24, 9
	s_cbranch_scc0 .LBB103_440
; %bb.439:
	s_wait_xcnt 0x0
	v_mov_b32_e32 v4, 0
	s_mov_b32 s25, 0
	s_delay_alu instid0(VALU_DEP_1)
	v_dual_mov_b32 v5, v4 :: v_dual_mov_b32 v6, v4
	v_mov_b32_e32 v7, v4
	global_store_b128 v[2:3], v[4:7], off
.LBB103_440:
	s_and_not1_b32 vcc_lo, exec_lo, s25
	s_cbranch_vccnz .LBB103_442
; %bb.441:
	s_wait_xcnt 0x0
	v_mov_b64_e32 v[4:5], 0
	global_store_b64 v[2:3], v[4:5], off
.LBB103_442:
	s_mov_b32 s25, 0
.LBB103_443:
	s_delay_alu instid0(SALU_CYCLE_1)
	s_and_not1_b32 vcc_lo, exec_lo, s25
	s_cbranch_vccnz .LBB103_445
; %bb.444:
	s_wait_xcnt 0x0
	v_mov_b32_e32 v1, 0
	global_store_b32 v[2:3], v1, off
.LBB103_445:
	s_mov_b32 s25, 0
.LBB103_446:
	s_delay_alu instid0(SALU_CYCLE_1)
	s_and_not1_b32 vcc_lo, exec_lo, s25
	s_cbranch_vccnz .LBB103_455
; %bb.447:
	s_cmp_lt_i32 s24, 6
	s_mov_b32 s25, -1
	s_cbranch_scc1 .LBB103_453
; %bb.448:
	s_cmp_gt_i32 s24, 6
	s_cbranch_scc0 .LBB103_450
; %bb.449:
	s_wait_xcnt 0x0
	v_mov_b64_e32 v[4:5], 0
	s_mov_b32 s25, 0
	global_store_b64 v[2:3], v[4:5], off
.LBB103_450:
	s_and_not1_b32 vcc_lo, exec_lo, s25
	s_cbranch_vccnz .LBB103_452
; %bb.451:
	s_wait_xcnt 0x0
	v_mov_b32_e32 v1, 0
	global_store_b32 v[2:3], v1, off
.LBB103_452:
	s_mov_b32 s25, 0
.LBB103_453:
	s_delay_alu instid0(SALU_CYCLE_1)
	s_and_not1_b32 vcc_lo, exec_lo, s25
	s_cbranch_vccnz .LBB103_455
; %bb.454:
	s_wait_xcnt 0x0
	v_mov_b32_e32 v1, 0
	global_store_b16 v[2:3], v1, off
.LBB103_455:
	s_mov_b32 s25, 0
.LBB103_456:
	s_delay_alu instid0(SALU_CYCLE_1)
	s_and_not1_b32 vcc_lo, exec_lo, s25
	s_cbranch_vccnz .LBB103_472
; %bb.457:
	s_cmp_lt_i32 s24, 2
	s_mov_b32 s25, -1
	s_cbranch_scc1 .LBB103_467
; %bb.458:
	s_cmp_lt_i32 s24, 3
	s_cbranch_scc1 .LBB103_464
; %bb.459:
	s_cmp_gt_i32 s24, 3
	s_cbranch_scc0 .LBB103_461
; %bb.460:
	s_wait_xcnt 0x0
	v_mov_b64_e32 v[4:5], 0
	s_mov_b32 s25, 0
	global_store_b64 v[2:3], v[4:5], off
.LBB103_461:
	s_and_not1_b32 vcc_lo, exec_lo, s25
	s_cbranch_vccnz .LBB103_463
; %bb.462:
	s_wait_xcnt 0x0
	v_mov_b32_e32 v1, 0
	global_store_b32 v[2:3], v1, off
.LBB103_463:
	s_mov_b32 s25, 0
.LBB103_464:
	s_delay_alu instid0(SALU_CYCLE_1)
	s_and_not1_b32 vcc_lo, exec_lo, s25
	s_cbranch_vccnz .LBB103_466
; %bb.465:
	s_wait_xcnt 0x0
	v_mov_b32_e32 v1, 0
	global_store_b16 v[2:3], v1, off
.LBB103_466:
	s_mov_b32 s25, 0
.LBB103_467:
	s_delay_alu instid0(SALU_CYCLE_1)
	s_and_not1_b32 vcc_lo, exec_lo, s25
	s_cbranch_vccnz .LBB103_472
; %bb.468:
	s_cmp_gt_i32 s24, 0
	s_mov_b32 s24, -1
	s_cbranch_scc0 .LBB103_470
; %bb.469:
	s_wait_xcnt 0x0
	v_mov_b32_e32 v1, 0
	s_mov_b32 s24, 0
	global_store_b8 v[2:3], v1, off
.LBB103_470:
	s_and_not1_b32 vcc_lo, exec_lo, s24
	s_cbranch_vccnz .LBB103_472
; %bb.471:
	s_wait_xcnt 0x0
	v_mov_b32_e32 v1, 0
	global_store_b8 v[2:3], v1, off
.LBB103_472:
	s_mov_b32 s26, -1
.LBB103_473:
	s_delay_alu instid0(SALU_CYCLE_1)
	s_and_not1_b32 vcc_lo, exec_lo, s26
	s_cbranch_vccnz .LBB103_475
; %bb.474:
	v_add_nc_u32_e32 v0, 0x80, v0
	s_mov_b32 s26, -1
	s_branch .LBB103_476
.LBB103_475:
	s_mov_b32 s26, 0
                                        ; implicit-def: $vgpr0
.LBB103_476:
	s_and_not1_b32 s24, s42, exec_lo
	s_and_b32 s23, s23, exec_lo
	s_delay_alu instid0(SALU_CYCLE_1)
	s_or_b32 s25, s24, s23
	s_xor_b32 s24, exec_lo, -1
	s_and_b32 s23, s26, exec_lo
.LBB103_477:
	s_wait_xcnt 0x0
	s_or_b32 exec_lo, exec_lo, s0
.LBB103_478:
	s_delay_alu instid0(SALU_CYCLE_1)
	s_and_not1_b32 s0, s42, exec_lo
	s_and_b32 s25, s25, exec_lo
	s_and_b32 s24, s24, exec_lo
	s_or_b32 s47, s0, s25
	s_and_not1_b32 s0, s43, exec_lo
	s_and_not1_b32 s25, s44, exec_lo
	s_and_b32 s22, s22, exec_lo
	s_or_b32 s48, s0, s24
	s_or_b32 s46, s25, s22
	s_or_not1_b32 s0, s23, exec_lo
.LBB103_479:
	s_wait_xcnt 0x0
	s_or_b32 exec_lo, exec_lo, s49
	s_mov_b32 s22, 0
	s_mov_b32 s23, 0
	;; [unrolled: 1-line block ×3, first 2 shown]
                                        ; implicit-def: $vgpr4_vgpr5
                                        ; implicit-def: $vgpr2
                                        ; implicit-def: $vgpr1
	s_and_saveexec_b32 s49, s0
	s_cbranch_execz .LBB103_816
; %bb.480:
	s_mov_b32 s25, -1
	s_mov_b32 s0, s46
	s_mov_b32 s27, s48
	s_mov_b32 s26, s47
	s_mov_b32 s50, exec_lo
	v_cmpx_gt_i32_e64 s39, v0
	s_cbranch_execz .LBB103_721
; %bb.481:
	s_and_not1_b32 vcc_lo, exec_lo, s31
	s_cbranch_vccnz .LBB103_487
; %bb.482:
	s_and_not1_b32 vcc_lo, exec_lo, s41
	s_cbranch_vccnz .LBB103_488
; %bb.483:
	s_add_co_i32 s0, s40, 1
	s_cmp_eq_u32 s29, 2
	s_cbranch_scc1 .LBB103_489
; %bb.484:
	v_dual_mov_b32 v2, 0 :: v_dual_mov_b32 v4, 0
	s_wait_loadcnt 0x0
	v_mov_b32_e32 v1, v0
	s_and_b32 s22, s0, 28
	s_mov_b64 s[24:25], s[2:3]
	s_mov_b64 s[26:27], s[20:21]
.LBB103_485:                            ; =>This Inner Loop Header: Depth=1
	s_clause 0x1
	s_load_b256 s[52:59], s[24:25], 0x4
	s_load_b128 s[68:71], s[24:25], 0x24
	s_load_b256 s[60:67], s[26:27], 0x0
	s_add_co_i32 s23, s23, 4
	s_wait_xcnt 0x0
	s_add_nc_u64 s[24:25], s[24:25], 48
	s_cmp_eq_u32 s22, s23
	s_add_nc_u64 s[26:27], s[26:27], 32
	s_wait_kmcnt 0x0
	v_mul_hi_u32 v3, s53, v1
	s_delay_alu instid0(VALU_DEP_1) | instskip(NEXT) | instid1(VALU_DEP_1)
	v_add_nc_u32_e32 v3, v1, v3
	v_lshrrev_b32_e32 v3, s54, v3
	s_delay_alu instid0(VALU_DEP_1) | instskip(NEXT) | instid1(VALU_DEP_1)
	v_mul_hi_u32 v5, s56, v3
	v_add_nc_u32_e32 v5, v3, v5
	s_delay_alu instid0(VALU_DEP_1) | instskip(NEXT) | instid1(VALU_DEP_1)
	v_lshrrev_b32_e32 v5, s57, v5
	v_mul_hi_u32 v6, s59, v5
	s_delay_alu instid0(VALU_DEP_1) | instskip(SKIP_1) | instid1(VALU_DEP_1)
	v_add_nc_u32_e32 v6, v5, v6
	v_mul_lo_u32 v7, v3, s52
	v_sub_nc_u32_e32 v1, v1, v7
	v_mul_lo_u32 v7, v5, s55
	s_delay_alu instid0(VALU_DEP_4) | instskip(NEXT) | instid1(VALU_DEP_3)
	v_lshrrev_b32_e32 v6, s68, v6
	v_mad_u32 v4, v1, s61, v4
	v_mad_u32 v1, v1, s60, v2
	s_delay_alu instid0(VALU_DEP_4) | instskip(NEXT) | instid1(VALU_DEP_4)
	v_sub_nc_u32_e32 v2, v3, v7
	v_mul_hi_u32 v8, s70, v6
	v_mul_lo_u32 v3, v6, s58
	s_delay_alu instid0(VALU_DEP_3) | instskip(SKIP_1) | instid1(VALU_DEP_3)
	v_mad_u32 v4, v2, s63, v4
	v_mad_u32 v2, v2, s62, v1
	v_dual_add_nc_u32 v7, v6, v8 :: v_dual_sub_nc_u32 v3, v5, v3
	s_delay_alu instid0(VALU_DEP_1) | instskip(NEXT) | instid1(VALU_DEP_2)
	v_lshrrev_b32_e32 v1, s71, v7
	v_mad_u32 v4, v3, s65, v4
	s_delay_alu instid0(VALU_DEP_4) | instskip(NEXT) | instid1(VALU_DEP_3)
	v_mad_u32 v2, v3, s64, v2
	v_mul_lo_u32 v5, v1, s69
	s_delay_alu instid0(VALU_DEP_1) | instskip(NEXT) | instid1(VALU_DEP_1)
	v_sub_nc_u32_e32 v3, v6, v5
	v_mad_u32 v4, v3, s67, v4
	s_delay_alu instid0(VALU_DEP_4)
	v_mad_u32 v2, v3, s66, v2
	s_cbranch_scc0 .LBB103_485
; %bb.486:
	s_delay_alu instid0(VALU_DEP_2)
	v_mov_b32_e32 v3, v4
	s_branch .LBB103_490
.LBB103_487:
	s_mov_b32 s0, -1
                                        ; implicit-def: $vgpr4
                                        ; implicit-def: $vgpr2
	s_branch .LBB103_495
.LBB103_488:
	v_dual_mov_b32 v4, 0 :: v_dual_mov_b32 v2, 0
	s_branch .LBB103_494
.LBB103_489:
	v_mov_b64_e32 v[2:3], 0
	s_wait_loadcnt 0x0
	v_mov_b32_e32 v1, v0
                                        ; implicit-def: $vgpr4
.LBB103_490:
	s_and_b32 s0, s0, 3
	s_mov_b32 s23, 0
	s_cmp_eq_u32 s0, 0
	s_cbranch_scc1 .LBB103_494
; %bb.491:
	s_lshl_b32 s24, s22, 3
	s_mov_b32 s25, s23
	s_mul_u64 s[26:27], s[22:23], 12
	s_add_nc_u64 s[24:25], s[2:3], s[24:25]
	s_delay_alu instid0(SALU_CYCLE_1)
	s_add_nc_u64 s[22:23], s[24:25], 0xc4
	s_add_nc_u64 s[24:25], s[2:3], s[26:27]
.LBB103_492:                            ; =>This Inner Loop Header: Depth=1
	s_load_b96 s[52:54], s[24:25], 0x4
	s_load_b64 s[26:27], s[22:23], 0x0
	s_add_co_i32 s0, s0, -1
	s_wait_xcnt 0x0
	s_add_nc_u64 s[24:25], s[24:25], 12
	s_cmp_lg_u32 s0, 0
	s_add_nc_u64 s[22:23], s[22:23], 8
	s_wait_kmcnt 0x0
	v_mul_hi_u32 v4, s53, v1
	s_delay_alu instid0(VALU_DEP_1) | instskip(NEXT) | instid1(VALU_DEP_1)
	v_add_nc_u32_e32 v4, v1, v4
	v_lshrrev_b32_e32 v4, s54, v4
	s_delay_alu instid0(VALU_DEP_1) | instskip(NEXT) | instid1(VALU_DEP_1)
	v_mul_lo_u32 v5, v4, s52
	v_sub_nc_u32_e32 v1, v1, v5
	s_delay_alu instid0(VALU_DEP_1)
	v_mad_u32 v3, v1, s27, v3
	v_mad_u32 v2, v1, s26, v2
	v_mov_b32_e32 v1, v4
	s_cbranch_scc1 .LBB103_492
; %bb.493:
	s_delay_alu instid0(VALU_DEP_3)
	v_mov_b32_e32 v4, v3
.LBB103_494:
	s_mov_b32 s0, 0
.LBB103_495:
	s_delay_alu instid0(SALU_CYCLE_1)
	s_and_not1_b32 vcc_lo, exec_lo, s0
	s_cbranch_vccnz .LBB103_498
; %bb.496:
	s_wait_loadcnt 0x0
	v_mov_b32_e32 v1, 0
	s_and_not1_b32 vcc_lo, exec_lo, s38
	s_delay_alu instid0(VALU_DEP_1) | instskip(NEXT) | instid1(VALU_DEP_1)
	v_mul_u64_e32 v[2:3], s[16:17], v[0:1]
	v_add_nc_u32_e32 v2, v0, v3
	s_delay_alu instid0(VALU_DEP_1) | instskip(NEXT) | instid1(VALU_DEP_1)
	v_lshrrev_b32_e32 v6, s10, v2
	v_mul_lo_u32 v2, v6, s8
	s_delay_alu instid0(VALU_DEP_1) | instskip(NEXT) | instid1(VALU_DEP_1)
	v_sub_nc_u32_e32 v2, v0, v2
	v_mul_lo_u32 v4, v2, s13
	v_mul_lo_u32 v2, v2, s12
	s_cbranch_vccnz .LBB103_498
; %bb.497:
	v_mov_b32_e32 v7, v1
	s_delay_alu instid0(VALU_DEP_1) | instskip(NEXT) | instid1(VALU_DEP_1)
	v_mul_u64_e32 v[8:9], s[18:19], v[6:7]
	v_add_nc_u32_e32 v1, v6, v9
	s_delay_alu instid0(VALU_DEP_1) | instskip(NEXT) | instid1(VALU_DEP_1)
	v_lshrrev_b32_e32 v1, s1, v1
	v_mul_lo_u32 v1, v1, s11
	s_delay_alu instid0(VALU_DEP_1) | instskip(NEXT) | instid1(VALU_DEP_1)
	v_sub_nc_u32_e32 v1, v6, v1
	v_mad_u32 v2, v1, s14, v2
	v_mad_u32 v4, v1, s15, v4
.LBB103_498:
	v_mov_b32_e32 v5, 0
	s_and_b32 s0, 0xffff, s37
	s_delay_alu instid0(SALU_CYCLE_1) | instskip(NEXT) | instid1(VALU_DEP_1)
	s_cmp_lt_i32 s0, 11
	v_add_nc_u64_e32 v[4:5], s[6:7], v[4:5]
	s_cbranch_scc1 .LBB103_505
; %bb.499:
	s_cmp_gt_i32 s0, 25
	s_cbranch_scc0 .LBB103_506
; %bb.500:
	s_cmp_gt_i32 s0, 28
	s_cbranch_scc0 .LBB103_507
	;; [unrolled: 3-line block ×4, first 2 shown]
; %bb.503:
	s_cmp_eq_u32 s0, 46
	s_mov_b32 s24, 0
	s_cbranch_scc0 .LBB103_510
; %bb.504:
	s_wait_loadcnt 0x0
	global_load_b32 v1, v[4:5], off
	s_mov_b32 s23, -1
	s_mov_b32 s22, 0
	s_wait_loadcnt 0x0
	v_lshlrev_b32_e32 v1, 16, v1
	s_delay_alu instid0(VALU_DEP_1)
	v_cvt_i32_f32_e32 v1, v1
	s_branch .LBB103_512
.LBB103_505:
	s_mov_b32 s24, -1
	s_mov_b32 s23, 0
	s_mov_b32 s22, s46
                                        ; implicit-def: $vgpr1
	s_branch .LBB103_573
.LBB103_506:
	s_mov_b32 s24, -1
	s_mov_b32 s23, 0
	s_mov_b32 s22, s46
                                        ; implicit-def: $vgpr1
	s_branch .LBB103_539
.LBB103_507:
	s_mov_b32 s24, -1
	s_mov_b32 s23, 0
	s_mov_b32 s22, s46
                                        ; implicit-def: $vgpr1
	s_branch .LBB103_522
.LBB103_508:
	s_mov_b32 s24, -1
	s_mov_b32 s23, 0
	s_mov_b32 s22, s46
                                        ; implicit-def: $vgpr1
	s_branch .LBB103_517
.LBB103_509:
	s_mov_b32 s24, -1
	s_mov_b32 s23, 0
	s_mov_b32 s22, s46
	s_branch .LBB103_511
.LBB103_510:
	s_mov_b32 s22, -1
	s_mov_b32 s23, 0
.LBB103_511:
                                        ; implicit-def: $vgpr1
.LBB103_512:
	s_and_b32 vcc_lo, exec_lo, s24
	s_cbranch_vccz .LBB103_516
; %bb.513:
	s_cmp_eq_u32 s0, 44
	s_cbranch_scc0 .LBB103_515
; %bb.514:
	s_wait_loadcnt 0x0
	global_load_u8 v1, v[4:5], off
	s_mov_b32 s22, 0
	s_mov_b32 s23, -1
	s_wait_loadcnt 0x0
	v_lshlrev_b32_e32 v3, 23, v1
	v_cmp_ne_u32_e32 vcc_lo, 0, v1
	s_delay_alu instid0(VALU_DEP_2) | instskip(NEXT) | instid1(VALU_DEP_1)
	v_cvt_i32_f32_e32 v3, v3
	v_cndmask_b32_e32 v1, 0, v3, vcc_lo
	s_branch .LBB103_516
.LBB103_515:
	s_mov_b32 s22, -1
                                        ; implicit-def: $vgpr1
.LBB103_516:
	s_mov_b32 s24, 0
.LBB103_517:
	s_delay_alu instid0(SALU_CYCLE_1)
	s_and_b32 vcc_lo, exec_lo, s24
	s_cbranch_vccz .LBB103_521
; %bb.518:
	s_cmp_eq_u32 s0, 29
	s_cbranch_scc0 .LBB103_520
; %bb.519:
	s_wait_loadcnt 0x0
	global_load_b32 v1, v[4:5], off
	s_mov_b32 s23, -1
	s_mov_b32 s22, 0
	s_branch .LBB103_521
.LBB103_520:
	s_mov_b32 s22, -1
                                        ; implicit-def: $vgpr1
.LBB103_521:
	s_mov_b32 s24, 0
.LBB103_522:
	s_delay_alu instid0(SALU_CYCLE_1)
	s_and_b32 vcc_lo, exec_lo, s24
	s_cbranch_vccz .LBB103_538
; %bb.523:
	s_cmp_lt_i32 s0, 27
	s_cbranch_scc1 .LBB103_526
; %bb.524:
	s_cmp_gt_i32 s0, 27
	s_cbranch_scc0 .LBB103_527
; %bb.525:
	s_wait_loadcnt 0x0
	global_load_b32 v1, v[4:5], off
	s_mov_b32 s23, 0
	s_branch .LBB103_528
.LBB103_526:
	s_mov_b32 s23, -1
                                        ; implicit-def: $vgpr1
	s_branch .LBB103_531
.LBB103_527:
	s_mov_b32 s23, -1
                                        ; implicit-def: $vgpr1
.LBB103_528:
	s_delay_alu instid0(SALU_CYCLE_1)
	s_and_not1_b32 vcc_lo, exec_lo, s23
	s_cbranch_vccnz .LBB103_530
; %bb.529:
	s_wait_loadcnt 0x0
	global_load_u16 v1, v[4:5], off
.LBB103_530:
	s_mov_b32 s23, 0
.LBB103_531:
	s_delay_alu instid0(SALU_CYCLE_1)
	s_and_not1_b32 vcc_lo, exec_lo, s23
	s_cbranch_vccnz .LBB103_537
; %bb.532:
	global_load_u8 v3, v[4:5], off
	s_mov_b32 s24, 0
	s_mov_b32 s23, exec_lo
	s_wait_loadcnt 0x0
	v_cmpx_lt_i16_e32 0x7f, v3
	s_xor_b32 s23, exec_lo, s23
	s_cbranch_execz .LBB103_549
; %bb.533:
	v_cmp_ne_u16_e32 vcc_lo, 0x80, v3
	s_and_b32 s24, vcc_lo, exec_lo
	s_and_not1_saveexec_b32 s23, s23
	s_cbranch_execnz .LBB103_550
.LBB103_534:
	s_or_b32 exec_lo, exec_lo, s23
	v_mov_b32_e32 v1, 0
	s_and_saveexec_b32 s23, s24
	s_cbranch_execz .LBB103_536
.LBB103_535:
	v_and_b32_e32 v1, 0xffff, v3
	s_delay_alu instid0(VALU_DEP_1) | instskip(SKIP_1) | instid1(VALU_DEP_2)
	v_and_b32_e32 v6, 7, v1
	v_bfe_u32 v9, v1, 3, 4
	v_clz_i32_u32_e32 v7, v6
	s_delay_alu instid0(VALU_DEP_2) | instskip(NEXT) | instid1(VALU_DEP_2)
	v_cmp_eq_u32_e32 vcc_lo, 0, v9
	v_min_u32_e32 v7, 32, v7
	s_delay_alu instid0(VALU_DEP_1) | instskip(NEXT) | instid1(VALU_DEP_1)
	v_subrev_nc_u32_e32 v8, 28, v7
	v_dual_lshlrev_b32 v1, v8, v1 :: v_dual_sub_nc_u32 v7, 29, v7
	s_delay_alu instid0(VALU_DEP_1) | instskip(NEXT) | instid1(VALU_DEP_1)
	v_dual_lshlrev_b32 v3, 24, v3 :: v_dual_bitop2_b32 v1, 7, v1 bitop3:0x40
	v_dual_cndmask_b32 v1, v6, v1, vcc_lo :: v_dual_cndmask_b32 v7, v9, v7, vcc_lo
	s_delay_alu instid0(VALU_DEP_2) | instskip(NEXT) | instid1(VALU_DEP_2)
	v_and_b32_e32 v3, 0x80000000, v3
	v_lshlrev_b32_e32 v1, 20, v1
	s_delay_alu instid0(VALU_DEP_3) | instskip(NEXT) | instid1(VALU_DEP_1)
	v_lshl_add_u32 v6, v7, 23, 0x3b800000
	v_or3_b32 v1, v3, v6, v1
	s_delay_alu instid0(VALU_DEP_1)
	v_cvt_i32_f32_e32 v1, v1
.LBB103_536:
	s_or_b32 exec_lo, exec_lo, s23
.LBB103_537:
	s_mov_b32 s23, -1
.LBB103_538:
	s_mov_b32 s24, 0
.LBB103_539:
	s_delay_alu instid0(SALU_CYCLE_1)
	s_and_b32 vcc_lo, exec_lo, s24
	s_cbranch_vccz .LBB103_572
; %bb.540:
	s_cmp_gt_i32 s0, 22
	s_cbranch_scc0 .LBB103_548
; %bb.541:
	s_cmp_lt_i32 s0, 24
	s_cbranch_scc1 .LBB103_551
; %bb.542:
	s_cmp_gt_i32 s0, 24
	s_cbranch_scc0 .LBB103_552
; %bb.543:
	global_load_u8 v3, v[4:5], off
	s_mov_b32 s24, 0
	s_mov_b32 s23, exec_lo
	s_wait_loadcnt 0x0
	v_cmpx_lt_i16_e32 0x7f, v3
	s_xor_b32 s23, exec_lo, s23
	s_cbranch_execz .LBB103_564
; %bb.544:
	v_cmp_ne_u16_e32 vcc_lo, 0x80, v3
	s_and_b32 s24, vcc_lo, exec_lo
	s_and_not1_saveexec_b32 s23, s23
	s_cbranch_execnz .LBB103_565
.LBB103_545:
	s_or_b32 exec_lo, exec_lo, s23
	v_mov_b32_e32 v1, 0
	s_and_saveexec_b32 s23, s24
	s_cbranch_execz .LBB103_547
.LBB103_546:
	v_and_b32_e32 v1, 0xffff, v3
	s_delay_alu instid0(VALU_DEP_1) | instskip(SKIP_1) | instid1(VALU_DEP_2)
	v_and_b32_e32 v6, 3, v1
	v_bfe_u32 v9, v1, 2, 5
	v_clz_i32_u32_e32 v7, v6
	s_delay_alu instid0(VALU_DEP_2) | instskip(NEXT) | instid1(VALU_DEP_2)
	v_cmp_eq_u32_e32 vcc_lo, 0, v9
	v_min_u32_e32 v7, 32, v7
	s_delay_alu instid0(VALU_DEP_1) | instskip(NEXT) | instid1(VALU_DEP_1)
	v_subrev_nc_u32_e32 v8, 29, v7
	v_dual_lshlrev_b32 v1, v8, v1 :: v_dual_sub_nc_u32 v7, 30, v7
	s_delay_alu instid0(VALU_DEP_1) | instskip(NEXT) | instid1(VALU_DEP_1)
	v_dual_lshlrev_b32 v3, 24, v3 :: v_dual_bitop2_b32 v1, 3, v1 bitop3:0x40
	v_dual_cndmask_b32 v1, v6, v1, vcc_lo :: v_dual_cndmask_b32 v7, v9, v7, vcc_lo
	s_delay_alu instid0(VALU_DEP_2) | instskip(NEXT) | instid1(VALU_DEP_2)
	v_and_b32_e32 v3, 0x80000000, v3
	v_lshlrev_b32_e32 v1, 21, v1
	s_delay_alu instid0(VALU_DEP_3) | instskip(NEXT) | instid1(VALU_DEP_1)
	v_lshl_add_u32 v6, v7, 23, 0x37800000
	v_or3_b32 v1, v3, v6, v1
	s_delay_alu instid0(VALU_DEP_1)
	v_cvt_i32_f32_e32 v1, v1
.LBB103_547:
	s_or_b32 exec_lo, exec_lo, s23
	s_mov_b32 s23, 0
	s_branch .LBB103_553
.LBB103_548:
	s_mov_b32 s24, -1
                                        ; implicit-def: $vgpr1
	s_branch .LBB103_559
.LBB103_549:
	s_and_not1_saveexec_b32 s23, s23
	s_cbranch_execz .LBB103_534
.LBB103_550:
	v_cmp_ne_u16_e32 vcc_lo, 0, v3
	s_and_not1_b32 s24, s24, exec_lo
	s_and_b32 s25, vcc_lo, exec_lo
	s_delay_alu instid0(SALU_CYCLE_1)
	s_or_b32 s24, s24, s25
	s_or_b32 exec_lo, exec_lo, s23
	v_mov_b32_e32 v1, 0
	s_and_saveexec_b32 s23, s24
	s_cbranch_execnz .LBB103_535
	s_branch .LBB103_536
.LBB103_551:
	s_mov_b32 s23, -1
                                        ; implicit-def: $vgpr1
	s_branch .LBB103_556
.LBB103_552:
	s_mov_b32 s23, -1
                                        ; implicit-def: $vgpr1
.LBB103_553:
	s_delay_alu instid0(SALU_CYCLE_1)
	s_and_b32 vcc_lo, exec_lo, s23
	s_cbranch_vccz .LBB103_555
; %bb.554:
	s_wait_loadcnt 0x0
	global_load_u8 v1, v[4:5], off
	s_wait_loadcnt 0x0
	v_lshlrev_b32_e32 v1, 24, v1
	s_delay_alu instid0(VALU_DEP_1) | instskip(NEXT) | instid1(VALU_DEP_1)
	v_and_b32_e32 v3, 0x7f000000, v1
	v_clz_i32_u32_e32 v6, v3
	v_cmp_ne_u32_e32 vcc_lo, 0, v3
	v_add_nc_u32_e32 v8, 0x1000000, v3
	s_delay_alu instid0(VALU_DEP_3) | instskip(NEXT) | instid1(VALU_DEP_1)
	v_min_u32_e32 v6, 32, v6
	v_sub_nc_u32_e64 v6, v6, 4 clamp
	s_delay_alu instid0(VALU_DEP_1) | instskip(NEXT) | instid1(VALU_DEP_1)
	v_dual_lshlrev_b32 v7, v6, v3 :: v_dual_lshlrev_b32 v6, 23, v6
	v_lshrrev_b32_e32 v7, 4, v7
	s_delay_alu instid0(VALU_DEP_1) | instskip(NEXT) | instid1(VALU_DEP_1)
	v_dual_sub_nc_u32 v6, v7, v6 :: v_dual_ashrrev_i32 v7, 8, v8
	v_add_nc_u32_e32 v6, 0x3c000000, v6
	s_delay_alu instid0(VALU_DEP_1) | instskip(NEXT) | instid1(VALU_DEP_1)
	v_and_or_b32 v6, 0x7f800000, v7, v6
	v_cndmask_b32_e32 v3, 0, v6, vcc_lo
	s_delay_alu instid0(VALU_DEP_1) | instskip(NEXT) | instid1(VALU_DEP_1)
	v_and_or_b32 v1, 0x80000000, v1, v3
	v_cvt_i32_f32_e32 v1, v1
.LBB103_555:
	s_mov_b32 s23, 0
.LBB103_556:
	s_delay_alu instid0(SALU_CYCLE_1)
	s_and_not1_b32 vcc_lo, exec_lo, s23
	s_cbranch_vccnz .LBB103_558
; %bb.557:
	s_wait_loadcnt 0x0
	global_load_u8 v1, v[4:5], off
	s_wait_loadcnt 0x0
	v_lshlrev_b32_e32 v3, 25, v1
	v_lshlrev_b16 v1, 8, v1
	s_delay_alu instid0(VALU_DEP_1) | instskip(SKIP_1) | instid1(VALU_DEP_2)
	v_and_or_b32 v7, 0x7f00, v1, 0.5
	v_bfe_i32 v1, v1, 0, 16
	v_add_f32_e32 v7, -0.5, v7
	v_lshrrev_b32_e32 v6, 4, v3
	v_cmp_gt_u32_e32 vcc_lo, 0x8000000, v3
	s_delay_alu instid0(VALU_DEP_2) | instskip(NEXT) | instid1(VALU_DEP_1)
	v_or_b32_e32 v6, 0x70000000, v6
	v_mul_f32_e32 v6, 0x7800000, v6
	s_delay_alu instid0(VALU_DEP_1) | instskip(NEXT) | instid1(VALU_DEP_1)
	v_cndmask_b32_e32 v3, v6, v7, vcc_lo
	v_and_or_b32 v1, 0x80000000, v1, v3
	s_delay_alu instid0(VALU_DEP_1)
	v_cvt_i32_f32_e32 v1, v1
.LBB103_558:
	s_mov_b32 s24, 0
	s_mov_b32 s23, -1
.LBB103_559:
	s_and_not1_b32 vcc_lo, exec_lo, s24
	s_cbranch_vccnz .LBB103_572
; %bb.560:
	s_cmp_gt_i32 s0, 14
	s_cbranch_scc0 .LBB103_563
; %bb.561:
	s_cmp_eq_u32 s0, 15
	s_cbranch_scc0 .LBB103_566
; %bb.562:
	s_wait_loadcnt 0x0
	global_load_u16 v1, v[4:5], off
	s_mov_b32 s23, -1
	s_mov_b32 s22, 0
	s_wait_loadcnt 0x0
	v_lshlrev_b32_e32 v1, 16, v1
	s_delay_alu instid0(VALU_DEP_1)
	v_cvt_i32_f32_e32 v1, v1
	s_branch .LBB103_567
.LBB103_563:
	s_mov_b32 s24, -1
                                        ; implicit-def: $vgpr1
	s_branch .LBB103_568
.LBB103_564:
	s_and_not1_saveexec_b32 s23, s23
	s_cbranch_execz .LBB103_545
.LBB103_565:
	v_cmp_ne_u16_e32 vcc_lo, 0, v3
	s_and_not1_b32 s24, s24, exec_lo
	s_and_b32 s25, vcc_lo, exec_lo
	s_delay_alu instid0(SALU_CYCLE_1)
	s_or_b32 s24, s24, s25
	s_or_b32 exec_lo, exec_lo, s23
	v_mov_b32_e32 v1, 0
	s_and_saveexec_b32 s23, s24
	s_cbranch_execnz .LBB103_546
	s_branch .LBB103_547
.LBB103_566:
	s_mov_b32 s22, -1
                                        ; implicit-def: $vgpr1
.LBB103_567:
	s_mov_b32 s24, 0
.LBB103_568:
	s_delay_alu instid0(SALU_CYCLE_1)
	s_and_b32 vcc_lo, exec_lo, s24
	s_cbranch_vccz .LBB103_572
; %bb.569:
	s_cmp_eq_u32 s0, 11
	s_cbranch_scc0 .LBB103_571
; %bb.570:
	s_wait_loadcnt 0x0
	global_load_u8 v1, v[4:5], off
	s_mov_b32 s22, 0
	s_mov_b32 s23, -1
	s_wait_loadcnt 0x0
	v_cmp_ne_u16_e32 vcc_lo, 0, v1
	v_cndmask_b32_e64 v1, 0, 1, vcc_lo
	s_branch .LBB103_572
.LBB103_571:
	s_mov_b32 s22, -1
                                        ; implicit-def: $vgpr1
.LBB103_572:
	s_mov_b32 s24, 0
.LBB103_573:
	s_delay_alu instid0(SALU_CYCLE_1)
	s_and_b32 vcc_lo, exec_lo, s24
	s_cbranch_vccz .LBB103_622
; %bb.574:
	s_cmp_lt_i32 s0, 5
	s_cbranch_scc1 .LBB103_579
; %bb.575:
	s_cmp_lt_i32 s0, 8
	s_cbranch_scc1 .LBB103_580
	;; [unrolled: 3-line block ×3, first 2 shown]
; %bb.577:
	s_cmp_gt_i32 s0, 9
	s_cbranch_scc0 .LBB103_582
; %bb.578:
	global_load_b64 v[6:7], v[4:5], off
	s_mov_b32 s23, 0
	s_wait_loadcnt 0x0
	v_cvt_i32_f64_e32 v1, v[6:7]
	s_branch .LBB103_583
.LBB103_579:
	s_mov_b32 s23, -1
                                        ; implicit-def: $vgpr1
	s_branch .LBB103_601
.LBB103_580:
	s_mov_b32 s23, -1
                                        ; implicit-def: $vgpr1
	s_branch .LBB103_589
.LBB103_581:
	s_mov_b32 s23, -1
                                        ; implicit-def: $vgpr1
	s_branch .LBB103_586
.LBB103_582:
	s_mov_b32 s23, -1
                                        ; implicit-def: $vgpr1
.LBB103_583:
	s_delay_alu instid0(SALU_CYCLE_1)
	s_and_not1_b32 vcc_lo, exec_lo, s23
	s_cbranch_vccnz .LBB103_585
; %bb.584:
	s_wait_loadcnt 0x0
	global_load_b32 v1, v[4:5], off
	s_wait_loadcnt 0x0
	v_cvt_i32_f32_e32 v1, v1
.LBB103_585:
	s_mov_b32 s23, 0
.LBB103_586:
	s_delay_alu instid0(SALU_CYCLE_1)
	s_and_not1_b32 vcc_lo, exec_lo, s23
	s_cbranch_vccnz .LBB103_588
; %bb.587:
	s_wait_loadcnt 0x0
	global_load_b32 v1, v[4:5], off
	s_wait_loadcnt 0x0
	v_cvt_f32_f16_e32 v1, v1
	s_delay_alu instid0(VALU_DEP_1)
	v_cvt_i32_f32_e32 v1, v1
.LBB103_588:
	s_mov_b32 s23, 0
.LBB103_589:
	s_delay_alu instid0(SALU_CYCLE_1)
	s_and_not1_b32 vcc_lo, exec_lo, s23
	s_cbranch_vccnz .LBB103_600
; %bb.590:
	s_cmp_lt_i32 s0, 6
	s_cbranch_scc1 .LBB103_593
; %bb.591:
	s_cmp_gt_i32 s0, 6
	s_cbranch_scc0 .LBB103_594
; %bb.592:
	global_load_b64 v[6:7], v[4:5], off
	s_mov_b32 s23, 0
	s_wait_loadcnt 0x0
	v_cvt_i32_f64_e32 v1, v[6:7]
	s_branch .LBB103_595
.LBB103_593:
	s_mov_b32 s23, -1
                                        ; implicit-def: $vgpr1
	s_branch .LBB103_598
.LBB103_594:
	s_mov_b32 s23, -1
                                        ; implicit-def: $vgpr1
.LBB103_595:
	s_delay_alu instid0(SALU_CYCLE_1)
	s_and_not1_b32 vcc_lo, exec_lo, s23
	s_cbranch_vccnz .LBB103_597
; %bb.596:
	s_wait_loadcnt 0x0
	global_load_b32 v1, v[4:5], off
	s_wait_loadcnt 0x0
	v_cvt_i32_f32_e32 v1, v1
.LBB103_597:
	s_mov_b32 s23, 0
.LBB103_598:
	s_delay_alu instid0(SALU_CYCLE_1)
	s_and_not1_b32 vcc_lo, exec_lo, s23
	s_cbranch_vccnz .LBB103_600
; %bb.599:
	s_wait_loadcnt 0x0
	global_load_u16 v1, v[4:5], off
	s_wait_loadcnt 0x0
	v_cvt_f32_f16_e32 v1, v1
	s_delay_alu instid0(VALU_DEP_1)
	v_cvt_i32_f32_e32 v1, v1
.LBB103_600:
	s_mov_b32 s23, 0
.LBB103_601:
	s_delay_alu instid0(SALU_CYCLE_1)
	s_and_not1_b32 vcc_lo, exec_lo, s23
	s_cbranch_vccnz .LBB103_621
; %bb.602:
	s_cmp_lt_i32 s0, 2
	s_cbranch_scc1 .LBB103_606
; %bb.603:
	s_cmp_lt_i32 s0, 3
	s_cbranch_scc1 .LBB103_607
; %bb.604:
	s_cmp_gt_i32 s0, 3
	s_cbranch_scc0 .LBB103_608
; %bb.605:
	s_wait_loadcnt 0x0
	global_load_b32 v1, v[4:5], off
	s_mov_b32 s23, 0
	s_branch .LBB103_609
.LBB103_606:
	s_mov_b32 s23, -1
                                        ; implicit-def: $vgpr1
	s_branch .LBB103_615
.LBB103_607:
	s_mov_b32 s23, -1
                                        ; implicit-def: $vgpr1
	s_branch .LBB103_612
.LBB103_608:
	s_mov_b32 s23, -1
                                        ; implicit-def: $vgpr1
.LBB103_609:
	s_delay_alu instid0(SALU_CYCLE_1)
	s_and_not1_b32 vcc_lo, exec_lo, s23
	s_cbranch_vccnz .LBB103_611
; %bb.610:
	s_wait_loadcnt 0x0
	global_load_b32 v1, v[4:5], off
.LBB103_611:
	s_mov_b32 s23, 0
.LBB103_612:
	s_delay_alu instid0(SALU_CYCLE_1)
	s_and_not1_b32 vcc_lo, exec_lo, s23
	s_cbranch_vccnz .LBB103_614
; %bb.613:
	s_wait_loadcnt 0x0
	global_load_i16 v1, v[4:5], off
.LBB103_614:
	s_mov_b32 s23, 0
.LBB103_615:
	s_delay_alu instid0(SALU_CYCLE_1)
	s_and_not1_b32 vcc_lo, exec_lo, s23
	s_cbranch_vccnz .LBB103_621
; %bb.616:
	s_cmp_gt_i32 s0, 0
	s_mov_b32 s0, 0
	s_cbranch_scc0 .LBB103_618
; %bb.617:
	s_wait_loadcnt 0x0
	global_load_i8 v1, v[4:5], off
	s_branch .LBB103_619
.LBB103_618:
	s_mov_b32 s0, -1
                                        ; implicit-def: $vgpr1
.LBB103_619:
	s_delay_alu instid0(SALU_CYCLE_1)
	s_and_not1_b32 vcc_lo, exec_lo, s0
	s_cbranch_vccnz .LBB103_621
; %bb.620:
	s_wait_loadcnt 0x0
	global_load_u8 v1, v[4:5], off
.LBB103_621:
	s_mov_b32 s23, -1
.LBB103_622:
	s_delay_alu instid0(SALU_CYCLE_1)
	s_and_not1_b32 vcc_lo, exec_lo, s23
	s_cbranch_vccnz .LBB103_631
; %bb.623:
	s_wait_loadcnt 0x0
	s_delay_alu instid0(VALU_DEP_1)
	v_cmp_le_i32_e32 vcc_lo, s35, v1
	v_cmp_gt_i32_e64 s0, s36, v1
	s_mov_b32 s23, 0
	s_mov_b32 s24, -1
	s_mov_b32 s25, s47
	s_and_b32 s0, vcc_lo, s0
	s_delay_alu instid0(SALU_CYCLE_1)
	s_and_b32 s26, s9, s0
	s_wait_xcnt 0x0
	s_and_saveexec_b32 s0, s26
	s_cbranch_execz .LBB103_719
; %bb.624:
	v_mov_b32_e32 v3, 0
	s_and_b32 s24, s34, 0xff
	s_delay_alu instid0(SALU_CYCLE_1) | instskip(NEXT) | instid1(VALU_DEP_1)
	s_cmp_lt_i32 s24, 11
	v_add_nc_u64_e32 v[2:3], s[4:5], v[2:3]
	s_cbranch_scc1 .LBB103_632
; %bb.625:
	s_and_b32 s25, 0xffff, s24
	s_delay_alu instid0(SALU_CYCLE_1)
	s_cmp_gt_i32 s25, 25
	s_cbranch_scc0 .LBB103_633
; %bb.626:
	s_cmp_gt_i32 s25, 28
	s_cbranch_scc0 .LBB103_634
; %bb.627:
	;; [unrolled: 3-line block ×4, first 2 shown]
	s_mov_b32 s27, 0
	s_mov_b32 s23, -1
	s_cmp_eq_u32 s25, 46
	s_mov_b32 s26, 0
	s_cbranch_scc0 .LBB103_637
; %bb.630:
	v_mov_b32_e32 v1, 0
	s_mov_b32 s26, -1
	s_mov_b32 s23, 0
	global_store_b32 v[2:3], v1, off
	s_branch .LBB103_637
.LBB103_631:
	s_mov_b32 s23, 0
	s_mov_b32 s25, s47
	;; [unrolled: 1-line block ×3, first 2 shown]
                                        ; implicit-def: $vgpr0
	s_branch .LBB103_720
.LBB103_632:
	s_mov_b32 s25, -1
	s_mov_b32 s26, 0
	s_mov_b32 s23, s47
	s_branch .LBB103_676
.LBB103_633:
	s_mov_b32 s27, -1
	s_mov_b32 s26, 0
	s_mov_b32 s23, s47
	s_branch .LBB103_656
.LBB103_634:
	s_mov_b32 s27, -1
	s_mov_b32 s26, 0
	s_mov_b32 s23, s47
	s_branch .LBB103_645
.LBB103_635:
	s_mov_b32 s27, -1
	s_mov_b32 s26, 0
	s_mov_b32 s23, s47
	s_branch .LBB103_641
.LBB103_636:
	s_mov_b32 s27, -1
	s_mov_b32 s26, 0
	s_mov_b32 s23, s47
.LBB103_637:
	s_and_b32 vcc_lo, exec_lo, s27
	s_cbranch_vccz .LBB103_640
; %bb.638:
	s_cmp_eq_u32 s25, 44
	s_mov_b32 s23, -1
	s_cbranch_scc0 .LBB103_640
; %bb.639:
	s_wait_xcnt 0x0
	v_mov_b32_e32 v1, 0
	s_mov_b32 s26, -1
	s_mov_b32 s23, 0
	global_store_b8 v[2:3], v1, off
.LBB103_640:
	s_mov_b32 s27, 0
.LBB103_641:
	s_delay_alu instid0(SALU_CYCLE_1)
	s_and_b32 vcc_lo, exec_lo, s27
	s_cbranch_vccz .LBB103_644
; %bb.642:
	s_cmp_eq_u32 s25, 29
	s_mov_b32 s23, -1
	s_cbranch_scc0 .LBB103_644
; %bb.643:
	v_mov_b64_e32 v[4:5], 0
	s_mov_b32 s26, -1
	s_mov_b32 s23, 0
	s_mov_b32 s27, 0
	global_store_b64 v[2:3], v[4:5], off
	s_branch .LBB103_645
.LBB103_644:
	s_mov_b32 s27, 0
.LBB103_645:
	s_delay_alu instid0(SALU_CYCLE_1)
	s_and_b32 vcc_lo, exec_lo, s27
	s_cbranch_vccz .LBB103_655
; %bb.646:
	s_cmp_lt_i32 s25, 27
	s_mov_b32 s26, -1
	s_cbranch_scc1 .LBB103_652
; %bb.647:
	s_cmp_gt_i32 s25, 27
	s_cbranch_scc0 .LBB103_649
; %bb.648:
	s_wait_xcnt 0x0
	v_mov_b32_e32 v1, 0
	s_mov_b32 s26, 0
	global_store_b32 v[2:3], v1, off
.LBB103_649:
	s_and_not1_b32 vcc_lo, exec_lo, s26
	s_cbranch_vccnz .LBB103_651
; %bb.650:
	s_wait_xcnt 0x0
	v_mov_b32_e32 v1, 0
	global_store_b16 v[2:3], v1, off
.LBB103_651:
	s_mov_b32 s26, 0
.LBB103_652:
	s_delay_alu instid0(SALU_CYCLE_1)
	s_and_not1_b32 vcc_lo, exec_lo, s26
	s_cbranch_vccnz .LBB103_654
; %bb.653:
	s_wait_xcnt 0x0
	v_mov_b32_e32 v1, 0
	global_store_b8 v[2:3], v1, off
.LBB103_654:
	s_mov_b32 s26, -1
.LBB103_655:
	s_mov_b32 s27, 0
.LBB103_656:
	s_delay_alu instid0(SALU_CYCLE_1)
	s_and_b32 vcc_lo, exec_lo, s27
	s_cbranch_vccz .LBB103_675
; %bb.657:
	s_cmp_gt_i32 s25, 22
	s_mov_b32 s27, -1
	s_cbranch_scc0 .LBB103_667
; %bb.658:
	s_cmp_lt_i32 s25, 24
	s_mov_b32 s26, -1
	s_cbranch_scc1 .LBB103_664
; %bb.659:
	s_cmp_gt_i32 s25, 24
	s_cbranch_scc0 .LBB103_661
; %bb.660:
	s_wait_xcnt 0x0
	v_mov_b32_e32 v1, 0
	s_mov_b32 s26, 0
	global_store_b8 v[2:3], v1, off
.LBB103_661:
	s_and_not1_b32 vcc_lo, exec_lo, s26
	s_cbranch_vccnz .LBB103_663
; %bb.662:
	s_wait_xcnt 0x0
	v_mov_b32_e32 v1, 0
	global_store_b8 v[2:3], v1, off
.LBB103_663:
	s_mov_b32 s26, 0
.LBB103_664:
	s_delay_alu instid0(SALU_CYCLE_1)
	s_and_not1_b32 vcc_lo, exec_lo, s26
	s_cbranch_vccnz .LBB103_666
; %bb.665:
	s_wait_xcnt 0x0
	v_mov_b32_e32 v1, 0
	global_store_b8 v[2:3], v1, off
.LBB103_666:
	s_mov_b32 s27, 0
	s_mov_b32 s26, -1
.LBB103_667:
	s_and_not1_b32 vcc_lo, exec_lo, s27
	s_cbranch_vccnz .LBB103_675
; %bb.668:
	s_cmp_gt_i32 s25, 14
	s_mov_b32 s27, -1
	s_cbranch_scc0 .LBB103_672
; %bb.669:
	s_cmp_eq_u32 s25, 15
	s_mov_b32 s23, -1
	s_cbranch_scc0 .LBB103_671
; %bb.670:
	s_wait_xcnt 0x0
	v_mov_b32_e32 v1, 0
	s_mov_b32 s26, -1
	s_mov_b32 s23, 0
	global_store_b16 v[2:3], v1, off
.LBB103_671:
	s_mov_b32 s27, 0
.LBB103_672:
	s_delay_alu instid0(SALU_CYCLE_1)
	s_and_b32 vcc_lo, exec_lo, s27
	s_cbranch_vccz .LBB103_675
; %bb.673:
	s_cmp_eq_u32 s25, 11
	s_mov_b32 s23, -1
	s_cbranch_scc0 .LBB103_675
; %bb.674:
	s_wait_xcnt 0x0
	v_mov_b32_e32 v1, 0
	s_mov_b32 s26, -1
	s_mov_b32 s23, 0
	global_store_b8 v[2:3], v1, off
.LBB103_675:
	s_mov_b32 s25, 0
.LBB103_676:
	s_delay_alu instid0(SALU_CYCLE_1)
	s_and_b32 vcc_lo, exec_lo, s25
	s_cbranch_vccz .LBB103_715
; %bb.677:
	s_and_b32 s24, 0xffff, s24
	s_mov_b32 s25, -1
	s_cmp_lt_i32 s24, 5
	s_cbranch_scc1 .LBB103_698
; %bb.678:
	s_cmp_lt_i32 s24, 8
	s_cbranch_scc1 .LBB103_688
; %bb.679:
	;; [unrolled: 3-line block ×3, first 2 shown]
	s_cmp_gt_i32 s24, 9
	s_cbranch_scc0 .LBB103_682
; %bb.681:
	s_wait_xcnt 0x0
	v_mov_b32_e32 v4, 0
	s_mov_b32 s25, 0
	s_delay_alu instid0(VALU_DEP_1)
	v_dual_mov_b32 v5, v4 :: v_dual_mov_b32 v6, v4
	v_mov_b32_e32 v7, v4
	global_store_b128 v[2:3], v[4:7], off
.LBB103_682:
	s_and_not1_b32 vcc_lo, exec_lo, s25
	s_cbranch_vccnz .LBB103_684
; %bb.683:
	s_wait_xcnt 0x0
	v_mov_b64_e32 v[4:5], 0
	global_store_b64 v[2:3], v[4:5], off
.LBB103_684:
	s_mov_b32 s25, 0
.LBB103_685:
	s_delay_alu instid0(SALU_CYCLE_1)
	s_and_not1_b32 vcc_lo, exec_lo, s25
	s_cbranch_vccnz .LBB103_687
; %bb.686:
	s_wait_xcnt 0x0
	v_mov_b32_e32 v1, 0
	global_store_b32 v[2:3], v1, off
.LBB103_687:
	s_mov_b32 s25, 0
.LBB103_688:
	s_delay_alu instid0(SALU_CYCLE_1)
	s_and_not1_b32 vcc_lo, exec_lo, s25
	s_cbranch_vccnz .LBB103_697
; %bb.689:
	s_cmp_lt_i32 s24, 6
	s_mov_b32 s25, -1
	s_cbranch_scc1 .LBB103_695
; %bb.690:
	s_cmp_gt_i32 s24, 6
	s_cbranch_scc0 .LBB103_692
; %bb.691:
	s_wait_xcnt 0x0
	v_mov_b64_e32 v[4:5], 0
	s_mov_b32 s25, 0
	global_store_b64 v[2:3], v[4:5], off
.LBB103_692:
	s_and_not1_b32 vcc_lo, exec_lo, s25
	s_cbranch_vccnz .LBB103_694
; %bb.693:
	s_wait_xcnt 0x0
	v_mov_b32_e32 v1, 0
	global_store_b32 v[2:3], v1, off
.LBB103_694:
	s_mov_b32 s25, 0
.LBB103_695:
	s_delay_alu instid0(SALU_CYCLE_1)
	s_and_not1_b32 vcc_lo, exec_lo, s25
	s_cbranch_vccnz .LBB103_697
; %bb.696:
	s_wait_xcnt 0x0
	v_mov_b32_e32 v1, 0
	global_store_b16 v[2:3], v1, off
.LBB103_697:
	s_mov_b32 s25, 0
.LBB103_698:
	s_delay_alu instid0(SALU_CYCLE_1)
	s_and_not1_b32 vcc_lo, exec_lo, s25
	s_cbranch_vccnz .LBB103_714
; %bb.699:
	s_cmp_lt_i32 s24, 2
	s_mov_b32 s25, -1
	s_cbranch_scc1 .LBB103_709
; %bb.700:
	s_cmp_lt_i32 s24, 3
	s_cbranch_scc1 .LBB103_706
; %bb.701:
	s_cmp_gt_i32 s24, 3
	s_cbranch_scc0 .LBB103_703
; %bb.702:
	s_wait_xcnt 0x0
	v_mov_b64_e32 v[4:5], 0
	s_mov_b32 s25, 0
	global_store_b64 v[2:3], v[4:5], off
.LBB103_703:
	s_and_not1_b32 vcc_lo, exec_lo, s25
	s_cbranch_vccnz .LBB103_705
; %bb.704:
	s_wait_xcnt 0x0
	v_mov_b32_e32 v1, 0
	global_store_b32 v[2:3], v1, off
.LBB103_705:
	s_mov_b32 s25, 0
.LBB103_706:
	s_delay_alu instid0(SALU_CYCLE_1)
	s_and_not1_b32 vcc_lo, exec_lo, s25
	s_cbranch_vccnz .LBB103_708
; %bb.707:
	s_wait_xcnt 0x0
	v_mov_b32_e32 v1, 0
	global_store_b16 v[2:3], v1, off
.LBB103_708:
	s_mov_b32 s25, 0
.LBB103_709:
	s_delay_alu instid0(SALU_CYCLE_1)
	s_and_not1_b32 vcc_lo, exec_lo, s25
	s_cbranch_vccnz .LBB103_714
; %bb.710:
	s_cmp_gt_i32 s24, 0
	s_mov_b32 s24, -1
	s_cbranch_scc0 .LBB103_712
; %bb.711:
	s_wait_xcnt 0x0
	v_mov_b32_e32 v1, 0
	s_mov_b32 s24, 0
	global_store_b8 v[2:3], v1, off
.LBB103_712:
	s_and_not1_b32 vcc_lo, exec_lo, s24
	s_cbranch_vccnz .LBB103_714
; %bb.713:
	s_wait_xcnt 0x0
	v_mov_b32_e32 v1, 0
	global_store_b8 v[2:3], v1, off
.LBB103_714:
	s_mov_b32 s26, -1
.LBB103_715:
	s_delay_alu instid0(SALU_CYCLE_1)
	s_and_not1_b32 vcc_lo, exec_lo, s26
	s_cbranch_vccnz .LBB103_717
; %bb.716:
	v_add_nc_u32_e32 v0, 0x80, v0
	s_mov_b32 s26, -1
	s_branch .LBB103_718
.LBB103_717:
	s_mov_b32 s26, 0
                                        ; implicit-def: $vgpr0
.LBB103_718:
	s_and_not1_b32 s24, s47, exec_lo
	s_and_b32 s23, s23, exec_lo
	s_delay_alu instid0(SALU_CYCLE_1)
	s_or_b32 s25, s24, s23
	s_xor_b32 s24, exec_lo, -1
	s_and_b32 s23, s26, exec_lo
.LBB103_719:
	s_wait_xcnt 0x0
	s_or_b32 exec_lo, exec_lo, s0
.LBB103_720:
	s_delay_alu instid0(SALU_CYCLE_1)
	s_and_not1_b32 s0, s47, exec_lo
	s_and_b32 s25, s25, exec_lo
	s_and_b32 s24, s24, exec_lo
	s_or_b32 s26, s0, s25
	s_and_not1_b32 s0, s48, exec_lo
	s_and_not1_b32 s25, s46, exec_lo
	s_and_b32 s22, s22, exec_lo
	s_or_b32 s27, s0, s24
	s_or_b32 s0, s25, s22
	s_or_not1_b32 s25, s23, exec_lo
.LBB103_721:
	s_wait_xcnt 0x0
	s_or_b32 exec_lo, exec_lo, s50
	s_mov_b32 s22, 0
	s_mov_b32 s23, 0
	;; [unrolled: 1-line block ×3, first 2 shown]
                                        ; implicit-def: $vgpr4_vgpr5
                                        ; implicit-def: $vgpr2
                                        ; implicit-def: $vgpr1
	s_and_saveexec_b32 s50, s25
	s_cbranch_execz .LBB103_815
; %bb.722:
	v_cmp_gt_i32_e32 vcc_lo, s39, v0
	s_mov_b32 s25, s0
                                        ; implicit-def: $vgpr4_vgpr5
                                        ; implicit-def: $vgpr2
                                        ; implicit-def: $vgpr1
	s_and_saveexec_b32 s39, vcc_lo
	s_cbranch_execz .LBB103_814
; %bb.723:
	s_and_not1_b32 vcc_lo, exec_lo, s31
	s_cbranch_vccnz .LBB103_729
; %bb.724:
	s_and_not1_b32 vcc_lo, exec_lo, s41
	s_cbranch_vccnz .LBB103_730
; %bb.725:
	s_add_co_i32 s40, s40, 1
	s_cmp_eq_u32 s29, 2
	s_cbranch_scc1 .LBB103_731
; %bb.726:
	v_dual_mov_b32 v2, 0 :: v_dual_mov_b32 v4, 0
	s_wait_loadcnt 0x0
	v_mov_b32_e32 v1, v0
	s_and_b32 s22, s40, 28
	s_mov_b64 s[24:25], s[2:3]
.LBB103_727:                            ; =>This Inner Loop Header: Depth=1
	s_clause 0x1
	s_load_b256 s[52:59], s[24:25], 0x4
	s_load_b128 s[68:71], s[24:25], 0x24
	s_load_b256 s[60:67], s[20:21], 0x0
	s_add_co_i32 s23, s23, 4
	s_wait_xcnt 0x0
	s_add_nc_u64 s[24:25], s[24:25], 48
	s_cmp_eq_u32 s22, s23
	s_add_nc_u64 s[20:21], s[20:21], 32
	s_wait_kmcnt 0x0
	v_mul_hi_u32 v3, s53, v1
	s_delay_alu instid0(VALU_DEP_1) | instskip(NEXT) | instid1(VALU_DEP_1)
	v_add_nc_u32_e32 v3, v1, v3
	v_lshrrev_b32_e32 v3, s54, v3
	s_delay_alu instid0(VALU_DEP_1) | instskip(NEXT) | instid1(VALU_DEP_1)
	v_mul_hi_u32 v5, s56, v3
	v_add_nc_u32_e32 v5, v3, v5
	s_delay_alu instid0(VALU_DEP_1) | instskip(NEXT) | instid1(VALU_DEP_1)
	v_lshrrev_b32_e32 v5, s57, v5
	v_mul_hi_u32 v6, s59, v5
	s_delay_alu instid0(VALU_DEP_1) | instskip(SKIP_1) | instid1(VALU_DEP_1)
	v_add_nc_u32_e32 v6, v5, v6
	v_mul_lo_u32 v7, v3, s52
	v_sub_nc_u32_e32 v1, v1, v7
	v_mul_lo_u32 v7, v5, s55
	s_delay_alu instid0(VALU_DEP_4) | instskip(NEXT) | instid1(VALU_DEP_3)
	v_lshrrev_b32_e32 v6, s68, v6
	v_mad_u32 v4, v1, s61, v4
	v_mad_u32 v1, v1, s60, v2
	s_delay_alu instid0(VALU_DEP_4) | instskip(NEXT) | instid1(VALU_DEP_4)
	v_sub_nc_u32_e32 v2, v3, v7
	v_mul_hi_u32 v8, s70, v6
	v_mul_lo_u32 v3, v6, s58
	s_delay_alu instid0(VALU_DEP_3) | instskip(SKIP_1) | instid1(VALU_DEP_3)
	v_mad_u32 v4, v2, s63, v4
	v_mad_u32 v2, v2, s62, v1
	v_dual_add_nc_u32 v7, v6, v8 :: v_dual_sub_nc_u32 v3, v5, v3
	s_delay_alu instid0(VALU_DEP_1) | instskip(NEXT) | instid1(VALU_DEP_2)
	v_lshrrev_b32_e32 v1, s71, v7
	v_mad_u32 v4, v3, s65, v4
	s_delay_alu instid0(VALU_DEP_4) | instskip(NEXT) | instid1(VALU_DEP_3)
	v_mad_u32 v2, v3, s64, v2
	v_mul_lo_u32 v5, v1, s69
	s_delay_alu instid0(VALU_DEP_1) | instskip(NEXT) | instid1(VALU_DEP_1)
	v_sub_nc_u32_e32 v3, v6, v5
	v_mad_u32 v4, v3, s67, v4
	s_delay_alu instid0(VALU_DEP_4)
	v_mad_u32 v2, v3, s66, v2
	s_cbranch_scc0 .LBB103_727
; %bb.728:
	s_delay_alu instid0(VALU_DEP_2)
	v_mov_b32_e32 v3, v4
	s_branch .LBB103_732
.LBB103_729:
	s_mov_b32 s20, -1
                                        ; implicit-def: $vgpr4
                                        ; implicit-def: $vgpr2
	s_branch .LBB103_737
.LBB103_730:
	v_dual_mov_b32 v4, 0 :: v_dual_mov_b32 v2, 0
	s_branch .LBB103_736
.LBB103_731:
	v_mov_b64_e32 v[2:3], 0
	s_wait_loadcnt 0x0
	v_mov_b32_e32 v1, v0
                                        ; implicit-def: $vgpr4
.LBB103_732:
	s_and_b32 s24, s40, 3
	s_mov_b32 s23, 0
	s_cmp_eq_u32 s24, 0
	s_cbranch_scc1 .LBB103_736
; %bb.733:
	s_lshl_b32 s20, s22, 3
	s_mov_b32 s21, s23
	s_mul_u64 s[22:23], s[22:23], 12
	s_add_nc_u64 s[20:21], s[2:3], s[20:21]
	s_add_nc_u64 s[22:23], s[2:3], s[22:23]
	;; [unrolled: 1-line block ×3, first 2 shown]
.LBB103_734:                            ; =>This Inner Loop Header: Depth=1
	s_load_b96 s[52:54], s[22:23], 0x4
	s_load_b64 s[40:41], s[20:21], 0x0
	s_add_co_i32 s24, s24, -1
	s_wait_xcnt 0x0
	s_add_nc_u64 s[22:23], s[22:23], 12
	s_cmp_lg_u32 s24, 0
	s_add_nc_u64 s[20:21], s[20:21], 8
	s_wait_kmcnt 0x0
	v_mul_hi_u32 v4, s53, v1
	s_delay_alu instid0(VALU_DEP_1) | instskip(NEXT) | instid1(VALU_DEP_1)
	v_add_nc_u32_e32 v4, v1, v4
	v_lshrrev_b32_e32 v4, s54, v4
	s_delay_alu instid0(VALU_DEP_1) | instskip(NEXT) | instid1(VALU_DEP_1)
	v_mul_lo_u32 v5, v4, s52
	v_sub_nc_u32_e32 v1, v1, v5
	s_delay_alu instid0(VALU_DEP_1)
	v_mad_u32 v3, v1, s41, v3
	v_mad_u32 v2, v1, s40, v2
	v_mov_b32_e32 v1, v4
	s_cbranch_scc1 .LBB103_734
; %bb.735:
	s_delay_alu instid0(VALU_DEP_3)
	v_mov_b32_e32 v4, v3
.LBB103_736:
	s_mov_b32 s20, 0
.LBB103_737:
	s_delay_alu instid0(SALU_CYCLE_1)
	s_and_not1_b32 vcc_lo, exec_lo, s20
	s_cbranch_vccnz .LBB103_740
; %bb.738:
	s_wait_loadcnt 0x0
	v_mov_b32_e32 v1, 0
	s_and_not1_b32 vcc_lo, exec_lo, s38
	s_delay_alu instid0(VALU_DEP_1) | instskip(NEXT) | instid1(VALU_DEP_1)
	v_mul_u64_e32 v[2:3], s[16:17], v[0:1]
	v_add_nc_u32_e32 v2, v0, v3
	s_delay_alu instid0(VALU_DEP_1) | instskip(NEXT) | instid1(VALU_DEP_1)
	v_lshrrev_b32_e32 v6, s10, v2
	v_mul_lo_u32 v2, v6, s8
	s_delay_alu instid0(VALU_DEP_1) | instskip(NEXT) | instid1(VALU_DEP_1)
	v_sub_nc_u32_e32 v0, v0, v2
	v_mul_lo_u32 v4, v0, s13
	v_mul_lo_u32 v2, v0, s12
	s_cbranch_vccnz .LBB103_740
; %bb.739:
	v_mov_b32_e32 v7, v1
	s_delay_alu instid0(VALU_DEP_1) | instskip(NEXT) | instid1(VALU_DEP_1)
	v_mul_u64_e32 v[0:1], s[18:19], v[6:7]
	v_add_nc_u32_e32 v0, v6, v1
	s_delay_alu instid0(VALU_DEP_1) | instskip(NEXT) | instid1(VALU_DEP_1)
	v_lshrrev_b32_e32 v0, s1, v0
	v_mul_lo_u32 v0, v0, s11
	s_delay_alu instid0(VALU_DEP_1) | instskip(NEXT) | instid1(VALU_DEP_1)
	v_sub_nc_u32_e32 v0, v6, v0
	v_mad_u32 v2, v0, s14, v2
	v_mad_u32 v4, v0, s15, v4
.LBB103_740:
	v_mov_b32_e32 v5, 0
	s_and_b32 s1, 0xffff, s37
	s_delay_alu instid0(SALU_CYCLE_1) | instskip(NEXT) | instid1(VALU_DEP_1)
	s_cmp_lt_i32 s1, 11
	v_add_nc_u64_e32 v[4:5], s[6:7], v[4:5]
	s_cbranch_scc1 .LBB103_747
; %bb.741:
	s_cmp_gt_i32 s1, 25
	s_mov_b32 s7, 0
	s_cbranch_scc0 .LBB103_748
; %bb.742:
	s_cmp_gt_i32 s1, 28
	s_cbranch_scc0 .LBB103_749
; %bb.743:
	s_cmp_gt_i32 s1, 43
	;; [unrolled: 3-line block ×3, first 2 shown]
	s_cbranch_scc0 .LBB103_751
; %bb.745:
	s_cmp_eq_u32 s1, 46
	s_mov_b32 s10, 0
	s_cbranch_scc0 .LBB103_752
; %bb.746:
	global_load_b32 v0, v[4:5], off
	s_mov_b32 s6, 0
	s_mov_b32 s8, -1
	s_wait_loadcnt 0x0
	v_lshlrev_b32_e32 v0, 16, v0
	s_delay_alu instid0(VALU_DEP_1)
	v_cvt_i32_f32_e32 v1, v0
	s_branch .LBB103_754
.LBB103_747:
	s_mov_b32 s1, -1
	s_mov_b32 s8, 0
	s_mov_b32 s7, 0
	;; [unrolled: 1-line block ×3, first 2 shown]
                                        ; implicit-def: $vgpr1
	s_branch .LBB103_813
.LBB103_748:
	s_mov_b32 s10, -1
	s_mov_b32 s8, 0
	s_mov_b32 s6, s0
                                        ; implicit-def: $vgpr1
	s_branch .LBB103_781
.LBB103_749:
	s_mov_b32 s10, -1
	s_mov_b32 s8, 0
	s_mov_b32 s6, s0
                                        ; implicit-def: $vgpr1
	s_branch .LBB103_764
.LBB103_750:
	s_mov_b32 s10, -1
	s_mov_b32 s8, 0
	s_mov_b32 s6, s0
                                        ; implicit-def: $vgpr1
	s_branch .LBB103_759
.LBB103_751:
	s_mov_b32 s10, -1
	s_mov_b32 s8, 0
	s_mov_b32 s6, s0
	s_branch .LBB103_753
.LBB103_752:
	s_mov_b32 s6, -1
	s_mov_b32 s8, 0
.LBB103_753:
                                        ; implicit-def: $vgpr1
.LBB103_754:
	s_and_b32 vcc_lo, exec_lo, s10
	s_cbranch_vccz .LBB103_758
; %bb.755:
	s_cmp_eq_u32 s1, 44
	s_cbranch_scc0 .LBB103_757
; %bb.756:
	global_load_u8 v0, v[4:5], off
	s_mov_b32 s6, 0
	s_mov_b32 s8, -1
	s_wait_loadcnt 0x0
	v_lshlrev_b32_e32 v1, 23, v0
	v_cmp_ne_u32_e32 vcc_lo, 0, v0
	s_delay_alu instid0(VALU_DEP_2) | instskip(NEXT) | instid1(VALU_DEP_1)
	v_cvt_i32_f32_e32 v1, v1
	v_cndmask_b32_e32 v1, 0, v1, vcc_lo
	s_branch .LBB103_758
.LBB103_757:
	s_mov_b32 s6, -1
                                        ; implicit-def: $vgpr1
.LBB103_758:
	s_mov_b32 s10, 0
.LBB103_759:
	s_delay_alu instid0(SALU_CYCLE_1)
	s_and_b32 vcc_lo, exec_lo, s10
	s_cbranch_vccz .LBB103_763
; %bb.760:
	s_cmp_eq_u32 s1, 29
	s_cbranch_scc0 .LBB103_762
; %bb.761:
	s_wait_loadcnt 0x0
	global_load_b32 v1, v[4:5], off
	s_mov_b32 s6, 0
	s_mov_b32 s8, -1
	s_branch .LBB103_763
.LBB103_762:
	s_mov_b32 s6, -1
                                        ; implicit-def: $vgpr1
.LBB103_763:
	s_mov_b32 s10, 0
.LBB103_764:
	s_delay_alu instid0(SALU_CYCLE_1)
	s_and_b32 vcc_lo, exec_lo, s10
	s_cbranch_vccz .LBB103_780
; %bb.765:
	s_cmp_lt_i32 s1, 27
	s_cbranch_scc1 .LBB103_768
; %bb.766:
	s_cmp_gt_i32 s1, 27
	s_cbranch_scc0 .LBB103_769
; %bb.767:
	s_wait_loadcnt 0x0
	global_load_b32 v1, v[4:5], off
	s_mov_b32 s8, 0
	s_branch .LBB103_770
.LBB103_768:
	s_mov_b32 s8, -1
                                        ; implicit-def: $vgpr1
	s_branch .LBB103_773
.LBB103_769:
	s_mov_b32 s8, -1
                                        ; implicit-def: $vgpr1
.LBB103_770:
	s_delay_alu instid0(SALU_CYCLE_1)
	s_and_not1_b32 vcc_lo, exec_lo, s8
	s_cbranch_vccnz .LBB103_772
; %bb.771:
	s_wait_loadcnt 0x0
	global_load_u16 v1, v[4:5], off
.LBB103_772:
	s_mov_b32 s8, 0
.LBB103_773:
	s_delay_alu instid0(SALU_CYCLE_1)
	s_and_not1_b32 vcc_lo, exec_lo, s8
	s_cbranch_vccnz .LBB103_779
; %bb.774:
	global_load_u8 v0, v[4:5], off
	s_mov_b32 s10, 0
	s_mov_b32 s8, exec_lo
	s_wait_loadcnt 0x0
	v_cmpx_lt_i16_e32 0x7f, v0
	s_xor_b32 s8, exec_lo, s8
	s_cbranch_execz .LBB103_791
; %bb.775:
	v_cmp_ne_u16_e32 vcc_lo, 0x80, v0
	s_and_b32 s10, vcc_lo, exec_lo
	s_and_not1_saveexec_b32 s8, s8
	s_cbranch_execnz .LBB103_792
.LBB103_776:
	s_or_b32 exec_lo, exec_lo, s8
	v_mov_b32_e32 v1, 0
	s_and_saveexec_b32 s8, s10
	s_cbranch_execz .LBB103_778
.LBB103_777:
	v_and_b32_e32 v1, 0xffff, v0
	s_delay_alu instid0(VALU_DEP_1) | instskip(SKIP_1) | instid1(VALU_DEP_2)
	v_and_b32_e32 v3, 7, v1
	v_bfe_u32 v8, v1, 3, 4
	v_clz_i32_u32_e32 v6, v3
	s_delay_alu instid0(VALU_DEP_2) | instskip(NEXT) | instid1(VALU_DEP_2)
	v_cmp_eq_u32_e32 vcc_lo, 0, v8
	v_min_u32_e32 v6, 32, v6
	s_delay_alu instid0(VALU_DEP_1) | instskip(NEXT) | instid1(VALU_DEP_1)
	v_subrev_nc_u32_e32 v7, 28, v6
	v_dual_lshlrev_b32 v1, v7, v1 :: v_dual_sub_nc_u32 v6, 29, v6
	s_delay_alu instid0(VALU_DEP_1) | instskip(NEXT) | instid1(VALU_DEP_1)
	v_dual_lshlrev_b32 v0, 24, v0 :: v_dual_bitop2_b32 v1, 7, v1 bitop3:0x40
	v_dual_cndmask_b32 v6, v8, v6 :: v_dual_cndmask_b32 v1, v3, v1
	s_delay_alu instid0(VALU_DEP_2) | instskip(NEXT) | instid1(VALU_DEP_2)
	v_and_b32_e32 v0, 0x80000000, v0
	v_lshl_add_u32 v3, v6, 23, 0x3b800000
	s_delay_alu instid0(VALU_DEP_3) | instskip(NEXT) | instid1(VALU_DEP_1)
	v_lshlrev_b32_e32 v1, 20, v1
	v_or3_b32 v0, v0, v3, v1
	s_delay_alu instid0(VALU_DEP_1)
	v_cvt_i32_f32_e32 v1, v0
.LBB103_778:
	s_or_b32 exec_lo, exec_lo, s8
.LBB103_779:
	s_mov_b32 s8, -1
.LBB103_780:
	s_mov_b32 s10, 0
.LBB103_781:
	s_delay_alu instid0(SALU_CYCLE_1)
	s_and_b32 vcc_lo, exec_lo, s10
	s_cbranch_vccz .LBB103_812
; %bb.782:
	s_cmp_gt_i32 s1, 22
	s_cbranch_scc0 .LBB103_790
; %bb.783:
	s_cmp_lt_i32 s1, 24
	s_cbranch_scc1 .LBB103_793
; %bb.784:
	s_cmp_gt_i32 s1, 24
	s_cbranch_scc0 .LBB103_794
; %bb.785:
	global_load_u8 v0, v[4:5], off
	s_mov_b32 s8, 0
	s_mov_b32 s7, exec_lo
	s_wait_loadcnt 0x0
	v_cmpx_lt_i16_e32 0x7f, v0
	s_xor_b32 s7, exec_lo, s7
	s_cbranch_execz .LBB103_806
; %bb.786:
	v_cmp_ne_u16_e32 vcc_lo, 0x80, v0
	s_and_b32 s8, vcc_lo, exec_lo
	s_and_not1_saveexec_b32 s7, s7
	s_cbranch_execnz .LBB103_807
.LBB103_787:
	s_or_b32 exec_lo, exec_lo, s7
	v_mov_b32_e32 v1, 0
	s_and_saveexec_b32 s7, s8
	s_cbranch_execz .LBB103_789
.LBB103_788:
	v_and_b32_e32 v1, 0xffff, v0
	s_delay_alu instid0(VALU_DEP_1) | instskip(SKIP_1) | instid1(VALU_DEP_2)
	v_and_b32_e32 v3, 3, v1
	v_bfe_u32 v8, v1, 2, 5
	v_clz_i32_u32_e32 v6, v3
	s_delay_alu instid0(VALU_DEP_2) | instskip(NEXT) | instid1(VALU_DEP_2)
	v_cmp_eq_u32_e32 vcc_lo, 0, v8
	v_min_u32_e32 v6, 32, v6
	s_delay_alu instid0(VALU_DEP_1) | instskip(NEXT) | instid1(VALU_DEP_1)
	v_subrev_nc_u32_e32 v7, 29, v6
	v_dual_lshlrev_b32 v1, v7, v1 :: v_dual_sub_nc_u32 v6, 30, v6
	s_delay_alu instid0(VALU_DEP_1) | instskip(NEXT) | instid1(VALU_DEP_1)
	v_dual_lshlrev_b32 v0, 24, v0 :: v_dual_bitop2_b32 v1, 3, v1 bitop3:0x40
	v_dual_cndmask_b32 v6, v8, v6 :: v_dual_cndmask_b32 v1, v3, v1
	s_delay_alu instid0(VALU_DEP_2) | instskip(NEXT) | instid1(VALU_DEP_2)
	v_and_b32_e32 v0, 0x80000000, v0
	v_lshl_add_u32 v3, v6, 23, 0x37800000
	s_delay_alu instid0(VALU_DEP_3) | instskip(NEXT) | instid1(VALU_DEP_1)
	v_lshlrev_b32_e32 v1, 21, v1
	v_or3_b32 v0, v0, v3, v1
	s_delay_alu instid0(VALU_DEP_1)
	v_cvt_i32_f32_e32 v1, v0
.LBB103_789:
	s_or_b32 exec_lo, exec_lo, s7
	s_mov_b32 s7, 0
	s_branch .LBB103_795
.LBB103_790:
	s_mov_b32 s7, -1
                                        ; implicit-def: $vgpr1
	s_branch .LBB103_801
.LBB103_791:
	s_and_not1_saveexec_b32 s8, s8
	s_cbranch_execz .LBB103_776
.LBB103_792:
	v_cmp_ne_u16_e32 vcc_lo, 0, v0
	s_and_not1_b32 s10, s10, exec_lo
	s_and_b32 s11, vcc_lo, exec_lo
	s_delay_alu instid0(SALU_CYCLE_1)
	s_or_b32 s10, s10, s11
	s_or_b32 exec_lo, exec_lo, s8
	v_mov_b32_e32 v1, 0
	s_and_saveexec_b32 s8, s10
	s_cbranch_execnz .LBB103_777
	s_branch .LBB103_778
.LBB103_793:
	s_mov_b32 s7, -1
                                        ; implicit-def: $vgpr1
	s_branch .LBB103_798
.LBB103_794:
	s_mov_b32 s7, -1
                                        ; implicit-def: $vgpr1
.LBB103_795:
	s_delay_alu instid0(SALU_CYCLE_1)
	s_and_b32 vcc_lo, exec_lo, s7
	s_cbranch_vccz .LBB103_797
; %bb.796:
	global_load_u8 v0, v[4:5], off
	s_wait_loadcnt 0x0
	v_lshlrev_b32_e32 v0, 24, v0
	s_delay_alu instid0(VALU_DEP_1) | instskip(NEXT) | instid1(VALU_DEP_1)
	v_and_b32_e32 v1, 0x7f000000, v0
	v_clz_i32_u32_e32 v3, v1
	v_add_nc_u32_e32 v7, 0x1000000, v1
	v_cmp_ne_u32_e32 vcc_lo, 0, v1
	s_delay_alu instid0(VALU_DEP_3) | instskip(NEXT) | instid1(VALU_DEP_1)
	v_min_u32_e32 v3, 32, v3
	v_sub_nc_u32_e64 v3, v3, 4 clamp
	s_delay_alu instid0(VALU_DEP_1) | instskip(NEXT) | instid1(VALU_DEP_1)
	v_dual_lshlrev_b32 v6, v3, v1 :: v_dual_lshlrev_b32 v3, 23, v3
	v_lshrrev_b32_e32 v6, 4, v6
	s_delay_alu instid0(VALU_DEP_1) | instskip(SKIP_1) | instid1(VALU_DEP_2)
	v_sub_nc_u32_e32 v3, v6, v3
	v_ashrrev_i32_e32 v6, 8, v7
	v_add_nc_u32_e32 v3, 0x3c000000, v3
	s_delay_alu instid0(VALU_DEP_1) | instskip(NEXT) | instid1(VALU_DEP_1)
	v_and_or_b32 v3, 0x7f800000, v6, v3
	v_cndmask_b32_e32 v1, 0, v3, vcc_lo
	s_delay_alu instid0(VALU_DEP_1) | instskip(NEXT) | instid1(VALU_DEP_1)
	v_and_or_b32 v0, 0x80000000, v0, v1
	v_cvt_i32_f32_e32 v1, v0
.LBB103_797:
	s_mov_b32 s7, 0
.LBB103_798:
	s_delay_alu instid0(SALU_CYCLE_1)
	s_and_not1_b32 vcc_lo, exec_lo, s7
	s_cbranch_vccnz .LBB103_800
; %bb.799:
	global_load_u8 v0, v[4:5], off
	s_wait_loadcnt 0x0
	v_lshlrev_b32_e32 v1, 25, v0
	v_lshlrev_b16 v0, 8, v0
	s_delay_alu instid0(VALU_DEP_1) | instskip(SKIP_1) | instid1(VALU_DEP_2)
	v_and_or_b32 v6, 0x7f00, v0, 0.5
	v_bfe_i32 v0, v0, 0, 16
	v_dual_add_f32 v6, -0.5, v6 :: v_dual_lshrrev_b32 v3, 4, v1
	v_cmp_gt_u32_e32 vcc_lo, 0x8000000, v1
	s_delay_alu instid0(VALU_DEP_2) | instskip(NEXT) | instid1(VALU_DEP_1)
	v_or_b32_e32 v3, 0x70000000, v3
	v_mul_f32_e32 v3, 0x7800000, v3
	s_delay_alu instid0(VALU_DEP_1) | instskip(NEXT) | instid1(VALU_DEP_1)
	v_cndmask_b32_e32 v1, v3, v6, vcc_lo
	v_and_or_b32 v0, 0x80000000, v0, v1
	s_delay_alu instid0(VALU_DEP_1)
	v_cvt_i32_f32_e32 v1, v0
.LBB103_800:
	s_mov_b32 s7, 0
	s_mov_b32 s8, -1
.LBB103_801:
	s_and_not1_b32 vcc_lo, exec_lo, s7
	s_mov_b32 s7, 0
	s_cbranch_vccnz .LBB103_812
; %bb.802:
	s_cmp_gt_i32 s1, 14
	s_cbranch_scc0 .LBB103_805
; %bb.803:
	s_cmp_eq_u32 s1, 15
	s_cbranch_scc0 .LBB103_808
; %bb.804:
	global_load_u16 v0, v[4:5], off
	s_mov_b32 s6, 0
	s_mov_b32 s8, -1
	s_wait_loadcnt 0x0
	v_lshlrev_b32_e32 v0, 16, v0
	s_delay_alu instid0(VALU_DEP_1)
	v_cvt_i32_f32_e32 v1, v0
	s_branch .LBB103_810
.LBB103_805:
	s_mov_b32 s7, -1
	s_branch .LBB103_809
.LBB103_806:
	s_and_not1_saveexec_b32 s7, s7
	s_cbranch_execz .LBB103_787
.LBB103_807:
	v_cmp_ne_u16_e32 vcc_lo, 0, v0
	s_and_not1_b32 s8, s8, exec_lo
	s_and_b32 s10, vcc_lo, exec_lo
	s_delay_alu instid0(SALU_CYCLE_1)
	s_or_b32 s8, s8, s10
	s_or_b32 exec_lo, exec_lo, s7
	v_mov_b32_e32 v1, 0
	s_and_saveexec_b32 s7, s8
	s_cbranch_execnz .LBB103_788
	s_branch .LBB103_789
.LBB103_808:
	s_mov_b32 s6, -1
.LBB103_809:
                                        ; implicit-def: $vgpr1
.LBB103_810:
	s_and_b32 vcc_lo, exec_lo, s7
	s_mov_b32 s7, 0
	s_cbranch_vccz .LBB103_812
; %bb.811:
	s_cmp_lg_u32 s1, 11
	s_mov_b32 s7, -1
	s_cselect_b32 s1, -1, 0
	s_and_not1_b32 s6, s6, exec_lo
	s_and_b32 s1, s1, exec_lo
	s_delay_alu instid0(SALU_CYCLE_1)
	s_or_b32 s6, s6, s1
.LBB103_812:
	s_mov_b32 s1, 0
.LBB103_813:
	s_delay_alu instid0(SALU_CYCLE_1)
	s_and_b32 s23, s1, exec_lo
	s_and_not1_b32 s1, s0, exec_lo
	s_and_b32 s6, s6, exec_lo
	s_and_b32 s24, s8, exec_lo
	;; [unrolled: 1-line block ×3, first 2 shown]
	s_or_b32 s25, s1, s6
.LBB103_814:
	s_wait_xcnt 0x0
	s_or_b32 exec_lo, exec_lo, s39
	s_delay_alu instid0(SALU_CYCLE_1)
	s_and_not1_b32 s0, s0, exec_lo
	s_and_b32 s1, s25, exec_lo
	s_and_b32 s24, s24, exec_lo
	;; [unrolled: 1-line block ×4, first 2 shown]
	s_or_b32 s0, s0, s1
.LBB103_815:
	s_or_b32 exec_lo, exec_lo, s50
	s_delay_alu instid0(SALU_CYCLE_1)
	s_and_not1_b32 s1, s47, exec_lo
	s_and_b32 s6, s26, exec_lo
	s_and_not1_b32 s7, s48, exec_lo
	s_and_b32 s8, s27, exec_lo
	s_or_b32 s47, s1, s6
	s_and_not1_b32 s1, s46, exec_lo
	s_and_b32 s0, s0, exec_lo
	s_or_b32 s48, s7, s8
	s_and_b32 s24, s24, exec_lo
	s_and_b32 s23, s23, exec_lo
	;; [unrolled: 1-line block ×3, first 2 shown]
	s_or_b32 s46, s1, s0
.LBB103_816:
	s_or_b32 exec_lo, exec_lo, s49
	s_delay_alu instid0(SALU_CYCLE_1)
	s_and_not1_b32 s0, s42, exec_lo
	s_and_b32 s1, s47, exec_lo
	s_and_not1_b32 s6, s43, exec_lo
	s_and_b32 s7, s48, exec_lo
	s_or_b32 s42, s0, s1
	s_or_b32 s43, s6, s7
	s_and_not1_b32 s1, s44, exec_lo
	s_and_b32 s6, s46, exec_lo
	s_and_b32 s0, s24, exec_lo
	;; [unrolled: 1-line block ×4, first 2 shown]
	s_or_b32 s44, s1, s6
	s_or_b32 exec_lo, exec_lo, s45
	s_mov_b32 s1, 0
	s_and_saveexec_b32 s6, s44
	s_cbranch_execz .LBB103_245
.LBB103_817:
	s_mov_b32 s1, exec_lo
	s_and_not1_b32 s17, s17, exec_lo
	s_trap 2
	s_or_b32 exec_lo, exec_lo, s6
	s_and_saveexec_b32 s6, s17
	s_delay_alu instid0(SALU_CYCLE_1)
	s_xor_b32 s6, exec_lo, s6
	s_cbranch_execnz .LBB103_246
.LBB103_818:
	s_or_b32 exec_lo, exec_lo, s6
	s_and_saveexec_b32 s6, s23
	s_cbranch_execz .LBB103_864
.LBB103_819:
	s_sext_i32_i16 s7, s37
	s_delay_alu instid0(SALU_CYCLE_1)
	s_cmp_lt_i32 s7, 5
	s_cbranch_scc1 .LBB103_824
; %bb.820:
	s_cmp_lt_i32 s7, 8
	s_cbranch_scc1 .LBB103_825
; %bb.821:
	;; [unrolled: 3-line block ×3, first 2 shown]
	s_cmp_gt_i32 s7, 9
	s_cbranch_scc0 .LBB103_827
; %bb.823:
	s_wait_loadcnt 0x0
	global_load_b64 v[0:1], v[4:5], off
	s_mov_b32 s7, 0
	s_wait_loadcnt 0x0
	v_cvt_i32_f64_e32 v1, v[0:1]
	s_branch .LBB103_828
.LBB103_824:
                                        ; implicit-def: $vgpr1
	s_branch .LBB103_845
.LBB103_825:
                                        ; implicit-def: $vgpr1
	s_branch .LBB103_834
.LBB103_826:
	s_mov_b32 s7, -1
                                        ; implicit-def: $vgpr1
	s_branch .LBB103_831
.LBB103_827:
	s_mov_b32 s7, -1
                                        ; implicit-def: $vgpr1
.LBB103_828:
	s_delay_alu instid0(SALU_CYCLE_1)
	s_and_not1_b32 vcc_lo, exec_lo, s7
	s_cbranch_vccnz .LBB103_830
; %bb.829:
	global_load_b32 v0, v[4:5], off
	s_wait_loadcnt 0x0
	v_cvt_i32_f32_e32 v1, v0
.LBB103_830:
	s_mov_b32 s7, 0
.LBB103_831:
	s_delay_alu instid0(SALU_CYCLE_1)
	s_and_not1_b32 vcc_lo, exec_lo, s7
	s_cbranch_vccnz .LBB103_833
; %bb.832:
	global_load_b32 v0, v[4:5], off
	s_wait_loadcnt 0x0
	v_cvt_f32_f16_e32 v0, v0
	s_delay_alu instid0(VALU_DEP_1)
	v_cvt_i32_f32_e32 v1, v0
.LBB103_833:
	s_cbranch_execnz .LBB103_844
.LBB103_834:
	s_sext_i32_i16 s7, s37
	s_delay_alu instid0(SALU_CYCLE_1)
	s_cmp_lt_i32 s7, 6
	s_cbranch_scc1 .LBB103_837
; %bb.835:
	s_cmp_gt_i32 s7, 6
	s_cbranch_scc0 .LBB103_838
; %bb.836:
	s_wait_loadcnt 0x0
	global_load_b64 v[0:1], v[4:5], off
	s_mov_b32 s7, 0
	s_wait_loadcnt 0x0
	v_cvt_i32_f64_e32 v1, v[0:1]
	s_branch .LBB103_839
.LBB103_837:
	s_mov_b32 s7, -1
                                        ; implicit-def: $vgpr1
	s_branch .LBB103_842
.LBB103_838:
	s_mov_b32 s7, -1
                                        ; implicit-def: $vgpr1
.LBB103_839:
	s_delay_alu instid0(SALU_CYCLE_1)
	s_and_not1_b32 vcc_lo, exec_lo, s7
	s_cbranch_vccnz .LBB103_841
; %bb.840:
	global_load_b32 v0, v[4:5], off
	s_wait_loadcnt 0x0
	v_cvt_i32_f32_e32 v1, v0
.LBB103_841:
	s_mov_b32 s7, 0
.LBB103_842:
	s_delay_alu instid0(SALU_CYCLE_1)
	s_and_not1_b32 vcc_lo, exec_lo, s7
	s_cbranch_vccnz .LBB103_844
; %bb.843:
	global_load_u16 v0, v[4:5], off
	s_wait_loadcnt 0x0
	v_cvt_f32_f16_e32 v0, v0
	s_delay_alu instid0(VALU_DEP_1)
	v_cvt_i32_f32_e32 v1, v0
.LBB103_844:
	s_cbranch_execnz .LBB103_863
.LBB103_845:
	s_sext_i32_i16 s7, s37
	s_delay_alu instid0(SALU_CYCLE_1)
	s_cmp_lt_i32 s7, 2
	s_cbranch_scc1 .LBB103_849
; %bb.846:
	s_cmp_lt_i32 s7, 3
	s_cbranch_scc1 .LBB103_850
; %bb.847:
	s_cmp_gt_i32 s7, 3
	s_cbranch_scc0 .LBB103_851
; %bb.848:
	s_wait_loadcnt 0x0
	global_load_b32 v1, v[4:5], off
	s_mov_b32 s7, 0
	s_branch .LBB103_852
.LBB103_849:
                                        ; implicit-def: $vgpr1
	s_branch .LBB103_858
.LBB103_850:
	s_mov_b32 s7, -1
                                        ; implicit-def: $vgpr1
	s_branch .LBB103_855
.LBB103_851:
	s_mov_b32 s7, -1
                                        ; implicit-def: $vgpr1
.LBB103_852:
	s_delay_alu instid0(SALU_CYCLE_1)
	s_and_not1_b32 vcc_lo, exec_lo, s7
	s_cbranch_vccnz .LBB103_854
; %bb.853:
	s_wait_loadcnt 0x0
	global_load_b32 v1, v[4:5], off
.LBB103_854:
	s_mov_b32 s7, 0
.LBB103_855:
	s_delay_alu instid0(SALU_CYCLE_1)
	s_and_not1_b32 vcc_lo, exec_lo, s7
	s_cbranch_vccnz .LBB103_857
; %bb.856:
	s_wait_loadcnt 0x0
	global_load_i16 v1, v[4:5], off
.LBB103_857:
	s_cbranch_execnz .LBB103_863
.LBB103_858:
	s_sext_i32_i16 s7, s37
	s_delay_alu instid0(SALU_CYCLE_1)
	s_cmp_gt_i32 s7, 0
	s_mov_b32 s7, 0
	s_cbranch_scc0 .LBB103_860
; %bb.859:
	s_wait_loadcnt 0x0
	global_load_i8 v1, v[4:5], off
	s_branch .LBB103_861
.LBB103_860:
	s_mov_b32 s7, -1
                                        ; implicit-def: $vgpr1
.LBB103_861:
	s_delay_alu instid0(SALU_CYCLE_1)
	s_and_not1_b32 vcc_lo, exec_lo, s7
	s_cbranch_vccnz .LBB103_863
; %bb.862:
	s_wait_loadcnt 0x0
	global_load_u8 v1, v[4:5], off
.LBB103_863:
	s_or_b32 s0, s0, exec_lo
.LBB103_864:
	s_wait_xcnt 0x0
	s_or_b32 exec_lo, exec_lo, s6
	s_mov_b32 s8, 0
	s_and_saveexec_b32 s6, s0
	s_delay_alu instid0(SALU_CYCLE_1)
	s_xor_b32 s6, exec_lo, s6
	s_cbranch_execz .LBB103_866
; %bb.865:
	s_wait_loadcnt 0x0
	s_delay_alu instid0(VALU_DEP_1) | instskip(SKIP_4) | instid1(SALU_CYCLE_1)
	v_cmp_le_i32_e32 vcc_lo, s35, v1
	v_cmp_gt_i32_e64 s0, s36, v1
	s_and_not1_b32 s7, s43, exec_lo
	s_mov_b32 s8, exec_lo
	s_and_b32 s0, vcc_lo, s0
	s_and_b32 s0, s9, s0
	s_delay_alu instid0(SALU_CYCLE_1) | instskip(NEXT) | instid1(SALU_CYCLE_1)
	s_xor_b32 s0, s0, -1
	s_and_b32 s0, s0, exec_lo
	s_delay_alu instid0(SALU_CYCLE_1)
	s_or_b32 s43, s7, s0
.LBB103_866:
	s_or_b32 exec_lo, exec_lo, s6
	s_and_saveexec_b32 s0, s43
	s_cbranch_execnz .LBB103_879
.LBB103_867:
	s_or_b32 exec_lo, exec_lo, s0
	s_mov_b32 s9, 0
	s_mov_b32 s7, 0
                                        ; implicit-def: $sgpr0
                                        ; implicit-def: $vgpr0_vgpr1
	s_and_saveexec_b32 s6, s8
	s_cbranch_execz .LBB103_875
; %bb.868:
	v_mov_b32_e32 v3, 0
	s_and_b32 s0, s34, 0xff
	s_delay_alu instid0(SALU_CYCLE_1) | instskip(SKIP_1) | instid1(VALU_DEP_1)
	s_cmp_lt_i32 s0, 11
	s_wait_loadcnt 0x0
	v_add_nc_u64_e32 v[0:1], s[4:5], v[2:3]
	s_cbranch_scc1 .LBB103_878
; %bb.869:
	s_and_b32 s5, 0xffff, s0
	s_mov_b32 s7, -1
	s_cmp_gt_i32 s5, 25
	s_mov_b32 s4, s42
	s_cbranch_scc0 .LBB103_899
; %bb.870:
	s_cmp_gt_i32 s5, 28
	s_mov_b32 s4, s42
	s_cbranch_scc0 .LBB103_889
; %bb.871:
	;; [unrolled: 4-line block ×4, first 2 shown]
	s_cmp_eq_u32 s5, 46
	s_mov_b32 s4, -1
	s_cbranch_scc0 .LBB103_880
; %bb.874:
	v_mov_b32_e32 v2, 0
	s_mov_b32 s4, 0
	s_mov_b32 s7, 0
	global_store_b32 v[0:1], v2, off
	s_branch .LBB103_881
.LBB103_875:
	s_or_b32 exec_lo, exec_lo, s6
	s_and_saveexec_b32 s4, s42
	s_cbranch_execnz .LBB103_919
.LBB103_876:
	s_or_b32 exec_lo, exec_lo, s4
	s_and_saveexec_b32 s4, s9
	s_delay_alu instid0(SALU_CYCLE_1)
	s_xor_b32 s4, exec_lo, s4
	s_cbranch_execz .LBB103_920
.LBB103_877:
	v_mov_b32_e32 v2, 0
	s_wait_loadcnt 0x0
	global_store_b8 v[0:1], v2, off
	s_wait_xcnt 0x0
	s_or_b32 exec_lo, exec_lo, s4
	s_and_saveexec_b32 s4, s7
	s_delay_alu instid0(SALU_CYCLE_1)
	s_xor_b32 s4, exec_lo, s4
	s_cbranch_execz .LBB103_958
	s_branch .LBB103_921
.LBB103_878:
	s_mov_b32 s8, 0
	s_mov_b32 s7, -1
	s_mov_b32 s4, s42
	s_branch .LBB103_918
.LBB103_879:
	s_or_b32 s1, s1, exec_lo
	s_and_not1_b32 s8, s8, exec_lo
	s_trap 2
	s_branch .LBB103_867
.LBB103_880:
	s_mov_b32 s7, 0
.LBB103_881:
	s_delay_alu instid0(SALU_CYCLE_1)
	s_and_b32 vcc_lo, exec_lo, s7
	s_cbranch_vccz .LBB103_884
; %bb.882:
	s_cmp_eq_u32 s5, 44
	s_mov_b32 s4, -1
	s_cbranch_scc0 .LBB103_884
; %bb.883:
	s_wait_xcnt 0x0
	v_mov_b32_e32 v2, 0
	s_mov_b32 s4, 0
	s_mov_b32 s7, 0
	global_store_b8 v[0:1], v2, off
	s_branch .LBB103_885
.LBB103_884:
	s_mov_b32 s7, 0
.LBB103_885:
	s_delay_alu instid0(SALU_CYCLE_1)
	s_and_b32 vcc_lo, exec_lo, s7
	s_cbranch_vccz .LBB103_888
; %bb.886:
	s_cmp_eq_u32 s5, 29
	s_mov_b32 s4, -1
	s_cbranch_scc0 .LBB103_888
; %bb.887:
	s_wait_xcnt 0x0
	v_mov_b64_e32 v[2:3], 0
	s_mov_b32 s4, 0
	s_mov_b32 s7, 0
	global_store_b64 v[0:1], v[2:3], off
	s_branch .LBB103_889
.LBB103_888:
	s_mov_b32 s7, 0
.LBB103_889:
	s_delay_alu instid0(SALU_CYCLE_1)
	s_and_b32 vcc_lo, exec_lo, s7
	s_cbranch_vccz .LBB103_898
; %bb.890:
	s_cmp_lt_i32 s5, 27
	s_mov_b32 s7, -1
	s_cbranch_scc1 .LBB103_896
; %bb.891:
	s_cmp_gt_i32 s5, 27
	s_cbranch_scc0 .LBB103_893
; %bb.892:
	s_wait_xcnt 0x0
	v_mov_b32_e32 v2, 0
	s_mov_b32 s7, 0
	global_store_b32 v[0:1], v2, off
.LBB103_893:
	s_and_not1_b32 vcc_lo, exec_lo, s7
	s_cbranch_vccnz .LBB103_895
; %bb.894:
	s_wait_xcnt 0x0
	v_mov_b32_e32 v2, 0
	global_store_b16 v[0:1], v2, off
.LBB103_895:
	s_mov_b32 s7, 0
.LBB103_896:
	s_delay_alu instid0(SALU_CYCLE_1)
	s_and_not1_b32 vcc_lo, exec_lo, s7
	s_cbranch_vccnz .LBB103_898
; %bb.897:
	s_wait_xcnt 0x0
	v_mov_b32_e32 v2, 0
	global_store_b8 v[0:1], v2, off
.LBB103_898:
	s_mov_b32 s7, 0
.LBB103_899:
	s_delay_alu instid0(SALU_CYCLE_1)
	s_and_b32 vcc_lo, exec_lo, s7
	s_mov_b32 s7, 0
	s_cbranch_vccz .LBB103_917
; %bb.900:
	s_cmp_gt_i32 s5, 22
	s_mov_b32 s8, -1
	s_cbranch_scc0 .LBB103_910
; %bb.901:
	s_cmp_lt_i32 s5, 24
	s_cbranch_scc1 .LBB103_907
; %bb.902:
	s_cmp_gt_i32 s5, 24
	s_cbranch_scc0 .LBB103_904
; %bb.903:
	s_wait_xcnt 0x0
	v_mov_b32_e32 v2, 0
	s_mov_b32 s8, 0
	global_store_b8 v[0:1], v2, off
.LBB103_904:
	s_and_not1_b32 vcc_lo, exec_lo, s8
	s_cbranch_vccnz .LBB103_906
; %bb.905:
	s_wait_xcnt 0x0
	v_mov_b32_e32 v2, 0
	global_store_b8 v[0:1], v2, off
.LBB103_906:
	s_mov_b32 s8, 0
.LBB103_907:
	s_delay_alu instid0(SALU_CYCLE_1)
	s_and_not1_b32 vcc_lo, exec_lo, s8
	s_cbranch_vccnz .LBB103_909
; %bb.908:
	s_wait_xcnt 0x0
	v_mov_b32_e32 v2, 0
	global_store_b8 v[0:1], v2, off
.LBB103_909:
	s_mov_b32 s8, 0
.LBB103_910:
	s_delay_alu instid0(SALU_CYCLE_1)
	s_and_not1_b32 vcc_lo, exec_lo, s8
	s_mov_b32 s8, 0
	s_cbranch_vccnz .LBB103_918
; %bb.911:
	s_cmp_gt_i32 s5, 14
	s_mov_b32 s8, -1
	s_cbranch_scc0 .LBB103_915
; %bb.912:
	s_cmp_eq_u32 s5, 15
	s_mov_b32 s4, -1
	s_cbranch_scc0 .LBB103_914
; %bb.913:
	s_wait_xcnt 0x0
	v_mov_b32_e32 v2, 0
	s_mov_b32 s4, 0
	global_store_b16 v[0:1], v2, off
.LBB103_914:
	s_mov_b32 s8, 0
.LBB103_915:
	s_delay_alu instid0(SALU_CYCLE_1)
	s_and_b32 vcc_lo, exec_lo, s8
	s_mov_b32 s8, 0
	s_cbranch_vccz .LBB103_918
; %bb.916:
	s_cmp_lg_u32 s5, 11
	s_mov_b32 s8, -1
	s_cselect_b32 s5, -1, 0
	s_and_not1_b32 s4, s4, exec_lo
	s_and_b32 s5, s5, exec_lo
	s_delay_alu instid0(SALU_CYCLE_1)
	s_or_b32 s4, s4, s5
	s_branch .LBB103_918
.LBB103_917:
	s_mov_b32 s8, 0
.LBB103_918:
	s_and_not1_b32 s5, s42, exec_lo
	s_and_b32 s4, s4, exec_lo
	s_and_b32 s7, s7, exec_lo
	;; [unrolled: 1-line block ×3, first 2 shown]
	s_or_b32 s42, s5, s4
	s_wait_xcnt 0x0
	s_or_b32 exec_lo, exec_lo, s6
	s_and_saveexec_b32 s4, s42
	s_cbranch_execz .LBB103_876
.LBB103_919:
	s_or_b32 s1, s1, exec_lo
	s_and_not1_b32 s9, s9, exec_lo
	s_trap 2
	s_or_b32 exec_lo, exec_lo, s4
	s_and_saveexec_b32 s4, s9
	s_delay_alu instid0(SALU_CYCLE_1)
	s_xor_b32 s4, exec_lo, s4
	s_cbranch_execnz .LBB103_877
.LBB103_920:
	s_or_b32 exec_lo, exec_lo, s4
	s_and_saveexec_b32 s4, s7
	s_delay_alu instid0(SALU_CYCLE_1)
	s_xor_b32 s4, exec_lo, s4
	s_cbranch_execz .LBB103_958
.LBB103_921:
	s_sext_i32_i16 s6, s0
	s_mov_b32 s5, -1
	s_cmp_lt_i32 s6, 5
	s_cbranch_scc1 .LBB103_942
; %bb.922:
	s_cmp_lt_i32 s6, 8
	s_cbranch_scc1 .LBB103_932
; %bb.923:
	;; [unrolled: 3-line block ×3, first 2 shown]
	s_cmp_gt_i32 s6, 9
	s_cbranch_scc0 .LBB103_926
; %bb.925:
	v_mov_b32_e32 v2, 0
	s_mov_b32 s5, 0
	s_delay_alu instid0(VALU_DEP_1)
	v_dual_mov_b32 v3, v2 :: v_dual_mov_b32 v4, v2
	v_mov_b32_e32 v5, v2
	s_wait_loadcnt 0x0
	global_store_b128 v[0:1], v[2:5], off
.LBB103_926:
	s_and_not1_b32 vcc_lo, exec_lo, s5
	s_cbranch_vccnz .LBB103_928
; %bb.927:
	s_wait_xcnt 0x0
	v_mov_b64_e32 v[2:3], 0
	s_wait_loadcnt 0x0
	global_store_b64 v[0:1], v[2:3], off
.LBB103_928:
	s_mov_b32 s5, 0
.LBB103_929:
	s_delay_alu instid0(SALU_CYCLE_1)
	s_and_not1_b32 vcc_lo, exec_lo, s5
	s_cbranch_vccnz .LBB103_931
; %bb.930:
	s_wait_xcnt 0x0
	v_mov_b32_e32 v2, 0
	s_wait_loadcnt 0x0
	global_store_b32 v[0:1], v2, off
.LBB103_931:
	s_mov_b32 s5, 0
.LBB103_932:
	s_delay_alu instid0(SALU_CYCLE_1)
	s_and_not1_b32 vcc_lo, exec_lo, s5
	s_cbranch_vccnz .LBB103_941
; %bb.933:
	s_sext_i32_i16 s6, s0
	s_mov_b32 s5, -1
	s_cmp_lt_i32 s6, 6
	s_cbranch_scc1 .LBB103_939
; %bb.934:
	s_cmp_gt_i32 s6, 6
	s_cbranch_scc0 .LBB103_936
; %bb.935:
	s_wait_xcnt 0x0
	v_mov_b64_e32 v[2:3], 0
	s_mov_b32 s5, 0
	s_wait_loadcnt 0x0
	global_store_b64 v[0:1], v[2:3], off
.LBB103_936:
	s_and_not1_b32 vcc_lo, exec_lo, s5
	s_cbranch_vccnz .LBB103_938
; %bb.937:
	s_wait_xcnt 0x0
	v_mov_b32_e32 v2, 0
	s_wait_loadcnt 0x0
	global_store_b32 v[0:1], v2, off
.LBB103_938:
	s_mov_b32 s5, 0
.LBB103_939:
	s_delay_alu instid0(SALU_CYCLE_1)
	s_and_not1_b32 vcc_lo, exec_lo, s5
	s_cbranch_vccnz .LBB103_941
; %bb.940:
	s_wait_xcnt 0x0
	v_mov_b32_e32 v2, 0
	s_wait_loadcnt 0x0
	global_store_b16 v[0:1], v2, off
.LBB103_941:
	s_mov_b32 s5, 0
.LBB103_942:
	s_delay_alu instid0(SALU_CYCLE_1)
	s_and_not1_b32 vcc_lo, exec_lo, s5
	s_cbranch_vccnz .LBB103_958
; %bb.943:
	s_sext_i32_i16 s6, s0
	s_mov_b32 s5, -1
	s_cmp_lt_i32 s6, 2
	s_cbranch_scc1 .LBB103_953
; %bb.944:
	s_cmp_lt_i32 s6, 3
	s_cbranch_scc1 .LBB103_950
; %bb.945:
	s_cmp_gt_i32 s6, 3
	s_cbranch_scc0 .LBB103_947
; %bb.946:
	s_wait_xcnt 0x0
	v_mov_b64_e32 v[2:3], 0
	s_mov_b32 s5, 0
	s_wait_loadcnt 0x0
	global_store_b64 v[0:1], v[2:3], off
.LBB103_947:
	s_and_not1_b32 vcc_lo, exec_lo, s5
	s_cbranch_vccnz .LBB103_949
; %bb.948:
	s_wait_xcnt 0x0
	v_mov_b32_e32 v2, 0
	s_wait_loadcnt 0x0
	global_store_b32 v[0:1], v2, off
.LBB103_949:
	s_mov_b32 s5, 0
.LBB103_950:
	s_delay_alu instid0(SALU_CYCLE_1)
	s_and_not1_b32 vcc_lo, exec_lo, s5
	s_cbranch_vccnz .LBB103_952
; %bb.951:
	s_wait_xcnt 0x0
	v_mov_b32_e32 v2, 0
	s_wait_loadcnt 0x0
	global_store_b16 v[0:1], v2, off
.LBB103_952:
	s_mov_b32 s5, 0
.LBB103_953:
	s_delay_alu instid0(SALU_CYCLE_1)
	s_and_not1_b32 vcc_lo, exec_lo, s5
	s_cbranch_vccnz .LBB103_958
; %bb.954:
	s_sext_i32_i16 s0, s0
	s_delay_alu instid0(SALU_CYCLE_1)
	s_cmp_gt_i32 s0, 0
	s_mov_b32 s0, -1
	s_cbranch_scc0 .LBB103_956
; %bb.955:
	s_wait_xcnt 0x0
	v_mov_b32_e32 v2, 0
	s_mov_b32 s0, 0
	s_wait_loadcnt 0x0
	global_store_b8 v[0:1], v2, off
.LBB103_956:
	s_and_not1_b32 vcc_lo, exec_lo, s0
	s_cbranch_vccnz .LBB103_958
; %bb.957:
	s_wait_xcnt 0x0
	v_mov_b32_e32 v2, 0
	s_wait_loadcnt 0x0
	global_store_b8 v[0:1], v2, off
.LBB103_958:
	s_wait_xcnt 0x0
	s_or_b32 exec_lo, exec_lo, s4
	s_delay_alu instid0(SALU_CYCLE_1)
	s_and_b32 s10, s1, exec_lo
                                        ; implicit-def: $vgpr9
                                        ; implicit-def: $vgpr0
.LBB103_959:
	s_or_saveexec_b32 s11, s33
	s_mov_b32 s4, 0
                                        ; implicit-def: $vgpr14_vgpr15
                                        ; implicit-def: $sgpr0
	s_xor_b32 exec_lo, exec_lo, s11
	s_cbranch_execz .LBB103_1854
; %bb.960:
	s_wait_loadcnt 0x0
	v_cndmask_b32_e64 v1, 0, 1, s31
	s_and_not1_b32 vcc_lo, exec_lo, s31
	s_cbranch_vccnz .LBB103_966
; %bb.961:
	s_cmp_lg_u32 s28, 0
	s_mov_b32 s8, 0
	s_cbranch_scc0 .LBB103_967
; %bb.962:
	s_min_u32 s1, s29, 15
	s_delay_alu instid0(SALU_CYCLE_1)
	s_add_co_i32 s1, s1, 1
	s_cmp_eq_u32 s29, 2
	s_cbranch_scc1 .LBB103_968
; %bb.963:
	v_dual_mov_b32 v6, 0 :: v_dual_mov_b32 v14, 0
	v_mov_b32_e32 v2, v0
	s_and_b32 s0, s1, 28
	s_add_nc_u64 s[4:5], s[2:3], 0xc4
	s_mov_b32 s9, 0
	s_mov_b64 s[6:7], s[2:3]
.LBB103_964:                            ; =>This Inner Loop Header: Depth=1
	s_clause 0x1
	s_load_b256 s[12:19], s[6:7], 0x4
	s_load_b128 s[36:39], s[6:7], 0x24
	s_load_b256 s[20:27], s[4:5], 0x0
	s_add_co_i32 s9, s9, 4
	s_wait_xcnt 0x0
	s_add_nc_u64 s[6:7], s[6:7], 48
	s_cmp_lg_u32 s0, s9
	s_add_nc_u64 s[4:5], s[4:5], 32
	s_wait_kmcnt 0x0
	v_mul_hi_u32 v3, s13, v2
	s_delay_alu instid0(VALU_DEP_1) | instskip(NEXT) | instid1(VALU_DEP_1)
	v_add_nc_u32_e32 v3, v2, v3
	v_lshrrev_b32_e32 v3, s14, v3
	s_delay_alu instid0(VALU_DEP_1) | instskip(NEXT) | instid1(VALU_DEP_1)
	v_mul_hi_u32 v4, s16, v3
	v_add_nc_u32_e32 v4, v3, v4
	s_delay_alu instid0(VALU_DEP_1) | instskip(NEXT) | instid1(VALU_DEP_1)
	v_lshrrev_b32_e32 v4, s17, v4
	v_mul_hi_u32 v5, s19, v4
	s_delay_alu instid0(VALU_DEP_1) | instskip(SKIP_1) | instid1(VALU_DEP_1)
	v_add_nc_u32_e32 v5, v4, v5
	v_mul_lo_u32 v7, v3, s12
	v_sub_nc_u32_e32 v2, v2, v7
	v_mul_lo_u32 v7, v4, s15
	s_delay_alu instid0(VALU_DEP_4) | instskip(NEXT) | instid1(VALU_DEP_3)
	v_lshrrev_b32_e32 v5, s36, v5
	v_mad_u32 v10, v2, s21, v14
	v_mad_u32 v2, v2, s20, v6
	s_delay_alu instid0(VALU_DEP_4) | instskip(NEXT) | instid1(VALU_DEP_4)
	v_sub_nc_u32_e32 v3, v3, v7
	v_mul_hi_u32 v8, s38, v5
	v_mul_lo_u32 v6, v5, s18
	s_delay_alu instid0(VALU_DEP_1) | instskip(NEXT) | instid1(VALU_DEP_4)
	v_dual_add_nc_u32 v7, v5, v8 :: v_dual_sub_nc_u32 v4, v4, v6
	v_mad_u32 v8, v3, s23, v10
	v_mad_u32 v3, v3, s22, v2
	s_delay_alu instid0(VALU_DEP_3) | instskip(NEXT) | instid1(VALU_DEP_1)
	v_lshrrev_b32_e32 v2, s39, v7
	v_mul_lo_u32 v6, v2, s37
	s_delay_alu instid0(VALU_DEP_4) | instskip(NEXT) | instid1(VALU_DEP_4)
	v_mad_u32 v7, v4, s25, v8
	v_mad_u32 v3, v4, s24, v3
	s_delay_alu instid0(VALU_DEP_3) | instskip(NEXT) | instid1(VALU_DEP_1)
	v_sub_nc_u32_e32 v4, v5, v6
	v_mad_u32 v14, v4, s27, v7
	s_delay_alu instid0(VALU_DEP_3)
	v_mad_u32 v6, v4, s26, v3
	s_cbranch_scc1 .LBB103_964
; %bb.965:
	s_delay_alu instid0(VALU_DEP_2)
	v_mov_b32_e32 v7, v14
	s_and_b32 s6, s1, 3
	s_mov_b32 s1, 0
	s_cmp_eq_u32 s6, 0
	s_cbranch_scc0 .LBB103_969
	s_branch .LBB103_972
.LBB103_966:
	s_mov_b32 s8, -1
                                        ; implicit-def: $vgpr14
                                        ; implicit-def: $vgpr6
	s_branch .LBB103_972
.LBB103_967:
	v_dual_mov_b32 v14, 0 :: v_dual_mov_b32 v6, 0
	s_branch .LBB103_972
.LBB103_968:
	v_mov_b64_e32 v[6:7], 0
	v_mov_b32_e32 v2, v0
	s_mov_b32 s0, 0
                                        ; implicit-def: $vgpr14
	s_and_b32 s6, s1, 3
	s_mov_b32 s1, 0
	s_cmp_eq_u32 s6, 0
	s_cbranch_scc1 .LBB103_972
.LBB103_969:
	s_lshl_b32 s4, s0, 3
	s_mov_b32 s5, s1
	s_mul_u64 s[12:13], s[0:1], 12
	s_add_nc_u64 s[4:5], s[2:3], s[4:5]
	s_delay_alu instid0(SALU_CYCLE_1)
	s_add_nc_u64 s[0:1], s[4:5], 0xc4
	s_add_nc_u64 s[4:5], s[2:3], s[12:13]
.LBB103_970:                            ; =>This Inner Loop Header: Depth=1
	s_load_b96 s[12:14], s[4:5], 0x4
	s_add_co_i32 s6, s6, -1
	s_wait_xcnt 0x0
	s_add_nc_u64 s[4:5], s[4:5], 12
	s_cmp_lg_u32 s6, 0
	s_wait_kmcnt 0x0
	v_mul_hi_u32 v3, s13, v2
	s_delay_alu instid0(VALU_DEP_1) | instskip(NEXT) | instid1(VALU_DEP_1)
	v_add_nc_u32_e32 v3, v2, v3
	v_lshrrev_b32_e32 v3, s14, v3
	s_load_b64 s[14:15], s[0:1], 0x0
	s_wait_xcnt 0x0
	s_add_nc_u64 s[0:1], s[0:1], 8
	s_delay_alu instid0(VALU_DEP_1) | instskip(NEXT) | instid1(VALU_DEP_1)
	v_mul_lo_u32 v4, v3, s12
	v_sub_nc_u32_e32 v2, v2, v4
	s_wait_kmcnt 0x0
	s_delay_alu instid0(VALU_DEP_1)
	v_mad_u32 v7, v2, s15, v7
	v_mad_u32 v6, v2, s14, v6
	v_mov_b32_e32 v2, v3
	s_cbranch_scc1 .LBB103_970
; %bb.971:
	s_delay_alu instid0(VALU_DEP_3)
	v_mov_b32_e32 v14, v7
.LBB103_972:
	s_and_not1_b32 vcc_lo, exec_lo, s8
	s_cbranch_vccnz .LBB103_975
; %bb.973:
	s_clause 0x1
	s_load_b96 s[4:6], s[2:3], 0x4
	s_load_b64 s[0:1], s[2:3], 0xc4
	s_cmp_lt_u32 s28, 2
	s_wait_kmcnt 0x0
	v_mul_hi_u32 v2, s5, v0
	s_delay_alu instid0(VALU_DEP_1) | instskip(NEXT) | instid1(VALU_DEP_1)
	v_add_nc_u32_e32 v2, v0, v2
	v_lshrrev_b32_e32 v2, s6, v2
	s_delay_alu instid0(VALU_DEP_1) | instskip(NEXT) | instid1(VALU_DEP_1)
	v_mul_lo_u32 v3, v2, s4
	v_sub_nc_u32_e32 v3, v0, v3
	s_delay_alu instid0(VALU_DEP_1)
	v_mul_lo_u32 v14, v3, s1
	v_mul_lo_u32 v6, v3, s0
	s_cbranch_scc1 .LBB103_975
; %bb.974:
	s_clause 0x1
	s_load_b96 s[4:6], s[2:3], 0x10
	s_load_b64 s[0:1], s[2:3], 0xcc
	s_wait_kmcnt 0x0
	v_mul_hi_u32 v3, s5, v2
	s_delay_alu instid0(VALU_DEP_1) | instskip(NEXT) | instid1(VALU_DEP_1)
	v_add_nc_u32_e32 v3, v2, v3
	v_lshrrev_b32_e32 v3, s6, v3
	s_delay_alu instid0(VALU_DEP_1) | instskip(NEXT) | instid1(VALU_DEP_1)
	v_mul_lo_u32 v3, v3, s4
	v_sub_nc_u32_e32 v2, v2, v3
	s_delay_alu instid0(VALU_DEP_1)
	v_mad_u32 v6, v2, s0, v6
	v_mad_u32 v14, v2, s1, v14
.LBB103_975:
	v_cmp_ne_u32_e32 vcc_lo, 1, v1
	v_add_nc_u32_e32 v2, 0x80, v0
	s_cbranch_vccnz .LBB103_981
; %bb.976:
	s_cmp_lg_u32 s28, 0
	s_mov_b32 s8, 0
	s_cbranch_scc0 .LBB103_982
; %bb.977:
	s_min_u32 s1, s29, 15
	s_delay_alu instid0(SALU_CYCLE_1)
	s_add_co_i32 s1, s1, 1
	s_cmp_eq_u32 s29, 2
	s_cbranch_scc1 .LBB103_983
; %bb.978:
	v_dual_mov_b32 v4, 0 :: v_dual_mov_b32 v12, 0
	v_mov_b32_e32 v3, v2
	s_and_b32 s0, s1, 28
	s_add_nc_u64 s[4:5], s[2:3], 0xc4
	s_mov_b32 s9, 0
	s_mov_b64 s[6:7], s[2:3]
.LBB103_979:                            ; =>This Inner Loop Header: Depth=1
	s_clause 0x1
	s_load_b256 s[12:19], s[6:7], 0x4
	s_load_b128 s[36:39], s[6:7], 0x24
	s_load_b256 s[20:27], s[4:5], 0x0
	s_add_co_i32 s9, s9, 4
	s_wait_xcnt 0x0
	s_add_nc_u64 s[6:7], s[6:7], 48
	s_cmp_lg_u32 s0, s9
	s_add_nc_u64 s[4:5], s[4:5], 32
	s_wait_kmcnt 0x0
	v_mul_hi_u32 v5, s13, v3
	s_delay_alu instid0(VALU_DEP_1) | instskip(NEXT) | instid1(VALU_DEP_1)
	v_add_nc_u32_e32 v5, v3, v5
	v_lshrrev_b32_e32 v5, s14, v5
	s_delay_alu instid0(VALU_DEP_1) | instskip(NEXT) | instid1(VALU_DEP_1)
	v_mul_hi_u32 v7, s16, v5
	v_add_nc_u32_e32 v7, v5, v7
	s_delay_alu instid0(VALU_DEP_1) | instskip(NEXT) | instid1(VALU_DEP_1)
	v_lshrrev_b32_e32 v7, s17, v7
	v_mul_hi_u32 v8, s19, v7
	s_delay_alu instid0(VALU_DEP_1) | instskip(SKIP_1) | instid1(VALU_DEP_1)
	v_add_nc_u32_e32 v8, v7, v8
	v_mul_lo_u32 v10, v5, s12
	v_sub_nc_u32_e32 v3, v3, v10
	v_mul_lo_u32 v10, v7, s15
	s_delay_alu instid0(VALU_DEP_4) | instskip(NEXT) | instid1(VALU_DEP_3)
	v_lshrrev_b32_e32 v8, s36, v8
	v_mad_u32 v12, v3, s21, v12
	v_mad_u32 v3, v3, s20, v4
	s_delay_alu instid0(VALU_DEP_4) | instskip(NEXT) | instid1(VALU_DEP_4)
	v_sub_nc_u32_e32 v4, v5, v10
	v_mul_hi_u32 v11, s38, v8
	v_mul_lo_u32 v5, v8, s18
	s_delay_alu instid0(VALU_DEP_1) | instskip(NEXT) | instid1(VALU_DEP_4)
	v_dual_add_nc_u32 v10, v8, v11 :: v_dual_sub_nc_u32 v5, v7, v5
	v_mad_u32 v11, v4, s23, v12
	v_mad_u32 v4, v4, s22, v3
	s_delay_alu instid0(VALU_DEP_3) | instskip(NEXT) | instid1(VALU_DEP_1)
	v_lshrrev_b32_e32 v3, s39, v10
	v_mul_lo_u32 v7, v3, s37
	s_delay_alu instid0(VALU_DEP_4) | instskip(NEXT) | instid1(VALU_DEP_4)
	v_mad_u32 v10, v5, s25, v11
	v_mad_u32 v4, v5, s24, v4
	s_delay_alu instid0(VALU_DEP_3) | instskip(NEXT) | instid1(VALU_DEP_1)
	v_sub_nc_u32_e32 v5, v8, v7
	v_mad_u32 v12, v5, s27, v10
	s_delay_alu instid0(VALU_DEP_3)
	v_mad_u32 v4, v5, s26, v4
	s_cbranch_scc1 .LBB103_979
; %bb.980:
	s_delay_alu instid0(VALU_DEP_2)
	v_mov_b32_e32 v5, v12
	s_and_b32 s6, s1, 3
	s_mov_b32 s1, 0
	s_cmp_eq_u32 s6, 0
	s_cbranch_scc0 .LBB103_984
	s_branch .LBB103_987
.LBB103_981:
	s_mov_b32 s8, -1
                                        ; implicit-def: $vgpr12
                                        ; implicit-def: $vgpr4
	s_branch .LBB103_987
.LBB103_982:
	v_dual_mov_b32 v12, 0 :: v_dual_mov_b32 v4, 0
	s_branch .LBB103_987
.LBB103_983:
	v_mov_b64_e32 v[4:5], 0
	v_mov_b32_e32 v3, v2
	s_mov_b32 s0, 0
                                        ; implicit-def: $vgpr12
	s_and_b32 s6, s1, 3
	s_mov_b32 s1, 0
	s_cmp_eq_u32 s6, 0
	s_cbranch_scc1 .LBB103_987
.LBB103_984:
	s_lshl_b32 s4, s0, 3
	s_mov_b32 s5, s1
	s_mul_u64 s[12:13], s[0:1], 12
	s_add_nc_u64 s[4:5], s[2:3], s[4:5]
	s_delay_alu instid0(SALU_CYCLE_1)
	s_add_nc_u64 s[0:1], s[4:5], 0xc4
	s_add_nc_u64 s[4:5], s[2:3], s[12:13]
.LBB103_985:                            ; =>This Inner Loop Header: Depth=1
	s_load_b96 s[12:14], s[4:5], 0x4
	s_add_co_i32 s6, s6, -1
	s_wait_xcnt 0x0
	s_add_nc_u64 s[4:5], s[4:5], 12
	s_cmp_lg_u32 s6, 0
	s_wait_kmcnt 0x0
	v_mul_hi_u32 v7, s13, v3
	s_delay_alu instid0(VALU_DEP_1) | instskip(NEXT) | instid1(VALU_DEP_1)
	v_add_nc_u32_e32 v7, v3, v7
	v_lshrrev_b32_e32 v7, s14, v7
	s_load_b64 s[14:15], s[0:1], 0x0
	s_wait_xcnt 0x0
	s_add_nc_u64 s[0:1], s[0:1], 8
	s_delay_alu instid0(VALU_DEP_1) | instskip(NEXT) | instid1(VALU_DEP_1)
	v_mul_lo_u32 v8, v7, s12
	v_sub_nc_u32_e32 v3, v3, v8
	s_wait_kmcnt 0x0
	s_delay_alu instid0(VALU_DEP_1)
	v_mad_u32 v5, v3, s15, v5
	v_mad_u32 v4, v3, s14, v4
	v_mov_b32_e32 v3, v7
	s_cbranch_scc1 .LBB103_985
; %bb.986:
	s_delay_alu instid0(VALU_DEP_3)
	v_mov_b32_e32 v12, v5
.LBB103_987:
	s_and_not1_b32 vcc_lo, exec_lo, s8
	s_cbranch_vccnz .LBB103_990
; %bb.988:
	s_clause 0x1
	s_load_b96 s[4:6], s[2:3], 0x4
	s_load_b64 s[0:1], s[2:3], 0xc4
	s_cmp_lt_u32 s28, 2
	s_wait_kmcnt 0x0
	v_mul_hi_u32 v3, s5, v2
	s_delay_alu instid0(VALU_DEP_1) | instskip(NEXT) | instid1(VALU_DEP_1)
	v_add_nc_u32_e32 v3, v2, v3
	v_lshrrev_b32_e32 v3, s6, v3
	s_delay_alu instid0(VALU_DEP_1) | instskip(NEXT) | instid1(VALU_DEP_1)
	v_mul_lo_u32 v4, v3, s4
	v_sub_nc_u32_e32 v2, v2, v4
	s_delay_alu instid0(VALU_DEP_1)
	v_mul_lo_u32 v12, v2, s1
	v_mul_lo_u32 v4, v2, s0
	s_cbranch_scc1 .LBB103_990
; %bb.989:
	s_clause 0x1
	s_load_b96 s[4:6], s[2:3], 0x10
	s_load_b64 s[0:1], s[2:3], 0xcc
	s_wait_kmcnt 0x0
	v_mul_hi_u32 v2, s5, v3
	s_delay_alu instid0(VALU_DEP_1) | instskip(NEXT) | instid1(VALU_DEP_1)
	v_add_nc_u32_e32 v2, v3, v2
	v_lshrrev_b32_e32 v2, s6, v2
	s_delay_alu instid0(VALU_DEP_1) | instskip(NEXT) | instid1(VALU_DEP_1)
	v_mul_lo_u32 v2, v2, s4
	v_sub_nc_u32_e32 v2, v3, v2
	s_delay_alu instid0(VALU_DEP_1)
	v_mad_u32 v4, v2, s0, v4
	v_mad_u32 v12, v2, s1, v12
.LBB103_990:
	v_cmp_ne_u32_e32 vcc_lo, 1, v1
	v_add_nc_u32_e32 v0, 0x100, v0
	s_cbranch_vccnz .LBB103_996
; %bb.991:
	s_cmp_lg_u32 s28, 0
	s_mov_b32 s8, 0
	s_cbranch_scc0 .LBB103_997
; %bb.992:
	s_min_u32 s1, s29, 15
	s_delay_alu instid0(SALU_CYCLE_1)
	s_add_co_i32 s1, s1, 1
	s_cmp_eq_u32 s29, 2
	s_cbranch_scc1 .LBB103_998
; %bb.993:
	v_dual_mov_b32 v2, 0 :: v_dual_mov_b32 v10, 0
	v_mov_b32_e32 v5, v0
	s_and_b32 s0, s1, 28
	s_add_nc_u64 s[4:5], s[2:3], 0xc4
	s_mov_b32 s9, 0
	s_mov_b64 s[6:7], s[2:3]
.LBB103_994:                            ; =>This Inner Loop Header: Depth=1
	s_clause 0x1
	s_load_b256 s[12:19], s[6:7], 0x4
	s_load_b128 s[36:39], s[6:7], 0x24
	s_load_b256 s[20:27], s[4:5], 0x0
	s_add_co_i32 s9, s9, 4
	s_wait_xcnt 0x0
	s_add_nc_u64 s[6:7], s[6:7], 48
	s_cmp_lg_u32 s0, s9
	s_add_nc_u64 s[4:5], s[4:5], 32
	s_wait_kmcnt 0x0
	v_mul_hi_u32 v3, s13, v5
	s_delay_alu instid0(VALU_DEP_1) | instskip(NEXT) | instid1(VALU_DEP_1)
	v_add_nc_u32_e32 v3, v5, v3
	v_lshrrev_b32_e32 v3, s14, v3
	s_delay_alu instid0(VALU_DEP_1) | instskip(NEXT) | instid1(VALU_DEP_1)
	v_mul_hi_u32 v7, s16, v3
	v_add_nc_u32_e32 v7, v3, v7
	s_delay_alu instid0(VALU_DEP_1) | instskip(NEXT) | instid1(VALU_DEP_1)
	v_lshrrev_b32_e32 v7, s17, v7
	v_mul_hi_u32 v8, s19, v7
	s_delay_alu instid0(VALU_DEP_1) | instskip(NEXT) | instid1(VALU_DEP_1)
	v_add_nc_u32_e32 v8, v7, v8
	v_lshrrev_b32_e32 v8, s36, v8
	v_mul_lo_u32 v11, v3, s12
	s_delay_alu instid0(VALU_DEP_2) | instskip(NEXT) | instid1(VALU_DEP_2)
	v_mul_hi_u32 v13, s38, v8
	v_sub_nc_u32_e32 v5, v5, v11
	s_delay_alu instid0(VALU_DEP_1) | instskip(SKIP_1) | instid1(VALU_DEP_4)
	v_mad_u32 v10, v5, s21, v10
	v_mad_u32 v2, v5, s20, v2
	v_add_nc_u32_e32 v5, v8, v13
	s_delay_alu instid0(VALU_DEP_1) | instskip(SKIP_1) | instid1(VALU_DEP_1)
	v_lshrrev_b32_e32 v5, s39, v5
	v_mul_lo_u32 v11, v7, s15
	v_sub_nc_u32_e32 v3, v3, v11
	v_mul_lo_u32 v11, v8, s18
	s_delay_alu instid0(VALU_DEP_2) | instskip(SKIP_1) | instid1(VALU_DEP_3)
	v_mad_u32 v10, v3, s23, v10
	v_mad_u32 v2, v3, s22, v2
	v_sub_nc_u32_e32 v3, v7, v11
	v_mul_lo_u32 v7, v5, s37
	s_delay_alu instid0(VALU_DEP_2) | instskip(NEXT) | instid1(VALU_DEP_4)
	v_mad_u32 v10, v3, s25, v10
	v_mad_u32 v2, v3, s24, v2
	s_delay_alu instid0(VALU_DEP_3) | instskip(NEXT) | instid1(VALU_DEP_1)
	v_sub_nc_u32_e32 v3, v8, v7
	v_mad_u32 v10, v3, s27, v10
	s_delay_alu instid0(VALU_DEP_3)
	v_mad_u32 v2, v3, s26, v2
	s_cbranch_scc1 .LBB103_994
; %bb.995:
	s_delay_alu instid0(VALU_DEP_2)
	v_mov_b32_e32 v3, v10
	s_and_b32 s6, s1, 3
	s_mov_b32 s1, 0
	s_cmp_eq_u32 s6, 0
	s_cbranch_scc0 .LBB103_999
	s_branch .LBB103_1002
.LBB103_996:
	s_mov_b32 s8, -1
                                        ; implicit-def: $vgpr10
                                        ; implicit-def: $vgpr2
	s_branch .LBB103_1002
.LBB103_997:
	v_dual_mov_b32 v10, 0 :: v_dual_mov_b32 v2, 0
	s_branch .LBB103_1002
.LBB103_998:
	v_mov_b64_e32 v[2:3], 0
	v_mov_b32_e32 v5, v0
	s_mov_b32 s0, 0
                                        ; implicit-def: $vgpr10
	s_and_b32 s6, s1, 3
	s_mov_b32 s1, 0
	s_cmp_eq_u32 s6, 0
	s_cbranch_scc1 .LBB103_1002
.LBB103_999:
	s_lshl_b32 s4, s0, 3
	s_mov_b32 s5, s1
	s_mul_u64 s[12:13], s[0:1], 12
	s_add_nc_u64 s[4:5], s[2:3], s[4:5]
	s_delay_alu instid0(SALU_CYCLE_1)
	s_add_nc_u64 s[0:1], s[4:5], 0xc4
	s_add_nc_u64 s[4:5], s[2:3], s[12:13]
.LBB103_1000:                           ; =>This Inner Loop Header: Depth=1
	s_load_b96 s[12:14], s[4:5], 0x4
	s_add_co_i32 s6, s6, -1
	s_wait_xcnt 0x0
	s_add_nc_u64 s[4:5], s[4:5], 12
	s_cmp_lg_u32 s6, 0
	s_wait_kmcnt 0x0
	v_mul_hi_u32 v7, s13, v5
	s_delay_alu instid0(VALU_DEP_1) | instskip(NEXT) | instid1(VALU_DEP_1)
	v_add_nc_u32_e32 v7, v5, v7
	v_lshrrev_b32_e32 v7, s14, v7
	s_load_b64 s[14:15], s[0:1], 0x0
	s_wait_xcnt 0x0
	s_add_nc_u64 s[0:1], s[0:1], 8
	s_delay_alu instid0(VALU_DEP_1) | instskip(NEXT) | instid1(VALU_DEP_1)
	v_mul_lo_u32 v8, v7, s12
	v_sub_nc_u32_e32 v5, v5, v8
	s_wait_kmcnt 0x0
	s_delay_alu instid0(VALU_DEP_1)
	v_mad_u32 v3, v5, s15, v3
	v_mad_u32 v2, v5, s14, v2
	v_mov_b32_e32 v5, v7
	s_cbranch_scc1 .LBB103_1000
; %bb.1001:
	s_delay_alu instid0(VALU_DEP_3)
	v_mov_b32_e32 v10, v3
.LBB103_1002:
	s_and_not1_b32 vcc_lo, exec_lo, s8
	s_cbranch_vccnz .LBB103_1005
; %bb.1003:
	s_clause 0x1
	s_load_b96 s[4:6], s[2:3], 0x4
	s_load_b64 s[0:1], s[2:3], 0xc4
	s_cmp_lt_u32 s28, 2
	s_wait_kmcnt 0x0
	v_mul_hi_u32 v2, s5, v0
	s_delay_alu instid0(VALU_DEP_1) | instskip(NEXT) | instid1(VALU_DEP_1)
	v_add_nc_u32_e32 v2, v0, v2
	v_lshrrev_b32_e32 v3, s6, v2
	s_delay_alu instid0(VALU_DEP_1) | instskip(NEXT) | instid1(VALU_DEP_1)
	v_mul_lo_u32 v2, v3, s4
	v_sub_nc_u32_e32 v0, v0, v2
	s_delay_alu instid0(VALU_DEP_1)
	v_mul_lo_u32 v10, v0, s1
	v_mul_lo_u32 v2, v0, s0
	s_cbranch_scc1 .LBB103_1005
; %bb.1004:
	s_clause 0x1
	s_load_b96 s[4:6], s[2:3], 0x10
	s_load_b64 s[0:1], s[2:3], 0xcc
	s_wait_kmcnt 0x0
	v_mul_hi_u32 v0, s5, v3
	s_delay_alu instid0(VALU_DEP_1) | instskip(NEXT) | instid1(VALU_DEP_1)
	v_add_nc_u32_e32 v0, v3, v0
	v_lshrrev_b32_e32 v0, s6, v0
	s_delay_alu instid0(VALU_DEP_1) | instskip(NEXT) | instid1(VALU_DEP_1)
	v_mul_lo_u32 v0, v0, s4
	v_sub_nc_u32_e32 v0, v3, v0
	s_delay_alu instid0(VALU_DEP_1)
	v_mad_u32 v2, v0, s0, v2
	v_mad_u32 v10, v0, s1, v10
.LBB103_1005:
	v_cmp_ne_u32_e32 vcc_lo, 1, v1
	s_cbranch_vccnz .LBB103_1011
; %bb.1006:
	s_cmp_lg_u32 s28, 0
	s_mov_b32 s8, 0
	s_cbranch_scc0 .LBB103_1012
; %bb.1007:
	s_min_u32 s1, s29, 15
	s_delay_alu instid0(SALU_CYCLE_1)
	s_add_co_i32 s1, s1, 1
	s_cmp_eq_u32 s29, 2
	s_cbranch_scc1 .LBB103_1013
; %bb.1008:
	v_dual_mov_b32 v0, 0 :: v_dual_mov_b32 v8, 0
	v_mov_b32_e32 v3, v9
	s_and_b32 s0, s1, 28
	s_add_nc_u64 s[4:5], s[2:3], 0xc4
	s_mov_b32 s9, 0
	s_mov_b64 s[6:7], s[2:3]
.LBB103_1009:                           ; =>This Inner Loop Header: Depth=1
	s_clause 0x1
	s_load_b256 s[12:19], s[6:7], 0x4
	s_load_b128 s[36:39], s[6:7], 0x24
	s_load_b256 s[20:27], s[4:5], 0x0
	s_add_co_i32 s9, s9, 4
	s_wait_xcnt 0x0
	s_add_nc_u64 s[6:7], s[6:7], 48
	s_cmp_lg_u32 s0, s9
	s_add_nc_u64 s[4:5], s[4:5], 32
	s_wait_kmcnt 0x0
	v_mul_hi_u32 v1, s13, v3
	s_delay_alu instid0(VALU_DEP_1) | instskip(NEXT) | instid1(VALU_DEP_1)
	v_add_nc_u32_e32 v1, v3, v1
	v_lshrrev_b32_e32 v1, s14, v1
	s_delay_alu instid0(VALU_DEP_1) | instskip(NEXT) | instid1(VALU_DEP_1)
	v_mul_lo_u32 v11, v1, s12
	v_sub_nc_u32_e32 v3, v3, v11
	v_mul_hi_u32 v5, s16, v1
	s_delay_alu instid0(VALU_DEP_2) | instskip(SKIP_1) | instid1(VALU_DEP_3)
	v_mad_u32 v8, v3, s21, v8
	v_mad_u32 v0, v3, s20, v0
	v_add_nc_u32_e32 v5, v1, v5
	s_delay_alu instid0(VALU_DEP_1) | instskip(NEXT) | instid1(VALU_DEP_1)
	v_lshrrev_b32_e32 v5, s17, v5
	v_mul_lo_u32 v11, v5, s15
	s_delay_alu instid0(VALU_DEP_1) | instskip(SKIP_1) | instid1(VALU_DEP_2)
	v_sub_nc_u32_e32 v1, v1, v11
	v_mul_hi_u32 v7, s19, v5
	v_mad_u32 v8, v1, s23, v8
	v_mad_u32 v0, v1, s22, v0
	s_delay_alu instid0(VALU_DEP_3) | instskip(NEXT) | instid1(VALU_DEP_1)
	v_add_nc_u32_e32 v7, v5, v7
	v_lshrrev_b32_e32 v7, s36, v7
	s_delay_alu instid0(VALU_DEP_1) | instskip(SKIP_1) | instid1(VALU_DEP_1)
	v_mul_hi_u32 v13, s38, v7
	v_mul_lo_u32 v11, v7, s18
	v_dual_add_nc_u32 v3, v7, v13 :: v_dual_sub_nc_u32 v1, v5, v11
	s_delay_alu instid0(VALU_DEP_1) | instskip(NEXT) | instid1(VALU_DEP_2)
	v_lshrrev_b32_e32 v3, s39, v3
	v_mad_u32 v8, v1, s25, v8
	v_mad_u32 v0, v1, s24, v0
	s_delay_alu instid0(VALU_DEP_3) | instskip(NEXT) | instid1(VALU_DEP_1)
	v_mul_lo_u32 v5, v3, s37
	v_sub_nc_u32_e32 v1, v7, v5
	s_delay_alu instid0(VALU_DEP_1) | instskip(NEXT) | instid1(VALU_DEP_4)
	v_mad_u32 v8, v1, s27, v8
	v_mad_u32 v0, v1, s26, v0
	s_cbranch_scc1 .LBB103_1009
; %bb.1010:
	s_delay_alu instid0(VALU_DEP_2)
	v_mov_b32_e32 v1, v8
	s_and_b32 s6, s1, 3
	s_mov_b32 s1, 0
	s_cmp_eq_u32 s6, 0
	s_cbranch_scc0 .LBB103_1014
	s_branch .LBB103_1017
.LBB103_1011:
	s_mov_b32 s8, -1
                                        ; implicit-def: $vgpr8
                                        ; implicit-def: $vgpr0
	s_branch .LBB103_1017
.LBB103_1012:
	v_dual_mov_b32 v8, 0 :: v_dual_mov_b32 v0, 0
	s_branch .LBB103_1017
.LBB103_1013:
	v_mov_b64_e32 v[0:1], 0
	v_mov_b32_e32 v3, v9
	s_mov_b32 s0, 0
                                        ; implicit-def: $vgpr8
	s_and_b32 s6, s1, 3
	s_mov_b32 s1, 0
	s_cmp_eq_u32 s6, 0
	s_cbranch_scc1 .LBB103_1017
.LBB103_1014:
	s_lshl_b32 s4, s0, 3
	s_mov_b32 s5, s1
	s_mul_u64 s[12:13], s[0:1], 12
	s_add_nc_u64 s[4:5], s[2:3], s[4:5]
	s_delay_alu instid0(SALU_CYCLE_1)
	s_add_nc_u64 s[0:1], s[4:5], 0xc4
	s_add_nc_u64 s[4:5], s[2:3], s[12:13]
.LBB103_1015:                           ; =>This Inner Loop Header: Depth=1
	s_load_b96 s[12:14], s[4:5], 0x4
	s_add_co_i32 s6, s6, -1
	s_wait_xcnt 0x0
	s_add_nc_u64 s[4:5], s[4:5], 12
	s_cmp_lg_u32 s6, 0
	s_wait_kmcnt 0x0
	v_mul_hi_u32 v5, s13, v3
	s_delay_alu instid0(VALU_DEP_1) | instskip(NEXT) | instid1(VALU_DEP_1)
	v_add_nc_u32_e32 v5, v3, v5
	v_lshrrev_b32_e32 v5, s14, v5
	s_load_b64 s[14:15], s[0:1], 0x0
	s_wait_xcnt 0x0
	s_add_nc_u64 s[0:1], s[0:1], 8
	s_delay_alu instid0(VALU_DEP_1) | instskip(NEXT) | instid1(VALU_DEP_1)
	v_mul_lo_u32 v7, v5, s12
	v_sub_nc_u32_e32 v3, v3, v7
	s_wait_kmcnt 0x0
	s_delay_alu instid0(VALU_DEP_1)
	v_mad_u32 v1, v3, s15, v1
	v_mad_u32 v0, v3, s14, v0
	v_mov_b32_e32 v3, v5
	s_cbranch_scc1 .LBB103_1015
; %bb.1016:
	s_delay_alu instid0(VALU_DEP_3)
	v_mov_b32_e32 v8, v1
.LBB103_1017:
	s_and_not1_b32 vcc_lo, exec_lo, s8
	s_cbranch_vccnz .LBB103_1020
; %bb.1018:
	s_clause 0x1
	s_load_b96 s[4:6], s[2:3], 0x4
	s_load_b64 s[0:1], s[2:3], 0xc4
	s_cmp_lt_u32 s28, 2
	s_wait_kmcnt 0x0
	v_mul_hi_u32 v0, s5, v9
	s_delay_alu instid0(VALU_DEP_1) | instskip(NEXT) | instid1(VALU_DEP_1)
	v_add_nc_u32_e32 v0, v9, v0
	v_lshrrev_b32_e32 v1, s6, v0
	s_delay_alu instid0(VALU_DEP_1) | instskip(NEXT) | instid1(VALU_DEP_1)
	v_mul_lo_u32 v0, v1, s4
	v_sub_nc_u32_e32 v0, v9, v0
	s_delay_alu instid0(VALU_DEP_1)
	v_mul_lo_u32 v8, v0, s1
	v_mul_lo_u32 v0, v0, s0
	s_cbranch_scc1 .LBB103_1020
; %bb.1019:
	s_clause 0x1
	s_load_b96 s[4:6], s[2:3], 0x10
	s_load_b64 s[0:1], s[2:3], 0xcc
	s_wait_kmcnt 0x0
	v_mul_hi_u32 v3, s5, v1
	s_delay_alu instid0(VALU_DEP_1) | instskip(NEXT) | instid1(VALU_DEP_1)
	v_add_nc_u32_e32 v3, v1, v3
	v_lshrrev_b32_e32 v3, s6, v3
	s_delay_alu instid0(VALU_DEP_1) | instskip(NEXT) | instid1(VALU_DEP_1)
	v_mul_lo_u32 v3, v3, s4
	v_sub_nc_u32_e32 v1, v1, v3
	s_delay_alu instid0(VALU_DEP_1)
	v_mad_u32 v0, v1, s0, v0
	v_mad_u32 v8, v1, s1, v8
.LBB103_1020:
	v_mov_b32_e32 v15, 0
	s_load_b128 s[4:7], s[2:3], 0x148
	global_load_u8 v1, v15, s[2:3] offset:361
	s_wait_kmcnt 0x0
	v_add_nc_u64_e32 v[14:15], s[6:7], v[14:15]
	s_wait_loadcnt 0x0
	v_and_b32_e32 v3, 0xffff, v1
	v_readfirstlane_b32 s12, v1
	s_delay_alu instid0(VALU_DEP_2)
	v_cmp_gt_i32_e32 vcc_lo, 11, v3
	s_cbranch_vccnz .LBB103_1027
; %bb.1021:
	s_and_b32 s0, 0xffff, s12
	s_mov_b32 s8, 0
	s_cmp_gt_i32 s0, 25
	s_cbranch_scc0 .LBB103_1038
; %bb.1022:
	s_cmp_gt_i32 s0, 28
	s_cbranch_scc0 .LBB103_1039
; %bb.1023:
	;; [unrolled: 3-line block ×4, first 2 shown]
	s_cmp_eq_u32 s0, 46
	s_mov_b32 s13, 0
	s_cbranch_scc0 .LBB103_1056
; %bb.1026:
	global_load_b32 v1, v[14:15], off
	s_mov_b32 s1, 0
	s_mov_b32 s9, -1
	s_wait_loadcnt 0x0
	v_lshlrev_b32_e32 v1, 16, v1
	s_delay_alu instid0(VALU_DEP_1)
	v_cvt_i32_f32_e32 v1, v1
	s_branch .LBB103_1058
.LBB103_1027:
	s_mov_b32 s9, 0
	s_mov_b32 s1, s10
                                        ; implicit-def: $vgpr1
	s_cbranch_execnz .LBB103_1118
.LBB103_1028:
	s_and_not1_b32 vcc_lo, exec_lo, s9
	s_cbranch_vccnz .LBB103_1163
.LBB103_1029:
	s_clause 0x1
	s_load_b32 s16, s[2:3], 0x158
	s_load_b64 s[8:9], s[2:3], 0x160
	s_get_pc_i64 s[14:15]
	s_add_nc_u64 s[14:15], s[14:15], .str.5@rel64+4
	s_wait_loadcnt 0x0
	s_wait_kmcnt 0x0
	s_delay_alu instid0(VALU_DEP_1) | instskip(SKIP_4) | instid1(SALU_CYCLE_1)
	v_cmp_gt_i32_e32 vcc_lo, s16, v1
	v_cmp_le_i32_e64 s0, s8, v1
	s_or_b32 s0, vcc_lo, s0
	s_cmp_eq_u64 s[14:15], 0
	s_cselect_b32 s9, -1, 0
	s_or_b32 s0, s9, s0
	s_delay_alu instid0(SALU_CYCLE_1) | instskip(NEXT) | instid1(SALU_CYCLE_1)
	s_and_saveexec_b32 s9, s0
	s_xor_b32 s0, exec_lo, s9
	s_cbranch_execnz .LBB103_1413
.LBB103_1030:
	s_or_saveexec_b32 s9, s0
	s_mov_b32 s13, 0
	s_mov_b32 s15, 0
                                        ; implicit-def: $vgpr14_vgpr15
                                        ; implicit-def: $sgpr0
	s_xor_b32 exec_lo, exec_lo, s9
	s_cbranch_execz .LBB103_1852
; %bb.1031:
	v_mov_b32_e32 v13, 0
	s_and_b32 s17, 0xffff, s12
	s_delay_alu instid0(SALU_CYCLE_1) | instskip(NEXT) | instid1(VALU_DEP_1)
	s_cmp_lt_i32 s17, 11
	v_add_nc_u64_e32 v[12:13], s[6:7], v[12:13]
	s_cbranch_scc1 .LBB103_1040
; %bb.1032:
	s_cmp_gt_i32 s17, 25
	s_cbranch_scc0 .LBB103_1052
; %bb.1033:
	s_cmp_gt_i32 s17, 28
	s_cbranch_scc0 .LBB103_1054
; %bb.1034:
	s_cmp_gt_i32 s17, 43
	s_cbranch_scc0 .LBB103_1062
; %bb.1035:
	s_cmp_gt_i32 s17, 45
	s_cbranch_scc0 .LBB103_1165
; %bb.1036:
	s_cmp_eq_u32 s17, 46
	s_mov_b32 s12, 0
	s_cbranch_scc0 .LBB103_1167
; %bb.1037:
	global_load_b32 v1, v[12:13], off
	s_mov_b32 s0, 0
	s_mov_b32 s14, -1
	s_wait_loadcnt 0x0
	v_lshlrev_b32_e32 v1, 16, v1
	s_delay_alu instid0(VALU_DEP_1)
	v_cvt_i32_f32_e32 v1, v1
	s_branch .LBB103_1169
.LBB103_1038:
	s_mov_b32 s9, 0
	s_mov_b32 s1, 0
                                        ; implicit-def: $vgpr1
	s_cbranch_execnz .LBB103_1085
	s_branch .LBB103_1114
.LBB103_1039:
	s_mov_b32 s9, 0
	s_mov_b32 s1, 0
                                        ; implicit-def: $vgpr1
	s_cbranch_execz .LBB103_1084
	s_branch .LBB103_1069
.LBB103_1040:
	s_mov_b32 s14, 0
	s_mov_b32 s12, s1
                                        ; implicit-def: $vgpr1
	s_cbranch_execnz .LBB103_1232
.LBB103_1041:
	s_and_not1_b32 vcc_lo, exec_lo, s14
	s_cbranch_vccnz .LBB103_1280
.LBB103_1042:
	s_wait_loadcnt 0x0
	s_delay_alu instid0(VALU_DEP_1) | instskip(SKIP_4) | instid1(SALU_CYCLE_1)
	v_cmp_gt_i32_e32 vcc_lo, s16, v1
	v_cmp_le_i32_e64 s0, s8, v1
	s_or_b32 s0, vcc_lo, s0
	s_wait_xcnt 0x0
	s_and_saveexec_b32 s13, s0
	s_xor_b32 s0, exec_lo, s13
	s_cbranch_execnz .LBB103_1900
.LBB103_1043:
	s_or_saveexec_b32 s13, s0
	s_mov_b32 s14, 0
	s_mov_b32 s15, 0
                                        ; implicit-def: $vgpr14_vgpr15
                                        ; implicit-def: $sgpr0
	s_xor_b32 exec_lo, exec_lo, s13
	s_cbranch_execz .LBB103_1850
; %bb.1044:
	v_mov_b32_e32 v11, 0
	s_cmp_lt_i32 s17, 11
	s_delay_alu instid0(VALU_DEP_1)
	v_add_nc_u64_e32 v[10:11], s[6:7], v[10:11]
	s_cbranch_scc1 .LBB103_1055
; %bb.1045:
	s_cmp_gt_i32 s17, 25
	s_cbranch_scc0 .LBB103_1063
; %bb.1046:
	s_cmp_gt_i32 s17, 28
	s_cbranch_scc0 .LBB103_1166
	;; [unrolled: 3-line block ×4, first 2 shown]
; %bb.1049:
	s_cmp_eq_u32 s17, 46
	s_cbranch_scc0 .LBB103_1283
; %bb.1050:
	global_load_b32 v1, v[10:11], off
	s_mov_b32 s0, 0
	s_mov_b32 s18, -1
	s_wait_loadcnt 0x0
	v_lshlrev_b32_e32 v1, 16, v1
	s_delay_alu instid0(VALU_DEP_1)
	v_cvt_i32_f32_e32 v1, v1
	s_branch .LBB103_1285
.LBB103_1051:
	s_mov_b32 s9, 0
	s_mov_b32 s1, 0
                                        ; implicit-def: $vgpr1
	s_cbranch_execnz .LBB103_1065
	s_branch .LBB103_1068
.LBB103_1052:
	s_mov_b32 s12, -1
	s_mov_b32 s14, 0
	s_mov_b32 s0, 0
                                        ; implicit-def: $vgpr1
	s_branch .LBB103_1197
.LBB103_1053:
	s_mov_b32 s13, -1
	s_mov_b32 s9, 0
	s_mov_b32 s1, 0
	s_branch .LBB103_1057
.LBB103_1054:
	s_mov_b32 s12, -1
	s_mov_b32 s14, 0
	s_mov_b32 s0, 0
                                        ; implicit-def: $vgpr1
	s_branch .LBB103_1180
.LBB103_1055:
	s_mov_b32 s0, -1
	s_mov_b32 s18, 0
	s_mov_b32 s14, s12
                                        ; implicit-def: $vgpr1
	s_branch .LBB103_1347
.LBB103_1056:
	s_mov_b32 s1, -1
	s_mov_b32 s9, 0
.LBB103_1057:
                                        ; implicit-def: $vgpr1
.LBB103_1058:
	s_and_b32 vcc_lo, exec_lo, s13
	s_cbranch_vccz .LBB103_1061
; %bb.1059:
	s_cmp_eq_u32 s0, 44
	s_cbranch_scc0 .LBB103_1064
; %bb.1060:
	global_load_u8 v1, v[14:15], off
	s_mov_b32 s1, 0
	s_mov_b32 s9, -1
	s_wait_loadcnt 0x0
	v_lshlrev_b32_e32 v3, 23, v1
	v_cmp_ne_u32_e32 vcc_lo, 0, v1
	s_delay_alu instid0(VALU_DEP_2) | instskip(NEXT) | instid1(VALU_DEP_1)
	v_cvt_i32_f32_e32 v3, v3
	v_cndmask_b32_e32 v1, 0, v3, vcc_lo
.LBB103_1061:
	s_branch .LBB103_1068
.LBB103_1062:
	s_mov_b32 s12, -1
	s_mov_b32 s14, 0
	s_mov_b32 s0, 0
                                        ; implicit-def: $vgpr1
	s_branch .LBB103_1175
.LBB103_1063:
	s_mov_b32 s14, -1
	s_mov_b32 s18, 0
	s_mov_b32 s0, 0
                                        ; implicit-def: $vgpr1
	s_branch .LBB103_1312
.LBB103_1064:
	s_mov_b32 s1, -1
                                        ; implicit-def: $vgpr1
	s_branch .LBB103_1068
.LBB103_1065:
	s_cmp_eq_u32 s0, 29
	s_cbranch_scc0 .LBB103_1067
; %bb.1066:
	global_load_b32 v1, v[14:15], off
	s_mov_b32 s1, 0
	s_mov_b32 s9, -1
	s_branch .LBB103_1068
.LBB103_1067:
	s_mov_b32 s1, -1
                                        ; implicit-def: $vgpr1
.LBB103_1068:
	s_branch .LBB103_1084
.LBB103_1069:
	s_cmp_lt_i32 s0, 27
	s_cbranch_scc1 .LBB103_1072
; %bb.1070:
	s_cmp_gt_i32 s0, 27
	s_cbranch_scc0 .LBB103_1073
; %bb.1071:
	s_wait_loadcnt 0x0
	global_load_b32 v1, v[14:15], off
	s_mov_b32 s9, 0
	s_branch .LBB103_1074
.LBB103_1072:
	s_mov_b32 s9, -1
                                        ; implicit-def: $vgpr1
	s_branch .LBB103_1077
.LBB103_1073:
	s_mov_b32 s9, -1
                                        ; implicit-def: $vgpr1
.LBB103_1074:
	s_delay_alu instid0(SALU_CYCLE_1)
	s_and_not1_b32 vcc_lo, exec_lo, s9
	s_cbranch_vccnz .LBB103_1076
; %bb.1075:
	s_wait_loadcnt 0x0
	global_load_u16 v1, v[14:15], off
.LBB103_1076:
	s_mov_b32 s9, 0
.LBB103_1077:
	s_delay_alu instid0(SALU_CYCLE_1)
	s_and_not1_b32 vcc_lo, exec_lo, s9
	s_cbranch_vccnz .LBB103_1083
; %bb.1078:
	global_load_u8 v3, v[14:15], off
	s_mov_b32 s13, 0
	s_mov_b32 s9, exec_lo
	s_wait_loadcnt 0x0
	v_cmpx_lt_i16_e32 0x7f, v3
	s_xor_b32 s9, exec_lo, s9
	s_cbranch_execz .LBB103_1094
; %bb.1079:
	v_cmp_ne_u16_e32 vcc_lo, 0x80, v3
	s_and_b32 s13, vcc_lo, exec_lo
	s_and_not1_saveexec_b32 s9, s9
	s_cbranch_execnz .LBB103_1095
.LBB103_1080:
	s_or_b32 exec_lo, exec_lo, s9
	v_mov_b32_e32 v1, 0
	s_and_saveexec_b32 s9, s13
	s_cbranch_execz .LBB103_1082
.LBB103_1081:
	v_and_b32_e32 v1, 0xffff, v3
	s_delay_alu instid0(VALU_DEP_1) | instskip(SKIP_1) | instid1(VALU_DEP_2)
	v_and_b32_e32 v5, 7, v1
	v_bfe_u32 v11, v1, 3, 4
	v_clz_i32_u32_e32 v7, v5
	s_delay_alu instid0(VALU_DEP_2) | instskip(NEXT) | instid1(VALU_DEP_2)
	v_cmp_eq_u32_e32 vcc_lo, 0, v11
	v_min_u32_e32 v7, 32, v7
	s_delay_alu instid0(VALU_DEP_1) | instskip(NEXT) | instid1(VALU_DEP_1)
	v_subrev_nc_u32_e32 v9, 28, v7
	v_dual_lshlrev_b32 v1, v9, v1 :: v_dual_sub_nc_u32 v7, 29, v7
	s_delay_alu instid0(VALU_DEP_1) | instskip(NEXT) | instid1(VALU_DEP_1)
	v_dual_lshlrev_b32 v3, 24, v3 :: v_dual_bitop2_b32 v1, 7, v1 bitop3:0x40
	v_dual_cndmask_b32 v1, v5, v1, vcc_lo :: v_dual_cndmask_b32 v7, v11, v7, vcc_lo
	s_delay_alu instid0(VALU_DEP_2) | instskip(NEXT) | instid1(VALU_DEP_2)
	v_and_b32_e32 v3, 0x80000000, v3
	v_lshlrev_b32_e32 v1, 20, v1
	s_delay_alu instid0(VALU_DEP_3) | instskip(NEXT) | instid1(VALU_DEP_1)
	v_lshl_add_u32 v5, v7, 23, 0x3b800000
	v_or3_b32 v1, v3, v5, v1
	s_delay_alu instid0(VALU_DEP_1)
	v_cvt_i32_f32_e32 v1, v1
.LBB103_1082:
	s_or_b32 exec_lo, exec_lo, s9
.LBB103_1083:
	s_mov_b32 s9, -1
.LBB103_1084:
	s_branch .LBB103_1114
.LBB103_1085:
	s_cmp_gt_i32 s0, 22
	s_cbranch_scc0 .LBB103_1093
; %bb.1086:
	s_cmp_lt_i32 s0, 24
	s_cbranch_scc1 .LBB103_1096
; %bb.1087:
	s_cmp_gt_i32 s0, 24
	s_cbranch_scc0 .LBB103_1097
; %bb.1088:
	global_load_u8 v3, v[14:15], off
	s_mov_b32 s9, 0
	s_mov_b32 s8, exec_lo
	s_wait_loadcnt 0x0
	v_cmpx_lt_i16_e32 0x7f, v3
	s_xor_b32 s8, exec_lo, s8
	s_cbranch_execz .LBB103_1108
; %bb.1089:
	v_cmp_ne_u16_e32 vcc_lo, 0x80, v3
	s_and_b32 s9, vcc_lo, exec_lo
	s_and_not1_saveexec_b32 s8, s8
	s_cbranch_execnz .LBB103_1109
.LBB103_1090:
	s_or_b32 exec_lo, exec_lo, s8
	v_mov_b32_e32 v1, 0
	s_and_saveexec_b32 s8, s9
	s_cbranch_execz .LBB103_1092
.LBB103_1091:
	v_and_b32_e32 v1, 0xffff, v3
	s_delay_alu instid0(VALU_DEP_1) | instskip(SKIP_1) | instid1(VALU_DEP_2)
	v_and_b32_e32 v5, 3, v1
	v_bfe_u32 v11, v1, 2, 5
	v_clz_i32_u32_e32 v7, v5
	s_delay_alu instid0(VALU_DEP_2) | instskip(NEXT) | instid1(VALU_DEP_2)
	v_cmp_eq_u32_e32 vcc_lo, 0, v11
	v_min_u32_e32 v7, 32, v7
	s_delay_alu instid0(VALU_DEP_1) | instskip(NEXT) | instid1(VALU_DEP_1)
	v_subrev_nc_u32_e32 v9, 29, v7
	v_dual_lshlrev_b32 v1, v9, v1 :: v_dual_sub_nc_u32 v7, 30, v7
	s_delay_alu instid0(VALU_DEP_1) | instskip(NEXT) | instid1(VALU_DEP_1)
	v_dual_lshlrev_b32 v3, 24, v3 :: v_dual_bitop2_b32 v1, 3, v1 bitop3:0x40
	v_dual_cndmask_b32 v1, v5, v1, vcc_lo :: v_dual_cndmask_b32 v7, v11, v7, vcc_lo
	s_delay_alu instid0(VALU_DEP_2) | instskip(NEXT) | instid1(VALU_DEP_2)
	v_and_b32_e32 v3, 0x80000000, v3
	v_lshlrev_b32_e32 v1, 21, v1
	s_delay_alu instid0(VALU_DEP_3) | instskip(NEXT) | instid1(VALU_DEP_1)
	v_lshl_add_u32 v5, v7, 23, 0x37800000
	v_or3_b32 v1, v3, v5, v1
	s_delay_alu instid0(VALU_DEP_1)
	v_cvt_i32_f32_e32 v1, v1
.LBB103_1092:
	s_or_b32 exec_lo, exec_lo, s8
	s_mov_b32 s8, 0
	s_branch .LBB103_1098
.LBB103_1093:
                                        ; implicit-def: $vgpr1
	s_mov_b32 s8, 0
	s_branch .LBB103_1104
.LBB103_1094:
	s_and_not1_saveexec_b32 s9, s9
	s_cbranch_execz .LBB103_1080
.LBB103_1095:
	v_cmp_ne_u16_e32 vcc_lo, 0, v3
	s_and_not1_b32 s13, s13, exec_lo
	s_and_b32 s14, vcc_lo, exec_lo
	s_delay_alu instid0(SALU_CYCLE_1)
	s_or_b32 s13, s13, s14
	s_or_b32 exec_lo, exec_lo, s9
	v_mov_b32_e32 v1, 0
	s_and_saveexec_b32 s9, s13
	s_cbranch_execnz .LBB103_1081
	s_branch .LBB103_1082
.LBB103_1096:
	s_mov_b32 s8, -1
                                        ; implicit-def: $vgpr1
	s_branch .LBB103_1101
.LBB103_1097:
	s_mov_b32 s8, -1
                                        ; implicit-def: $vgpr1
.LBB103_1098:
	s_delay_alu instid0(SALU_CYCLE_1)
	s_and_b32 vcc_lo, exec_lo, s8
	s_cbranch_vccz .LBB103_1100
; %bb.1099:
	s_wait_loadcnt 0x0
	global_load_u8 v1, v[14:15], off
	s_wait_loadcnt 0x0
	v_lshlrev_b32_e32 v1, 24, v1
	s_delay_alu instid0(VALU_DEP_1) | instskip(NEXT) | instid1(VALU_DEP_1)
	v_and_b32_e32 v3, 0x7f000000, v1
	v_clz_i32_u32_e32 v5, v3
	v_add_nc_u32_e32 v9, 0x1000000, v3
	v_cmp_ne_u32_e32 vcc_lo, 0, v3
	s_delay_alu instid0(VALU_DEP_3) | instskip(NEXT) | instid1(VALU_DEP_1)
	v_min_u32_e32 v5, 32, v5
	v_sub_nc_u32_e64 v5, v5, 4 clamp
	s_delay_alu instid0(VALU_DEP_1) | instskip(NEXT) | instid1(VALU_DEP_1)
	v_dual_lshlrev_b32 v7, v5, v3 :: v_dual_lshlrev_b32 v5, 23, v5
	v_lshrrev_b32_e32 v7, 4, v7
	s_delay_alu instid0(VALU_DEP_1) | instskip(SKIP_1) | instid1(VALU_DEP_2)
	v_sub_nc_u32_e32 v5, v7, v5
	v_ashrrev_i32_e32 v7, 8, v9
	v_add_nc_u32_e32 v5, 0x3c000000, v5
	s_delay_alu instid0(VALU_DEP_1) | instskip(NEXT) | instid1(VALU_DEP_1)
	v_and_or_b32 v5, 0x7f800000, v7, v5
	v_cndmask_b32_e32 v3, 0, v5, vcc_lo
	s_delay_alu instid0(VALU_DEP_1) | instskip(NEXT) | instid1(VALU_DEP_1)
	v_and_or_b32 v1, 0x80000000, v1, v3
	v_cvt_i32_f32_e32 v1, v1
.LBB103_1100:
	s_mov_b32 s8, 0
.LBB103_1101:
	s_delay_alu instid0(SALU_CYCLE_1)
	s_and_not1_b32 vcc_lo, exec_lo, s8
	s_cbranch_vccnz .LBB103_1103
; %bb.1102:
	s_wait_loadcnt 0x0
	global_load_u8 v1, v[14:15], off
	s_wait_loadcnt 0x0
	v_lshlrev_b32_e32 v3, 25, v1
	v_lshlrev_b16 v1, 8, v1
	s_delay_alu instid0(VALU_DEP_1) | instskip(SKIP_1) | instid1(VALU_DEP_2)
	v_and_or_b32 v7, 0x7f00, v1, 0.5
	v_bfe_i32 v1, v1, 0, 16
	v_add_f32_e32 v7, -0.5, v7
	v_lshrrev_b32_e32 v5, 4, v3
	v_cmp_gt_u32_e32 vcc_lo, 0x8000000, v3
	s_delay_alu instid0(VALU_DEP_2) | instskip(NEXT) | instid1(VALU_DEP_1)
	v_or_b32_e32 v5, 0x70000000, v5
	v_mul_f32_e32 v5, 0x7800000, v5
	s_delay_alu instid0(VALU_DEP_1) | instskip(NEXT) | instid1(VALU_DEP_1)
	v_cndmask_b32_e32 v3, v5, v7, vcc_lo
	v_and_or_b32 v1, 0x80000000, v1, v3
	s_delay_alu instid0(VALU_DEP_1)
	v_cvt_i32_f32_e32 v1, v1
.LBB103_1103:
	s_mov_b32 s9, -1
	s_mov_b32 s8, 0
	s_cbranch_execnz .LBB103_1114
.LBB103_1104:
	s_cmp_gt_i32 s0, 14
	s_cbranch_scc0 .LBB103_1107
; %bb.1105:
	s_cmp_eq_u32 s0, 15
	s_cbranch_scc0 .LBB103_1110
; %bb.1106:
	s_wait_loadcnt 0x0
	global_load_u16 v1, v[14:15], off
	s_mov_b32 s1, 0
	s_mov_b32 s9, -1
	s_wait_loadcnt 0x0
	v_lshlrev_b32_e32 v1, 16, v1
	s_delay_alu instid0(VALU_DEP_1)
	v_cvt_i32_f32_e32 v1, v1
	s_branch .LBB103_1112
.LBB103_1107:
	s_mov_b32 s8, -1
	s_branch .LBB103_1111
.LBB103_1108:
	s_and_not1_saveexec_b32 s8, s8
	s_cbranch_execz .LBB103_1090
.LBB103_1109:
	v_cmp_ne_u16_e32 vcc_lo, 0, v3
	s_and_not1_b32 s9, s9, exec_lo
	s_and_b32 s13, vcc_lo, exec_lo
	s_delay_alu instid0(SALU_CYCLE_1)
	s_or_b32 s9, s9, s13
	s_or_b32 exec_lo, exec_lo, s8
	v_mov_b32_e32 v1, 0
	s_and_saveexec_b32 s8, s9
	s_cbranch_execnz .LBB103_1091
	s_branch .LBB103_1092
.LBB103_1110:
	s_mov_b32 s1, -1
.LBB103_1111:
                                        ; implicit-def: $vgpr1
.LBB103_1112:
	s_and_b32 vcc_lo, exec_lo, s8
	s_mov_b32 s8, 0
	s_cbranch_vccz .LBB103_1114
; %bb.1113:
	s_cmp_lg_u32 s0, 11
	s_mov_b32 s8, -1
	s_cselect_b32 s1, -1, 0
.LBB103_1114:
	s_delay_alu instid0(SALU_CYCLE_1)
	s_and_b32 vcc_lo, exec_lo, s1
	s_mov_b32 s1, s10
	s_cbranch_vccnz .LBB103_1164
; %bb.1115:
	s_and_not1_b32 vcc_lo, exec_lo, s8
	s_cbranch_vccnz .LBB103_1117
.LBB103_1116:
	s_wait_loadcnt 0x0
	global_load_u8 v1, v[14:15], off
	s_mov_b32 s9, -1
	s_wait_loadcnt 0x0
	v_cmp_ne_u16_e32 vcc_lo, 0, v1
	v_cndmask_b32_e64 v1, 0, 1, vcc_lo
.LBB103_1117:
	s_branch .LBB103_1028
.LBB103_1118:
	s_and_b32 s0, 0xffff, s12
	s_delay_alu instid0(SALU_CYCLE_1)
	s_cmp_lt_i32 s0, 5
	s_cbranch_scc1 .LBB103_1123
; %bb.1119:
	s_cmp_lt_i32 s0, 8
	s_cbranch_scc1 .LBB103_1124
; %bb.1120:
	;; [unrolled: 3-line block ×3, first 2 shown]
	s_cmp_gt_i32 s0, 9
	s_cbranch_scc0 .LBB103_1126
; %bb.1122:
	global_load_b64 v[16:17], v[14:15], off
	s_mov_b32 s8, 0
	s_wait_loadcnt 0x0
	v_cvt_i32_f64_e32 v1, v[16:17]
	s_branch .LBB103_1127
.LBB103_1123:
                                        ; implicit-def: $vgpr1
	s_branch .LBB103_1144
.LBB103_1124:
                                        ; implicit-def: $vgpr1
	s_branch .LBB103_1133
.LBB103_1125:
	s_mov_b32 s8, -1
                                        ; implicit-def: $vgpr1
	s_branch .LBB103_1130
.LBB103_1126:
	s_mov_b32 s8, -1
                                        ; implicit-def: $vgpr1
.LBB103_1127:
	s_delay_alu instid0(SALU_CYCLE_1)
	s_and_not1_b32 vcc_lo, exec_lo, s8
	s_cbranch_vccnz .LBB103_1129
; %bb.1128:
	s_wait_loadcnt 0x0
	global_load_b32 v1, v[14:15], off
	s_wait_loadcnt 0x0
	v_cvt_i32_f32_e32 v1, v1
.LBB103_1129:
	s_mov_b32 s8, 0
.LBB103_1130:
	s_delay_alu instid0(SALU_CYCLE_1)
	s_and_not1_b32 vcc_lo, exec_lo, s8
	s_cbranch_vccnz .LBB103_1132
; %bb.1131:
	s_wait_loadcnt 0x0
	global_load_b32 v1, v[14:15], off
	s_wait_loadcnt 0x0
	v_cvt_f32_f16_e32 v1, v1
	s_delay_alu instid0(VALU_DEP_1)
	v_cvt_i32_f32_e32 v1, v1
.LBB103_1132:
	s_cbranch_execnz .LBB103_1143
.LBB103_1133:
	s_cmp_lt_i32 s0, 6
	s_cbranch_scc1 .LBB103_1136
; %bb.1134:
	s_cmp_gt_i32 s0, 6
	s_cbranch_scc0 .LBB103_1137
; %bb.1135:
	global_load_b64 v[16:17], v[14:15], off
	s_mov_b32 s8, 0
	s_wait_loadcnt 0x0
	v_cvt_i32_f64_e32 v1, v[16:17]
	s_branch .LBB103_1138
.LBB103_1136:
	s_mov_b32 s8, -1
                                        ; implicit-def: $vgpr1
	s_branch .LBB103_1141
.LBB103_1137:
	s_mov_b32 s8, -1
                                        ; implicit-def: $vgpr1
.LBB103_1138:
	s_delay_alu instid0(SALU_CYCLE_1)
	s_and_not1_b32 vcc_lo, exec_lo, s8
	s_cbranch_vccnz .LBB103_1140
; %bb.1139:
	s_wait_loadcnt 0x0
	global_load_b32 v1, v[14:15], off
	s_wait_loadcnt 0x0
	v_cvt_i32_f32_e32 v1, v1
.LBB103_1140:
	s_mov_b32 s8, 0
.LBB103_1141:
	s_delay_alu instid0(SALU_CYCLE_1)
	s_and_not1_b32 vcc_lo, exec_lo, s8
	s_cbranch_vccnz .LBB103_1143
; %bb.1142:
	s_wait_loadcnt 0x0
	global_load_u16 v1, v[14:15], off
	s_wait_loadcnt 0x0
	v_cvt_f32_f16_e32 v1, v1
	s_delay_alu instid0(VALU_DEP_1)
	v_cvt_i32_f32_e32 v1, v1
.LBB103_1143:
	s_cbranch_execnz .LBB103_1162
.LBB103_1144:
	s_cmp_lt_i32 s0, 2
	s_cbranch_scc1 .LBB103_1148
; %bb.1145:
	s_cmp_lt_i32 s0, 3
	s_cbranch_scc1 .LBB103_1149
; %bb.1146:
	s_cmp_gt_i32 s0, 3
	s_cbranch_scc0 .LBB103_1150
; %bb.1147:
	s_wait_loadcnt 0x0
	global_load_b32 v1, v[14:15], off
	s_mov_b32 s8, 0
	s_branch .LBB103_1151
.LBB103_1148:
                                        ; implicit-def: $vgpr1
	s_branch .LBB103_1157
.LBB103_1149:
	s_mov_b32 s8, -1
                                        ; implicit-def: $vgpr1
	s_branch .LBB103_1154
.LBB103_1150:
	s_mov_b32 s8, -1
                                        ; implicit-def: $vgpr1
.LBB103_1151:
	s_delay_alu instid0(SALU_CYCLE_1)
	s_and_not1_b32 vcc_lo, exec_lo, s8
	s_cbranch_vccnz .LBB103_1153
; %bb.1152:
	s_wait_loadcnt 0x0
	global_load_b32 v1, v[14:15], off
.LBB103_1153:
	s_mov_b32 s8, 0
.LBB103_1154:
	s_delay_alu instid0(SALU_CYCLE_1)
	s_and_not1_b32 vcc_lo, exec_lo, s8
	s_cbranch_vccnz .LBB103_1156
; %bb.1155:
	s_wait_loadcnt 0x0
	global_load_i16 v1, v[14:15], off
.LBB103_1156:
	s_cbranch_execnz .LBB103_1162
.LBB103_1157:
	s_cmp_gt_i32 s0, 0
	s_mov_b32 s0, 0
	s_cbranch_scc0 .LBB103_1159
; %bb.1158:
	s_wait_loadcnt 0x0
	global_load_i8 v1, v[14:15], off
	s_branch .LBB103_1160
.LBB103_1159:
	s_mov_b32 s0, -1
                                        ; implicit-def: $vgpr1
.LBB103_1160:
	s_delay_alu instid0(SALU_CYCLE_1)
	s_and_not1_b32 vcc_lo, exec_lo, s0
	s_cbranch_vccnz .LBB103_1162
; %bb.1161:
	s_wait_loadcnt 0x0
	global_load_u8 v1, v[14:15], off
.LBB103_1162:
	s_branch .LBB103_1029
.LBB103_1163:
	s_mov_b32 s13, 0
	s_mov_b32 s15, 0
                                        ; implicit-def: $vgpr14_vgpr15
                                        ; implicit-def: $sgpr0
	s_branch .LBB103_1853
.LBB103_1164:
	s_or_b32 s1, s10, exec_lo
	s_trap 2
	s_cbranch_execz .LBB103_1116
	s_branch .LBB103_1117
.LBB103_1165:
	s_mov_b32 s12, -1
	s_mov_b32 s14, 0
	s_mov_b32 s0, 0
	s_branch .LBB103_1168
.LBB103_1166:
	s_mov_b32 s14, -1
	s_mov_b32 s18, 0
	s_mov_b32 s0, 0
                                        ; implicit-def: $vgpr1
	s_branch .LBB103_1295
.LBB103_1167:
	s_mov_b32 s0, -1
	s_mov_b32 s14, 0
.LBB103_1168:
                                        ; implicit-def: $vgpr1
.LBB103_1169:
	s_and_b32 vcc_lo, exec_lo, s12
	s_cbranch_vccz .LBB103_1174
; %bb.1170:
	s_cmp_eq_u32 s17, 44
	s_cbranch_scc0 .LBB103_1173
; %bb.1171:
	global_load_u8 v1, v[12:13], off
	s_mov_b32 s0, 0
	s_mov_b32 s14, -1
	s_wait_loadcnt 0x0
	v_lshlrev_b32_e32 v3, 23, v1
	v_cmp_ne_u32_e32 vcc_lo, 0, v1
	s_delay_alu instid0(VALU_DEP_2) | instskip(NEXT) | instid1(VALU_DEP_1)
	v_cvt_i32_f32_e32 v3, v3
	v_cndmask_b32_e32 v1, 0, v3, vcc_lo
	s_branch .LBB103_1174
.LBB103_1172:
	s_mov_b32 s14, -1
	s_mov_b32 s18, 0
	s_mov_b32 s0, 0
                                        ; implicit-def: $vgpr1
	s_branch .LBB103_1290
.LBB103_1173:
	s_mov_b32 s0, -1
                                        ; implicit-def: $vgpr1
.LBB103_1174:
	s_mov_b32 s12, 0
.LBB103_1175:
	s_delay_alu instid0(SALU_CYCLE_1)
	s_and_b32 vcc_lo, exec_lo, s12
	s_cbranch_vccz .LBB103_1179
; %bb.1176:
	s_cmp_eq_u32 s17, 29
	s_cbranch_scc0 .LBB103_1178
; %bb.1177:
	global_load_b32 v1, v[12:13], off
	s_mov_b32 s0, 0
	s_mov_b32 s14, -1
	s_branch .LBB103_1179
.LBB103_1178:
	s_mov_b32 s0, -1
                                        ; implicit-def: $vgpr1
.LBB103_1179:
	s_mov_b32 s12, 0
.LBB103_1180:
	s_delay_alu instid0(SALU_CYCLE_1)
	s_and_b32 vcc_lo, exec_lo, s12
	s_cbranch_vccz .LBB103_1196
; %bb.1181:
	s_cmp_lt_i32 s17, 27
	s_cbranch_scc1 .LBB103_1184
; %bb.1182:
	s_cmp_gt_i32 s17, 27
	s_cbranch_scc0 .LBB103_1185
; %bb.1183:
	s_wait_loadcnt 0x0
	global_load_b32 v1, v[12:13], off
	s_mov_b32 s12, 0
	s_branch .LBB103_1186
.LBB103_1184:
	s_mov_b32 s12, -1
                                        ; implicit-def: $vgpr1
	s_branch .LBB103_1189
.LBB103_1185:
	s_mov_b32 s12, -1
                                        ; implicit-def: $vgpr1
.LBB103_1186:
	s_delay_alu instid0(SALU_CYCLE_1)
	s_and_not1_b32 vcc_lo, exec_lo, s12
	s_cbranch_vccnz .LBB103_1188
; %bb.1187:
	s_wait_loadcnt 0x0
	global_load_u16 v1, v[12:13], off
.LBB103_1188:
	s_mov_b32 s12, 0
.LBB103_1189:
	s_delay_alu instid0(SALU_CYCLE_1)
	s_and_not1_b32 vcc_lo, exec_lo, s12
	s_cbranch_vccnz .LBB103_1195
; %bb.1190:
	global_load_u8 v3, v[12:13], off
	s_mov_b32 s14, 0
	s_mov_b32 s12, exec_lo
	s_wait_loadcnt 0x0
	v_cmpx_lt_i16_e32 0x7f, v3
	s_xor_b32 s12, exec_lo, s12
	s_cbranch_execz .LBB103_1207
; %bb.1191:
	v_cmp_ne_u16_e32 vcc_lo, 0x80, v3
	s_and_b32 s14, vcc_lo, exec_lo
	s_and_not1_saveexec_b32 s12, s12
	s_cbranch_execnz .LBB103_1208
.LBB103_1192:
	s_or_b32 exec_lo, exec_lo, s12
	v_mov_b32_e32 v1, 0
	s_and_saveexec_b32 s12, s14
	s_cbranch_execz .LBB103_1194
.LBB103_1193:
	v_and_b32_e32 v1, 0xffff, v3
	s_delay_alu instid0(VALU_DEP_1) | instskip(SKIP_1) | instid1(VALU_DEP_2)
	v_and_b32_e32 v5, 7, v1
	v_bfe_u32 v11, v1, 3, 4
	v_clz_i32_u32_e32 v7, v5
	s_delay_alu instid0(VALU_DEP_2) | instskip(NEXT) | instid1(VALU_DEP_2)
	v_cmp_eq_u32_e32 vcc_lo, 0, v11
	v_min_u32_e32 v7, 32, v7
	s_delay_alu instid0(VALU_DEP_1) | instskip(NEXT) | instid1(VALU_DEP_1)
	v_subrev_nc_u32_e32 v9, 28, v7
	v_dual_lshlrev_b32 v1, v9, v1 :: v_dual_sub_nc_u32 v7, 29, v7
	s_delay_alu instid0(VALU_DEP_1) | instskip(NEXT) | instid1(VALU_DEP_1)
	v_dual_lshlrev_b32 v3, 24, v3 :: v_dual_bitop2_b32 v1, 7, v1 bitop3:0x40
	v_dual_cndmask_b32 v1, v5, v1, vcc_lo :: v_dual_cndmask_b32 v7, v11, v7, vcc_lo
	s_delay_alu instid0(VALU_DEP_2) | instskip(NEXT) | instid1(VALU_DEP_2)
	v_and_b32_e32 v3, 0x80000000, v3
	v_lshlrev_b32_e32 v1, 20, v1
	s_delay_alu instid0(VALU_DEP_3) | instskip(NEXT) | instid1(VALU_DEP_1)
	v_lshl_add_u32 v5, v7, 23, 0x3b800000
	v_or3_b32 v1, v3, v5, v1
	s_delay_alu instid0(VALU_DEP_1)
	v_cvt_i32_f32_e32 v1, v1
.LBB103_1194:
	s_or_b32 exec_lo, exec_lo, s12
.LBB103_1195:
	s_mov_b32 s14, -1
.LBB103_1196:
	s_mov_b32 s12, 0
.LBB103_1197:
	s_delay_alu instid0(SALU_CYCLE_1)
	s_and_b32 vcc_lo, exec_lo, s12
	s_cbranch_vccz .LBB103_1228
; %bb.1198:
	s_cmp_gt_i32 s17, 22
	s_cbranch_scc0 .LBB103_1206
; %bb.1199:
	s_cmp_lt_i32 s17, 24
	s_cbranch_scc1 .LBB103_1209
; %bb.1200:
	s_cmp_gt_i32 s17, 24
	s_cbranch_scc0 .LBB103_1210
; %bb.1201:
	global_load_u8 v3, v[12:13], off
	s_mov_b32 s12, exec_lo
	s_wait_loadcnt 0x0
	v_cmpx_lt_i16_e32 0x7f, v3
	s_xor_b32 s12, exec_lo, s12
	s_cbranch_execz .LBB103_1222
; %bb.1202:
	v_cmp_ne_u16_e32 vcc_lo, 0x80, v3
	s_and_b32 s13, vcc_lo, exec_lo
	s_and_not1_saveexec_b32 s12, s12
	s_cbranch_execnz .LBB103_1223
.LBB103_1203:
	s_or_b32 exec_lo, exec_lo, s12
	v_mov_b32_e32 v1, 0
	s_and_saveexec_b32 s12, s13
	s_cbranch_execz .LBB103_1205
.LBB103_1204:
	v_and_b32_e32 v1, 0xffff, v3
	s_delay_alu instid0(VALU_DEP_1) | instskip(SKIP_1) | instid1(VALU_DEP_2)
	v_and_b32_e32 v5, 3, v1
	v_bfe_u32 v11, v1, 2, 5
	v_clz_i32_u32_e32 v7, v5
	s_delay_alu instid0(VALU_DEP_2) | instskip(NEXT) | instid1(VALU_DEP_2)
	v_cmp_eq_u32_e32 vcc_lo, 0, v11
	v_min_u32_e32 v7, 32, v7
	s_delay_alu instid0(VALU_DEP_1) | instskip(NEXT) | instid1(VALU_DEP_1)
	v_subrev_nc_u32_e32 v9, 29, v7
	v_dual_lshlrev_b32 v1, v9, v1 :: v_dual_sub_nc_u32 v7, 30, v7
	s_delay_alu instid0(VALU_DEP_1) | instskip(NEXT) | instid1(VALU_DEP_1)
	v_dual_lshlrev_b32 v3, 24, v3 :: v_dual_bitop2_b32 v1, 3, v1 bitop3:0x40
	v_dual_cndmask_b32 v1, v5, v1, vcc_lo :: v_dual_cndmask_b32 v7, v11, v7, vcc_lo
	s_delay_alu instid0(VALU_DEP_2) | instskip(NEXT) | instid1(VALU_DEP_2)
	v_and_b32_e32 v3, 0x80000000, v3
	v_lshlrev_b32_e32 v1, 21, v1
	s_delay_alu instid0(VALU_DEP_3) | instskip(NEXT) | instid1(VALU_DEP_1)
	v_lshl_add_u32 v5, v7, 23, 0x37800000
	v_or3_b32 v1, v3, v5, v1
	s_delay_alu instid0(VALU_DEP_1)
	v_cvt_i32_f32_e32 v1, v1
.LBB103_1205:
	s_or_b32 exec_lo, exec_lo, s12
	s_mov_b32 s12, 0
	s_branch .LBB103_1211
.LBB103_1206:
	s_mov_b32 s12, -1
                                        ; implicit-def: $vgpr1
	s_branch .LBB103_1217
.LBB103_1207:
	s_and_not1_saveexec_b32 s12, s12
	s_cbranch_execz .LBB103_1192
.LBB103_1208:
	v_cmp_ne_u16_e32 vcc_lo, 0, v3
	s_and_not1_b32 s14, s14, exec_lo
	s_and_b32 s15, vcc_lo, exec_lo
	s_delay_alu instid0(SALU_CYCLE_1)
	s_or_b32 s14, s14, s15
	s_or_b32 exec_lo, exec_lo, s12
	v_mov_b32_e32 v1, 0
	s_and_saveexec_b32 s12, s14
	s_cbranch_execnz .LBB103_1193
	s_branch .LBB103_1194
.LBB103_1209:
	s_mov_b32 s12, -1
                                        ; implicit-def: $vgpr1
	s_branch .LBB103_1214
.LBB103_1210:
	s_mov_b32 s12, -1
                                        ; implicit-def: $vgpr1
.LBB103_1211:
	s_delay_alu instid0(SALU_CYCLE_1)
	s_and_b32 vcc_lo, exec_lo, s12
	s_cbranch_vccz .LBB103_1213
; %bb.1212:
	s_wait_loadcnt 0x0
	global_load_u8 v1, v[12:13], off
	s_wait_loadcnt 0x0
	v_lshlrev_b32_e32 v1, 24, v1
	s_delay_alu instid0(VALU_DEP_1) | instskip(NEXT) | instid1(VALU_DEP_1)
	v_and_b32_e32 v3, 0x7f000000, v1
	v_clz_i32_u32_e32 v5, v3
	v_add_nc_u32_e32 v9, 0x1000000, v3
	v_cmp_ne_u32_e32 vcc_lo, 0, v3
	s_delay_alu instid0(VALU_DEP_3) | instskip(NEXT) | instid1(VALU_DEP_1)
	v_min_u32_e32 v5, 32, v5
	v_sub_nc_u32_e64 v5, v5, 4 clamp
	s_delay_alu instid0(VALU_DEP_1) | instskip(NEXT) | instid1(VALU_DEP_1)
	v_dual_lshlrev_b32 v7, v5, v3 :: v_dual_lshlrev_b32 v5, 23, v5
	v_lshrrev_b32_e32 v7, 4, v7
	s_delay_alu instid0(VALU_DEP_1) | instskip(SKIP_1) | instid1(VALU_DEP_2)
	v_sub_nc_u32_e32 v5, v7, v5
	v_ashrrev_i32_e32 v7, 8, v9
	v_add_nc_u32_e32 v5, 0x3c000000, v5
	s_delay_alu instid0(VALU_DEP_1) | instskip(NEXT) | instid1(VALU_DEP_1)
	v_and_or_b32 v5, 0x7f800000, v7, v5
	v_cndmask_b32_e32 v3, 0, v5, vcc_lo
	s_delay_alu instid0(VALU_DEP_1) | instskip(NEXT) | instid1(VALU_DEP_1)
	v_and_or_b32 v1, 0x80000000, v1, v3
	v_cvt_i32_f32_e32 v1, v1
.LBB103_1213:
	s_mov_b32 s12, 0
.LBB103_1214:
	s_delay_alu instid0(SALU_CYCLE_1)
	s_and_not1_b32 vcc_lo, exec_lo, s12
	s_cbranch_vccnz .LBB103_1216
; %bb.1215:
	s_wait_loadcnt 0x0
	global_load_u8 v1, v[12:13], off
	s_wait_loadcnt 0x0
	v_lshlrev_b32_e32 v3, 25, v1
	v_lshlrev_b16 v1, 8, v1
	s_delay_alu instid0(VALU_DEP_1) | instskip(SKIP_1) | instid1(VALU_DEP_2)
	v_and_or_b32 v7, 0x7f00, v1, 0.5
	v_bfe_i32 v1, v1, 0, 16
	v_add_f32_e32 v7, -0.5, v7
	v_lshrrev_b32_e32 v5, 4, v3
	v_cmp_gt_u32_e32 vcc_lo, 0x8000000, v3
	s_delay_alu instid0(VALU_DEP_2) | instskip(NEXT) | instid1(VALU_DEP_1)
	v_or_b32_e32 v5, 0x70000000, v5
	v_mul_f32_e32 v5, 0x7800000, v5
	s_delay_alu instid0(VALU_DEP_1) | instskip(NEXT) | instid1(VALU_DEP_1)
	v_cndmask_b32_e32 v3, v5, v7, vcc_lo
	v_and_or_b32 v1, 0x80000000, v1, v3
	s_delay_alu instid0(VALU_DEP_1)
	v_cvt_i32_f32_e32 v1, v1
.LBB103_1216:
	s_mov_b32 s12, 0
	s_mov_b32 s14, -1
.LBB103_1217:
	s_and_not1_b32 vcc_lo, exec_lo, s12
	s_mov_b32 s13, 0
	s_cbranch_vccnz .LBB103_1228
; %bb.1218:
	s_cmp_gt_i32 s17, 14
	s_cbranch_scc0 .LBB103_1221
; %bb.1219:
	s_cmp_eq_u32 s17, 15
	s_cbranch_scc0 .LBB103_1224
; %bb.1220:
	s_wait_loadcnt 0x0
	global_load_u16 v1, v[12:13], off
	s_mov_b32 s0, 0
	s_mov_b32 s14, -1
	s_wait_loadcnt 0x0
	v_lshlrev_b32_e32 v1, 16, v1
	s_delay_alu instid0(VALU_DEP_1)
	v_cvt_i32_f32_e32 v1, v1
	s_branch .LBB103_1225
.LBB103_1221:
	s_mov_b32 s12, -1
                                        ; implicit-def: $vgpr1
	s_branch .LBB103_1226
.LBB103_1222:
	s_and_not1_saveexec_b32 s12, s12
	s_cbranch_execz .LBB103_1203
.LBB103_1223:
	v_cmp_ne_u16_e32 vcc_lo, 0, v3
	s_and_not1_b32 s13, s13, exec_lo
	s_and_b32 s14, vcc_lo, exec_lo
	s_delay_alu instid0(SALU_CYCLE_1)
	s_or_b32 s13, s13, s14
	s_or_b32 exec_lo, exec_lo, s12
	v_mov_b32_e32 v1, 0
	s_and_saveexec_b32 s12, s13
	s_cbranch_execnz .LBB103_1204
	s_branch .LBB103_1205
.LBB103_1224:
	s_mov_b32 s0, -1
                                        ; implicit-def: $vgpr1
.LBB103_1225:
	s_mov_b32 s12, 0
.LBB103_1226:
	s_delay_alu instid0(SALU_CYCLE_1)
	s_and_b32 vcc_lo, exec_lo, s12
	s_cbranch_vccz .LBB103_1228
; %bb.1227:
	s_cmp_lg_u32 s17, 11
	s_mov_b32 s13, -1
	s_cselect_b32 s0, -1, 0
.LBB103_1228:
	s_delay_alu instid0(SALU_CYCLE_1)
	s_and_b32 vcc_lo, exec_lo, s0
	s_mov_b32 s12, s1
	s_cbranch_vccnz .LBB103_1281
; %bb.1229:
	s_and_not1_b32 vcc_lo, exec_lo, s13
	s_cbranch_vccnz .LBB103_1231
.LBB103_1230:
	s_wait_loadcnt 0x0
	global_load_u8 v1, v[12:13], off
	s_mov_b32 s14, -1
	s_wait_loadcnt 0x0
	v_cmp_ne_u16_e32 vcc_lo, 0, v1
	v_cndmask_b32_e64 v1, 0, 1, vcc_lo
.LBB103_1231:
	s_branch .LBB103_1041
.LBB103_1232:
	s_cmp_lt_i32 s17, 5
	s_cbranch_scc1 .LBB103_1237
; %bb.1233:
	s_cmp_lt_i32 s17, 8
	s_cbranch_scc1 .LBB103_1238
; %bb.1234:
	;; [unrolled: 3-line block ×3, first 2 shown]
	s_cmp_gt_i32 s17, 9
	s_cbranch_scc0 .LBB103_1240
; %bb.1236:
	global_load_b64 v[14:15], v[12:13], off
	s_mov_b32 s0, 0
	s_wait_loadcnt 0x0
	v_cvt_i32_f64_e32 v1, v[14:15]
	s_branch .LBB103_1241
.LBB103_1237:
	s_mov_b32 s0, -1
                                        ; implicit-def: $vgpr1
	s_branch .LBB103_1259
.LBB103_1238:
	s_mov_b32 s0, -1
                                        ; implicit-def: $vgpr1
	s_branch .LBB103_1247
.LBB103_1239:
	s_mov_b32 s0, -1
                                        ; implicit-def: $vgpr1
	s_branch .LBB103_1244
.LBB103_1240:
	s_mov_b32 s0, -1
                                        ; implicit-def: $vgpr1
.LBB103_1241:
	s_delay_alu instid0(SALU_CYCLE_1)
	s_and_not1_b32 vcc_lo, exec_lo, s0
	s_cbranch_vccnz .LBB103_1243
; %bb.1242:
	s_wait_loadcnt 0x0
	global_load_b32 v1, v[12:13], off
	s_wait_loadcnt 0x0
	v_cvt_i32_f32_e32 v1, v1
.LBB103_1243:
	s_mov_b32 s0, 0
.LBB103_1244:
	s_delay_alu instid0(SALU_CYCLE_1)
	s_and_not1_b32 vcc_lo, exec_lo, s0
	s_cbranch_vccnz .LBB103_1246
; %bb.1245:
	s_wait_loadcnt 0x0
	global_load_b32 v1, v[12:13], off
	s_wait_loadcnt 0x0
	v_cvt_f32_f16_e32 v1, v1
	s_delay_alu instid0(VALU_DEP_1)
	v_cvt_i32_f32_e32 v1, v1
.LBB103_1246:
	s_mov_b32 s0, 0
.LBB103_1247:
	s_delay_alu instid0(SALU_CYCLE_1)
	s_and_not1_b32 vcc_lo, exec_lo, s0
	s_cbranch_vccnz .LBB103_1258
; %bb.1248:
	s_cmp_lt_i32 s17, 6
	s_cbranch_scc1 .LBB103_1251
; %bb.1249:
	s_cmp_gt_i32 s17, 6
	s_cbranch_scc0 .LBB103_1252
; %bb.1250:
	global_load_b64 v[14:15], v[12:13], off
	s_mov_b32 s0, 0
	s_wait_loadcnt 0x0
	v_cvt_i32_f64_e32 v1, v[14:15]
	s_branch .LBB103_1253
.LBB103_1251:
	s_mov_b32 s0, -1
                                        ; implicit-def: $vgpr1
	s_branch .LBB103_1256
.LBB103_1252:
	s_mov_b32 s0, -1
                                        ; implicit-def: $vgpr1
.LBB103_1253:
	s_delay_alu instid0(SALU_CYCLE_1)
	s_and_not1_b32 vcc_lo, exec_lo, s0
	s_cbranch_vccnz .LBB103_1255
; %bb.1254:
	s_wait_loadcnt 0x0
	global_load_b32 v1, v[12:13], off
	s_wait_loadcnt 0x0
	v_cvt_i32_f32_e32 v1, v1
.LBB103_1255:
	s_mov_b32 s0, 0
.LBB103_1256:
	s_delay_alu instid0(SALU_CYCLE_1)
	s_and_not1_b32 vcc_lo, exec_lo, s0
	s_cbranch_vccnz .LBB103_1258
; %bb.1257:
	s_wait_loadcnt 0x0
	global_load_u16 v1, v[12:13], off
	s_wait_loadcnt 0x0
	v_cvt_f32_f16_e32 v1, v1
	s_delay_alu instid0(VALU_DEP_1)
	v_cvt_i32_f32_e32 v1, v1
.LBB103_1258:
	s_mov_b32 s0, 0
.LBB103_1259:
	s_delay_alu instid0(SALU_CYCLE_1)
	s_and_not1_b32 vcc_lo, exec_lo, s0
	s_cbranch_vccnz .LBB103_1279
; %bb.1260:
	s_cmp_lt_i32 s17, 2
	s_cbranch_scc1 .LBB103_1264
; %bb.1261:
	s_cmp_lt_i32 s17, 3
	s_cbranch_scc1 .LBB103_1265
; %bb.1262:
	s_cmp_gt_i32 s17, 3
	s_cbranch_scc0 .LBB103_1266
; %bb.1263:
	s_wait_loadcnt 0x0
	global_load_b32 v1, v[12:13], off
	s_mov_b32 s0, 0
	s_branch .LBB103_1267
.LBB103_1264:
	s_mov_b32 s0, -1
                                        ; implicit-def: $vgpr1
	s_branch .LBB103_1273
.LBB103_1265:
	s_mov_b32 s0, -1
                                        ; implicit-def: $vgpr1
	s_branch .LBB103_1270
.LBB103_1266:
	s_mov_b32 s0, -1
                                        ; implicit-def: $vgpr1
.LBB103_1267:
	s_delay_alu instid0(SALU_CYCLE_1)
	s_and_not1_b32 vcc_lo, exec_lo, s0
	s_cbranch_vccnz .LBB103_1269
; %bb.1268:
	s_wait_loadcnt 0x0
	global_load_b32 v1, v[12:13], off
.LBB103_1269:
	s_mov_b32 s0, 0
.LBB103_1270:
	s_delay_alu instid0(SALU_CYCLE_1)
	s_and_not1_b32 vcc_lo, exec_lo, s0
	s_cbranch_vccnz .LBB103_1272
; %bb.1271:
	s_wait_loadcnt 0x0
	global_load_i16 v1, v[12:13], off
.LBB103_1272:
	s_mov_b32 s0, 0
.LBB103_1273:
	s_delay_alu instid0(SALU_CYCLE_1)
	s_and_not1_b32 vcc_lo, exec_lo, s0
	s_cbranch_vccnz .LBB103_1279
; %bb.1274:
	s_cmp_gt_i32 s17, 0
	s_mov_b32 s0, 0
	s_cbranch_scc0 .LBB103_1276
; %bb.1275:
	s_wait_loadcnt 0x0
	global_load_i8 v1, v[12:13], off
	s_branch .LBB103_1277
.LBB103_1276:
	s_mov_b32 s0, -1
                                        ; implicit-def: $vgpr1
.LBB103_1277:
	s_delay_alu instid0(SALU_CYCLE_1)
	s_and_not1_b32 vcc_lo, exec_lo, s0
	s_cbranch_vccnz .LBB103_1279
; %bb.1278:
	s_wait_loadcnt 0x0
	global_load_u8 v1, v[12:13], off
.LBB103_1279:
	s_branch .LBB103_1042
.LBB103_1280:
	s_mov_b32 s14, 0
	s_mov_b32 s15, 0
                                        ; implicit-def: $vgpr14_vgpr15
                                        ; implicit-def: $sgpr0
	s_branch .LBB103_1851
.LBB103_1281:
	s_or_b32 s12, s1, exec_lo
	s_trap 2
	s_cbranch_execz .LBB103_1230
	s_branch .LBB103_1231
.LBB103_1282:
	s_mov_b32 s14, -1
	s_mov_b32 s18, 0
	s_mov_b32 s0, 0
	s_branch .LBB103_1284
.LBB103_1283:
	s_mov_b32 s0, -1
	s_mov_b32 s18, 0
.LBB103_1284:
                                        ; implicit-def: $vgpr1
.LBB103_1285:
	s_and_b32 vcc_lo, exec_lo, s14
	s_cbranch_vccz .LBB103_1289
; %bb.1286:
	s_cmp_eq_u32 s17, 44
	s_cbranch_scc0 .LBB103_1288
; %bb.1287:
	global_load_u8 v1, v[10:11], off
	s_mov_b32 s0, 0
	s_mov_b32 s18, -1
	s_wait_loadcnt 0x0
	v_lshlrev_b32_e32 v3, 23, v1
	v_cmp_ne_u32_e32 vcc_lo, 0, v1
	s_delay_alu instid0(VALU_DEP_2) | instskip(NEXT) | instid1(VALU_DEP_1)
	v_cvt_i32_f32_e32 v3, v3
	v_cndmask_b32_e32 v1, 0, v3, vcc_lo
	s_branch .LBB103_1289
.LBB103_1288:
	s_mov_b32 s0, -1
                                        ; implicit-def: $vgpr1
.LBB103_1289:
	s_mov_b32 s14, 0
.LBB103_1290:
	s_delay_alu instid0(SALU_CYCLE_1)
	s_and_b32 vcc_lo, exec_lo, s14
	s_cbranch_vccz .LBB103_1294
; %bb.1291:
	s_cmp_eq_u32 s17, 29
	s_cbranch_scc0 .LBB103_1293
; %bb.1292:
	global_load_b32 v1, v[10:11], off
	s_mov_b32 s0, 0
	s_mov_b32 s18, -1
	s_branch .LBB103_1294
.LBB103_1293:
	s_mov_b32 s0, -1
                                        ; implicit-def: $vgpr1
.LBB103_1294:
	s_mov_b32 s14, 0
.LBB103_1295:
	s_delay_alu instid0(SALU_CYCLE_1)
	s_and_b32 vcc_lo, exec_lo, s14
	s_cbranch_vccz .LBB103_1311
; %bb.1296:
	s_cmp_lt_i32 s17, 27
	s_cbranch_scc1 .LBB103_1299
; %bb.1297:
	s_cmp_gt_i32 s17, 27
	s_cbranch_scc0 .LBB103_1300
; %bb.1298:
	s_wait_loadcnt 0x0
	global_load_b32 v1, v[10:11], off
	s_mov_b32 s14, 0
	s_branch .LBB103_1301
.LBB103_1299:
	s_mov_b32 s14, -1
                                        ; implicit-def: $vgpr1
	s_branch .LBB103_1304
.LBB103_1300:
	s_mov_b32 s14, -1
                                        ; implicit-def: $vgpr1
.LBB103_1301:
	s_delay_alu instid0(SALU_CYCLE_1)
	s_and_not1_b32 vcc_lo, exec_lo, s14
	s_cbranch_vccnz .LBB103_1303
; %bb.1302:
	s_wait_loadcnt 0x0
	global_load_u16 v1, v[10:11], off
.LBB103_1303:
	s_mov_b32 s14, 0
.LBB103_1304:
	s_delay_alu instid0(SALU_CYCLE_1)
	s_and_not1_b32 vcc_lo, exec_lo, s14
	s_cbranch_vccnz .LBB103_1310
; %bb.1305:
	global_load_u8 v3, v[10:11], off
	s_mov_b32 s18, 0
	s_mov_b32 s14, exec_lo
	s_wait_loadcnt 0x0
	v_cmpx_lt_i16_e32 0x7f, v3
	s_xor_b32 s14, exec_lo, s14
	s_cbranch_execz .LBB103_1322
; %bb.1306:
	v_cmp_ne_u16_e32 vcc_lo, 0x80, v3
	s_and_b32 s18, vcc_lo, exec_lo
	s_and_not1_saveexec_b32 s14, s14
	s_cbranch_execnz .LBB103_1323
.LBB103_1307:
	s_or_b32 exec_lo, exec_lo, s14
	v_mov_b32_e32 v1, 0
	s_and_saveexec_b32 s14, s18
	s_cbranch_execz .LBB103_1309
.LBB103_1308:
	v_and_b32_e32 v1, 0xffff, v3
	s_delay_alu instid0(VALU_DEP_1) | instskip(SKIP_1) | instid1(VALU_DEP_2)
	v_and_b32_e32 v5, 7, v1
	v_bfe_u32 v12, v1, 3, 4
	v_clz_i32_u32_e32 v7, v5
	s_delay_alu instid0(VALU_DEP_2) | instskip(NEXT) | instid1(VALU_DEP_2)
	v_cmp_eq_u32_e32 vcc_lo, 0, v12
	v_min_u32_e32 v7, 32, v7
	s_delay_alu instid0(VALU_DEP_1) | instskip(NEXT) | instid1(VALU_DEP_1)
	v_subrev_nc_u32_e32 v9, 28, v7
	v_dual_lshlrev_b32 v1, v9, v1 :: v_dual_sub_nc_u32 v7, 29, v7
	s_delay_alu instid0(VALU_DEP_1) | instskip(NEXT) | instid1(VALU_DEP_1)
	v_dual_lshlrev_b32 v3, 24, v3 :: v_dual_bitop2_b32 v1, 7, v1 bitop3:0x40
	v_dual_cndmask_b32 v1, v5, v1, vcc_lo :: v_dual_cndmask_b32 v7, v12, v7, vcc_lo
	s_delay_alu instid0(VALU_DEP_2) | instskip(NEXT) | instid1(VALU_DEP_2)
	v_and_b32_e32 v3, 0x80000000, v3
	v_lshlrev_b32_e32 v1, 20, v1
	s_delay_alu instid0(VALU_DEP_3) | instskip(NEXT) | instid1(VALU_DEP_1)
	v_lshl_add_u32 v5, v7, 23, 0x3b800000
	v_or3_b32 v1, v3, v5, v1
	s_delay_alu instid0(VALU_DEP_1)
	v_cvt_i32_f32_e32 v1, v1
.LBB103_1309:
	s_or_b32 exec_lo, exec_lo, s14
.LBB103_1310:
	s_mov_b32 s18, -1
.LBB103_1311:
	s_mov_b32 s14, 0
.LBB103_1312:
	s_delay_alu instid0(SALU_CYCLE_1)
	s_and_b32 vcc_lo, exec_lo, s14
	s_cbranch_vccz .LBB103_1343
; %bb.1313:
	s_cmp_gt_i32 s17, 22
	s_cbranch_scc0 .LBB103_1321
; %bb.1314:
	s_cmp_lt_i32 s17, 24
	s_cbranch_scc1 .LBB103_1324
; %bb.1315:
	s_cmp_gt_i32 s17, 24
	s_cbranch_scc0 .LBB103_1325
; %bb.1316:
	global_load_u8 v3, v[10:11], off
	s_mov_b32 s14, exec_lo
	s_wait_loadcnt 0x0
	v_cmpx_lt_i16_e32 0x7f, v3
	s_xor_b32 s14, exec_lo, s14
	s_cbranch_execz .LBB103_1337
; %bb.1317:
	v_cmp_ne_u16_e32 vcc_lo, 0x80, v3
	s_and_b32 s15, vcc_lo, exec_lo
	s_and_not1_saveexec_b32 s14, s14
	s_cbranch_execnz .LBB103_1338
.LBB103_1318:
	s_or_b32 exec_lo, exec_lo, s14
	v_mov_b32_e32 v1, 0
	s_and_saveexec_b32 s14, s15
	s_cbranch_execz .LBB103_1320
.LBB103_1319:
	v_and_b32_e32 v1, 0xffff, v3
	s_delay_alu instid0(VALU_DEP_1) | instskip(SKIP_1) | instid1(VALU_DEP_2)
	v_and_b32_e32 v5, 3, v1
	v_bfe_u32 v12, v1, 2, 5
	v_clz_i32_u32_e32 v7, v5
	s_delay_alu instid0(VALU_DEP_2) | instskip(NEXT) | instid1(VALU_DEP_2)
	v_cmp_eq_u32_e32 vcc_lo, 0, v12
	v_min_u32_e32 v7, 32, v7
	s_delay_alu instid0(VALU_DEP_1) | instskip(NEXT) | instid1(VALU_DEP_1)
	v_subrev_nc_u32_e32 v9, 29, v7
	v_dual_lshlrev_b32 v1, v9, v1 :: v_dual_sub_nc_u32 v7, 30, v7
	s_delay_alu instid0(VALU_DEP_1) | instskip(NEXT) | instid1(VALU_DEP_1)
	v_dual_lshlrev_b32 v3, 24, v3 :: v_dual_bitop2_b32 v1, 3, v1 bitop3:0x40
	v_dual_cndmask_b32 v1, v5, v1, vcc_lo :: v_dual_cndmask_b32 v7, v12, v7, vcc_lo
	s_delay_alu instid0(VALU_DEP_2) | instskip(NEXT) | instid1(VALU_DEP_2)
	v_and_b32_e32 v3, 0x80000000, v3
	v_lshlrev_b32_e32 v1, 21, v1
	s_delay_alu instid0(VALU_DEP_3) | instskip(NEXT) | instid1(VALU_DEP_1)
	v_lshl_add_u32 v5, v7, 23, 0x37800000
	v_or3_b32 v1, v3, v5, v1
	s_delay_alu instid0(VALU_DEP_1)
	v_cvt_i32_f32_e32 v1, v1
.LBB103_1320:
	s_or_b32 exec_lo, exec_lo, s14
	s_mov_b32 s14, 0
	s_branch .LBB103_1326
.LBB103_1321:
	s_mov_b32 s14, -1
                                        ; implicit-def: $vgpr1
	s_branch .LBB103_1332
.LBB103_1322:
	s_and_not1_saveexec_b32 s14, s14
	s_cbranch_execz .LBB103_1307
.LBB103_1323:
	v_cmp_ne_u16_e32 vcc_lo, 0, v3
	s_and_not1_b32 s18, s18, exec_lo
	s_and_b32 s19, vcc_lo, exec_lo
	s_delay_alu instid0(SALU_CYCLE_1)
	s_or_b32 s18, s18, s19
	s_or_b32 exec_lo, exec_lo, s14
	v_mov_b32_e32 v1, 0
	s_and_saveexec_b32 s14, s18
	s_cbranch_execnz .LBB103_1308
	s_branch .LBB103_1309
.LBB103_1324:
	s_mov_b32 s14, -1
                                        ; implicit-def: $vgpr1
	s_branch .LBB103_1329
.LBB103_1325:
	s_mov_b32 s14, -1
                                        ; implicit-def: $vgpr1
.LBB103_1326:
	s_delay_alu instid0(SALU_CYCLE_1)
	s_and_b32 vcc_lo, exec_lo, s14
	s_cbranch_vccz .LBB103_1328
; %bb.1327:
	s_wait_loadcnt 0x0
	global_load_u8 v1, v[10:11], off
	s_wait_loadcnt 0x0
	v_lshlrev_b32_e32 v1, 24, v1
	s_delay_alu instid0(VALU_DEP_1) | instskip(NEXT) | instid1(VALU_DEP_1)
	v_and_b32_e32 v3, 0x7f000000, v1
	v_clz_i32_u32_e32 v5, v3
	v_add_nc_u32_e32 v9, 0x1000000, v3
	v_cmp_ne_u32_e32 vcc_lo, 0, v3
	s_delay_alu instid0(VALU_DEP_3) | instskip(NEXT) | instid1(VALU_DEP_1)
	v_min_u32_e32 v5, 32, v5
	v_sub_nc_u32_e64 v5, v5, 4 clamp
	s_delay_alu instid0(VALU_DEP_1) | instskip(NEXT) | instid1(VALU_DEP_1)
	v_dual_lshlrev_b32 v7, v5, v3 :: v_dual_lshlrev_b32 v5, 23, v5
	v_lshrrev_b32_e32 v7, 4, v7
	s_delay_alu instid0(VALU_DEP_1) | instskip(SKIP_1) | instid1(VALU_DEP_2)
	v_sub_nc_u32_e32 v5, v7, v5
	v_ashrrev_i32_e32 v7, 8, v9
	v_add_nc_u32_e32 v5, 0x3c000000, v5
	s_delay_alu instid0(VALU_DEP_1) | instskip(NEXT) | instid1(VALU_DEP_1)
	v_and_or_b32 v5, 0x7f800000, v7, v5
	v_cndmask_b32_e32 v3, 0, v5, vcc_lo
	s_delay_alu instid0(VALU_DEP_1) | instskip(NEXT) | instid1(VALU_DEP_1)
	v_and_or_b32 v1, 0x80000000, v1, v3
	v_cvt_i32_f32_e32 v1, v1
.LBB103_1328:
	s_mov_b32 s14, 0
.LBB103_1329:
	s_delay_alu instid0(SALU_CYCLE_1)
	s_and_not1_b32 vcc_lo, exec_lo, s14
	s_cbranch_vccnz .LBB103_1331
; %bb.1330:
	s_wait_loadcnt 0x0
	global_load_u8 v1, v[10:11], off
	s_wait_loadcnt 0x0
	v_lshlrev_b32_e32 v3, 25, v1
	v_lshlrev_b16 v1, 8, v1
	s_delay_alu instid0(VALU_DEP_1) | instskip(SKIP_1) | instid1(VALU_DEP_2)
	v_and_or_b32 v7, 0x7f00, v1, 0.5
	v_bfe_i32 v1, v1, 0, 16
	v_add_f32_e32 v7, -0.5, v7
	v_lshrrev_b32_e32 v5, 4, v3
	v_cmp_gt_u32_e32 vcc_lo, 0x8000000, v3
	s_delay_alu instid0(VALU_DEP_2) | instskip(NEXT) | instid1(VALU_DEP_1)
	v_or_b32_e32 v5, 0x70000000, v5
	v_mul_f32_e32 v5, 0x7800000, v5
	s_delay_alu instid0(VALU_DEP_1) | instskip(NEXT) | instid1(VALU_DEP_1)
	v_cndmask_b32_e32 v3, v5, v7, vcc_lo
	v_and_or_b32 v1, 0x80000000, v1, v3
	s_delay_alu instid0(VALU_DEP_1)
	v_cvt_i32_f32_e32 v1, v1
.LBB103_1331:
	s_mov_b32 s14, 0
	s_mov_b32 s18, -1
.LBB103_1332:
	s_and_not1_b32 vcc_lo, exec_lo, s14
	s_mov_b32 s15, 0
	s_cbranch_vccnz .LBB103_1343
; %bb.1333:
	s_cmp_gt_i32 s17, 14
	s_cbranch_scc0 .LBB103_1336
; %bb.1334:
	s_cmp_eq_u32 s17, 15
	s_cbranch_scc0 .LBB103_1339
; %bb.1335:
	s_wait_loadcnt 0x0
	global_load_u16 v1, v[10:11], off
	s_mov_b32 s0, 0
	s_mov_b32 s18, -1
	s_wait_loadcnt 0x0
	v_lshlrev_b32_e32 v1, 16, v1
	s_delay_alu instid0(VALU_DEP_1)
	v_cvt_i32_f32_e32 v1, v1
	s_branch .LBB103_1340
.LBB103_1336:
	s_mov_b32 s14, -1
                                        ; implicit-def: $vgpr1
	s_branch .LBB103_1341
.LBB103_1337:
	s_and_not1_saveexec_b32 s14, s14
	s_cbranch_execz .LBB103_1318
.LBB103_1338:
	v_cmp_ne_u16_e32 vcc_lo, 0, v3
	s_and_not1_b32 s15, s15, exec_lo
	s_and_b32 s18, vcc_lo, exec_lo
	s_delay_alu instid0(SALU_CYCLE_1)
	s_or_b32 s15, s15, s18
	s_or_b32 exec_lo, exec_lo, s14
	v_mov_b32_e32 v1, 0
	s_and_saveexec_b32 s14, s15
	s_cbranch_execnz .LBB103_1319
	s_branch .LBB103_1320
.LBB103_1339:
	s_mov_b32 s0, -1
                                        ; implicit-def: $vgpr1
.LBB103_1340:
	s_mov_b32 s14, 0
.LBB103_1341:
	s_delay_alu instid0(SALU_CYCLE_1)
	s_and_b32 vcc_lo, exec_lo, s14
	s_cbranch_vccz .LBB103_1343
; %bb.1342:
	s_cmp_lg_u32 s17, 11
	s_mov_b32 s15, -1
	s_cselect_b32 s0, -1, 0
.LBB103_1343:
	s_delay_alu instid0(SALU_CYCLE_1)
	s_and_b32 vcc_lo, exec_lo, s0
	s_mov_b32 s14, s12
	s_cbranch_vccnz .LBB103_1410
; %bb.1344:
	s_and_not1_b32 vcc_lo, exec_lo, s15
	s_cbranch_vccnz .LBB103_1346
.LBB103_1345:
	s_wait_loadcnt 0x0
	global_load_u8 v1, v[10:11], off
	s_mov_b32 s18, -1
	s_wait_loadcnt 0x0
	v_cmp_ne_u16_e32 vcc_lo, 0, v1
	v_cndmask_b32_e64 v1, 0, 1, vcc_lo
.LBB103_1346:
	s_mov_b32 s0, 0
.LBB103_1347:
	s_delay_alu instid0(SALU_CYCLE_1)
	s_and_b32 vcc_lo, exec_lo, s0
	s_cbranch_vccz .LBB103_1396
; %bb.1348:
	s_cmp_lt_i32 s17, 5
	s_cbranch_scc1 .LBB103_1353
; %bb.1349:
	s_cmp_lt_i32 s17, 8
	s_cbranch_scc1 .LBB103_1354
; %bb.1350:
	s_cmp_lt_i32 s17, 9
	s_cbranch_scc1 .LBB103_1355
; %bb.1351:
	s_cmp_gt_i32 s17, 9
	s_cbranch_scc0 .LBB103_1356
; %bb.1352:
	global_load_b64 v[12:13], v[10:11], off
	s_mov_b32 s0, 0
	s_wait_loadcnt 0x0
	v_cvt_i32_f64_e32 v1, v[12:13]
	s_branch .LBB103_1357
.LBB103_1353:
	s_mov_b32 s0, -1
                                        ; implicit-def: $vgpr1
	s_branch .LBB103_1375
.LBB103_1354:
	s_mov_b32 s0, -1
                                        ; implicit-def: $vgpr1
	s_branch .LBB103_1363
.LBB103_1355:
	s_mov_b32 s0, -1
                                        ; implicit-def: $vgpr1
	s_branch .LBB103_1360
.LBB103_1356:
	s_mov_b32 s0, -1
                                        ; implicit-def: $vgpr1
.LBB103_1357:
	s_delay_alu instid0(SALU_CYCLE_1)
	s_and_not1_b32 vcc_lo, exec_lo, s0
	s_cbranch_vccnz .LBB103_1359
; %bb.1358:
	s_wait_loadcnt 0x0
	global_load_b32 v1, v[10:11], off
	s_wait_loadcnt 0x0
	v_cvt_i32_f32_e32 v1, v1
.LBB103_1359:
	s_mov_b32 s0, 0
.LBB103_1360:
	s_delay_alu instid0(SALU_CYCLE_1)
	s_and_not1_b32 vcc_lo, exec_lo, s0
	s_cbranch_vccnz .LBB103_1362
; %bb.1361:
	s_wait_loadcnt 0x0
	global_load_b32 v1, v[10:11], off
	s_wait_loadcnt 0x0
	v_cvt_f32_f16_e32 v1, v1
	s_delay_alu instid0(VALU_DEP_1)
	v_cvt_i32_f32_e32 v1, v1
.LBB103_1362:
	s_mov_b32 s0, 0
.LBB103_1363:
	s_delay_alu instid0(SALU_CYCLE_1)
	s_and_not1_b32 vcc_lo, exec_lo, s0
	s_cbranch_vccnz .LBB103_1374
; %bb.1364:
	s_cmp_lt_i32 s17, 6
	s_cbranch_scc1 .LBB103_1367
; %bb.1365:
	s_cmp_gt_i32 s17, 6
	s_cbranch_scc0 .LBB103_1368
; %bb.1366:
	global_load_b64 v[12:13], v[10:11], off
	s_mov_b32 s0, 0
	s_wait_loadcnt 0x0
	v_cvt_i32_f64_e32 v1, v[12:13]
	s_branch .LBB103_1369
.LBB103_1367:
	s_mov_b32 s0, -1
                                        ; implicit-def: $vgpr1
	s_branch .LBB103_1372
.LBB103_1368:
	s_mov_b32 s0, -1
                                        ; implicit-def: $vgpr1
.LBB103_1369:
	s_delay_alu instid0(SALU_CYCLE_1)
	s_and_not1_b32 vcc_lo, exec_lo, s0
	s_cbranch_vccnz .LBB103_1371
; %bb.1370:
	s_wait_loadcnt 0x0
	global_load_b32 v1, v[10:11], off
	s_wait_loadcnt 0x0
	v_cvt_i32_f32_e32 v1, v1
.LBB103_1371:
	s_mov_b32 s0, 0
.LBB103_1372:
	s_delay_alu instid0(SALU_CYCLE_1)
	s_and_not1_b32 vcc_lo, exec_lo, s0
	s_cbranch_vccnz .LBB103_1374
; %bb.1373:
	s_wait_loadcnt 0x0
	global_load_u16 v1, v[10:11], off
	s_wait_loadcnt 0x0
	v_cvt_f32_f16_e32 v1, v1
	s_delay_alu instid0(VALU_DEP_1)
	v_cvt_i32_f32_e32 v1, v1
.LBB103_1374:
	s_mov_b32 s0, 0
.LBB103_1375:
	s_delay_alu instid0(SALU_CYCLE_1)
	s_and_not1_b32 vcc_lo, exec_lo, s0
	s_cbranch_vccnz .LBB103_1395
; %bb.1376:
	s_cmp_lt_i32 s17, 2
	s_cbranch_scc1 .LBB103_1380
; %bb.1377:
	s_cmp_lt_i32 s17, 3
	s_cbranch_scc1 .LBB103_1381
; %bb.1378:
	s_cmp_gt_i32 s17, 3
	s_cbranch_scc0 .LBB103_1382
; %bb.1379:
	s_wait_loadcnt 0x0
	global_load_b32 v1, v[10:11], off
	s_mov_b32 s0, 0
	s_branch .LBB103_1383
.LBB103_1380:
	s_mov_b32 s0, -1
                                        ; implicit-def: $vgpr1
	s_branch .LBB103_1389
.LBB103_1381:
	s_mov_b32 s0, -1
                                        ; implicit-def: $vgpr1
	s_branch .LBB103_1386
.LBB103_1382:
	s_mov_b32 s0, -1
                                        ; implicit-def: $vgpr1
.LBB103_1383:
	s_delay_alu instid0(SALU_CYCLE_1)
	s_and_not1_b32 vcc_lo, exec_lo, s0
	s_cbranch_vccnz .LBB103_1385
; %bb.1384:
	s_wait_loadcnt 0x0
	global_load_b32 v1, v[10:11], off
.LBB103_1385:
	s_mov_b32 s0, 0
.LBB103_1386:
	s_delay_alu instid0(SALU_CYCLE_1)
	s_and_not1_b32 vcc_lo, exec_lo, s0
	s_cbranch_vccnz .LBB103_1388
; %bb.1387:
	s_wait_loadcnt 0x0
	global_load_i16 v1, v[10:11], off
.LBB103_1388:
	s_mov_b32 s0, 0
.LBB103_1389:
	s_delay_alu instid0(SALU_CYCLE_1)
	s_and_not1_b32 vcc_lo, exec_lo, s0
	s_cbranch_vccnz .LBB103_1395
; %bb.1390:
	s_cmp_gt_i32 s17, 0
	s_mov_b32 s0, 0
	s_cbranch_scc0 .LBB103_1392
; %bb.1391:
	s_wait_loadcnt 0x0
	global_load_i8 v1, v[10:11], off
	s_branch .LBB103_1393
.LBB103_1392:
	s_mov_b32 s0, -1
                                        ; implicit-def: $vgpr1
.LBB103_1393:
	s_delay_alu instid0(SALU_CYCLE_1)
	s_and_not1_b32 vcc_lo, exec_lo, s0
	s_cbranch_vccnz .LBB103_1395
; %bb.1394:
	s_wait_loadcnt 0x0
	global_load_u8 v1, v[10:11], off
.LBB103_1395:
	s_mov_b32 s18, -1
.LBB103_1396:
	s_delay_alu instid0(SALU_CYCLE_1)
	s_and_not1_b32 vcc_lo, exec_lo, s18
	s_cbranch_vccnz .LBB103_1406
; %bb.1397:
	s_wait_loadcnt 0x0
	s_delay_alu instid0(VALU_DEP_1) | instskip(SKIP_4) | instid1(SALU_CYCLE_1)
	v_cmp_gt_i32_e32 vcc_lo, s16, v1
	v_cmp_le_i32_e64 s0, s8, v1
	s_or_b32 s0, vcc_lo, s0
	s_wait_xcnt 0x0
	s_and_saveexec_b32 s15, s0
	s_xor_b32 s0, exec_lo, s15
	s_cbranch_execnz .LBB103_1903
.LBB103_1398:
	s_or_saveexec_b32 s15, s0
	s_mov_b32 s18, 0
	s_mov_b32 s19, 0
                                        ; implicit-def: $vgpr14_vgpr15
                                        ; implicit-def: $sgpr0
	s_xor_b32 exec_lo, exec_lo, s15
	s_cbranch_execz .LBB103_1848
; %bb.1399:
	v_mov_b32_e32 v9, 0
	s_cmp_lt_i32 s17, 11
	s_delay_alu instid0(VALU_DEP_1)
	v_add_nc_u64_e32 v[8:9], s[6:7], v[8:9]
	s_cbranch_scc1 .LBB103_1407
; %bb.1400:
	s_cmp_gt_i32 s17, 25
	s_mov_b32 s7, 0
	s_cbranch_scc0 .LBB103_1408
; %bb.1401:
	s_cmp_gt_i32 s17, 28
	s_cbranch_scc0 .LBB103_1409
; %bb.1402:
	s_cmp_gt_i32 s17, 43
	;; [unrolled: 3-line block ×3, first 2 shown]
	s_cbranch_scc0 .LBB103_1412
; %bb.1404:
	s_cmp_eq_u32 s17, 46
	s_mov_b32 s6, 0
	s_cbranch_scc0 .LBB103_1414
; %bb.1405:
	global_load_b32 v1, v[8:9], off
	s_mov_b32 s0, 0
	s_mov_b32 s18, -1
	s_wait_loadcnt 0x0
	v_lshlrev_b32_e32 v1, 16, v1
	s_delay_alu instid0(VALU_DEP_1)
	v_cvt_i32_f32_e32 v1, v1
	s_branch .LBB103_1416
.LBB103_1406:
	s_mov_b32 s18, 0
	s_mov_b32 s19, 0
                                        ; implicit-def: $vgpr14_vgpr15
                                        ; implicit-def: $sgpr0
	s_branch .LBB103_1849
.LBB103_1407:
	s_mov_b32 s0, -1
	s_mov_b32 s6, s14
                                        ; implicit-def: $vgpr1
	s_branch .LBB103_1478
.LBB103_1408:
	s_mov_b32 s6, -1
	s_mov_b32 s0, 0
                                        ; implicit-def: $vgpr1
	s_branch .LBB103_1443
.LBB103_1409:
	s_mov_b32 s6, -1
	s_mov_b32 s0, 0
                                        ; implicit-def: $vgpr1
	s_branch .LBB103_1426
.LBB103_1410:
	s_or_b32 s14, s12, exec_lo
	s_trap 2
	s_cbranch_execz .LBB103_1345
	s_branch .LBB103_1346
.LBB103_1411:
	s_mov_b32 s6, -1
	s_mov_b32 s0, 0
                                        ; implicit-def: $vgpr1
	s_branch .LBB103_1421
.LBB103_1412:
	s_mov_b32 s6, -1
	s_mov_b32 s0, 0
	s_branch .LBB103_1415
.LBB103_1413:
	s_or_b32 s1, s1, exec_lo
	s_trap 2
                                        ; implicit-def: $vgpr12
                                        ; implicit-def: $vgpr10
                                        ; implicit-def: $vgpr8
                                        ; implicit-def: $vgpr0
                                        ; implicit-def: $vgpr6
                                        ; implicit-def: $vgpr4
                                        ; implicit-def: $vgpr2
	s_branch .LBB103_1030
.LBB103_1414:
	s_mov_b32 s0, -1
.LBB103_1415:
                                        ; implicit-def: $vgpr1
.LBB103_1416:
	s_and_b32 vcc_lo, exec_lo, s6
	s_cbranch_vccz .LBB103_1420
; %bb.1417:
	s_cmp_eq_u32 s17, 44
	s_cbranch_scc0 .LBB103_1419
; %bb.1418:
	global_load_u8 v1, v[8:9], off
	s_mov_b32 s0, 0
	s_mov_b32 s18, -1
	s_wait_loadcnt 0x0
	v_lshlrev_b32_e32 v3, 23, v1
	v_cmp_ne_u32_e32 vcc_lo, 0, v1
	s_delay_alu instid0(VALU_DEP_2) | instskip(NEXT) | instid1(VALU_DEP_1)
	v_cvt_i32_f32_e32 v3, v3
	v_cndmask_b32_e32 v1, 0, v3, vcc_lo
	s_branch .LBB103_1420
.LBB103_1419:
	s_mov_b32 s0, -1
                                        ; implicit-def: $vgpr1
.LBB103_1420:
	s_mov_b32 s6, 0
.LBB103_1421:
	s_delay_alu instid0(SALU_CYCLE_1)
	s_and_b32 vcc_lo, exec_lo, s6
	s_cbranch_vccz .LBB103_1425
; %bb.1422:
	s_cmp_eq_u32 s17, 29
	s_cbranch_scc0 .LBB103_1424
; %bb.1423:
	global_load_b32 v1, v[8:9], off
	s_mov_b32 s0, 0
	s_mov_b32 s18, -1
	s_branch .LBB103_1425
.LBB103_1424:
	s_mov_b32 s0, -1
                                        ; implicit-def: $vgpr1
.LBB103_1425:
	s_mov_b32 s6, 0
.LBB103_1426:
	s_delay_alu instid0(SALU_CYCLE_1)
	s_and_b32 vcc_lo, exec_lo, s6
	s_cbranch_vccz .LBB103_1442
; %bb.1427:
	s_cmp_lt_i32 s17, 27
	s_cbranch_scc1 .LBB103_1430
; %bb.1428:
	s_cmp_gt_i32 s17, 27
	s_cbranch_scc0 .LBB103_1431
; %bb.1429:
	s_wait_loadcnt 0x0
	global_load_b32 v1, v[8:9], off
	s_mov_b32 s6, 0
	s_branch .LBB103_1432
.LBB103_1430:
	s_mov_b32 s6, -1
                                        ; implicit-def: $vgpr1
	s_branch .LBB103_1435
.LBB103_1431:
	s_mov_b32 s6, -1
                                        ; implicit-def: $vgpr1
.LBB103_1432:
	s_delay_alu instid0(SALU_CYCLE_1)
	s_and_not1_b32 vcc_lo, exec_lo, s6
	s_cbranch_vccnz .LBB103_1434
; %bb.1433:
	s_wait_loadcnt 0x0
	global_load_u16 v1, v[8:9], off
.LBB103_1434:
	s_mov_b32 s6, 0
.LBB103_1435:
	s_delay_alu instid0(SALU_CYCLE_1)
	s_and_not1_b32 vcc_lo, exec_lo, s6
	s_cbranch_vccnz .LBB103_1441
; %bb.1436:
	global_load_u8 v3, v[8:9], off
	s_mov_b32 s18, 0
	s_mov_b32 s6, exec_lo
	s_wait_loadcnt 0x0
	v_cmpx_lt_i16_e32 0x7f, v3
	s_xor_b32 s6, exec_lo, s6
	s_cbranch_execz .LBB103_1453
; %bb.1437:
	v_cmp_ne_u16_e32 vcc_lo, 0x80, v3
	s_and_b32 s18, vcc_lo, exec_lo
	s_and_not1_saveexec_b32 s6, s6
	s_cbranch_execnz .LBB103_1454
.LBB103_1438:
	s_or_b32 exec_lo, exec_lo, s6
	v_mov_b32_e32 v1, 0
	s_and_saveexec_b32 s6, s18
	s_cbranch_execz .LBB103_1440
.LBB103_1439:
	v_and_b32_e32 v1, 0xffff, v3
	s_delay_alu instid0(VALU_DEP_1) | instskip(SKIP_1) | instid1(VALU_DEP_2)
	v_and_b32_e32 v5, 7, v1
	v_bfe_u32 v11, v1, 3, 4
	v_clz_i32_u32_e32 v7, v5
	s_delay_alu instid0(VALU_DEP_2) | instskip(NEXT) | instid1(VALU_DEP_2)
	v_cmp_eq_u32_e32 vcc_lo, 0, v11
	v_min_u32_e32 v7, 32, v7
	s_delay_alu instid0(VALU_DEP_1) | instskip(NEXT) | instid1(VALU_DEP_1)
	v_subrev_nc_u32_e32 v10, 28, v7
	v_dual_lshlrev_b32 v1, v10, v1 :: v_dual_sub_nc_u32 v7, 29, v7
	s_delay_alu instid0(VALU_DEP_1) | instskip(NEXT) | instid1(VALU_DEP_1)
	v_dual_lshlrev_b32 v3, 24, v3 :: v_dual_bitop2_b32 v1, 7, v1 bitop3:0x40
	v_dual_cndmask_b32 v1, v5, v1, vcc_lo :: v_dual_cndmask_b32 v7, v11, v7, vcc_lo
	s_delay_alu instid0(VALU_DEP_2) | instskip(NEXT) | instid1(VALU_DEP_2)
	v_and_b32_e32 v3, 0x80000000, v3
	v_lshlrev_b32_e32 v1, 20, v1
	s_delay_alu instid0(VALU_DEP_3) | instskip(NEXT) | instid1(VALU_DEP_1)
	v_lshl_add_u32 v5, v7, 23, 0x3b800000
	v_or3_b32 v1, v3, v5, v1
	s_delay_alu instid0(VALU_DEP_1)
	v_cvt_i32_f32_e32 v1, v1
.LBB103_1440:
	s_or_b32 exec_lo, exec_lo, s6
.LBB103_1441:
	s_mov_b32 s18, -1
.LBB103_1442:
	s_mov_b32 s6, 0
.LBB103_1443:
	s_delay_alu instid0(SALU_CYCLE_1)
	s_and_b32 vcc_lo, exec_lo, s6
	s_cbranch_vccz .LBB103_1474
; %bb.1444:
	s_cmp_gt_i32 s17, 22
	s_cbranch_scc0 .LBB103_1452
; %bb.1445:
	s_cmp_lt_i32 s17, 24
	s_cbranch_scc1 .LBB103_1455
; %bb.1446:
	s_cmp_gt_i32 s17, 24
	s_cbranch_scc0 .LBB103_1456
; %bb.1447:
	global_load_u8 v3, v[8:9], off
	s_mov_b32 s6, exec_lo
	s_wait_loadcnt 0x0
	v_cmpx_lt_i16_e32 0x7f, v3
	s_xor_b32 s6, exec_lo, s6
	s_cbranch_execz .LBB103_1468
; %bb.1448:
	v_cmp_ne_u16_e32 vcc_lo, 0x80, v3
	s_and_b32 s7, vcc_lo, exec_lo
	s_and_not1_saveexec_b32 s6, s6
	s_cbranch_execnz .LBB103_1469
.LBB103_1449:
	s_or_b32 exec_lo, exec_lo, s6
	v_mov_b32_e32 v1, 0
	s_and_saveexec_b32 s6, s7
	s_cbranch_execz .LBB103_1451
.LBB103_1450:
	v_and_b32_e32 v1, 0xffff, v3
	s_delay_alu instid0(VALU_DEP_1) | instskip(SKIP_1) | instid1(VALU_DEP_2)
	v_and_b32_e32 v5, 3, v1
	v_bfe_u32 v11, v1, 2, 5
	v_clz_i32_u32_e32 v7, v5
	s_delay_alu instid0(VALU_DEP_2) | instskip(NEXT) | instid1(VALU_DEP_2)
	v_cmp_eq_u32_e32 vcc_lo, 0, v11
	v_min_u32_e32 v7, 32, v7
	s_delay_alu instid0(VALU_DEP_1) | instskip(NEXT) | instid1(VALU_DEP_1)
	v_subrev_nc_u32_e32 v10, 29, v7
	v_dual_lshlrev_b32 v1, v10, v1 :: v_dual_sub_nc_u32 v7, 30, v7
	s_delay_alu instid0(VALU_DEP_1) | instskip(NEXT) | instid1(VALU_DEP_1)
	v_dual_lshlrev_b32 v3, 24, v3 :: v_dual_bitop2_b32 v1, 3, v1 bitop3:0x40
	v_dual_cndmask_b32 v1, v5, v1, vcc_lo :: v_dual_cndmask_b32 v7, v11, v7, vcc_lo
	s_delay_alu instid0(VALU_DEP_2) | instskip(NEXT) | instid1(VALU_DEP_2)
	v_and_b32_e32 v3, 0x80000000, v3
	v_lshlrev_b32_e32 v1, 21, v1
	s_delay_alu instid0(VALU_DEP_3) | instskip(NEXT) | instid1(VALU_DEP_1)
	v_lshl_add_u32 v5, v7, 23, 0x37800000
	v_or3_b32 v1, v3, v5, v1
	s_delay_alu instid0(VALU_DEP_1)
	v_cvt_i32_f32_e32 v1, v1
.LBB103_1451:
	s_or_b32 exec_lo, exec_lo, s6
	s_mov_b32 s6, 0
	s_branch .LBB103_1457
.LBB103_1452:
	s_mov_b32 s6, -1
                                        ; implicit-def: $vgpr1
	s_branch .LBB103_1463
.LBB103_1453:
	s_and_not1_saveexec_b32 s6, s6
	s_cbranch_execz .LBB103_1438
.LBB103_1454:
	v_cmp_ne_u16_e32 vcc_lo, 0, v3
	s_and_not1_b32 s18, s18, exec_lo
	s_and_b32 s19, vcc_lo, exec_lo
	s_delay_alu instid0(SALU_CYCLE_1)
	s_or_b32 s18, s18, s19
	s_or_b32 exec_lo, exec_lo, s6
	v_mov_b32_e32 v1, 0
	s_and_saveexec_b32 s6, s18
	s_cbranch_execnz .LBB103_1439
	s_branch .LBB103_1440
.LBB103_1455:
	s_mov_b32 s6, -1
                                        ; implicit-def: $vgpr1
	s_branch .LBB103_1460
.LBB103_1456:
	s_mov_b32 s6, -1
                                        ; implicit-def: $vgpr1
.LBB103_1457:
	s_delay_alu instid0(SALU_CYCLE_1)
	s_and_b32 vcc_lo, exec_lo, s6
	s_cbranch_vccz .LBB103_1459
; %bb.1458:
	s_wait_loadcnt 0x0
	global_load_u8 v1, v[8:9], off
	s_wait_loadcnt 0x0
	v_lshlrev_b32_e32 v1, 24, v1
	s_delay_alu instid0(VALU_DEP_1) | instskip(NEXT) | instid1(VALU_DEP_1)
	v_and_b32_e32 v3, 0x7f000000, v1
	v_clz_i32_u32_e32 v5, v3
	v_cmp_ne_u32_e32 vcc_lo, 0, v3
	v_add_nc_u32_e32 v10, 0x1000000, v3
	s_delay_alu instid0(VALU_DEP_3) | instskip(NEXT) | instid1(VALU_DEP_1)
	v_min_u32_e32 v5, 32, v5
	v_sub_nc_u32_e64 v5, v5, 4 clamp
	s_delay_alu instid0(VALU_DEP_1) | instskip(NEXT) | instid1(VALU_DEP_1)
	v_dual_lshlrev_b32 v7, v5, v3 :: v_dual_lshlrev_b32 v5, 23, v5
	v_lshrrev_b32_e32 v7, 4, v7
	s_delay_alu instid0(VALU_DEP_1) | instskip(NEXT) | instid1(VALU_DEP_1)
	v_dual_sub_nc_u32 v5, v7, v5 :: v_dual_ashrrev_i32 v7, 8, v10
	v_add_nc_u32_e32 v5, 0x3c000000, v5
	s_delay_alu instid0(VALU_DEP_1) | instskip(NEXT) | instid1(VALU_DEP_1)
	v_and_or_b32 v5, 0x7f800000, v7, v5
	v_cndmask_b32_e32 v3, 0, v5, vcc_lo
	s_delay_alu instid0(VALU_DEP_1) | instskip(NEXT) | instid1(VALU_DEP_1)
	v_and_or_b32 v1, 0x80000000, v1, v3
	v_cvt_i32_f32_e32 v1, v1
.LBB103_1459:
	s_mov_b32 s6, 0
.LBB103_1460:
	s_delay_alu instid0(SALU_CYCLE_1)
	s_and_not1_b32 vcc_lo, exec_lo, s6
	s_cbranch_vccnz .LBB103_1462
; %bb.1461:
	s_wait_loadcnt 0x0
	global_load_u8 v1, v[8:9], off
	s_wait_loadcnt 0x0
	v_lshlrev_b32_e32 v3, 25, v1
	v_lshlrev_b16 v1, 8, v1
	s_delay_alu instid0(VALU_DEP_1) | instskip(SKIP_1) | instid1(VALU_DEP_2)
	v_and_or_b32 v7, 0x7f00, v1, 0.5
	v_bfe_i32 v1, v1, 0, 16
	v_add_f32_e32 v7, -0.5, v7
	v_lshrrev_b32_e32 v5, 4, v3
	v_cmp_gt_u32_e32 vcc_lo, 0x8000000, v3
	s_delay_alu instid0(VALU_DEP_2) | instskip(NEXT) | instid1(VALU_DEP_1)
	v_or_b32_e32 v5, 0x70000000, v5
	v_mul_f32_e32 v5, 0x7800000, v5
	s_delay_alu instid0(VALU_DEP_1) | instskip(NEXT) | instid1(VALU_DEP_1)
	v_cndmask_b32_e32 v3, v5, v7, vcc_lo
	v_and_or_b32 v1, 0x80000000, v1, v3
	s_delay_alu instid0(VALU_DEP_1)
	v_cvt_i32_f32_e32 v1, v1
.LBB103_1462:
	s_mov_b32 s6, 0
	s_mov_b32 s18, -1
.LBB103_1463:
	s_and_not1_b32 vcc_lo, exec_lo, s6
	s_mov_b32 s7, 0
	s_cbranch_vccnz .LBB103_1474
; %bb.1464:
	s_cmp_gt_i32 s17, 14
	s_cbranch_scc0 .LBB103_1467
; %bb.1465:
	s_cmp_eq_u32 s17, 15
	s_cbranch_scc0 .LBB103_1470
; %bb.1466:
	s_wait_loadcnt 0x0
	global_load_u16 v1, v[8:9], off
	s_mov_b32 s0, 0
	s_mov_b32 s18, -1
	s_wait_loadcnt 0x0
	v_lshlrev_b32_e32 v1, 16, v1
	s_delay_alu instid0(VALU_DEP_1)
	v_cvt_i32_f32_e32 v1, v1
	s_branch .LBB103_1471
.LBB103_1467:
	s_mov_b32 s6, -1
                                        ; implicit-def: $vgpr1
	s_branch .LBB103_1472
.LBB103_1468:
	s_and_not1_saveexec_b32 s6, s6
	s_cbranch_execz .LBB103_1449
.LBB103_1469:
	v_cmp_ne_u16_e32 vcc_lo, 0, v3
	s_and_not1_b32 s7, s7, exec_lo
	s_and_b32 s18, vcc_lo, exec_lo
	s_delay_alu instid0(SALU_CYCLE_1)
	s_or_b32 s7, s7, s18
	s_or_b32 exec_lo, exec_lo, s6
	v_mov_b32_e32 v1, 0
	s_and_saveexec_b32 s6, s7
	s_cbranch_execnz .LBB103_1450
	s_branch .LBB103_1451
.LBB103_1470:
	s_mov_b32 s0, -1
                                        ; implicit-def: $vgpr1
.LBB103_1471:
	s_mov_b32 s6, 0
.LBB103_1472:
	s_delay_alu instid0(SALU_CYCLE_1)
	s_and_b32 vcc_lo, exec_lo, s6
	s_cbranch_vccz .LBB103_1474
; %bb.1473:
	s_cmp_lg_u32 s17, 11
	s_mov_b32 s7, -1
	s_cselect_b32 s0, -1, 0
.LBB103_1474:
	s_delay_alu instid0(SALU_CYCLE_1)
	s_and_b32 vcc_lo, exec_lo, s0
	s_mov_b32 s6, s14
	s_cbranch_vccnz .LBB103_1897
; %bb.1475:
	s_and_not1_b32 vcc_lo, exec_lo, s7
	s_cbranch_vccnz .LBB103_1477
.LBB103_1476:
	s_wait_loadcnt 0x0
	global_load_u8 v1, v[8:9], off
	s_mov_b32 s18, -1
	s_wait_loadcnt 0x0
	v_cmp_ne_u16_e32 vcc_lo, 0, v1
	v_cndmask_b32_e64 v1, 0, 1, vcc_lo
.LBB103_1477:
	s_mov_b32 s0, 0
.LBB103_1478:
	s_delay_alu instid0(SALU_CYCLE_1)
	s_and_b32 vcc_lo, exec_lo, s0
	s_cbranch_vccz .LBB103_1527
; %bb.1479:
	s_cmp_lt_i32 s17, 5
	s_cbranch_scc1 .LBB103_1484
; %bb.1480:
	s_cmp_lt_i32 s17, 8
	s_cbranch_scc1 .LBB103_1485
	;; [unrolled: 3-line block ×3, first 2 shown]
; %bb.1482:
	s_cmp_gt_i32 s17, 9
	s_cbranch_scc0 .LBB103_1487
; %bb.1483:
	global_load_b64 v[10:11], v[8:9], off
	s_mov_b32 s0, 0
	s_wait_loadcnt 0x0
	v_cvt_i32_f64_e32 v1, v[10:11]
	s_branch .LBB103_1488
.LBB103_1484:
	s_mov_b32 s0, -1
                                        ; implicit-def: $vgpr1
	s_branch .LBB103_1506
.LBB103_1485:
	s_mov_b32 s0, -1
                                        ; implicit-def: $vgpr1
	s_branch .LBB103_1494
.LBB103_1486:
	s_mov_b32 s0, -1
                                        ; implicit-def: $vgpr1
	s_branch .LBB103_1491
.LBB103_1487:
	s_mov_b32 s0, -1
                                        ; implicit-def: $vgpr1
.LBB103_1488:
	s_delay_alu instid0(SALU_CYCLE_1)
	s_and_not1_b32 vcc_lo, exec_lo, s0
	s_cbranch_vccnz .LBB103_1490
; %bb.1489:
	s_wait_loadcnt 0x0
	global_load_b32 v1, v[8:9], off
	s_wait_loadcnt 0x0
	v_cvt_i32_f32_e32 v1, v1
.LBB103_1490:
	s_mov_b32 s0, 0
.LBB103_1491:
	s_delay_alu instid0(SALU_CYCLE_1)
	s_and_not1_b32 vcc_lo, exec_lo, s0
	s_cbranch_vccnz .LBB103_1493
; %bb.1492:
	s_wait_loadcnt 0x0
	global_load_b32 v1, v[8:9], off
	s_wait_loadcnt 0x0
	v_cvt_f32_f16_e32 v1, v1
	s_delay_alu instid0(VALU_DEP_1)
	v_cvt_i32_f32_e32 v1, v1
.LBB103_1493:
	s_mov_b32 s0, 0
.LBB103_1494:
	s_delay_alu instid0(SALU_CYCLE_1)
	s_and_not1_b32 vcc_lo, exec_lo, s0
	s_cbranch_vccnz .LBB103_1505
; %bb.1495:
	s_cmp_lt_i32 s17, 6
	s_cbranch_scc1 .LBB103_1498
; %bb.1496:
	s_cmp_gt_i32 s17, 6
	s_cbranch_scc0 .LBB103_1499
; %bb.1497:
	global_load_b64 v[10:11], v[8:9], off
	s_mov_b32 s0, 0
	s_wait_loadcnt 0x0
	v_cvt_i32_f64_e32 v1, v[10:11]
	s_branch .LBB103_1500
.LBB103_1498:
	s_mov_b32 s0, -1
                                        ; implicit-def: $vgpr1
	s_branch .LBB103_1503
.LBB103_1499:
	s_mov_b32 s0, -1
                                        ; implicit-def: $vgpr1
.LBB103_1500:
	s_delay_alu instid0(SALU_CYCLE_1)
	s_and_not1_b32 vcc_lo, exec_lo, s0
	s_cbranch_vccnz .LBB103_1502
; %bb.1501:
	s_wait_loadcnt 0x0
	global_load_b32 v1, v[8:9], off
	s_wait_loadcnt 0x0
	v_cvt_i32_f32_e32 v1, v1
.LBB103_1502:
	s_mov_b32 s0, 0
.LBB103_1503:
	s_delay_alu instid0(SALU_CYCLE_1)
	s_and_not1_b32 vcc_lo, exec_lo, s0
	s_cbranch_vccnz .LBB103_1505
; %bb.1504:
	s_wait_loadcnt 0x0
	global_load_u16 v1, v[8:9], off
	s_wait_loadcnt 0x0
	v_cvt_f32_f16_e32 v1, v1
	s_delay_alu instid0(VALU_DEP_1)
	v_cvt_i32_f32_e32 v1, v1
.LBB103_1505:
	s_mov_b32 s0, 0
.LBB103_1506:
	s_delay_alu instid0(SALU_CYCLE_1)
	s_and_not1_b32 vcc_lo, exec_lo, s0
	s_cbranch_vccnz .LBB103_1526
; %bb.1507:
	s_cmp_lt_i32 s17, 2
	s_cbranch_scc1 .LBB103_1511
; %bb.1508:
	s_cmp_lt_i32 s17, 3
	s_cbranch_scc1 .LBB103_1512
; %bb.1509:
	s_cmp_gt_i32 s17, 3
	s_cbranch_scc0 .LBB103_1513
; %bb.1510:
	s_wait_loadcnt 0x0
	global_load_b32 v1, v[8:9], off
	s_mov_b32 s0, 0
	s_branch .LBB103_1514
.LBB103_1511:
	s_mov_b32 s0, -1
                                        ; implicit-def: $vgpr1
	s_branch .LBB103_1520
.LBB103_1512:
	s_mov_b32 s0, -1
                                        ; implicit-def: $vgpr1
	s_branch .LBB103_1517
.LBB103_1513:
	s_mov_b32 s0, -1
                                        ; implicit-def: $vgpr1
.LBB103_1514:
	s_delay_alu instid0(SALU_CYCLE_1)
	s_and_not1_b32 vcc_lo, exec_lo, s0
	s_cbranch_vccnz .LBB103_1516
; %bb.1515:
	s_wait_loadcnt 0x0
	global_load_b32 v1, v[8:9], off
.LBB103_1516:
	s_mov_b32 s0, 0
.LBB103_1517:
	s_delay_alu instid0(SALU_CYCLE_1)
	s_and_not1_b32 vcc_lo, exec_lo, s0
	s_cbranch_vccnz .LBB103_1519
; %bb.1518:
	s_wait_loadcnt 0x0
	global_load_i16 v1, v[8:9], off
.LBB103_1519:
	s_mov_b32 s0, 0
.LBB103_1520:
	s_delay_alu instid0(SALU_CYCLE_1)
	s_and_not1_b32 vcc_lo, exec_lo, s0
	s_cbranch_vccnz .LBB103_1526
; %bb.1521:
	s_cmp_gt_i32 s17, 0
	s_mov_b32 s0, 0
	s_cbranch_scc0 .LBB103_1523
; %bb.1522:
	s_wait_loadcnt 0x0
	global_load_i8 v1, v[8:9], off
	s_branch .LBB103_1524
.LBB103_1523:
	s_mov_b32 s0, -1
                                        ; implicit-def: $vgpr1
.LBB103_1524:
	s_delay_alu instid0(SALU_CYCLE_1)
	s_and_not1_b32 vcc_lo, exec_lo, s0
	s_cbranch_vccnz .LBB103_1526
; %bb.1525:
	s_wait_loadcnt 0x0
	global_load_u8 v1, v[8:9], off
.LBB103_1526:
	s_mov_b32 s18, -1
.LBB103_1527:
	s_delay_alu instid0(SALU_CYCLE_1)
	s_and_not1_b32 vcc_lo, exec_lo, s18
	s_cbranch_vccnz .LBB103_1578
; %bb.1528:
	s_wait_loadcnt 0x0
	s_delay_alu instid0(VALU_DEP_1) | instskip(SKIP_4) | instid1(SALU_CYCLE_1)
	v_cmp_gt_i32_e32 vcc_lo, s16, v1
	v_cmp_le_i32_e64 s0, s8, v1
	s_or_b32 s0, vcc_lo, s0
	s_wait_xcnt 0x0
	s_and_saveexec_b32 s7, s0
	s_xor_b32 s0, exec_lo, s7
	s_cbranch_execnz .LBB103_1905
.LBB103_1529:
	s_or_saveexec_b32 s7, s0
	s_mov_b32 s8, 0
	s_mov_b32 s16, 0
                                        ; implicit-def: $vgpr14_vgpr15
                                        ; implicit-def: $sgpr0
	s_xor_b32 exec_lo, exec_lo, s7
	s_cbranch_execz .LBB103_1846
; %bb.1530:
	s_load_b32 s0, s[2:3], 0x168
	v_mov_b32_e32 v7, 0
	s_delay_alu instid0(VALU_DEP_1) | instskip(SKIP_2) | instid1(SALU_CYCLE_1)
	v_add_nc_u64_e32 v[6:7], s[4:5], v[6:7]
	s_wait_kmcnt 0x0
	s_and_b32 s0, s0, 0xff
	s_cmp_lt_i32 s0, 11
	s_cbranch_scc1 .LBB103_1579
; %bb.1531:
	s_and_b32 s2, 0xffff, s0
	s_mov_b32 s17, -1
	s_cmp_gt_i32 s2, 25
	s_mov_b32 s3, 0
	s_cbranch_scc0 .LBB103_1556
; %bb.1532:
	s_cmp_gt_i32 s2, 28
	s_cbranch_scc0 .LBB103_1545
; %bb.1533:
	s_cmp_gt_i32 s2, 43
	s_cbranch_scc0 .LBB103_1541
; %bb.1534:
	s_cmp_gt_i32 s2, 45
	s_cbranch_scc0 .LBB103_1537
; %bb.1535:
	s_mov_b32 s3, -1
	s_mov_b32 s17, 0
	s_cmp_eq_u32 s2, 46
	s_cbranch_scc0 .LBB103_1537
; %bb.1536:
	v_mov_b32_e32 v1, 0
	s_mov_b32 s3, 0
	s_mov_b32 s8, -1
	global_store_b32 v[6:7], v1, off
.LBB103_1537:
	s_and_b32 vcc_lo, exec_lo, s17
	s_cbranch_vccz .LBB103_1540
; %bb.1538:
	s_cmp_eq_u32 s2, 44
	s_mov_b32 s3, -1
	s_cbranch_scc0 .LBB103_1540
; %bb.1539:
	s_wait_xcnt 0x0
	v_mov_b32_e32 v1, 0
	s_mov_b32 s3, 0
	s_mov_b32 s8, -1
	global_store_b8 v[6:7], v1, off
.LBB103_1540:
	s_mov_b32 s17, 0
.LBB103_1541:
	s_delay_alu instid0(SALU_CYCLE_1)
	s_and_b32 vcc_lo, exec_lo, s17
	s_cbranch_vccz .LBB103_1544
; %bb.1542:
	s_cmp_eq_u32 s2, 29
	s_mov_b32 s3, -1
	s_cbranch_scc0 .LBB103_1544
; %bb.1543:
	v_mov_b64_e32 v[8:9], 0
	s_mov_b32 s3, 0
	s_mov_b32 s8, -1
	global_store_b64 v[6:7], v[8:9], off
.LBB103_1544:
	s_mov_b32 s17, 0
.LBB103_1545:
	s_delay_alu instid0(SALU_CYCLE_1)
	s_and_b32 vcc_lo, exec_lo, s17
	s_cbranch_vccz .LBB103_1555
; %bb.1546:
	s_cmp_lt_i32 s2, 27
	s_mov_b32 s8, -1
	s_cbranch_scc1 .LBB103_1552
; %bb.1547:
	s_cmp_gt_i32 s2, 27
	s_cbranch_scc0 .LBB103_1549
; %bb.1548:
	s_wait_xcnt 0x0
	v_mov_b32_e32 v1, 0
	s_mov_b32 s8, 0
	global_store_b32 v[6:7], v1, off
.LBB103_1549:
	s_and_not1_b32 vcc_lo, exec_lo, s8
	s_cbranch_vccnz .LBB103_1551
; %bb.1550:
	s_wait_xcnt 0x0
	v_mov_b32_e32 v1, 0
	global_store_b16 v[6:7], v1, off
.LBB103_1551:
	s_mov_b32 s8, 0
.LBB103_1552:
	s_delay_alu instid0(SALU_CYCLE_1)
	s_and_not1_b32 vcc_lo, exec_lo, s8
	s_cbranch_vccnz .LBB103_1554
; %bb.1553:
	s_wait_xcnt 0x0
	v_mov_b32_e32 v1, 0
	global_store_b8 v[6:7], v1, off
.LBB103_1554:
	s_mov_b32 s8, -1
.LBB103_1555:
	s_mov_b32 s17, 0
.LBB103_1556:
	s_delay_alu instid0(SALU_CYCLE_1)
	s_and_b32 vcc_lo, exec_lo, s17
	s_cbranch_vccz .LBB103_1574
; %bb.1557:
	s_cmp_gt_i32 s2, 22
	s_mov_b32 s16, -1
	s_cbranch_scc0 .LBB103_1567
; %bb.1558:
	s_cmp_lt_i32 s2, 24
	s_mov_b32 s8, -1
	s_cbranch_scc1 .LBB103_1564
; %bb.1559:
	s_cmp_gt_i32 s2, 24
	s_cbranch_scc0 .LBB103_1561
; %bb.1560:
	s_wait_xcnt 0x0
	v_mov_b32_e32 v1, 0
	s_mov_b32 s8, 0
	global_store_b8 v[6:7], v1, off
.LBB103_1561:
	s_and_not1_b32 vcc_lo, exec_lo, s8
	s_cbranch_vccnz .LBB103_1563
; %bb.1562:
	s_wait_xcnt 0x0
	v_mov_b32_e32 v1, 0
	global_store_b8 v[6:7], v1, off
.LBB103_1563:
	s_mov_b32 s8, 0
.LBB103_1564:
	s_delay_alu instid0(SALU_CYCLE_1)
	s_and_not1_b32 vcc_lo, exec_lo, s8
	s_cbranch_vccnz .LBB103_1566
; %bb.1565:
	s_wait_xcnt 0x0
	v_mov_b32_e32 v1, 0
	global_store_b8 v[6:7], v1, off
.LBB103_1566:
	s_mov_b32 s16, 0
	s_mov_b32 s8, -1
.LBB103_1567:
	s_and_not1_b32 vcc_lo, exec_lo, s16
	s_mov_b32 s16, 0
	s_cbranch_vccnz .LBB103_1574
; %bb.1568:
	s_cmp_gt_i32 s2, 14
	s_mov_b32 s16, -1
	s_cbranch_scc0 .LBB103_1572
; %bb.1569:
	s_cmp_eq_u32 s2, 15
	s_mov_b32 s3, -1
	s_cbranch_scc0 .LBB103_1571
; %bb.1570:
	s_wait_xcnt 0x0
	v_mov_b32_e32 v1, 0
	s_mov_b32 s3, 0
	s_mov_b32 s8, -1
	global_store_b16 v[6:7], v1, off
.LBB103_1571:
	s_mov_b32 s16, 0
.LBB103_1572:
	s_delay_alu instid0(SALU_CYCLE_1)
	s_and_b32 vcc_lo, exec_lo, s16
	s_mov_b32 s16, 0
	s_cbranch_vccz .LBB103_1574
; %bb.1573:
	s_cmp_lg_u32 s2, 11
	s_mov_b32 s16, -1
	s_cselect_b32 s3, -1, 0
.LBB103_1574:
	s_delay_alu instid0(SALU_CYCLE_1)
	s_and_b32 vcc_lo, exec_lo, s3
	s_mov_b32 s2, s6
	s_cbranch_vccnz .LBB103_1899
; %bb.1575:
	s_and_not1_b32 vcc_lo, exec_lo, s16
	s_cbranch_vccnz .LBB103_1577
.LBB103_1576:
	s_wait_xcnt 0x0
	v_mov_b32_e32 v1, 0
	s_mov_b32 s8, -1
	global_store_b8 v[6:7], v1, off
.LBB103_1577:
	s_mov_b32 s3, 0
	s_branch .LBB103_1580
.LBB103_1578:
	s_mov_b32 s8, 0
	s_mov_b32 s16, 0
                                        ; implicit-def: $vgpr14_vgpr15
                                        ; implicit-def: $sgpr0
	s_branch .LBB103_1847
.LBB103_1579:
	s_mov_b32 s3, -1
	s_mov_b32 s2, s6
.LBB103_1580:
	s_and_b32 vcc_lo, exec_lo, s3
	s_cbranch_vccz .LBB103_1619
; %bb.1581:
	s_and_b32 s3, 0xffff, s0
	s_mov_b32 s8, -1
	s_cmp_lt_i32 s3, 5
	s_cbranch_scc1 .LBB103_1602
; %bb.1582:
	s_cmp_lt_i32 s3, 8
	s_cbranch_scc1 .LBB103_1592
; %bb.1583:
	;; [unrolled: 3-line block ×3, first 2 shown]
	s_cmp_gt_i32 s3, 9
	s_cbranch_scc0 .LBB103_1586
; %bb.1585:
	s_wait_xcnt 0x0
	v_mov_b32_e32 v8, 0
	s_mov_b32 s8, 0
	s_delay_alu instid0(VALU_DEP_1)
	v_dual_mov_b32 v9, v8 :: v_dual_mov_b32 v10, v8
	v_mov_b32_e32 v11, v8
	global_store_b128 v[6:7], v[8:11], off
.LBB103_1586:
	s_and_not1_b32 vcc_lo, exec_lo, s8
	s_cbranch_vccnz .LBB103_1588
; %bb.1587:
	s_wait_xcnt 0x0
	v_mov_b64_e32 v[8:9], 0
	global_store_b64 v[6:7], v[8:9], off
.LBB103_1588:
	s_mov_b32 s8, 0
.LBB103_1589:
	s_delay_alu instid0(SALU_CYCLE_1)
	s_and_not1_b32 vcc_lo, exec_lo, s8
	s_cbranch_vccnz .LBB103_1591
; %bb.1590:
	s_wait_xcnt 0x0
	v_mov_b32_e32 v1, 0
	global_store_b32 v[6:7], v1, off
.LBB103_1591:
	s_mov_b32 s8, 0
.LBB103_1592:
	s_delay_alu instid0(SALU_CYCLE_1)
	s_and_not1_b32 vcc_lo, exec_lo, s8
	s_cbranch_vccnz .LBB103_1601
; %bb.1593:
	s_cmp_lt_i32 s3, 6
	s_mov_b32 s8, -1
	s_cbranch_scc1 .LBB103_1599
; %bb.1594:
	s_cmp_gt_i32 s3, 6
	s_cbranch_scc0 .LBB103_1596
; %bb.1595:
	s_wait_xcnt 0x0
	v_mov_b64_e32 v[8:9], 0
	s_mov_b32 s8, 0
	global_store_b64 v[6:7], v[8:9], off
.LBB103_1596:
	s_and_not1_b32 vcc_lo, exec_lo, s8
	s_cbranch_vccnz .LBB103_1598
; %bb.1597:
	s_wait_xcnt 0x0
	v_mov_b32_e32 v1, 0
	global_store_b32 v[6:7], v1, off
.LBB103_1598:
	s_mov_b32 s8, 0
.LBB103_1599:
	s_delay_alu instid0(SALU_CYCLE_1)
	s_and_not1_b32 vcc_lo, exec_lo, s8
	s_cbranch_vccnz .LBB103_1601
; %bb.1600:
	s_wait_xcnt 0x0
	v_mov_b32_e32 v1, 0
	global_store_b16 v[6:7], v1, off
.LBB103_1601:
	s_mov_b32 s8, 0
.LBB103_1602:
	s_delay_alu instid0(SALU_CYCLE_1)
	s_and_not1_b32 vcc_lo, exec_lo, s8
	s_cbranch_vccnz .LBB103_1618
; %bb.1603:
	s_cmp_lt_i32 s3, 2
	s_mov_b32 s8, -1
	s_cbranch_scc1 .LBB103_1613
; %bb.1604:
	s_cmp_lt_i32 s3, 3
	s_cbranch_scc1 .LBB103_1610
; %bb.1605:
	s_cmp_gt_i32 s3, 3
	s_cbranch_scc0 .LBB103_1607
; %bb.1606:
	s_wait_xcnt 0x0
	v_mov_b64_e32 v[8:9], 0
	s_mov_b32 s8, 0
	global_store_b64 v[6:7], v[8:9], off
.LBB103_1607:
	s_and_not1_b32 vcc_lo, exec_lo, s8
	s_cbranch_vccnz .LBB103_1609
; %bb.1608:
	s_wait_xcnt 0x0
	v_mov_b32_e32 v1, 0
	global_store_b32 v[6:7], v1, off
.LBB103_1609:
	s_mov_b32 s8, 0
.LBB103_1610:
	s_delay_alu instid0(SALU_CYCLE_1)
	s_and_not1_b32 vcc_lo, exec_lo, s8
	s_cbranch_vccnz .LBB103_1612
; %bb.1611:
	s_wait_xcnt 0x0
	v_mov_b32_e32 v1, 0
	global_store_b16 v[6:7], v1, off
.LBB103_1612:
	s_mov_b32 s8, 0
.LBB103_1613:
	s_delay_alu instid0(SALU_CYCLE_1)
	s_and_not1_b32 vcc_lo, exec_lo, s8
	s_cbranch_vccnz .LBB103_1618
; %bb.1614:
	s_cmp_gt_i32 s3, 0
	s_mov_b32 s3, -1
	s_cbranch_scc0 .LBB103_1616
; %bb.1615:
	s_wait_xcnt 0x0
	v_mov_b32_e32 v1, 0
	s_mov_b32 s3, 0
	global_store_b8 v[6:7], v1, off
.LBB103_1616:
	s_and_not1_b32 vcc_lo, exec_lo, s3
	s_cbranch_vccnz .LBB103_1618
; %bb.1617:
	s_wait_xcnt 0x0
	v_mov_b32_e32 v1, 0
	global_store_b8 v[6:7], v1, off
.LBB103_1618:
	s_mov_b32 s8, -1
.LBB103_1619:
	s_delay_alu instid0(SALU_CYCLE_1)
	s_and_not1_b32 vcc_lo, exec_lo, s8
	s_cbranch_vccnz .LBB103_1844
; %bb.1620:
	v_mov_b32_e32 v5, 0
	s_and_b32 s3, 0xffff, s0
	s_delay_alu instid0(SALU_CYCLE_1) | instskip(NEXT) | instid1(VALU_DEP_1)
	s_cmp_lt_i32 s3, 11
	v_add_nc_u64_e32 v[4:5], s[4:5], v[4:5]
	s_cbranch_scc1 .LBB103_1668
; %bb.1621:
	s_mov_b32 s18, -1
	s_mov_b32 s17, 0
	s_cmp_gt_i32 s3, 25
	s_mov_b32 s16, 0
	s_mov_b32 s8, 0
	s_cbranch_scc0 .LBB103_1646
; %bb.1622:
	s_cmp_gt_i32 s3, 28
	s_cbranch_scc0 .LBB103_1635
; %bb.1623:
	s_cmp_gt_i32 s3, 43
	s_cbranch_scc0 .LBB103_1631
; %bb.1624:
	s_cmp_gt_i32 s3, 45
	s_cbranch_scc0 .LBB103_1627
; %bb.1625:
	s_mov_b32 s8, -1
	s_mov_b32 s18, 0
	s_cmp_eq_u32 s3, 46
	s_cbranch_scc0 .LBB103_1627
; %bb.1626:
	s_wait_xcnt 0x0
	v_mov_b32_e32 v1, 0
	s_mov_b32 s8, 0
	s_mov_b32 s16, -1
	global_store_b32 v[4:5], v1, off
.LBB103_1627:
	s_and_b32 vcc_lo, exec_lo, s18
	s_cbranch_vccz .LBB103_1630
; %bb.1628:
	s_cmp_eq_u32 s3, 44
	s_mov_b32 s8, -1
	s_cbranch_scc0 .LBB103_1630
; %bb.1629:
	s_wait_xcnt 0x0
	v_mov_b32_e32 v1, 0
	s_mov_b32 s8, 0
	s_mov_b32 s16, -1
	global_store_b8 v[4:5], v1, off
.LBB103_1630:
	s_mov_b32 s18, 0
.LBB103_1631:
	s_delay_alu instid0(SALU_CYCLE_1)
	s_and_b32 vcc_lo, exec_lo, s18
	s_cbranch_vccz .LBB103_1634
; %bb.1632:
	s_cmp_eq_u32 s3, 29
	s_mov_b32 s8, -1
	s_cbranch_scc0 .LBB103_1634
; %bb.1633:
	s_wait_xcnt 0x0
	v_mov_b64_e32 v[6:7], 0
	s_mov_b32 s8, 0
	s_mov_b32 s16, -1
	global_store_b64 v[4:5], v[6:7], off
.LBB103_1634:
	s_mov_b32 s18, 0
.LBB103_1635:
	s_delay_alu instid0(SALU_CYCLE_1)
	s_and_b32 vcc_lo, exec_lo, s18
	s_cbranch_vccz .LBB103_1645
; %bb.1636:
	s_cmp_lt_i32 s3, 27
	s_mov_b32 s16, -1
	s_cbranch_scc1 .LBB103_1642
; %bb.1637:
	s_cmp_gt_i32 s3, 27
	s_cbranch_scc0 .LBB103_1639
; %bb.1638:
	s_wait_xcnt 0x0
	v_mov_b32_e32 v1, 0
	s_mov_b32 s16, 0
	global_store_b32 v[4:5], v1, off
.LBB103_1639:
	s_and_not1_b32 vcc_lo, exec_lo, s16
	s_cbranch_vccnz .LBB103_1641
; %bb.1640:
	s_wait_xcnt 0x0
	v_mov_b32_e32 v1, 0
	global_store_b16 v[4:5], v1, off
.LBB103_1641:
	s_mov_b32 s16, 0
.LBB103_1642:
	s_delay_alu instid0(SALU_CYCLE_1)
	s_and_not1_b32 vcc_lo, exec_lo, s16
	s_cbranch_vccnz .LBB103_1644
; %bb.1643:
	s_wait_xcnt 0x0
	v_mov_b32_e32 v1, 0
	global_store_b8 v[4:5], v1, off
.LBB103_1644:
	s_mov_b32 s16, -1
.LBB103_1645:
	s_mov_b32 s18, 0
.LBB103_1646:
	s_delay_alu instid0(SALU_CYCLE_1)
	s_and_b32 vcc_lo, exec_lo, s18
	s_cbranch_vccz .LBB103_1664
; %bb.1647:
	s_cmp_gt_i32 s3, 22
	s_mov_b32 s17, -1
	s_cbranch_scc0 .LBB103_1657
; %bb.1648:
	s_cmp_lt_i32 s3, 24
	s_mov_b32 s16, -1
	s_cbranch_scc1 .LBB103_1654
; %bb.1649:
	s_cmp_gt_i32 s3, 24
	s_cbranch_scc0 .LBB103_1651
; %bb.1650:
	s_wait_xcnt 0x0
	v_mov_b32_e32 v1, 0
	s_mov_b32 s16, 0
	global_store_b8 v[4:5], v1, off
.LBB103_1651:
	s_and_not1_b32 vcc_lo, exec_lo, s16
	s_cbranch_vccnz .LBB103_1653
; %bb.1652:
	s_wait_xcnt 0x0
	v_mov_b32_e32 v1, 0
	global_store_b8 v[4:5], v1, off
.LBB103_1653:
	s_mov_b32 s16, 0
.LBB103_1654:
	s_delay_alu instid0(SALU_CYCLE_1)
	s_and_not1_b32 vcc_lo, exec_lo, s16
	s_cbranch_vccnz .LBB103_1656
; %bb.1655:
	s_wait_xcnt 0x0
	v_mov_b32_e32 v1, 0
	global_store_b8 v[4:5], v1, off
.LBB103_1656:
	s_mov_b32 s17, 0
	s_mov_b32 s16, -1
.LBB103_1657:
	s_and_not1_b32 vcc_lo, exec_lo, s17
	s_mov_b32 s17, 0
	s_cbranch_vccnz .LBB103_1664
; %bb.1658:
	s_cmp_gt_i32 s3, 14
	s_mov_b32 s17, -1
	s_cbranch_scc0 .LBB103_1662
; %bb.1659:
	s_cmp_eq_u32 s3, 15
	s_mov_b32 s8, -1
	s_cbranch_scc0 .LBB103_1661
; %bb.1660:
	s_wait_xcnt 0x0
	v_mov_b32_e32 v1, 0
	s_mov_b32 s8, 0
	s_mov_b32 s16, -1
	global_store_b16 v[4:5], v1, off
.LBB103_1661:
	s_mov_b32 s17, 0
.LBB103_1662:
	s_delay_alu instid0(SALU_CYCLE_1)
	s_and_b32 vcc_lo, exec_lo, s17
	s_mov_b32 s17, 0
	s_cbranch_vccz .LBB103_1664
; %bb.1663:
	s_cmp_lg_u32 s3, 11
	s_mov_b32 s17, -1
	s_cselect_b32 s8, -1, 0
.LBB103_1664:
	s_delay_alu instid0(SALU_CYCLE_1)
	s_and_b32 vcc_lo, exec_lo, s8
	s_cbranch_vccnz .LBB103_1901
; %bb.1665:
	s_and_not1_b32 vcc_lo, exec_lo, s17
	s_cbranch_vccnz .LBB103_1667
.LBB103_1666:
	s_wait_xcnt 0x0
	v_mov_b32_e32 v1, 0
	s_mov_b32 s16, -1
	global_store_b8 v[4:5], v1, off
.LBB103_1667:
	s_mov_b32 s8, 0
	s_branch .LBB103_1669
.LBB103_1668:
	s_mov_b32 s8, -1
	s_mov_b32 s16, 0
.LBB103_1669:
	s_and_b32 vcc_lo, exec_lo, s8
	s_cbranch_vccz .LBB103_1708
; %bb.1670:
	s_cmp_lt_i32 s3, 5
	s_mov_b32 s8, -1
	s_cbranch_scc1 .LBB103_1691
; %bb.1671:
	s_cmp_lt_i32 s3, 8
	s_cbranch_scc1 .LBB103_1681
; %bb.1672:
	s_cmp_lt_i32 s3, 9
	s_cbranch_scc1 .LBB103_1678
; %bb.1673:
	s_cmp_gt_i32 s3, 9
	s_cbranch_scc0 .LBB103_1675
; %bb.1674:
	s_wait_xcnt 0x0
	v_mov_b32_e32 v6, 0
	s_mov_b32 s8, 0
	s_delay_alu instid0(VALU_DEP_1)
	v_dual_mov_b32 v7, v6 :: v_dual_mov_b32 v8, v6
	v_mov_b32_e32 v9, v6
	global_store_b128 v[4:5], v[6:9], off
.LBB103_1675:
	s_and_not1_b32 vcc_lo, exec_lo, s8
	s_cbranch_vccnz .LBB103_1677
; %bb.1676:
	s_wait_xcnt 0x0
	v_mov_b64_e32 v[6:7], 0
	global_store_b64 v[4:5], v[6:7], off
.LBB103_1677:
	s_mov_b32 s8, 0
.LBB103_1678:
	s_delay_alu instid0(SALU_CYCLE_1)
	s_and_not1_b32 vcc_lo, exec_lo, s8
	s_cbranch_vccnz .LBB103_1680
; %bb.1679:
	s_wait_xcnt 0x0
	v_mov_b32_e32 v1, 0
	global_store_b32 v[4:5], v1, off
.LBB103_1680:
	s_mov_b32 s8, 0
.LBB103_1681:
	s_delay_alu instid0(SALU_CYCLE_1)
	s_and_not1_b32 vcc_lo, exec_lo, s8
	s_cbranch_vccnz .LBB103_1690
; %bb.1682:
	s_cmp_lt_i32 s3, 6
	s_mov_b32 s8, -1
	s_cbranch_scc1 .LBB103_1688
; %bb.1683:
	s_cmp_gt_i32 s3, 6
	s_cbranch_scc0 .LBB103_1685
; %bb.1684:
	s_wait_xcnt 0x0
	v_mov_b64_e32 v[6:7], 0
	s_mov_b32 s8, 0
	global_store_b64 v[4:5], v[6:7], off
.LBB103_1685:
	s_and_not1_b32 vcc_lo, exec_lo, s8
	s_cbranch_vccnz .LBB103_1687
; %bb.1686:
	s_wait_xcnt 0x0
	v_mov_b32_e32 v1, 0
	global_store_b32 v[4:5], v1, off
.LBB103_1687:
	s_mov_b32 s8, 0
.LBB103_1688:
	s_delay_alu instid0(SALU_CYCLE_1)
	s_and_not1_b32 vcc_lo, exec_lo, s8
	s_cbranch_vccnz .LBB103_1690
; %bb.1689:
	s_wait_xcnt 0x0
	v_mov_b32_e32 v1, 0
	global_store_b16 v[4:5], v1, off
.LBB103_1690:
	s_mov_b32 s8, 0
.LBB103_1691:
	s_delay_alu instid0(SALU_CYCLE_1)
	s_and_not1_b32 vcc_lo, exec_lo, s8
	s_cbranch_vccnz .LBB103_1707
; %bb.1692:
	s_cmp_lt_i32 s3, 2
	s_mov_b32 s8, -1
	s_cbranch_scc1 .LBB103_1702
; %bb.1693:
	s_cmp_lt_i32 s3, 3
	s_cbranch_scc1 .LBB103_1699
; %bb.1694:
	s_cmp_gt_i32 s3, 3
	s_cbranch_scc0 .LBB103_1696
; %bb.1695:
	s_wait_xcnt 0x0
	v_mov_b64_e32 v[6:7], 0
	s_mov_b32 s8, 0
	global_store_b64 v[4:5], v[6:7], off
.LBB103_1696:
	s_and_not1_b32 vcc_lo, exec_lo, s8
	s_cbranch_vccnz .LBB103_1698
; %bb.1697:
	s_wait_xcnt 0x0
	v_mov_b32_e32 v1, 0
	global_store_b32 v[4:5], v1, off
.LBB103_1698:
	s_mov_b32 s8, 0
.LBB103_1699:
	s_delay_alu instid0(SALU_CYCLE_1)
	s_and_not1_b32 vcc_lo, exec_lo, s8
	s_cbranch_vccnz .LBB103_1701
; %bb.1700:
	s_wait_xcnt 0x0
	v_mov_b32_e32 v1, 0
	global_store_b16 v[4:5], v1, off
.LBB103_1701:
	s_mov_b32 s8, 0
.LBB103_1702:
	s_delay_alu instid0(SALU_CYCLE_1)
	s_and_not1_b32 vcc_lo, exec_lo, s8
	s_cbranch_vccnz .LBB103_1707
; %bb.1703:
	s_cmp_gt_i32 s3, 0
	s_mov_b32 s8, -1
	s_cbranch_scc0 .LBB103_1705
; %bb.1704:
	s_wait_xcnt 0x0
	v_mov_b32_e32 v1, 0
	s_mov_b32 s8, 0
	global_store_b8 v[4:5], v1, off
.LBB103_1705:
	s_and_not1_b32 vcc_lo, exec_lo, s8
	s_cbranch_vccnz .LBB103_1707
; %bb.1706:
	s_wait_xcnt 0x0
	v_mov_b32_e32 v1, 0
	global_store_b8 v[4:5], v1, off
.LBB103_1707:
	s_mov_b32 s16, -1
.LBB103_1708:
	s_delay_alu instid0(SALU_CYCLE_1)
	s_and_not1_b32 vcc_lo, exec_lo, s16
	s_cbranch_vccnz .LBB103_1844
; %bb.1709:
	v_mov_b32_e32 v3, 0
	s_cmp_lt_i32 s3, 11
	s_delay_alu instid0(VALU_DEP_1)
	v_add_nc_u64_e32 v[2:3], s[4:5], v[2:3]
	s_cbranch_scc1 .LBB103_1757
; %bb.1710:
	s_mov_b32 s18, -1
	s_mov_b32 s17, 0
	s_cmp_gt_i32 s3, 25
	s_mov_b32 s16, 0
	s_mov_b32 s8, 0
	s_cbranch_scc0 .LBB103_1735
; %bb.1711:
	s_cmp_gt_i32 s3, 28
	s_cbranch_scc0 .LBB103_1724
; %bb.1712:
	s_cmp_gt_i32 s3, 43
	;; [unrolled: 3-line block ×3, first 2 shown]
	s_cbranch_scc0 .LBB103_1716
; %bb.1714:
	s_mov_b32 s8, -1
	s_mov_b32 s18, 0
	s_cmp_eq_u32 s3, 46
	s_cbranch_scc0 .LBB103_1716
; %bb.1715:
	s_wait_xcnt 0x0
	v_mov_b32_e32 v1, 0
	s_mov_b32 s8, 0
	s_mov_b32 s16, -1
	global_store_b32 v[2:3], v1, off
.LBB103_1716:
	s_and_b32 vcc_lo, exec_lo, s18
	s_cbranch_vccz .LBB103_1719
; %bb.1717:
	s_cmp_eq_u32 s3, 44
	s_mov_b32 s8, -1
	s_cbranch_scc0 .LBB103_1719
; %bb.1718:
	s_wait_xcnt 0x0
	v_mov_b32_e32 v1, 0
	s_mov_b32 s8, 0
	s_mov_b32 s16, -1
	global_store_b8 v[2:3], v1, off
.LBB103_1719:
	s_mov_b32 s18, 0
.LBB103_1720:
	s_delay_alu instid0(SALU_CYCLE_1)
	s_and_b32 vcc_lo, exec_lo, s18
	s_cbranch_vccz .LBB103_1723
; %bb.1721:
	s_cmp_eq_u32 s3, 29
	s_mov_b32 s8, -1
	s_cbranch_scc0 .LBB103_1723
; %bb.1722:
	s_wait_xcnt 0x0
	v_mov_b64_e32 v[4:5], 0
	s_mov_b32 s8, 0
	s_mov_b32 s16, -1
	global_store_b64 v[2:3], v[4:5], off
.LBB103_1723:
	s_mov_b32 s18, 0
.LBB103_1724:
	s_delay_alu instid0(SALU_CYCLE_1)
	s_and_b32 vcc_lo, exec_lo, s18
	s_cbranch_vccz .LBB103_1734
; %bb.1725:
	s_cmp_lt_i32 s3, 27
	s_mov_b32 s16, -1
	s_cbranch_scc1 .LBB103_1731
; %bb.1726:
	s_cmp_gt_i32 s3, 27
	s_cbranch_scc0 .LBB103_1728
; %bb.1727:
	s_wait_xcnt 0x0
	v_mov_b32_e32 v1, 0
	s_mov_b32 s16, 0
	global_store_b32 v[2:3], v1, off
.LBB103_1728:
	s_and_not1_b32 vcc_lo, exec_lo, s16
	s_cbranch_vccnz .LBB103_1730
; %bb.1729:
	s_wait_xcnt 0x0
	v_mov_b32_e32 v1, 0
	global_store_b16 v[2:3], v1, off
.LBB103_1730:
	s_mov_b32 s16, 0
.LBB103_1731:
	s_delay_alu instid0(SALU_CYCLE_1)
	s_and_not1_b32 vcc_lo, exec_lo, s16
	s_cbranch_vccnz .LBB103_1733
; %bb.1732:
	s_wait_xcnt 0x0
	v_mov_b32_e32 v1, 0
	global_store_b8 v[2:3], v1, off
.LBB103_1733:
	s_mov_b32 s16, -1
.LBB103_1734:
	s_mov_b32 s18, 0
.LBB103_1735:
	s_delay_alu instid0(SALU_CYCLE_1)
	s_and_b32 vcc_lo, exec_lo, s18
	s_cbranch_vccz .LBB103_1753
; %bb.1736:
	s_cmp_gt_i32 s3, 22
	s_mov_b32 s17, -1
	s_cbranch_scc0 .LBB103_1746
; %bb.1737:
	s_cmp_lt_i32 s3, 24
	s_mov_b32 s16, -1
	s_cbranch_scc1 .LBB103_1743
; %bb.1738:
	s_cmp_gt_i32 s3, 24
	s_cbranch_scc0 .LBB103_1740
; %bb.1739:
	s_wait_xcnt 0x0
	v_mov_b32_e32 v1, 0
	s_mov_b32 s16, 0
	global_store_b8 v[2:3], v1, off
.LBB103_1740:
	s_and_not1_b32 vcc_lo, exec_lo, s16
	s_cbranch_vccnz .LBB103_1742
; %bb.1741:
	s_wait_xcnt 0x0
	v_mov_b32_e32 v1, 0
	global_store_b8 v[2:3], v1, off
.LBB103_1742:
	s_mov_b32 s16, 0
.LBB103_1743:
	s_delay_alu instid0(SALU_CYCLE_1)
	s_and_not1_b32 vcc_lo, exec_lo, s16
	s_cbranch_vccnz .LBB103_1745
; %bb.1744:
	s_wait_xcnt 0x0
	v_mov_b32_e32 v1, 0
	global_store_b8 v[2:3], v1, off
.LBB103_1745:
	s_mov_b32 s17, 0
	s_mov_b32 s16, -1
.LBB103_1746:
	s_and_not1_b32 vcc_lo, exec_lo, s17
	s_mov_b32 s17, 0
	s_cbranch_vccnz .LBB103_1753
; %bb.1747:
	s_cmp_gt_i32 s3, 14
	s_mov_b32 s17, -1
	s_cbranch_scc0 .LBB103_1751
; %bb.1748:
	s_cmp_eq_u32 s3, 15
	s_mov_b32 s8, -1
	s_cbranch_scc0 .LBB103_1750
; %bb.1749:
	s_wait_xcnt 0x0
	v_mov_b32_e32 v1, 0
	s_mov_b32 s8, 0
	s_mov_b32 s16, -1
	global_store_b16 v[2:3], v1, off
.LBB103_1750:
	s_mov_b32 s17, 0
.LBB103_1751:
	s_delay_alu instid0(SALU_CYCLE_1)
	s_and_b32 vcc_lo, exec_lo, s17
	s_mov_b32 s17, 0
	s_cbranch_vccz .LBB103_1753
; %bb.1752:
	s_cmp_lg_u32 s3, 11
	s_mov_b32 s17, -1
	s_cselect_b32 s8, -1, 0
.LBB103_1753:
	s_delay_alu instid0(SALU_CYCLE_1)
	s_and_b32 vcc_lo, exec_lo, s8
	s_cbranch_vccnz .LBB103_1902
; %bb.1754:
	s_and_not1_b32 vcc_lo, exec_lo, s17
	s_cbranch_vccnz .LBB103_1756
.LBB103_1755:
	s_wait_xcnt 0x0
	v_mov_b32_e32 v1, 0
	s_mov_b32 s16, -1
	global_store_b8 v[2:3], v1, off
.LBB103_1756:
	s_mov_b32 s8, 0
	s_branch .LBB103_1758
.LBB103_1757:
	s_mov_b32 s8, -1
	s_mov_b32 s16, 0
.LBB103_1758:
	s_and_b32 vcc_lo, exec_lo, s8
	s_cbranch_vccz .LBB103_1797
; %bb.1759:
	s_cmp_lt_i32 s3, 5
	s_mov_b32 s8, -1
	s_cbranch_scc1 .LBB103_1780
; %bb.1760:
	s_cmp_lt_i32 s3, 8
	s_cbranch_scc1 .LBB103_1770
; %bb.1761:
	s_cmp_lt_i32 s3, 9
	s_cbranch_scc1 .LBB103_1767
; %bb.1762:
	s_cmp_gt_i32 s3, 9
	s_cbranch_scc0 .LBB103_1764
; %bb.1763:
	s_wait_xcnt 0x0
	v_mov_b32_e32 v4, 0
	s_mov_b32 s8, 0
	s_delay_alu instid0(VALU_DEP_1)
	v_dual_mov_b32 v5, v4 :: v_dual_mov_b32 v6, v4
	v_mov_b32_e32 v7, v4
	global_store_b128 v[2:3], v[4:7], off
.LBB103_1764:
	s_and_not1_b32 vcc_lo, exec_lo, s8
	s_cbranch_vccnz .LBB103_1766
; %bb.1765:
	s_wait_xcnt 0x0
	v_mov_b64_e32 v[4:5], 0
	global_store_b64 v[2:3], v[4:5], off
.LBB103_1766:
	s_mov_b32 s8, 0
.LBB103_1767:
	s_delay_alu instid0(SALU_CYCLE_1)
	s_and_not1_b32 vcc_lo, exec_lo, s8
	s_cbranch_vccnz .LBB103_1769
; %bb.1768:
	s_wait_xcnt 0x0
	v_mov_b32_e32 v1, 0
	global_store_b32 v[2:3], v1, off
.LBB103_1769:
	s_mov_b32 s8, 0
.LBB103_1770:
	s_delay_alu instid0(SALU_CYCLE_1)
	s_and_not1_b32 vcc_lo, exec_lo, s8
	s_cbranch_vccnz .LBB103_1779
; %bb.1771:
	s_cmp_lt_i32 s3, 6
	s_mov_b32 s8, -1
	s_cbranch_scc1 .LBB103_1777
; %bb.1772:
	s_cmp_gt_i32 s3, 6
	s_cbranch_scc0 .LBB103_1774
; %bb.1773:
	s_wait_xcnt 0x0
	v_mov_b64_e32 v[4:5], 0
	s_mov_b32 s8, 0
	global_store_b64 v[2:3], v[4:5], off
.LBB103_1774:
	s_and_not1_b32 vcc_lo, exec_lo, s8
	s_cbranch_vccnz .LBB103_1776
; %bb.1775:
	s_wait_xcnt 0x0
	v_mov_b32_e32 v1, 0
	global_store_b32 v[2:3], v1, off
.LBB103_1776:
	s_mov_b32 s8, 0
.LBB103_1777:
	s_delay_alu instid0(SALU_CYCLE_1)
	s_and_not1_b32 vcc_lo, exec_lo, s8
	s_cbranch_vccnz .LBB103_1779
; %bb.1778:
	s_wait_xcnt 0x0
	v_mov_b32_e32 v1, 0
	global_store_b16 v[2:3], v1, off
.LBB103_1779:
	s_mov_b32 s8, 0
.LBB103_1780:
	s_delay_alu instid0(SALU_CYCLE_1)
	s_and_not1_b32 vcc_lo, exec_lo, s8
	s_cbranch_vccnz .LBB103_1796
; %bb.1781:
	s_cmp_lt_i32 s3, 2
	s_mov_b32 s8, -1
	s_cbranch_scc1 .LBB103_1791
; %bb.1782:
	s_cmp_lt_i32 s3, 3
	s_cbranch_scc1 .LBB103_1788
; %bb.1783:
	s_cmp_gt_i32 s3, 3
	s_cbranch_scc0 .LBB103_1785
; %bb.1784:
	s_wait_xcnt 0x0
	v_mov_b64_e32 v[4:5], 0
	s_mov_b32 s8, 0
	global_store_b64 v[2:3], v[4:5], off
.LBB103_1785:
	s_and_not1_b32 vcc_lo, exec_lo, s8
	s_cbranch_vccnz .LBB103_1787
; %bb.1786:
	s_wait_xcnt 0x0
	v_mov_b32_e32 v1, 0
	global_store_b32 v[2:3], v1, off
.LBB103_1787:
	s_mov_b32 s8, 0
.LBB103_1788:
	s_delay_alu instid0(SALU_CYCLE_1)
	s_and_not1_b32 vcc_lo, exec_lo, s8
	s_cbranch_vccnz .LBB103_1790
; %bb.1789:
	s_wait_xcnt 0x0
	v_mov_b32_e32 v1, 0
	global_store_b16 v[2:3], v1, off
.LBB103_1790:
	s_mov_b32 s8, 0
.LBB103_1791:
	s_delay_alu instid0(SALU_CYCLE_1)
	s_and_not1_b32 vcc_lo, exec_lo, s8
	s_cbranch_vccnz .LBB103_1796
; %bb.1792:
	s_cmp_gt_i32 s3, 0
	s_mov_b32 s8, -1
	s_cbranch_scc0 .LBB103_1794
; %bb.1793:
	s_wait_xcnt 0x0
	v_mov_b32_e32 v1, 0
	s_mov_b32 s8, 0
	global_store_b8 v[2:3], v1, off
.LBB103_1794:
	s_and_not1_b32 vcc_lo, exec_lo, s8
	s_cbranch_vccnz .LBB103_1796
; %bb.1795:
	s_wait_xcnt 0x0
	v_mov_b32_e32 v1, 0
	global_store_b8 v[2:3], v1, off
.LBB103_1796:
	s_mov_b32 s16, -1
.LBB103_1797:
	s_delay_alu instid0(SALU_CYCLE_1)
	s_and_not1_b32 vcc_lo, exec_lo, s16
	s_cbranch_vccnz .LBB103_1844
; %bb.1798:
	s_wait_xcnt 0x0
	v_mov_b32_e32 v1, 0
	s_cmp_lt_i32 s3, 11
	s_delay_alu instid0(VALU_DEP_1)
	v_add_nc_u64_e32 v[14:15], s[4:5], v[0:1]
	s_cbranch_scc1 .LBB103_1898
; %bb.1799:
	s_mov_b32 s8, -1
	s_mov_b32 s4, 0
	s_cmp_gt_i32 s3, 25
	s_mov_b32 s5, 0
	s_cbranch_scc0 .LBB103_1824
; %bb.1800:
	s_cmp_gt_i32 s3, 28
	s_cbranch_scc0 .LBB103_1814
; %bb.1801:
	s_cmp_gt_i32 s3, 43
	s_cbranch_scc0 .LBB103_1810
; %bb.1802:
	s_cmp_gt_i32 s3, 45
	s_cbranch_scc0 .LBB103_1806
; %bb.1803:
	s_cmp_eq_u32 s3, 46
	s_mov_b32 s5, -1
	s_cbranch_scc0 .LBB103_1805
; %bb.1804:
	v_mov_b32_e32 v0, 0
	s_mov_b32 s5, 0
	global_store_b32 v[14:15], v0, off
.LBB103_1805:
	s_mov_b32 s8, 0
.LBB103_1806:
	s_delay_alu instid0(SALU_CYCLE_1)
	s_and_b32 vcc_lo, exec_lo, s8
	s_cbranch_vccz .LBB103_1809
; %bb.1807:
	s_cmp_eq_u32 s3, 44
	s_mov_b32 s5, -1
	s_cbranch_scc0 .LBB103_1809
; %bb.1808:
	s_wait_xcnt 0x0
	v_mov_b32_e32 v0, 0
	s_mov_b32 s5, 0
	global_store_b8 v[14:15], v0, off
.LBB103_1809:
	s_mov_b32 s8, 0
.LBB103_1810:
	s_delay_alu instid0(SALU_CYCLE_1)
	s_and_b32 vcc_lo, exec_lo, s8
	s_cbranch_vccz .LBB103_1813
; %bb.1811:
	s_cmp_eq_u32 s3, 29
	s_mov_b32 s5, -1
	s_cbranch_scc0 .LBB103_1813
; %bb.1812:
	s_wait_xcnt 0x0
	v_mov_b64_e32 v[0:1], 0
	s_mov_b32 s5, 0
	global_store_b64 v[14:15], v[0:1], off
.LBB103_1813:
	s_mov_b32 s8, 0
.LBB103_1814:
	s_delay_alu instid0(SALU_CYCLE_1)
	s_and_b32 vcc_lo, exec_lo, s8
	s_cbranch_vccz .LBB103_1823
; %bb.1815:
	s_cmp_lt_i32 s3, 27
	s_mov_b32 s8, -1
	s_cbranch_scc1 .LBB103_1821
; %bb.1816:
	s_cmp_gt_i32 s3, 27
	s_cbranch_scc0 .LBB103_1818
; %bb.1817:
	s_wait_xcnt 0x0
	v_mov_b32_e32 v0, 0
	s_mov_b32 s8, 0
	global_store_b32 v[14:15], v0, off
.LBB103_1818:
	s_and_not1_b32 vcc_lo, exec_lo, s8
	s_cbranch_vccnz .LBB103_1820
; %bb.1819:
	s_wait_xcnt 0x0
	v_mov_b32_e32 v0, 0
	global_store_b16 v[14:15], v0, off
.LBB103_1820:
	s_mov_b32 s8, 0
.LBB103_1821:
	s_delay_alu instid0(SALU_CYCLE_1)
	s_and_not1_b32 vcc_lo, exec_lo, s8
	s_cbranch_vccnz .LBB103_1823
; %bb.1822:
	s_wait_xcnt 0x0
	v_mov_b32_e32 v0, 0
	global_store_b8 v[14:15], v0, off
.LBB103_1823:
	s_mov_b32 s8, 0
.LBB103_1824:
	s_delay_alu instid0(SALU_CYCLE_1)
	s_and_b32 vcc_lo, exec_lo, s8
	s_cbranch_vccz .LBB103_1842
; %bb.1825:
	s_cmp_gt_i32 s3, 22
	s_mov_b32 s4, -1
	s_cbranch_scc0 .LBB103_1835
; %bb.1826:
	s_cmp_lt_i32 s3, 24
	s_cbranch_scc1 .LBB103_1832
; %bb.1827:
	s_cmp_gt_i32 s3, 24
	s_cbranch_scc0 .LBB103_1829
; %bb.1828:
	s_wait_xcnt 0x0
	v_mov_b32_e32 v0, 0
	s_mov_b32 s4, 0
	global_store_b8 v[14:15], v0, off
.LBB103_1829:
	s_and_not1_b32 vcc_lo, exec_lo, s4
	s_cbranch_vccnz .LBB103_1831
; %bb.1830:
	s_wait_xcnt 0x0
	v_mov_b32_e32 v0, 0
	global_store_b8 v[14:15], v0, off
.LBB103_1831:
	s_mov_b32 s4, 0
.LBB103_1832:
	s_delay_alu instid0(SALU_CYCLE_1)
	s_and_not1_b32 vcc_lo, exec_lo, s4
	s_cbranch_vccnz .LBB103_1834
; %bb.1833:
	s_wait_xcnt 0x0
	v_mov_b32_e32 v0, 0
	global_store_b8 v[14:15], v0, off
.LBB103_1834:
	s_mov_b32 s4, 0
.LBB103_1835:
	s_delay_alu instid0(SALU_CYCLE_1)
	s_and_not1_b32 vcc_lo, exec_lo, s4
	s_mov_b32 s4, 0
	s_cbranch_vccnz .LBB103_1842
; %bb.1836:
	s_cmp_gt_i32 s3, 14
	s_mov_b32 s4, -1
	s_cbranch_scc0 .LBB103_1840
; %bb.1837:
	s_cmp_eq_u32 s3, 15
	s_mov_b32 s5, -1
	s_cbranch_scc0 .LBB103_1839
; %bb.1838:
	s_wait_xcnt 0x0
	v_mov_b32_e32 v0, 0
	s_mov_b32 s5, 0
	global_store_b16 v[14:15], v0, off
.LBB103_1839:
	s_mov_b32 s4, 0
.LBB103_1840:
	s_delay_alu instid0(SALU_CYCLE_1)
	s_and_b32 vcc_lo, exec_lo, s4
	s_mov_b32 s4, 0
	s_cbranch_vccz .LBB103_1842
; %bb.1841:
	s_cmp_lg_u32 s3, 11
	s_mov_b32 s4, -1
	s_cselect_b32 s5, -1, 0
.LBB103_1842:
	s_delay_alu instid0(SALU_CYCLE_1)
	s_and_b32 vcc_lo, exec_lo, s5
	s_cbranch_vccnz .LBB103_1904
.LBB103_1843:
	s_mov_b32 s3, 0
	s_branch .LBB103_1845
.LBB103_1844:
	s_mov_b32 s3, 0
	s_mov_b32 s4, 0
                                        ; implicit-def: $vgpr14_vgpr15
                                        ; implicit-def: $sgpr0
.LBB103_1845:
	s_and_b32 s16, s3, exec_lo
	s_and_not1_b32 s3, s6, exec_lo
	s_and_b32 s2, s2, exec_lo
	s_and_b32 s8, s4, exec_lo
	s_or_b32 s6, s3, s2
.LBB103_1846:
	s_wait_xcnt 0x0
	s_or_b32 exec_lo, exec_lo, s7
.LBB103_1847:
	s_delay_alu instid0(SALU_CYCLE_1)
	s_and_not1_b32 s2, s14, exec_lo
	s_and_b32 s3, s6, exec_lo
	s_and_b32 s19, s16, exec_lo
	;; [unrolled: 1-line block ×3, first 2 shown]
	s_or_b32 s14, s2, s3
.LBB103_1848:
	s_wait_xcnt 0x0
	s_or_b32 exec_lo, exec_lo, s15
.LBB103_1849:
	s_delay_alu instid0(SALU_CYCLE_1)
	s_and_not1_b32 s2, s12, exec_lo
	s_and_b32 s3, s14, exec_lo
	s_and_b32 s15, s19, exec_lo
	;; [unrolled: 1-line block ×3, first 2 shown]
	s_or_b32 s12, s2, s3
.LBB103_1850:
	s_wait_xcnt 0x0
	s_or_b32 exec_lo, exec_lo, s13
.LBB103_1851:
	s_delay_alu instid0(SALU_CYCLE_1)
	s_and_not1_b32 s1, s1, exec_lo
	s_and_b32 s2, s12, exec_lo
	s_and_b32 s15, s15, exec_lo
	;; [unrolled: 1-line block ×3, first 2 shown]
	s_or_b32 s1, s1, s2
.LBB103_1852:
	s_wait_xcnt 0x0
	s_or_b32 exec_lo, exec_lo, s9
.LBB103_1853:
	s_delay_alu instid0(SALU_CYCLE_1)
	s_and_not1_b32 s2, s10, exec_lo
	s_and_b32 s1, s1, exec_lo
	s_and_b32 s4, s15, exec_lo
	;; [unrolled: 1-line block ×3, first 2 shown]
	s_or_b32 s10, s2, s1
.LBB103_1854:
	s_wait_xcnt 0x0
	s_or_b32 exec_lo, exec_lo, s11
	s_and_saveexec_b32 s1, s10
	s_cbranch_execz .LBB103_1857
; %bb.1855:
	; divergent unreachable
	s_or_b32 exec_lo, exec_lo, s1
	s_and_saveexec_b32 s1, s30
	s_delay_alu instid0(SALU_CYCLE_1)
	s_xor_b32 s1, exec_lo, s1
	s_cbranch_execnz .LBB103_1858
.LBB103_1856:
	s_or_b32 exec_lo, exec_lo, s1
	s_and_saveexec_b32 s1, s4
	s_cbranch_execnz .LBB103_1859
	s_branch .LBB103_1896
.LBB103_1857:
	s_or_b32 exec_lo, exec_lo, s1
	s_and_saveexec_b32 s1, s30
	s_delay_alu instid0(SALU_CYCLE_1)
	s_xor_b32 s1, exec_lo, s1
	s_cbranch_execz .LBB103_1856
.LBB103_1858:
	v_mov_b32_e32 v0, 0
	global_store_b8 v[14:15], v0, off
	s_wait_xcnt 0x0
	s_or_b32 exec_lo, exec_lo, s1
	s_and_saveexec_b32 s1, s4
	s_cbranch_execz .LBB103_1896
.LBB103_1859:
	s_sext_i32_i16 s2, s0
	s_mov_b32 s1, -1
	s_cmp_lt_i32 s2, 5
	s_cbranch_scc1 .LBB103_1880
; %bb.1860:
	s_cmp_lt_i32 s2, 8
	s_cbranch_scc1 .LBB103_1870
; %bb.1861:
	;; [unrolled: 3-line block ×3, first 2 shown]
	s_cmp_gt_i32 s2, 9
	s_cbranch_scc0 .LBB103_1864
; %bb.1863:
	v_mov_b32_e32 v0, 0
	s_mov_b32 s1, 0
	s_wait_loadcnt 0x0
	s_delay_alu instid0(VALU_DEP_1)
	v_dual_mov_b32 v1, v0 :: v_dual_mov_b32 v2, v0
	v_mov_b32_e32 v3, v0
	global_store_b128 v[14:15], v[0:3], off
.LBB103_1864:
	s_and_not1_b32 vcc_lo, exec_lo, s1
	s_cbranch_vccnz .LBB103_1866
; %bb.1865:
	s_wait_loadcnt 0x0
	v_mov_b64_e32 v[0:1], 0
	global_store_b64 v[14:15], v[0:1], off
.LBB103_1866:
	s_mov_b32 s1, 0
.LBB103_1867:
	s_delay_alu instid0(SALU_CYCLE_1)
	s_and_not1_b32 vcc_lo, exec_lo, s1
	s_cbranch_vccnz .LBB103_1869
; %bb.1868:
	s_wait_xcnt 0x0
	v_mov_b32_e32 v0, 0
	global_store_b32 v[14:15], v0, off
.LBB103_1869:
	s_mov_b32 s1, 0
.LBB103_1870:
	s_delay_alu instid0(SALU_CYCLE_1)
	s_and_not1_b32 vcc_lo, exec_lo, s1
	s_cbranch_vccnz .LBB103_1879
; %bb.1871:
	s_sext_i32_i16 s2, s0
	s_mov_b32 s1, -1
	s_cmp_lt_i32 s2, 6
	s_cbranch_scc1 .LBB103_1877
; %bb.1872:
	s_cmp_gt_i32 s2, 6
	s_cbranch_scc0 .LBB103_1874
; %bb.1873:
	s_wait_loadcnt 0x0
	v_mov_b64_e32 v[0:1], 0
	s_mov_b32 s1, 0
	global_store_b64 v[14:15], v[0:1], off
.LBB103_1874:
	s_and_not1_b32 vcc_lo, exec_lo, s1
	s_cbranch_vccnz .LBB103_1876
; %bb.1875:
	s_wait_xcnt 0x0
	v_mov_b32_e32 v0, 0
	global_store_b32 v[14:15], v0, off
.LBB103_1876:
	s_mov_b32 s1, 0
.LBB103_1877:
	s_delay_alu instid0(SALU_CYCLE_1)
	s_and_not1_b32 vcc_lo, exec_lo, s1
	s_cbranch_vccnz .LBB103_1879
; %bb.1878:
	s_wait_xcnt 0x0
	v_mov_b32_e32 v0, 0
	global_store_b16 v[14:15], v0, off
.LBB103_1879:
	s_mov_b32 s1, 0
.LBB103_1880:
	s_delay_alu instid0(SALU_CYCLE_1)
	s_and_not1_b32 vcc_lo, exec_lo, s1
	s_cbranch_vccnz .LBB103_1896
; %bb.1881:
	s_sext_i32_i16 s2, s0
	s_mov_b32 s1, -1
	s_cmp_lt_i32 s2, 2
	s_cbranch_scc1 .LBB103_1891
; %bb.1882:
	s_cmp_lt_i32 s2, 3
	s_cbranch_scc1 .LBB103_1888
; %bb.1883:
	s_cmp_gt_i32 s2, 3
	s_cbranch_scc0 .LBB103_1885
; %bb.1884:
	s_wait_loadcnt 0x0
	v_mov_b64_e32 v[0:1], 0
	s_mov_b32 s1, 0
	global_store_b64 v[14:15], v[0:1], off
.LBB103_1885:
	s_and_not1_b32 vcc_lo, exec_lo, s1
	s_cbranch_vccnz .LBB103_1887
; %bb.1886:
	s_wait_xcnt 0x0
	v_mov_b32_e32 v0, 0
	global_store_b32 v[14:15], v0, off
.LBB103_1887:
	s_mov_b32 s1, 0
.LBB103_1888:
	s_delay_alu instid0(SALU_CYCLE_1)
	s_and_not1_b32 vcc_lo, exec_lo, s1
	s_cbranch_vccnz .LBB103_1890
; %bb.1889:
	s_wait_xcnt 0x0
	v_mov_b32_e32 v0, 0
	global_store_b16 v[14:15], v0, off
.LBB103_1890:
	s_mov_b32 s1, 0
.LBB103_1891:
	s_delay_alu instid0(SALU_CYCLE_1)
	s_and_not1_b32 vcc_lo, exec_lo, s1
	s_cbranch_vccnz .LBB103_1896
; %bb.1892:
	s_sext_i32_i16 s0, s0
	s_delay_alu instid0(SALU_CYCLE_1)
	s_cmp_gt_i32 s0, 0
	s_mov_b32 s0, -1
	s_cbranch_scc0 .LBB103_1894
; %bb.1893:
	s_wait_xcnt 0x0
	v_mov_b32_e32 v0, 0
	s_mov_b32 s0, 0
	global_store_b8 v[14:15], v0, off
.LBB103_1894:
	s_and_not1_b32 vcc_lo, exec_lo, s0
	s_cbranch_vccnz .LBB103_1896
; %bb.1895:
	s_wait_xcnt 0x0
	v_mov_b32_e32 v0, 0
	global_store_b8 v[14:15], v0, off
	s_endpgm
.LBB103_1896:
	s_endpgm
.LBB103_1897:
	s_or_b32 s6, s14, exec_lo
	s_trap 2
	s_cbranch_execz .LBB103_1476
	s_branch .LBB103_1477
.LBB103_1898:
	s_mov_b32 s4, 0
	s_mov_b32 s3, -1
	s_branch .LBB103_1845
.LBB103_1899:
	s_or_b32 s2, s6, exec_lo
	s_trap 2
	s_cbranch_execz .LBB103_1576
	s_branch .LBB103_1577
.LBB103_1900:
	s_or_b32 s12, s12, exec_lo
	s_trap 2
                                        ; implicit-def: $vgpr10
                                        ; implicit-def: $vgpr8
                                        ; implicit-def: $vgpr0
                                        ; implicit-def: $vgpr6
                                        ; implicit-def: $vgpr4
                                        ; implicit-def: $vgpr2
	s_branch .LBB103_1043
.LBB103_1901:
	s_or_b32 s2, s2, exec_lo
	s_trap 2
	s_cbranch_execz .LBB103_1666
	s_branch .LBB103_1667
.LBB103_1902:
	s_or_b32 s2, s2, exec_lo
	s_trap 2
	s_cbranch_execz .LBB103_1755
	s_branch .LBB103_1756
.LBB103_1903:
	s_or_b32 s14, s14, exec_lo
	s_trap 2
                                        ; implicit-def: $vgpr8
                                        ; implicit-def: $vgpr0
                                        ; implicit-def: $vgpr6
                                        ; implicit-def: $vgpr4
                                        ; implicit-def: $vgpr2
	s_branch .LBB103_1398
.LBB103_1904:
	s_mov_b32 s4, 0
	s_or_b32 s2, s2, exec_lo
	s_trap 2
	s_branch .LBB103_1843
.LBB103_1905:
	s_or_b32 s6, s6, exec_lo
	s_trap 2
                                        ; implicit-def: $vgpr0
                                        ; implicit-def: $vgpr6
                                        ; implicit-def: $vgpr4
                                        ; implicit-def: $vgpr2
	s_branch .LBB103_1529
	.section	.rodata,"a",@progbits
	.p2align	6, 0x0
	.amdhsa_kernel _ZN2at6native32elementwise_kernel_manual_unrollILi128ELi4EZNS0_15gpu_kernel_implIZZZNS0_12_GLOBAL__N_142_validate_compressed_sparse_indices_kernelILNS3_8CDimNameE1ENS3_18CUDAKernelLauncherENS3_14EmptyVecKernelENS3_8DummyVecELm0EEEvRKNS_6TensorESB_lllENKUlvE0_clEvENKUlvE_clEvEUliE_EEvRNS_18TensorIteratorBaseERKT_EUlibE0_EEviT1_
		.amdhsa_group_segment_fixed_size 0
		.amdhsa_private_segment_fixed_size 0
		.amdhsa_kernarg_size 376
		.amdhsa_user_sgpr_count 2
		.amdhsa_user_sgpr_dispatch_ptr 0
		.amdhsa_user_sgpr_queue_ptr 0
		.amdhsa_user_sgpr_kernarg_segment_ptr 1
		.amdhsa_user_sgpr_dispatch_id 0
		.amdhsa_user_sgpr_kernarg_preload_length 0
		.amdhsa_user_sgpr_kernarg_preload_offset 0
		.amdhsa_user_sgpr_private_segment_size 0
		.amdhsa_wavefront_size32 1
		.amdhsa_uses_dynamic_stack 0
		.amdhsa_enable_private_segment 0
		.amdhsa_system_sgpr_workgroup_id_x 1
		.amdhsa_system_sgpr_workgroup_id_y 0
		.amdhsa_system_sgpr_workgroup_id_z 0
		.amdhsa_system_sgpr_workgroup_info 0
		.amdhsa_system_vgpr_workitem_id 0
		.amdhsa_next_free_vgpr 18
		.amdhsa_next_free_sgpr 72
		.amdhsa_named_barrier_count 0
		.amdhsa_reserve_vcc 1
		.amdhsa_float_round_mode_32 0
		.amdhsa_float_round_mode_16_64 0
		.amdhsa_float_denorm_mode_32 3
		.amdhsa_float_denorm_mode_16_64 3
		.amdhsa_fp16_overflow 0
		.amdhsa_memory_ordered 1
		.amdhsa_forward_progress 1
		.amdhsa_inst_pref_size 255
		.amdhsa_round_robin_scheduling 0
		.amdhsa_exception_fp_ieee_invalid_op 0
		.amdhsa_exception_fp_denorm_src 0
		.amdhsa_exception_fp_ieee_div_zero 0
		.amdhsa_exception_fp_ieee_overflow 0
		.amdhsa_exception_fp_ieee_underflow 0
		.amdhsa_exception_fp_ieee_inexact 0
		.amdhsa_exception_int_div_zero 0
	.end_amdhsa_kernel
	.section	.text._ZN2at6native32elementwise_kernel_manual_unrollILi128ELi4EZNS0_15gpu_kernel_implIZZZNS0_12_GLOBAL__N_142_validate_compressed_sparse_indices_kernelILNS3_8CDimNameE1ENS3_18CUDAKernelLauncherENS3_14EmptyVecKernelENS3_8DummyVecELm0EEEvRKNS_6TensorESB_lllENKUlvE0_clEvENKUlvE_clEvEUliE_EEvRNS_18TensorIteratorBaseERKT_EUlibE0_EEviT1_,"axG",@progbits,_ZN2at6native32elementwise_kernel_manual_unrollILi128ELi4EZNS0_15gpu_kernel_implIZZZNS0_12_GLOBAL__N_142_validate_compressed_sparse_indices_kernelILNS3_8CDimNameE1ENS3_18CUDAKernelLauncherENS3_14EmptyVecKernelENS3_8DummyVecELm0EEEvRKNS_6TensorESB_lllENKUlvE0_clEvENKUlvE_clEvEUliE_EEvRNS_18TensorIteratorBaseERKT_EUlibE0_EEviT1_,comdat
.Lfunc_end103:
	.size	_ZN2at6native32elementwise_kernel_manual_unrollILi128ELi4EZNS0_15gpu_kernel_implIZZZNS0_12_GLOBAL__N_142_validate_compressed_sparse_indices_kernelILNS3_8CDimNameE1ENS3_18CUDAKernelLauncherENS3_14EmptyVecKernelENS3_8DummyVecELm0EEEvRKNS_6TensorESB_lllENKUlvE0_clEvENKUlvE_clEvEUliE_EEvRNS_18TensorIteratorBaseERKT_EUlibE0_EEviT1_, .Lfunc_end103-_ZN2at6native32elementwise_kernel_manual_unrollILi128ELi4EZNS0_15gpu_kernel_implIZZZNS0_12_GLOBAL__N_142_validate_compressed_sparse_indices_kernelILNS3_8CDimNameE1ENS3_18CUDAKernelLauncherENS3_14EmptyVecKernelENS3_8DummyVecELm0EEEvRKNS_6TensorESB_lllENKUlvE0_clEvENKUlvE_clEvEUliE_EEvRNS_18TensorIteratorBaseERKT_EUlibE0_EEviT1_
                                        ; -- End function
	.set _ZN2at6native32elementwise_kernel_manual_unrollILi128ELi4EZNS0_15gpu_kernel_implIZZZNS0_12_GLOBAL__N_142_validate_compressed_sparse_indices_kernelILNS3_8CDimNameE1ENS3_18CUDAKernelLauncherENS3_14EmptyVecKernelENS3_8DummyVecELm0EEEvRKNS_6TensorESB_lllENKUlvE0_clEvENKUlvE_clEvEUliE_EEvRNS_18TensorIteratorBaseERKT_EUlibE0_EEviT1_.num_vgpr, 18
	.set _ZN2at6native32elementwise_kernel_manual_unrollILi128ELi4EZNS0_15gpu_kernel_implIZZZNS0_12_GLOBAL__N_142_validate_compressed_sparse_indices_kernelILNS3_8CDimNameE1ENS3_18CUDAKernelLauncherENS3_14EmptyVecKernelENS3_8DummyVecELm0EEEvRKNS_6TensorESB_lllENKUlvE0_clEvENKUlvE_clEvEUliE_EEvRNS_18TensorIteratorBaseERKT_EUlibE0_EEviT1_.num_agpr, 0
	.set _ZN2at6native32elementwise_kernel_manual_unrollILi128ELi4EZNS0_15gpu_kernel_implIZZZNS0_12_GLOBAL__N_142_validate_compressed_sparse_indices_kernelILNS3_8CDimNameE1ENS3_18CUDAKernelLauncherENS3_14EmptyVecKernelENS3_8DummyVecELm0EEEvRKNS_6TensorESB_lllENKUlvE0_clEvENKUlvE_clEvEUliE_EEvRNS_18TensorIteratorBaseERKT_EUlibE0_EEviT1_.numbered_sgpr, 72
	.set _ZN2at6native32elementwise_kernel_manual_unrollILi128ELi4EZNS0_15gpu_kernel_implIZZZNS0_12_GLOBAL__N_142_validate_compressed_sparse_indices_kernelILNS3_8CDimNameE1ENS3_18CUDAKernelLauncherENS3_14EmptyVecKernelENS3_8DummyVecELm0EEEvRKNS_6TensorESB_lllENKUlvE0_clEvENKUlvE_clEvEUliE_EEvRNS_18TensorIteratorBaseERKT_EUlibE0_EEviT1_.num_named_barrier, 0
	.set _ZN2at6native32elementwise_kernel_manual_unrollILi128ELi4EZNS0_15gpu_kernel_implIZZZNS0_12_GLOBAL__N_142_validate_compressed_sparse_indices_kernelILNS3_8CDimNameE1ENS3_18CUDAKernelLauncherENS3_14EmptyVecKernelENS3_8DummyVecELm0EEEvRKNS_6TensorESB_lllENKUlvE0_clEvENKUlvE_clEvEUliE_EEvRNS_18TensorIteratorBaseERKT_EUlibE0_EEviT1_.private_seg_size, 0
	.set _ZN2at6native32elementwise_kernel_manual_unrollILi128ELi4EZNS0_15gpu_kernel_implIZZZNS0_12_GLOBAL__N_142_validate_compressed_sparse_indices_kernelILNS3_8CDimNameE1ENS3_18CUDAKernelLauncherENS3_14EmptyVecKernelENS3_8DummyVecELm0EEEvRKNS_6TensorESB_lllENKUlvE0_clEvENKUlvE_clEvEUliE_EEvRNS_18TensorIteratorBaseERKT_EUlibE0_EEviT1_.uses_vcc, 1
	.set _ZN2at6native32elementwise_kernel_manual_unrollILi128ELi4EZNS0_15gpu_kernel_implIZZZNS0_12_GLOBAL__N_142_validate_compressed_sparse_indices_kernelILNS3_8CDimNameE1ENS3_18CUDAKernelLauncherENS3_14EmptyVecKernelENS3_8DummyVecELm0EEEvRKNS_6TensorESB_lllENKUlvE0_clEvENKUlvE_clEvEUliE_EEvRNS_18TensorIteratorBaseERKT_EUlibE0_EEviT1_.uses_flat_scratch, 0
	.set _ZN2at6native32elementwise_kernel_manual_unrollILi128ELi4EZNS0_15gpu_kernel_implIZZZNS0_12_GLOBAL__N_142_validate_compressed_sparse_indices_kernelILNS3_8CDimNameE1ENS3_18CUDAKernelLauncherENS3_14EmptyVecKernelENS3_8DummyVecELm0EEEvRKNS_6TensorESB_lllENKUlvE0_clEvENKUlvE_clEvEUliE_EEvRNS_18TensorIteratorBaseERKT_EUlibE0_EEviT1_.has_dyn_sized_stack, 0
	.set _ZN2at6native32elementwise_kernel_manual_unrollILi128ELi4EZNS0_15gpu_kernel_implIZZZNS0_12_GLOBAL__N_142_validate_compressed_sparse_indices_kernelILNS3_8CDimNameE1ENS3_18CUDAKernelLauncherENS3_14EmptyVecKernelENS3_8DummyVecELm0EEEvRKNS_6TensorESB_lllENKUlvE0_clEvENKUlvE_clEvEUliE_EEvRNS_18TensorIteratorBaseERKT_EUlibE0_EEviT1_.has_recursion, 0
	.set _ZN2at6native32elementwise_kernel_manual_unrollILi128ELi4EZNS0_15gpu_kernel_implIZZZNS0_12_GLOBAL__N_142_validate_compressed_sparse_indices_kernelILNS3_8CDimNameE1ENS3_18CUDAKernelLauncherENS3_14EmptyVecKernelENS3_8DummyVecELm0EEEvRKNS_6TensorESB_lllENKUlvE0_clEvENKUlvE_clEvEUliE_EEvRNS_18TensorIteratorBaseERKT_EUlibE0_EEviT1_.has_indirect_call, 0
	.section	.AMDGPU.csdata,"",@progbits
; Kernel info:
; codeLenInByte = 33916
; TotalNumSgprs: 74
; NumVgprs: 18
; ScratchSize: 0
; MemoryBound: 1
; FloatMode: 240
; IeeeMode: 1
; LDSByteSize: 0 bytes/workgroup (compile time only)
; SGPRBlocks: 0
; VGPRBlocks: 1
; NumSGPRsForWavesPerEU: 74
; NumVGPRsForWavesPerEU: 18
; NamedBarCnt: 0
; Occupancy: 16
; WaveLimiterHint : 1
; COMPUTE_PGM_RSRC2:SCRATCH_EN: 0
; COMPUTE_PGM_RSRC2:USER_SGPR: 2
; COMPUTE_PGM_RSRC2:TRAP_HANDLER: 0
; COMPUTE_PGM_RSRC2:TGID_X_EN: 1
; COMPUTE_PGM_RSRC2:TGID_Y_EN: 0
; COMPUTE_PGM_RSRC2:TGID_Z_EN: 0
; COMPUTE_PGM_RSRC2:TIDIG_COMP_CNT: 0
	.section	.text._ZN2at6native29vectorized_elementwise_kernelILi16EZZZNS0_12_GLOBAL__N_142_validate_compressed_sparse_indices_kernelILNS2_8CDimNameE1ENS2_18CUDAKernelLauncherENS2_14EmptyVecKernelENS2_8DummyVecELm0EEEvRKNS_6TensorESA_lllENKUlvE0_clEvENKUlvE0_clEvEUllE_St5arrayIPcLm2EEEEviT0_T1_,"axG",@progbits,_ZN2at6native29vectorized_elementwise_kernelILi16EZZZNS0_12_GLOBAL__N_142_validate_compressed_sparse_indices_kernelILNS2_8CDimNameE1ENS2_18CUDAKernelLauncherENS2_14EmptyVecKernelENS2_8DummyVecELm0EEEvRKNS_6TensorESA_lllENKUlvE0_clEvENKUlvE0_clEvEUllE_St5arrayIPcLm2EEEEviT0_T1_,comdat
	.globl	_ZN2at6native29vectorized_elementwise_kernelILi16EZZZNS0_12_GLOBAL__N_142_validate_compressed_sparse_indices_kernelILNS2_8CDimNameE1ENS2_18CUDAKernelLauncherENS2_14EmptyVecKernelENS2_8DummyVecELm0EEEvRKNS_6TensorESA_lllENKUlvE0_clEvENKUlvE0_clEvEUllE_St5arrayIPcLm2EEEEviT0_T1_ ; -- Begin function _ZN2at6native29vectorized_elementwise_kernelILi16EZZZNS0_12_GLOBAL__N_142_validate_compressed_sparse_indices_kernelILNS2_8CDimNameE1ENS2_18CUDAKernelLauncherENS2_14EmptyVecKernelENS2_8DummyVecELm0EEEvRKNS_6TensorESA_lllENKUlvE0_clEvENKUlvE0_clEvEUllE_St5arrayIPcLm2EEEEviT0_T1_
	.p2align	8
	.type	_ZN2at6native29vectorized_elementwise_kernelILi16EZZZNS0_12_GLOBAL__N_142_validate_compressed_sparse_indices_kernelILNS2_8CDimNameE1ENS2_18CUDAKernelLauncherENS2_14EmptyVecKernelENS2_8DummyVecELm0EEEvRKNS_6TensorESA_lllENKUlvE0_clEvENKUlvE0_clEvEUllE_St5arrayIPcLm2EEEEviT0_T1_,@function
_ZN2at6native29vectorized_elementwise_kernelILi16EZZZNS0_12_GLOBAL__N_142_validate_compressed_sparse_indices_kernelILNS2_8CDimNameE1ENS2_18CUDAKernelLauncherENS2_14EmptyVecKernelENS2_8DummyVecELm0EEEvRKNS_6TensorESA_lllENKUlvE0_clEvENKUlvE0_clEvEUllE_St5arrayIPcLm2EEEEviT0_T1_: ; @_ZN2at6native29vectorized_elementwise_kernelILi16EZZZNS0_12_GLOBAL__N_142_validate_compressed_sparse_indices_kernelILNS2_8CDimNameE1ENS2_18CUDAKernelLauncherENS2_14EmptyVecKernelENS2_8DummyVecELm0EEEvRKNS_6TensorESA_lllENKUlvE0_clEvENKUlvE0_clEvEUllE_St5arrayIPcLm2EEEEviT0_T1_
; %bb.0:
	s_clause 0x1
	s_load_b32 s3, s[0:1], 0x0
	s_load_b256 s[4:11], s[0:1], 0x8
	s_wait_xcnt 0x0
	s_bfe_u32 s0, ttmp6, 0x4000c
	s_and_b32 s1, ttmp6, 15
	s_add_co_i32 s0, s0, 1
	s_getreg_b32 s2, hwreg(HW_REG_IB_STS2, 6, 4)
	s_mul_i32 s0, ttmp9, s0
	s_mov_b32 s18, 0
	s_add_co_i32 s1, s1, s0
	s_cmp_eq_u32 s2, 0
	s_get_pc_i64 s[12:13]
	s_add_nc_u64 s[12:13], s[12:13], .str.5@rel64+4
	s_cselect_b32 s0, ttmp9, s1
	s_delay_alu instid0(SALU_CYCLE_1)
	s_lshl_b32 s2, s0, 10
	s_mov_b32 s0, -1
	s_wait_kmcnt 0x0
	s_sub_co_i32 s1, s3, s2
	s_mov_b32 s3, 0
	s_cmp_gt_i32 s1, 0x3ff
	s_cbranch_scc0 .LBB104_13
; %bb.1:
	s_cmp_eq_u64 s[12:13], 0
	s_cselect_b32 s19, -1, 0
	s_cmp_lg_u64 s[12:13], 0
	s_cbranch_scc0 .LBB104_11
; %bb.2:
	s_ashr_i32 s3, s2, 31
	v_lshlrev_b32_e32 v6, 5, v0
	s_lshl_b64 s[14:15], s[2:3], 3
	s_delay_alu instid0(SALU_CYCLE_1)
	s_add_nc_u64 s[16:17], s[10:11], s[14:15]
	global_load_b64 v[2:3], v6, s[16:17]
	s_wait_loadcnt 0x0
	v_cmp_le_i64_e32 vcc_lo, s[4:5], v[2:3]
	v_cmp_gt_i64_e64 s0, s[6:7], v[2:3]
	s_and_b32 s0, vcc_lo, s0
	s_delay_alu instid0(SALU_CYCLE_1)
	s_xor_b32 s19, s0, -1
	s_and_saveexec_b32 s3, s0
	s_cbranch_execz .LBB104_10
; %bb.3:
	v_mov_b32_e32 v7, 0
	s_delay_alu instid0(VALU_DEP_1)
	v_add_nc_u64_e32 v[10:11], s[16:17], v[6:7]
	s_clause 0x1
	global_load_b128 v[2:5], v[10:11], off offset:8
	global_load_b64 v[8:9], v[10:11], off offset:24
	s_wait_loadcnt 0x1
	v_cmp_le_i64_e32 vcc_lo, s[4:5], v[2:3]
	v_cmp_gt_i64_e64 s0, s[6:7], v[2:3]
	s_and_b32 s0, vcc_lo, s0
	s_delay_alu instid0(SALU_CYCLE_1)
	s_xor_b32 s16, s0, -1
	s_wait_xcnt 0x0
	s_and_saveexec_b32 s17, s0
	s_cbranch_execz .LBB104_9
; %bb.4:
	v_cmp_le_i64_e32 vcc_lo, s[4:5], v[4:5]
	v_cmp_gt_i64_e64 s0, s[6:7], v[4:5]
	s_mov_b32 s22, -1
	s_and_b32 s0, vcc_lo, s0
	s_delay_alu instid0(SALU_CYCLE_1)
	s_xor_b32 s20, s0, -1
	s_and_saveexec_b32 s21, s0
	s_cbranch_execz .LBB104_8
; %bb.5:
	s_wait_loadcnt 0x0
	v_cmp_le_i64_e32 vcc_lo, s[4:5], v[8:9]
	v_cmp_gt_i64_e64 s0, s[6:7], v[8:9]
	s_and_b32 s0, vcc_lo, s0
	s_delay_alu instid0(SALU_CYCLE_1) | instskip(NEXT) | instid1(SALU_CYCLE_1)
	s_and_saveexec_b32 s23, s0
	s_xor_b32 s0, exec_lo, s23
; %bb.6:
	s_mov_b32 s24, 0
	s_add_nc_u64 s[14:15], s[8:9], s[14:15]
	s_mov_b32 s25, s24
	s_mov_b32 s26, s24
	;; [unrolled: 1-line block ×3, first 2 shown]
	v_mov_b64_e32 v[2:3], s[24:25]
	v_mov_b64_e32 v[4:5], s[26:27]
	s_xor_b32 s22, exec_lo, -1
	s_clause 0x1
	global_store_b128 v6, v[2:5], s[14:15]
	global_store_b128 v6, v[2:5], s[14:15] offset:16
; %bb.7:
	s_wait_xcnt 0x0
	s_or_b32 exec_lo, exec_lo, s0
	s_delay_alu instid0(SALU_CYCLE_1) | instskip(SKIP_1) | instid1(SALU_CYCLE_1)
	s_and_not1_b32 s0, s20, exec_lo
	s_and_b32 s14, s22, exec_lo
	s_or_b32 s20, s0, s14
.LBB104_8:
	s_or_b32 exec_lo, exec_lo, s21
	s_delay_alu instid0(SALU_CYCLE_1) | instskip(SKIP_1) | instid1(SALU_CYCLE_1)
	s_and_not1_b32 s0, s16, exec_lo
	s_and_b32 s14, s20, exec_lo
	s_or_b32 s16, s0, s14
.LBB104_9:
	s_or_b32 exec_lo, exec_lo, s17
	s_delay_alu instid0(SALU_CYCLE_1) | instskip(SKIP_1) | instid1(SALU_CYCLE_1)
	s_and_not1_b32 s0, s19, exec_lo
	s_and_b32 s14, s16, exec_lo
	s_or_b32 s19, s0, s14
.LBB104_10:
	s_or_b32 exec_lo, exec_lo, s3
.LBB104_11:
	s_mov_b32 s0, 0
	s_mov_b32 s3, 0
	s_and_saveexec_b32 s14, s19
	s_delay_alu instid0(SALU_CYCLE_1)
	s_xor_b32 s14, exec_lo, s14
	s_cbranch_execnz .LBB104_51
.LBB104_12:
	s_or_b32 exec_lo, exec_lo, s14
.LBB104_13:
	s_delay_alu instid0(SALU_CYCLE_1)
	s_and_b32 vcc_lo, exec_lo, s0
	s_cbranch_vccz .LBB104_26
; %bb.14:
	v_mov_b64_e32 v[4:5], 0
	s_wait_loadcnt 0x0
	v_mov_b64_e32 v[8:9], 0
	v_cmp_le_i32_e64 s15, s1, v0
	v_cmp_gt_i32_e64 s14, s1, v0
	v_or_b32_e32 v1, 0x100, v0
	v_mov_b32_e32 v10, v0
	s_and_saveexec_b32 s0, s14
	s_cbranch_execz .LBB104_16
; %bb.15:
	v_or_b32_e32 v2, s2, v0
	v_or_b32_e32 v10, 0x100, v0
	global_load_b64 v[8:9], v2, s[10:11] scale_offset
.LBB104_16:
	s_wait_xcnt 0x0
	s_or_b32 exec_lo, exec_lo, s0
	s_delay_alu instid0(SALU_CYCLE_1)
	s_mov_b32 s0, exec_lo
	v_cmpx_gt_i32_e64 s1, v10
	s_cbranch_execz .LBB104_18
; %bb.17:
	v_add_nc_u32_e32 v2, s2, v10
	v_add_nc_u32_e32 v10, 0x100, v10
	global_load_b64 v[4:5], v2, s[10:11] scale_offset
.LBB104_18:
	s_wait_xcnt 0x0
	s_or_b32 exec_lo, exec_lo, s0
	v_mov_b64_e32 v[2:3], 0
	v_mov_b64_e32 v[6:7], 0
	s_mov_b32 s0, exec_lo
	v_cmpx_gt_i32_e64 s1, v10
	s_cbranch_execz .LBB104_20
; %bb.19:
	v_add_nc_u32_e32 v6, s2, v10
	v_add_nc_u32_e32 v10, 0x100, v10
	global_load_b64 v[6:7], v6, s[10:11] scale_offset
.LBB104_20:
	s_wait_xcnt 0x0
	s_or_b32 exec_lo, exec_lo, s0
	s_delay_alu instid0(SALU_CYCLE_1)
	s_mov_b32 s0, exec_lo
	v_cmpx_gt_i32_e64 s1, v10
	s_cbranch_execz .LBB104_22
; %bb.21:
	v_add_nc_u32_e32 v2, s2, v10
	global_load_b64 v[2:3], v2, s[10:11] scale_offset
.LBB104_22:
	s_wait_xcnt 0x0
	s_or_b32 exec_lo, exec_lo, s0
	s_cmp_lg_u64 s[12:13], 0
	s_mov_b32 s10, 0
	s_cselect_b32 s12, -1, 0
	s_and_saveexec_b32 s11, s14
	s_cbranch_execnz .LBB104_35
; %bb.23:
	s_or_b32 exec_lo, exec_lo, s11
	s_and_saveexec_b32 s11, s15
	s_cbranch_execnz .LBB104_36
.LBB104_24:
	s_or_b32 exec_lo, exec_lo, s11
	s_and_saveexec_b32 s0, s10
	s_cbranch_execnz .LBB104_47
.LBB104_25:
	s_or_b32 exec_lo, exec_lo, s0
	s_and_saveexec_b32 s0, s3
	s_cbranch_execnz .LBB104_27
	s_branch .LBB104_28
.LBB104_26:
                                        ; implicit-def: $sgpr14
                                        ; implicit-def: $vgpr1
                                        ; implicit-def: $vgpr0
	s_and_saveexec_b32 s0, s3
.LBB104_27:
	; divergent unreachable
.LBB104_28:
	s_delay_alu instid0(SALU_CYCLE_1) | instskip(SKIP_1) | instid1(SALU_CYCLE_1)
	s_or_b32 exec_lo, exec_lo, s0
	s_and_saveexec_b32 s0, s18
	s_xor_b32 s0, exec_lo, s0
	s_cbranch_execz .LBB104_34
; %bb.29:
	s_and_saveexec_b32 s0, s14
	s_delay_alu instid0(SALU_CYCLE_1)
	s_xor_b32 s0, exec_lo, s0
	s_cbranch_execnz .LBB104_48
; %bb.30:
	s_or_b32 exec_lo, exec_lo, s0
	s_delay_alu instid0(SALU_CYCLE_1)
	s_mov_b32 s0, exec_lo
	v_cmpx_gt_i32_e64 s1, v0
	s_cbranch_execnz .LBB104_49
.LBB104_31:
	s_or_b32 exec_lo, exec_lo, s0
	s_delay_alu instid0(SALU_CYCLE_1)
	s_mov_b32 s0, exec_lo
	v_cmpx_gt_i32_e64 s1, v0
	s_cbranch_execnz .LBB104_50
.LBB104_32:
	s_or_b32 exec_lo, exec_lo, s0
	s_delay_alu instid0(SALU_CYCLE_1)
	s_mov_b32 s0, exec_lo
	v_cmpx_gt_i32_e64 s1, v0
	s_cbranch_execz .LBB104_34
.LBB104_33:
	s_wait_loadcnt 0x0
	v_mov_b64_e32 v[2:3], 0
	v_add_nc_u32_e32 v0, s2, v0
	global_store_b64 v0, v[2:3], s[8:9] scale_offset
.LBB104_34:
	s_endpgm
.LBB104_35:
	s_wait_loadcnt 0x0
	v_cmp_le_i64_e32 vcc_lo, s[4:5], v[8:9]
	v_cmp_gt_i64_e64 s0, s[6:7], v[8:9]
	s_and_not1_b32 s13, s15, exec_lo
	s_mov_b32 s10, exec_lo
	s_and_b32 s0, vcc_lo, s0
	s_delay_alu instid0(SALU_CYCLE_1) | instskip(NEXT) | instid1(SALU_CYCLE_1)
	s_and_b32 s0, s12, s0
	s_and_b32 s0, s0, exec_lo
	s_delay_alu instid0(SALU_CYCLE_1)
	s_or_b32 s15, s13, s0
	s_or_b32 exec_lo, exec_lo, s11
	s_and_saveexec_b32 s11, s15
	s_cbranch_execz .LBB104_24
.LBB104_36:
	v_cmp_le_i32_e64 s17, s1, v1
	s_mov_b32 s16, 0
	s_mov_b32 s13, 0
	s_mov_b32 s15, exec_lo
	v_cmpx_gt_i32_e64 s1, v1
	s_cbranch_execz .LBB104_38
; %bb.37:
	s_wait_loadcnt 0x0
	v_cmp_le_i64_e32 vcc_lo, s[4:5], v[4:5]
	v_cmp_gt_i64_e64 s0, s[6:7], v[4:5]
	s_and_not1_b32 s17, s17, exec_lo
	s_mov_b32 s13, exec_lo
	s_and_b32 s0, vcc_lo, s0
	s_delay_alu instid0(SALU_CYCLE_1) | instskip(NEXT) | instid1(SALU_CYCLE_1)
	s_and_b32 s0, s12, s0
	s_and_b32 s0, s0, exec_lo
	s_delay_alu instid0(SALU_CYCLE_1)
	s_or_b32 s17, s17, s0
.LBB104_38:
	s_or_b32 exec_lo, exec_lo, s15
	s_and_saveexec_b32 s15, s17
	s_cbranch_execz .LBB104_46
; %bb.39:
	s_wait_loadcnt 0x0
	v_or_b32_e32 v4, 0x200, v0
	s_mov_b32 s17, exec_lo
	s_delay_alu instid0(VALU_DEP_1)
	v_cmp_le_i32_e64 s19, s1, v4
	v_cmpx_gt_i32_e64 s1, v4
; %bb.40:
	v_cmp_le_i64_e32 vcc_lo, s[4:5], v[6:7]
	v_cmp_gt_i64_e64 s0, s[6:7], v[6:7]
	s_and_not1_b32 s19, s19, exec_lo
	s_mov_b32 s16, exec_lo
	s_and_b32 s0, vcc_lo, s0
	s_delay_alu instid0(SALU_CYCLE_1) | instskip(NEXT) | instid1(SALU_CYCLE_1)
	s_and_b32 s0, s12, s0
	s_and_b32 s0, s0, exec_lo
	s_delay_alu instid0(SALU_CYCLE_1)
	s_or_b32 s19, s19, s0
; %bb.41:
	s_or_b32 exec_lo, exec_lo, s17
	s_and_saveexec_b32 s17, s19
	s_cbranch_execz .LBB104_45
; %bb.42:
	v_or_b32_e32 v4, 0x300, v0
	s_mov_b32 s0, 0
	s_mov_b32 s19, exec_lo
	s_delay_alu instid0(VALU_DEP_1)
	v_cmp_le_i32_e64 s18, s1, v4
	v_cmpx_gt_i32_e64 s1, v4
	s_xor_b32 s19, exec_lo, s19
; %bb.43:
	v_cmp_le_i64_e32 vcc_lo, s[4:5], v[2:3]
	v_cmp_gt_i64_e64 s0, s[6:7], v[2:3]
	s_or_b32 s18, s18, exec_lo
	s_and_b32 s0, vcc_lo, s0
	s_delay_alu instid0(SALU_CYCLE_1) | instskip(NEXT) | instid1(SALU_CYCLE_1)
	s_and_b32 s0, s12, s0
	s_xor_b32 s0, s0, -1
	s_delay_alu instid0(SALU_CYCLE_1)
	s_and_b32 s0, s0, exec_lo
; %bb.44:
	s_or_b32 exec_lo, exec_lo, s19
	s_delay_alu instid0(SALU_CYCLE_1)
	s_and_not1_b32 s4, s16, exec_lo
	s_and_b32 s0, s0, exec_lo
	s_and_b32 s18, s18, exec_lo
	s_or_b32 s16, s4, s0
.LBB104_45:
	s_or_b32 exec_lo, exec_lo, s17
	s_delay_alu instid0(SALU_CYCLE_1)
	s_and_not1_b32 s0, s13, exec_lo
	s_and_b32 s4, s16, exec_lo
	s_and_b32 s16, s18, exec_lo
	s_or_b32 s13, s0, s4
.LBB104_46:
	s_or_b32 exec_lo, exec_lo, s15
	s_delay_alu instid0(SALU_CYCLE_1)
	s_and_not1_b32 s0, s10, exec_lo
	s_and_b32 s4, s13, exec_lo
	s_and_b32 s18, s16, exec_lo
	s_or_b32 s10, s0, s4
	s_or_b32 exec_lo, exec_lo, s11
	s_and_saveexec_b32 s0, s10
	s_cbranch_execz .LBB104_25
.LBB104_47:
	s_and_not1_b32 s18, s18, exec_lo
	s_or_b32 s3, s3, exec_lo
	s_trap 2
	s_or_b32 exec_lo, exec_lo, s0
	s_and_saveexec_b32 s0, s3
	s_cbranch_execnz .LBB104_27
	s_branch .LBB104_28
.LBB104_48:
	s_wait_loadcnt 0x0
	v_mov_b64_e32 v[2:3], 0
	v_dual_mov_b32 v0, v1 :: v_dual_bitop2_b32 v4, s2, v0 bitop3:0x54
	global_store_b64 v4, v[2:3], s[8:9] scale_offset
	s_wait_xcnt 0x0
	s_or_b32 exec_lo, exec_lo, s0
	s_delay_alu instid0(SALU_CYCLE_1)
	s_mov_b32 s0, exec_lo
	v_cmpx_gt_i32_e64 s1, v0
	s_cbranch_execz .LBB104_31
.LBB104_49:
	s_wait_loadcnt 0x0
	v_mov_b64_e32 v[2:3], 0
	v_add_nc_u32_e32 v1, s2, v0
	v_add_nc_u32_e32 v0, 0x100, v0
	global_store_b64 v1, v[2:3], s[8:9] scale_offset
	s_wait_xcnt 0x0
	s_or_b32 exec_lo, exec_lo, s0
	s_delay_alu instid0(SALU_CYCLE_1)
	s_mov_b32 s0, exec_lo
	v_cmpx_gt_i32_e64 s1, v0
	s_cbranch_execz .LBB104_32
.LBB104_50:
	s_wait_loadcnt 0x0
	v_mov_b64_e32 v[2:3], 0
	v_add_nc_u32_e32 v1, s2, v0
	v_add_nc_u32_e32 v0, 0x100, v0
	global_store_b64 v1, v[2:3], s[8:9] scale_offset
	s_wait_xcnt 0x0
	s_or_b32 exec_lo, exec_lo, s0
	s_delay_alu instid0(SALU_CYCLE_1)
	s_mov_b32 s0, exec_lo
	v_cmpx_gt_i32_e64 s1, v0
	s_cbranch_execnz .LBB104_33
	s_branch .LBB104_34
.LBB104_51:
	s_mov_b32 s3, exec_lo
	s_trap 2
	s_branch .LBB104_12
	.section	.rodata,"a",@progbits
	.p2align	6, 0x0
	.amdhsa_kernel _ZN2at6native29vectorized_elementwise_kernelILi16EZZZNS0_12_GLOBAL__N_142_validate_compressed_sparse_indices_kernelILNS2_8CDimNameE1ENS2_18CUDAKernelLauncherENS2_14EmptyVecKernelENS2_8DummyVecELm0EEEvRKNS_6TensorESA_lllENKUlvE0_clEvENKUlvE0_clEvEUllE_St5arrayIPcLm2EEEEviT0_T1_
		.amdhsa_group_segment_fixed_size 0
		.amdhsa_private_segment_fixed_size 0
		.amdhsa_kernarg_size 40
		.amdhsa_user_sgpr_count 2
		.amdhsa_user_sgpr_dispatch_ptr 0
		.amdhsa_user_sgpr_queue_ptr 0
		.amdhsa_user_sgpr_kernarg_segment_ptr 1
		.amdhsa_user_sgpr_dispatch_id 0
		.amdhsa_user_sgpr_kernarg_preload_length 0
		.amdhsa_user_sgpr_kernarg_preload_offset 0
		.amdhsa_user_sgpr_private_segment_size 0
		.amdhsa_wavefront_size32 1
		.amdhsa_uses_dynamic_stack 0
		.amdhsa_enable_private_segment 0
		.amdhsa_system_sgpr_workgroup_id_x 1
		.amdhsa_system_sgpr_workgroup_id_y 0
		.amdhsa_system_sgpr_workgroup_id_z 0
		.amdhsa_system_sgpr_workgroup_info 0
		.amdhsa_system_vgpr_workitem_id 0
		.amdhsa_next_free_vgpr 12
		.amdhsa_next_free_sgpr 28
		.amdhsa_named_barrier_count 0
		.amdhsa_reserve_vcc 1
		.amdhsa_float_round_mode_32 0
		.amdhsa_float_round_mode_16_64 0
		.amdhsa_float_denorm_mode_32 3
		.amdhsa_float_denorm_mode_16_64 3
		.amdhsa_fp16_overflow 0
		.amdhsa_memory_ordered 1
		.amdhsa_forward_progress 1
		.amdhsa_inst_pref_size 13
		.amdhsa_round_robin_scheduling 0
		.amdhsa_exception_fp_ieee_invalid_op 0
		.amdhsa_exception_fp_denorm_src 0
		.amdhsa_exception_fp_ieee_div_zero 0
		.amdhsa_exception_fp_ieee_overflow 0
		.amdhsa_exception_fp_ieee_underflow 0
		.amdhsa_exception_fp_ieee_inexact 0
		.amdhsa_exception_int_div_zero 0
	.end_amdhsa_kernel
	.section	.text._ZN2at6native29vectorized_elementwise_kernelILi16EZZZNS0_12_GLOBAL__N_142_validate_compressed_sparse_indices_kernelILNS2_8CDimNameE1ENS2_18CUDAKernelLauncherENS2_14EmptyVecKernelENS2_8DummyVecELm0EEEvRKNS_6TensorESA_lllENKUlvE0_clEvENKUlvE0_clEvEUllE_St5arrayIPcLm2EEEEviT0_T1_,"axG",@progbits,_ZN2at6native29vectorized_elementwise_kernelILi16EZZZNS0_12_GLOBAL__N_142_validate_compressed_sparse_indices_kernelILNS2_8CDimNameE1ENS2_18CUDAKernelLauncherENS2_14EmptyVecKernelENS2_8DummyVecELm0EEEvRKNS_6TensorESA_lllENKUlvE0_clEvENKUlvE0_clEvEUllE_St5arrayIPcLm2EEEEviT0_T1_,comdat
.Lfunc_end104:
	.size	_ZN2at6native29vectorized_elementwise_kernelILi16EZZZNS0_12_GLOBAL__N_142_validate_compressed_sparse_indices_kernelILNS2_8CDimNameE1ENS2_18CUDAKernelLauncherENS2_14EmptyVecKernelENS2_8DummyVecELm0EEEvRKNS_6TensorESA_lllENKUlvE0_clEvENKUlvE0_clEvEUllE_St5arrayIPcLm2EEEEviT0_T1_, .Lfunc_end104-_ZN2at6native29vectorized_elementwise_kernelILi16EZZZNS0_12_GLOBAL__N_142_validate_compressed_sparse_indices_kernelILNS2_8CDimNameE1ENS2_18CUDAKernelLauncherENS2_14EmptyVecKernelENS2_8DummyVecELm0EEEvRKNS_6TensorESA_lllENKUlvE0_clEvENKUlvE0_clEvEUllE_St5arrayIPcLm2EEEEviT0_T1_
                                        ; -- End function
	.set _ZN2at6native29vectorized_elementwise_kernelILi16EZZZNS0_12_GLOBAL__N_142_validate_compressed_sparse_indices_kernelILNS2_8CDimNameE1ENS2_18CUDAKernelLauncherENS2_14EmptyVecKernelENS2_8DummyVecELm0EEEvRKNS_6TensorESA_lllENKUlvE0_clEvENKUlvE0_clEvEUllE_St5arrayIPcLm2EEEEviT0_T1_.num_vgpr, 12
	.set _ZN2at6native29vectorized_elementwise_kernelILi16EZZZNS0_12_GLOBAL__N_142_validate_compressed_sparse_indices_kernelILNS2_8CDimNameE1ENS2_18CUDAKernelLauncherENS2_14EmptyVecKernelENS2_8DummyVecELm0EEEvRKNS_6TensorESA_lllENKUlvE0_clEvENKUlvE0_clEvEUllE_St5arrayIPcLm2EEEEviT0_T1_.num_agpr, 0
	.set _ZN2at6native29vectorized_elementwise_kernelILi16EZZZNS0_12_GLOBAL__N_142_validate_compressed_sparse_indices_kernelILNS2_8CDimNameE1ENS2_18CUDAKernelLauncherENS2_14EmptyVecKernelENS2_8DummyVecELm0EEEvRKNS_6TensorESA_lllENKUlvE0_clEvENKUlvE0_clEvEUllE_St5arrayIPcLm2EEEEviT0_T1_.numbered_sgpr, 28
	.set _ZN2at6native29vectorized_elementwise_kernelILi16EZZZNS0_12_GLOBAL__N_142_validate_compressed_sparse_indices_kernelILNS2_8CDimNameE1ENS2_18CUDAKernelLauncherENS2_14EmptyVecKernelENS2_8DummyVecELm0EEEvRKNS_6TensorESA_lllENKUlvE0_clEvENKUlvE0_clEvEUllE_St5arrayIPcLm2EEEEviT0_T1_.num_named_barrier, 0
	.set _ZN2at6native29vectorized_elementwise_kernelILi16EZZZNS0_12_GLOBAL__N_142_validate_compressed_sparse_indices_kernelILNS2_8CDimNameE1ENS2_18CUDAKernelLauncherENS2_14EmptyVecKernelENS2_8DummyVecELm0EEEvRKNS_6TensorESA_lllENKUlvE0_clEvENKUlvE0_clEvEUllE_St5arrayIPcLm2EEEEviT0_T1_.private_seg_size, 0
	.set _ZN2at6native29vectorized_elementwise_kernelILi16EZZZNS0_12_GLOBAL__N_142_validate_compressed_sparse_indices_kernelILNS2_8CDimNameE1ENS2_18CUDAKernelLauncherENS2_14EmptyVecKernelENS2_8DummyVecELm0EEEvRKNS_6TensorESA_lllENKUlvE0_clEvENKUlvE0_clEvEUllE_St5arrayIPcLm2EEEEviT0_T1_.uses_vcc, 1
	.set _ZN2at6native29vectorized_elementwise_kernelILi16EZZZNS0_12_GLOBAL__N_142_validate_compressed_sparse_indices_kernelILNS2_8CDimNameE1ENS2_18CUDAKernelLauncherENS2_14EmptyVecKernelENS2_8DummyVecELm0EEEvRKNS_6TensorESA_lllENKUlvE0_clEvENKUlvE0_clEvEUllE_St5arrayIPcLm2EEEEviT0_T1_.uses_flat_scratch, 0
	.set _ZN2at6native29vectorized_elementwise_kernelILi16EZZZNS0_12_GLOBAL__N_142_validate_compressed_sparse_indices_kernelILNS2_8CDimNameE1ENS2_18CUDAKernelLauncherENS2_14EmptyVecKernelENS2_8DummyVecELm0EEEvRKNS_6TensorESA_lllENKUlvE0_clEvENKUlvE0_clEvEUllE_St5arrayIPcLm2EEEEviT0_T1_.has_dyn_sized_stack, 0
	.set _ZN2at6native29vectorized_elementwise_kernelILi16EZZZNS0_12_GLOBAL__N_142_validate_compressed_sparse_indices_kernelILNS2_8CDimNameE1ENS2_18CUDAKernelLauncherENS2_14EmptyVecKernelENS2_8DummyVecELm0EEEvRKNS_6TensorESA_lllENKUlvE0_clEvENKUlvE0_clEvEUllE_St5arrayIPcLm2EEEEviT0_T1_.has_recursion, 0
	.set _ZN2at6native29vectorized_elementwise_kernelILi16EZZZNS0_12_GLOBAL__N_142_validate_compressed_sparse_indices_kernelILNS2_8CDimNameE1ENS2_18CUDAKernelLauncherENS2_14EmptyVecKernelENS2_8DummyVecELm0EEEvRKNS_6TensorESA_lllENKUlvE0_clEvENKUlvE0_clEvEUllE_St5arrayIPcLm2EEEEviT0_T1_.has_indirect_call, 0
	.section	.AMDGPU.csdata,"",@progbits
; Kernel info:
; codeLenInByte = 1580
; TotalNumSgprs: 30
; NumVgprs: 12
; ScratchSize: 0
; MemoryBound: 1
; FloatMode: 240
; IeeeMode: 1
; LDSByteSize: 0 bytes/workgroup (compile time only)
; SGPRBlocks: 0
; VGPRBlocks: 0
; NumSGPRsForWavesPerEU: 30
; NumVGPRsForWavesPerEU: 12
; NamedBarCnt: 0
; Occupancy: 16
; WaveLimiterHint : 0
; COMPUTE_PGM_RSRC2:SCRATCH_EN: 0
; COMPUTE_PGM_RSRC2:USER_SGPR: 2
; COMPUTE_PGM_RSRC2:TRAP_HANDLER: 0
; COMPUTE_PGM_RSRC2:TGID_X_EN: 1
; COMPUTE_PGM_RSRC2:TGID_Y_EN: 0
; COMPUTE_PGM_RSRC2:TGID_Z_EN: 0
; COMPUTE_PGM_RSRC2:TIDIG_COMP_CNT: 0
	.section	.text._ZN2at6native29vectorized_elementwise_kernelILi8EZZZNS0_12_GLOBAL__N_142_validate_compressed_sparse_indices_kernelILNS2_8CDimNameE1ENS2_18CUDAKernelLauncherENS2_14EmptyVecKernelENS2_8DummyVecELm0EEEvRKNS_6TensorESA_lllENKUlvE0_clEvENKUlvE0_clEvEUllE_St5arrayIPcLm2EEEEviT0_T1_,"axG",@progbits,_ZN2at6native29vectorized_elementwise_kernelILi8EZZZNS0_12_GLOBAL__N_142_validate_compressed_sparse_indices_kernelILNS2_8CDimNameE1ENS2_18CUDAKernelLauncherENS2_14EmptyVecKernelENS2_8DummyVecELm0EEEvRKNS_6TensorESA_lllENKUlvE0_clEvENKUlvE0_clEvEUllE_St5arrayIPcLm2EEEEviT0_T1_,comdat
	.globl	_ZN2at6native29vectorized_elementwise_kernelILi8EZZZNS0_12_GLOBAL__N_142_validate_compressed_sparse_indices_kernelILNS2_8CDimNameE1ENS2_18CUDAKernelLauncherENS2_14EmptyVecKernelENS2_8DummyVecELm0EEEvRKNS_6TensorESA_lllENKUlvE0_clEvENKUlvE0_clEvEUllE_St5arrayIPcLm2EEEEviT0_T1_ ; -- Begin function _ZN2at6native29vectorized_elementwise_kernelILi8EZZZNS0_12_GLOBAL__N_142_validate_compressed_sparse_indices_kernelILNS2_8CDimNameE1ENS2_18CUDAKernelLauncherENS2_14EmptyVecKernelENS2_8DummyVecELm0EEEvRKNS_6TensorESA_lllENKUlvE0_clEvENKUlvE0_clEvEUllE_St5arrayIPcLm2EEEEviT0_T1_
	.p2align	8
	.type	_ZN2at6native29vectorized_elementwise_kernelILi8EZZZNS0_12_GLOBAL__N_142_validate_compressed_sparse_indices_kernelILNS2_8CDimNameE1ENS2_18CUDAKernelLauncherENS2_14EmptyVecKernelENS2_8DummyVecELm0EEEvRKNS_6TensorESA_lllENKUlvE0_clEvENKUlvE0_clEvEUllE_St5arrayIPcLm2EEEEviT0_T1_,@function
_ZN2at6native29vectorized_elementwise_kernelILi8EZZZNS0_12_GLOBAL__N_142_validate_compressed_sparse_indices_kernelILNS2_8CDimNameE1ENS2_18CUDAKernelLauncherENS2_14EmptyVecKernelENS2_8DummyVecELm0EEEvRKNS_6TensorESA_lllENKUlvE0_clEvENKUlvE0_clEvEUllE_St5arrayIPcLm2EEEEviT0_T1_: ; @_ZN2at6native29vectorized_elementwise_kernelILi8EZZZNS0_12_GLOBAL__N_142_validate_compressed_sparse_indices_kernelILNS2_8CDimNameE1ENS2_18CUDAKernelLauncherENS2_14EmptyVecKernelENS2_8DummyVecELm0EEEvRKNS_6TensorESA_lllENKUlvE0_clEvENKUlvE0_clEvEUllE_St5arrayIPcLm2EEEEviT0_T1_
; %bb.0:
	s_clause 0x1
	s_load_b32 s3, s[0:1], 0x0
	s_load_b256 s[4:11], s[0:1], 0x8
	s_wait_xcnt 0x0
	s_bfe_u32 s0, ttmp6, 0x4000c
	s_and_b32 s1, ttmp6, 15
	s_add_co_i32 s0, s0, 1
	s_getreg_b32 s2, hwreg(HW_REG_IB_STS2, 6, 4)
	s_mul_i32 s0, ttmp9, s0
	s_mov_b32 s18, 0
	s_add_co_i32 s1, s1, s0
	s_cmp_eq_u32 s2, 0
	s_get_pc_i64 s[12:13]
	s_add_nc_u64 s[12:13], s[12:13], .str.5@rel64+4
	s_cselect_b32 s0, ttmp9, s1
	s_delay_alu instid0(SALU_CYCLE_1)
	s_lshl_b32 s2, s0, 10
	s_mov_b32 s0, -1
	s_wait_kmcnt 0x0
	s_sub_co_i32 s1, s3, s2
	s_mov_b32 s3, 0
	s_cmp_gt_i32 s1, 0x3ff
	s_cbranch_scc0 .LBB105_13
; %bb.1:
	s_cmp_eq_u64 s[12:13], 0
	s_cselect_b32 s19, -1, 0
	s_cmp_lg_u64 s[12:13], 0
	s_cbranch_scc0 .LBB105_11
; %bb.2:
	s_ashr_i32 s3, s2, 31
	v_lshlrev_b32_e32 v6, 5, v0
	s_lshl_b64 s[14:15], s[2:3], 3
	s_delay_alu instid0(SALU_CYCLE_1)
	s_add_nc_u64 s[16:17], s[10:11], s[14:15]
	global_load_b64 v[2:3], v6, s[16:17]
	s_wait_loadcnt 0x0
	v_cmp_le_i64_e32 vcc_lo, s[4:5], v[2:3]
	v_cmp_gt_i64_e64 s0, s[6:7], v[2:3]
	s_and_b32 s0, vcc_lo, s0
	s_delay_alu instid0(SALU_CYCLE_1)
	s_xor_b32 s19, s0, -1
	s_and_saveexec_b32 s3, s0
	s_cbranch_execz .LBB105_10
; %bb.3:
	v_mov_b32_e32 v7, 0
	s_delay_alu instid0(VALU_DEP_1)
	v_add_nc_u64_e32 v[10:11], s[16:17], v[6:7]
	s_clause 0x1
	global_load_b128 v[2:5], v[10:11], off offset:8
	global_load_b64 v[8:9], v[10:11], off offset:24
	s_wait_loadcnt 0x1
	v_cmp_le_i64_e32 vcc_lo, s[4:5], v[2:3]
	v_cmp_gt_i64_e64 s0, s[6:7], v[2:3]
	s_and_b32 s0, vcc_lo, s0
	s_delay_alu instid0(SALU_CYCLE_1)
	s_xor_b32 s16, s0, -1
	s_wait_xcnt 0x0
	s_and_saveexec_b32 s17, s0
	s_cbranch_execz .LBB105_9
; %bb.4:
	v_cmp_le_i64_e32 vcc_lo, s[4:5], v[4:5]
	v_cmp_gt_i64_e64 s0, s[6:7], v[4:5]
	s_mov_b32 s22, -1
	s_and_b32 s0, vcc_lo, s0
	s_delay_alu instid0(SALU_CYCLE_1)
	s_xor_b32 s20, s0, -1
	s_and_saveexec_b32 s21, s0
	s_cbranch_execz .LBB105_8
; %bb.5:
	s_wait_loadcnt 0x0
	v_cmp_le_i64_e32 vcc_lo, s[4:5], v[8:9]
	v_cmp_gt_i64_e64 s0, s[6:7], v[8:9]
	s_and_b32 s0, vcc_lo, s0
	s_delay_alu instid0(SALU_CYCLE_1) | instskip(NEXT) | instid1(SALU_CYCLE_1)
	s_and_saveexec_b32 s23, s0
	s_xor_b32 s0, exec_lo, s23
; %bb.6:
	s_mov_b32 s24, 0
	s_add_nc_u64 s[14:15], s[8:9], s[14:15]
	s_mov_b32 s25, s24
	s_mov_b32 s26, s24
	;; [unrolled: 1-line block ×3, first 2 shown]
	v_mov_b64_e32 v[2:3], s[24:25]
	v_mov_b64_e32 v[4:5], s[26:27]
	s_xor_b32 s22, exec_lo, -1
	s_clause 0x1
	global_store_b128 v6, v[2:5], s[14:15]
	global_store_b128 v6, v[2:5], s[14:15] offset:16
; %bb.7:
	s_wait_xcnt 0x0
	s_or_b32 exec_lo, exec_lo, s0
	s_delay_alu instid0(SALU_CYCLE_1) | instskip(SKIP_1) | instid1(SALU_CYCLE_1)
	s_and_not1_b32 s0, s20, exec_lo
	s_and_b32 s14, s22, exec_lo
	s_or_b32 s20, s0, s14
.LBB105_8:
	s_or_b32 exec_lo, exec_lo, s21
	s_delay_alu instid0(SALU_CYCLE_1) | instskip(SKIP_1) | instid1(SALU_CYCLE_1)
	s_and_not1_b32 s0, s16, exec_lo
	s_and_b32 s14, s20, exec_lo
	s_or_b32 s16, s0, s14
.LBB105_9:
	s_or_b32 exec_lo, exec_lo, s17
	s_delay_alu instid0(SALU_CYCLE_1) | instskip(SKIP_1) | instid1(SALU_CYCLE_1)
	s_and_not1_b32 s0, s19, exec_lo
	s_and_b32 s14, s16, exec_lo
	s_or_b32 s19, s0, s14
.LBB105_10:
	s_or_b32 exec_lo, exec_lo, s3
.LBB105_11:
	s_mov_b32 s0, 0
	s_mov_b32 s3, 0
	s_and_saveexec_b32 s14, s19
	s_delay_alu instid0(SALU_CYCLE_1)
	s_xor_b32 s14, exec_lo, s14
	s_cbranch_execnz .LBB105_51
.LBB105_12:
	s_or_b32 exec_lo, exec_lo, s14
.LBB105_13:
	s_delay_alu instid0(SALU_CYCLE_1)
	s_and_b32 vcc_lo, exec_lo, s0
	s_cbranch_vccz .LBB105_26
; %bb.14:
	v_mov_b64_e32 v[4:5], 0
	s_wait_loadcnt 0x0
	v_mov_b64_e32 v[8:9], 0
	v_cmp_le_i32_e64 s15, s1, v0
	v_cmp_gt_i32_e64 s14, s1, v0
	v_or_b32_e32 v1, 0x100, v0
	v_mov_b32_e32 v10, v0
	s_and_saveexec_b32 s0, s14
	s_cbranch_execz .LBB105_16
; %bb.15:
	v_or_b32_e32 v2, s2, v0
	v_or_b32_e32 v10, 0x100, v0
	global_load_b64 v[8:9], v2, s[10:11] scale_offset
.LBB105_16:
	s_wait_xcnt 0x0
	s_or_b32 exec_lo, exec_lo, s0
	s_delay_alu instid0(SALU_CYCLE_1)
	s_mov_b32 s0, exec_lo
	v_cmpx_gt_i32_e64 s1, v10
	s_cbranch_execz .LBB105_18
; %bb.17:
	v_add_nc_u32_e32 v2, s2, v10
	v_add_nc_u32_e32 v10, 0x100, v10
	global_load_b64 v[4:5], v2, s[10:11] scale_offset
.LBB105_18:
	s_wait_xcnt 0x0
	s_or_b32 exec_lo, exec_lo, s0
	v_mov_b64_e32 v[2:3], 0
	v_mov_b64_e32 v[6:7], 0
	s_mov_b32 s0, exec_lo
	v_cmpx_gt_i32_e64 s1, v10
	s_cbranch_execz .LBB105_20
; %bb.19:
	v_add_nc_u32_e32 v6, s2, v10
	v_add_nc_u32_e32 v10, 0x100, v10
	global_load_b64 v[6:7], v6, s[10:11] scale_offset
.LBB105_20:
	s_wait_xcnt 0x0
	s_or_b32 exec_lo, exec_lo, s0
	s_delay_alu instid0(SALU_CYCLE_1)
	s_mov_b32 s0, exec_lo
	v_cmpx_gt_i32_e64 s1, v10
	s_cbranch_execz .LBB105_22
; %bb.21:
	v_add_nc_u32_e32 v2, s2, v10
	global_load_b64 v[2:3], v2, s[10:11] scale_offset
.LBB105_22:
	s_wait_xcnt 0x0
	s_or_b32 exec_lo, exec_lo, s0
	s_cmp_lg_u64 s[12:13], 0
	s_mov_b32 s10, 0
	s_cselect_b32 s12, -1, 0
	s_and_saveexec_b32 s11, s14
	s_cbranch_execnz .LBB105_35
; %bb.23:
	s_or_b32 exec_lo, exec_lo, s11
	s_and_saveexec_b32 s11, s15
	s_cbranch_execnz .LBB105_36
.LBB105_24:
	s_or_b32 exec_lo, exec_lo, s11
	s_and_saveexec_b32 s0, s10
	s_cbranch_execnz .LBB105_47
.LBB105_25:
	s_or_b32 exec_lo, exec_lo, s0
	s_and_saveexec_b32 s0, s3
	s_cbranch_execnz .LBB105_27
	s_branch .LBB105_28
.LBB105_26:
                                        ; implicit-def: $sgpr14
                                        ; implicit-def: $vgpr1
                                        ; implicit-def: $vgpr0
	s_and_saveexec_b32 s0, s3
.LBB105_27:
	; divergent unreachable
.LBB105_28:
	s_delay_alu instid0(SALU_CYCLE_1) | instskip(SKIP_1) | instid1(SALU_CYCLE_1)
	s_or_b32 exec_lo, exec_lo, s0
	s_and_saveexec_b32 s0, s18
	s_xor_b32 s0, exec_lo, s0
	s_cbranch_execz .LBB105_34
; %bb.29:
	s_and_saveexec_b32 s0, s14
	s_delay_alu instid0(SALU_CYCLE_1)
	s_xor_b32 s0, exec_lo, s0
	s_cbranch_execnz .LBB105_48
; %bb.30:
	s_or_b32 exec_lo, exec_lo, s0
	s_delay_alu instid0(SALU_CYCLE_1)
	s_mov_b32 s0, exec_lo
	v_cmpx_gt_i32_e64 s1, v0
	s_cbranch_execnz .LBB105_49
.LBB105_31:
	s_or_b32 exec_lo, exec_lo, s0
	s_delay_alu instid0(SALU_CYCLE_1)
	s_mov_b32 s0, exec_lo
	v_cmpx_gt_i32_e64 s1, v0
	s_cbranch_execnz .LBB105_50
.LBB105_32:
	s_or_b32 exec_lo, exec_lo, s0
	s_delay_alu instid0(SALU_CYCLE_1)
	s_mov_b32 s0, exec_lo
	v_cmpx_gt_i32_e64 s1, v0
	s_cbranch_execz .LBB105_34
.LBB105_33:
	s_wait_loadcnt 0x0
	v_mov_b64_e32 v[2:3], 0
	v_add_nc_u32_e32 v0, s2, v0
	global_store_b64 v0, v[2:3], s[8:9] scale_offset
.LBB105_34:
	s_endpgm
.LBB105_35:
	s_wait_loadcnt 0x0
	v_cmp_le_i64_e32 vcc_lo, s[4:5], v[8:9]
	v_cmp_gt_i64_e64 s0, s[6:7], v[8:9]
	s_and_not1_b32 s13, s15, exec_lo
	s_mov_b32 s10, exec_lo
	s_and_b32 s0, vcc_lo, s0
	s_delay_alu instid0(SALU_CYCLE_1) | instskip(NEXT) | instid1(SALU_CYCLE_1)
	s_and_b32 s0, s12, s0
	s_and_b32 s0, s0, exec_lo
	s_delay_alu instid0(SALU_CYCLE_1)
	s_or_b32 s15, s13, s0
	s_or_b32 exec_lo, exec_lo, s11
	s_and_saveexec_b32 s11, s15
	s_cbranch_execz .LBB105_24
.LBB105_36:
	v_cmp_le_i32_e64 s17, s1, v1
	s_mov_b32 s16, 0
	s_mov_b32 s13, 0
	s_mov_b32 s15, exec_lo
	v_cmpx_gt_i32_e64 s1, v1
	s_cbranch_execz .LBB105_38
; %bb.37:
	s_wait_loadcnt 0x0
	v_cmp_le_i64_e32 vcc_lo, s[4:5], v[4:5]
	v_cmp_gt_i64_e64 s0, s[6:7], v[4:5]
	s_and_not1_b32 s17, s17, exec_lo
	s_mov_b32 s13, exec_lo
	s_and_b32 s0, vcc_lo, s0
	s_delay_alu instid0(SALU_CYCLE_1) | instskip(NEXT) | instid1(SALU_CYCLE_1)
	s_and_b32 s0, s12, s0
	s_and_b32 s0, s0, exec_lo
	s_delay_alu instid0(SALU_CYCLE_1)
	s_or_b32 s17, s17, s0
.LBB105_38:
	s_or_b32 exec_lo, exec_lo, s15
	s_and_saveexec_b32 s15, s17
	s_cbranch_execz .LBB105_46
; %bb.39:
	s_wait_loadcnt 0x0
	v_or_b32_e32 v4, 0x200, v0
	s_mov_b32 s17, exec_lo
	s_delay_alu instid0(VALU_DEP_1)
	v_cmp_le_i32_e64 s19, s1, v4
	v_cmpx_gt_i32_e64 s1, v4
; %bb.40:
	v_cmp_le_i64_e32 vcc_lo, s[4:5], v[6:7]
	v_cmp_gt_i64_e64 s0, s[6:7], v[6:7]
	s_and_not1_b32 s19, s19, exec_lo
	s_mov_b32 s16, exec_lo
	s_and_b32 s0, vcc_lo, s0
	s_delay_alu instid0(SALU_CYCLE_1) | instskip(NEXT) | instid1(SALU_CYCLE_1)
	s_and_b32 s0, s12, s0
	s_and_b32 s0, s0, exec_lo
	s_delay_alu instid0(SALU_CYCLE_1)
	s_or_b32 s19, s19, s0
; %bb.41:
	s_or_b32 exec_lo, exec_lo, s17
	s_and_saveexec_b32 s17, s19
	s_cbranch_execz .LBB105_45
; %bb.42:
	v_or_b32_e32 v4, 0x300, v0
	s_mov_b32 s0, 0
	s_mov_b32 s19, exec_lo
	s_delay_alu instid0(VALU_DEP_1)
	v_cmp_le_i32_e64 s18, s1, v4
	v_cmpx_gt_i32_e64 s1, v4
	s_xor_b32 s19, exec_lo, s19
; %bb.43:
	v_cmp_le_i64_e32 vcc_lo, s[4:5], v[2:3]
	v_cmp_gt_i64_e64 s0, s[6:7], v[2:3]
	s_or_b32 s18, s18, exec_lo
	s_and_b32 s0, vcc_lo, s0
	s_delay_alu instid0(SALU_CYCLE_1) | instskip(NEXT) | instid1(SALU_CYCLE_1)
	s_and_b32 s0, s12, s0
	s_xor_b32 s0, s0, -1
	s_delay_alu instid0(SALU_CYCLE_1)
	s_and_b32 s0, s0, exec_lo
; %bb.44:
	s_or_b32 exec_lo, exec_lo, s19
	s_delay_alu instid0(SALU_CYCLE_1)
	s_and_not1_b32 s4, s16, exec_lo
	s_and_b32 s0, s0, exec_lo
	s_and_b32 s18, s18, exec_lo
	s_or_b32 s16, s4, s0
.LBB105_45:
	s_or_b32 exec_lo, exec_lo, s17
	s_delay_alu instid0(SALU_CYCLE_1)
	s_and_not1_b32 s0, s13, exec_lo
	s_and_b32 s4, s16, exec_lo
	s_and_b32 s16, s18, exec_lo
	s_or_b32 s13, s0, s4
.LBB105_46:
	s_or_b32 exec_lo, exec_lo, s15
	s_delay_alu instid0(SALU_CYCLE_1)
	s_and_not1_b32 s0, s10, exec_lo
	s_and_b32 s4, s13, exec_lo
	s_and_b32 s18, s16, exec_lo
	s_or_b32 s10, s0, s4
	s_or_b32 exec_lo, exec_lo, s11
	s_and_saveexec_b32 s0, s10
	s_cbranch_execz .LBB105_25
.LBB105_47:
	s_and_not1_b32 s18, s18, exec_lo
	s_or_b32 s3, s3, exec_lo
	s_trap 2
	s_or_b32 exec_lo, exec_lo, s0
	s_and_saveexec_b32 s0, s3
	s_cbranch_execnz .LBB105_27
	s_branch .LBB105_28
.LBB105_48:
	s_wait_loadcnt 0x0
	v_mov_b64_e32 v[2:3], 0
	v_dual_mov_b32 v0, v1 :: v_dual_bitop2_b32 v4, s2, v0 bitop3:0x54
	global_store_b64 v4, v[2:3], s[8:9] scale_offset
	s_wait_xcnt 0x0
	s_or_b32 exec_lo, exec_lo, s0
	s_delay_alu instid0(SALU_CYCLE_1)
	s_mov_b32 s0, exec_lo
	v_cmpx_gt_i32_e64 s1, v0
	s_cbranch_execz .LBB105_31
.LBB105_49:
	s_wait_loadcnt 0x0
	v_mov_b64_e32 v[2:3], 0
	v_add_nc_u32_e32 v1, s2, v0
	v_add_nc_u32_e32 v0, 0x100, v0
	global_store_b64 v1, v[2:3], s[8:9] scale_offset
	s_wait_xcnt 0x0
	s_or_b32 exec_lo, exec_lo, s0
	s_delay_alu instid0(SALU_CYCLE_1)
	s_mov_b32 s0, exec_lo
	v_cmpx_gt_i32_e64 s1, v0
	s_cbranch_execz .LBB105_32
.LBB105_50:
	s_wait_loadcnt 0x0
	v_mov_b64_e32 v[2:3], 0
	v_add_nc_u32_e32 v1, s2, v0
	v_add_nc_u32_e32 v0, 0x100, v0
	global_store_b64 v1, v[2:3], s[8:9] scale_offset
	s_wait_xcnt 0x0
	s_or_b32 exec_lo, exec_lo, s0
	s_delay_alu instid0(SALU_CYCLE_1)
	s_mov_b32 s0, exec_lo
	v_cmpx_gt_i32_e64 s1, v0
	s_cbranch_execnz .LBB105_33
	s_branch .LBB105_34
.LBB105_51:
	s_mov_b32 s3, exec_lo
	s_trap 2
	s_branch .LBB105_12
	.section	.rodata,"a",@progbits
	.p2align	6, 0x0
	.amdhsa_kernel _ZN2at6native29vectorized_elementwise_kernelILi8EZZZNS0_12_GLOBAL__N_142_validate_compressed_sparse_indices_kernelILNS2_8CDimNameE1ENS2_18CUDAKernelLauncherENS2_14EmptyVecKernelENS2_8DummyVecELm0EEEvRKNS_6TensorESA_lllENKUlvE0_clEvENKUlvE0_clEvEUllE_St5arrayIPcLm2EEEEviT0_T1_
		.amdhsa_group_segment_fixed_size 0
		.amdhsa_private_segment_fixed_size 0
		.amdhsa_kernarg_size 40
		.amdhsa_user_sgpr_count 2
		.amdhsa_user_sgpr_dispatch_ptr 0
		.amdhsa_user_sgpr_queue_ptr 0
		.amdhsa_user_sgpr_kernarg_segment_ptr 1
		.amdhsa_user_sgpr_dispatch_id 0
		.amdhsa_user_sgpr_kernarg_preload_length 0
		.amdhsa_user_sgpr_kernarg_preload_offset 0
		.amdhsa_user_sgpr_private_segment_size 0
		.amdhsa_wavefront_size32 1
		.amdhsa_uses_dynamic_stack 0
		.amdhsa_enable_private_segment 0
		.amdhsa_system_sgpr_workgroup_id_x 1
		.amdhsa_system_sgpr_workgroup_id_y 0
		.amdhsa_system_sgpr_workgroup_id_z 0
		.amdhsa_system_sgpr_workgroup_info 0
		.amdhsa_system_vgpr_workitem_id 0
		.amdhsa_next_free_vgpr 12
		.amdhsa_next_free_sgpr 28
		.amdhsa_named_barrier_count 0
		.amdhsa_reserve_vcc 1
		.amdhsa_float_round_mode_32 0
		.amdhsa_float_round_mode_16_64 0
		.amdhsa_float_denorm_mode_32 3
		.amdhsa_float_denorm_mode_16_64 3
		.amdhsa_fp16_overflow 0
		.amdhsa_memory_ordered 1
		.amdhsa_forward_progress 1
		.amdhsa_inst_pref_size 13
		.amdhsa_round_robin_scheduling 0
		.amdhsa_exception_fp_ieee_invalid_op 0
		.amdhsa_exception_fp_denorm_src 0
		.amdhsa_exception_fp_ieee_div_zero 0
		.amdhsa_exception_fp_ieee_overflow 0
		.amdhsa_exception_fp_ieee_underflow 0
		.amdhsa_exception_fp_ieee_inexact 0
		.amdhsa_exception_int_div_zero 0
	.end_amdhsa_kernel
	.section	.text._ZN2at6native29vectorized_elementwise_kernelILi8EZZZNS0_12_GLOBAL__N_142_validate_compressed_sparse_indices_kernelILNS2_8CDimNameE1ENS2_18CUDAKernelLauncherENS2_14EmptyVecKernelENS2_8DummyVecELm0EEEvRKNS_6TensorESA_lllENKUlvE0_clEvENKUlvE0_clEvEUllE_St5arrayIPcLm2EEEEviT0_T1_,"axG",@progbits,_ZN2at6native29vectorized_elementwise_kernelILi8EZZZNS0_12_GLOBAL__N_142_validate_compressed_sparse_indices_kernelILNS2_8CDimNameE1ENS2_18CUDAKernelLauncherENS2_14EmptyVecKernelENS2_8DummyVecELm0EEEvRKNS_6TensorESA_lllENKUlvE0_clEvENKUlvE0_clEvEUllE_St5arrayIPcLm2EEEEviT0_T1_,comdat
.Lfunc_end105:
	.size	_ZN2at6native29vectorized_elementwise_kernelILi8EZZZNS0_12_GLOBAL__N_142_validate_compressed_sparse_indices_kernelILNS2_8CDimNameE1ENS2_18CUDAKernelLauncherENS2_14EmptyVecKernelENS2_8DummyVecELm0EEEvRKNS_6TensorESA_lllENKUlvE0_clEvENKUlvE0_clEvEUllE_St5arrayIPcLm2EEEEviT0_T1_, .Lfunc_end105-_ZN2at6native29vectorized_elementwise_kernelILi8EZZZNS0_12_GLOBAL__N_142_validate_compressed_sparse_indices_kernelILNS2_8CDimNameE1ENS2_18CUDAKernelLauncherENS2_14EmptyVecKernelENS2_8DummyVecELm0EEEvRKNS_6TensorESA_lllENKUlvE0_clEvENKUlvE0_clEvEUllE_St5arrayIPcLm2EEEEviT0_T1_
                                        ; -- End function
	.set _ZN2at6native29vectorized_elementwise_kernelILi8EZZZNS0_12_GLOBAL__N_142_validate_compressed_sparse_indices_kernelILNS2_8CDimNameE1ENS2_18CUDAKernelLauncherENS2_14EmptyVecKernelENS2_8DummyVecELm0EEEvRKNS_6TensorESA_lllENKUlvE0_clEvENKUlvE0_clEvEUllE_St5arrayIPcLm2EEEEviT0_T1_.num_vgpr, 12
	.set _ZN2at6native29vectorized_elementwise_kernelILi8EZZZNS0_12_GLOBAL__N_142_validate_compressed_sparse_indices_kernelILNS2_8CDimNameE1ENS2_18CUDAKernelLauncherENS2_14EmptyVecKernelENS2_8DummyVecELm0EEEvRKNS_6TensorESA_lllENKUlvE0_clEvENKUlvE0_clEvEUllE_St5arrayIPcLm2EEEEviT0_T1_.num_agpr, 0
	.set _ZN2at6native29vectorized_elementwise_kernelILi8EZZZNS0_12_GLOBAL__N_142_validate_compressed_sparse_indices_kernelILNS2_8CDimNameE1ENS2_18CUDAKernelLauncherENS2_14EmptyVecKernelENS2_8DummyVecELm0EEEvRKNS_6TensorESA_lllENKUlvE0_clEvENKUlvE0_clEvEUllE_St5arrayIPcLm2EEEEviT0_T1_.numbered_sgpr, 28
	.set _ZN2at6native29vectorized_elementwise_kernelILi8EZZZNS0_12_GLOBAL__N_142_validate_compressed_sparse_indices_kernelILNS2_8CDimNameE1ENS2_18CUDAKernelLauncherENS2_14EmptyVecKernelENS2_8DummyVecELm0EEEvRKNS_6TensorESA_lllENKUlvE0_clEvENKUlvE0_clEvEUllE_St5arrayIPcLm2EEEEviT0_T1_.num_named_barrier, 0
	.set _ZN2at6native29vectorized_elementwise_kernelILi8EZZZNS0_12_GLOBAL__N_142_validate_compressed_sparse_indices_kernelILNS2_8CDimNameE1ENS2_18CUDAKernelLauncherENS2_14EmptyVecKernelENS2_8DummyVecELm0EEEvRKNS_6TensorESA_lllENKUlvE0_clEvENKUlvE0_clEvEUllE_St5arrayIPcLm2EEEEviT0_T1_.private_seg_size, 0
	.set _ZN2at6native29vectorized_elementwise_kernelILi8EZZZNS0_12_GLOBAL__N_142_validate_compressed_sparse_indices_kernelILNS2_8CDimNameE1ENS2_18CUDAKernelLauncherENS2_14EmptyVecKernelENS2_8DummyVecELm0EEEvRKNS_6TensorESA_lllENKUlvE0_clEvENKUlvE0_clEvEUllE_St5arrayIPcLm2EEEEviT0_T1_.uses_vcc, 1
	.set _ZN2at6native29vectorized_elementwise_kernelILi8EZZZNS0_12_GLOBAL__N_142_validate_compressed_sparse_indices_kernelILNS2_8CDimNameE1ENS2_18CUDAKernelLauncherENS2_14EmptyVecKernelENS2_8DummyVecELm0EEEvRKNS_6TensorESA_lllENKUlvE0_clEvENKUlvE0_clEvEUllE_St5arrayIPcLm2EEEEviT0_T1_.uses_flat_scratch, 0
	.set _ZN2at6native29vectorized_elementwise_kernelILi8EZZZNS0_12_GLOBAL__N_142_validate_compressed_sparse_indices_kernelILNS2_8CDimNameE1ENS2_18CUDAKernelLauncherENS2_14EmptyVecKernelENS2_8DummyVecELm0EEEvRKNS_6TensorESA_lllENKUlvE0_clEvENKUlvE0_clEvEUllE_St5arrayIPcLm2EEEEviT0_T1_.has_dyn_sized_stack, 0
	.set _ZN2at6native29vectorized_elementwise_kernelILi8EZZZNS0_12_GLOBAL__N_142_validate_compressed_sparse_indices_kernelILNS2_8CDimNameE1ENS2_18CUDAKernelLauncherENS2_14EmptyVecKernelENS2_8DummyVecELm0EEEvRKNS_6TensorESA_lllENKUlvE0_clEvENKUlvE0_clEvEUllE_St5arrayIPcLm2EEEEviT0_T1_.has_recursion, 0
	.set _ZN2at6native29vectorized_elementwise_kernelILi8EZZZNS0_12_GLOBAL__N_142_validate_compressed_sparse_indices_kernelILNS2_8CDimNameE1ENS2_18CUDAKernelLauncherENS2_14EmptyVecKernelENS2_8DummyVecELm0EEEvRKNS_6TensorESA_lllENKUlvE0_clEvENKUlvE0_clEvEUllE_St5arrayIPcLm2EEEEviT0_T1_.has_indirect_call, 0
	.section	.AMDGPU.csdata,"",@progbits
; Kernel info:
; codeLenInByte = 1580
; TotalNumSgprs: 30
; NumVgprs: 12
; ScratchSize: 0
; MemoryBound: 1
; FloatMode: 240
; IeeeMode: 1
; LDSByteSize: 0 bytes/workgroup (compile time only)
; SGPRBlocks: 0
; VGPRBlocks: 0
; NumSGPRsForWavesPerEU: 30
; NumVGPRsForWavesPerEU: 12
; NamedBarCnt: 0
; Occupancy: 16
; WaveLimiterHint : 0
; COMPUTE_PGM_RSRC2:SCRATCH_EN: 0
; COMPUTE_PGM_RSRC2:USER_SGPR: 2
; COMPUTE_PGM_RSRC2:TRAP_HANDLER: 0
; COMPUTE_PGM_RSRC2:TGID_X_EN: 1
; COMPUTE_PGM_RSRC2:TGID_Y_EN: 0
; COMPUTE_PGM_RSRC2:TGID_Z_EN: 0
; COMPUTE_PGM_RSRC2:TIDIG_COMP_CNT: 0
	.section	.text._ZN2at6native29vectorized_elementwise_kernelILi4EZZZNS0_12_GLOBAL__N_142_validate_compressed_sparse_indices_kernelILNS2_8CDimNameE1ENS2_18CUDAKernelLauncherENS2_14EmptyVecKernelENS2_8DummyVecELm0EEEvRKNS_6TensorESA_lllENKUlvE0_clEvENKUlvE0_clEvEUllE_St5arrayIPcLm2EEEEviT0_T1_,"axG",@progbits,_ZN2at6native29vectorized_elementwise_kernelILi4EZZZNS0_12_GLOBAL__N_142_validate_compressed_sparse_indices_kernelILNS2_8CDimNameE1ENS2_18CUDAKernelLauncherENS2_14EmptyVecKernelENS2_8DummyVecELm0EEEvRKNS_6TensorESA_lllENKUlvE0_clEvENKUlvE0_clEvEUllE_St5arrayIPcLm2EEEEviT0_T1_,comdat
	.globl	_ZN2at6native29vectorized_elementwise_kernelILi4EZZZNS0_12_GLOBAL__N_142_validate_compressed_sparse_indices_kernelILNS2_8CDimNameE1ENS2_18CUDAKernelLauncherENS2_14EmptyVecKernelENS2_8DummyVecELm0EEEvRKNS_6TensorESA_lllENKUlvE0_clEvENKUlvE0_clEvEUllE_St5arrayIPcLm2EEEEviT0_T1_ ; -- Begin function _ZN2at6native29vectorized_elementwise_kernelILi4EZZZNS0_12_GLOBAL__N_142_validate_compressed_sparse_indices_kernelILNS2_8CDimNameE1ENS2_18CUDAKernelLauncherENS2_14EmptyVecKernelENS2_8DummyVecELm0EEEvRKNS_6TensorESA_lllENKUlvE0_clEvENKUlvE0_clEvEUllE_St5arrayIPcLm2EEEEviT0_T1_
	.p2align	8
	.type	_ZN2at6native29vectorized_elementwise_kernelILi4EZZZNS0_12_GLOBAL__N_142_validate_compressed_sparse_indices_kernelILNS2_8CDimNameE1ENS2_18CUDAKernelLauncherENS2_14EmptyVecKernelENS2_8DummyVecELm0EEEvRKNS_6TensorESA_lllENKUlvE0_clEvENKUlvE0_clEvEUllE_St5arrayIPcLm2EEEEviT0_T1_,@function
_ZN2at6native29vectorized_elementwise_kernelILi4EZZZNS0_12_GLOBAL__N_142_validate_compressed_sparse_indices_kernelILNS2_8CDimNameE1ENS2_18CUDAKernelLauncherENS2_14EmptyVecKernelENS2_8DummyVecELm0EEEvRKNS_6TensorESA_lllENKUlvE0_clEvENKUlvE0_clEvEUllE_St5arrayIPcLm2EEEEviT0_T1_: ; @_ZN2at6native29vectorized_elementwise_kernelILi4EZZZNS0_12_GLOBAL__N_142_validate_compressed_sparse_indices_kernelILNS2_8CDimNameE1ENS2_18CUDAKernelLauncherENS2_14EmptyVecKernelENS2_8DummyVecELm0EEEvRKNS_6TensorESA_lllENKUlvE0_clEvENKUlvE0_clEvEUllE_St5arrayIPcLm2EEEEviT0_T1_
; %bb.0:
	s_clause 0x1
	s_load_b32 s3, s[0:1], 0x0
	s_load_b256 s[4:11], s[0:1], 0x8
	s_wait_xcnt 0x0
	s_bfe_u32 s0, ttmp6, 0x4000c
	s_and_b32 s1, ttmp6, 15
	s_add_co_i32 s0, s0, 1
	s_getreg_b32 s2, hwreg(HW_REG_IB_STS2, 6, 4)
	s_mul_i32 s0, ttmp9, s0
	s_mov_b32 s18, 0
	s_add_co_i32 s1, s1, s0
	s_cmp_eq_u32 s2, 0
	s_get_pc_i64 s[12:13]
	s_add_nc_u64 s[12:13], s[12:13], .str.5@rel64+4
	s_cselect_b32 s0, ttmp9, s1
	s_delay_alu instid0(SALU_CYCLE_1)
	s_lshl_b32 s2, s0, 10
	s_mov_b32 s0, -1
	s_wait_kmcnt 0x0
	s_sub_co_i32 s1, s3, s2
	s_mov_b32 s3, 0
	s_cmp_gt_i32 s1, 0x3ff
	s_cbranch_scc0 .LBB106_13
; %bb.1:
	s_cmp_eq_u64 s[12:13], 0
	s_cselect_b32 s19, -1, 0
	s_cmp_lg_u64 s[12:13], 0
	s_cbranch_scc0 .LBB106_11
; %bb.2:
	s_ashr_i32 s3, s2, 31
	v_lshlrev_b32_e32 v6, 5, v0
	s_lshl_b64 s[14:15], s[2:3], 3
	s_delay_alu instid0(SALU_CYCLE_1)
	s_add_nc_u64 s[16:17], s[10:11], s[14:15]
	global_load_b64 v[2:3], v6, s[16:17]
	s_wait_loadcnt 0x0
	v_cmp_le_i64_e32 vcc_lo, s[4:5], v[2:3]
	v_cmp_gt_i64_e64 s0, s[6:7], v[2:3]
	s_and_b32 s0, vcc_lo, s0
	s_delay_alu instid0(SALU_CYCLE_1)
	s_xor_b32 s19, s0, -1
	s_and_saveexec_b32 s3, s0
	s_cbranch_execz .LBB106_10
; %bb.3:
	v_mov_b32_e32 v7, 0
	s_delay_alu instid0(VALU_DEP_1)
	v_add_nc_u64_e32 v[10:11], s[16:17], v[6:7]
	s_clause 0x1
	global_load_b128 v[2:5], v[10:11], off offset:8
	global_load_b64 v[8:9], v[10:11], off offset:24
	s_wait_loadcnt 0x1
	v_cmp_le_i64_e32 vcc_lo, s[4:5], v[2:3]
	v_cmp_gt_i64_e64 s0, s[6:7], v[2:3]
	s_and_b32 s0, vcc_lo, s0
	s_delay_alu instid0(SALU_CYCLE_1)
	s_xor_b32 s16, s0, -1
	s_wait_xcnt 0x0
	s_and_saveexec_b32 s17, s0
	s_cbranch_execz .LBB106_9
; %bb.4:
	v_cmp_le_i64_e32 vcc_lo, s[4:5], v[4:5]
	v_cmp_gt_i64_e64 s0, s[6:7], v[4:5]
	s_mov_b32 s22, -1
	s_and_b32 s0, vcc_lo, s0
	s_delay_alu instid0(SALU_CYCLE_1)
	s_xor_b32 s20, s0, -1
	s_and_saveexec_b32 s21, s0
	s_cbranch_execz .LBB106_8
; %bb.5:
	s_wait_loadcnt 0x0
	v_cmp_le_i64_e32 vcc_lo, s[4:5], v[8:9]
	v_cmp_gt_i64_e64 s0, s[6:7], v[8:9]
	s_and_b32 s0, vcc_lo, s0
	s_delay_alu instid0(SALU_CYCLE_1) | instskip(NEXT) | instid1(SALU_CYCLE_1)
	s_and_saveexec_b32 s23, s0
	s_xor_b32 s0, exec_lo, s23
; %bb.6:
	s_mov_b32 s24, 0
	s_add_nc_u64 s[14:15], s[8:9], s[14:15]
	s_mov_b32 s25, s24
	s_mov_b32 s26, s24
	;; [unrolled: 1-line block ×3, first 2 shown]
	v_mov_b64_e32 v[2:3], s[24:25]
	v_mov_b64_e32 v[4:5], s[26:27]
	s_xor_b32 s22, exec_lo, -1
	s_clause 0x1
	global_store_b128 v6, v[2:5], s[14:15]
	global_store_b128 v6, v[2:5], s[14:15] offset:16
; %bb.7:
	s_wait_xcnt 0x0
	s_or_b32 exec_lo, exec_lo, s0
	s_delay_alu instid0(SALU_CYCLE_1) | instskip(SKIP_1) | instid1(SALU_CYCLE_1)
	s_and_not1_b32 s0, s20, exec_lo
	s_and_b32 s14, s22, exec_lo
	s_or_b32 s20, s0, s14
.LBB106_8:
	s_or_b32 exec_lo, exec_lo, s21
	s_delay_alu instid0(SALU_CYCLE_1) | instskip(SKIP_1) | instid1(SALU_CYCLE_1)
	s_and_not1_b32 s0, s16, exec_lo
	s_and_b32 s14, s20, exec_lo
	s_or_b32 s16, s0, s14
.LBB106_9:
	s_or_b32 exec_lo, exec_lo, s17
	s_delay_alu instid0(SALU_CYCLE_1) | instskip(SKIP_1) | instid1(SALU_CYCLE_1)
	s_and_not1_b32 s0, s19, exec_lo
	s_and_b32 s14, s16, exec_lo
	s_or_b32 s19, s0, s14
.LBB106_10:
	s_or_b32 exec_lo, exec_lo, s3
.LBB106_11:
	s_mov_b32 s0, 0
	s_mov_b32 s3, 0
	s_and_saveexec_b32 s14, s19
	s_delay_alu instid0(SALU_CYCLE_1)
	s_xor_b32 s14, exec_lo, s14
	s_cbranch_execnz .LBB106_51
.LBB106_12:
	s_or_b32 exec_lo, exec_lo, s14
.LBB106_13:
	s_delay_alu instid0(SALU_CYCLE_1)
	s_and_b32 vcc_lo, exec_lo, s0
	s_cbranch_vccz .LBB106_26
; %bb.14:
	v_mov_b64_e32 v[4:5], 0
	s_wait_loadcnt 0x0
	v_mov_b64_e32 v[8:9], 0
	v_cmp_le_i32_e64 s15, s1, v0
	v_cmp_gt_i32_e64 s14, s1, v0
	v_or_b32_e32 v1, 0x100, v0
	v_mov_b32_e32 v10, v0
	s_and_saveexec_b32 s0, s14
	s_cbranch_execz .LBB106_16
; %bb.15:
	v_or_b32_e32 v2, s2, v0
	v_or_b32_e32 v10, 0x100, v0
	global_load_b64 v[8:9], v2, s[10:11] scale_offset
.LBB106_16:
	s_wait_xcnt 0x0
	s_or_b32 exec_lo, exec_lo, s0
	s_delay_alu instid0(SALU_CYCLE_1)
	s_mov_b32 s0, exec_lo
	v_cmpx_gt_i32_e64 s1, v10
	s_cbranch_execz .LBB106_18
; %bb.17:
	v_add_nc_u32_e32 v2, s2, v10
	v_add_nc_u32_e32 v10, 0x100, v10
	global_load_b64 v[4:5], v2, s[10:11] scale_offset
.LBB106_18:
	s_wait_xcnt 0x0
	s_or_b32 exec_lo, exec_lo, s0
	v_mov_b64_e32 v[2:3], 0
	v_mov_b64_e32 v[6:7], 0
	s_mov_b32 s0, exec_lo
	v_cmpx_gt_i32_e64 s1, v10
	s_cbranch_execz .LBB106_20
; %bb.19:
	v_add_nc_u32_e32 v6, s2, v10
	v_add_nc_u32_e32 v10, 0x100, v10
	global_load_b64 v[6:7], v6, s[10:11] scale_offset
.LBB106_20:
	s_wait_xcnt 0x0
	s_or_b32 exec_lo, exec_lo, s0
	s_delay_alu instid0(SALU_CYCLE_1)
	s_mov_b32 s0, exec_lo
	v_cmpx_gt_i32_e64 s1, v10
	s_cbranch_execz .LBB106_22
; %bb.21:
	v_add_nc_u32_e32 v2, s2, v10
	global_load_b64 v[2:3], v2, s[10:11] scale_offset
.LBB106_22:
	s_wait_xcnt 0x0
	s_or_b32 exec_lo, exec_lo, s0
	s_cmp_lg_u64 s[12:13], 0
	s_mov_b32 s10, 0
	s_cselect_b32 s12, -1, 0
	s_and_saveexec_b32 s11, s14
	s_cbranch_execnz .LBB106_35
; %bb.23:
	s_or_b32 exec_lo, exec_lo, s11
	s_and_saveexec_b32 s11, s15
	s_cbranch_execnz .LBB106_36
.LBB106_24:
	s_or_b32 exec_lo, exec_lo, s11
	s_and_saveexec_b32 s0, s10
	s_cbranch_execnz .LBB106_47
.LBB106_25:
	s_or_b32 exec_lo, exec_lo, s0
	s_and_saveexec_b32 s0, s3
	s_cbranch_execnz .LBB106_27
	s_branch .LBB106_28
.LBB106_26:
                                        ; implicit-def: $sgpr14
                                        ; implicit-def: $vgpr1
                                        ; implicit-def: $vgpr0
	s_and_saveexec_b32 s0, s3
.LBB106_27:
	; divergent unreachable
.LBB106_28:
	s_delay_alu instid0(SALU_CYCLE_1) | instskip(SKIP_1) | instid1(SALU_CYCLE_1)
	s_or_b32 exec_lo, exec_lo, s0
	s_and_saveexec_b32 s0, s18
	s_xor_b32 s0, exec_lo, s0
	s_cbranch_execz .LBB106_34
; %bb.29:
	s_and_saveexec_b32 s0, s14
	s_delay_alu instid0(SALU_CYCLE_1)
	s_xor_b32 s0, exec_lo, s0
	s_cbranch_execnz .LBB106_48
; %bb.30:
	s_or_b32 exec_lo, exec_lo, s0
	s_delay_alu instid0(SALU_CYCLE_1)
	s_mov_b32 s0, exec_lo
	v_cmpx_gt_i32_e64 s1, v0
	s_cbranch_execnz .LBB106_49
.LBB106_31:
	s_or_b32 exec_lo, exec_lo, s0
	s_delay_alu instid0(SALU_CYCLE_1)
	s_mov_b32 s0, exec_lo
	v_cmpx_gt_i32_e64 s1, v0
	s_cbranch_execnz .LBB106_50
.LBB106_32:
	s_or_b32 exec_lo, exec_lo, s0
	s_delay_alu instid0(SALU_CYCLE_1)
	s_mov_b32 s0, exec_lo
	v_cmpx_gt_i32_e64 s1, v0
	s_cbranch_execz .LBB106_34
.LBB106_33:
	s_wait_loadcnt 0x0
	v_mov_b64_e32 v[2:3], 0
	v_add_nc_u32_e32 v0, s2, v0
	global_store_b64 v0, v[2:3], s[8:9] scale_offset
.LBB106_34:
	s_endpgm
.LBB106_35:
	s_wait_loadcnt 0x0
	v_cmp_le_i64_e32 vcc_lo, s[4:5], v[8:9]
	v_cmp_gt_i64_e64 s0, s[6:7], v[8:9]
	s_and_not1_b32 s13, s15, exec_lo
	s_mov_b32 s10, exec_lo
	s_and_b32 s0, vcc_lo, s0
	s_delay_alu instid0(SALU_CYCLE_1) | instskip(NEXT) | instid1(SALU_CYCLE_1)
	s_and_b32 s0, s12, s0
	s_and_b32 s0, s0, exec_lo
	s_delay_alu instid0(SALU_CYCLE_1)
	s_or_b32 s15, s13, s0
	s_or_b32 exec_lo, exec_lo, s11
	s_and_saveexec_b32 s11, s15
	s_cbranch_execz .LBB106_24
.LBB106_36:
	v_cmp_le_i32_e64 s17, s1, v1
	s_mov_b32 s16, 0
	s_mov_b32 s13, 0
	s_mov_b32 s15, exec_lo
	v_cmpx_gt_i32_e64 s1, v1
	s_cbranch_execz .LBB106_38
; %bb.37:
	s_wait_loadcnt 0x0
	v_cmp_le_i64_e32 vcc_lo, s[4:5], v[4:5]
	v_cmp_gt_i64_e64 s0, s[6:7], v[4:5]
	s_and_not1_b32 s17, s17, exec_lo
	s_mov_b32 s13, exec_lo
	s_and_b32 s0, vcc_lo, s0
	s_delay_alu instid0(SALU_CYCLE_1) | instskip(NEXT) | instid1(SALU_CYCLE_1)
	s_and_b32 s0, s12, s0
	s_and_b32 s0, s0, exec_lo
	s_delay_alu instid0(SALU_CYCLE_1)
	s_or_b32 s17, s17, s0
.LBB106_38:
	s_or_b32 exec_lo, exec_lo, s15
	s_and_saveexec_b32 s15, s17
	s_cbranch_execz .LBB106_46
; %bb.39:
	s_wait_loadcnt 0x0
	v_or_b32_e32 v4, 0x200, v0
	s_mov_b32 s17, exec_lo
	s_delay_alu instid0(VALU_DEP_1)
	v_cmp_le_i32_e64 s19, s1, v4
	v_cmpx_gt_i32_e64 s1, v4
; %bb.40:
	v_cmp_le_i64_e32 vcc_lo, s[4:5], v[6:7]
	v_cmp_gt_i64_e64 s0, s[6:7], v[6:7]
	s_and_not1_b32 s19, s19, exec_lo
	s_mov_b32 s16, exec_lo
	s_and_b32 s0, vcc_lo, s0
	s_delay_alu instid0(SALU_CYCLE_1) | instskip(NEXT) | instid1(SALU_CYCLE_1)
	s_and_b32 s0, s12, s0
	s_and_b32 s0, s0, exec_lo
	s_delay_alu instid0(SALU_CYCLE_1)
	s_or_b32 s19, s19, s0
; %bb.41:
	s_or_b32 exec_lo, exec_lo, s17
	s_and_saveexec_b32 s17, s19
	s_cbranch_execz .LBB106_45
; %bb.42:
	v_or_b32_e32 v4, 0x300, v0
	s_mov_b32 s0, 0
	s_mov_b32 s19, exec_lo
	s_delay_alu instid0(VALU_DEP_1)
	v_cmp_le_i32_e64 s18, s1, v4
	v_cmpx_gt_i32_e64 s1, v4
	s_xor_b32 s19, exec_lo, s19
; %bb.43:
	v_cmp_le_i64_e32 vcc_lo, s[4:5], v[2:3]
	v_cmp_gt_i64_e64 s0, s[6:7], v[2:3]
	s_or_b32 s18, s18, exec_lo
	s_and_b32 s0, vcc_lo, s0
	s_delay_alu instid0(SALU_CYCLE_1) | instskip(NEXT) | instid1(SALU_CYCLE_1)
	s_and_b32 s0, s12, s0
	s_xor_b32 s0, s0, -1
	s_delay_alu instid0(SALU_CYCLE_1)
	s_and_b32 s0, s0, exec_lo
; %bb.44:
	s_or_b32 exec_lo, exec_lo, s19
	s_delay_alu instid0(SALU_CYCLE_1)
	s_and_not1_b32 s4, s16, exec_lo
	s_and_b32 s0, s0, exec_lo
	s_and_b32 s18, s18, exec_lo
	s_or_b32 s16, s4, s0
.LBB106_45:
	s_or_b32 exec_lo, exec_lo, s17
	s_delay_alu instid0(SALU_CYCLE_1)
	s_and_not1_b32 s0, s13, exec_lo
	s_and_b32 s4, s16, exec_lo
	s_and_b32 s16, s18, exec_lo
	s_or_b32 s13, s0, s4
.LBB106_46:
	s_or_b32 exec_lo, exec_lo, s15
	s_delay_alu instid0(SALU_CYCLE_1)
	s_and_not1_b32 s0, s10, exec_lo
	s_and_b32 s4, s13, exec_lo
	s_and_b32 s18, s16, exec_lo
	s_or_b32 s10, s0, s4
	s_or_b32 exec_lo, exec_lo, s11
	s_and_saveexec_b32 s0, s10
	s_cbranch_execz .LBB106_25
.LBB106_47:
	s_and_not1_b32 s18, s18, exec_lo
	s_or_b32 s3, s3, exec_lo
	s_trap 2
	s_or_b32 exec_lo, exec_lo, s0
	s_and_saveexec_b32 s0, s3
	s_cbranch_execnz .LBB106_27
	s_branch .LBB106_28
.LBB106_48:
	s_wait_loadcnt 0x0
	v_mov_b64_e32 v[2:3], 0
	v_dual_mov_b32 v0, v1 :: v_dual_bitop2_b32 v4, s2, v0 bitop3:0x54
	global_store_b64 v4, v[2:3], s[8:9] scale_offset
	s_wait_xcnt 0x0
	s_or_b32 exec_lo, exec_lo, s0
	s_delay_alu instid0(SALU_CYCLE_1)
	s_mov_b32 s0, exec_lo
	v_cmpx_gt_i32_e64 s1, v0
	s_cbranch_execz .LBB106_31
.LBB106_49:
	s_wait_loadcnt 0x0
	v_mov_b64_e32 v[2:3], 0
	v_add_nc_u32_e32 v1, s2, v0
	v_add_nc_u32_e32 v0, 0x100, v0
	global_store_b64 v1, v[2:3], s[8:9] scale_offset
	s_wait_xcnt 0x0
	s_or_b32 exec_lo, exec_lo, s0
	s_delay_alu instid0(SALU_CYCLE_1)
	s_mov_b32 s0, exec_lo
	v_cmpx_gt_i32_e64 s1, v0
	s_cbranch_execz .LBB106_32
.LBB106_50:
	s_wait_loadcnt 0x0
	v_mov_b64_e32 v[2:3], 0
	v_add_nc_u32_e32 v1, s2, v0
	v_add_nc_u32_e32 v0, 0x100, v0
	global_store_b64 v1, v[2:3], s[8:9] scale_offset
	s_wait_xcnt 0x0
	s_or_b32 exec_lo, exec_lo, s0
	s_delay_alu instid0(SALU_CYCLE_1)
	s_mov_b32 s0, exec_lo
	v_cmpx_gt_i32_e64 s1, v0
	s_cbranch_execnz .LBB106_33
	s_branch .LBB106_34
.LBB106_51:
	s_mov_b32 s3, exec_lo
	s_trap 2
	s_branch .LBB106_12
	.section	.rodata,"a",@progbits
	.p2align	6, 0x0
	.amdhsa_kernel _ZN2at6native29vectorized_elementwise_kernelILi4EZZZNS0_12_GLOBAL__N_142_validate_compressed_sparse_indices_kernelILNS2_8CDimNameE1ENS2_18CUDAKernelLauncherENS2_14EmptyVecKernelENS2_8DummyVecELm0EEEvRKNS_6TensorESA_lllENKUlvE0_clEvENKUlvE0_clEvEUllE_St5arrayIPcLm2EEEEviT0_T1_
		.amdhsa_group_segment_fixed_size 0
		.amdhsa_private_segment_fixed_size 0
		.amdhsa_kernarg_size 40
		.amdhsa_user_sgpr_count 2
		.amdhsa_user_sgpr_dispatch_ptr 0
		.amdhsa_user_sgpr_queue_ptr 0
		.amdhsa_user_sgpr_kernarg_segment_ptr 1
		.amdhsa_user_sgpr_dispatch_id 0
		.amdhsa_user_sgpr_kernarg_preload_length 0
		.amdhsa_user_sgpr_kernarg_preload_offset 0
		.amdhsa_user_sgpr_private_segment_size 0
		.amdhsa_wavefront_size32 1
		.amdhsa_uses_dynamic_stack 0
		.amdhsa_enable_private_segment 0
		.amdhsa_system_sgpr_workgroup_id_x 1
		.amdhsa_system_sgpr_workgroup_id_y 0
		.amdhsa_system_sgpr_workgroup_id_z 0
		.amdhsa_system_sgpr_workgroup_info 0
		.amdhsa_system_vgpr_workitem_id 0
		.amdhsa_next_free_vgpr 12
		.amdhsa_next_free_sgpr 28
		.amdhsa_named_barrier_count 0
		.amdhsa_reserve_vcc 1
		.amdhsa_float_round_mode_32 0
		.amdhsa_float_round_mode_16_64 0
		.amdhsa_float_denorm_mode_32 3
		.amdhsa_float_denorm_mode_16_64 3
		.amdhsa_fp16_overflow 0
		.amdhsa_memory_ordered 1
		.amdhsa_forward_progress 1
		.amdhsa_inst_pref_size 13
		.amdhsa_round_robin_scheduling 0
		.amdhsa_exception_fp_ieee_invalid_op 0
		.amdhsa_exception_fp_denorm_src 0
		.amdhsa_exception_fp_ieee_div_zero 0
		.amdhsa_exception_fp_ieee_overflow 0
		.amdhsa_exception_fp_ieee_underflow 0
		.amdhsa_exception_fp_ieee_inexact 0
		.amdhsa_exception_int_div_zero 0
	.end_amdhsa_kernel
	.section	.text._ZN2at6native29vectorized_elementwise_kernelILi4EZZZNS0_12_GLOBAL__N_142_validate_compressed_sparse_indices_kernelILNS2_8CDimNameE1ENS2_18CUDAKernelLauncherENS2_14EmptyVecKernelENS2_8DummyVecELm0EEEvRKNS_6TensorESA_lllENKUlvE0_clEvENKUlvE0_clEvEUllE_St5arrayIPcLm2EEEEviT0_T1_,"axG",@progbits,_ZN2at6native29vectorized_elementwise_kernelILi4EZZZNS0_12_GLOBAL__N_142_validate_compressed_sparse_indices_kernelILNS2_8CDimNameE1ENS2_18CUDAKernelLauncherENS2_14EmptyVecKernelENS2_8DummyVecELm0EEEvRKNS_6TensorESA_lllENKUlvE0_clEvENKUlvE0_clEvEUllE_St5arrayIPcLm2EEEEviT0_T1_,comdat
.Lfunc_end106:
	.size	_ZN2at6native29vectorized_elementwise_kernelILi4EZZZNS0_12_GLOBAL__N_142_validate_compressed_sparse_indices_kernelILNS2_8CDimNameE1ENS2_18CUDAKernelLauncherENS2_14EmptyVecKernelENS2_8DummyVecELm0EEEvRKNS_6TensorESA_lllENKUlvE0_clEvENKUlvE0_clEvEUllE_St5arrayIPcLm2EEEEviT0_T1_, .Lfunc_end106-_ZN2at6native29vectorized_elementwise_kernelILi4EZZZNS0_12_GLOBAL__N_142_validate_compressed_sparse_indices_kernelILNS2_8CDimNameE1ENS2_18CUDAKernelLauncherENS2_14EmptyVecKernelENS2_8DummyVecELm0EEEvRKNS_6TensorESA_lllENKUlvE0_clEvENKUlvE0_clEvEUllE_St5arrayIPcLm2EEEEviT0_T1_
                                        ; -- End function
	.set _ZN2at6native29vectorized_elementwise_kernelILi4EZZZNS0_12_GLOBAL__N_142_validate_compressed_sparse_indices_kernelILNS2_8CDimNameE1ENS2_18CUDAKernelLauncherENS2_14EmptyVecKernelENS2_8DummyVecELm0EEEvRKNS_6TensorESA_lllENKUlvE0_clEvENKUlvE0_clEvEUllE_St5arrayIPcLm2EEEEviT0_T1_.num_vgpr, 12
	.set _ZN2at6native29vectorized_elementwise_kernelILi4EZZZNS0_12_GLOBAL__N_142_validate_compressed_sparse_indices_kernelILNS2_8CDimNameE1ENS2_18CUDAKernelLauncherENS2_14EmptyVecKernelENS2_8DummyVecELm0EEEvRKNS_6TensorESA_lllENKUlvE0_clEvENKUlvE0_clEvEUllE_St5arrayIPcLm2EEEEviT0_T1_.num_agpr, 0
	.set _ZN2at6native29vectorized_elementwise_kernelILi4EZZZNS0_12_GLOBAL__N_142_validate_compressed_sparse_indices_kernelILNS2_8CDimNameE1ENS2_18CUDAKernelLauncherENS2_14EmptyVecKernelENS2_8DummyVecELm0EEEvRKNS_6TensorESA_lllENKUlvE0_clEvENKUlvE0_clEvEUllE_St5arrayIPcLm2EEEEviT0_T1_.numbered_sgpr, 28
	.set _ZN2at6native29vectorized_elementwise_kernelILi4EZZZNS0_12_GLOBAL__N_142_validate_compressed_sparse_indices_kernelILNS2_8CDimNameE1ENS2_18CUDAKernelLauncherENS2_14EmptyVecKernelENS2_8DummyVecELm0EEEvRKNS_6TensorESA_lllENKUlvE0_clEvENKUlvE0_clEvEUllE_St5arrayIPcLm2EEEEviT0_T1_.num_named_barrier, 0
	.set _ZN2at6native29vectorized_elementwise_kernelILi4EZZZNS0_12_GLOBAL__N_142_validate_compressed_sparse_indices_kernelILNS2_8CDimNameE1ENS2_18CUDAKernelLauncherENS2_14EmptyVecKernelENS2_8DummyVecELm0EEEvRKNS_6TensorESA_lllENKUlvE0_clEvENKUlvE0_clEvEUllE_St5arrayIPcLm2EEEEviT0_T1_.private_seg_size, 0
	.set _ZN2at6native29vectorized_elementwise_kernelILi4EZZZNS0_12_GLOBAL__N_142_validate_compressed_sparse_indices_kernelILNS2_8CDimNameE1ENS2_18CUDAKernelLauncherENS2_14EmptyVecKernelENS2_8DummyVecELm0EEEvRKNS_6TensorESA_lllENKUlvE0_clEvENKUlvE0_clEvEUllE_St5arrayIPcLm2EEEEviT0_T1_.uses_vcc, 1
	.set _ZN2at6native29vectorized_elementwise_kernelILi4EZZZNS0_12_GLOBAL__N_142_validate_compressed_sparse_indices_kernelILNS2_8CDimNameE1ENS2_18CUDAKernelLauncherENS2_14EmptyVecKernelENS2_8DummyVecELm0EEEvRKNS_6TensorESA_lllENKUlvE0_clEvENKUlvE0_clEvEUllE_St5arrayIPcLm2EEEEviT0_T1_.uses_flat_scratch, 0
	.set _ZN2at6native29vectorized_elementwise_kernelILi4EZZZNS0_12_GLOBAL__N_142_validate_compressed_sparse_indices_kernelILNS2_8CDimNameE1ENS2_18CUDAKernelLauncherENS2_14EmptyVecKernelENS2_8DummyVecELm0EEEvRKNS_6TensorESA_lllENKUlvE0_clEvENKUlvE0_clEvEUllE_St5arrayIPcLm2EEEEviT0_T1_.has_dyn_sized_stack, 0
	.set _ZN2at6native29vectorized_elementwise_kernelILi4EZZZNS0_12_GLOBAL__N_142_validate_compressed_sparse_indices_kernelILNS2_8CDimNameE1ENS2_18CUDAKernelLauncherENS2_14EmptyVecKernelENS2_8DummyVecELm0EEEvRKNS_6TensorESA_lllENKUlvE0_clEvENKUlvE0_clEvEUllE_St5arrayIPcLm2EEEEviT0_T1_.has_recursion, 0
	.set _ZN2at6native29vectorized_elementwise_kernelILi4EZZZNS0_12_GLOBAL__N_142_validate_compressed_sparse_indices_kernelILNS2_8CDimNameE1ENS2_18CUDAKernelLauncherENS2_14EmptyVecKernelENS2_8DummyVecELm0EEEvRKNS_6TensorESA_lllENKUlvE0_clEvENKUlvE0_clEvEUllE_St5arrayIPcLm2EEEEviT0_T1_.has_indirect_call, 0
	.section	.AMDGPU.csdata,"",@progbits
; Kernel info:
; codeLenInByte = 1580
; TotalNumSgprs: 30
; NumVgprs: 12
; ScratchSize: 0
; MemoryBound: 1
; FloatMode: 240
; IeeeMode: 1
; LDSByteSize: 0 bytes/workgroup (compile time only)
; SGPRBlocks: 0
; VGPRBlocks: 0
; NumSGPRsForWavesPerEU: 30
; NumVGPRsForWavesPerEU: 12
; NamedBarCnt: 0
; Occupancy: 16
; WaveLimiterHint : 0
; COMPUTE_PGM_RSRC2:SCRATCH_EN: 0
; COMPUTE_PGM_RSRC2:USER_SGPR: 2
; COMPUTE_PGM_RSRC2:TRAP_HANDLER: 0
; COMPUTE_PGM_RSRC2:TGID_X_EN: 1
; COMPUTE_PGM_RSRC2:TGID_Y_EN: 0
; COMPUTE_PGM_RSRC2:TGID_Z_EN: 0
; COMPUTE_PGM_RSRC2:TIDIG_COMP_CNT: 0
	.section	.text._ZN2at6native29vectorized_elementwise_kernelILi2EZZZNS0_12_GLOBAL__N_142_validate_compressed_sparse_indices_kernelILNS2_8CDimNameE1ENS2_18CUDAKernelLauncherENS2_14EmptyVecKernelENS2_8DummyVecELm0EEEvRKNS_6TensorESA_lllENKUlvE0_clEvENKUlvE0_clEvEUllE_St5arrayIPcLm2EEEEviT0_T1_,"axG",@progbits,_ZN2at6native29vectorized_elementwise_kernelILi2EZZZNS0_12_GLOBAL__N_142_validate_compressed_sparse_indices_kernelILNS2_8CDimNameE1ENS2_18CUDAKernelLauncherENS2_14EmptyVecKernelENS2_8DummyVecELm0EEEvRKNS_6TensorESA_lllENKUlvE0_clEvENKUlvE0_clEvEUllE_St5arrayIPcLm2EEEEviT0_T1_,comdat
	.globl	_ZN2at6native29vectorized_elementwise_kernelILi2EZZZNS0_12_GLOBAL__N_142_validate_compressed_sparse_indices_kernelILNS2_8CDimNameE1ENS2_18CUDAKernelLauncherENS2_14EmptyVecKernelENS2_8DummyVecELm0EEEvRKNS_6TensorESA_lllENKUlvE0_clEvENKUlvE0_clEvEUllE_St5arrayIPcLm2EEEEviT0_T1_ ; -- Begin function _ZN2at6native29vectorized_elementwise_kernelILi2EZZZNS0_12_GLOBAL__N_142_validate_compressed_sparse_indices_kernelILNS2_8CDimNameE1ENS2_18CUDAKernelLauncherENS2_14EmptyVecKernelENS2_8DummyVecELm0EEEvRKNS_6TensorESA_lllENKUlvE0_clEvENKUlvE0_clEvEUllE_St5arrayIPcLm2EEEEviT0_T1_
	.p2align	8
	.type	_ZN2at6native29vectorized_elementwise_kernelILi2EZZZNS0_12_GLOBAL__N_142_validate_compressed_sparse_indices_kernelILNS2_8CDimNameE1ENS2_18CUDAKernelLauncherENS2_14EmptyVecKernelENS2_8DummyVecELm0EEEvRKNS_6TensorESA_lllENKUlvE0_clEvENKUlvE0_clEvEUllE_St5arrayIPcLm2EEEEviT0_T1_,@function
_ZN2at6native29vectorized_elementwise_kernelILi2EZZZNS0_12_GLOBAL__N_142_validate_compressed_sparse_indices_kernelILNS2_8CDimNameE1ENS2_18CUDAKernelLauncherENS2_14EmptyVecKernelENS2_8DummyVecELm0EEEvRKNS_6TensorESA_lllENKUlvE0_clEvENKUlvE0_clEvEUllE_St5arrayIPcLm2EEEEviT0_T1_: ; @_ZN2at6native29vectorized_elementwise_kernelILi2EZZZNS0_12_GLOBAL__N_142_validate_compressed_sparse_indices_kernelILNS2_8CDimNameE1ENS2_18CUDAKernelLauncherENS2_14EmptyVecKernelENS2_8DummyVecELm0EEEvRKNS_6TensorESA_lllENKUlvE0_clEvENKUlvE0_clEvEUllE_St5arrayIPcLm2EEEEviT0_T1_
; %bb.0:
	s_clause 0x1
	s_load_b32 s3, s[0:1], 0x0
	s_load_b256 s[4:11], s[0:1], 0x8
	s_wait_xcnt 0x0
	s_bfe_u32 s0, ttmp6, 0x4000c
	s_and_b32 s1, ttmp6, 15
	s_add_co_i32 s0, s0, 1
	s_getreg_b32 s2, hwreg(HW_REG_IB_STS2, 6, 4)
	s_mul_i32 s0, ttmp9, s0
	s_mov_b32 s18, 0
	s_add_co_i32 s1, s1, s0
	s_cmp_eq_u32 s2, 0
	s_get_pc_i64 s[12:13]
	s_add_nc_u64 s[12:13], s[12:13], .str.5@rel64+4
	s_cselect_b32 s0, ttmp9, s1
	s_delay_alu instid0(SALU_CYCLE_1)
	s_lshl_b32 s2, s0, 10
	s_mov_b32 s0, -1
	s_wait_kmcnt 0x0
	s_sub_co_i32 s1, s3, s2
	s_mov_b32 s3, 0
	s_cmp_gt_i32 s1, 0x3ff
	s_cbranch_scc0 .LBB107_13
; %bb.1:
	s_cmp_eq_u64 s[12:13], 0
	s_cselect_b32 s19, -1, 0
	s_cmp_lg_u64 s[12:13], 0
	s_cbranch_scc0 .LBB107_11
; %bb.2:
	s_ashr_i32 s3, s2, 31
	v_lshlrev_b32_e32 v2, 4, v0
	s_lshl_b64 s[14:15], s[2:3], 3
	s_delay_alu instid0(SALU_CYCLE_1)
	s_add_nc_u64 s[16:17], s[10:11], s[14:15]
	global_load_b64 v[4:5], v2, s[16:17]
	s_wait_loadcnt 0x0
	v_cmp_le_i64_e32 vcc_lo, s[4:5], v[4:5]
	v_cmp_gt_i64_e64 s0, s[6:7], v[4:5]
	s_and_b32 s0, vcc_lo, s0
	s_delay_alu instid0(SALU_CYCLE_1)
	s_xor_b32 s19, s0, -1
	s_and_saveexec_b32 s3, s0
	s_cbranch_execz .LBB107_10
; %bb.3:
	v_mov_b32_e32 v3, 0
	s_delay_alu instid0(VALU_DEP_1)
	v_add_nc_u64_e32 v[2:3], s[16:17], v[2:3]
	global_load_b64 v[4:5], v[2:3], off offset:8
	s_wait_loadcnt 0x0
	v_cmp_le_i64_e32 vcc_lo, s[4:5], v[4:5]
	v_cmp_gt_i64_e64 s0, s[6:7], v[4:5]
	s_and_b32 s0, vcc_lo, s0
	s_delay_alu instid0(SALU_CYCLE_1)
	s_xor_b32 s16, s0, -1
	s_and_saveexec_b32 s17, s0
	s_cbranch_execz .LBB107_9
; %bb.4:
	global_load_b128 v[2:5], v[2:3], off offset:4096
	s_mov_b32 s22, -1
	s_wait_loadcnt 0x0
	v_cmp_le_i64_e32 vcc_lo, s[4:5], v[2:3]
	v_cmp_gt_i64_e64 s0, s[6:7], v[2:3]
	s_and_b32 s0, vcc_lo, s0
	s_delay_alu instid0(SALU_CYCLE_1)
	s_xor_b32 s20, s0, -1
	s_and_saveexec_b32 s21, s0
	s_cbranch_execz .LBB107_8
; %bb.5:
	v_cmp_le_i64_e32 vcc_lo, s[4:5], v[4:5]
	v_cmp_gt_i64_e64 s0, s[6:7], v[4:5]
	s_and_b32 s0, vcc_lo, s0
	s_delay_alu instid0(SALU_CYCLE_1) | instskip(NEXT) | instid1(SALU_CYCLE_1)
	s_and_saveexec_b32 s23, s0
	s_xor_b32 s0, exec_lo, s23
; %bb.6:
	s_mov_b32 s24, 0
	s_add_nc_u64 s[14:15], s[8:9], s[14:15]
	s_mov_b32 s25, s24
	s_mov_b32 s26, s24
	;; [unrolled: 1-line block ×3, first 2 shown]
	v_mov_b64_e32 v[2:3], s[24:25]
	v_mov_b64_e32 v[4:5], s[26:27]
	s_xor_b32 s22, exec_lo, -1
	s_clause 0x1
	global_store_b128 v0, v[2:5], s[14:15] scale_offset
	global_store_b128 v0, v[2:5], s[14:15] offset:4096 scale_offset
; %bb.7:
	s_wait_xcnt 0x0
	s_or_b32 exec_lo, exec_lo, s0
	s_delay_alu instid0(SALU_CYCLE_1) | instskip(SKIP_1) | instid1(SALU_CYCLE_1)
	s_and_not1_b32 s0, s20, exec_lo
	s_and_b32 s14, s22, exec_lo
	s_or_b32 s20, s0, s14
.LBB107_8:
	s_or_b32 exec_lo, exec_lo, s21
	s_delay_alu instid0(SALU_CYCLE_1) | instskip(SKIP_1) | instid1(SALU_CYCLE_1)
	s_and_not1_b32 s0, s16, exec_lo
	s_and_b32 s14, s20, exec_lo
	s_or_b32 s16, s0, s14
.LBB107_9:
	s_or_b32 exec_lo, exec_lo, s17
	s_delay_alu instid0(SALU_CYCLE_1) | instskip(SKIP_1) | instid1(SALU_CYCLE_1)
	s_and_not1_b32 s0, s19, exec_lo
	s_and_b32 s14, s16, exec_lo
	s_or_b32 s19, s0, s14
.LBB107_10:
	s_or_b32 exec_lo, exec_lo, s3
.LBB107_11:
	s_mov_b32 s0, 0
	s_mov_b32 s3, 0
	s_and_saveexec_b32 s14, s19
	s_delay_alu instid0(SALU_CYCLE_1)
	s_xor_b32 s14, exec_lo, s14
	s_cbranch_execnz .LBB107_51
.LBB107_12:
	s_or_b32 exec_lo, exec_lo, s14
.LBB107_13:
	s_delay_alu instid0(SALU_CYCLE_1)
	s_and_b32 vcc_lo, exec_lo, s0
	s_cbranch_vccz .LBB107_26
; %bb.14:
	v_mov_b64_e32 v[4:5], 0
	v_mov_b64_e32 v[8:9], 0
	v_cmp_le_i32_e64 s15, s1, v0
	v_cmp_gt_i32_e64 s14, s1, v0
	v_or_b32_e32 v1, 0x100, v0
	v_mov_b32_e32 v10, v0
	s_and_saveexec_b32 s0, s14
	s_cbranch_execz .LBB107_16
; %bb.15:
	v_or_b32_e32 v2, s2, v0
	v_or_b32_e32 v10, 0x100, v0
	global_load_b64 v[8:9], v2, s[10:11] scale_offset
.LBB107_16:
	s_wait_xcnt 0x0
	s_or_b32 exec_lo, exec_lo, s0
	s_delay_alu instid0(SALU_CYCLE_1)
	s_mov_b32 s0, exec_lo
	v_cmpx_gt_i32_e64 s1, v10
	s_cbranch_execz .LBB107_18
; %bb.17:
	v_add_nc_u32_e32 v2, s2, v10
	v_add_nc_u32_e32 v10, 0x100, v10
	global_load_b64 v[4:5], v2, s[10:11] scale_offset
.LBB107_18:
	s_wait_xcnt 0x0
	s_or_b32 exec_lo, exec_lo, s0
	v_mov_b64_e32 v[2:3], 0
	v_mov_b64_e32 v[6:7], 0
	s_mov_b32 s0, exec_lo
	v_cmpx_gt_i32_e64 s1, v10
	s_cbranch_execz .LBB107_20
; %bb.19:
	v_add_nc_u32_e32 v6, s2, v10
	v_add_nc_u32_e32 v10, 0x100, v10
	global_load_b64 v[6:7], v6, s[10:11] scale_offset
.LBB107_20:
	s_wait_xcnt 0x0
	s_or_b32 exec_lo, exec_lo, s0
	s_delay_alu instid0(SALU_CYCLE_1)
	s_mov_b32 s0, exec_lo
	v_cmpx_gt_i32_e64 s1, v10
	s_cbranch_execz .LBB107_22
; %bb.21:
	v_add_nc_u32_e32 v2, s2, v10
	global_load_b64 v[2:3], v2, s[10:11] scale_offset
.LBB107_22:
	s_wait_xcnt 0x0
	s_or_b32 exec_lo, exec_lo, s0
	s_cmp_lg_u64 s[12:13], 0
	s_mov_b32 s10, 0
	s_cselect_b32 s12, -1, 0
	s_and_saveexec_b32 s11, s14
	s_cbranch_execnz .LBB107_35
; %bb.23:
	s_or_b32 exec_lo, exec_lo, s11
	s_and_saveexec_b32 s11, s15
	s_cbranch_execnz .LBB107_36
.LBB107_24:
	s_or_b32 exec_lo, exec_lo, s11
	s_and_saveexec_b32 s0, s10
	s_cbranch_execnz .LBB107_47
.LBB107_25:
	s_or_b32 exec_lo, exec_lo, s0
	s_and_saveexec_b32 s0, s3
	s_cbranch_execnz .LBB107_27
	s_branch .LBB107_28
.LBB107_26:
                                        ; implicit-def: $sgpr14
                                        ; implicit-def: $vgpr1
                                        ; implicit-def: $vgpr0
	s_and_saveexec_b32 s0, s3
.LBB107_27:
	; divergent unreachable
.LBB107_28:
	s_delay_alu instid0(SALU_CYCLE_1) | instskip(SKIP_1) | instid1(SALU_CYCLE_1)
	s_or_b32 exec_lo, exec_lo, s0
	s_and_saveexec_b32 s0, s18
	s_xor_b32 s0, exec_lo, s0
	s_cbranch_execz .LBB107_34
; %bb.29:
	s_and_saveexec_b32 s0, s14
	s_delay_alu instid0(SALU_CYCLE_1)
	s_xor_b32 s0, exec_lo, s0
	s_cbranch_execnz .LBB107_48
; %bb.30:
	s_or_b32 exec_lo, exec_lo, s0
	s_delay_alu instid0(SALU_CYCLE_1)
	s_mov_b32 s0, exec_lo
	v_cmpx_gt_i32_e64 s1, v0
	s_cbranch_execnz .LBB107_49
.LBB107_31:
	s_or_b32 exec_lo, exec_lo, s0
	s_delay_alu instid0(SALU_CYCLE_1)
	s_mov_b32 s0, exec_lo
	v_cmpx_gt_i32_e64 s1, v0
	s_cbranch_execnz .LBB107_50
.LBB107_32:
	s_or_b32 exec_lo, exec_lo, s0
	s_delay_alu instid0(SALU_CYCLE_1)
	s_mov_b32 s0, exec_lo
	v_cmpx_gt_i32_e64 s1, v0
	s_cbranch_execz .LBB107_34
.LBB107_33:
	s_wait_loadcnt 0x0
	v_mov_b64_e32 v[2:3], 0
	v_add_nc_u32_e32 v0, s2, v0
	global_store_b64 v0, v[2:3], s[8:9] scale_offset
.LBB107_34:
	s_endpgm
.LBB107_35:
	s_wait_loadcnt 0x0
	v_cmp_le_i64_e32 vcc_lo, s[4:5], v[8:9]
	v_cmp_gt_i64_e64 s0, s[6:7], v[8:9]
	s_and_not1_b32 s13, s15, exec_lo
	s_mov_b32 s10, exec_lo
	s_and_b32 s0, vcc_lo, s0
	s_delay_alu instid0(SALU_CYCLE_1) | instskip(NEXT) | instid1(SALU_CYCLE_1)
	s_and_b32 s0, s12, s0
	s_and_b32 s0, s0, exec_lo
	s_delay_alu instid0(SALU_CYCLE_1)
	s_or_b32 s15, s13, s0
	s_or_b32 exec_lo, exec_lo, s11
	s_and_saveexec_b32 s11, s15
	s_cbranch_execz .LBB107_24
.LBB107_36:
	v_cmp_le_i32_e64 s17, s1, v1
	s_mov_b32 s16, 0
	s_mov_b32 s13, 0
	s_mov_b32 s15, exec_lo
	v_cmpx_gt_i32_e64 s1, v1
	s_cbranch_execz .LBB107_38
; %bb.37:
	s_wait_loadcnt 0x0
	v_cmp_le_i64_e32 vcc_lo, s[4:5], v[4:5]
	v_cmp_gt_i64_e64 s0, s[6:7], v[4:5]
	s_and_not1_b32 s17, s17, exec_lo
	s_mov_b32 s13, exec_lo
	s_and_b32 s0, vcc_lo, s0
	s_delay_alu instid0(SALU_CYCLE_1) | instskip(NEXT) | instid1(SALU_CYCLE_1)
	s_and_b32 s0, s12, s0
	s_and_b32 s0, s0, exec_lo
	s_delay_alu instid0(SALU_CYCLE_1)
	s_or_b32 s17, s17, s0
.LBB107_38:
	s_or_b32 exec_lo, exec_lo, s15
	s_and_saveexec_b32 s15, s17
	s_cbranch_execz .LBB107_46
; %bb.39:
	s_wait_loadcnt 0x0
	v_or_b32_e32 v4, 0x200, v0
	s_mov_b32 s17, exec_lo
	s_delay_alu instid0(VALU_DEP_1)
	v_cmp_le_i32_e64 s19, s1, v4
	v_cmpx_gt_i32_e64 s1, v4
; %bb.40:
	v_cmp_le_i64_e32 vcc_lo, s[4:5], v[6:7]
	v_cmp_gt_i64_e64 s0, s[6:7], v[6:7]
	s_and_not1_b32 s19, s19, exec_lo
	s_mov_b32 s16, exec_lo
	s_and_b32 s0, vcc_lo, s0
	s_delay_alu instid0(SALU_CYCLE_1) | instskip(NEXT) | instid1(SALU_CYCLE_1)
	s_and_b32 s0, s12, s0
	s_and_b32 s0, s0, exec_lo
	s_delay_alu instid0(SALU_CYCLE_1)
	s_or_b32 s19, s19, s0
; %bb.41:
	s_or_b32 exec_lo, exec_lo, s17
	s_and_saveexec_b32 s17, s19
	s_cbranch_execz .LBB107_45
; %bb.42:
	v_or_b32_e32 v4, 0x300, v0
	s_mov_b32 s0, 0
	s_mov_b32 s19, exec_lo
	s_delay_alu instid0(VALU_DEP_1)
	v_cmp_le_i32_e64 s18, s1, v4
	v_cmpx_gt_i32_e64 s1, v4
	s_xor_b32 s19, exec_lo, s19
; %bb.43:
	v_cmp_le_i64_e32 vcc_lo, s[4:5], v[2:3]
	v_cmp_gt_i64_e64 s0, s[6:7], v[2:3]
	s_or_b32 s18, s18, exec_lo
	s_and_b32 s0, vcc_lo, s0
	s_delay_alu instid0(SALU_CYCLE_1) | instskip(NEXT) | instid1(SALU_CYCLE_1)
	s_and_b32 s0, s12, s0
	s_xor_b32 s0, s0, -1
	s_delay_alu instid0(SALU_CYCLE_1)
	s_and_b32 s0, s0, exec_lo
; %bb.44:
	s_or_b32 exec_lo, exec_lo, s19
	s_delay_alu instid0(SALU_CYCLE_1)
	s_and_not1_b32 s4, s16, exec_lo
	s_and_b32 s0, s0, exec_lo
	s_and_b32 s18, s18, exec_lo
	s_or_b32 s16, s4, s0
.LBB107_45:
	s_or_b32 exec_lo, exec_lo, s17
	s_delay_alu instid0(SALU_CYCLE_1)
	s_and_not1_b32 s0, s13, exec_lo
	s_and_b32 s4, s16, exec_lo
	s_and_b32 s16, s18, exec_lo
	s_or_b32 s13, s0, s4
.LBB107_46:
	s_or_b32 exec_lo, exec_lo, s15
	s_delay_alu instid0(SALU_CYCLE_1)
	s_and_not1_b32 s0, s10, exec_lo
	s_and_b32 s4, s13, exec_lo
	s_and_b32 s18, s16, exec_lo
	s_or_b32 s10, s0, s4
	s_or_b32 exec_lo, exec_lo, s11
	s_and_saveexec_b32 s0, s10
	s_cbranch_execz .LBB107_25
.LBB107_47:
	s_and_not1_b32 s18, s18, exec_lo
	s_or_b32 s3, s3, exec_lo
	s_trap 2
	s_or_b32 exec_lo, exec_lo, s0
	s_and_saveexec_b32 s0, s3
	s_cbranch_execnz .LBB107_27
	s_branch .LBB107_28
.LBB107_48:
	s_wait_loadcnt 0x0
	v_mov_b64_e32 v[2:3], 0
	v_dual_mov_b32 v0, v1 :: v_dual_bitop2_b32 v4, s2, v0 bitop3:0x54
	global_store_b64 v4, v[2:3], s[8:9] scale_offset
	s_wait_xcnt 0x0
	s_or_b32 exec_lo, exec_lo, s0
	s_delay_alu instid0(SALU_CYCLE_1)
	s_mov_b32 s0, exec_lo
	v_cmpx_gt_i32_e64 s1, v0
	s_cbranch_execz .LBB107_31
.LBB107_49:
	s_wait_loadcnt 0x0
	v_mov_b64_e32 v[2:3], 0
	v_add_nc_u32_e32 v1, s2, v0
	v_add_nc_u32_e32 v0, 0x100, v0
	global_store_b64 v1, v[2:3], s[8:9] scale_offset
	s_wait_xcnt 0x0
	s_or_b32 exec_lo, exec_lo, s0
	s_delay_alu instid0(SALU_CYCLE_1)
	s_mov_b32 s0, exec_lo
	v_cmpx_gt_i32_e64 s1, v0
	s_cbranch_execz .LBB107_32
.LBB107_50:
	s_wait_loadcnt 0x0
	v_mov_b64_e32 v[2:3], 0
	v_add_nc_u32_e32 v1, s2, v0
	v_add_nc_u32_e32 v0, 0x100, v0
	global_store_b64 v1, v[2:3], s[8:9] scale_offset
	s_wait_xcnt 0x0
	s_or_b32 exec_lo, exec_lo, s0
	s_delay_alu instid0(SALU_CYCLE_1)
	s_mov_b32 s0, exec_lo
	v_cmpx_gt_i32_e64 s1, v0
	s_cbranch_execnz .LBB107_33
	s_branch .LBB107_34
.LBB107_51:
	s_mov_b32 s3, exec_lo
	s_trap 2
	s_branch .LBB107_12
	.section	.rodata,"a",@progbits
	.p2align	6, 0x0
	.amdhsa_kernel _ZN2at6native29vectorized_elementwise_kernelILi2EZZZNS0_12_GLOBAL__N_142_validate_compressed_sparse_indices_kernelILNS2_8CDimNameE1ENS2_18CUDAKernelLauncherENS2_14EmptyVecKernelENS2_8DummyVecELm0EEEvRKNS_6TensorESA_lllENKUlvE0_clEvENKUlvE0_clEvEUllE_St5arrayIPcLm2EEEEviT0_T1_
		.amdhsa_group_segment_fixed_size 0
		.amdhsa_private_segment_fixed_size 0
		.amdhsa_kernarg_size 40
		.amdhsa_user_sgpr_count 2
		.amdhsa_user_sgpr_dispatch_ptr 0
		.amdhsa_user_sgpr_queue_ptr 0
		.amdhsa_user_sgpr_kernarg_segment_ptr 1
		.amdhsa_user_sgpr_dispatch_id 0
		.amdhsa_user_sgpr_kernarg_preload_length 0
		.amdhsa_user_sgpr_kernarg_preload_offset 0
		.amdhsa_user_sgpr_private_segment_size 0
		.amdhsa_wavefront_size32 1
		.amdhsa_uses_dynamic_stack 0
		.amdhsa_enable_private_segment 0
		.amdhsa_system_sgpr_workgroup_id_x 1
		.amdhsa_system_sgpr_workgroup_id_y 0
		.amdhsa_system_sgpr_workgroup_id_z 0
		.amdhsa_system_sgpr_workgroup_info 0
		.amdhsa_system_vgpr_workitem_id 0
		.amdhsa_next_free_vgpr 11
		.amdhsa_next_free_sgpr 28
		.amdhsa_named_barrier_count 0
		.amdhsa_reserve_vcc 1
		.amdhsa_float_round_mode_32 0
		.amdhsa_float_round_mode_16_64 0
		.amdhsa_float_denorm_mode_32 3
		.amdhsa_float_denorm_mode_16_64 3
		.amdhsa_fp16_overflow 0
		.amdhsa_memory_ordered 1
		.amdhsa_forward_progress 1
		.amdhsa_inst_pref_size 13
		.amdhsa_round_robin_scheduling 0
		.amdhsa_exception_fp_ieee_invalid_op 0
		.amdhsa_exception_fp_denorm_src 0
		.amdhsa_exception_fp_ieee_div_zero 0
		.amdhsa_exception_fp_ieee_overflow 0
		.amdhsa_exception_fp_ieee_underflow 0
		.amdhsa_exception_fp_ieee_inexact 0
		.amdhsa_exception_int_div_zero 0
	.end_amdhsa_kernel
	.section	.text._ZN2at6native29vectorized_elementwise_kernelILi2EZZZNS0_12_GLOBAL__N_142_validate_compressed_sparse_indices_kernelILNS2_8CDimNameE1ENS2_18CUDAKernelLauncherENS2_14EmptyVecKernelENS2_8DummyVecELm0EEEvRKNS_6TensorESA_lllENKUlvE0_clEvENKUlvE0_clEvEUllE_St5arrayIPcLm2EEEEviT0_T1_,"axG",@progbits,_ZN2at6native29vectorized_elementwise_kernelILi2EZZZNS0_12_GLOBAL__N_142_validate_compressed_sparse_indices_kernelILNS2_8CDimNameE1ENS2_18CUDAKernelLauncherENS2_14EmptyVecKernelENS2_8DummyVecELm0EEEvRKNS_6TensorESA_lllENKUlvE0_clEvENKUlvE0_clEvEUllE_St5arrayIPcLm2EEEEviT0_T1_,comdat
.Lfunc_end107:
	.size	_ZN2at6native29vectorized_elementwise_kernelILi2EZZZNS0_12_GLOBAL__N_142_validate_compressed_sparse_indices_kernelILNS2_8CDimNameE1ENS2_18CUDAKernelLauncherENS2_14EmptyVecKernelENS2_8DummyVecELm0EEEvRKNS_6TensorESA_lllENKUlvE0_clEvENKUlvE0_clEvEUllE_St5arrayIPcLm2EEEEviT0_T1_, .Lfunc_end107-_ZN2at6native29vectorized_elementwise_kernelILi2EZZZNS0_12_GLOBAL__N_142_validate_compressed_sparse_indices_kernelILNS2_8CDimNameE1ENS2_18CUDAKernelLauncherENS2_14EmptyVecKernelENS2_8DummyVecELm0EEEvRKNS_6TensorESA_lllENKUlvE0_clEvENKUlvE0_clEvEUllE_St5arrayIPcLm2EEEEviT0_T1_
                                        ; -- End function
	.set _ZN2at6native29vectorized_elementwise_kernelILi2EZZZNS0_12_GLOBAL__N_142_validate_compressed_sparse_indices_kernelILNS2_8CDimNameE1ENS2_18CUDAKernelLauncherENS2_14EmptyVecKernelENS2_8DummyVecELm0EEEvRKNS_6TensorESA_lllENKUlvE0_clEvENKUlvE0_clEvEUllE_St5arrayIPcLm2EEEEviT0_T1_.num_vgpr, 11
	.set _ZN2at6native29vectorized_elementwise_kernelILi2EZZZNS0_12_GLOBAL__N_142_validate_compressed_sparse_indices_kernelILNS2_8CDimNameE1ENS2_18CUDAKernelLauncherENS2_14EmptyVecKernelENS2_8DummyVecELm0EEEvRKNS_6TensorESA_lllENKUlvE0_clEvENKUlvE0_clEvEUllE_St5arrayIPcLm2EEEEviT0_T1_.num_agpr, 0
	.set _ZN2at6native29vectorized_elementwise_kernelILi2EZZZNS0_12_GLOBAL__N_142_validate_compressed_sparse_indices_kernelILNS2_8CDimNameE1ENS2_18CUDAKernelLauncherENS2_14EmptyVecKernelENS2_8DummyVecELm0EEEvRKNS_6TensorESA_lllENKUlvE0_clEvENKUlvE0_clEvEUllE_St5arrayIPcLm2EEEEviT0_T1_.numbered_sgpr, 28
	.set _ZN2at6native29vectorized_elementwise_kernelILi2EZZZNS0_12_GLOBAL__N_142_validate_compressed_sparse_indices_kernelILNS2_8CDimNameE1ENS2_18CUDAKernelLauncherENS2_14EmptyVecKernelENS2_8DummyVecELm0EEEvRKNS_6TensorESA_lllENKUlvE0_clEvENKUlvE0_clEvEUllE_St5arrayIPcLm2EEEEviT0_T1_.num_named_barrier, 0
	.set _ZN2at6native29vectorized_elementwise_kernelILi2EZZZNS0_12_GLOBAL__N_142_validate_compressed_sparse_indices_kernelILNS2_8CDimNameE1ENS2_18CUDAKernelLauncherENS2_14EmptyVecKernelENS2_8DummyVecELm0EEEvRKNS_6TensorESA_lllENKUlvE0_clEvENKUlvE0_clEvEUllE_St5arrayIPcLm2EEEEviT0_T1_.private_seg_size, 0
	.set _ZN2at6native29vectorized_elementwise_kernelILi2EZZZNS0_12_GLOBAL__N_142_validate_compressed_sparse_indices_kernelILNS2_8CDimNameE1ENS2_18CUDAKernelLauncherENS2_14EmptyVecKernelENS2_8DummyVecELm0EEEvRKNS_6TensorESA_lllENKUlvE0_clEvENKUlvE0_clEvEUllE_St5arrayIPcLm2EEEEviT0_T1_.uses_vcc, 1
	.set _ZN2at6native29vectorized_elementwise_kernelILi2EZZZNS0_12_GLOBAL__N_142_validate_compressed_sparse_indices_kernelILNS2_8CDimNameE1ENS2_18CUDAKernelLauncherENS2_14EmptyVecKernelENS2_8DummyVecELm0EEEvRKNS_6TensorESA_lllENKUlvE0_clEvENKUlvE0_clEvEUllE_St5arrayIPcLm2EEEEviT0_T1_.uses_flat_scratch, 0
	.set _ZN2at6native29vectorized_elementwise_kernelILi2EZZZNS0_12_GLOBAL__N_142_validate_compressed_sparse_indices_kernelILNS2_8CDimNameE1ENS2_18CUDAKernelLauncherENS2_14EmptyVecKernelENS2_8DummyVecELm0EEEvRKNS_6TensorESA_lllENKUlvE0_clEvENKUlvE0_clEvEUllE_St5arrayIPcLm2EEEEviT0_T1_.has_dyn_sized_stack, 0
	.set _ZN2at6native29vectorized_elementwise_kernelILi2EZZZNS0_12_GLOBAL__N_142_validate_compressed_sparse_indices_kernelILNS2_8CDimNameE1ENS2_18CUDAKernelLauncherENS2_14EmptyVecKernelENS2_8DummyVecELm0EEEvRKNS_6TensorESA_lllENKUlvE0_clEvENKUlvE0_clEvEUllE_St5arrayIPcLm2EEEEviT0_T1_.has_recursion, 0
	.set _ZN2at6native29vectorized_elementwise_kernelILi2EZZZNS0_12_GLOBAL__N_142_validate_compressed_sparse_indices_kernelILNS2_8CDimNameE1ENS2_18CUDAKernelLauncherENS2_14EmptyVecKernelENS2_8DummyVecELm0EEEvRKNS_6TensorESA_lllENKUlvE0_clEvENKUlvE0_clEvEUllE_St5arrayIPcLm2EEEEviT0_T1_.has_indirect_call, 0
	.section	.AMDGPU.csdata,"",@progbits
; Kernel info:
; codeLenInByte = 1568
; TotalNumSgprs: 30
; NumVgprs: 11
; ScratchSize: 0
; MemoryBound: 0
; FloatMode: 240
; IeeeMode: 1
; LDSByteSize: 0 bytes/workgroup (compile time only)
; SGPRBlocks: 0
; VGPRBlocks: 0
; NumSGPRsForWavesPerEU: 30
; NumVGPRsForWavesPerEU: 11
; NamedBarCnt: 0
; Occupancy: 16
; WaveLimiterHint : 1
; COMPUTE_PGM_RSRC2:SCRATCH_EN: 0
; COMPUTE_PGM_RSRC2:USER_SGPR: 2
; COMPUTE_PGM_RSRC2:TRAP_HANDLER: 0
; COMPUTE_PGM_RSRC2:TGID_X_EN: 1
; COMPUTE_PGM_RSRC2:TGID_Y_EN: 0
; COMPUTE_PGM_RSRC2:TGID_Z_EN: 0
; COMPUTE_PGM_RSRC2:TIDIG_COMP_CNT: 0
	.section	.text._ZN2at6native27unrolled_elementwise_kernelIZZZNS0_12_GLOBAL__N_142_validate_compressed_sparse_indices_kernelILNS2_8CDimNameE1ENS2_18CUDAKernelLauncherENS2_14EmptyVecKernelENS2_8DummyVecELm0EEEvRKNS_6TensorESA_lllENKUlvE0_clEvENKUlvE0_clEvEUllE_St5arrayIPcLm2EELi4E23TrivialOffsetCalculatorILi1EjESI_NS0_6memory15LoadWithoutCastENSJ_16StoreWithoutCastEEEviT_T0_T2_T3_T4_T5_,"axG",@progbits,_ZN2at6native27unrolled_elementwise_kernelIZZZNS0_12_GLOBAL__N_142_validate_compressed_sparse_indices_kernelILNS2_8CDimNameE1ENS2_18CUDAKernelLauncherENS2_14EmptyVecKernelENS2_8DummyVecELm0EEEvRKNS_6TensorESA_lllENKUlvE0_clEvENKUlvE0_clEvEUllE_St5arrayIPcLm2EELi4E23TrivialOffsetCalculatorILi1EjESI_NS0_6memory15LoadWithoutCastENSJ_16StoreWithoutCastEEEviT_T0_T2_T3_T4_T5_,comdat
	.globl	_ZN2at6native27unrolled_elementwise_kernelIZZZNS0_12_GLOBAL__N_142_validate_compressed_sparse_indices_kernelILNS2_8CDimNameE1ENS2_18CUDAKernelLauncherENS2_14EmptyVecKernelENS2_8DummyVecELm0EEEvRKNS_6TensorESA_lllENKUlvE0_clEvENKUlvE0_clEvEUllE_St5arrayIPcLm2EELi4E23TrivialOffsetCalculatorILi1EjESI_NS0_6memory15LoadWithoutCastENSJ_16StoreWithoutCastEEEviT_T0_T2_T3_T4_T5_ ; -- Begin function _ZN2at6native27unrolled_elementwise_kernelIZZZNS0_12_GLOBAL__N_142_validate_compressed_sparse_indices_kernelILNS2_8CDimNameE1ENS2_18CUDAKernelLauncherENS2_14EmptyVecKernelENS2_8DummyVecELm0EEEvRKNS_6TensorESA_lllENKUlvE0_clEvENKUlvE0_clEvEUllE_St5arrayIPcLm2EELi4E23TrivialOffsetCalculatorILi1EjESI_NS0_6memory15LoadWithoutCastENSJ_16StoreWithoutCastEEEviT_T0_T2_T3_T4_T5_
	.p2align	8
	.type	_ZN2at6native27unrolled_elementwise_kernelIZZZNS0_12_GLOBAL__N_142_validate_compressed_sparse_indices_kernelILNS2_8CDimNameE1ENS2_18CUDAKernelLauncherENS2_14EmptyVecKernelENS2_8DummyVecELm0EEEvRKNS_6TensorESA_lllENKUlvE0_clEvENKUlvE0_clEvEUllE_St5arrayIPcLm2EELi4E23TrivialOffsetCalculatorILi1EjESI_NS0_6memory15LoadWithoutCastENSJ_16StoreWithoutCastEEEviT_T0_T2_T3_T4_T5_,@function
_ZN2at6native27unrolled_elementwise_kernelIZZZNS0_12_GLOBAL__N_142_validate_compressed_sparse_indices_kernelILNS2_8CDimNameE1ENS2_18CUDAKernelLauncherENS2_14EmptyVecKernelENS2_8DummyVecELm0EEEvRKNS_6TensorESA_lllENKUlvE0_clEvENKUlvE0_clEvEUllE_St5arrayIPcLm2EELi4E23TrivialOffsetCalculatorILi1EjESI_NS0_6memory15LoadWithoutCastENSJ_16StoreWithoutCastEEEviT_T0_T2_T3_T4_T5_: ; @_ZN2at6native27unrolled_elementwise_kernelIZZZNS0_12_GLOBAL__N_142_validate_compressed_sparse_indices_kernelILNS2_8CDimNameE1ENS2_18CUDAKernelLauncherENS2_14EmptyVecKernelENS2_8DummyVecELm0EEEvRKNS_6TensorESA_lllENKUlvE0_clEvENKUlvE0_clEvEUllE_St5arrayIPcLm2EELi4E23TrivialOffsetCalculatorILi1EjESI_NS0_6memory15LoadWithoutCastENSJ_16StoreWithoutCastEEEviT_T0_T2_T3_T4_T5_
; %bb.0:
	s_load_b32 s3, s[0:1], 0x0
	s_bfe_u32 s2, ttmp6, 0x4000c
	s_load_b256 s[4:11], s[0:1], 0x8
	s_add_co_i32 s2, s2, 1
	s_wait_xcnt 0x0
	s_and_b32 s0, ttmp6, 15
	s_mul_i32 s1, ttmp9, s2
	s_getreg_b32 s2, hwreg(HW_REG_IB_STS2, 6, 4)
	s_add_co_i32 s0, s0, s1
	s_cmp_eq_u32 s2, 0
	v_mov_b64_e32 v[4:5], 0
	s_cselect_b32 s0, ttmp9, s0
	v_mov_b64_e32 v[8:9], 0
	s_lshl_b32 s2, s0, 10
	v_or_b32_e32 v1, 0x100, v0
	v_mov_b32_e32 v10, v0
	s_wait_kmcnt 0x0
	s_sub_co_i32 s3, s3, s2
	s_delay_alu instid0(SALU_CYCLE_1)
	v_cmp_le_i32_e64 s13, s3, v0
	v_cmp_gt_i32_e32 vcc_lo, s3, v0
	s_and_saveexec_b32 s0, vcc_lo
	s_cbranch_execz .LBB108_2
; %bb.1:
	v_or_b32_e32 v2, s2, v0
	v_or_b32_e32 v10, 0x100, v0
	global_load_b64 v[8:9], v2, s[10:11] scale_offset
.LBB108_2:
	s_wait_xcnt 0x0
	s_or_b32 exec_lo, exec_lo, s0
	s_delay_alu instid0(SALU_CYCLE_1)
	s_mov_b32 s1, exec_lo
	v_cmpx_gt_i32_e64 s3, v10
	s_cbranch_execz .LBB108_4
; %bb.3:
	v_add_nc_u32_e32 v2, s2, v10
	v_add_nc_u32_e32 v10, 0x100, v10
	global_load_b64 v[4:5], v2, s[10:11] scale_offset
.LBB108_4:
	s_wait_xcnt 0x0
	s_or_b32 exec_lo, exec_lo, s1
	v_mov_b64_e32 v[2:3], 0
	v_mov_b64_e32 v[6:7], 0
	s_mov_b32 s1, exec_lo
	v_cmpx_gt_i32_e64 s3, v10
	s_cbranch_execz .LBB108_6
; %bb.5:
	v_add_nc_u32_e32 v6, s2, v10
	v_add_nc_u32_e32 v10, 0x100, v10
	global_load_b64 v[6:7], v6, s[10:11] scale_offset
.LBB108_6:
	s_wait_xcnt 0x0
	s_or_b32 exec_lo, exec_lo, s1
	s_delay_alu instid0(SALU_CYCLE_1)
	s_mov_b32 s1, exec_lo
	v_cmpx_gt_i32_e64 s3, v10
	s_cbranch_execz .LBB108_8
; %bb.7:
	v_add_nc_u32_e32 v2, s2, v10
	global_load_b64 v[2:3], v2, s[10:11] scale_offset
.LBB108_8:
	s_wait_xcnt 0x0
	s_or_b32 exec_lo, exec_lo, s1
	s_get_pc_i64 s[0:1]
	s_add_nc_u64 s[0:1], s[0:1], .str.5@rel64+4
	s_mov_b32 s14, 0
	s_cmp_lg_u64 s[0:1], 0
	s_mov_b32 s10, 0
	s_cselect_b32 s12, -1, 0
	s_and_saveexec_b32 s11, vcc_lo
	s_cbranch_execnz .LBB108_17
; %bb.9:
	s_or_b32 exec_lo, exec_lo, s11
	s_and_saveexec_b32 s11, s13
	s_cbranch_execnz .LBB108_18
.LBB108_10:
	s_or_b32 exec_lo, exec_lo, s11
	s_and_saveexec_b32 s0, s10
	s_cbranch_execnz .LBB108_29
.LBB108_11:
	s_or_b32 exec_lo, exec_lo, s0
	s_and_saveexec_b32 s0, s14
	s_delay_alu instid0(SALU_CYCLE_1)
	s_xor_b32 s0, exec_lo, s0
	s_cbranch_execz .LBB108_16
.LBB108_12:
	s_and_saveexec_b32 s0, vcc_lo
	s_delay_alu instid0(SALU_CYCLE_1)
	s_xor_b32 s0, exec_lo, s0
	s_cbranch_execnz .LBB108_30
; %bb.13:
	s_or_b32 exec_lo, exec_lo, s0
	s_delay_alu instid0(SALU_CYCLE_1)
	s_mov_b32 s0, exec_lo
	v_cmpx_gt_i32_e64 s3, v0
	s_cbranch_execnz .LBB108_31
.LBB108_14:
	s_or_b32 exec_lo, exec_lo, s0
	s_delay_alu instid0(SALU_CYCLE_1)
	s_mov_b32 s0, exec_lo
	v_cmpx_gt_i32_e64 s3, v0
	s_cbranch_execnz .LBB108_32
.LBB108_15:
	s_or_b32 exec_lo, exec_lo, s0
	s_delay_alu instid0(SALU_CYCLE_1)
	s_mov_b32 s0, exec_lo
	v_cmpx_gt_i32_e64 s3, v0
	s_cbranch_execnz .LBB108_33
.LBB108_16:
	s_endpgm
.LBB108_17:
	s_wait_loadcnt 0x0
	v_cmp_le_i64_e64 s0, s[4:5], v[8:9]
	v_cmp_gt_i64_e64 s1, s[6:7], v[8:9]
	s_mov_b32 s10, exec_lo
	s_and_b32 s0, s0, s1
	s_and_not1_b32 s1, s13, exec_lo
	s_and_b32 s0, s12, s0
	s_delay_alu instid0(SALU_CYCLE_1) | instskip(NEXT) | instid1(SALU_CYCLE_1)
	s_and_b32 s0, s0, exec_lo
	s_or_b32 s13, s1, s0
	s_or_b32 exec_lo, exec_lo, s11
	s_and_saveexec_b32 s11, s13
	s_cbranch_execz .LBB108_10
.LBB108_18:
	v_cmp_le_i32_e64 s16, s3, v1
	s_mov_b32 s15, 0
	s_mov_b32 s13, 0
	s_mov_b32 s14, exec_lo
	v_cmpx_gt_i32_e64 s3, v1
	s_cbranch_execz .LBB108_20
; %bb.19:
	s_wait_loadcnt 0x0
	v_cmp_le_i64_e64 s0, s[4:5], v[4:5]
	v_cmp_gt_i64_e64 s1, s[6:7], v[4:5]
	s_mov_b32 s13, exec_lo
	s_and_b32 s0, s0, s1
	s_and_not1_b32 s1, s16, exec_lo
	s_and_b32 s0, s12, s0
	s_delay_alu instid0(SALU_CYCLE_1) | instskip(NEXT) | instid1(SALU_CYCLE_1)
	s_and_b32 s0, s0, exec_lo
	s_or_b32 s16, s1, s0
.LBB108_20:
	s_or_b32 exec_lo, exec_lo, s14
	s_and_saveexec_b32 s14, s16
	s_cbranch_execz .LBB108_28
; %bb.21:
	s_wait_loadcnt 0x0
	v_or_b32_e32 v4, 0x200, v0
	s_mov_b32 s17, 0
	s_mov_b32 s16, exec_lo
	s_delay_alu instid0(VALU_DEP_1)
	v_cmp_le_i32_e64 s18, s3, v4
	v_cmpx_gt_i32_e64 s3, v4
; %bb.22:
	v_cmp_le_i64_e64 s0, s[4:5], v[6:7]
	v_cmp_gt_i64_e64 s1, s[6:7], v[6:7]
	s_mov_b32 s15, exec_lo
	s_and_b32 s0, s0, s1
	s_and_not1_b32 s1, s18, exec_lo
	s_and_b32 s0, s12, s0
	s_delay_alu instid0(SALU_CYCLE_1) | instskip(NEXT) | instid1(SALU_CYCLE_1)
	s_and_b32 s0, s0, exec_lo
	s_or_b32 s18, s1, s0
; %bb.23:
	s_or_b32 exec_lo, exec_lo, s16
	s_and_saveexec_b32 s16, s18
	s_cbranch_execz .LBB108_27
; %bb.24:
	v_or_b32_e32 v4, 0x300, v0
	s_mov_b32 s1, 0
	s_mov_b32 s18, exec_lo
	s_delay_alu instid0(VALU_DEP_1)
	v_cmp_le_i32_e64 s17, s3, v4
	v_cmpx_gt_i32_e64 s3, v4
	s_xor_b32 s18, exec_lo, s18
; %bb.25:
	v_cmp_le_i64_e64 s0, s[4:5], v[2:3]
	v_cmp_gt_i64_e64 s1, s[6:7], v[2:3]
	s_or_b32 s17, s17, exec_lo
	s_and_b32 s0, s0, s1
	s_delay_alu instid0(SALU_CYCLE_1) | instskip(NEXT) | instid1(SALU_CYCLE_1)
	s_and_b32 s0, s12, s0
	s_xor_b32 s0, s0, -1
	s_delay_alu instid0(SALU_CYCLE_1)
	s_and_b32 s1, s0, exec_lo
; %bb.26:
	s_or_b32 exec_lo, exec_lo, s18
	s_delay_alu instid0(SALU_CYCLE_1)
	s_and_not1_b32 s0, s15, exec_lo
	s_and_b32 s1, s1, exec_lo
	s_and_b32 s17, s17, exec_lo
	s_or_b32 s15, s0, s1
.LBB108_27:
	s_or_b32 exec_lo, exec_lo, s16
	s_delay_alu instid0(SALU_CYCLE_1)
	s_and_not1_b32 s0, s13, exec_lo
	s_and_b32 s1, s15, exec_lo
	s_and_b32 s15, s17, exec_lo
	s_or_b32 s13, s0, s1
.LBB108_28:
	s_or_b32 exec_lo, exec_lo, s14
	s_delay_alu instid0(SALU_CYCLE_1)
	s_and_not1_b32 s0, s10, exec_lo
	s_and_b32 s1, s13, exec_lo
	s_and_b32 s14, s15, exec_lo
	s_or_b32 s10, s0, s1
	s_or_b32 exec_lo, exec_lo, s11
	s_and_saveexec_b32 s0, s10
	s_cbranch_execz .LBB108_11
.LBB108_29:
	s_trap 2
	; divergent unreachable
	s_and_not1_b32 s14, s14, exec_lo
	s_or_b32 exec_lo, exec_lo, s0
	s_and_saveexec_b32 s0, s14
	s_delay_alu instid0(SALU_CYCLE_1)
	s_xor_b32 s0, exec_lo, s0
	s_cbranch_execnz .LBB108_12
	s_branch .LBB108_16
.LBB108_30:
	s_wait_loadcnt 0x0
	v_mov_b64_e32 v[2:3], 0
	v_dual_mov_b32 v0, v1 :: v_dual_bitop2_b32 v4, s2, v0 bitop3:0x54
	global_store_b64 v4, v[2:3], s[8:9] scale_offset
	s_wait_xcnt 0x0
	s_or_b32 exec_lo, exec_lo, s0
	s_delay_alu instid0(SALU_CYCLE_1)
	s_mov_b32 s0, exec_lo
	v_cmpx_gt_i32_e64 s3, v0
	s_cbranch_execz .LBB108_14
.LBB108_31:
	v_add_nc_u32_e32 v1, 0x100, v0
	s_wait_loadcnt 0x0
	v_mov_b64_e32 v[2:3], 0
	s_delay_alu instid0(VALU_DEP_2) | instskip(SKIP_3) | instid1(SALU_CYCLE_1)
	v_dual_add_nc_u32 v4, s2, v0 :: v_dual_mov_b32 v0, v1
	global_store_b64 v4, v[2:3], s[8:9] scale_offset
	s_wait_xcnt 0x0
	s_or_b32 exec_lo, exec_lo, s0
	s_mov_b32 s0, exec_lo
	v_cmpx_gt_i32_e64 s3, v0
	s_cbranch_execz .LBB108_15
.LBB108_32:
	v_add_nc_u32_e32 v1, 0x100, v0
	s_wait_loadcnt 0x0
	v_mov_b64_e32 v[2:3], 0
	s_delay_alu instid0(VALU_DEP_2) | instskip(SKIP_3) | instid1(SALU_CYCLE_1)
	v_dual_add_nc_u32 v4, s2, v0 :: v_dual_mov_b32 v0, v1
	global_store_b64 v4, v[2:3], s[8:9] scale_offset
	s_wait_xcnt 0x0
	s_or_b32 exec_lo, exec_lo, s0
	s_mov_b32 s0, exec_lo
	v_cmpx_gt_i32_e64 s3, v0
	s_cbranch_execz .LBB108_16
.LBB108_33:
	s_wait_loadcnt 0x0
	v_mov_b64_e32 v[2:3], 0
	v_add_nc_u32_e32 v0, s2, v0
	global_store_b64 v0, v[2:3], s[8:9] scale_offset
	s_endpgm
	.section	.rodata,"a",@progbits
	.p2align	6, 0x0
	.amdhsa_kernel _ZN2at6native27unrolled_elementwise_kernelIZZZNS0_12_GLOBAL__N_142_validate_compressed_sparse_indices_kernelILNS2_8CDimNameE1ENS2_18CUDAKernelLauncherENS2_14EmptyVecKernelENS2_8DummyVecELm0EEEvRKNS_6TensorESA_lllENKUlvE0_clEvENKUlvE0_clEvEUllE_St5arrayIPcLm2EELi4E23TrivialOffsetCalculatorILi1EjESI_NS0_6memory15LoadWithoutCastENSJ_16StoreWithoutCastEEEviT_T0_T2_T3_T4_T5_
		.amdhsa_group_segment_fixed_size 0
		.amdhsa_private_segment_fixed_size 0
		.amdhsa_kernarg_size 44
		.amdhsa_user_sgpr_count 2
		.amdhsa_user_sgpr_dispatch_ptr 0
		.amdhsa_user_sgpr_queue_ptr 0
		.amdhsa_user_sgpr_kernarg_segment_ptr 1
		.amdhsa_user_sgpr_dispatch_id 0
		.amdhsa_user_sgpr_kernarg_preload_length 0
		.amdhsa_user_sgpr_kernarg_preload_offset 0
		.amdhsa_user_sgpr_private_segment_size 0
		.amdhsa_wavefront_size32 1
		.amdhsa_uses_dynamic_stack 0
		.amdhsa_enable_private_segment 0
		.amdhsa_system_sgpr_workgroup_id_x 1
		.amdhsa_system_sgpr_workgroup_id_y 0
		.amdhsa_system_sgpr_workgroup_id_z 0
		.amdhsa_system_sgpr_workgroup_info 0
		.amdhsa_system_vgpr_workitem_id 0
		.amdhsa_next_free_vgpr 11
		.amdhsa_next_free_sgpr 19
		.amdhsa_named_barrier_count 0
		.amdhsa_reserve_vcc 1
		.amdhsa_float_round_mode_32 0
		.amdhsa_float_round_mode_16_64 0
		.amdhsa_float_denorm_mode_32 3
		.amdhsa_float_denorm_mode_16_64 3
		.amdhsa_fp16_overflow 0
		.amdhsa_memory_ordered 1
		.amdhsa_forward_progress 1
		.amdhsa_inst_pref_size 9
		.amdhsa_round_robin_scheduling 0
		.amdhsa_exception_fp_ieee_invalid_op 0
		.amdhsa_exception_fp_denorm_src 0
		.amdhsa_exception_fp_ieee_div_zero 0
		.amdhsa_exception_fp_ieee_overflow 0
		.amdhsa_exception_fp_ieee_underflow 0
		.amdhsa_exception_fp_ieee_inexact 0
		.amdhsa_exception_int_div_zero 0
	.end_amdhsa_kernel
	.section	.text._ZN2at6native27unrolled_elementwise_kernelIZZZNS0_12_GLOBAL__N_142_validate_compressed_sparse_indices_kernelILNS2_8CDimNameE1ENS2_18CUDAKernelLauncherENS2_14EmptyVecKernelENS2_8DummyVecELm0EEEvRKNS_6TensorESA_lllENKUlvE0_clEvENKUlvE0_clEvEUllE_St5arrayIPcLm2EELi4E23TrivialOffsetCalculatorILi1EjESI_NS0_6memory15LoadWithoutCastENSJ_16StoreWithoutCastEEEviT_T0_T2_T3_T4_T5_,"axG",@progbits,_ZN2at6native27unrolled_elementwise_kernelIZZZNS0_12_GLOBAL__N_142_validate_compressed_sparse_indices_kernelILNS2_8CDimNameE1ENS2_18CUDAKernelLauncherENS2_14EmptyVecKernelENS2_8DummyVecELm0EEEvRKNS_6TensorESA_lllENKUlvE0_clEvENKUlvE0_clEvEUllE_St5arrayIPcLm2EELi4E23TrivialOffsetCalculatorILi1EjESI_NS0_6memory15LoadWithoutCastENSJ_16StoreWithoutCastEEEviT_T0_T2_T3_T4_T5_,comdat
.Lfunc_end108:
	.size	_ZN2at6native27unrolled_elementwise_kernelIZZZNS0_12_GLOBAL__N_142_validate_compressed_sparse_indices_kernelILNS2_8CDimNameE1ENS2_18CUDAKernelLauncherENS2_14EmptyVecKernelENS2_8DummyVecELm0EEEvRKNS_6TensorESA_lllENKUlvE0_clEvENKUlvE0_clEvEUllE_St5arrayIPcLm2EELi4E23TrivialOffsetCalculatorILi1EjESI_NS0_6memory15LoadWithoutCastENSJ_16StoreWithoutCastEEEviT_T0_T2_T3_T4_T5_, .Lfunc_end108-_ZN2at6native27unrolled_elementwise_kernelIZZZNS0_12_GLOBAL__N_142_validate_compressed_sparse_indices_kernelILNS2_8CDimNameE1ENS2_18CUDAKernelLauncherENS2_14EmptyVecKernelENS2_8DummyVecELm0EEEvRKNS_6TensorESA_lllENKUlvE0_clEvENKUlvE0_clEvEUllE_St5arrayIPcLm2EELi4E23TrivialOffsetCalculatorILi1EjESI_NS0_6memory15LoadWithoutCastENSJ_16StoreWithoutCastEEEviT_T0_T2_T3_T4_T5_
                                        ; -- End function
	.set _ZN2at6native27unrolled_elementwise_kernelIZZZNS0_12_GLOBAL__N_142_validate_compressed_sparse_indices_kernelILNS2_8CDimNameE1ENS2_18CUDAKernelLauncherENS2_14EmptyVecKernelENS2_8DummyVecELm0EEEvRKNS_6TensorESA_lllENKUlvE0_clEvENKUlvE0_clEvEUllE_St5arrayIPcLm2EELi4E23TrivialOffsetCalculatorILi1EjESI_NS0_6memory15LoadWithoutCastENSJ_16StoreWithoutCastEEEviT_T0_T2_T3_T4_T5_.num_vgpr, 11
	.set _ZN2at6native27unrolled_elementwise_kernelIZZZNS0_12_GLOBAL__N_142_validate_compressed_sparse_indices_kernelILNS2_8CDimNameE1ENS2_18CUDAKernelLauncherENS2_14EmptyVecKernelENS2_8DummyVecELm0EEEvRKNS_6TensorESA_lllENKUlvE0_clEvENKUlvE0_clEvEUllE_St5arrayIPcLm2EELi4E23TrivialOffsetCalculatorILi1EjESI_NS0_6memory15LoadWithoutCastENSJ_16StoreWithoutCastEEEviT_T0_T2_T3_T4_T5_.num_agpr, 0
	.set _ZN2at6native27unrolled_elementwise_kernelIZZZNS0_12_GLOBAL__N_142_validate_compressed_sparse_indices_kernelILNS2_8CDimNameE1ENS2_18CUDAKernelLauncherENS2_14EmptyVecKernelENS2_8DummyVecELm0EEEvRKNS_6TensorESA_lllENKUlvE0_clEvENKUlvE0_clEvEUllE_St5arrayIPcLm2EELi4E23TrivialOffsetCalculatorILi1EjESI_NS0_6memory15LoadWithoutCastENSJ_16StoreWithoutCastEEEviT_T0_T2_T3_T4_T5_.numbered_sgpr, 19
	.set _ZN2at6native27unrolled_elementwise_kernelIZZZNS0_12_GLOBAL__N_142_validate_compressed_sparse_indices_kernelILNS2_8CDimNameE1ENS2_18CUDAKernelLauncherENS2_14EmptyVecKernelENS2_8DummyVecELm0EEEvRKNS_6TensorESA_lllENKUlvE0_clEvENKUlvE0_clEvEUllE_St5arrayIPcLm2EELi4E23TrivialOffsetCalculatorILi1EjESI_NS0_6memory15LoadWithoutCastENSJ_16StoreWithoutCastEEEviT_T0_T2_T3_T4_T5_.num_named_barrier, 0
	.set _ZN2at6native27unrolled_elementwise_kernelIZZZNS0_12_GLOBAL__N_142_validate_compressed_sparse_indices_kernelILNS2_8CDimNameE1ENS2_18CUDAKernelLauncherENS2_14EmptyVecKernelENS2_8DummyVecELm0EEEvRKNS_6TensorESA_lllENKUlvE0_clEvENKUlvE0_clEvEUllE_St5arrayIPcLm2EELi4E23TrivialOffsetCalculatorILi1EjESI_NS0_6memory15LoadWithoutCastENSJ_16StoreWithoutCastEEEviT_T0_T2_T3_T4_T5_.private_seg_size, 0
	.set _ZN2at6native27unrolled_elementwise_kernelIZZZNS0_12_GLOBAL__N_142_validate_compressed_sparse_indices_kernelILNS2_8CDimNameE1ENS2_18CUDAKernelLauncherENS2_14EmptyVecKernelENS2_8DummyVecELm0EEEvRKNS_6TensorESA_lllENKUlvE0_clEvENKUlvE0_clEvEUllE_St5arrayIPcLm2EELi4E23TrivialOffsetCalculatorILi1EjESI_NS0_6memory15LoadWithoutCastENSJ_16StoreWithoutCastEEEviT_T0_T2_T3_T4_T5_.uses_vcc, 1
	.set _ZN2at6native27unrolled_elementwise_kernelIZZZNS0_12_GLOBAL__N_142_validate_compressed_sparse_indices_kernelILNS2_8CDimNameE1ENS2_18CUDAKernelLauncherENS2_14EmptyVecKernelENS2_8DummyVecELm0EEEvRKNS_6TensorESA_lllENKUlvE0_clEvENKUlvE0_clEvEUllE_St5arrayIPcLm2EELi4E23TrivialOffsetCalculatorILi1EjESI_NS0_6memory15LoadWithoutCastENSJ_16StoreWithoutCastEEEviT_T0_T2_T3_T4_T5_.uses_flat_scratch, 0
	.set _ZN2at6native27unrolled_elementwise_kernelIZZZNS0_12_GLOBAL__N_142_validate_compressed_sparse_indices_kernelILNS2_8CDimNameE1ENS2_18CUDAKernelLauncherENS2_14EmptyVecKernelENS2_8DummyVecELm0EEEvRKNS_6TensorESA_lllENKUlvE0_clEvENKUlvE0_clEvEUllE_St5arrayIPcLm2EELi4E23TrivialOffsetCalculatorILi1EjESI_NS0_6memory15LoadWithoutCastENSJ_16StoreWithoutCastEEEviT_T0_T2_T3_T4_T5_.has_dyn_sized_stack, 0
	.set _ZN2at6native27unrolled_elementwise_kernelIZZZNS0_12_GLOBAL__N_142_validate_compressed_sparse_indices_kernelILNS2_8CDimNameE1ENS2_18CUDAKernelLauncherENS2_14EmptyVecKernelENS2_8DummyVecELm0EEEvRKNS_6TensorESA_lllENKUlvE0_clEvENKUlvE0_clEvEUllE_St5arrayIPcLm2EELi4E23TrivialOffsetCalculatorILi1EjESI_NS0_6memory15LoadWithoutCastENSJ_16StoreWithoutCastEEEviT_T0_T2_T3_T4_T5_.has_recursion, 0
	.set _ZN2at6native27unrolled_elementwise_kernelIZZZNS0_12_GLOBAL__N_142_validate_compressed_sparse_indices_kernelILNS2_8CDimNameE1ENS2_18CUDAKernelLauncherENS2_14EmptyVecKernelENS2_8DummyVecELm0EEEvRKNS_6TensorESA_lllENKUlvE0_clEvENKUlvE0_clEvEUllE_St5arrayIPcLm2EELi4E23TrivialOffsetCalculatorILi1EjESI_NS0_6memory15LoadWithoutCastENSJ_16StoreWithoutCastEEEviT_T0_T2_T3_T4_T5_.has_indirect_call, 0
	.section	.AMDGPU.csdata,"",@progbits
; Kernel info:
; codeLenInByte = 1144
; TotalNumSgprs: 21
; NumVgprs: 11
; ScratchSize: 0
; MemoryBound: 0
; FloatMode: 240
; IeeeMode: 1
; LDSByteSize: 0 bytes/workgroup (compile time only)
; SGPRBlocks: 0
; VGPRBlocks: 0
; NumSGPRsForWavesPerEU: 21
; NumVGPRsForWavesPerEU: 11
; NamedBarCnt: 0
; Occupancy: 16
; WaveLimiterHint : 0
; COMPUTE_PGM_RSRC2:SCRATCH_EN: 0
; COMPUTE_PGM_RSRC2:USER_SGPR: 2
; COMPUTE_PGM_RSRC2:TRAP_HANDLER: 0
; COMPUTE_PGM_RSRC2:TGID_X_EN: 1
; COMPUTE_PGM_RSRC2:TGID_Y_EN: 0
; COMPUTE_PGM_RSRC2:TGID_Z_EN: 0
; COMPUTE_PGM_RSRC2:TIDIG_COMP_CNT: 0
	.section	.text._ZN2at6native32elementwise_kernel_manual_unrollILi128ELi4EZNS0_22gpu_kernel_impl_nocastIZZZNS0_12_GLOBAL__N_142_validate_compressed_sparse_indices_kernelILNS3_8CDimNameE1ENS3_18CUDAKernelLauncherENS3_14EmptyVecKernelENS3_8DummyVecELm0EEEvRKNS_6TensorESB_lllENKUlvE0_clEvENKUlvE0_clEvEUllE_EEvRNS_18TensorIteratorBaseERKT_EUlibE_EEviT1_,"axG",@progbits,_ZN2at6native32elementwise_kernel_manual_unrollILi128ELi4EZNS0_22gpu_kernel_impl_nocastIZZZNS0_12_GLOBAL__N_142_validate_compressed_sparse_indices_kernelILNS3_8CDimNameE1ENS3_18CUDAKernelLauncherENS3_14EmptyVecKernelENS3_8DummyVecELm0EEEvRKNS_6TensorESB_lllENKUlvE0_clEvENKUlvE0_clEvEUllE_EEvRNS_18TensorIteratorBaseERKT_EUlibE_EEviT1_,comdat
	.globl	_ZN2at6native32elementwise_kernel_manual_unrollILi128ELi4EZNS0_22gpu_kernel_impl_nocastIZZZNS0_12_GLOBAL__N_142_validate_compressed_sparse_indices_kernelILNS3_8CDimNameE1ENS3_18CUDAKernelLauncherENS3_14EmptyVecKernelENS3_8DummyVecELm0EEEvRKNS_6TensorESB_lllENKUlvE0_clEvENKUlvE0_clEvEUllE_EEvRNS_18TensorIteratorBaseERKT_EUlibE_EEviT1_ ; -- Begin function _ZN2at6native32elementwise_kernel_manual_unrollILi128ELi4EZNS0_22gpu_kernel_impl_nocastIZZZNS0_12_GLOBAL__N_142_validate_compressed_sparse_indices_kernelILNS3_8CDimNameE1ENS3_18CUDAKernelLauncherENS3_14EmptyVecKernelENS3_8DummyVecELm0EEEvRKNS_6TensorESB_lllENKUlvE0_clEvENKUlvE0_clEvEUllE_EEvRNS_18TensorIteratorBaseERKT_EUlibE_EEviT1_
	.p2align	8
	.type	_ZN2at6native32elementwise_kernel_manual_unrollILi128ELi4EZNS0_22gpu_kernel_impl_nocastIZZZNS0_12_GLOBAL__N_142_validate_compressed_sparse_indices_kernelILNS3_8CDimNameE1ENS3_18CUDAKernelLauncherENS3_14EmptyVecKernelENS3_8DummyVecELm0EEEvRKNS_6TensorESB_lllENKUlvE0_clEvENKUlvE0_clEvEUllE_EEvRNS_18TensorIteratorBaseERKT_EUlibE_EEviT1_,@function
_ZN2at6native32elementwise_kernel_manual_unrollILi128ELi4EZNS0_22gpu_kernel_impl_nocastIZZZNS0_12_GLOBAL__N_142_validate_compressed_sparse_indices_kernelILNS3_8CDimNameE1ENS3_18CUDAKernelLauncherENS3_14EmptyVecKernelENS3_8DummyVecELm0EEEvRKNS_6TensorESB_lllENKUlvE0_clEvENKUlvE0_clEvEUllE_EEvRNS_18TensorIteratorBaseERKT_EUlibE_EEviT1_: ; @_ZN2at6native32elementwise_kernel_manual_unrollILi128ELi4EZNS0_22gpu_kernel_impl_nocastIZZZNS0_12_GLOBAL__N_142_validate_compressed_sparse_indices_kernelILNS3_8CDimNameE1ENS3_18CUDAKernelLauncherENS3_14EmptyVecKernelENS3_8DummyVecELm0EEEvRKNS_6TensorESB_lllENKUlvE0_clEvENKUlvE0_clEvEUllE_EEvRNS_18TensorIteratorBaseERKT_EUlibE_EEviT1_
; %bb.0:
	s_clause 0x1
	s_load_b32 s33, s[0:1], 0x8
	s_load_b32 s42, s[0:1], 0x0
	s_bfe_u32 s2, ttmp6, 0x4000c
	s_and_b32 s3, ttmp6, 15
	s_add_co_i32 s2, s2, 1
	s_getreg_b32 s4, hwreg(HW_REG_IB_STS2, 6, 4)
	s_mul_i32 s2, ttmp9, s2
	s_mov_b32 s37, 0
	s_add_co_i32 s3, s3, s2
	s_cmp_eq_u32 s4, 0
	s_mov_b32 s28, -1
	s_cselect_b32 s2, ttmp9, s3
	s_add_nc_u64 s[20:21], s[0:1], 8
	v_lshl_or_b32 v0, s2, 9, v0
	s_mov_b32 s12, 0
	s_get_pc_i64 s[2:3]
	s_add_nc_u64 s[2:3], s[2:3], .str.5@rel64+4
	s_wait_xcnt 0x0
	s_mov_b32 s0, exec_lo
	v_or_b32_e32 v1, 0x180, v0
	s_wait_kmcnt 0x0
	s_add_co_i32 s36, s33, -1
	s_delay_alu instid0(SALU_CYCLE_1)
	s_cmp_gt_u32 s36, 1
	s_cselect_b32 s38, -1, 0
	v_cmpx_le_i32_e64 s42, v1
	s_xor_b32 s39, exec_lo, s0
	s_cbranch_execz .LBB109_31
; %bb.1:
	s_clause 0x3
	s_load_b128 s[12:15], s[20:21], 0x4
	s_load_b64 s[0:1], s[20:21], 0x14
	s_load_b128 s[16:19], s[20:21], 0xc4
	s_load_b256 s[4:11], s[20:21], 0x148
	s_cmp_lg_u32 s33, 0
	s_mov_b32 s23, 0
	s_cselect_b32 s44, -1, 0
	s_min_u32 s43, s36, 15
	s_cmp_gt_u32 s33, 1
	s_add_nc_u64 s[26:27], s[20:21], 0xc4
	s_cselect_b32 s41, -1, 0
	s_cmp_lg_u64 s[2:3], 0
	s_mov_b32 s25, s23
	s_cselect_b32 s40, -1, 0
	s_mov_b32 s45, exec_lo
	s_wait_kmcnt 0x0
	s_mov_b32 s22, s13
	s_mov_b32 s24, s0
	;; [unrolled: 1-line block ×3, first 2 shown]
	v_cmpx_gt_i32_e64 s42, v0
	s_cbranch_execz .LBB109_7
; %bb.2:
	s_and_not1_b32 vcc_lo, exec_lo, s38
	s_cbranch_vccnz .LBB109_14
; %bb.3:
	s_and_not1_b32 vcc_lo, exec_lo, s44
	s_cbranch_vccnz .LBB109_16
; %bb.4:
	s_add_co_i32 s0, s43, 1
	s_cmp_eq_u32 s36, 2
	s_cbranch_scc1 .LBB109_17
; %bb.5:
	v_dual_mov_b32 v2, 0 :: v_dual_mov_b32 v3, 0
	v_mov_b32_e32 v1, v0
	s_and_b32 s28, s0, 28
	s_mov_b32 s13, 0
	s_mov_b64 s[30:31], s[20:21]
	s_mov_b64 s[34:35], s[26:27]
.LBB109_6:                              ; =>This Inner Loop Header: Depth=1
	s_clause 0x1
	s_load_b256 s[48:55], s[30:31], 0x4
	s_load_b128 s[64:67], s[30:31], 0x24
	s_load_b256 s[56:63], s[34:35], 0x0
	s_add_co_i32 s13, s13, 4
	s_wait_xcnt 0x0
	s_add_nc_u64 s[30:31], s[30:31], 48
	s_cmp_lg_u32 s28, s13
	s_add_nc_u64 s[34:35], s[34:35], 32
	s_wait_kmcnt 0x0
	v_mul_hi_u32 v4, s49, v1
	s_delay_alu instid0(VALU_DEP_1) | instskip(NEXT) | instid1(VALU_DEP_1)
	v_add_nc_u32_e32 v4, v1, v4
	v_lshrrev_b32_e32 v4, s50, v4
	s_delay_alu instid0(VALU_DEP_1) | instskip(NEXT) | instid1(VALU_DEP_1)
	v_mul_hi_u32 v5, s52, v4
	v_add_nc_u32_e32 v5, v4, v5
	s_delay_alu instid0(VALU_DEP_1) | instskip(NEXT) | instid1(VALU_DEP_1)
	v_lshrrev_b32_e32 v5, s53, v5
	v_mul_hi_u32 v6, s55, v5
	s_delay_alu instid0(VALU_DEP_1) | instskip(SKIP_1) | instid1(VALU_DEP_1)
	v_add_nc_u32_e32 v6, v5, v6
	v_mul_lo_u32 v7, v4, s48
	v_sub_nc_u32_e32 v1, v1, v7
	v_mul_lo_u32 v7, v5, s51
	s_delay_alu instid0(VALU_DEP_4) | instskip(NEXT) | instid1(VALU_DEP_3)
	v_lshrrev_b32_e32 v6, s64, v6
	v_mad_u32 v3, v1, s57, v3
	v_mad_u32 v1, v1, s56, v2
	s_delay_alu instid0(VALU_DEP_4) | instskip(NEXT) | instid1(VALU_DEP_4)
	v_sub_nc_u32_e32 v2, v4, v7
	v_mul_hi_u32 v8, s66, v6
	v_mul_lo_u32 v4, v6, s54
	s_delay_alu instid0(VALU_DEP_3) | instskip(SKIP_1) | instid1(VALU_DEP_4)
	v_mad_u32 v3, v2, s59, v3
	v_mad_u32 v2, v2, s58, v1
	v_add_nc_u32_e32 v7, v6, v8
	s_delay_alu instid0(VALU_DEP_1) | instskip(NEXT) | instid1(VALU_DEP_1)
	v_dual_sub_nc_u32 v4, v5, v4 :: v_dual_lshrrev_b32 v1, s67, v7
	v_mad_u32 v3, v4, s61, v3
	s_delay_alu instid0(VALU_DEP_4) | instskip(NEXT) | instid1(VALU_DEP_3)
	v_mad_u32 v2, v4, s60, v2
	v_mul_lo_u32 v5, v1, s65
	s_delay_alu instid0(VALU_DEP_1) | instskip(NEXT) | instid1(VALU_DEP_1)
	v_sub_nc_u32_e32 v4, v6, v5
	v_mad_u32 v3, v4, s63, v3
	s_delay_alu instid0(VALU_DEP_4)
	v_mad_u32 v2, v4, s62, v2
	s_cbranch_scc1 .LBB109_6
	s_branch .LBB109_18
.LBB109_7:
	s_or_b32 exec_lo, exec_lo, s45
                                        ; implicit-def: $vgpr2
	s_and_saveexec_b32 s45, s28
	s_cbranch_execz .LBB109_27
.LBB109_8:
	s_mov_b32 s0, -1
	s_mov_b32 s46, s13
	s_mov_b32 s47, exec_lo
	v_cmpx_gt_i32_e64 s42, v0
	s_cbranch_execz .LBB109_115
; %bb.9:
	s_and_not1_b32 vcc_lo, exec_lo, s38
	s_cbranch_vccnz .LBB109_15
; %bb.10:
	s_and_not1_b32 vcc_lo, exec_lo, s44
	s_cbranch_vccnz .LBB109_104
; %bb.11:
	s_add_co_i32 s0, s43, 1
	s_cmp_eq_u32 s36, 2
	s_cbranch_scc1 .LBB109_105
; %bb.12:
	v_dual_mov_b32 v2, 0 :: v_dual_mov_b32 v3, 0
	v_mov_b32_e32 v1, v0
	s_and_b32 s28, s0, 28
	s_mov_b32 s29, 0
	s_mov_b64 s[30:31], s[20:21]
	s_mov_b64 s[34:35], s[26:27]
.LBB109_13:                             ; =>This Inner Loop Header: Depth=1
	s_clause 0x1
	s_load_b256 s[48:55], s[30:31], 0x4
	s_load_b128 s[64:67], s[30:31], 0x24
	s_load_b256 s[56:63], s[34:35], 0x0
	s_add_co_i32 s29, s29, 4
	s_wait_xcnt 0x0
	s_add_nc_u64 s[30:31], s[30:31], 48
	s_cmp_eq_u32 s28, s29
	s_add_nc_u64 s[34:35], s[34:35], 32
	s_wait_kmcnt 0x0
	v_mul_hi_u32 v4, s49, v1
	s_delay_alu instid0(VALU_DEP_1) | instskip(NEXT) | instid1(VALU_DEP_1)
	v_add_nc_u32_e32 v4, v1, v4
	v_lshrrev_b32_e32 v4, s50, v4
	s_delay_alu instid0(VALU_DEP_1) | instskip(NEXT) | instid1(VALU_DEP_1)
	v_mul_hi_u32 v5, s52, v4
	v_add_nc_u32_e32 v5, v4, v5
	s_delay_alu instid0(VALU_DEP_1) | instskip(NEXT) | instid1(VALU_DEP_1)
	v_lshrrev_b32_e32 v5, s53, v5
	v_mul_hi_u32 v6, s55, v5
	s_delay_alu instid0(VALU_DEP_1) | instskip(SKIP_1) | instid1(VALU_DEP_1)
	v_add_nc_u32_e32 v6, v5, v6
	v_mul_lo_u32 v7, v4, s48
	v_sub_nc_u32_e32 v1, v1, v7
	v_mul_lo_u32 v7, v5, s51
	s_delay_alu instid0(VALU_DEP_4) | instskip(NEXT) | instid1(VALU_DEP_3)
	v_lshrrev_b32_e32 v6, s64, v6
	v_mad_u32 v3, v1, s57, v3
	v_mad_u32 v1, v1, s56, v2
	s_delay_alu instid0(VALU_DEP_4) | instskip(NEXT) | instid1(VALU_DEP_4)
	v_sub_nc_u32_e32 v2, v4, v7
	v_mul_hi_u32 v8, s66, v6
	v_mul_lo_u32 v4, v6, s54
	s_delay_alu instid0(VALU_DEP_3) | instskip(SKIP_1) | instid1(VALU_DEP_4)
	v_mad_u32 v3, v2, s59, v3
	v_mad_u32 v2, v2, s58, v1
	v_add_nc_u32_e32 v7, v6, v8
	s_delay_alu instid0(VALU_DEP_1) | instskip(NEXT) | instid1(VALU_DEP_1)
	v_dual_sub_nc_u32 v4, v5, v4 :: v_dual_lshrrev_b32 v1, s67, v7
	v_mad_u32 v3, v4, s61, v3
	s_delay_alu instid0(VALU_DEP_4) | instskip(NEXT) | instid1(VALU_DEP_3)
	v_mad_u32 v2, v4, s60, v2
	v_mul_lo_u32 v5, v1, s65
	s_delay_alu instid0(VALU_DEP_1) | instskip(NEXT) | instid1(VALU_DEP_1)
	v_sub_nc_u32_e32 v4, v6, v5
	v_mad_u32 v3, v4, s63, v3
	s_delay_alu instid0(VALU_DEP_4)
	v_mad_u32 v2, v4, s62, v2
	s_cbranch_scc0 .LBB109_13
	s_branch .LBB109_106
.LBB109_14:
                                        ; implicit-def: $vgpr3
	s_branch .LBB109_22
.LBB109_15:
                                        ; implicit-def: $vgpr3
	s_and_not1_b32 vcc_lo, exec_lo, s0
	s_cbranch_vccz .LBB109_110
	s_branch .LBB109_112
.LBB109_16:
	v_dual_mov_b32 v3, 0 :: v_dual_mov_b32 v2, 0
	s_branch .LBB109_21
.LBB109_17:
	v_mov_b64_e32 v[2:3], 0
	v_mov_b32_e32 v1, v0
	s_mov_b32 s28, 0
.LBB109_18:
	s_and_b32 s0, s0, 3
	s_mov_b32 s29, 0
	s_cmp_eq_u32 s0, 0
	s_cbranch_scc1 .LBB109_21
; %bb.19:
	s_lshl_b32 s30, s28, 3
	s_mov_b32 s31, s29
	s_mul_u64 s[34:35], s[28:29], 12
	s_add_nc_u64 s[30:31], s[20:21], s[30:31]
	s_delay_alu instid0(SALU_CYCLE_1)
	s_add_nc_u64 s[28:29], s[30:31], 0xc4
	s_add_nc_u64 s[30:31], s[20:21], s[34:35]
.LBB109_20:                             ; =>This Inner Loop Header: Depth=1
	s_load_b96 s[48:50], s[30:31], 0x4
	s_load_b64 s[34:35], s[28:29], 0x0
	s_add_co_i32 s0, s0, -1
	s_wait_xcnt 0x0
	s_add_nc_u64 s[30:31], s[30:31], 12
	s_cmp_lg_u32 s0, 0
	s_add_nc_u64 s[28:29], s[28:29], 8
	s_wait_kmcnt 0x0
	v_mul_hi_u32 v4, s49, v1
	s_delay_alu instid0(VALU_DEP_1) | instskip(NEXT) | instid1(VALU_DEP_1)
	v_add_nc_u32_e32 v4, v1, v4
	v_lshrrev_b32_e32 v4, s50, v4
	s_delay_alu instid0(VALU_DEP_1) | instskip(NEXT) | instid1(VALU_DEP_1)
	v_mul_lo_u32 v5, v4, s48
	v_sub_nc_u32_e32 v1, v1, v5
	s_delay_alu instid0(VALU_DEP_1)
	v_mad_u32 v3, v1, s35, v3
	v_mad_u32 v2, v1, s34, v2
	v_mov_b32_e32 v1, v4
	s_cbranch_scc1 .LBB109_20
.LBB109_21:
	s_cbranch_execnz .LBB109_24
.LBB109_22:
	v_mov_b32_e32 v1, 0
	s_and_not1_b32 vcc_lo, exec_lo, s41
	s_delay_alu instid0(VALU_DEP_1) | instskip(NEXT) | instid1(VALU_DEP_1)
	v_mul_u64_e32 v[2:3], s[22:23], v[0:1]
	v_add_nc_u32_e32 v2, v0, v3
	s_delay_alu instid0(VALU_DEP_1) | instskip(NEXT) | instid1(VALU_DEP_1)
	v_lshrrev_b32_e32 v4, s14, v2
	v_mul_lo_u32 v2, v4, s12
	s_delay_alu instid0(VALU_DEP_1) | instskip(NEXT) | instid1(VALU_DEP_1)
	v_sub_nc_u32_e32 v2, v0, v2
	v_mul_lo_u32 v3, v2, s17
	v_mul_lo_u32 v2, v2, s16
	s_cbranch_vccnz .LBB109_24
; %bb.23:
	v_mov_b32_e32 v5, v1
	s_delay_alu instid0(VALU_DEP_1) | instskip(NEXT) | instid1(VALU_DEP_1)
	v_mul_u64_e32 v[6:7], s[24:25], v[4:5]
	v_add_nc_u32_e32 v1, v4, v7
	s_delay_alu instid0(VALU_DEP_1) | instskip(NEXT) | instid1(VALU_DEP_1)
	v_lshrrev_b32_e32 v1, s1, v1
	v_mul_lo_u32 v1, v1, s15
	s_delay_alu instid0(VALU_DEP_1) | instskip(NEXT) | instid1(VALU_DEP_1)
	v_sub_nc_u32_e32 v1, v4, v1
	v_mad_u32 v2, v1, s18, v2
	v_mad_u32 v3, v1, s19, v3
.LBB109_24:
	global_load_b64 v[4:5], v3, s[6:7]
	s_wait_loadcnt 0x0
	v_cmp_le_i64_e32 vcc_lo, s[8:9], v[4:5]
	v_cmp_gt_i64_e64 s0, s[10:11], v[4:5]
	s_and_b32 s13, vcc_lo, s0
	s_mov_b32 s0, 0
	s_and_b32 s29, s40, s13
	s_mov_b32 s13, -1
	s_and_saveexec_b32 s28, s29
; %bb.25:
	v_mov_b64_e32 v[4:5], 0
	v_add_nc_u32_e32 v0, 0x80, v0
	s_mov_b32 s0, exec_lo
	s_xor_b32 s13, exec_lo, -1
	global_store_b64 v2, v[4:5], s[4:5]
; %bb.26:
	s_wait_xcnt 0x0
	s_or_b32 exec_lo, exec_lo, s28
	s_delay_alu instid0(SALU_CYCLE_1)
	s_and_b32 s13, s13, exec_lo
	s_or_not1_b32 s28, s0, exec_lo
	s_or_b32 exec_lo, exec_lo, s45
                                        ; implicit-def: $vgpr2
	s_and_saveexec_b32 s45, s28
	s_cbranch_execnz .LBB109_8
.LBB109_27:
	s_or_b32 exec_lo, exec_lo, s45
	s_mov_b32 s0, 0
	s_and_saveexec_b32 s1, s13
	s_cbranch_execnz .LBB109_156
.LBB109_28:
	s_or_b32 exec_lo, exec_lo, s1
	s_and_saveexec_b32 s1, s23
	s_delay_alu instid0(SALU_CYCLE_1)
	s_xor_b32 s1, exec_lo, s1
	s_cbranch_execz .LBB109_30
.LBB109_29:
	v_mov_b64_e32 v[0:1], 0
	global_store_b64 v2, v[0:1], s[4:5]
.LBB109_30:
	s_wait_xcnt 0x0
	s_or_b32 exec_lo, exec_lo, s1
	s_delay_alu instid0(SALU_CYCLE_1)
	s_and_b32 s12, s0, exec_lo
                                        ; implicit-def: $vgpr1
                                        ; implicit-def: $vgpr0
.LBB109_31:
	s_or_saveexec_b32 s13, s39
                                        ; implicit-def: $sgpr4_sgpr5_sgpr6_sgpr7_sgpr8_sgpr9_sgpr10_sgpr11
                                        ; implicit-def: $vgpr8
                                        ; implicit-def: $vgpr6
                                        ; implicit-def: $vgpr4
                                        ; implicit-def: $vgpr2
	s_delay_alu instid0(SALU_CYCLE_1)
	s_xor_b32 exec_lo, exec_lo, s13
	s_cbranch_execz .LBB109_38
; %bb.32:
	v_cndmask_b32_e64 v8, 0, 1, s38
	s_and_not1_b32 vcc_lo, exec_lo, s38
	s_cbranch_vccnz .LBB109_41
; %bb.33:
	s_cmp_lg_u32 s33, 0
	s_mov_b32 s8, 0
	s_cbranch_scc0 .LBB109_42
; %bb.34:
	s_min_u32 s1, s36, 15
	s_delay_alu instid0(SALU_CYCLE_1)
	s_add_co_i32 s1, s1, 1
	s_cmp_eq_u32 s36, 2
	s_cbranch_scc1 .LBB109_43
; %bb.35:
	v_dual_mov_b32 v2, 0 :: v_dual_mov_b32 v3, 0
	v_mov_b32_e32 v4, v0
	s_and_b32 s0, s1, 28
	s_add_nc_u64 s[4:5], s[20:21], 0xc4
	s_mov_b32 s9, 0
	s_mov_b64 s[6:7], s[20:21]
.LBB109_36:                             ; =>This Inner Loop Header: Depth=1
	s_clause 0x1
	s_load_b256 s[24:31], s[6:7], 0x4
	s_load_b128 s[16:19], s[6:7], 0x24
	s_load_b256 s[40:47], s[4:5], 0x0
	s_add_co_i32 s9, s9, 4
	s_wait_xcnt 0x0
	s_add_nc_u64 s[6:7], s[6:7], 48
	s_cmp_lg_u32 s0, s9
	s_add_nc_u64 s[4:5], s[4:5], 32
	s_wait_kmcnt 0x0
	v_mul_hi_u32 v5, s25, v4
	s_delay_alu instid0(VALU_DEP_1) | instskip(NEXT) | instid1(VALU_DEP_1)
	v_add_nc_u32_e32 v5, v4, v5
	v_lshrrev_b32_e32 v5, s26, v5
	s_delay_alu instid0(VALU_DEP_1) | instskip(NEXT) | instid1(VALU_DEP_1)
	v_mul_hi_u32 v6, s28, v5
	v_add_nc_u32_e32 v6, v5, v6
	s_delay_alu instid0(VALU_DEP_1) | instskip(NEXT) | instid1(VALU_DEP_1)
	v_lshrrev_b32_e32 v6, s29, v6
	v_mul_hi_u32 v7, s31, v6
	s_delay_alu instid0(VALU_DEP_1) | instskip(SKIP_1) | instid1(VALU_DEP_1)
	v_add_nc_u32_e32 v7, v6, v7
	v_mul_lo_u32 v9, v5, s24
	v_sub_nc_u32_e32 v4, v4, v9
	v_mul_lo_u32 v9, v6, s27
	s_delay_alu instid0(VALU_DEP_4) | instskip(NEXT) | instid1(VALU_DEP_3)
	v_lshrrev_b32_e32 v7, s16, v7
	v_mad_u32 v3, v4, s41, v3
	v_mad_u32 v2, v4, s40, v2
	s_delay_alu instid0(VALU_DEP_4) | instskip(NEXT) | instid1(VALU_DEP_4)
	v_sub_nc_u32_e32 v4, v5, v9
	v_mul_hi_u32 v10, s18, v7
	v_mul_lo_u32 v5, v7, s30
	s_delay_alu instid0(VALU_DEP_3) | instskip(SKIP_1) | instid1(VALU_DEP_3)
	v_mad_u32 v3, v4, s43, v3
	v_mad_u32 v2, v4, s42, v2
	v_dual_add_nc_u32 v9, v7, v10 :: v_dual_sub_nc_u32 v5, v6, v5
	s_delay_alu instid0(VALU_DEP_1) | instskip(NEXT) | instid1(VALU_DEP_2)
	v_lshrrev_b32_e32 v4, s19, v9
	v_mad_u32 v3, v5, s45, v3
	s_delay_alu instid0(VALU_DEP_4) | instskip(NEXT) | instid1(VALU_DEP_3)
	v_mad_u32 v2, v5, s44, v2
	v_mul_lo_u32 v6, v4, s17
	s_delay_alu instid0(VALU_DEP_1) | instskip(NEXT) | instid1(VALU_DEP_1)
	v_sub_nc_u32_e32 v5, v7, v6
	v_mad_u32 v3, v5, s47, v3
	s_delay_alu instid0(VALU_DEP_4)
	v_mad_u32 v2, v5, s46, v2
	s_cbranch_scc1 .LBB109_36
; %bb.37:
	s_and_b32 s6, s1, 3
	s_mov_b32 s1, 0
	s_cmp_eq_u32 s6, 0
	s_cbranch_scc0 .LBB109_44
	s_branch .LBB109_46
.LBB109_38:
	s_or_b32 exec_lo, exec_lo, s13
	s_and_saveexec_b32 s0, s12
	s_cbranch_execz .LBB109_102
.LBB109_39:
	; divergent unreachable
	s_or_b32 exec_lo, exec_lo, s0
	s_and_saveexec_b32 s0, s37
	s_cbranch_execnz .LBB109_103
.LBB109_40:
	s_endpgm
.LBB109_41:
	s_mov_b32 s8, -1
                                        ; implicit-def: $vgpr3
	s_branch .LBB109_46
.LBB109_42:
	v_dual_mov_b32 v3, 0 :: v_dual_mov_b32 v2, 0
	s_branch .LBB109_46
.LBB109_43:
	v_mov_b64_e32 v[2:3], 0
	v_mov_b32_e32 v4, v0
	s_mov_b32 s0, 0
	s_and_b32 s6, s1, 3
	s_mov_b32 s1, 0
	s_cmp_eq_u32 s6, 0
	s_cbranch_scc1 .LBB109_46
.LBB109_44:
	s_lshl_b32 s4, s0, 3
	s_mov_b32 s5, s1
	s_mul_u64 s[10:11], s[0:1], 12
	s_add_nc_u64 s[4:5], s[20:21], s[4:5]
	s_delay_alu instid0(SALU_CYCLE_1)
	s_add_nc_u64 s[0:1], s[4:5], 0xc4
	s_add_nc_u64 s[4:5], s[20:21], s[10:11]
.LBB109_45:                             ; =>This Inner Loop Header: Depth=1
	s_load_b96 s[16:18], s[4:5], 0x4
	s_load_b64 s[10:11], s[0:1], 0x0
	s_add_co_i32 s6, s6, -1
	s_wait_xcnt 0x0
	s_add_nc_u64 s[4:5], s[4:5], 12
	s_cmp_lg_u32 s6, 0
	s_add_nc_u64 s[0:1], s[0:1], 8
	s_wait_kmcnt 0x0
	v_mul_hi_u32 v5, s17, v4
	s_delay_alu instid0(VALU_DEP_1) | instskip(NEXT) | instid1(VALU_DEP_1)
	v_add_nc_u32_e32 v5, v4, v5
	v_lshrrev_b32_e32 v5, s18, v5
	s_delay_alu instid0(VALU_DEP_1) | instskip(NEXT) | instid1(VALU_DEP_1)
	v_mul_lo_u32 v6, v5, s16
	v_sub_nc_u32_e32 v4, v4, v6
	s_delay_alu instid0(VALU_DEP_1)
	v_mad_u32 v3, v4, s11, v3
	v_mad_u32 v2, v4, s10, v2
	v_mov_b32_e32 v4, v5
	s_cbranch_scc1 .LBB109_45
.LBB109_46:
	s_and_not1_b32 vcc_lo, exec_lo, s8
	s_cbranch_vccnz .LBB109_49
; %bb.47:
	s_clause 0x1
	s_load_b96 s[4:6], s[20:21], 0x4
	s_load_b64 s[0:1], s[20:21], 0xc4
	s_cmp_lt_u32 s33, 2
	s_wait_kmcnt 0x0
	v_mul_hi_u32 v2, s5, v0
	s_delay_alu instid0(VALU_DEP_1) | instskip(NEXT) | instid1(VALU_DEP_1)
	v_add_nc_u32_e32 v2, v0, v2
	v_lshrrev_b32_e32 v4, s6, v2
	s_delay_alu instid0(VALU_DEP_1) | instskip(NEXT) | instid1(VALU_DEP_1)
	v_mul_lo_u32 v2, v4, s4
	v_sub_nc_u32_e32 v2, v0, v2
	s_delay_alu instid0(VALU_DEP_1)
	v_mul_lo_u32 v3, v2, s1
	v_mul_lo_u32 v2, v2, s0
	s_cbranch_scc1 .LBB109_49
; %bb.48:
	s_clause 0x1
	s_load_b96 s[4:6], s[20:21], 0x10
	s_load_b64 s[0:1], s[20:21], 0xcc
	s_wait_kmcnt 0x0
	v_mul_hi_u32 v5, s5, v4
	s_delay_alu instid0(VALU_DEP_1) | instskip(NEXT) | instid1(VALU_DEP_1)
	v_add_nc_u32_e32 v5, v4, v5
	v_lshrrev_b32_e32 v5, s6, v5
	s_delay_alu instid0(VALU_DEP_1) | instskip(NEXT) | instid1(VALU_DEP_1)
	v_mul_lo_u32 v5, v5, s4
	v_sub_nc_u32_e32 v4, v4, v5
	s_delay_alu instid0(VALU_DEP_1)
	v_mad_u32 v2, v4, s0, v2
	v_mad_u32 v3, v4, s1, v3
.LBB109_49:
	v_cmp_ne_u32_e32 vcc_lo, 1, v8
	v_add_nc_u32_e32 v6, 0x80, v0
	s_cbranch_vccnz .LBB109_55
; %bb.50:
	s_cmp_lg_u32 s33, 0
	s_mov_b32 s8, 0
	s_cbranch_scc0 .LBB109_56
; %bb.51:
	s_min_u32 s1, s36, 15
	s_delay_alu instid0(SALU_CYCLE_1)
	s_add_co_i32 s1, s1, 1
	s_cmp_eq_u32 s36, 2
	s_cbranch_scc1 .LBB109_57
; %bb.52:
	v_dual_mov_b32 v4, 0 :: v_dual_mov_b32 v5, 0
	v_mov_b32_e32 v7, v6
	s_and_b32 s0, s1, 28
	s_add_nc_u64 s[4:5], s[20:21], 0xc4
	s_mov_b32 s9, 0
	s_mov_b64 s[6:7], s[20:21]
.LBB109_53:                             ; =>This Inner Loop Header: Depth=1
	s_clause 0x1
	s_load_b256 s[24:31], s[6:7], 0x4
	s_load_b128 s[16:19], s[6:7], 0x24
	s_load_b256 s[40:47], s[4:5], 0x0
	s_add_co_i32 s9, s9, 4
	s_wait_xcnt 0x0
	s_add_nc_u64 s[6:7], s[6:7], 48
	s_cmp_lg_u32 s0, s9
	s_add_nc_u64 s[4:5], s[4:5], 32
	s_wait_kmcnt 0x0
	v_mul_hi_u32 v9, s25, v7
	s_delay_alu instid0(VALU_DEP_1) | instskip(NEXT) | instid1(VALU_DEP_1)
	v_add_nc_u32_e32 v9, v7, v9
	v_lshrrev_b32_e32 v9, s26, v9
	s_delay_alu instid0(VALU_DEP_1) | instskip(NEXT) | instid1(VALU_DEP_1)
	v_mul_hi_u32 v10, s28, v9
	v_add_nc_u32_e32 v10, v9, v10
	s_delay_alu instid0(VALU_DEP_1) | instskip(NEXT) | instid1(VALU_DEP_1)
	v_lshrrev_b32_e32 v10, s29, v10
	v_mul_hi_u32 v11, s31, v10
	s_delay_alu instid0(VALU_DEP_1) | instskip(SKIP_1) | instid1(VALU_DEP_1)
	v_add_nc_u32_e32 v11, v10, v11
	v_mul_lo_u32 v12, v9, s24
	v_sub_nc_u32_e32 v7, v7, v12
	v_mul_lo_u32 v12, v10, s27
	s_delay_alu instid0(VALU_DEP_4) | instskip(NEXT) | instid1(VALU_DEP_3)
	v_lshrrev_b32_e32 v11, s16, v11
	v_mad_u32 v5, v7, s41, v5
	v_mad_u32 v4, v7, s40, v4
	s_delay_alu instid0(VALU_DEP_4) | instskip(NEXT) | instid1(VALU_DEP_4)
	v_sub_nc_u32_e32 v7, v9, v12
	v_mul_hi_u32 v13, s18, v11
	v_mul_lo_u32 v9, v11, s30
	s_delay_alu instid0(VALU_DEP_3) | instskip(SKIP_1) | instid1(VALU_DEP_4)
	v_mad_u32 v5, v7, s43, v5
	v_mad_u32 v4, v7, s42, v4
	v_add_nc_u32_e32 v12, v11, v13
	s_delay_alu instid0(VALU_DEP_1) | instskip(NEXT) | instid1(VALU_DEP_1)
	v_dual_sub_nc_u32 v9, v10, v9 :: v_dual_lshrrev_b32 v7, s19, v12
	v_mad_u32 v5, v9, s45, v5
	s_delay_alu instid0(VALU_DEP_4) | instskip(NEXT) | instid1(VALU_DEP_3)
	v_mad_u32 v4, v9, s44, v4
	v_mul_lo_u32 v10, v7, s17
	s_delay_alu instid0(VALU_DEP_1) | instskip(NEXT) | instid1(VALU_DEP_1)
	v_sub_nc_u32_e32 v9, v11, v10
	v_mad_u32 v5, v9, s47, v5
	s_delay_alu instid0(VALU_DEP_4)
	v_mad_u32 v4, v9, s46, v4
	s_cbranch_scc1 .LBB109_53
; %bb.54:
	s_and_b32 s6, s1, 3
	s_mov_b32 s1, 0
	s_cmp_eq_u32 s6, 0
	s_cbranch_scc0 .LBB109_58
	s_branch .LBB109_60
.LBB109_55:
	s_mov_b32 s8, -1
                                        ; implicit-def: $vgpr5
	s_branch .LBB109_60
.LBB109_56:
	v_dual_mov_b32 v5, 0 :: v_dual_mov_b32 v4, 0
	s_branch .LBB109_60
.LBB109_57:
	v_mov_b64_e32 v[4:5], 0
	v_mov_b32_e32 v7, v6
	s_mov_b32 s0, 0
	s_and_b32 s6, s1, 3
	s_mov_b32 s1, 0
	s_cmp_eq_u32 s6, 0
	s_cbranch_scc1 .LBB109_60
.LBB109_58:
	s_lshl_b32 s4, s0, 3
	s_mov_b32 s5, s1
	s_mul_u64 s[10:11], s[0:1], 12
	s_add_nc_u64 s[4:5], s[20:21], s[4:5]
	s_delay_alu instid0(SALU_CYCLE_1)
	s_add_nc_u64 s[0:1], s[4:5], 0xc4
	s_add_nc_u64 s[4:5], s[20:21], s[10:11]
.LBB109_59:                             ; =>This Inner Loop Header: Depth=1
	s_load_b96 s[16:18], s[4:5], 0x4
	s_load_b64 s[10:11], s[0:1], 0x0
	s_add_co_i32 s6, s6, -1
	s_wait_xcnt 0x0
	s_add_nc_u64 s[4:5], s[4:5], 12
	s_cmp_lg_u32 s6, 0
	s_add_nc_u64 s[0:1], s[0:1], 8
	s_wait_kmcnt 0x0
	v_mul_hi_u32 v9, s17, v7
	s_delay_alu instid0(VALU_DEP_1) | instskip(NEXT) | instid1(VALU_DEP_1)
	v_add_nc_u32_e32 v9, v7, v9
	v_lshrrev_b32_e32 v9, s18, v9
	s_delay_alu instid0(VALU_DEP_1) | instskip(NEXT) | instid1(VALU_DEP_1)
	v_mul_lo_u32 v10, v9, s16
	v_sub_nc_u32_e32 v7, v7, v10
	s_delay_alu instid0(VALU_DEP_1)
	v_mad_u32 v5, v7, s11, v5
	v_mad_u32 v4, v7, s10, v4
	v_mov_b32_e32 v7, v9
	s_cbranch_scc1 .LBB109_59
.LBB109_60:
	s_and_not1_b32 vcc_lo, exec_lo, s8
	s_cbranch_vccnz .LBB109_63
; %bb.61:
	s_clause 0x1
	s_load_b96 s[4:6], s[20:21], 0x4
	s_load_b64 s[0:1], s[20:21], 0xc4
	s_cmp_lt_u32 s33, 2
	s_wait_kmcnt 0x0
	v_mul_hi_u32 v4, s5, v6
	s_delay_alu instid0(VALU_DEP_1) | instskip(NEXT) | instid1(VALU_DEP_1)
	v_add_nc_u32_e32 v4, v6, v4
	v_lshrrev_b32_e32 v7, s6, v4
	s_delay_alu instid0(VALU_DEP_1) | instskip(NEXT) | instid1(VALU_DEP_1)
	v_mul_lo_u32 v4, v7, s4
	v_sub_nc_u32_e32 v4, v6, v4
	s_delay_alu instid0(VALU_DEP_1)
	v_mul_lo_u32 v5, v4, s1
	v_mul_lo_u32 v4, v4, s0
	s_cbranch_scc1 .LBB109_63
; %bb.62:
	s_clause 0x1
	s_load_b96 s[4:6], s[20:21], 0x10
	s_load_b64 s[0:1], s[20:21], 0xcc
	s_wait_kmcnt 0x0
	v_mul_hi_u32 v6, s5, v7
	s_delay_alu instid0(VALU_DEP_1) | instskip(NEXT) | instid1(VALU_DEP_1)
	v_add_nc_u32_e32 v6, v7, v6
	v_lshrrev_b32_e32 v6, s6, v6
	s_delay_alu instid0(VALU_DEP_1) | instskip(NEXT) | instid1(VALU_DEP_1)
	v_mul_lo_u32 v6, v6, s4
	v_sub_nc_u32_e32 v6, v7, v6
	s_delay_alu instid0(VALU_DEP_1)
	v_mad_u32 v4, v6, s0, v4
	v_mad_u32 v5, v6, s1, v5
.LBB109_63:
	v_cmp_ne_u32_e32 vcc_lo, 1, v8
	v_add_nc_u32_e32 v0, 0x100, v0
	s_cbranch_vccnz .LBB109_69
; %bb.64:
	s_cmp_lg_u32 s33, 0
	s_mov_b32 s8, 0
	s_cbranch_scc0 .LBB109_70
; %bb.65:
	s_min_u32 s1, s36, 15
	s_delay_alu instid0(SALU_CYCLE_1)
	s_add_co_i32 s1, s1, 1
	s_cmp_eq_u32 s36, 2
	s_cbranch_scc1 .LBB109_71
; %bb.66:
	v_dual_mov_b32 v6, 0 :: v_dual_mov_b32 v7, 0
	v_mov_b32_e32 v9, v0
	s_and_b32 s0, s1, 28
	s_add_nc_u64 s[4:5], s[20:21], 0xc4
	s_mov_b32 s9, 0
	s_mov_b64 s[6:7], s[20:21]
.LBB109_67:                             ; =>This Inner Loop Header: Depth=1
	s_clause 0x1
	s_load_b256 s[24:31], s[6:7], 0x4
	s_load_b128 s[16:19], s[6:7], 0x24
	s_load_b256 s[40:47], s[4:5], 0x0
	s_add_co_i32 s9, s9, 4
	s_wait_xcnt 0x0
	s_add_nc_u64 s[6:7], s[6:7], 48
	s_cmp_lg_u32 s0, s9
	s_add_nc_u64 s[4:5], s[4:5], 32
	s_wait_kmcnt 0x0
	v_mul_hi_u32 v10, s25, v9
	s_delay_alu instid0(VALU_DEP_1) | instskip(NEXT) | instid1(VALU_DEP_1)
	v_add_nc_u32_e32 v10, v9, v10
	v_lshrrev_b32_e32 v10, s26, v10
	s_delay_alu instid0(VALU_DEP_1) | instskip(NEXT) | instid1(VALU_DEP_1)
	v_mul_hi_u32 v11, s28, v10
	v_add_nc_u32_e32 v11, v10, v11
	s_delay_alu instid0(VALU_DEP_1) | instskip(NEXT) | instid1(VALU_DEP_1)
	v_lshrrev_b32_e32 v11, s29, v11
	v_mul_hi_u32 v12, s31, v11
	s_delay_alu instid0(VALU_DEP_1) | instskip(SKIP_1) | instid1(VALU_DEP_1)
	v_add_nc_u32_e32 v12, v11, v12
	v_mul_lo_u32 v13, v10, s24
	v_sub_nc_u32_e32 v9, v9, v13
	v_mul_lo_u32 v13, v11, s27
	s_delay_alu instid0(VALU_DEP_4) | instskip(NEXT) | instid1(VALU_DEP_3)
	v_lshrrev_b32_e32 v12, s16, v12
	v_mad_u32 v7, v9, s41, v7
	v_mad_u32 v6, v9, s40, v6
	s_delay_alu instid0(VALU_DEP_4) | instskip(NEXT) | instid1(VALU_DEP_4)
	v_sub_nc_u32_e32 v9, v10, v13
	v_mul_hi_u32 v14, s18, v12
	v_mul_lo_u32 v10, v12, s30
	s_delay_alu instid0(VALU_DEP_3) | instskip(SKIP_1) | instid1(VALU_DEP_4)
	v_mad_u32 v7, v9, s43, v7
	v_mad_u32 v6, v9, s42, v6
	v_add_nc_u32_e32 v13, v12, v14
	s_delay_alu instid0(VALU_DEP_1) | instskip(NEXT) | instid1(VALU_DEP_1)
	v_dual_sub_nc_u32 v10, v11, v10 :: v_dual_lshrrev_b32 v9, s19, v13
	v_mad_u32 v7, v10, s45, v7
	s_delay_alu instid0(VALU_DEP_4) | instskip(NEXT) | instid1(VALU_DEP_3)
	v_mad_u32 v6, v10, s44, v6
	v_mul_lo_u32 v11, v9, s17
	s_delay_alu instid0(VALU_DEP_1) | instskip(NEXT) | instid1(VALU_DEP_1)
	v_sub_nc_u32_e32 v10, v12, v11
	v_mad_u32 v7, v10, s47, v7
	s_delay_alu instid0(VALU_DEP_4)
	v_mad_u32 v6, v10, s46, v6
	s_cbranch_scc1 .LBB109_67
; %bb.68:
	s_and_b32 s6, s1, 3
	s_mov_b32 s1, 0
	s_cmp_eq_u32 s6, 0
	s_cbranch_scc0 .LBB109_72
	s_branch .LBB109_74
.LBB109_69:
	s_mov_b32 s8, -1
                                        ; implicit-def: $vgpr7
	s_branch .LBB109_74
.LBB109_70:
	v_dual_mov_b32 v7, 0 :: v_dual_mov_b32 v6, 0
	s_branch .LBB109_74
.LBB109_71:
	v_mov_b64_e32 v[6:7], 0
	v_mov_b32_e32 v9, v0
	s_mov_b32 s0, 0
	s_and_b32 s6, s1, 3
	s_mov_b32 s1, 0
	s_cmp_eq_u32 s6, 0
	s_cbranch_scc1 .LBB109_74
.LBB109_72:
	s_lshl_b32 s4, s0, 3
	s_mov_b32 s5, s1
	s_mul_u64 s[10:11], s[0:1], 12
	s_add_nc_u64 s[4:5], s[20:21], s[4:5]
	s_delay_alu instid0(SALU_CYCLE_1)
	s_add_nc_u64 s[0:1], s[4:5], 0xc4
	s_add_nc_u64 s[4:5], s[20:21], s[10:11]
.LBB109_73:                             ; =>This Inner Loop Header: Depth=1
	s_load_b96 s[16:18], s[4:5], 0x4
	s_load_b64 s[10:11], s[0:1], 0x0
	s_add_co_i32 s6, s6, -1
	s_wait_xcnt 0x0
	s_add_nc_u64 s[4:5], s[4:5], 12
	s_cmp_lg_u32 s6, 0
	s_add_nc_u64 s[0:1], s[0:1], 8
	s_wait_kmcnt 0x0
	v_mul_hi_u32 v10, s17, v9
	s_delay_alu instid0(VALU_DEP_1) | instskip(NEXT) | instid1(VALU_DEP_1)
	v_add_nc_u32_e32 v10, v9, v10
	v_lshrrev_b32_e32 v10, s18, v10
	s_delay_alu instid0(VALU_DEP_1) | instskip(NEXT) | instid1(VALU_DEP_1)
	v_mul_lo_u32 v11, v10, s16
	v_sub_nc_u32_e32 v9, v9, v11
	s_delay_alu instid0(VALU_DEP_1)
	v_mad_u32 v7, v9, s11, v7
	v_mad_u32 v6, v9, s10, v6
	v_mov_b32_e32 v9, v10
	s_cbranch_scc1 .LBB109_73
.LBB109_74:
	s_and_not1_b32 vcc_lo, exec_lo, s8
	s_cbranch_vccnz .LBB109_77
; %bb.75:
	s_clause 0x1
	s_load_b96 s[4:6], s[20:21], 0x4
	s_load_b64 s[0:1], s[20:21], 0xc4
	s_cmp_lt_u32 s33, 2
	s_wait_kmcnt 0x0
	v_mul_hi_u32 v6, s5, v0
	s_delay_alu instid0(VALU_DEP_1) | instskip(NEXT) | instid1(VALU_DEP_1)
	v_add_nc_u32_e32 v6, v0, v6
	v_lshrrev_b32_e32 v9, s6, v6
	s_delay_alu instid0(VALU_DEP_1) | instskip(NEXT) | instid1(VALU_DEP_1)
	v_mul_lo_u32 v6, v9, s4
	v_sub_nc_u32_e32 v0, v0, v6
	s_delay_alu instid0(VALU_DEP_1)
	v_mul_lo_u32 v7, v0, s1
	v_mul_lo_u32 v6, v0, s0
	s_cbranch_scc1 .LBB109_77
; %bb.76:
	s_clause 0x1
	s_load_b96 s[4:6], s[20:21], 0x10
	s_load_b64 s[0:1], s[20:21], 0xcc
	s_wait_kmcnt 0x0
	v_mul_hi_u32 v0, s5, v9
	s_delay_alu instid0(VALU_DEP_1) | instskip(NEXT) | instid1(VALU_DEP_1)
	v_add_nc_u32_e32 v0, v9, v0
	v_lshrrev_b32_e32 v0, s6, v0
	s_delay_alu instid0(VALU_DEP_1) | instskip(NEXT) | instid1(VALU_DEP_1)
	v_mul_lo_u32 v0, v0, s4
	v_sub_nc_u32_e32 v0, v9, v0
	s_delay_alu instid0(VALU_DEP_1)
	v_mad_u32 v6, v0, s0, v6
	v_mad_u32 v7, v0, s1, v7
.LBB109_77:
	v_cmp_ne_u32_e32 vcc_lo, 1, v8
	s_cbranch_vccnz .LBB109_83
; %bb.78:
	s_cmp_lg_u32 s33, 0
	s_mov_b32 s8, 0
	s_cbranch_scc0 .LBB109_84
; %bb.79:
	s_min_u32 s1, s36, 15
	s_delay_alu instid0(SALU_CYCLE_1)
	s_add_co_i32 s1, s1, 1
	s_cmp_eq_u32 s36, 2
	s_cbranch_scc1 .LBB109_85
; %bb.80:
	v_dual_mov_b32 v8, 0 :: v_dual_mov_b32 v9, 0
	v_mov_b32_e32 v0, v1
	s_and_b32 s0, s1, 28
	s_add_nc_u64 s[4:5], s[20:21], 0xc4
	s_mov_b32 s9, 0
	s_mov_b64 s[6:7], s[20:21]
.LBB109_81:                             ; =>This Inner Loop Header: Depth=1
	s_clause 0x1
	s_load_b256 s[24:31], s[6:7], 0x4
	s_load_b128 s[16:19], s[6:7], 0x24
	s_load_b256 s[36:43], s[4:5], 0x0
	s_add_co_i32 s9, s9, 4
	s_wait_xcnt 0x0
	s_add_nc_u64 s[6:7], s[6:7], 48
	s_cmp_lg_u32 s0, s9
	s_add_nc_u64 s[4:5], s[4:5], 32
	s_wait_kmcnt 0x0
	v_mul_hi_u32 v10, s25, v0
	s_delay_alu instid0(VALU_DEP_1) | instskip(NEXT) | instid1(VALU_DEP_1)
	v_add_nc_u32_e32 v10, v0, v10
	v_lshrrev_b32_e32 v10, s26, v10
	s_delay_alu instid0(VALU_DEP_1) | instskip(NEXT) | instid1(VALU_DEP_1)
	v_mul_hi_u32 v11, s28, v10
	v_add_nc_u32_e32 v11, v10, v11
	s_delay_alu instid0(VALU_DEP_1) | instskip(NEXT) | instid1(VALU_DEP_1)
	v_lshrrev_b32_e32 v11, s29, v11
	v_mul_hi_u32 v12, s31, v11
	s_delay_alu instid0(VALU_DEP_1) | instskip(SKIP_1) | instid1(VALU_DEP_1)
	v_add_nc_u32_e32 v12, v11, v12
	v_mul_lo_u32 v13, v10, s24
	v_sub_nc_u32_e32 v0, v0, v13
	v_mul_lo_u32 v13, v11, s27
	s_delay_alu instid0(VALU_DEP_4) | instskip(NEXT) | instid1(VALU_DEP_3)
	v_lshrrev_b32_e32 v12, s16, v12
	v_mad_u32 v9, v0, s37, v9
	v_mad_u32 v0, v0, s36, v8
	s_delay_alu instid0(VALU_DEP_4) | instskip(NEXT) | instid1(VALU_DEP_4)
	v_sub_nc_u32_e32 v8, v10, v13
	v_mul_hi_u32 v14, s18, v12
	v_mul_lo_u32 v10, v12, s30
	s_delay_alu instid0(VALU_DEP_3) | instskip(SKIP_1) | instid1(VALU_DEP_4)
	v_mad_u32 v9, v8, s39, v9
	v_mad_u32 v8, v8, s38, v0
	v_add_nc_u32_e32 v13, v12, v14
	s_delay_alu instid0(VALU_DEP_1) | instskip(NEXT) | instid1(VALU_DEP_1)
	v_dual_sub_nc_u32 v10, v11, v10 :: v_dual_lshrrev_b32 v0, s19, v13
	v_mad_u32 v9, v10, s41, v9
	s_delay_alu instid0(VALU_DEP_4) | instskip(NEXT) | instid1(VALU_DEP_3)
	v_mad_u32 v8, v10, s40, v8
	v_mul_lo_u32 v11, v0, s17
	s_delay_alu instid0(VALU_DEP_1) | instskip(NEXT) | instid1(VALU_DEP_1)
	v_sub_nc_u32_e32 v10, v12, v11
	v_mad_u32 v9, v10, s43, v9
	s_delay_alu instid0(VALU_DEP_4)
	v_mad_u32 v8, v10, s42, v8
	s_cbranch_scc1 .LBB109_81
; %bb.82:
	s_and_b32 s6, s1, 3
	s_mov_b32 s1, 0
	s_cmp_eq_u32 s6, 0
	s_cbranch_scc0 .LBB109_86
	s_branch .LBB109_88
.LBB109_83:
	s_mov_b32 s8, -1
                                        ; implicit-def: $vgpr9
	s_branch .LBB109_88
.LBB109_84:
	v_dual_mov_b32 v9, 0 :: v_dual_mov_b32 v8, 0
	s_branch .LBB109_88
.LBB109_85:
	v_mov_b64_e32 v[8:9], 0
	v_mov_b32_e32 v0, v1
	s_mov_b32 s0, 0
	s_and_b32 s6, s1, 3
	s_mov_b32 s1, 0
	s_cmp_eq_u32 s6, 0
	s_cbranch_scc1 .LBB109_88
.LBB109_86:
	s_lshl_b32 s4, s0, 3
	s_mov_b32 s5, s1
	s_mul_u64 s[10:11], s[0:1], 12
	s_add_nc_u64 s[4:5], s[20:21], s[4:5]
	s_delay_alu instid0(SALU_CYCLE_1)
	s_add_nc_u64 s[0:1], s[4:5], 0xc4
	s_add_nc_u64 s[4:5], s[20:21], s[10:11]
.LBB109_87:                             ; =>This Inner Loop Header: Depth=1
	s_load_b96 s[16:18], s[4:5], 0x4
	s_load_b64 s[10:11], s[0:1], 0x0
	s_add_co_i32 s6, s6, -1
	s_wait_xcnt 0x0
	s_add_nc_u64 s[4:5], s[4:5], 12
	s_cmp_lg_u32 s6, 0
	s_add_nc_u64 s[0:1], s[0:1], 8
	s_wait_kmcnt 0x0
	v_mul_hi_u32 v10, s17, v0
	s_delay_alu instid0(VALU_DEP_1) | instskip(NEXT) | instid1(VALU_DEP_1)
	v_add_nc_u32_e32 v10, v0, v10
	v_lshrrev_b32_e32 v10, s18, v10
	s_delay_alu instid0(VALU_DEP_1) | instskip(NEXT) | instid1(VALU_DEP_1)
	v_mul_lo_u32 v11, v10, s16
	v_sub_nc_u32_e32 v0, v0, v11
	s_delay_alu instid0(VALU_DEP_1)
	v_mad_u32 v9, v0, s11, v9
	v_mad_u32 v8, v0, s10, v8
	v_mov_b32_e32 v0, v10
	s_cbranch_scc1 .LBB109_87
.LBB109_88:
	s_and_not1_b32 vcc_lo, exec_lo, s8
	s_cbranch_vccnz .LBB109_91
; %bb.89:
	s_clause 0x1
	s_load_b96 s[4:6], s[20:21], 0x4
	s_load_b64 s[0:1], s[20:21], 0xc4
	s_cmp_lt_u32 s33, 2
	s_wait_kmcnt 0x0
	v_mul_hi_u32 v0, s5, v1
	s_delay_alu instid0(VALU_DEP_1) | instskip(NEXT) | instid1(VALU_DEP_1)
	v_add_nc_u32_e32 v0, v1, v0
	v_lshrrev_b32_e32 v0, s6, v0
	s_delay_alu instid0(VALU_DEP_1) | instskip(NEXT) | instid1(VALU_DEP_1)
	v_mul_lo_u32 v8, v0, s4
	v_sub_nc_u32_e32 v1, v1, v8
	s_delay_alu instid0(VALU_DEP_1)
	v_mul_lo_u32 v9, v1, s1
	v_mul_lo_u32 v8, v1, s0
	s_cbranch_scc1 .LBB109_91
; %bb.90:
	s_clause 0x1
	s_load_b96 s[4:6], s[20:21], 0x10
	s_load_b64 s[0:1], s[20:21], 0xcc
	s_wait_kmcnt 0x0
	v_mul_hi_u32 v1, s5, v0
	s_delay_alu instid0(VALU_DEP_1) | instskip(NEXT) | instid1(VALU_DEP_1)
	v_add_nc_u32_e32 v1, v0, v1
	v_lshrrev_b32_e32 v1, s6, v1
	s_delay_alu instid0(VALU_DEP_1) | instskip(NEXT) | instid1(VALU_DEP_1)
	v_mul_lo_u32 v1, v1, s4
	v_sub_nc_u32_e32 v0, v0, v1
	s_delay_alu instid0(VALU_DEP_1)
	v_mad_u32 v8, v0, s0, v8
	v_mad_u32 v9, v0, s1, v9
.LBB109_91:
	s_load_b256 s[4:11], s[20:21], 0x148
	s_wait_kmcnt 0x0
	global_load_b64 v[0:1], v3, s[6:7]
	s_wait_loadcnt 0x0
	v_cmp_gt_i64_e32 vcc_lo, s[8:9], v[0:1]
	v_cmp_le_i64_e64 s0, s[10:11], v[0:1]
	s_or_b32 s0, vcc_lo, s0
	s_cmp_eq_u64 s[2:3], 0
	s_cselect_b32 s1, -1, 0
	s_delay_alu instid0(SALU_CYCLE_1) | instskip(SKIP_3) | instid1(SALU_CYCLE_1)
	s_or_b32 s0, s1, s0
	s_mov_b32 s1, s12
	s_wait_xcnt 0x0
	s_and_saveexec_b32 s2, s0
	s_xor_b32 s0, exec_lo, s2
	s_cbranch_execnz .LBB109_157
; %bb.92:
	s_or_saveexec_b32 s2, s0
	s_mov_b32 s0, 0
	s_xor_b32 exec_lo, exec_lo, s2
	s_cbranch_execz .LBB109_101
.LBB109_93:
	global_load_b64 v[0:1], v5, s[6:7]
	s_mov_b32 s3, s1
	s_wait_loadcnt 0x0
	v_cmp_gt_i64_e32 vcc_lo, s[8:9], v[0:1]
	v_cmp_le_i64_e64 s0, s[10:11], v[0:1]
	s_or_b32 s0, vcc_lo, s0
	s_wait_xcnt 0x0
	s_and_saveexec_b32 s14, s0
	s_delay_alu instid0(SALU_CYCLE_1)
	s_xor_b32 s0, exec_lo, s14
	s_cbranch_execnz .LBB109_158
; %bb.94:
	s_or_saveexec_b32 s14, s0
	s_mov_b32 s0, 0
	s_xor_b32 exec_lo, exec_lo, s14
	s_cbranch_execz .LBB109_100
.LBB109_95:
	global_load_b64 v[0:1], v7, s[6:7]
	s_mov_b32 s15, s3
	s_wait_loadcnt 0x0
	v_cmp_gt_i64_e32 vcc_lo, s[8:9], v[0:1]
	v_cmp_le_i64_e64 s0, s[10:11], v[0:1]
	s_or_b32 s0, vcc_lo, s0
	s_wait_xcnt 0x0
	s_and_saveexec_b32 s16, s0
	s_delay_alu instid0(SALU_CYCLE_1)
	s_xor_b32 s0, exec_lo, s16
	s_cbranch_execnz .LBB109_159
; %bb.96:
	s_or_saveexec_b32 s16, s0
	s_mov_b32 s0, 0
	s_xor_b32 exec_lo, exec_lo, s16
	s_cbranch_execz .LBB109_99
.LBB109_97:
	global_load_b64 v[0:1], v9, s[6:7]
	s_wait_xcnt 0x0
	s_mov_b32 s6, -1
	s_wait_loadcnt 0x0
	v_cmp_gt_i64_e32 vcc_lo, s[8:9], v[0:1]
	v_cmp_le_i64_e64 s0, s[10:11], v[0:1]
	s_or_b32 s8, vcc_lo, s0
	s_mov_b32 s0, s15
	s_and_saveexec_b32 s7, s8
	s_cbranch_execnz .LBB109_160
.LBB109_98:
	s_or_b32 exec_lo, exec_lo, s7
	s_delay_alu instid0(SALU_CYCLE_1)
	s_and_not1_b32 s7, s15, exec_lo
	s_and_b32 s8, s0, exec_lo
	s_and_b32 s0, s6, exec_lo
	s_or_b32 s15, s7, s8
.LBB109_99:
	s_or_b32 exec_lo, exec_lo, s16
	s_delay_alu instid0(SALU_CYCLE_1)
	s_and_not1_b32 s3, s3, exec_lo
	s_and_b32 s6, s15, exec_lo
	s_and_b32 s0, s0, exec_lo
	s_or_b32 s3, s3, s6
.LBB109_100:
	s_or_b32 exec_lo, exec_lo, s14
	s_delay_alu instid0(SALU_CYCLE_1)
	s_and_not1_b32 s1, s1, exec_lo
	s_and_b32 s3, s3, exec_lo
	s_and_b32 s0, s0, exec_lo
	s_or_b32 s1, s1, s3
.LBB109_101:
	s_or_b32 exec_lo, exec_lo, s2
	s_delay_alu instid0(SALU_CYCLE_1)
	s_and_not1_b32 s2, s12, exec_lo
	s_and_b32 s1, s1, exec_lo
	s_and_b32 s37, s0, exec_lo
	s_or_b32 s12, s2, s1
	s_or_b32 exec_lo, exec_lo, s13
	s_and_saveexec_b32 s0, s12
	s_cbranch_execnz .LBB109_39
.LBB109_102:
	s_or_b32 exec_lo, exec_lo, s0
	s_and_saveexec_b32 s0, s37
	s_cbranch_execz .LBB109_40
.LBB109_103:
	v_mov_b64_e32 v[0:1], 0
	s_clause 0x3
	global_store_b64 v2, v[0:1], s[4:5]
	global_store_b64 v4, v[0:1], s[4:5]
	;; [unrolled: 1-line block ×4, first 2 shown]
	s_endpgm
.LBB109_104:
	v_dual_mov_b32 v3, 0 :: v_dual_mov_b32 v2, 0
	s_branch .LBB109_109
.LBB109_105:
	v_mov_b64_e32 v[2:3], 0
	v_mov_b32_e32 v1, v0
	s_mov_b32 s28, 0
.LBB109_106:
	s_and_b32 s0, s0, 3
	s_mov_b32 s29, 0
	s_cmp_eq_u32 s0, 0
	s_cbranch_scc1 .LBB109_109
; %bb.107:
	s_lshl_b32 s30, s28, 3
	s_mov_b32 s31, s29
	s_mul_u64 s[34:35], s[28:29], 12
	s_add_nc_u64 s[30:31], s[20:21], s[30:31]
	s_delay_alu instid0(SALU_CYCLE_1)
	s_add_nc_u64 s[28:29], s[30:31], 0xc4
	s_add_nc_u64 s[30:31], s[20:21], s[34:35]
.LBB109_108:                            ; =>This Inner Loop Header: Depth=1
	s_load_b96 s[48:50], s[30:31], 0x4
	s_load_b64 s[34:35], s[28:29], 0x0
	s_add_co_i32 s0, s0, -1
	s_wait_xcnt 0x0
	s_add_nc_u64 s[30:31], s[30:31], 12
	s_cmp_lg_u32 s0, 0
	s_add_nc_u64 s[28:29], s[28:29], 8
	s_wait_kmcnt 0x0
	v_mul_hi_u32 v4, s49, v1
	s_delay_alu instid0(VALU_DEP_1) | instskip(NEXT) | instid1(VALU_DEP_1)
	v_add_nc_u32_e32 v4, v1, v4
	v_lshrrev_b32_e32 v4, s50, v4
	s_delay_alu instid0(VALU_DEP_1) | instskip(NEXT) | instid1(VALU_DEP_1)
	v_mul_lo_u32 v5, v4, s48
	v_sub_nc_u32_e32 v1, v1, v5
	s_delay_alu instid0(VALU_DEP_1)
	v_mad_u32 v3, v1, s35, v3
	v_mad_u32 v2, v1, s34, v2
	v_mov_b32_e32 v1, v4
	s_cbranch_scc1 .LBB109_108
.LBB109_109:
	s_cbranch_execnz .LBB109_112
.LBB109_110:
	v_mov_b32_e32 v1, 0
	s_and_not1_b32 vcc_lo, exec_lo, s41
	s_delay_alu instid0(VALU_DEP_1) | instskip(NEXT) | instid1(VALU_DEP_1)
	v_mul_u64_e32 v[2:3], s[22:23], v[0:1]
	v_add_nc_u32_e32 v2, v0, v3
	s_delay_alu instid0(VALU_DEP_1) | instskip(NEXT) | instid1(VALU_DEP_1)
	v_lshrrev_b32_e32 v4, s14, v2
	v_mul_lo_u32 v2, v4, s12
	s_delay_alu instid0(VALU_DEP_1) | instskip(NEXT) | instid1(VALU_DEP_1)
	v_sub_nc_u32_e32 v2, v0, v2
	v_mul_lo_u32 v3, v2, s17
	v_mul_lo_u32 v2, v2, s16
	s_cbranch_vccnz .LBB109_112
; %bb.111:
	v_mov_b32_e32 v5, v1
	s_delay_alu instid0(VALU_DEP_1) | instskip(NEXT) | instid1(VALU_DEP_1)
	v_mul_u64_e32 v[6:7], s[24:25], v[4:5]
	v_add_nc_u32_e32 v1, v4, v7
	s_delay_alu instid0(VALU_DEP_1) | instskip(NEXT) | instid1(VALU_DEP_1)
	v_lshrrev_b32_e32 v1, s1, v1
	v_mul_lo_u32 v1, v1, s15
	s_delay_alu instid0(VALU_DEP_1) | instskip(NEXT) | instid1(VALU_DEP_1)
	v_sub_nc_u32_e32 v1, v4, v1
	v_mad_u32 v2, v1, s18, v2
	v_mad_u32 v3, v1, s19, v3
.LBB109_112:
	global_load_b64 v[4:5], v3, s[6:7]
	s_wait_loadcnt 0x0
	v_cmp_le_i64_e32 vcc_lo, s[8:9], v[4:5]
	v_cmp_gt_i64_e64 s0, s[10:11], v[4:5]
	s_and_b32 s28, vcc_lo, s0
	s_mov_b32 s0, 0
	s_and_b32 s30, s40, s28
	s_mov_b32 s28, -1
	s_wait_xcnt 0x0
	s_and_saveexec_b32 s29, s30
; %bb.113:
	v_mov_b64_e32 v[4:5], 0
	v_add_nc_u32_e32 v0, 0x80, v0
	s_mov_b32 s0, exec_lo
	s_xor_b32 s28, exec_lo, -1
	global_store_b64 v2, v[4:5], s[4:5]
; %bb.114:
	s_wait_xcnt 0x0
	s_or_b32 exec_lo, exec_lo, s29
	s_delay_alu instid0(SALU_CYCLE_1)
	s_and_not1_b32 s29, s13, exec_lo
	s_and_b32 s28, s28, exec_lo
	s_or_not1_b32 s0, s0, exec_lo
	s_or_b32 s46, s29, s28
.LBB109_115:
	s_or_b32 exec_lo, exec_lo, s47
	s_mov_b32 s28, 0
                                        ; implicit-def: $vgpr2
	s_and_saveexec_b32 s47, s0
	s_cbranch_execz .LBB109_155
; %bb.116:
	s_mov_b32 s0, -1
	s_mov_b32 s34, s46
	s_mov_b32 s48, exec_lo
	v_cmpx_gt_i32_e64 s42, v0
	s_cbranch_execz .LBB109_135
; %bb.117:
	s_and_not1_b32 vcc_lo, exec_lo, s38
	s_cbranch_vccnz .LBB109_122
; %bb.118:
	s_and_not1_b32 vcc_lo, exec_lo, s44
	s_cbranch_vccnz .LBB109_123
; %bb.119:
	s_add_co_i32 s0, s43, 1
	s_cmp_eq_u32 s36, 2
	s_cbranch_scc1 .LBB109_124
; %bb.120:
	v_dual_mov_b32 v2, 0 :: v_dual_mov_b32 v3, 0
	v_mov_b32_e32 v1, v0
	s_and_b32 s28, s0, 28
	s_mov_b32 s29, 0
	s_mov_b64 s[30:31], s[20:21]
	s_mov_b64 s[34:35], s[26:27]
.LBB109_121:                            ; =>This Inner Loop Header: Depth=1
	s_clause 0x1
	s_load_b256 s[52:59], s[30:31], 0x4
	s_load_b128 s[68:71], s[30:31], 0x24
	s_load_b256 s[60:67], s[34:35], 0x0
	s_add_co_i32 s29, s29, 4
	s_wait_xcnt 0x0
	s_add_nc_u64 s[30:31], s[30:31], 48
	s_cmp_eq_u32 s28, s29
	s_add_nc_u64 s[34:35], s[34:35], 32
	s_wait_kmcnt 0x0
	v_mul_hi_u32 v4, s53, v1
	s_delay_alu instid0(VALU_DEP_1) | instskip(NEXT) | instid1(VALU_DEP_1)
	v_add_nc_u32_e32 v4, v1, v4
	v_lshrrev_b32_e32 v4, s54, v4
	s_delay_alu instid0(VALU_DEP_1) | instskip(NEXT) | instid1(VALU_DEP_1)
	v_mul_hi_u32 v5, s56, v4
	v_add_nc_u32_e32 v5, v4, v5
	s_delay_alu instid0(VALU_DEP_1) | instskip(NEXT) | instid1(VALU_DEP_1)
	v_lshrrev_b32_e32 v5, s57, v5
	v_mul_hi_u32 v6, s59, v5
	s_delay_alu instid0(VALU_DEP_1) | instskip(SKIP_1) | instid1(VALU_DEP_1)
	v_add_nc_u32_e32 v6, v5, v6
	v_mul_lo_u32 v7, v4, s52
	v_sub_nc_u32_e32 v1, v1, v7
	v_mul_lo_u32 v7, v5, s55
	s_delay_alu instid0(VALU_DEP_4) | instskip(NEXT) | instid1(VALU_DEP_3)
	v_lshrrev_b32_e32 v6, s68, v6
	v_mad_u32 v3, v1, s61, v3
	v_mad_u32 v1, v1, s60, v2
	s_delay_alu instid0(VALU_DEP_4) | instskip(NEXT) | instid1(VALU_DEP_4)
	v_sub_nc_u32_e32 v2, v4, v7
	v_mul_hi_u32 v8, s70, v6
	v_mul_lo_u32 v4, v6, s58
	s_delay_alu instid0(VALU_DEP_3) | instskip(SKIP_1) | instid1(VALU_DEP_4)
	v_mad_u32 v3, v2, s63, v3
	v_mad_u32 v2, v2, s62, v1
	v_add_nc_u32_e32 v7, v6, v8
	s_delay_alu instid0(VALU_DEP_1) | instskip(NEXT) | instid1(VALU_DEP_1)
	v_dual_sub_nc_u32 v4, v5, v4 :: v_dual_lshrrev_b32 v1, s71, v7
	v_mad_u32 v3, v4, s65, v3
	s_delay_alu instid0(VALU_DEP_4) | instskip(NEXT) | instid1(VALU_DEP_3)
	v_mad_u32 v2, v4, s64, v2
	v_mul_lo_u32 v5, v1, s69
	s_delay_alu instid0(VALU_DEP_1) | instskip(NEXT) | instid1(VALU_DEP_1)
	v_sub_nc_u32_e32 v4, v6, v5
	v_mad_u32 v3, v4, s67, v3
	s_delay_alu instid0(VALU_DEP_4)
	v_mad_u32 v2, v4, s66, v2
	s_cbranch_scc0 .LBB109_121
	s_branch .LBB109_125
.LBB109_122:
                                        ; implicit-def: $vgpr3
	s_branch .LBB109_129
.LBB109_123:
	v_dual_mov_b32 v3, 0 :: v_dual_mov_b32 v2, 0
	s_branch .LBB109_128
.LBB109_124:
	v_mov_b64_e32 v[2:3], 0
	v_mov_b32_e32 v1, v0
.LBB109_125:
	s_and_b32 s0, s0, 3
	s_mov_b32 s29, 0
	s_cmp_eq_u32 s0, 0
	s_cbranch_scc1 .LBB109_128
; %bb.126:
	s_lshl_b32 s30, s28, 3
	s_mov_b32 s31, s29
	s_mul_u64 s[34:35], s[28:29], 12
	s_add_nc_u64 s[30:31], s[20:21], s[30:31]
	s_delay_alu instid0(SALU_CYCLE_1)
	s_add_nc_u64 s[28:29], s[30:31], 0xc4
	s_add_nc_u64 s[30:31], s[20:21], s[34:35]
.LBB109_127:                            ; =>This Inner Loop Header: Depth=1
	s_load_b96 s[52:54], s[30:31], 0x4
	s_load_b64 s[34:35], s[28:29], 0x0
	s_add_co_i32 s0, s0, -1
	s_wait_xcnt 0x0
	s_add_nc_u64 s[30:31], s[30:31], 12
	s_cmp_lg_u32 s0, 0
	s_add_nc_u64 s[28:29], s[28:29], 8
	s_wait_kmcnt 0x0
	v_mul_hi_u32 v4, s53, v1
	s_delay_alu instid0(VALU_DEP_1) | instskip(NEXT) | instid1(VALU_DEP_1)
	v_add_nc_u32_e32 v4, v1, v4
	v_lshrrev_b32_e32 v4, s54, v4
	s_delay_alu instid0(VALU_DEP_1) | instskip(NEXT) | instid1(VALU_DEP_1)
	v_mul_lo_u32 v5, v4, s52
	v_sub_nc_u32_e32 v1, v1, v5
	s_delay_alu instid0(VALU_DEP_1)
	v_mad_u32 v3, v1, s35, v3
	v_mad_u32 v2, v1, s34, v2
	v_mov_b32_e32 v1, v4
	s_cbranch_scc1 .LBB109_127
.LBB109_128:
	s_mov_b32 s0, 0
.LBB109_129:
	s_delay_alu instid0(SALU_CYCLE_1)
	s_and_not1_b32 vcc_lo, exec_lo, s0
	s_cbranch_vccnz .LBB109_132
; %bb.130:
	v_mov_b32_e32 v1, 0
	s_and_not1_b32 vcc_lo, exec_lo, s41
	s_delay_alu instid0(VALU_DEP_1) | instskip(NEXT) | instid1(VALU_DEP_1)
	v_mul_u64_e32 v[2:3], s[22:23], v[0:1]
	v_add_nc_u32_e32 v2, v0, v3
	s_delay_alu instid0(VALU_DEP_1) | instskip(NEXT) | instid1(VALU_DEP_1)
	v_lshrrev_b32_e32 v4, s14, v2
	v_mul_lo_u32 v2, v4, s12
	s_delay_alu instid0(VALU_DEP_1) | instskip(NEXT) | instid1(VALU_DEP_1)
	v_sub_nc_u32_e32 v2, v0, v2
	v_mul_lo_u32 v3, v2, s17
	v_mul_lo_u32 v2, v2, s16
	s_cbranch_vccnz .LBB109_132
; %bb.131:
	v_mov_b32_e32 v5, v1
	s_delay_alu instid0(VALU_DEP_1) | instskip(NEXT) | instid1(VALU_DEP_1)
	v_mul_u64_e32 v[6:7], s[24:25], v[4:5]
	v_add_nc_u32_e32 v1, v4, v7
	s_delay_alu instid0(VALU_DEP_1) | instskip(NEXT) | instid1(VALU_DEP_1)
	v_lshrrev_b32_e32 v1, s1, v1
	v_mul_lo_u32 v1, v1, s15
	s_delay_alu instid0(VALU_DEP_1) | instskip(NEXT) | instid1(VALU_DEP_1)
	v_sub_nc_u32_e32 v1, v4, v1
	v_mad_u32 v2, v1, s18, v2
	v_mad_u32 v3, v1, s19, v3
.LBB109_132:
	global_load_b64 v[4:5], v3, s[6:7]
	s_wait_loadcnt 0x0
	v_cmp_le_i64_e32 vcc_lo, s[8:9], v[4:5]
	v_cmp_gt_i64_e64 s0, s[10:11], v[4:5]
	s_and_b32 s28, vcc_lo, s0
	s_mov_b32 s0, 0
	s_and_b32 s30, s40, s28
	s_mov_b32 s28, -1
	s_wait_xcnt 0x0
	s_and_saveexec_b32 s29, s30
; %bb.133:
	v_mov_b64_e32 v[4:5], 0
	v_add_nc_u32_e32 v0, 0x80, v0
	s_mov_b32 s0, exec_lo
	s_xor_b32 s28, exec_lo, -1
	global_store_b64 v2, v[4:5], s[4:5]
; %bb.134:
	s_wait_xcnt 0x0
	s_or_b32 exec_lo, exec_lo, s29
	s_delay_alu instid0(SALU_CYCLE_1)
	s_and_not1_b32 s29, s46, exec_lo
	s_and_b32 s28, s28, exec_lo
	s_or_not1_b32 s0, s0, exec_lo
	s_or_b32 s34, s29, s28
.LBB109_135:
	s_or_b32 exec_lo, exec_lo, s48
	s_mov_b32 s28, 0
                                        ; implicit-def: $vgpr2
	s_and_saveexec_b32 s35, s0
	s_cbranch_execz .LBB109_154
; %bb.136:
	v_cmp_gt_i32_e32 vcc_lo, s42, v0
	s_mov_b32 s0, s34
                                        ; implicit-def: $vgpr2
	s_and_saveexec_b32 s42, vcc_lo
	s_cbranch_execz .LBB109_153
; %bb.137:
	s_and_not1_b32 vcc_lo, exec_lo, s38
	s_cbranch_vccnz .LBB109_142
; %bb.138:
	s_and_not1_b32 vcc_lo, exec_lo, s44
	s_cbranch_vccnz .LBB109_143
; %bb.139:
	s_add_co_i32 s43, s43, 1
	s_cmp_eq_u32 s36, 2
	s_cbranch_scc1 .LBB109_144
; %bb.140:
	v_dual_mov_b32 v2, 0 :: v_dual_mov_b32 v3, 0
	v_mov_b32_e32 v1, v0
	s_and_b32 s28, s43, 28
	s_mov_b32 s0, 0
	s_mov_b64 s[30:31], s[20:21]
.LBB109_141:                            ; =>This Inner Loop Header: Depth=1
	s_clause 0x1
	s_load_b256 s[48:55], s[30:31], 0x4
	s_load_b128 s[64:67], s[30:31], 0x24
	s_load_b256 s[56:63], s[26:27], 0x0
	s_add_co_i32 s0, s0, 4
	s_wait_xcnt 0x0
	s_add_nc_u64 s[30:31], s[30:31], 48
	s_cmp_eq_u32 s28, s0
	s_add_nc_u64 s[26:27], s[26:27], 32
	s_wait_kmcnt 0x0
	v_mul_hi_u32 v4, s49, v1
	s_delay_alu instid0(VALU_DEP_1) | instskip(NEXT) | instid1(VALU_DEP_1)
	v_add_nc_u32_e32 v4, v1, v4
	v_lshrrev_b32_e32 v4, s50, v4
	s_delay_alu instid0(VALU_DEP_1) | instskip(NEXT) | instid1(VALU_DEP_1)
	v_mul_hi_u32 v5, s52, v4
	v_add_nc_u32_e32 v5, v4, v5
	s_delay_alu instid0(VALU_DEP_1) | instskip(NEXT) | instid1(VALU_DEP_1)
	v_lshrrev_b32_e32 v5, s53, v5
	v_mul_hi_u32 v6, s55, v5
	s_delay_alu instid0(VALU_DEP_1) | instskip(SKIP_1) | instid1(VALU_DEP_1)
	v_add_nc_u32_e32 v6, v5, v6
	v_mul_lo_u32 v7, v4, s48
	v_sub_nc_u32_e32 v1, v1, v7
	v_mul_lo_u32 v7, v5, s51
	s_delay_alu instid0(VALU_DEP_4) | instskip(NEXT) | instid1(VALU_DEP_3)
	v_lshrrev_b32_e32 v6, s64, v6
	v_mad_u32 v3, v1, s57, v3
	v_mad_u32 v1, v1, s56, v2
	s_delay_alu instid0(VALU_DEP_4) | instskip(NEXT) | instid1(VALU_DEP_4)
	v_sub_nc_u32_e32 v2, v4, v7
	v_mul_hi_u32 v8, s66, v6
	v_mul_lo_u32 v4, v6, s54
	s_delay_alu instid0(VALU_DEP_3) | instskip(SKIP_1) | instid1(VALU_DEP_4)
	v_mad_u32 v3, v2, s59, v3
	v_mad_u32 v2, v2, s58, v1
	v_add_nc_u32_e32 v7, v6, v8
	s_delay_alu instid0(VALU_DEP_1) | instskip(NEXT) | instid1(VALU_DEP_1)
	v_dual_sub_nc_u32 v4, v5, v4 :: v_dual_lshrrev_b32 v1, s67, v7
	v_mad_u32 v3, v4, s61, v3
	s_delay_alu instid0(VALU_DEP_4) | instskip(NEXT) | instid1(VALU_DEP_3)
	v_mad_u32 v2, v4, s60, v2
	v_mul_lo_u32 v5, v1, s65
	s_delay_alu instid0(VALU_DEP_1) | instskip(NEXT) | instid1(VALU_DEP_1)
	v_sub_nc_u32_e32 v4, v6, v5
	v_mad_u32 v3, v4, s63, v3
	s_delay_alu instid0(VALU_DEP_4)
	v_mad_u32 v2, v4, s62, v2
	s_cbranch_scc0 .LBB109_141
	s_branch .LBB109_145
.LBB109_142:
	s_mov_b32 s0, -1
                                        ; implicit-def: $vgpr3
	s_branch .LBB109_149
.LBB109_143:
	v_dual_mov_b32 v3, 0 :: v_dual_mov_b32 v2, 0
	s_branch .LBB109_148
.LBB109_144:
	v_mov_b64_e32 v[2:3], 0
	v_mov_b32_e32 v1, v0
.LBB109_145:
	s_and_b32 s0, s43, 3
	s_mov_b32 s29, 0
	s_cmp_eq_u32 s0, 0
	s_cbranch_scc1 .LBB109_148
; %bb.146:
	s_lshl_b32 s26, s28, 3
	s_mov_b32 s27, s29
	s_mul_u64 s[28:29], s[28:29], 12
	s_add_nc_u64 s[26:27], s[20:21], s[26:27]
	s_add_nc_u64 s[28:29], s[20:21], s[28:29]
	s_add_nc_u64 s[26:27], s[26:27], 0xc4
.LBB109_147:                            ; =>This Inner Loop Header: Depth=1
	s_load_b96 s[48:50], s[28:29], 0x4
	s_load_b64 s[30:31], s[26:27], 0x0
	s_add_co_i32 s0, s0, -1
	s_wait_xcnt 0x0
	s_add_nc_u64 s[28:29], s[28:29], 12
	s_cmp_lg_u32 s0, 0
	s_add_nc_u64 s[26:27], s[26:27], 8
	s_wait_kmcnt 0x0
	v_mul_hi_u32 v4, s49, v1
	s_delay_alu instid0(VALU_DEP_1) | instskip(NEXT) | instid1(VALU_DEP_1)
	v_add_nc_u32_e32 v4, v1, v4
	v_lshrrev_b32_e32 v4, s50, v4
	s_delay_alu instid0(VALU_DEP_1) | instskip(NEXT) | instid1(VALU_DEP_1)
	v_mul_lo_u32 v5, v4, s48
	v_sub_nc_u32_e32 v1, v1, v5
	s_delay_alu instid0(VALU_DEP_1)
	v_mad_u32 v3, v1, s31, v3
	v_mad_u32 v2, v1, s30, v2
	v_mov_b32_e32 v1, v4
	s_cbranch_scc1 .LBB109_147
.LBB109_148:
	s_mov_b32 s0, 0
.LBB109_149:
	s_delay_alu instid0(SALU_CYCLE_1)
	s_and_not1_b32 vcc_lo, exec_lo, s0
	s_cbranch_vccnz .LBB109_152
; %bb.150:
	v_mov_b32_e32 v1, 0
	s_and_not1_b32 vcc_lo, exec_lo, s41
	s_delay_alu instid0(VALU_DEP_1) | instskip(NEXT) | instid1(VALU_DEP_1)
	v_mul_u64_e32 v[2:3], s[22:23], v[0:1]
	v_add_nc_u32_e32 v2, v0, v3
	s_delay_alu instid0(VALU_DEP_1) | instskip(NEXT) | instid1(VALU_DEP_1)
	v_lshrrev_b32_e32 v4, s14, v2
	v_mul_lo_u32 v2, v4, s12
	s_delay_alu instid0(VALU_DEP_1) | instskip(NEXT) | instid1(VALU_DEP_1)
	v_sub_nc_u32_e32 v0, v0, v2
	v_mul_lo_u32 v3, v0, s17
	v_mul_lo_u32 v2, v0, s16
	s_cbranch_vccnz .LBB109_152
; %bb.151:
	v_mov_b32_e32 v5, v1
	s_delay_alu instid0(VALU_DEP_1) | instskip(NEXT) | instid1(VALU_DEP_1)
	v_mul_u64_e32 v[0:1], s[24:25], v[4:5]
	v_add_nc_u32_e32 v0, v4, v1
	s_delay_alu instid0(VALU_DEP_1) | instskip(NEXT) | instid1(VALU_DEP_1)
	v_lshrrev_b32_e32 v0, s1, v0
	v_mul_lo_u32 v0, v0, s15
	s_delay_alu instid0(VALU_DEP_1) | instskip(NEXT) | instid1(VALU_DEP_1)
	v_sub_nc_u32_e32 v0, v4, v0
	v_mad_u32 v2, v0, s18, v2
	v_mad_u32 v3, v0, s19, v3
.LBB109_152:
	global_load_b64 v[0:1], v3, s[6:7]
	s_and_not1_b32 s1, s34, exec_lo
	s_mov_b32 s28, exec_lo
	s_wait_loadcnt 0x0
	v_cmp_le_i64_e32 vcc_lo, s[8:9], v[0:1]
	v_cmp_gt_i64_e64 s0, s[10:11], v[0:1]
	s_and_b32 s0, vcc_lo, s0
	s_delay_alu instid0(SALU_CYCLE_1) | instskip(NEXT) | instid1(SALU_CYCLE_1)
	s_and_b32 s0, s40, s0
	s_xor_b32 s0, s0, -1
	s_delay_alu instid0(SALU_CYCLE_1) | instskip(NEXT) | instid1(SALU_CYCLE_1)
	s_and_b32 s0, s0, exec_lo
	s_or_b32 s0, s1, s0
.LBB109_153:
	s_wait_xcnt 0x0
	s_or_b32 exec_lo, exec_lo, s42
	s_delay_alu instid0(SALU_CYCLE_1)
	s_and_not1_b32 s1, s34, exec_lo
	s_and_b32 s0, s0, exec_lo
	s_and_b32 s28, s28, exec_lo
	s_or_b32 s34, s1, s0
.LBB109_154:
	s_or_b32 exec_lo, exec_lo, s35
	s_delay_alu instid0(SALU_CYCLE_1)
	s_and_not1_b32 s0, s46, exec_lo
	s_and_b32 s1, s34, exec_lo
	s_and_b32 s28, s28, exec_lo
	s_or_b32 s46, s0, s1
.LBB109_155:
	s_or_b32 exec_lo, exec_lo, s47
	s_delay_alu instid0(SALU_CYCLE_1)
	s_and_not1_b32 s0, s13, exec_lo
	s_and_b32 s1, s46, exec_lo
	s_and_b32 s23, s28, exec_lo
	s_or_b32 s13, s0, s1
	s_or_b32 exec_lo, exec_lo, s45
	s_mov_b32 s0, 0
	s_and_saveexec_b32 s1, s13
	s_cbranch_execz .LBB109_28
.LBB109_156:
	s_mov_b32 s0, exec_lo
	s_and_not1_b32 s23, s23, exec_lo
	s_trap 2
	s_or_b32 exec_lo, exec_lo, s1
	s_and_saveexec_b32 s1, s23
	s_delay_alu instid0(SALU_CYCLE_1)
	s_xor_b32 s1, exec_lo, s1
	s_cbranch_execnz .LBB109_29
	s_branch .LBB109_30
.LBB109_157:
	s_or_b32 s1, s12, exec_lo
	s_trap 2
	s_or_saveexec_b32 s2, s0
	s_mov_b32 s0, 0
	s_xor_b32 exec_lo, exec_lo, s2
	s_cbranch_execnz .LBB109_93
	s_branch .LBB109_101
.LBB109_158:
	s_or_b32 s3, s1, exec_lo
	s_trap 2
	s_or_saveexec_b32 s14, s0
	s_mov_b32 s0, 0
	s_xor_b32 exec_lo, exec_lo, s14
	s_cbranch_execnz .LBB109_95
	s_branch .LBB109_100
.LBB109_159:
	s_or_b32 s15, s3, exec_lo
	s_trap 2
	s_or_saveexec_b32 s16, s0
	s_mov_b32 s0, 0
	s_xor_b32 exec_lo, exec_lo, s16
	s_cbranch_execnz .LBB109_97
	s_branch .LBB109_99
.LBB109_160:
	s_xor_b32 s6, exec_lo, -1
	s_or_b32 s0, s15, exec_lo
	s_trap 2
	s_branch .LBB109_98
	.section	.rodata,"a",@progbits
	.p2align	6, 0x0
	.amdhsa_kernel _ZN2at6native32elementwise_kernel_manual_unrollILi128ELi4EZNS0_22gpu_kernel_impl_nocastIZZZNS0_12_GLOBAL__N_142_validate_compressed_sparse_indices_kernelILNS3_8CDimNameE1ENS3_18CUDAKernelLauncherENS3_14EmptyVecKernelENS3_8DummyVecELm0EEEvRKNS_6TensorESB_lllENKUlvE0_clEvENKUlvE0_clEvEUllE_EEvRNS_18TensorIteratorBaseERKT_EUlibE_EEviT1_
		.amdhsa_group_segment_fixed_size 0
		.amdhsa_private_segment_fixed_size 0
		.amdhsa_kernarg_size 368
		.amdhsa_user_sgpr_count 2
		.amdhsa_user_sgpr_dispatch_ptr 0
		.amdhsa_user_sgpr_queue_ptr 0
		.amdhsa_user_sgpr_kernarg_segment_ptr 1
		.amdhsa_user_sgpr_dispatch_id 0
		.amdhsa_user_sgpr_kernarg_preload_length 0
		.amdhsa_user_sgpr_kernarg_preload_offset 0
		.amdhsa_user_sgpr_private_segment_size 0
		.amdhsa_wavefront_size32 1
		.amdhsa_uses_dynamic_stack 0
		.amdhsa_enable_private_segment 0
		.amdhsa_system_sgpr_workgroup_id_x 1
		.amdhsa_system_sgpr_workgroup_id_y 0
		.amdhsa_system_sgpr_workgroup_id_z 0
		.amdhsa_system_sgpr_workgroup_info 0
		.amdhsa_system_vgpr_workitem_id 0
		.amdhsa_next_free_vgpr 15
		.amdhsa_next_free_sgpr 72
		.amdhsa_named_barrier_count 0
		.amdhsa_reserve_vcc 1
		.amdhsa_float_round_mode_32 0
		.amdhsa_float_round_mode_16_64 0
		.amdhsa_float_denorm_mode_32 3
		.amdhsa_float_denorm_mode_16_64 3
		.amdhsa_fp16_overflow 0
		.amdhsa_memory_ordered 1
		.amdhsa_forward_progress 1
		.amdhsa_inst_pref_size 56
		.amdhsa_round_robin_scheduling 0
		.amdhsa_exception_fp_ieee_invalid_op 0
		.amdhsa_exception_fp_denorm_src 0
		.amdhsa_exception_fp_ieee_div_zero 0
		.amdhsa_exception_fp_ieee_overflow 0
		.amdhsa_exception_fp_ieee_underflow 0
		.amdhsa_exception_fp_ieee_inexact 0
		.amdhsa_exception_int_div_zero 0
	.end_amdhsa_kernel
	.section	.text._ZN2at6native32elementwise_kernel_manual_unrollILi128ELi4EZNS0_22gpu_kernel_impl_nocastIZZZNS0_12_GLOBAL__N_142_validate_compressed_sparse_indices_kernelILNS3_8CDimNameE1ENS3_18CUDAKernelLauncherENS3_14EmptyVecKernelENS3_8DummyVecELm0EEEvRKNS_6TensorESB_lllENKUlvE0_clEvENKUlvE0_clEvEUllE_EEvRNS_18TensorIteratorBaseERKT_EUlibE_EEviT1_,"axG",@progbits,_ZN2at6native32elementwise_kernel_manual_unrollILi128ELi4EZNS0_22gpu_kernel_impl_nocastIZZZNS0_12_GLOBAL__N_142_validate_compressed_sparse_indices_kernelILNS3_8CDimNameE1ENS3_18CUDAKernelLauncherENS3_14EmptyVecKernelENS3_8DummyVecELm0EEEvRKNS_6TensorESB_lllENKUlvE0_clEvENKUlvE0_clEvEUllE_EEvRNS_18TensorIteratorBaseERKT_EUlibE_EEviT1_,comdat
.Lfunc_end109:
	.size	_ZN2at6native32elementwise_kernel_manual_unrollILi128ELi4EZNS0_22gpu_kernel_impl_nocastIZZZNS0_12_GLOBAL__N_142_validate_compressed_sparse_indices_kernelILNS3_8CDimNameE1ENS3_18CUDAKernelLauncherENS3_14EmptyVecKernelENS3_8DummyVecELm0EEEvRKNS_6TensorESB_lllENKUlvE0_clEvENKUlvE0_clEvEUllE_EEvRNS_18TensorIteratorBaseERKT_EUlibE_EEviT1_, .Lfunc_end109-_ZN2at6native32elementwise_kernel_manual_unrollILi128ELi4EZNS0_22gpu_kernel_impl_nocastIZZZNS0_12_GLOBAL__N_142_validate_compressed_sparse_indices_kernelILNS3_8CDimNameE1ENS3_18CUDAKernelLauncherENS3_14EmptyVecKernelENS3_8DummyVecELm0EEEvRKNS_6TensorESB_lllENKUlvE0_clEvENKUlvE0_clEvEUllE_EEvRNS_18TensorIteratorBaseERKT_EUlibE_EEviT1_
                                        ; -- End function
	.set _ZN2at6native32elementwise_kernel_manual_unrollILi128ELi4EZNS0_22gpu_kernel_impl_nocastIZZZNS0_12_GLOBAL__N_142_validate_compressed_sparse_indices_kernelILNS3_8CDimNameE1ENS3_18CUDAKernelLauncherENS3_14EmptyVecKernelENS3_8DummyVecELm0EEEvRKNS_6TensorESB_lllENKUlvE0_clEvENKUlvE0_clEvEUllE_EEvRNS_18TensorIteratorBaseERKT_EUlibE_EEviT1_.num_vgpr, 15
	.set _ZN2at6native32elementwise_kernel_manual_unrollILi128ELi4EZNS0_22gpu_kernel_impl_nocastIZZZNS0_12_GLOBAL__N_142_validate_compressed_sparse_indices_kernelILNS3_8CDimNameE1ENS3_18CUDAKernelLauncherENS3_14EmptyVecKernelENS3_8DummyVecELm0EEEvRKNS_6TensorESB_lllENKUlvE0_clEvENKUlvE0_clEvEUllE_EEvRNS_18TensorIteratorBaseERKT_EUlibE_EEviT1_.num_agpr, 0
	.set _ZN2at6native32elementwise_kernel_manual_unrollILi128ELi4EZNS0_22gpu_kernel_impl_nocastIZZZNS0_12_GLOBAL__N_142_validate_compressed_sparse_indices_kernelILNS3_8CDimNameE1ENS3_18CUDAKernelLauncherENS3_14EmptyVecKernelENS3_8DummyVecELm0EEEvRKNS_6TensorESB_lllENKUlvE0_clEvENKUlvE0_clEvEUllE_EEvRNS_18TensorIteratorBaseERKT_EUlibE_EEviT1_.numbered_sgpr, 72
	.set _ZN2at6native32elementwise_kernel_manual_unrollILi128ELi4EZNS0_22gpu_kernel_impl_nocastIZZZNS0_12_GLOBAL__N_142_validate_compressed_sparse_indices_kernelILNS3_8CDimNameE1ENS3_18CUDAKernelLauncherENS3_14EmptyVecKernelENS3_8DummyVecELm0EEEvRKNS_6TensorESB_lllENKUlvE0_clEvENKUlvE0_clEvEUllE_EEvRNS_18TensorIteratorBaseERKT_EUlibE_EEviT1_.num_named_barrier, 0
	.set _ZN2at6native32elementwise_kernel_manual_unrollILi128ELi4EZNS0_22gpu_kernel_impl_nocastIZZZNS0_12_GLOBAL__N_142_validate_compressed_sparse_indices_kernelILNS3_8CDimNameE1ENS3_18CUDAKernelLauncherENS3_14EmptyVecKernelENS3_8DummyVecELm0EEEvRKNS_6TensorESB_lllENKUlvE0_clEvENKUlvE0_clEvEUllE_EEvRNS_18TensorIteratorBaseERKT_EUlibE_EEviT1_.private_seg_size, 0
	.set _ZN2at6native32elementwise_kernel_manual_unrollILi128ELi4EZNS0_22gpu_kernel_impl_nocastIZZZNS0_12_GLOBAL__N_142_validate_compressed_sparse_indices_kernelILNS3_8CDimNameE1ENS3_18CUDAKernelLauncherENS3_14EmptyVecKernelENS3_8DummyVecELm0EEEvRKNS_6TensorESB_lllENKUlvE0_clEvENKUlvE0_clEvEUllE_EEvRNS_18TensorIteratorBaseERKT_EUlibE_EEviT1_.uses_vcc, 1
	.set _ZN2at6native32elementwise_kernel_manual_unrollILi128ELi4EZNS0_22gpu_kernel_impl_nocastIZZZNS0_12_GLOBAL__N_142_validate_compressed_sparse_indices_kernelILNS3_8CDimNameE1ENS3_18CUDAKernelLauncherENS3_14EmptyVecKernelENS3_8DummyVecELm0EEEvRKNS_6TensorESB_lllENKUlvE0_clEvENKUlvE0_clEvEUllE_EEvRNS_18TensorIteratorBaseERKT_EUlibE_EEviT1_.uses_flat_scratch, 0
	.set _ZN2at6native32elementwise_kernel_manual_unrollILi128ELi4EZNS0_22gpu_kernel_impl_nocastIZZZNS0_12_GLOBAL__N_142_validate_compressed_sparse_indices_kernelILNS3_8CDimNameE1ENS3_18CUDAKernelLauncherENS3_14EmptyVecKernelENS3_8DummyVecELm0EEEvRKNS_6TensorESB_lllENKUlvE0_clEvENKUlvE0_clEvEUllE_EEvRNS_18TensorIteratorBaseERKT_EUlibE_EEviT1_.has_dyn_sized_stack, 0
	.set _ZN2at6native32elementwise_kernel_manual_unrollILi128ELi4EZNS0_22gpu_kernel_impl_nocastIZZZNS0_12_GLOBAL__N_142_validate_compressed_sparse_indices_kernelILNS3_8CDimNameE1ENS3_18CUDAKernelLauncherENS3_14EmptyVecKernelENS3_8DummyVecELm0EEEvRKNS_6TensorESB_lllENKUlvE0_clEvENKUlvE0_clEvEUllE_EEvRNS_18TensorIteratorBaseERKT_EUlibE_EEviT1_.has_recursion, 0
	.set _ZN2at6native32elementwise_kernel_manual_unrollILi128ELi4EZNS0_22gpu_kernel_impl_nocastIZZZNS0_12_GLOBAL__N_142_validate_compressed_sparse_indices_kernelILNS3_8CDimNameE1ENS3_18CUDAKernelLauncherENS3_14EmptyVecKernelENS3_8DummyVecELm0EEEvRKNS_6TensorESB_lllENKUlvE0_clEvENKUlvE0_clEvEUllE_EEvRNS_18TensorIteratorBaseERKT_EUlibE_EEviT1_.has_indirect_call, 0
	.section	.AMDGPU.csdata,"",@progbits
; Kernel info:
; codeLenInByte = 7128
; TotalNumSgprs: 74
; NumVgprs: 15
; ScratchSize: 0
; MemoryBound: 0
; FloatMode: 240
; IeeeMode: 1
; LDSByteSize: 0 bytes/workgroup (compile time only)
; SGPRBlocks: 0
; VGPRBlocks: 0
; NumSGPRsForWavesPerEU: 74
; NumVGPRsForWavesPerEU: 15
; NamedBarCnt: 0
; Occupancy: 16
; WaveLimiterHint : 1
; COMPUTE_PGM_RSRC2:SCRATCH_EN: 0
; COMPUTE_PGM_RSRC2:USER_SGPR: 2
; COMPUTE_PGM_RSRC2:TRAP_HANDLER: 0
; COMPUTE_PGM_RSRC2:TGID_X_EN: 1
; COMPUTE_PGM_RSRC2:TGID_Y_EN: 0
; COMPUTE_PGM_RSRC2:TGID_Z_EN: 0
; COMPUTE_PGM_RSRC2:TIDIG_COMP_CNT: 0
	.section	.text._ZN2at6native32elementwise_kernel_manual_unrollILi128ELi4EZNS0_15gpu_kernel_implIZZZNS0_12_GLOBAL__N_142_validate_compressed_sparse_indices_kernelILNS3_8CDimNameE1ENS3_18CUDAKernelLauncherENS3_14EmptyVecKernelENS3_8DummyVecELm0EEEvRKNS_6TensorESB_lllENKUlvE0_clEvENKUlvE0_clEvEUllE_EEvRNS_18TensorIteratorBaseERKT_EUlibE_EEviT1_,"axG",@progbits,_ZN2at6native32elementwise_kernel_manual_unrollILi128ELi4EZNS0_15gpu_kernel_implIZZZNS0_12_GLOBAL__N_142_validate_compressed_sparse_indices_kernelILNS3_8CDimNameE1ENS3_18CUDAKernelLauncherENS3_14EmptyVecKernelENS3_8DummyVecELm0EEEvRKNS_6TensorESB_lllENKUlvE0_clEvENKUlvE0_clEvEUllE_EEvRNS_18TensorIteratorBaseERKT_EUlibE_EEviT1_,comdat
	.globl	_ZN2at6native32elementwise_kernel_manual_unrollILi128ELi4EZNS0_15gpu_kernel_implIZZZNS0_12_GLOBAL__N_142_validate_compressed_sparse_indices_kernelILNS3_8CDimNameE1ENS3_18CUDAKernelLauncherENS3_14EmptyVecKernelENS3_8DummyVecELm0EEEvRKNS_6TensorESB_lllENKUlvE0_clEvENKUlvE0_clEvEUllE_EEvRNS_18TensorIteratorBaseERKT_EUlibE_EEviT1_ ; -- Begin function _ZN2at6native32elementwise_kernel_manual_unrollILi128ELi4EZNS0_15gpu_kernel_implIZZZNS0_12_GLOBAL__N_142_validate_compressed_sparse_indices_kernelILNS3_8CDimNameE1ENS3_18CUDAKernelLauncherENS3_14EmptyVecKernelENS3_8DummyVecELm0EEEvRKNS_6TensorESB_lllENKUlvE0_clEvENKUlvE0_clEvEUllE_EEvRNS_18TensorIteratorBaseERKT_EUlibE_EEviT1_
	.p2align	8
	.type	_ZN2at6native32elementwise_kernel_manual_unrollILi128ELi4EZNS0_15gpu_kernel_implIZZZNS0_12_GLOBAL__N_142_validate_compressed_sparse_indices_kernelILNS3_8CDimNameE1ENS3_18CUDAKernelLauncherENS3_14EmptyVecKernelENS3_8DummyVecELm0EEEvRKNS_6TensorESB_lllENKUlvE0_clEvENKUlvE0_clEvEUllE_EEvRNS_18TensorIteratorBaseERKT_EUlibE_EEviT1_,@function
_ZN2at6native32elementwise_kernel_manual_unrollILi128ELi4EZNS0_15gpu_kernel_implIZZZNS0_12_GLOBAL__N_142_validate_compressed_sparse_indices_kernelILNS3_8CDimNameE1ENS3_18CUDAKernelLauncherENS3_14EmptyVecKernelENS3_8DummyVecELm0EEEvRKNS_6TensorESB_lllENKUlvE0_clEvENKUlvE0_clEvEUllE_EEvRNS_18TensorIteratorBaseERKT_EUlibE_EEviT1_: ; @_ZN2at6native32elementwise_kernel_manual_unrollILi128ELi4EZNS0_15gpu_kernel_implIZZZNS0_12_GLOBAL__N_142_validate_compressed_sparse_indices_kernelILNS3_8CDimNameE1ENS3_18CUDAKernelLauncherENS3_14EmptyVecKernelENS3_8DummyVecELm0EEEvRKNS_6TensorESB_lllENKUlvE0_clEvENKUlvE0_clEvEUllE_EEvRNS_18TensorIteratorBaseERKT_EUlibE_EEviT1_
; %bb.0:
	s_load_b32 s12, s[0:1], 0x30
	s_bfe_u32 s2, ttmp6, 0x4000c
	s_clause 0x1
	s_load_b32 s16, s[0:1], 0x0
	s_load_b128 s[4:7], s[0:1], 0x8
	s_add_co_i32 s13, s2, 1
	s_clause 0x1
	s_load_b64 s[2:3], s[0:1], 0x18
	s_load_b128 s[8:11], s[0:1], 0x20
	s_and_b32 s14, ttmp6, 15
	s_wait_xcnt 0x0
	s_mul_i32 s0, ttmp9, s13
	s_getreg_b32 s15, hwreg(HW_REG_IB_STS2, 6, 4)
	s_add_co_i32 s14, s14, s0
	s_mov_b32 s1, 0
	s_wait_kmcnt 0x0
	s_bfe_u32 s13, s12, 0x80008
	s_cmp_eq_u32 s15, 0
	s_mov_b32 s15, 0
	s_cselect_b32 s0, ttmp9, s14
	s_delay_alu instid0(SALU_CYCLE_1) | instskip(SKIP_1) | instid1(VALU_DEP_1)
	v_lshl_or_b32 v6, s0, 9, v0
	s_mov_b32 s0, exec_lo
	v_or_b32_e32 v0, 0x180, v6
	s_delay_alu instid0(VALU_DEP_1)
	v_cmpx_le_i32_e64 s16, v0
	s_xor_b32 s14, exec_lo, s0
	s_cbranch_execz .LBB110_894
; %bb.1:
	s_get_pc_i64 s[24:25]
	s_add_nc_u64 s[24:25], s[24:25], .str.5@rel64+4
	s_mov_b32 s23, -1
	s_cmp_lg_u64 s[24:25], 0
	s_mov_b32 s21, 0
	s_mov_b32 s19, 0
	s_mov_b32 s18, 0
	s_cselect_b32 s15, -1, 0
	s_mov_b32 s17, 0
	s_mov_b32 s20, exec_lo
	v_cmpx_gt_i32_e64 s16, v6
	s_cbranch_execz .LBB110_221
; %bb.2:
	v_mul_lo_u32 v0, v6, s3
	s_and_b32 s0, 0xffff, s13
	s_delay_alu instid0(SALU_CYCLE_1) | instskip(NEXT) | instid1(VALU_DEP_1)
	s_cmp_lt_i32 s0, 11
	v_ashrrev_i32_e32 v1, 31, v0
	s_delay_alu instid0(VALU_DEP_1)
	v_add_nc_u64_e32 v[0:1], s[6:7], v[0:1]
	s_cbranch_scc1 .LBB110_9
; %bb.3:
	s_cmp_gt_i32 s0, 25
	s_cbranch_scc0 .LBB110_19
; %bb.4:
	s_cmp_gt_i32 s0, 28
	s_cbranch_scc0 .LBB110_23
	;; [unrolled: 3-line block ×4, first 2 shown]
; %bb.7:
	s_cmp_eq_u32 s0, 46
	s_cbranch_scc0 .LBB110_29
; %bb.8:
	global_load_b32 v2, v[0:1], off
	s_mov_b32 s17, -1
	s_wait_loadcnt 0x0
	v_lshlrev_b32_e32 v2, 16, v2
	s_delay_alu instid0(VALU_DEP_1) | instskip(NEXT) | instid1(VALU_DEP_1)
	v_trunc_f32_e32 v2, v2
	v_mul_f32_e64 v3, 0x2f800000, |v2|
	s_delay_alu instid0(VALU_DEP_1) | instskip(NEXT) | instid1(VALU_DEP_1)
	v_floor_f32_e32 v3, v3
	v_fma_f32 v4, 0xcf800000, v3, |v2|
	v_ashrrev_i32_e32 v2, 31, v2
	v_cvt_u32_f32_e32 v5, v3
	s_delay_alu instid0(VALU_DEP_3) | instskip(NEXT) | instid1(VALU_DEP_2)
	v_cvt_u32_f32_e32 v4, v4
	v_dual_mov_b32 v3, v2 :: v_dual_bitop2_b32 v5, v5, v2 bitop3:0x14
	s_delay_alu instid0(VALU_DEP_2) | instskip(NEXT) | instid1(VALU_DEP_1)
	v_xor_b32_e32 v4, v4, v2
	v_sub_nc_u64_e32 v[2:3], v[4:5], v[2:3]
	s_branch .LBB110_31
.LBB110_9:
                                        ; implicit-def: $vgpr2_vgpr3
	s_cbranch_execnz .LBB110_91
.LBB110_10:
	s_and_not1_b32 vcc_lo, exec_lo, s17
	s_cbranch_vccnz .LBB110_138
.LBB110_11:
	s_wait_loadcnt 0x0
	s_delay_alu instid0(VALU_DEP_1)
	v_cmp_le_i64_e32 vcc_lo, s[8:9], v[2:3]
	v_cmp_gt_i64_e64 s0, s[10:11], v[2:3]
	s_mov_b32 s18, -1
	s_mov_b32 s22, 0
	s_mov_b32 s17, 0
	s_and_b32 s0, vcc_lo, s0
	s_delay_alu instid0(SALU_CYCLE_1) | instskip(NEXT) | instid1(SALU_CYCLE_1)
	s_and_b32 s23, s15, s0
	s_and_saveexec_b32 s0, s23
	s_cbranch_execz .LBB110_219
; %bb.12:
	v_mul_lo_u32 v0, v6, s2
	s_and_b32 s18, s12, 0xff
	s_delay_alu instid0(SALU_CYCLE_1) | instskip(NEXT) | instid1(VALU_DEP_1)
	s_cmp_lt_i32 s18, 11
	v_ashrrev_i32_e32 v1, 31, v0
	s_delay_alu instid0(VALU_DEP_1)
	v_add_nc_u64_e32 v[0:1], s[4:5], v[0:1]
	s_cbranch_scc1 .LBB110_20
; %bb.13:
	s_and_b32 s22, 0xffff, s18
	s_delay_alu instid0(SALU_CYCLE_1)
	s_cmp_gt_i32 s22, 25
	s_cbranch_scc0 .LBB110_24
; %bb.14:
	s_cmp_gt_i32 s22, 28
	s_cbranch_scc0 .LBB110_26
; %bb.15:
	s_cmp_gt_i32 s22, 43
	s_cbranch_scc0 .LBB110_28
; %bb.16:
	s_cmp_gt_i32 s22, 45
	s_cbranch_scc0 .LBB110_139
; %bb.17:
	s_mov_b32 s24, 0
	s_mov_b32 s17, -1
	s_cmp_eq_u32 s22, 46
	s_mov_b32 s23, 0
	s_cbranch_scc0 .LBB110_140
; %bb.18:
	v_mov_b32_e32 v2, 0
	s_mov_b32 s23, -1
	s_mov_b32 s17, 0
	global_store_b32 v[0:1], v2, off
	s_branch .LBB110_140
.LBB110_19:
                                        ; implicit-def: $vgpr2_vgpr3
	s_cbranch_execnz .LBB110_58
	s_branch .LBB110_90
.LBB110_20:
	s_mov_b32 s23, 0
	s_cbranch_execnz .LBB110_179
.LBB110_21:
	s_and_not1_b32 vcc_lo, exec_lo, s23
	s_cbranch_vccnz .LBB110_217
.LBB110_22:
	v_add_nc_u32_e32 v6, 0x80, v6
	s_mov_b32 s22, -1
	s_branch .LBB110_218
.LBB110_23:
	s_mov_b32 s18, -1
                                        ; implicit-def: $vgpr2_vgpr3
	s_branch .LBB110_41
.LBB110_24:
	s_mov_b32 s24, -1
	s_mov_b32 s23, 0
	s_branch .LBB110_159
.LBB110_25:
	s_mov_b32 s18, -1
                                        ; implicit-def: $vgpr2_vgpr3
	s_branch .LBB110_36
.LBB110_26:
	s_mov_b32 s24, -1
	s_mov_b32 s23, 0
	s_branch .LBB110_148
.LBB110_27:
	s_mov_b32 s18, -1
	s_branch .LBB110_30
.LBB110_28:
	s_mov_b32 s24, -1
	s_mov_b32 s23, 0
	s_branch .LBB110_144
.LBB110_29:
	s_mov_b32 s19, -1
.LBB110_30:
                                        ; implicit-def: $vgpr2_vgpr3
.LBB110_31:
	s_and_b32 vcc_lo, exec_lo, s18
	s_cbranch_vccz .LBB110_35
; %bb.32:
	s_cmp_eq_u32 s0, 44
	s_cbranch_scc0 .LBB110_34
; %bb.33:
	global_load_u8 v7, v[0:1], off
	s_mov_b32 s19, 0
	s_mov_b32 s17, -1
	s_wait_loadcnt 0x0
	v_lshlrev_b32_e32 v2, 23, v7
	v_cmp_ne_u32_e32 vcc_lo, 0, v7
	s_delay_alu instid0(VALU_DEP_2) | instskip(NEXT) | instid1(VALU_DEP_1)
	v_trunc_f32_e32 v2, v2
	v_mul_f32_e64 v3, 0x2f800000, |v2|
	s_delay_alu instid0(VALU_DEP_1) | instskip(NEXT) | instid1(VALU_DEP_1)
	v_floor_f32_e32 v3, v3
	v_fma_f32 v4, 0xcf800000, v3, |v2|
	v_ashrrev_i32_e32 v2, 31, v2
	v_cvt_u32_f32_e32 v5, v3
	s_delay_alu instid0(VALU_DEP_3) | instskip(NEXT) | instid1(VALU_DEP_2)
	v_cvt_u32_f32_e32 v4, v4
	v_dual_mov_b32 v3, v2 :: v_dual_bitop2_b32 v5, v5, v2 bitop3:0x14
	s_delay_alu instid0(VALU_DEP_2) | instskip(NEXT) | instid1(VALU_DEP_1)
	v_xor_b32_e32 v4, v4, v2
	v_sub_nc_u64_e32 v[2:3], v[4:5], v[2:3]
	s_delay_alu instid0(VALU_DEP_1)
	v_dual_cndmask_b32 v3, 0, v3 :: v_dual_cndmask_b32 v2, 0, v2
	s_branch .LBB110_35
.LBB110_34:
	s_mov_b32 s19, -1
                                        ; implicit-def: $vgpr2_vgpr3
.LBB110_35:
	s_mov_b32 s18, 0
.LBB110_36:
	s_delay_alu instid0(SALU_CYCLE_1)
	s_and_b32 vcc_lo, exec_lo, s18
	s_cbranch_vccz .LBB110_40
; %bb.37:
	s_cmp_eq_u32 s0, 29
	s_cbranch_scc0 .LBB110_39
; %bb.38:
	global_load_b64 v[2:3], v[0:1], off
	s_mov_b32 s17, -1
	s_mov_b32 s19, 0
	s_branch .LBB110_40
.LBB110_39:
	s_mov_b32 s19, -1
                                        ; implicit-def: $vgpr2_vgpr3
.LBB110_40:
	s_mov_b32 s18, 0
.LBB110_41:
	s_delay_alu instid0(SALU_CYCLE_1)
	s_and_b32 vcc_lo, exec_lo, s18
	s_cbranch_vccz .LBB110_57
; %bb.42:
	s_cmp_lt_i32 s0, 27
	s_cbranch_scc1 .LBB110_45
; %bb.43:
	s_cmp_gt_i32 s0, 27
	s_cbranch_scc0 .LBB110_46
; %bb.44:
	s_wait_loadcnt 0x0
	global_load_b32 v2, v[0:1], off
	v_mov_b32_e32 v3, 0
	s_mov_b32 s17, 0
	s_branch .LBB110_47
.LBB110_45:
	s_mov_b32 s17, -1
                                        ; implicit-def: $vgpr2_vgpr3
	s_branch .LBB110_50
.LBB110_46:
	s_mov_b32 s17, -1
                                        ; implicit-def: $vgpr2_vgpr3
.LBB110_47:
	s_delay_alu instid0(SALU_CYCLE_1)
	s_and_not1_b32 vcc_lo, exec_lo, s17
	s_cbranch_vccnz .LBB110_49
; %bb.48:
	s_wait_loadcnt 0x0
	global_load_u16 v2, v[0:1], off
	s_mov_b32 s17, 0
	s_delay_alu instid0(SALU_CYCLE_1)
	v_mov_b32_e32 v3, s17
	s_wait_loadcnt 0x0
	v_and_b32_e32 v2, 0xffff, v2
.LBB110_49:
	s_mov_b32 s17, 0
.LBB110_50:
	s_delay_alu instid0(SALU_CYCLE_1)
	s_and_not1_b32 vcc_lo, exec_lo, s17
	s_cbranch_vccnz .LBB110_56
; %bb.51:
	global_load_u8 v4, v[0:1], off
	s_mov_b32 s18, 0
	s_mov_b32 s17, exec_lo
	s_wait_loadcnt 0x0
	v_cmpx_lt_i16_e32 0x7f, v4
	s_xor_b32 s17, exec_lo, s17
	s_cbranch_execz .LBB110_67
; %bb.52:
	v_cmp_ne_u16_e32 vcc_lo, 0x80, v4
	s_and_b32 s18, vcc_lo, exec_lo
	s_and_not1_saveexec_b32 s17, s17
	s_cbranch_execnz .LBB110_68
.LBB110_53:
	s_or_b32 exec_lo, exec_lo, s17
	v_mov_b64_e32 v[2:3], 0
	s_and_saveexec_b32 s17, s18
	s_cbranch_execz .LBB110_55
.LBB110_54:
	v_and_b32_e32 v2, 0xffff, v4
	s_delay_alu instid0(VALU_DEP_1) | instskip(SKIP_1) | instid1(VALU_DEP_2)
	v_and_b32_e32 v3, 7, v2
	v_bfe_u32 v8, v2, 3, 4
	v_clz_i32_u32_e32 v5, v3
	s_delay_alu instid0(VALU_DEP_2) | instskip(NEXT) | instid1(VALU_DEP_2)
	v_cmp_eq_u32_e32 vcc_lo, 0, v8
	v_min_u32_e32 v5, 32, v5
	s_delay_alu instid0(VALU_DEP_1) | instskip(NEXT) | instid1(VALU_DEP_1)
	v_subrev_nc_u32_e32 v7, 28, v5
	v_dual_lshlrev_b32 v2, v7, v2 :: v_dual_sub_nc_u32 v5, 29, v5
	s_delay_alu instid0(VALU_DEP_1) | instskip(NEXT) | instid1(VALU_DEP_1)
	v_dual_lshlrev_b32 v4, 24, v4 :: v_dual_bitop2_b32 v2, 7, v2 bitop3:0x40
	v_dual_cndmask_b32 v5, v8, v5 :: v_dual_cndmask_b32 v2, v3, v2
	s_delay_alu instid0(VALU_DEP_2) | instskip(NEXT) | instid1(VALU_DEP_2)
	v_and_b32_e32 v3, 0x80000000, v4
	v_lshl_add_u32 v4, v5, 23, 0x3b800000
	s_delay_alu instid0(VALU_DEP_3) | instskip(NEXT) | instid1(VALU_DEP_1)
	v_lshlrev_b32_e32 v2, 20, v2
	v_or3_b32 v2, v3, v4, v2
	s_delay_alu instid0(VALU_DEP_1) | instskip(NEXT) | instid1(VALU_DEP_1)
	v_trunc_f32_e32 v2, v2
	v_mul_f32_e64 v3, 0x2f800000, |v2|
	s_delay_alu instid0(VALU_DEP_1) | instskip(NEXT) | instid1(VALU_DEP_1)
	v_floor_f32_e32 v3, v3
	v_fma_f32 v4, 0xcf800000, v3, |v2|
	v_ashrrev_i32_e32 v2, 31, v2
	v_cvt_u32_f32_e32 v5, v3
	s_delay_alu instid0(VALU_DEP_3) | instskip(NEXT) | instid1(VALU_DEP_2)
	v_cvt_u32_f32_e32 v4, v4
	v_dual_mov_b32 v3, v2 :: v_dual_bitop2_b32 v5, v5, v2 bitop3:0x14
	s_delay_alu instid0(VALU_DEP_2) | instskip(NEXT) | instid1(VALU_DEP_1)
	v_xor_b32_e32 v4, v4, v2
	v_sub_nc_u64_e32 v[2:3], v[4:5], v[2:3]
.LBB110_55:
	s_or_b32 exec_lo, exec_lo, s17
.LBB110_56:
	s_mov_b32 s17, -1
.LBB110_57:
	s_branch .LBB110_90
.LBB110_58:
	s_cmp_gt_i32 s0, 22
	s_cbranch_scc0 .LBB110_66
; %bb.59:
	s_cmp_lt_i32 s0, 24
	s_cbranch_scc1 .LBB110_69
; %bb.60:
	s_cmp_gt_i32 s0, 24
	s_cbranch_scc0 .LBB110_70
; %bb.61:
	global_load_u8 v4, v[0:1], off
	s_mov_b32 s18, 0
	s_mov_b32 s17, exec_lo
	s_wait_loadcnt 0x0
	v_cmpx_lt_i16_e32 0x7f, v4
	s_xor_b32 s17, exec_lo, s17
	s_cbranch_execz .LBB110_82
; %bb.62:
	v_cmp_ne_u16_e32 vcc_lo, 0x80, v4
	s_and_b32 s18, vcc_lo, exec_lo
	s_and_not1_saveexec_b32 s17, s17
	s_cbranch_execnz .LBB110_83
.LBB110_63:
	s_or_b32 exec_lo, exec_lo, s17
	v_mov_b64_e32 v[2:3], 0
	s_and_saveexec_b32 s17, s18
	s_cbranch_execz .LBB110_65
.LBB110_64:
	v_and_b32_e32 v2, 0xffff, v4
	s_delay_alu instid0(VALU_DEP_1) | instskip(SKIP_1) | instid1(VALU_DEP_2)
	v_and_b32_e32 v3, 3, v2
	v_bfe_u32 v8, v2, 2, 5
	v_clz_i32_u32_e32 v5, v3
	s_delay_alu instid0(VALU_DEP_2) | instskip(NEXT) | instid1(VALU_DEP_2)
	v_cmp_eq_u32_e32 vcc_lo, 0, v8
	v_min_u32_e32 v5, 32, v5
	s_delay_alu instid0(VALU_DEP_1) | instskip(NEXT) | instid1(VALU_DEP_1)
	v_subrev_nc_u32_e32 v7, 29, v5
	v_dual_lshlrev_b32 v2, v7, v2 :: v_dual_sub_nc_u32 v5, 30, v5
	s_delay_alu instid0(VALU_DEP_1) | instskip(NEXT) | instid1(VALU_DEP_1)
	v_dual_lshlrev_b32 v4, 24, v4 :: v_dual_bitop2_b32 v2, 3, v2 bitop3:0x40
	v_dual_cndmask_b32 v5, v8, v5 :: v_dual_cndmask_b32 v2, v3, v2
	s_delay_alu instid0(VALU_DEP_2) | instskip(NEXT) | instid1(VALU_DEP_2)
	v_and_b32_e32 v3, 0x80000000, v4
	v_lshl_add_u32 v4, v5, 23, 0x37800000
	s_delay_alu instid0(VALU_DEP_3) | instskip(NEXT) | instid1(VALU_DEP_1)
	v_lshlrev_b32_e32 v2, 21, v2
	v_or3_b32 v2, v3, v4, v2
	s_delay_alu instid0(VALU_DEP_1) | instskip(NEXT) | instid1(VALU_DEP_1)
	v_trunc_f32_e32 v2, v2
	v_mul_f32_e64 v3, 0x2f800000, |v2|
	s_delay_alu instid0(VALU_DEP_1) | instskip(NEXT) | instid1(VALU_DEP_1)
	v_floor_f32_e32 v3, v3
	v_fma_f32 v4, 0xcf800000, v3, |v2|
	v_ashrrev_i32_e32 v2, 31, v2
	v_cvt_u32_f32_e32 v5, v3
	s_delay_alu instid0(VALU_DEP_3) | instskip(NEXT) | instid1(VALU_DEP_2)
	v_cvt_u32_f32_e32 v4, v4
	v_dual_mov_b32 v3, v2 :: v_dual_bitop2_b32 v5, v5, v2 bitop3:0x14
	s_delay_alu instid0(VALU_DEP_2) | instskip(NEXT) | instid1(VALU_DEP_1)
	v_xor_b32_e32 v4, v4, v2
	v_sub_nc_u64_e32 v[2:3], v[4:5], v[2:3]
.LBB110_65:
	s_or_b32 exec_lo, exec_lo, s17
	s_mov_b32 s17, 0
	s_branch .LBB110_71
.LBB110_66:
	s_mov_b32 s18, -1
                                        ; implicit-def: $vgpr2_vgpr3
	s_branch .LBB110_77
.LBB110_67:
	s_and_not1_saveexec_b32 s17, s17
	s_cbranch_execz .LBB110_53
.LBB110_68:
	v_cmp_ne_u16_e32 vcc_lo, 0, v4
	s_and_not1_b32 s18, s18, exec_lo
	s_and_b32 s22, vcc_lo, exec_lo
	s_delay_alu instid0(SALU_CYCLE_1)
	s_or_b32 s18, s18, s22
	s_or_b32 exec_lo, exec_lo, s17
	v_mov_b64_e32 v[2:3], 0
	s_and_saveexec_b32 s17, s18
	s_cbranch_execnz .LBB110_54
	s_branch .LBB110_55
.LBB110_69:
	s_mov_b32 s17, -1
                                        ; implicit-def: $vgpr2_vgpr3
	s_branch .LBB110_74
.LBB110_70:
	s_mov_b32 s17, -1
                                        ; implicit-def: $vgpr2_vgpr3
.LBB110_71:
	s_delay_alu instid0(SALU_CYCLE_1)
	s_and_b32 vcc_lo, exec_lo, s17
	s_cbranch_vccz .LBB110_73
; %bb.72:
	s_wait_loadcnt 0x0
	global_load_u8 v2, v[0:1], off
	s_wait_loadcnt 0x0
	v_lshlrev_b32_e32 v2, 24, v2
	s_delay_alu instid0(VALU_DEP_1) | instskip(NEXT) | instid1(VALU_DEP_1)
	v_and_b32_e32 v3, 0x7f000000, v2
	v_clz_i32_u32_e32 v4, v3
	v_add_nc_u32_e32 v7, 0x1000000, v3
	v_cmp_ne_u32_e32 vcc_lo, 0, v3
	s_delay_alu instid0(VALU_DEP_3) | instskip(NEXT) | instid1(VALU_DEP_1)
	v_min_u32_e32 v4, 32, v4
	v_sub_nc_u32_e64 v4, v4, 4 clamp
	s_delay_alu instid0(VALU_DEP_1) | instskip(NEXT) | instid1(VALU_DEP_1)
	v_dual_lshlrev_b32 v5, v4, v3 :: v_dual_lshlrev_b32 v4, 23, v4
	v_lshrrev_b32_e32 v5, 4, v5
	s_delay_alu instid0(VALU_DEP_1) | instskip(NEXT) | instid1(VALU_DEP_1)
	v_dual_sub_nc_u32 v4, v5, v4 :: v_dual_ashrrev_i32 v5, 8, v7
	v_add_nc_u32_e32 v4, 0x3c000000, v4
	s_delay_alu instid0(VALU_DEP_1) | instskip(NEXT) | instid1(VALU_DEP_1)
	v_and_or_b32 v4, 0x7f800000, v5, v4
	v_cndmask_b32_e32 v3, 0, v4, vcc_lo
	s_delay_alu instid0(VALU_DEP_1) | instskip(NEXT) | instid1(VALU_DEP_1)
	v_and_or_b32 v2, 0x80000000, v2, v3
	v_trunc_f32_e32 v2, v2
	s_delay_alu instid0(VALU_DEP_1) | instskip(NEXT) | instid1(VALU_DEP_1)
	v_mul_f32_e64 v3, 0x2f800000, |v2|
	v_floor_f32_e32 v3, v3
	s_delay_alu instid0(VALU_DEP_1) | instskip(SKIP_2) | instid1(VALU_DEP_3)
	v_fma_f32 v4, 0xcf800000, v3, |v2|
	v_ashrrev_i32_e32 v2, 31, v2
	v_cvt_u32_f32_e32 v5, v3
	v_cvt_u32_f32_e32 v4, v4
	s_delay_alu instid0(VALU_DEP_2) | instskip(NEXT) | instid1(VALU_DEP_2)
	v_dual_mov_b32 v3, v2 :: v_dual_bitop2_b32 v5, v5, v2 bitop3:0x14
	v_xor_b32_e32 v4, v4, v2
	s_delay_alu instid0(VALU_DEP_1)
	v_sub_nc_u64_e32 v[2:3], v[4:5], v[2:3]
.LBB110_73:
	s_mov_b32 s17, 0
.LBB110_74:
	s_delay_alu instid0(SALU_CYCLE_1)
	s_and_not1_b32 vcc_lo, exec_lo, s17
	s_cbranch_vccnz .LBB110_76
; %bb.75:
	s_wait_loadcnt 0x0
	global_load_u8 v2, v[0:1], off
	s_wait_loadcnt 0x0
	v_lshlrev_b32_e32 v3, 25, v2
	v_lshlrev_b16 v2, 8, v2
	s_delay_alu instid0(VALU_DEP_1) | instskip(SKIP_1) | instid1(VALU_DEP_2)
	v_and_or_b32 v5, 0x7f00, v2, 0.5
	v_bfe_i32 v2, v2, 0, 16
	v_dual_add_f32 v5, -0.5, v5 :: v_dual_lshrrev_b32 v4, 4, v3
	v_cmp_gt_u32_e32 vcc_lo, 0x8000000, v3
	s_delay_alu instid0(VALU_DEP_2) | instskip(NEXT) | instid1(VALU_DEP_1)
	v_or_b32_e32 v4, 0x70000000, v4
	v_mul_f32_e32 v4, 0x7800000, v4
	s_delay_alu instid0(VALU_DEP_1) | instskip(NEXT) | instid1(VALU_DEP_1)
	v_cndmask_b32_e32 v3, v4, v5, vcc_lo
	v_and_or_b32 v2, 0x80000000, v2, v3
	s_delay_alu instid0(VALU_DEP_1) | instskip(NEXT) | instid1(VALU_DEP_1)
	v_trunc_f32_e32 v2, v2
	v_mul_f32_e64 v3, 0x2f800000, |v2|
	s_delay_alu instid0(VALU_DEP_1) | instskip(NEXT) | instid1(VALU_DEP_1)
	v_floor_f32_e32 v3, v3
	v_fma_f32 v4, 0xcf800000, v3, |v2|
	v_ashrrev_i32_e32 v2, 31, v2
	v_cvt_u32_f32_e32 v5, v3
	s_delay_alu instid0(VALU_DEP_3) | instskip(NEXT) | instid1(VALU_DEP_2)
	v_cvt_u32_f32_e32 v4, v4
	v_dual_mov_b32 v3, v2 :: v_dual_bitop2_b32 v5, v5, v2 bitop3:0x14
	s_delay_alu instid0(VALU_DEP_2) | instskip(NEXT) | instid1(VALU_DEP_1)
	v_xor_b32_e32 v4, v4, v2
	v_sub_nc_u64_e32 v[2:3], v[4:5], v[2:3]
.LBB110_76:
	s_mov_b32 s18, 0
	s_mov_b32 s17, -1
.LBB110_77:
	s_and_not1_b32 vcc_lo, exec_lo, s18
	s_cbranch_vccnz .LBB110_90
; %bb.78:
	s_cmp_gt_i32 s0, 14
	s_cbranch_scc0 .LBB110_81
; %bb.79:
	s_cmp_eq_u32 s0, 15
	s_cbranch_scc0 .LBB110_84
; %bb.80:
	s_wait_loadcnt 0x0
	global_load_u16 v2, v[0:1], off
	s_mov_b32 s17, -1
	s_mov_b32 s19, 0
	s_wait_loadcnt 0x0
	v_lshlrev_b32_e32 v2, 16, v2
	s_delay_alu instid0(VALU_DEP_1) | instskip(NEXT) | instid1(VALU_DEP_1)
	v_trunc_f32_e32 v2, v2
	v_mul_f32_e64 v3, 0x2f800000, |v2|
	s_delay_alu instid0(VALU_DEP_1) | instskip(NEXT) | instid1(VALU_DEP_1)
	v_floor_f32_e32 v3, v3
	v_fma_f32 v4, 0xcf800000, v3, |v2|
	v_ashrrev_i32_e32 v2, 31, v2
	v_cvt_u32_f32_e32 v5, v3
	s_delay_alu instid0(VALU_DEP_3) | instskip(NEXT) | instid1(VALU_DEP_2)
	v_cvt_u32_f32_e32 v4, v4
	v_dual_mov_b32 v3, v2 :: v_dual_bitop2_b32 v5, v5, v2 bitop3:0x14
	s_delay_alu instid0(VALU_DEP_2) | instskip(NEXT) | instid1(VALU_DEP_1)
	v_xor_b32_e32 v4, v4, v2
	v_sub_nc_u64_e32 v[2:3], v[4:5], v[2:3]
	s_branch .LBB110_85
.LBB110_81:
	s_mov_b32 s18, -1
                                        ; implicit-def: $vgpr2_vgpr3
	s_branch .LBB110_86
.LBB110_82:
	s_and_not1_saveexec_b32 s17, s17
	s_cbranch_execz .LBB110_63
.LBB110_83:
	v_cmp_ne_u16_e32 vcc_lo, 0, v4
	s_and_not1_b32 s18, s18, exec_lo
	s_and_b32 s22, vcc_lo, exec_lo
	s_delay_alu instid0(SALU_CYCLE_1)
	s_or_b32 s18, s18, s22
	s_or_b32 exec_lo, exec_lo, s17
	v_mov_b64_e32 v[2:3], 0
	s_and_saveexec_b32 s17, s18
	s_cbranch_execnz .LBB110_64
	s_branch .LBB110_65
.LBB110_84:
	s_mov_b32 s19, -1
                                        ; implicit-def: $vgpr2_vgpr3
.LBB110_85:
	s_mov_b32 s18, 0
.LBB110_86:
	s_delay_alu instid0(SALU_CYCLE_1)
	s_and_b32 vcc_lo, exec_lo, s18
	s_cbranch_vccz .LBB110_90
; %bb.87:
	s_cmp_eq_u32 s0, 11
	s_cbranch_scc0 .LBB110_89
; %bb.88:
	s_wait_loadcnt 0x0
	global_load_u8 v2, v[0:1], off
	s_mov_b32 s19, 0
	s_mov_b32 s17, -1
	v_mov_b32_e32 v3, s19
	s_wait_loadcnt 0x0
	v_cmp_ne_u16_e32 vcc_lo, 0, v2
	v_cndmask_b32_e64 v2, 0, 1, vcc_lo
	s_branch .LBB110_90
.LBB110_89:
	s_mov_b32 s19, -1
                                        ; implicit-def: $vgpr2_vgpr3
.LBB110_90:
	s_branch .LBB110_10
.LBB110_91:
	s_cmp_lt_i32 s0, 5
	s_cbranch_scc1 .LBB110_96
; %bb.92:
	s_cmp_lt_i32 s0, 8
	s_cbranch_scc1 .LBB110_97
; %bb.93:
	;; [unrolled: 3-line block ×3, first 2 shown]
	s_cmp_gt_i32 s0, 9
	s_cbranch_scc0 .LBB110_99
; %bb.95:
	s_wait_loadcnt 0x0
	global_load_b64 v[2:3], v[0:1], off
	s_mov_b32 s17, 0
	s_wait_loadcnt 0x0
	v_trunc_f64_e32 v[2:3], v[2:3]
	s_delay_alu instid0(VALU_DEP_1) | instskip(NEXT) | instid1(VALU_DEP_1)
	v_ldexp_f64 v[4:5], v[2:3], 0xffffffe0
	v_floor_f64_e32 v[4:5], v[4:5]
	s_delay_alu instid0(VALU_DEP_1) | instskip(SKIP_1) | instid1(VALU_DEP_2)
	v_fmamk_f64 v[8:9], v[4:5], 0xc1f00000, v[2:3]
	v_cvt_i32_f64_e32 v3, v[4:5]
	v_cvt_u32_f64_e32 v2, v[8:9]
	s_branch .LBB110_100
.LBB110_96:
                                        ; implicit-def: $vgpr2_vgpr3
	s_branch .LBB110_118
.LBB110_97:
	s_mov_b32 s17, -1
                                        ; implicit-def: $vgpr2_vgpr3
	s_branch .LBB110_106
.LBB110_98:
	s_mov_b32 s17, -1
                                        ; implicit-def: $vgpr2_vgpr3
	s_branch .LBB110_103
.LBB110_99:
	s_mov_b32 s17, -1
                                        ; implicit-def: $vgpr2_vgpr3
.LBB110_100:
	s_delay_alu instid0(SALU_CYCLE_1)
	s_and_not1_b32 vcc_lo, exec_lo, s17
	s_cbranch_vccnz .LBB110_102
; %bb.101:
	s_wait_loadcnt 0x0
	global_load_b32 v2, v[0:1], off
	s_wait_loadcnt 0x0
	v_trunc_f32_e32 v2, v2
	s_delay_alu instid0(VALU_DEP_1) | instskip(NEXT) | instid1(VALU_DEP_1)
	v_mul_f32_e64 v3, 0x2f800000, |v2|
	v_floor_f32_e32 v3, v3
	s_delay_alu instid0(VALU_DEP_1) | instskip(SKIP_2) | instid1(VALU_DEP_3)
	v_fma_f32 v4, 0xcf800000, v3, |v2|
	v_ashrrev_i32_e32 v2, 31, v2
	v_cvt_u32_f32_e32 v5, v3
	v_cvt_u32_f32_e32 v4, v4
	s_delay_alu instid0(VALU_DEP_2) | instskip(NEXT) | instid1(VALU_DEP_2)
	v_dual_mov_b32 v3, v2 :: v_dual_bitop2_b32 v5, v5, v2 bitop3:0x14
	v_xor_b32_e32 v4, v4, v2
	s_delay_alu instid0(VALU_DEP_1)
	v_sub_nc_u64_e32 v[2:3], v[4:5], v[2:3]
.LBB110_102:
	s_mov_b32 s17, 0
.LBB110_103:
	s_delay_alu instid0(SALU_CYCLE_1)
	s_and_not1_b32 vcc_lo, exec_lo, s17
	s_cbranch_vccnz .LBB110_105
; %bb.104:
	s_wait_loadcnt 0x0
	global_load_b32 v2, v[0:1], off
	s_wait_loadcnt 0x0
	v_cvt_f32_f16_e32 v2, v2
	s_delay_alu instid0(VALU_DEP_1) | instskip(NEXT) | instid1(VALU_DEP_1)
	v_cvt_i32_f32_e32 v2, v2
	v_ashrrev_i32_e32 v3, 31, v2
.LBB110_105:
	s_mov_b32 s17, 0
.LBB110_106:
	s_delay_alu instid0(SALU_CYCLE_1)
	s_and_not1_b32 vcc_lo, exec_lo, s17
	s_cbranch_vccnz .LBB110_117
; %bb.107:
	s_cmp_lt_i32 s0, 6
	s_cbranch_scc1 .LBB110_110
; %bb.108:
	s_cmp_gt_i32 s0, 6
	s_cbranch_scc0 .LBB110_111
; %bb.109:
	s_wait_loadcnt 0x0
	global_load_b64 v[2:3], v[0:1], off
	s_mov_b32 s17, 0
	s_wait_loadcnt 0x0
	v_trunc_f64_e32 v[2:3], v[2:3]
	s_delay_alu instid0(VALU_DEP_1) | instskip(NEXT) | instid1(VALU_DEP_1)
	v_ldexp_f64 v[4:5], v[2:3], 0xffffffe0
	v_floor_f64_e32 v[4:5], v[4:5]
	s_delay_alu instid0(VALU_DEP_1) | instskip(SKIP_1) | instid1(VALU_DEP_2)
	v_fmamk_f64 v[8:9], v[4:5], 0xc1f00000, v[2:3]
	v_cvt_i32_f64_e32 v3, v[4:5]
	v_cvt_u32_f64_e32 v2, v[8:9]
	s_branch .LBB110_112
.LBB110_110:
	s_mov_b32 s17, -1
                                        ; implicit-def: $vgpr2_vgpr3
	s_branch .LBB110_115
.LBB110_111:
	s_mov_b32 s17, -1
                                        ; implicit-def: $vgpr2_vgpr3
.LBB110_112:
	s_delay_alu instid0(SALU_CYCLE_1)
	s_and_not1_b32 vcc_lo, exec_lo, s17
	s_cbranch_vccnz .LBB110_114
; %bb.113:
	s_wait_loadcnt 0x0
	global_load_b32 v2, v[0:1], off
	s_wait_loadcnt 0x0
	v_trunc_f32_e32 v2, v2
	s_delay_alu instid0(VALU_DEP_1) | instskip(NEXT) | instid1(VALU_DEP_1)
	v_mul_f32_e64 v3, 0x2f800000, |v2|
	v_floor_f32_e32 v3, v3
	s_delay_alu instid0(VALU_DEP_1) | instskip(SKIP_2) | instid1(VALU_DEP_3)
	v_fma_f32 v4, 0xcf800000, v3, |v2|
	v_ashrrev_i32_e32 v2, 31, v2
	v_cvt_u32_f32_e32 v5, v3
	v_cvt_u32_f32_e32 v4, v4
	s_delay_alu instid0(VALU_DEP_2) | instskip(NEXT) | instid1(VALU_DEP_2)
	v_dual_mov_b32 v3, v2 :: v_dual_bitop2_b32 v5, v5, v2 bitop3:0x14
	v_xor_b32_e32 v4, v4, v2
	s_delay_alu instid0(VALU_DEP_1)
	v_sub_nc_u64_e32 v[2:3], v[4:5], v[2:3]
.LBB110_114:
	s_mov_b32 s17, 0
.LBB110_115:
	s_delay_alu instid0(SALU_CYCLE_1)
	s_and_not1_b32 vcc_lo, exec_lo, s17
	s_cbranch_vccnz .LBB110_117
; %bb.116:
	s_wait_loadcnt 0x0
	global_load_u16 v2, v[0:1], off
	s_wait_loadcnt 0x0
	v_cvt_f32_f16_e32 v2, v2
	s_delay_alu instid0(VALU_DEP_1) | instskip(NEXT) | instid1(VALU_DEP_1)
	v_cvt_i32_f32_e32 v2, v2
	v_ashrrev_i32_e32 v3, 31, v2
.LBB110_117:
	s_cbranch_execnz .LBB110_137
.LBB110_118:
	s_cmp_lt_i32 s0, 2
	s_cbranch_scc1 .LBB110_122
; %bb.119:
	s_cmp_lt_i32 s0, 3
	s_cbranch_scc1 .LBB110_123
; %bb.120:
	s_cmp_gt_i32 s0, 3
	s_cbranch_scc0 .LBB110_124
; %bb.121:
	s_wait_loadcnt 0x0
	global_load_b64 v[2:3], v[0:1], off
	s_mov_b32 s17, 0
	s_branch .LBB110_125
.LBB110_122:
	s_mov_b32 s17, -1
                                        ; implicit-def: $vgpr2_vgpr3
	s_branch .LBB110_131
.LBB110_123:
	s_mov_b32 s17, -1
                                        ; implicit-def: $vgpr2_vgpr3
	s_branch .LBB110_128
.LBB110_124:
	s_mov_b32 s17, -1
                                        ; implicit-def: $vgpr2_vgpr3
.LBB110_125:
	s_delay_alu instid0(SALU_CYCLE_1)
	s_and_not1_b32 vcc_lo, exec_lo, s17
	s_cbranch_vccnz .LBB110_127
; %bb.126:
	s_wait_loadcnt 0x0
	global_load_b32 v2, v[0:1], off
	s_wait_loadcnt 0x0
	v_ashrrev_i32_e32 v3, 31, v2
.LBB110_127:
	s_mov_b32 s17, 0
.LBB110_128:
	s_delay_alu instid0(SALU_CYCLE_1)
	s_and_not1_b32 vcc_lo, exec_lo, s17
	s_cbranch_vccnz .LBB110_130
; %bb.129:
	s_wait_loadcnt 0x0
	global_load_u16 v2, v[0:1], off
	s_wait_loadcnt 0x0
	v_bfe_i32 v2, v2, 0, 16
	s_delay_alu instid0(VALU_DEP_1)
	v_ashrrev_i32_e32 v3, 31, v2
.LBB110_130:
	s_mov_b32 s17, 0
.LBB110_131:
	s_delay_alu instid0(SALU_CYCLE_1)
	s_and_not1_b32 vcc_lo, exec_lo, s17
	s_cbranch_vccnz .LBB110_137
; %bb.132:
	s_cmp_gt_i32 s0, 0
	s_mov_b32 s0, 0
	s_cbranch_scc0 .LBB110_134
; %bb.133:
	s_wait_loadcnt 0x0
	global_load_i8 v2, v[0:1], off
	s_wait_loadcnt 0x0
	v_bfe_i32 v2, v2, 0, 16
	s_delay_alu instid0(VALU_DEP_1)
	v_ashrrev_i32_e32 v3, 31, v2
	s_branch .LBB110_135
.LBB110_134:
	s_mov_b32 s0, -1
                                        ; implicit-def: $vgpr2_vgpr3
.LBB110_135:
	s_delay_alu instid0(SALU_CYCLE_1)
	s_and_not1_b32 vcc_lo, exec_lo, s0
	s_cbranch_vccnz .LBB110_137
; %bb.136:
	global_load_u8 v0, v[0:1], off
	s_mov_b32 s0, 0
	s_wait_loadcnt 0x1
	v_mov_b32_e32 v3, s0
	s_wait_loadcnt 0x0
	v_and_b32_e32 v2, 0xffff, v0
.LBB110_137:
	s_branch .LBB110_11
.LBB110_138:
	s_mov_b32 s22, 0
	s_mov_b32 s18, 0
	;; [unrolled: 1-line block ×3, first 2 shown]
                                        ; implicit-def: $vgpr6
	s_branch .LBB110_220
.LBB110_139:
	s_mov_b32 s24, -1
	s_mov_b32 s23, 0
.LBB110_140:
	s_and_b32 vcc_lo, exec_lo, s24
	s_cbranch_vccz .LBB110_143
; %bb.141:
	s_cmp_eq_u32 s22, 44
	s_mov_b32 s17, -1
	s_cbranch_scc0 .LBB110_143
; %bb.142:
	s_wait_xcnt 0x0
	v_mov_b32_e32 v2, 0
	s_mov_b32 s23, -1
	s_mov_b32 s17, 0
	s_mov_b32 s24, 0
	global_store_b8 v[0:1], v2, off
	s_branch .LBB110_144
.LBB110_143:
	s_mov_b32 s24, 0
.LBB110_144:
	s_delay_alu instid0(SALU_CYCLE_1)
	s_and_b32 vcc_lo, exec_lo, s24
	s_cbranch_vccz .LBB110_147
; %bb.145:
	s_cmp_eq_u32 s22, 29
	s_mov_b32 s17, -1
	s_cbranch_scc0 .LBB110_147
; %bb.146:
	s_wait_xcnt 0x0
	v_mov_b64_e32 v[2:3], 0
	s_mov_b32 s23, -1
	s_mov_b32 s17, 0
	s_mov_b32 s24, 0
	global_store_b64 v[0:1], v[2:3], off
	s_branch .LBB110_148
.LBB110_147:
	s_mov_b32 s24, 0
.LBB110_148:
	s_delay_alu instid0(SALU_CYCLE_1)
	s_and_b32 vcc_lo, exec_lo, s24
	s_cbranch_vccz .LBB110_158
; %bb.149:
	s_cmp_lt_i32 s22, 27
	s_mov_b32 s23, -1
	s_cbranch_scc1 .LBB110_155
; %bb.150:
	s_cmp_gt_i32 s22, 27
	s_cbranch_scc0 .LBB110_152
; %bb.151:
	s_wait_xcnt 0x0
	v_mov_b32_e32 v2, 0
	s_mov_b32 s23, 0
	global_store_b32 v[0:1], v2, off
.LBB110_152:
	s_and_not1_b32 vcc_lo, exec_lo, s23
	s_cbranch_vccnz .LBB110_154
; %bb.153:
	s_wait_xcnt 0x0
	v_mov_b32_e32 v2, 0
	global_store_b16 v[0:1], v2, off
.LBB110_154:
	s_mov_b32 s23, 0
.LBB110_155:
	s_delay_alu instid0(SALU_CYCLE_1)
	s_and_not1_b32 vcc_lo, exec_lo, s23
	s_cbranch_vccnz .LBB110_157
; %bb.156:
	s_wait_xcnt 0x0
	v_mov_b32_e32 v2, 0
	global_store_b8 v[0:1], v2, off
.LBB110_157:
	s_mov_b32 s23, -1
.LBB110_158:
	s_mov_b32 s24, 0
.LBB110_159:
	s_delay_alu instid0(SALU_CYCLE_1)
	s_and_b32 vcc_lo, exec_lo, s24
	s_cbranch_vccz .LBB110_178
; %bb.160:
	s_cmp_gt_i32 s22, 22
	s_mov_b32 s24, -1
	s_cbranch_scc0 .LBB110_170
; %bb.161:
	s_cmp_lt_i32 s22, 24
	s_mov_b32 s23, -1
	s_cbranch_scc1 .LBB110_167
; %bb.162:
	s_cmp_gt_i32 s22, 24
	s_cbranch_scc0 .LBB110_164
; %bb.163:
	s_wait_xcnt 0x0
	v_mov_b32_e32 v2, 0
	s_mov_b32 s23, 0
	global_store_b8 v[0:1], v2, off
.LBB110_164:
	s_and_not1_b32 vcc_lo, exec_lo, s23
	s_cbranch_vccnz .LBB110_166
; %bb.165:
	s_wait_xcnt 0x0
	v_mov_b32_e32 v2, 0
	global_store_b8 v[0:1], v2, off
.LBB110_166:
	s_mov_b32 s23, 0
.LBB110_167:
	s_delay_alu instid0(SALU_CYCLE_1)
	s_and_not1_b32 vcc_lo, exec_lo, s23
	s_cbranch_vccnz .LBB110_169
; %bb.168:
	s_wait_xcnt 0x0
	v_mov_b32_e32 v2, 0
	global_store_b8 v[0:1], v2, off
.LBB110_169:
	s_mov_b32 s24, 0
	s_mov_b32 s23, -1
.LBB110_170:
	s_and_not1_b32 vcc_lo, exec_lo, s24
	s_cbranch_vccnz .LBB110_178
; %bb.171:
	s_cmp_gt_i32 s22, 14
	s_mov_b32 s24, -1
	s_cbranch_scc0 .LBB110_175
; %bb.172:
	s_cmp_eq_u32 s22, 15
	s_mov_b32 s17, -1
	s_cbranch_scc0 .LBB110_174
; %bb.173:
	s_wait_xcnt 0x0
	v_mov_b32_e32 v2, 0
	s_mov_b32 s23, -1
	s_mov_b32 s17, 0
	global_store_b16 v[0:1], v2, off
.LBB110_174:
	s_mov_b32 s24, 0
.LBB110_175:
	s_delay_alu instid0(SALU_CYCLE_1)
	s_and_b32 vcc_lo, exec_lo, s24
	s_cbranch_vccz .LBB110_178
; %bb.176:
	s_cmp_eq_u32 s22, 11
	s_mov_b32 s17, -1
	s_cbranch_scc0 .LBB110_178
; %bb.177:
	s_wait_xcnt 0x0
	v_mov_b32_e32 v2, 0
	s_mov_b32 s23, -1
	s_mov_b32 s17, 0
	global_store_b8 v[0:1], v2, off
.LBB110_178:
	s_branch .LBB110_21
.LBB110_179:
	s_and_b32 s18, 0xffff, s18
	s_mov_b32 s22, -1
	s_cmp_lt_i32 s18, 5
	s_cbranch_scc1 .LBB110_200
; %bb.180:
	s_cmp_lt_i32 s18, 8
	s_cbranch_scc1 .LBB110_190
; %bb.181:
	;; [unrolled: 3-line block ×3, first 2 shown]
	s_cmp_gt_i32 s18, 9
	s_cbranch_scc0 .LBB110_184
; %bb.183:
	s_wait_xcnt 0x0
	v_mov_b32_e32 v2, 0
	s_mov_b32 s22, 0
	s_delay_alu instid0(VALU_DEP_1)
	v_dual_mov_b32 v3, v2 :: v_dual_mov_b32 v4, v2
	v_mov_b32_e32 v5, v2
	global_store_b128 v[0:1], v[2:5], off
.LBB110_184:
	s_and_not1_b32 vcc_lo, exec_lo, s22
	s_cbranch_vccnz .LBB110_186
; %bb.185:
	s_wait_xcnt 0x0
	v_mov_b64_e32 v[2:3], 0
	global_store_b64 v[0:1], v[2:3], off
.LBB110_186:
	s_mov_b32 s22, 0
.LBB110_187:
	s_delay_alu instid0(SALU_CYCLE_1)
	s_and_not1_b32 vcc_lo, exec_lo, s22
	s_cbranch_vccnz .LBB110_189
; %bb.188:
	s_wait_xcnt 0x0
	v_mov_b32_e32 v2, 0
	global_store_b32 v[0:1], v2, off
.LBB110_189:
	s_mov_b32 s22, 0
.LBB110_190:
	s_delay_alu instid0(SALU_CYCLE_1)
	s_and_not1_b32 vcc_lo, exec_lo, s22
	s_cbranch_vccnz .LBB110_199
; %bb.191:
	s_cmp_lt_i32 s18, 6
	s_mov_b32 s22, -1
	s_cbranch_scc1 .LBB110_197
; %bb.192:
	s_cmp_gt_i32 s18, 6
	s_cbranch_scc0 .LBB110_194
; %bb.193:
	s_wait_xcnt 0x0
	v_mov_b64_e32 v[2:3], 0
	s_mov_b32 s22, 0
	global_store_b64 v[0:1], v[2:3], off
.LBB110_194:
	s_and_not1_b32 vcc_lo, exec_lo, s22
	s_cbranch_vccnz .LBB110_196
; %bb.195:
	s_wait_xcnt 0x0
	v_mov_b32_e32 v2, 0
	global_store_b32 v[0:1], v2, off
.LBB110_196:
	s_mov_b32 s22, 0
.LBB110_197:
	s_delay_alu instid0(SALU_CYCLE_1)
	s_and_not1_b32 vcc_lo, exec_lo, s22
	s_cbranch_vccnz .LBB110_199
; %bb.198:
	s_wait_xcnt 0x0
	v_mov_b32_e32 v2, 0
	global_store_b16 v[0:1], v2, off
.LBB110_199:
	s_mov_b32 s22, 0
.LBB110_200:
	s_delay_alu instid0(SALU_CYCLE_1)
	s_and_not1_b32 vcc_lo, exec_lo, s22
	s_cbranch_vccnz .LBB110_216
; %bb.201:
	s_cmp_lt_i32 s18, 2
	s_mov_b32 s22, -1
	s_cbranch_scc1 .LBB110_211
; %bb.202:
	s_cmp_lt_i32 s18, 3
	s_cbranch_scc1 .LBB110_208
; %bb.203:
	s_cmp_gt_i32 s18, 3
	s_cbranch_scc0 .LBB110_205
; %bb.204:
	s_wait_xcnt 0x0
	v_mov_b64_e32 v[2:3], 0
	s_mov_b32 s22, 0
	global_store_b64 v[0:1], v[2:3], off
.LBB110_205:
	s_and_not1_b32 vcc_lo, exec_lo, s22
	s_cbranch_vccnz .LBB110_207
; %bb.206:
	s_wait_xcnt 0x0
	v_mov_b32_e32 v2, 0
	global_store_b32 v[0:1], v2, off
.LBB110_207:
	s_mov_b32 s22, 0
.LBB110_208:
	s_delay_alu instid0(SALU_CYCLE_1)
	s_and_not1_b32 vcc_lo, exec_lo, s22
	s_cbranch_vccnz .LBB110_210
; %bb.209:
	s_wait_xcnt 0x0
	v_mov_b32_e32 v2, 0
	global_store_b16 v[0:1], v2, off
.LBB110_210:
	s_mov_b32 s22, 0
.LBB110_211:
	s_delay_alu instid0(SALU_CYCLE_1)
	s_and_not1_b32 vcc_lo, exec_lo, s22
	s_cbranch_vccnz .LBB110_216
; %bb.212:
	s_cmp_gt_i32 s18, 0
	s_mov_b32 s18, -1
	s_cbranch_scc0 .LBB110_214
; %bb.213:
	s_wait_xcnt 0x0
	v_mov_b32_e32 v2, 0
	s_mov_b32 s18, 0
	global_store_b8 v[0:1], v2, off
.LBB110_214:
	s_and_not1_b32 vcc_lo, exec_lo, s18
	s_cbranch_vccnz .LBB110_216
; %bb.215:
	s_wait_xcnt 0x0
	v_mov_b32_e32 v2, 0
	global_store_b8 v[0:1], v2, off
.LBB110_216:
	s_branch .LBB110_22
.LBB110_217:
	s_mov_b32 s22, 0
                                        ; implicit-def: $vgpr6
.LBB110_218:
	s_and_b32 s17, s17, exec_lo
	s_xor_b32 s18, exec_lo, -1
	s_and_b32 s22, s22, exec_lo
.LBB110_219:
	s_wait_xcnt 0x0
	s_or_b32 exec_lo, exec_lo, s0
.LBB110_220:
	s_delay_alu instid0(SALU_CYCLE_1)
	s_and_b32 s17, s17, exec_lo
	s_and_b32 s18, s18, exec_lo
	;; [unrolled: 1-line block ×3, first 2 shown]
	s_or_not1_b32 s23, s22, exec_lo
.LBB110_221:
	s_wait_xcnt 0x0
	s_or_b32 exec_lo, exec_lo, s20
	s_mov_b32 s22, 0
	s_mov_b32 s0, 0
                                        ; implicit-def: $vgpr0_vgpr1
                                        ; implicit-def: $vgpr2_vgpr3
	s_and_saveexec_b32 s20, s23
	s_cbranch_execz .LBB110_230
; %bb.222:
	s_mov_b32 s0, -1
	s_mov_b32 s21, s19
	s_mov_b32 s23, s18
	;; [unrolled: 1-line block ×3, first 2 shown]
	s_mov_b32 s24, exec_lo
	v_cmpx_gt_i32_e64 s16, v6
	s_cbranch_execz .LBB110_448
; %bb.223:
	v_mul_lo_u32 v0, v6, s3
	s_and_b32 s0, 0xffff, s13
	s_delay_alu instid0(SALU_CYCLE_1) | instskip(NEXT) | instid1(VALU_DEP_1)
	s_cmp_lt_i32 s0, 11
	v_ashrrev_i32_e32 v1, 31, v0
	s_delay_alu instid0(VALU_DEP_1)
	v_add_nc_u64_e32 v[0:1], s[6:7], v[0:1]
	s_cbranch_scc1 .LBB110_233
; %bb.224:
	s_cmp_gt_i32 s0, 25
	s_cbranch_scc0 .LBB110_243
; %bb.225:
	s_cmp_gt_i32 s0, 28
	s_cbranch_scc0 .LBB110_245
	;; [unrolled: 3-line block ×4, first 2 shown]
; %bb.228:
	s_cmp_eq_u32 s0, 46
	s_mov_b32 s23, 0
	s_cbranch_scc0 .LBB110_251
; %bb.229:
	s_wait_loadcnt 0x0
	global_load_b32 v2, v[0:1], off
	s_mov_b32 s22, -1
	s_mov_b32 s21, 0
	s_wait_loadcnt 0x0
	v_lshlrev_b32_e32 v2, 16, v2
	s_delay_alu instid0(VALU_DEP_1) | instskip(NEXT) | instid1(VALU_DEP_1)
	v_trunc_f32_e32 v2, v2
	v_mul_f32_e64 v3, 0x2f800000, |v2|
	s_delay_alu instid0(VALU_DEP_1) | instskip(NEXT) | instid1(VALU_DEP_1)
	v_floor_f32_e32 v3, v3
	v_fma_f32 v4, 0xcf800000, v3, |v2|
	v_ashrrev_i32_e32 v2, 31, v2
	v_cvt_u32_f32_e32 v5, v3
	s_delay_alu instid0(VALU_DEP_3) | instskip(NEXT) | instid1(VALU_DEP_2)
	v_cvt_u32_f32_e32 v4, v4
	v_dual_mov_b32 v3, v2 :: v_dual_bitop2_b32 v5, v5, v2 bitop3:0x14
	s_delay_alu instid0(VALU_DEP_2) | instskip(NEXT) | instid1(VALU_DEP_1)
	v_xor_b32_e32 v4, v4, v2
	v_sub_nc_u64_e32 v[2:3], v[4:5], v[2:3]
	s_branch .LBB110_253
.LBB110_230:
	s_or_b32 exec_lo, exec_lo, s20
	s_mov_b32 s16, 0
	s_and_saveexec_b32 s20, s19
	s_cbranch_execnz .LBB110_752
.LBB110_231:
	s_or_b32 exec_lo, exec_lo, s20
	s_and_saveexec_b32 s19, s21
	s_delay_alu instid0(SALU_CYCLE_1)
	s_xor_b32 s19, exec_lo, s19
	s_cbranch_execz .LBB110_753
.LBB110_232:
	s_wait_loadcnt 0x0
	global_load_u8 v2, v[0:1], off
	s_mov_b32 s20, 0
	s_or_b32 s0, s0, exec_lo
	v_mov_b32_e32 v3, s20
	s_wait_loadcnt 0x0
	v_cmp_ne_u16_e32 vcc_lo, 0, v2
	v_cndmask_b32_e64 v2, 0, 1, vcc_lo
	s_wait_xcnt 0x0
	s_or_b32 exec_lo, exec_lo, s19
	s_and_saveexec_b32 s19, s22
	s_cbranch_execz .LBB110_799
	s_branch .LBB110_754
.LBB110_233:
	s_mov_b32 s22, 0
	s_mov_b32 s21, s19
                                        ; implicit-def: $vgpr2_vgpr3
	s_cbranch_execnz .LBB110_314
.LBB110_234:
	s_and_not1_b32 vcc_lo, exec_lo, s22
	s_cbranch_vccnz .LBB110_362
.LBB110_235:
	s_wait_loadcnt 0x0
	s_delay_alu instid0(VALU_DEP_1)
	v_cmp_le_i64_e32 vcc_lo, s[8:9], v[2:3]
	v_cmp_gt_i64_e64 s0, s[10:11], v[2:3]
	s_mov_b32 s25, 0
	s_mov_b32 s23, -1
	s_mov_b32 s22, s17
	s_and_b32 s0, vcc_lo, s0
	s_delay_alu instid0(SALU_CYCLE_1)
	s_and_b32 s26, s15, s0
	s_wait_xcnt 0x0
	s_and_saveexec_b32 s0, s26
	s_cbranch_execz .LBB110_446
; %bb.236:
	v_mul_lo_u32 v0, v6, s2
	s_and_b32 s23, s12, 0xff
	s_delay_alu instid0(SALU_CYCLE_1) | instskip(NEXT) | instid1(VALU_DEP_1)
	s_cmp_lt_i32 s23, 11
	v_ashrrev_i32_e32 v1, 31, v0
	s_delay_alu instid0(VALU_DEP_1)
	v_add_nc_u64_e32 v[0:1], s[4:5], v[0:1]
	s_cbranch_scc1 .LBB110_244
; %bb.237:
	s_and_b32 s25, 0xffff, s23
	s_delay_alu instid0(SALU_CYCLE_1)
	s_cmp_gt_i32 s25, 25
	s_cbranch_scc0 .LBB110_246
; %bb.238:
	s_cmp_gt_i32 s25, 28
	s_cbranch_scc0 .LBB110_248
; %bb.239:
	;; [unrolled: 3-line block ×4, first 2 shown]
	s_mov_b32 s27, 0
	s_mov_b32 s22, -1
	s_cmp_eq_u32 s25, 46
	s_mov_b32 s26, 0
	s_cbranch_scc0 .LBB110_364
; %bb.242:
	v_mov_b32_e32 v2, 0
	s_mov_b32 s26, -1
	s_mov_b32 s22, 0
	global_store_b32 v[0:1], v2, off
	s_branch .LBB110_364
.LBB110_243:
	s_mov_b32 s23, -1
	s_mov_b32 s22, 0
	s_mov_b32 s21, s19
                                        ; implicit-def: $vgpr2_vgpr3
	s_branch .LBB110_280
.LBB110_244:
	s_mov_b32 s25, -1
	s_mov_b32 s26, 0
	s_mov_b32 s22, s17
	s_branch .LBB110_403
.LBB110_245:
	s_mov_b32 s23, -1
	s_mov_b32 s22, 0
	s_mov_b32 s21, s19
                                        ; implicit-def: $vgpr2_vgpr3
	s_branch .LBB110_263
.LBB110_246:
	s_mov_b32 s27, -1
	s_mov_b32 s26, 0
	s_mov_b32 s22, s17
	s_branch .LBB110_383
.LBB110_247:
	s_mov_b32 s23, -1
	s_mov_b32 s22, 0
	s_mov_b32 s21, s19
                                        ; implicit-def: $vgpr2_vgpr3
	s_branch .LBB110_258
.LBB110_248:
	s_mov_b32 s27, -1
	s_mov_b32 s26, 0
	s_mov_b32 s22, s17
	s_branch .LBB110_372
.LBB110_249:
	s_mov_b32 s23, -1
	s_mov_b32 s22, 0
	s_mov_b32 s21, s19
	s_branch .LBB110_252
.LBB110_250:
	s_mov_b32 s27, -1
	s_mov_b32 s26, 0
	s_mov_b32 s22, s17
	s_branch .LBB110_368
.LBB110_251:
	s_mov_b32 s21, -1
	s_mov_b32 s22, 0
.LBB110_252:
                                        ; implicit-def: $vgpr2_vgpr3
.LBB110_253:
	s_and_b32 vcc_lo, exec_lo, s23
	s_cbranch_vccz .LBB110_257
; %bb.254:
	s_cmp_eq_u32 s0, 44
	s_cbranch_scc0 .LBB110_256
; %bb.255:
	global_load_u8 v7, v[0:1], off
	s_mov_b32 s21, 0
	s_mov_b32 s22, -1
	s_wait_loadcnt 0x0
	v_lshlrev_b32_e32 v2, 23, v7
	v_cmp_ne_u32_e32 vcc_lo, 0, v7
	s_delay_alu instid0(VALU_DEP_2) | instskip(NEXT) | instid1(VALU_DEP_1)
	v_trunc_f32_e32 v2, v2
	v_mul_f32_e64 v3, 0x2f800000, |v2|
	s_delay_alu instid0(VALU_DEP_1) | instskip(NEXT) | instid1(VALU_DEP_1)
	v_floor_f32_e32 v3, v3
	v_fma_f32 v4, 0xcf800000, v3, |v2|
	v_ashrrev_i32_e32 v2, 31, v2
	v_cvt_u32_f32_e32 v5, v3
	s_delay_alu instid0(VALU_DEP_3) | instskip(NEXT) | instid1(VALU_DEP_2)
	v_cvt_u32_f32_e32 v4, v4
	v_dual_mov_b32 v3, v2 :: v_dual_bitop2_b32 v5, v5, v2 bitop3:0x14
	s_delay_alu instid0(VALU_DEP_2) | instskip(NEXT) | instid1(VALU_DEP_1)
	v_xor_b32_e32 v4, v4, v2
	v_sub_nc_u64_e32 v[2:3], v[4:5], v[2:3]
	s_delay_alu instid0(VALU_DEP_1)
	v_dual_cndmask_b32 v3, 0, v3 :: v_dual_cndmask_b32 v2, 0, v2
	s_branch .LBB110_257
.LBB110_256:
	s_mov_b32 s21, -1
                                        ; implicit-def: $vgpr2_vgpr3
.LBB110_257:
	s_mov_b32 s23, 0
.LBB110_258:
	s_delay_alu instid0(SALU_CYCLE_1)
	s_and_b32 vcc_lo, exec_lo, s23
	s_cbranch_vccz .LBB110_262
; %bb.259:
	s_cmp_eq_u32 s0, 29
	s_cbranch_scc0 .LBB110_261
; %bb.260:
	s_wait_loadcnt 0x0
	global_load_b64 v[2:3], v[0:1], off
	s_mov_b32 s22, -1
	s_mov_b32 s21, 0
	s_branch .LBB110_262
.LBB110_261:
	s_mov_b32 s21, -1
                                        ; implicit-def: $vgpr2_vgpr3
.LBB110_262:
	s_mov_b32 s23, 0
.LBB110_263:
	s_delay_alu instid0(SALU_CYCLE_1)
	s_and_b32 vcc_lo, exec_lo, s23
	s_cbranch_vccz .LBB110_279
; %bb.264:
	s_cmp_lt_i32 s0, 27
	s_cbranch_scc1 .LBB110_267
; %bb.265:
	s_cmp_gt_i32 s0, 27
	s_cbranch_scc0 .LBB110_268
; %bb.266:
	s_wait_loadcnt 0x0
	global_load_b32 v2, v[0:1], off
	v_mov_b32_e32 v3, 0
	s_mov_b32 s22, 0
	s_branch .LBB110_269
.LBB110_267:
	s_mov_b32 s22, -1
                                        ; implicit-def: $vgpr2_vgpr3
	s_branch .LBB110_272
.LBB110_268:
	s_mov_b32 s22, -1
                                        ; implicit-def: $vgpr2_vgpr3
.LBB110_269:
	s_delay_alu instid0(SALU_CYCLE_1)
	s_and_not1_b32 vcc_lo, exec_lo, s22
	s_cbranch_vccnz .LBB110_271
; %bb.270:
	s_wait_loadcnt 0x0
	global_load_u16 v2, v[0:1], off
	s_mov_b32 s22, 0
	s_delay_alu instid0(SALU_CYCLE_1)
	v_mov_b32_e32 v3, s22
	s_wait_loadcnt 0x0
	v_and_b32_e32 v2, 0xffff, v2
.LBB110_271:
	s_mov_b32 s22, 0
.LBB110_272:
	s_delay_alu instid0(SALU_CYCLE_1)
	s_and_not1_b32 vcc_lo, exec_lo, s22
	s_cbranch_vccnz .LBB110_278
; %bb.273:
	global_load_u8 v4, v[0:1], off
	s_mov_b32 s23, 0
	s_mov_b32 s22, exec_lo
	s_wait_loadcnt 0x0
	v_cmpx_lt_i16_e32 0x7f, v4
	s_xor_b32 s22, exec_lo, s22
	s_cbranch_execz .LBB110_290
; %bb.274:
	v_cmp_ne_u16_e32 vcc_lo, 0x80, v4
	s_and_b32 s23, vcc_lo, exec_lo
	s_and_not1_saveexec_b32 s22, s22
	s_cbranch_execnz .LBB110_291
.LBB110_275:
	s_or_b32 exec_lo, exec_lo, s22
	v_mov_b64_e32 v[2:3], 0
	s_and_saveexec_b32 s22, s23
	s_cbranch_execz .LBB110_277
.LBB110_276:
	v_and_b32_e32 v2, 0xffff, v4
	s_delay_alu instid0(VALU_DEP_1) | instskip(SKIP_1) | instid1(VALU_DEP_2)
	v_and_b32_e32 v3, 7, v2
	v_bfe_u32 v8, v2, 3, 4
	v_clz_i32_u32_e32 v5, v3
	s_delay_alu instid0(VALU_DEP_2) | instskip(NEXT) | instid1(VALU_DEP_2)
	v_cmp_eq_u32_e32 vcc_lo, 0, v8
	v_min_u32_e32 v5, 32, v5
	s_delay_alu instid0(VALU_DEP_1) | instskip(NEXT) | instid1(VALU_DEP_1)
	v_subrev_nc_u32_e32 v7, 28, v5
	v_dual_lshlrev_b32 v2, v7, v2 :: v_dual_sub_nc_u32 v5, 29, v5
	s_delay_alu instid0(VALU_DEP_1) | instskip(NEXT) | instid1(VALU_DEP_1)
	v_dual_lshlrev_b32 v4, 24, v4 :: v_dual_bitop2_b32 v2, 7, v2 bitop3:0x40
	v_dual_cndmask_b32 v5, v8, v5 :: v_dual_cndmask_b32 v2, v3, v2
	s_delay_alu instid0(VALU_DEP_2) | instskip(NEXT) | instid1(VALU_DEP_2)
	v_and_b32_e32 v3, 0x80000000, v4
	v_lshl_add_u32 v4, v5, 23, 0x3b800000
	s_delay_alu instid0(VALU_DEP_3) | instskip(NEXT) | instid1(VALU_DEP_1)
	v_lshlrev_b32_e32 v2, 20, v2
	v_or3_b32 v2, v3, v4, v2
	s_delay_alu instid0(VALU_DEP_1) | instskip(NEXT) | instid1(VALU_DEP_1)
	v_trunc_f32_e32 v2, v2
	v_mul_f32_e64 v3, 0x2f800000, |v2|
	s_delay_alu instid0(VALU_DEP_1) | instskip(NEXT) | instid1(VALU_DEP_1)
	v_floor_f32_e32 v3, v3
	v_fma_f32 v4, 0xcf800000, v3, |v2|
	v_ashrrev_i32_e32 v2, 31, v2
	v_cvt_u32_f32_e32 v5, v3
	s_delay_alu instid0(VALU_DEP_3) | instskip(NEXT) | instid1(VALU_DEP_2)
	v_cvt_u32_f32_e32 v4, v4
	v_dual_mov_b32 v3, v2 :: v_dual_bitop2_b32 v5, v5, v2 bitop3:0x14
	s_delay_alu instid0(VALU_DEP_2) | instskip(NEXT) | instid1(VALU_DEP_1)
	v_xor_b32_e32 v4, v4, v2
	v_sub_nc_u64_e32 v[2:3], v[4:5], v[2:3]
.LBB110_277:
	s_or_b32 exec_lo, exec_lo, s22
.LBB110_278:
	s_mov_b32 s22, -1
.LBB110_279:
	s_mov_b32 s23, 0
.LBB110_280:
	s_delay_alu instid0(SALU_CYCLE_1)
	s_and_b32 vcc_lo, exec_lo, s23
	s_cbranch_vccz .LBB110_313
; %bb.281:
	s_cmp_gt_i32 s0, 22
	s_cbranch_scc0 .LBB110_289
; %bb.282:
	s_cmp_lt_i32 s0, 24
	s_cbranch_scc1 .LBB110_292
; %bb.283:
	s_cmp_gt_i32 s0, 24
	s_cbranch_scc0 .LBB110_293
; %bb.284:
	global_load_u8 v4, v[0:1], off
	s_mov_b32 s23, 0
	s_mov_b32 s22, exec_lo
	s_wait_loadcnt 0x0
	v_cmpx_lt_i16_e32 0x7f, v4
	s_xor_b32 s22, exec_lo, s22
	s_cbranch_execz .LBB110_305
; %bb.285:
	v_cmp_ne_u16_e32 vcc_lo, 0x80, v4
	s_and_b32 s23, vcc_lo, exec_lo
	s_and_not1_saveexec_b32 s22, s22
	s_cbranch_execnz .LBB110_306
.LBB110_286:
	s_or_b32 exec_lo, exec_lo, s22
	v_mov_b64_e32 v[2:3], 0
	s_and_saveexec_b32 s22, s23
	s_cbranch_execz .LBB110_288
.LBB110_287:
	v_and_b32_e32 v2, 0xffff, v4
	s_delay_alu instid0(VALU_DEP_1) | instskip(SKIP_1) | instid1(VALU_DEP_2)
	v_and_b32_e32 v3, 3, v2
	v_bfe_u32 v8, v2, 2, 5
	v_clz_i32_u32_e32 v5, v3
	s_delay_alu instid0(VALU_DEP_2) | instskip(NEXT) | instid1(VALU_DEP_2)
	v_cmp_eq_u32_e32 vcc_lo, 0, v8
	v_min_u32_e32 v5, 32, v5
	s_delay_alu instid0(VALU_DEP_1) | instskip(NEXT) | instid1(VALU_DEP_1)
	v_subrev_nc_u32_e32 v7, 29, v5
	v_dual_lshlrev_b32 v2, v7, v2 :: v_dual_sub_nc_u32 v5, 30, v5
	s_delay_alu instid0(VALU_DEP_1) | instskip(NEXT) | instid1(VALU_DEP_1)
	v_dual_lshlrev_b32 v4, 24, v4 :: v_dual_bitop2_b32 v2, 3, v2 bitop3:0x40
	v_dual_cndmask_b32 v5, v8, v5 :: v_dual_cndmask_b32 v2, v3, v2
	s_delay_alu instid0(VALU_DEP_2) | instskip(NEXT) | instid1(VALU_DEP_2)
	v_and_b32_e32 v3, 0x80000000, v4
	v_lshl_add_u32 v4, v5, 23, 0x37800000
	s_delay_alu instid0(VALU_DEP_3) | instskip(NEXT) | instid1(VALU_DEP_1)
	v_lshlrev_b32_e32 v2, 21, v2
	v_or3_b32 v2, v3, v4, v2
	s_delay_alu instid0(VALU_DEP_1) | instskip(NEXT) | instid1(VALU_DEP_1)
	v_trunc_f32_e32 v2, v2
	v_mul_f32_e64 v3, 0x2f800000, |v2|
	s_delay_alu instid0(VALU_DEP_1) | instskip(NEXT) | instid1(VALU_DEP_1)
	v_floor_f32_e32 v3, v3
	v_fma_f32 v4, 0xcf800000, v3, |v2|
	v_ashrrev_i32_e32 v2, 31, v2
	v_cvt_u32_f32_e32 v5, v3
	s_delay_alu instid0(VALU_DEP_3) | instskip(NEXT) | instid1(VALU_DEP_2)
	v_cvt_u32_f32_e32 v4, v4
	v_dual_mov_b32 v3, v2 :: v_dual_bitop2_b32 v5, v5, v2 bitop3:0x14
	s_delay_alu instid0(VALU_DEP_2) | instskip(NEXT) | instid1(VALU_DEP_1)
	v_xor_b32_e32 v4, v4, v2
	v_sub_nc_u64_e32 v[2:3], v[4:5], v[2:3]
.LBB110_288:
	s_or_b32 exec_lo, exec_lo, s22
	s_mov_b32 s22, 0
	s_branch .LBB110_294
.LBB110_289:
	s_mov_b32 s23, -1
                                        ; implicit-def: $vgpr2_vgpr3
	s_branch .LBB110_300
.LBB110_290:
	s_and_not1_saveexec_b32 s22, s22
	s_cbranch_execz .LBB110_275
.LBB110_291:
	v_cmp_ne_u16_e32 vcc_lo, 0, v4
	s_and_not1_b32 s23, s23, exec_lo
	s_and_b32 s25, vcc_lo, exec_lo
	s_delay_alu instid0(SALU_CYCLE_1)
	s_or_b32 s23, s23, s25
	s_or_b32 exec_lo, exec_lo, s22
	v_mov_b64_e32 v[2:3], 0
	s_and_saveexec_b32 s22, s23
	s_cbranch_execnz .LBB110_276
	s_branch .LBB110_277
.LBB110_292:
	s_mov_b32 s22, -1
                                        ; implicit-def: $vgpr2_vgpr3
	s_branch .LBB110_297
.LBB110_293:
	s_mov_b32 s22, -1
                                        ; implicit-def: $vgpr2_vgpr3
.LBB110_294:
	s_delay_alu instid0(SALU_CYCLE_1)
	s_and_b32 vcc_lo, exec_lo, s22
	s_cbranch_vccz .LBB110_296
; %bb.295:
	s_wait_loadcnt 0x0
	global_load_u8 v2, v[0:1], off
	s_wait_loadcnt 0x0
	v_lshlrev_b32_e32 v2, 24, v2
	s_delay_alu instid0(VALU_DEP_1) | instskip(NEXT) | instid1(VALU_DEP_1)
	v_and_b32_e32 v3, 0x7f000000, v2
	v_clz_i32_u32_e32 v4, v3
	v_add_nc_u32_e32 v7, 0x1000000, v3
	v_cmp_ne_u32_e32 vcc_lo, 0, v3
	s_delay_alu instid0(VALU_DEP_3) | instskip(NEXT) | instid1(VALU_DEP_1)
	v_min_u32_e32 v4, 32, v4
	v_sub_nc_u32_e64 v4, v4, 4 clamp
	s_delay_alu instid0(VALU_DEP_1) | instskip(NEXT) | instid1(VALU_DEP_1)
	v_dual_lshlrev_b32 v5, v4, v3 :: v_dual_lshlrev_b32 v4, 23, v4
	v_lshrrev_b32_e32 v5, 4, v5
	s_delay_alu instid0(VALU_DEP_1) | instskip(NEXT) | instid1(VALU_DEP_1)
	v_dual_sub_nc_u32 v4, v5, v4 :: v_dual_ashrrev_i32 v5, 8, v7
	v_add_nc_u32_e32 v4, 0x3c000000, v4
	s_delay_alu instid0(VALU_DEP_1) | instskip(NEXT) | instid1(VALU_DEP_1)
	v_and_or_b32 v4, 0x7f800000, v5, v4
	v_cndmask_b32_e32 v3, 0, v4, vcc_lo
	s_delay_alu instid0(VALU_DEP_1) | instskip(NEXT) | instid1(VALU_DEP_1)
	v_and_or_b32 v2, 0x80000000, v2, v3
	v_trunc_f32_e32 v2, v2
	s_delay_alu instid0(VALU_DEP_1) | instskip(NEXT) | instid1(VALU_DEP_1)
	v_mul_f32_e64 v3, 0x2f800000, |v2|
	v_floor_f32_e32 v3, v3
	s_delay_alu instid0(VALU_DEP_1) | instskip(SKIP_2) | instid1(VALU_DEP_3)
	v_fma_f32 v4, 0xcf800000, v3, |v2|
	v_ashrrev_i32_e32 v2, 31, v2
	v_cvt_u32_f32_e32 v5, v3
	v_cvt_u32_f32_e32 v4, v4
	s_delay_alu instid0(VALU_DEP_2) | instskip(NEXT) | instid1(VALU_DEP_2)
	v_dual_mov_b32 v3, v2 :: v_dual_bitop2_b32 v5, v5, v2 bitop3:0x14
	v_xor_b32_e32 v4, v4, v2
	s_delay_alu instid0(VALU_DEP_1)
	v_sub_nc_u64_e32 v[2:3], v[4:5], v[2:3]
.LBB110_296:
	s_mov_b32 s22, 0
.LBB110_297:
	s_delay_alu instid0(SALU_CYCLE_1)
	s_and_not1_b32 vcc_lo, exec_lo, s22
	s_cbranch_vccnz .LBB110_299
; %bb.298:
	s_wait_loadcnt 0x0
	global_load_u8 v2, v[0:1], off
	s_wait_loadcnt 0x0
	v_lshlrev_b32_e32 v3, 25, v2
	v_lshlrev_b16 v2, 8, v2
	s_delay_alu instid0(VALU_DEP_1) | instskip(SKIP_1) | instid1(VALU_DEP_2)
	v_and_or_b32 v5, 0x7f00, v2, 0.5
	v_bfe_i32 v2, v2, 0, 16
	v_dual_add_f32 v5, -0.5, v5 :: v_dual_lshrrev_b32 v4, 4, v3
	v_cmp_gt_u32_e32 vcc_lo, 0x8000000, v3
	s_delay_alu instid0(VALU_DEP_2) | instskip(NEXT) | instid1(VALU_DEP_1)
	v_or_b32_e32 v4, 0x70000000, v4
	v_mul_f32_e32 v4, 0x7800000, v4
	s_delay_alu instid0(VALU_DEP_1) | instskip(NEXT) | instid1(VALU_DEP_1)
	v_cndmask_b32_e32 v3, v4, v5, vcc_lo
	v_and_or_b32 v2, 0x80000000, v2, v3
	s_delay_alu instid0(VALU_DEP_1) | instskip(NEXT) | instid1(VALU_DEP_1)
	v_trunc_f32_e32 v2, v2
	v_mul_f32_e64 v3, 0x2f800000, |v2|
	s_delay_alu instid0(VALU_DEP_1) | instskip(NEXT) | instid1(VALU_DEP_1)
	v_floor_f32_e32 v3, v3
	v_fma_f32 v4, 0xcf800000, v3, |v2|
	v_ashrrev_i32_e32 v2, 31, v2
	v_cvt_u32_f32_e32 v5, v3
	s_delay_alu instid0(VALU_DEP_3) | instskip(NEXT) | instid1(VALU_DEP_2)
	v_cvt_u32_f32_e32 v4, v4
	v_dual_mov_b32 v3, v2 :: v_dual_bitop2_b32 v5, v5, v2 bitop3:0x14
	s_delay_alu instid0(VALU_DEP_2) | instskip(NEXT) | instid1(VALU_DEP_1)
	v_xor_b32_e32 v4, v4, v2
	v_sub_nc_u64_e32 v[2:3], v[4:5], v[2:3]
.LBB110_299:
	s_mov_b32 s23, 0
	s_mov_b32 s22, -1
.LBB110_300:
	s_and_not1_b32 vcc_lo, exec_lo, s23
	s_cbranch_vccnz .LBB110_313
; %bb.301:
	s_cmp_gt_i32 s0, 14
	s_cbranch_scc0 .LBB110_304
; %bb.302:
	s_cmp_eq_u32 s0, 15
	s_cbranch_scc0 .LBB110_307
; %bb.303:
	s_wait_loadcnt 0x0
	global_load_u16 v2, v[0:1], off
	s_mov_b32 s22, -1
	s_mov_b32 s21, 0
	s_wait_loadcnt 0x0
	v_lshlrev_b32_e32 v2, 16, v2
	s_delay_alu instid0(VALU_DEP_1) | instskip(NEXT) | instid1(VALU_DEP_1)
	v_trunc_f32_e32 v2, v2
	v_mul_f32_e64 v3, 0x2f800000, |v2|
	s_delay_alu instid0(VALU_DEP_1) | instskip(NEXT) | instid1(VALU_DEP_1)
	v_floor_f32_e32 v3, v3
	v_fma_f32 v4, 0xcf800000, v3, |v2|
	v_ashrrev_i32_e32 v2, 31, v2
	v_cvt_u32_f32_e32 v5, v3
	s_delay_alu instid0(VALU_DEP_3) | instskip(NEXT) | instid1(VALU_DEP_2)
	v_cvt_u32_f32_e32 v4, v4
	v_dual_mov_b32 v3, v2 :: v_dual_bitop2_b32 v5, v5, v2 bitop3:0x14
	s_delay_alu instid0(VALU_DEP_2) | instskip(NEXT) | instid1(VALU_DEP_1)
	v_xor_b32_e32 v4, v4, v2
	v_sub_nc_u64_e32 v[2:3], v[4:5], v[2:3]
	s_branch .LBB110_308
.LBB110_304:
	s_mov_b32 s23, -1
                                        ; implicit-def: $vgpr2_vgpr3
	s_branch .LBB110_309
.LBB110_305:
	s_and_not1_saveexec_b32 s22, s22
	s_cbranch_execz .LBB110_286
.LBB110_306:
	v_cmp_ne_u16_e32 vcc_lo, 0, v4
	s_and_not1_b32 s23, s23, exec_lo
	s_and_b32 s25, vcc_lo, exec_lo
	s_delay_alu instid0(SALU_CYCLE_1)
	s_or_b32 s23, s23, s25
	s_or_b32 exec_lo, exec_lo, s22
	v_mov_b64_e32 v[2:3], 0
	s_and_saveexec_b32 s22, s23
	s_cbranch_execnz .LBB110_287
	s_branch .LBB110_288
.LBB110_307:
	s_mov_b32 s21, -1
                                        ; implicit-def: $vgpr2_vgpr3
.LBB110_308:
	s_mov_b32 s23, 0
.LBB110_309:
	s_delay_alu instid0(SALU_CYCLE_1)
	s_and_b32 vcc_lo, exec_lo, s23
	s_cbranch_vccz .LBB110_313
; %bb.310:
	s_cmp_eq_u32 s0, 11
	s_cbranch_scc0 .LBB110_312
; %bb.311:
	s_wait_loadcnt 0x0
	global_load_u8 v2, v[0:1], off
	s_mov_b32 s21, 0
	s_mov_b32 s22, -1
	v_mov_b32_e32 v3, s21
	s_wait_loadcnt 0x0
	v_cmp_ne_u16_e32 vcc_lo, 0, v2
	v_cndmask_b32_e64 v2, 0, 1, vcc_lo
	s_branch .LBB110_313
.LBB110_312:
	s_mov_b32 s21, -1
                                        ; implicit-def: $vgpr2_vgpr3
.LBB110_313:
	s_branch .LBB110_234
.LBB110_314:
	s_cmp_lt_i32 s0, 5
	s_cbranch_scc1 .LBB110_319
; %bb.315:
	s_cmp_lt_i32 s0, 8
	s_cbranch_scc1 .LBB110_320
; %bb.316:
	s_cmp_lt_i32 s0, 9
	s_cbranch_scc1 .LBB110_321
; %bb.317:
	s_cmp_gt_i32 s0, 9
	s_cbranch_scc0 .LBB110_322
; %bb.318:
	s_wait_loadcnt 0x0
	global_load_b64 v[2:3], v[0:1], off
	s_mov_b32 s22, 0
	s_wait_loadcnt 0x0
	v_trunc_f64_e32 v[2:3], v[2:3]
	s_delay_alu instid0(VALU_DEP_1) | instskip(NEXT) | instid1(VALU_DEP_1)
	v_ldexp_f64 v[4:5], v[2:3], 0xffffffe0
	v_floor_f64_e32 v[4:5], v[4:5]
	s_delay_alu instid0(VALU_DEP_1) | instskip(SKIP_1) | instid1(VALU_DEP_2)
	v_fmamk_f64 v[8:9], v[4:5], 0xc1f00000, v[2:3]
	v_cvt_i32_f64_e32 v3, v[4:5]
	v_cvt_u32_f64_e32 v2, v[8:9]
	s_branch .LBB110_323
.LBB110_319:
	s_mov_b32 s22, -1
                                        ; implicit-def: $vgpr2_vgpr3
	s_branch .LBB110_341
.LBB110_320:
	s_mov_b32 s22, -1
                                        ; implicit-def: $vgpr2_vgpr3
	s_branch .LBB110_329
.LBB110_321:
	s_mov_b32 s22, -1
                                        ; implicit-def: $vgpr2_vgpr3
	s_branch .LBB110_326
.LBB110_322:
	s_mov_b32 s22, -1
                                        ; implicit-def: $vgpr2_vgpr3
.LBB110_323:
	s_delay_alu instid0(SALU_CYCLE_1)
	s_and_not1_b32 vcc_lo, exec_lo, s22
	s_cbranch_vccnz .LBB110_325
; %bb.324:
	s_wait_loadcnt 0x0
	global_load_b32 v2, v[0:1], off
	s_wait_loadcnt 0x0
	v_trunc_f32_e32 v2, v2
	s_delay_alu instid0(VALU_DEP_1) | instskip(NEXT) | instid1(VALU_DEP_1)
	v_mul_f32_e64 v3, 0x2f800000, |v2|
	v_floor_f32_e32 v3, v3
	s_delay_alu instid0(VALU_DEP_1) | instskip(SKIP_2) | instid1(VALU_DEP_3)
	v_fma_f32 v4, 0xcf800000, v3, |v2|
	v_ashrrev_i32_e32 v2, 31, v2
	v_cvt_u32_f32_e32 v5, v3
	v_cvt_u32_f32_e32 v4, v4
	s_delay_alu instid0(VALU_DEP_2) | instskip(NEXT) | instid1(VALU_DEP_2)
	v_dual_mov_b32 v3, v2 :: v_dual_bitop2_b32 v5, v5, v2 bitop3:0x14
	v_xor_b32_e32 v4, v4, v2
	s_delay_alu instid0(VALU_DEP_1)
	v_sub_nc_u64_e32 v[2:3], v[4:5], v[2:3]
.LBB110_325:
	s_mov_b32 s22, 0
.LBB110_326:
	s_delay_alu instid0(SALU_CYCLE_1)
	s_and_not1_b32 vcc_lo, exec_lo, s22
	s_cbranch_vccnz .LBB110_328
; %bb.327:
	s_wait_loadcnt 0x0
	global_load_b32 v2, v[0:1], off
	s_wait_loadcnt 0x0
	v_cvt_f32_f16_e32 v2, v2
	s_delay_alu instid0(VALU_DEP_1) | instskip(NEXT) | instid1(VALU_DEP_1)
	v_cvt_i32_f32_e32 v2, v2
	v_ashrrev_i32_e32 v3, 31, v2
.LBB110_328:
	s_mov_b32 s22, 0
.LBB110_329:
	s_delay_alu instid0(SALU_CYCLE_1)
	s_and_not1_b32 vcc_lo, exec_lo, s22
	s_cbranch_vccnz .LBB110_340
; %bb.330:
	s_cmp_lt_i32 s0, 6
	s_cbranch_scc1 .LBB110_333
; %bb.331:
	s_cmp_gt_i32 s0, 6
	s_cbranch_scc0 .LBB110_334
; %bb.332:
	s_wait_loadcnt 0x0
	global_load_b64 v[2:3], v[0:1], off
	s_mov_b32 s22, 0
	s_wait_loadcnt 0x0
	v_trunc_f64_e32 v[2:3], v[2:3]
	s_delay_alu instid0(VALU_DEP_1) | instskip(NEXT) | instid1(VALU_DEP_1)
	v_ldexp_f64 v[4:5], v[2:3], 0xffffffe0
	v_floor_f64_e32 v[4:5], v[4:5]
	s_delay_alu instid0(VALU_DEP_1) | instskip(SKIP_1) | instid1(VALU_DEP_2)
	v_fmamk_f64 v[8:9], v[4:5], 0xc1f00000, v[2:3]
	v_cvt_i32_f64_e32 v3, v[4:5]
	v_cvt_u32_f64_e32 v2, v[8:9]
	s_branch .LBB110_335
.LBB110_333:
	s_mov_b32 s22, -1
                                        ; implicit-def: $vgpr2_vgpr3
	s_branch .LBB110_338
.LBB110_334:
	s_mov_b32 s22, -1
                                        ; implicit-def: $vgpr2_vgpr3
.LBB110_335:
	s_delay_alu instid0(SALU_CYCLE_1)
	s_and_not1_b32 vcc_lo, exec_lo, s22
	s_cbranch_vccnz .LBB110_337
; %bb.336:
	s_wait_loadcnt 0x0
	global_load_b32 v2, v[0:1], off
	s_wait_loadcnt 0x0
	v_trunc_f32_e32 v2, v2
	s_delay_alu instid0(VALU_DEP_1) | instskip(NEXT) | instid1(VALU_DEP_1)
	v_mul_f32_e64 v3, 0x2f800000, |v2|
	v_floor_f32_e32 v3, v3
	s_delay_alu instid0(VALU_DEP_1) | instskip(SKIP_2) | instid1(VALU_DEP_3)
	v_fma_f32 v4, 0xcf800000, v3, |v2|
	v_ashrrev_i32_e32 v2, 31, v2
	v_cvt_u32_f32_e32 v5, v3
	v_cvt_u32_f32_e32 v4, v4
	s_delay_alu instid0(VALU_DEP_2) | instskip(NEXT) | instid1(VALU_DEP_2)
	v_dual_mov_b32 v3, v2 :: v_dual_bitop2_b32 v5, v5, v2 bitop3:0x14
	v_xor_b32_e32 v4, v4, v2
	s_delay_alu instid0(VALU_DEP_1)
	v_sub_nc_u64_e32 v[2:3], v[4:5], v[2:3]
.LBB110_337:
	s_mov_b32 s22, 0
.LBB110_338:
	s_delay_alu instid0(SALU_CYCLE_1)
	s_and_not1_b32 vcc_lo, exec_lo, s22
	s_cbranch_vccnz .LBB110_340
; %bb.339:
	s_wait_loadcnt 0x0
	global_load_u16 v2, v[0:1], off
	s_wait_loadcnt 0x0
	v_cvt_f32_f16_e32 v2, v2
	s_delay_alu instid0(VALU_DEP_1) | instskip(NEXT) | instid1(VALU_DEP_1)
	v_cvt_i32_f32_e32 v2, v2
	v_ashrrev_i32_e32 v3, 31, v2
.LBB110_340:
	s_mov_b32 s22, 0
.LBB110_341:
	s_delay_alu instid0(SALU_CYCLE_1)
	s_and_not1_b32 vcc_lo, exec_lo, s22
	s_cbranch_vccnz .LBB110_361
; %bb.342:
	s_cmp_lt_i32 s0, 2
	s_cbranch_scc1 .LBB110_346
; %bb.343:
	s_cmp_lt_i32 s0, 3
	s_cbranch_scc1 .LBB110_347
; %bb.344:
	s_cmp_gt_i32 s0, 3
	s_cbranch_scc0 .LBB110_348
; %bb.345:
	s_wait_loadcnt 0x0
	global_load_b64 v[2:3], v[0:1], off
	s_mov_b32 s22, 0
	s_branch .LBB110_349
.LBB110_346:
	s_mov_b32 s22, -1
                                        ; implicit-def: $vgpr2_vgpr3
	s_branch .LBB110_355
.LBB110_347:
	s_mov_b32 s22, -1
                                        ; implicit-def: $vgpr2_vgpr3
	s_branch .LBB110_352
.LBB110_348:
	s_mov_b32 s22, -1
                                        ; implicit-def: $vgpr2_vgpr3
.LBB110_349:
	s_delay_alu instid0(SALU_CYCLE_1)
	s_and_not1_b32 vcc_lo, exec_lo, s22
	s_cbranch_vccnz .LBB110_351
; %bb.350:
	s_wait_loadcnt 0x0
	global_load_b32 v2, v[0:1], off
	s_wait_loadcnt 0x0
	v_ashrrev_i32_e32 v3, 31, v2
.LBB110_351:
	s_mov_b32 s22, 0
.LBB110_352:
	s_delay_alu instid0(SALU_CYCLE_1)
	s_and_not1_b32 vcc_lo, exec_lo, s22
	s_cbranch_vccnz .LBB110_354
; %bb.353:
	s_wait_loadcnt 0x0
	global_load_u16 v2, v[0:1], off
	s_wait_loadcnt 0x0
	v_bfe_i32 v2, v2, 0, 16
	s_delay_alu instid0(VALU_DEP_1)
	v_ashrrev_i32_e32 v3, 31, v2
.LBB110_354:
	s_mov_b32 s22, 0
.LBB110_355:
	s_delay_alu instid0(SALU_CYCLE_1)
	s_and_not1_b32 vcc_lo, exec_lo, s22
	s_cbranch_vccnz .LBB110_361
; %bb.356:
	s_cmp_gt_i32 s0, 0
	s_mov_b32 s0, 0
	s_cbranch_scc0 .LBB110_358
; %bb.357:
	s_wait_loadcnt 0x0
	global_load_i8 v2, v[0:1], off
	s_wait_loadcnt 0x0
	v_bfe_i32 v2, v2, 0, 16
	s_delay_alu instid0(VALU_DEP_1)
	v_ashrrev_i32_e32 v3, 31, v2
	s_branch .LBB110_359
.LBB110_358:
	s_mov_b32 s0, -1
                                        ; implicit-def: $vgpr2_vgpr3
.LBB110_359:
	s_delay_alu instid0(SALU_CYCLE_1)
	s_and_not1_b32 vcc_lo, exec_lo, s0
	s_cbranch_vccnz .LBB110_361
; %bb.360:
	global_load_u8 v0, v[0:1], off
	s_mov_b32 s0, 0
	s_wait_loadcnt 0x1
	v_mov_b32_e32 v3, s0
	s_wait_loadcnt 0x0
	v_and_b32_e32 v2, 0xffff, v0
.LBB110_361:
	s_branch .LBB110_235
.LBB110_362:
	s_mov_b32 s25, 0
	s_mov_b32 s22, s17
	;; [unrolled: 1-line block ×3, first 2 shown]
                                        ; implicit-def: $vgpr6
	s_branch .LBB110_447
.LBB110_363:
	s_mov_b32 s27, -1
	s_mov_b32 s26, 0
	s_mov_b32 s22, s17
.LBB110_364:
	s_and_b32 vcc_lo, exec_lo, s27
	s_cbranch_vccz .LBB110_367
; %bb.365:
	s_cmp_eq_u32 s25, 44
	s_mov_b32 s22, -1
	s_cbranch_scc0 .LBB110_367
; %bb.366:
	s_wait_xcnt 0x0
	v_mov_b32_e32 v2, 0
	s_mov_b32 s26, -1
	s_mov_b32 s22, 0
	global_store_b8 v[0:1], v2, off
.LBB110_367:
	s_mov_b32 s27, 0
.LBB110_368:
	s_delay_alu instid0(SALU_CYCLE_1)
	s_and_b32 vcc_lo, exec_lo, s27
	s_cbranch_vccz .LBB110_371
; %bb.369:
	s_cmp_eq_u32 s25, 29
	s_mov_b32 s22, -1
	s_cbranch_scc0 .LBB110_371
; %bb.370:
	s_wait_xcnt 0x0
	v_mov_b64_e32 v[2:3], 0
	s_mov_b32 s26, -1
	s_mov_b32 s22, 0
	s_mov_b32 s27, 0
	global_store_b64 v[0:1], v[2:3], off
	s_branch .LBB110_372
.LBB110_371:
	s_mov_b32 s27, 0
.LBB110_372:
	s_delay_alu instid0(SALU_CYCLE_1)
	s_and_b32 vcc_lo, exec_lo, s27
	s_cbranch_vccz .LBB110_382
; %bb.373:
	s_cmp_lt_i32 s25, 27
	s_mov_b32 s26, -1
	s_cbranch_scc1 .LBB110_379
; %bb.374:
	s_cmp_gt_i32 s25, 27
	s_cbranch_scc0 .LBB110_376
; %bb.375:
	s_wait_xcnt 0x0
	v_mov_b32_e32 v2, 0
	s_mov_b32 s26, 0
	global_store_b32 v[0:1], v2, off
.LBB110_376:
	s_and_not1_b32 vcc_lo, exec_lo, s26
	s_cbranch_vccnz .LBB110_378
; %bb.377:
	s_wait_xcnt 0x0
	v_mov_b32_e32 v2, 0
	global_store_b16 v[0:1], v2, off
.LBB110_378:
	s_mov_b32 s26, 0
.LBB110_379:
	s_delay_alu instid0(SALU_CYCLE_1)
	s_and_not1_b32 vcc_lo, exec_lo, s26
	s_cbranch_vccnz .LBB110_381
; %bb.380:
	s_wait_xcnt 0x0
	v_mov_b32_e32 v2, 0
	global_store_b8 v[0:1], v2, off
.LBB110_381:
	s_mov_b32 s26, -1
.LBB110_382:
	s_mov_b32 s27, 0
.LBB110_383:
	s_delay_alu instid0(SALU_CYCLE_1)
	s_and_b32 vcc_lo, exec_lo, s27
	s_cbranch_vccz .LBB110_402
; %bb.384:
	s_cmp_gt_i32 s25, 22
	s_mov_b32 s27, -1
	s_cbranch_scc0 .LBB110_394
; %bb.385:
	s_cmp_lt_i32 s25, 24
	s_mov_b32 s26, -1
	s_cbranch_scc1 .LBB110_391
; %bb.386:
	s_cmp_gt_i32 s25, 24
	s_cbranch_scc0 .LBB110_388
; %bb.387:
	s_wait_xcnt 0x0
	v_mov_b32_e32 v2, 0
	s_mov_b32 s26, 0
	global_store_b8 v[0:1], v2, off
.LBB110_388:
	s_and_not1_b32 vcc_lo, exec_lo, s26
	s_cbranch_vccnz .LBB110_390
; %bb.389:
	s_wait_xcnt 0x0
	v_mov_b32_e32 v2, 0
	global_store_b8 v[0:1], v2, off
.LBB110_390:
	s_mov_b32 s26, 0
.LBB110_391:
	s_delay_alu instid0(SALU_CYCLE_1)
	s_and_not1_b32 vcc_lo, exec_lo, s26
	s_cbranch_vccnz .LBB110_393
; %bb.392:
	s_wait_xcnt 0x0
	v_mov_b32_e32 v2, 0
	global_store_b8 v[0:1], v2, off
.LBB110_393:
	s_mov_b32 s27, 0
	s_mov_b32 s26, -1
.LBB110_394:
	s_and_not1_b32 vcc_lo, exec_lo, s27
	s_cbranch_vccnz .LBB110_402
; %bb.395:
	s_cmp_gt_i32 s25, 14
	s_mov_b32 s27, -1
	s_cbranch_scc0 .LBB110_399
; %bb.396:
	s_cmp_eq_u32 s25, 15
	s_mov_b32 s22, -1
	s_cbranch_scc0 .LBB110_398
; %bb.397:
	s_wait_xcnt 0x0
	v_mov_b32_e32 v2, 0
	s_mov_b32 s26, -1
	s_mov_b32 s22, 0
	global_store_b16 v[0:1], v2, off
.LBB110_398:
	s_mov_b32 s27, 0
.LBB110_399:
	s_delay_alu instid0(SALU_CYCLE_1)
	s_and_b32 vcc_lo, exec_lo, s27
	s_cbranch_vccz .LBB110_402
; %bb.400:
	s_cmp_eq_u32 s25, 11
	s_mov_b32 s22, -1
	s_cbranch_scc0 .LBB110_402
; %bb.401:
	s_wait_xcnt 0x0
	v_mov_b32_e32 v2, 0
	s_mov_b32 s26, -1
	s_mov_b32 s22, 0
	global_store_b8 v[0:1], v2, off
.LBB110_402:
	s_mov_b32 s25, 0
.LBB110_403:
	s_delay_alu instid0(SALU_CYCLE_1)
	s_and_b32 vcc_lo, exec_lo, s25
	s_cbranch_vccz .LBB110_442
; %bb.404:
	s_and_b32 s23, 0xffff, s23
	s_mov_b32 s25, -1
	s_cmp_lt_i32 s23, 5
	s_cbranch_scc1 .LBB110_425
; %bb.405:
	s_cmp_lt_i32 s23, 8
	s_cbranch_scc1 .LBB110_415
; %bb.406:
	;; [unrolled: 3-line block ×3, first 2 shown]
	s_cmp_gt_i32 s23, 9
	s_cbranch_scc0 .LBB110_409
; %bb.408:
	s_wait_xcnt 0x0
	v_mov_b32_e32 v2, 0
	s_mov_b32 s25, 0
	s_delay_alu instid0(VALU_DEP_1)
	v_dual_mov_b32 v3, v2 :: v_dual_mov_b32 v4, v2
	v_mov_b32_e32 v5, v2
	global_store_b128 v[0:1], v[2:5], off
.LBB110_409:
	s_and_not1_b32 vcc_lo, exec_lo, s25
	s_cbranch_vccnz .LBB110_411
; %bb.410:
	s_wait_xcnt 0x0
	v_mov_b64_e32 v[2:3], 0
	global_store_b64 v[0:1], v[2:3], off
.LBB110_411:
	s_mov_b32 s25, 0
.LBB110_412:
	s_delay_alu instid0(SALU_CYCLE_1)
	s_and_not1_b32 vcc_lo, exec_lo, s25
	s_cbranch_vccnz .LBB110_414
; %bb.413:
	s_wait_xcnt 0x0
	v_mov_b32_e32 v2, 0
	global_store_b32 v[0:1], v2, off
.LBB110_414:
	s_mov_b32 s25, 0
.LBB110_415:
	s_delay_alu instid0(SALU_CYCLE_1)
	s_and_not1_b32 vcc_lo, exec_lo, s25
	s_cbranch_vccnz .LBB110_424
; %bb.416:
	s_cmp_lt_i32 s23, 6
	s_mov_b32 s25, -1
	s_cbranch_scc1 .LBB110_422
; %bb.417:
	s_cmp_gt_i32 s23, 6
	s_cbranch_scc0 .LBB110_419
; %bb.418:
	s_wait_xcnt 0x0
	v_mov_b64_e32 v[2:3], 0
	s_mov_b32 s25, 0
	global_store_b64 v[0:1], v[2:3], off
.LBB110_419:
	s_and_not1_b32 vcc_lo, exec_lo, s25
	s_cbranch_vccnz .LBB110_421
; %bb.420:
	s_wait_xcnt 0x0
	v_mov_b32_e32 v2, 0
	global_store_b32 v[0:1], v2, off
.LBB110_421:
	s_mov_b32 s25, 0
.LBB110_422:
	s_delay_alu instid0(SALU_CYCLE_1)
	s_and_not1_b32 vcc_lo, exec_lo, s25
	s_cbranch_vccnz .LBB110_424
; %bb.423:
	s_wait_xcnt 0x0
	v_mov_b32_e32 v2, 0
	global_store_b16 v[0:1], v2, off
.LBB110_424:
	s_mov_b32 s25, 0
.LBB110_425:
	s_delay_alu instid0(SALU_CYCLE_1)
	s_and_not1_b32 vcc_lo, exec_lo, s25
	s_cbranch_vccnz .LBB110_441
; %bb.426:
	s_cmp_lt_i32 s23, 2
	s_mov_b32 s25, -1
	s_cbranch_scc1 .LBB110_436
; %bb.427:
	s_cmp_lt_i32 s23, 3
	s_cbranch_scc1 .LBB110_433
; %bb.428:
	s_cmp_gt_i32 s23, 3
	s_cbranch_scc0 .LBB110_430
; %bb.429:
	s_wait_xcnt 0x0
	v_mov_b64_e32 v[2:3], 0
	s_mov_b32 s25, 0
	global_store_b64 v[0:1], v[2:3], off
.LBB110_430:
	s_and_not1_b32 vcc_lo, exec_lo, s25
	s_cbranch_vccnz .LBB110_432
; %bb.431:
	s_wait_xcnt 0x0
	v_mov_b32_e32 v2, 0
	global_store_b32 v[0:1], v2, off
.LBB110_432:
	s_mov_b32 s25, 0
.LBB110_433:
	s_delay_alu instid0(SALU_CYCLE_1)
	s_and_not1_b32 vcc_lo, exec_lo, s25
	s_cbranch_vccnz .LBB110_435
; %bb.434:
	s_wait_xcnt 0x0
	v_mov_b32_e32 v2, 0
	global_store_b16 v[0:1], v2, off
.LBB110_435:
	s_mov_b32 s25, 0
.LBB110_436:
	s_delay_alu instid0(SALU_CYCLE_1)
	s_and_not1_b32 vcc_lo, exec_lo, s25
	s_cbranch_vccnz .LBB110_441
; %bb.437:
	s_cmp_gt_i32 s23, 0
	s_mov_b32 s23, -1
	s_cbranch_scc0 .LBB110_439
; %bb.438:
	s_wait_xcnt 0x0
	v_mov_b32_e32 v2, 0
	s_mov_b32 s23, 0
	global_store_b8 v[0:1], v2, off
.LBB110_439:
	s_and_not1_b32 vcc_lo, exec_lo, s23
	s_cbranch_vccnz .LBB110_441
; %bb.440:
	s_wait_xcnt 0x0
	v_mov_b32_e32 v2, 0
	global_store_b8 v[0:1], v2, off
.LBB110_441:
	s_mov_b32 s26, -1
.LBB110_442:
	s_delay_alu instid0(SALU_CYCLE_1)
	s_and_not1_b32 vcc_lo, exec_lo, s26
	s_cbranch_vccnz .LBB110_444
; %bb.443:
	v_add_nc_u32_e32 v6, 0x80, v6
	s_mov_b32 s25, -1
	s_branch .LBB110_445
.LBB110_444:
	s_mov_b32 s25, 0
                                        ; implicit-def: $vgpr6
.LBB110_445:
	s_and_not1_b32 s23, s17, exec_lo
	s_and_b32 s22, s22, exec_lo
	s_and_b32 s25, s25, exec_lo
	s_or_b32 s22, s23, s22
	s_xor_b32 s23, exec_lo, -1
.LBB110_446:
	s_wait_xcnt 0x0
	s_or_b32 exec_lo, exec_lo, s0
.LBB110_447:
	s_delay_alu instid0(SALU_CYCLE_1)
	s_and_not1_b32 s0, s17, exec_lo
	s_and_b32 s22, s22, exec_lo
	s_and_b32 s23, s23, exec_lo
	s_or_b32 s22, s0, s22
	s_and_not1_b32 s0, s18, exec_lo
	s_and_not1_b32 s26, s19, exec_lo
	s_and_b32 s21, s21, exec_lo
	s_or_b32 s23, s0, s23
	s_or_b32 s21, s26, s21
	s_or_not1_b32 s0, s25, exec_lo
.LBB110_448:
	s_wait_xcnt 0x0
	s_or_b32 exec_lo, exec_lo, s24
	s_mov_b32 s25, 0
	s_mov_b32 s26, 0
	;; [unrolled: 1-line block ×3, first 2 shown]
                                        ; implicit-def: $vgpr0_vgpr1
                                        ; implicit-def: $vgpr2_vgpr3
	s_and_saveexec_b32 s24, s0
	s_cbranch_execz .LBB110_751
; %bb.449:
	s_mov_b32 s31, -1
	s_mov_b32 s0, s21
	s_mov_b32 s26, s23
	;; [unrolled: 1-line block ×3, first 2 shown]
	s_mov_b32 s25, exec_lo
	v_cmpx_gt_i32_e64 s16, v6
	s_cbranch_execz .LBB110_673
; %bb.450:
	v_mul_lo_u32 v0, v6, s3
	s_and_b32 s0, 0xffff, s13
	s_delay_alu instid0(SALU_CYCLE_1) | instskip(NEXT) | instid1(VALU_DEP_1)
	s_cmp_lt_i32 s0, 11
	v_ashrrev_i32_e32 v1, 31, v0
	s_delay_alu instid0(VALU_DEP_1)
	v_add_nc_u64_e32 v[0:1], s[6:7], v[0:1]
	s_cbranch_scc1 .LBB110_457
; %bb.451:
	s_cmp_gt_i32 s0, 25
	s_cbranch_scc0 .LBB110_458
; %bb.452:
	s_cmp_gt_i32 s0, 28
	s_cbranch_scc0 .LBB110_459
	;; [unrolled: 3-line block ×4, first 2 shown]
; %bb.455:
	s_cmp_eq_u32 s0, 46
	s_mov_b32 s28, 0
	s_cbranch_scc0 .LBB110_462
; %bb.456:
	s_wait_loadcnt 0x0
	global_load_b32 v2, v[0:1], off
	s_mov_b32 s27, -1
	s_mov_b32 s26, 0
	s_wait_loadcnt 0x0
	v_lshlrev_b32_e32 v2, 16, v2
	s_delay_alu instid0(VALU_DEP_1) | instskip(NEXT) | instid1(VALU_DEP_1)
	v_trunc_f32_e32 v2, v2
	v_mul_f32_e64 v3, 0x2f800000, |v2|
	s_delay_alu instid0(VALU_DEP_1) | instskip(NEXT) | instid1(VALU_DEP_1)
	v_floor_f32_e32 v3, v3
	v_fma_f32 v4, 0xcf800000, v3, |v2|
	v_ashrrev_i32_e32 v2, 31, v2
	v_cvt_u32_f32_e32 v5, v3
	s_delay_alu instid0(VALU_DEP_3) | instskip(NEXT) | instid1(VALU_DEP_2)
	v_cvt_u32_f32_e32 v4, v4
	v_dual_mov_b32 v3, v2 :: v_dual_bitop2_b32 v5, v5, v2 bitop3:0x14
	s_delay_alu instid0(VALU_DEP_2) | instskip(NEXT) | instid1(VALU_DEP_1)
	v_xor_b32_e32 v4, v4, v2
	v_sub_nc_u64_e32 v[2:3], v[4:5], v[2:3]
	s_branch .LBB110_464
.LBB110_457:
	s_mov_b32 s28, -1
	s_mov_b32 s27, 0
	s_mov_b32 s26, s21
                                        ; implicit-def: $vgpr2_vgpr3
	s_branch .LBB110_525
.LBB110_458:
	s_mov_b32 s28, -1
	s_mov_b32 s27, 0
	s_mov_b32 s26, s21
                                        ; implicit-def: $vgpr2_vgpr3
	s_branch .LBB110_491
.LBB110_459:
	s_mov_b32 s28, -1
	s_mov_b32 s27, 0
	s_mov_b32 s26, s21
                                        ; implicit-def: $vgpr2_vgpr3
	s_branch .LBB110_474
.LBB110_460:
	s_mov_b32 s28, -1
	s_mov_b32 s27, 0
	s_mov_b32 s26, s21
                                        ; implicit-def: $vgpr2_vgpr3
	s_branch .LBB110_469
.LBB110_461:
	s_mov_b32 s28, -1
	s_mov_b32 s27, 0
	s_mov_b32 s26, s21
	s_branch .LBB110_463
.LBB110_462:
	s_mov_b32 s26, -1
	s_mov_b32 s27, 0
.LBB110_463:
                                        ; implicit-def: $vgpr2_vgpr3
.LBB110_464:
	s_and_b32 vcc_lo, exec_lo, s28
	s_cbranch_vccz .LBB110_468
; %bb.465:
	s_cmp_eq_u32 s0, 44
	s_cbranch_scc0 .LBB110_467
; %bb.466:
	global_load_u8 v7, v[0:1], off
	s_mov_b32 s26, 0
	s_mov_b32 s27, -1
	s_wait_loadcnt 0x0
	v_lshlrev_b32_e32 v2, 23, v7
	v_cmp_ne_u32_e32 vcc_lo, 0, v7
	s_delay_alu instid0(VALU_DEP_2) | instskip(NEXT) | instid1(VALU_DEP_1)
	v_trunc_f32_e32 v2, v2
	v_mul_f32_e64 v3, 0x2f800000, |v2|
	s_delay_alu instid0(VALU_DEP_1) | instskip(NEXT) | instid1(VALU_DEP_1)
	v_floor_f32_e32 v3, v3
	v_fma_f32 v4, 0xcf800000, v3, |v2|
	v_ashrrev_i32_e32 v2, 31, v2
	v_cvt_u32_f32_e32 v5, v3
	s_delay_alu instid0(VALU_DEP_3) | instskip(NEXT) | instid1(VALU_DEP_2)
	v_cvt_u32_f32_e32 v4, v4
	v_dual_mov_b32 v3, v2 :: v_dual_bitop2_b32 v5, v5, v2 bitop3:0x14
	s_delay_alu instid0(VALU_DEP_2) | instskip(NEXT) | instid1(VALU_DEP_1)
	v_xor_b32_e32 v4, v4, v2
	v_sub_nc_u64_e32 v[2:3], v[4:5], v[2:3]
	s_delay_alu instid0(VALU_DEP_1)
	v_dual_cndmask_b32 v3, 0, v3 :: v_dual_cndmask_b32 v2, 0, v2
	s_branch .LBB110_468
.LBB110_467:
	s_mov_b32 s26, -1
                                        ; implicit-def: $vgpr2_vgpr3
.LBB110_468:
	s_mov_b32 s28, 0
.LBB110_469:
	s_delay_alu instid0(SALU_CYCLE_1)
	s_and_b32 vcc_lo, exec_lo, s28
	s_cbranch_vccz .LBB110_473
; %bb.470:
	s_cmp_eq_u32 s0, 29
	s_cbranch_scc0 .LBB110_472
; %bb.471:
	s_wait_loadcnt 0x0
	global_load_b64 v[2:3], v[0:1], off
	s_mov_b32 s27, -1
	s_mov_b32 s26, 0
	s_branch .LBB110_473
.LBB110_472:
	s_mov_b32 s26, -1
                                        ; implicit-def: $vgpr2_vgpr3
.LBB110_473:
	s_mov_b32 s28, 0
.LBB110_474:
	s_delay_alu instid0(SALU_CYCLE_1)
	s_and_b32 vcc_lo, exec_lo, s28
	s_cbranch_vccz .LBB110_490
; %bb.475:
	s_cmp_lt_i32 s0, 27
	s_cbranch_scc1 .LBB110_478
; %bb.476:
	s_cmp_gt_i32 s0, 27
	s_cbranch_scc0 .LBB110_479
; %bb.477:
	s_wait_loadcnt 0x0
	global_load_b32 v2, v[0:1], off
	v_mov_b32_e32 v3, 0
	s_mov_b32 s27, 0
	s_branch .LBB110_480
.LBB110_478:
	s_mov_b32 s27, -1
                                        ; implicit-def: $vgpr2_vgpr3
	s_branch .LBB110_483
.LBB110_479:
	s_mov_b32 s27, -1
                                        ; implicit-def: $vgpr2_vgpr3
.LBB110_480:
	s_delay_alu instid0(SALU_CYCLE_1)
	s_and_not1_b32 vcc_lo, exec_lo, s27
	s_cbranch_vccnz .LBB110_482
; %bb.481:
	s_wait_loadcnt 0x0
	global_load_u16 v2, v[0:1], off
	s_mov_b32 s27, 0
	s_delay_alu instid0(SALU_CYCLE_1)
	v_mov_b32_e32 v3, s27
	s_wait_loadcnt 0x0
	v_and_b32_e32 v2, 0xffff, v2
.LBB110_482:
	s_mov_b32 s27, 0
.LBB110_483:
	s_delay_alu instid0(SALU_CYCLE_1)
	s_and_not1_b32 vcc_lo, exec_lo, s27
	s_cbranch_vccnz .LBB110_489
; %bb.484:
	global_load_u8 v4, v[0:1], off
	s_mov_b32 s28, 0
	s_mov_b32 s27, exec_lo
	s_wait_loadcnt 0x0
	v_cmpx_lt_i16_e32 0x7f, v4
	s_xor_b32 s27, exec_lo, s27
	s_cbranch_execz .LBB110_501
; %bb.485:
	v_cmp_ne_u16_e32 vcc_lo, 0x80, v4
	s_and_b32 s28, vcc_lo, exec_lo
	s_and_not1_saveexec_b32 s27, s27
	s_cbranch_execnz .LBB110_502
.LBB110_486:
	s_or_b32 exec_lo, exec_lo, s27
	v_mov_b64_e32 v[2:3], 0
	s_and_saveexec_b32 s27, s28
	s_cbranch_execz .LBB110_488
.LBB110_487:
	v_and_b32_e32 v2, 0xffff, v4
	s_delay_alu instid0(VALU_DEP_1) | instskip(SKIP_1) | instid1(VALU_DEP_2)
	v_and_b32_e32 v3, 7, v2
	v_bfe_u32 v8, v2, 3, 4
	v_clz_i32_u32_e32 v5, v3
	s_delay_alu instid0(VALU_DEP_2) | instskip(NEXT) | instid1(VALU_DEP_2)
	v_cmp_eq_u32_e32 vcc_lo, 0, v8
	v_min_u32_e32 v5, 32, v5
	s_delay_alu instid0(VALU_DEP_1) | instskip(NEXT) | instid1(VALU_DEP_1)
	v_subrev_nc_u32_e32 v7, 28, v5
	v_dual_lshlrev_b32 v2, v7, v2 :: v_dual_sub_nc_u32 v5, 29, v5
	s_delay_alu instid0(VALU_DEP_1) | instskip(NEXT) | instid1(VALU_DEP_1)
	v_dual_lshlrev_b32 v4, 24, v4 :: v_dual_bitop2_b32 v2, 7, v2 bitop3:0x40
	v_dual_cndmask_b32 v5, v8, v5 :: v_dual_cndmask_b32 v2, v3, v2
	s_delay_alu instid0(VALU_DEP_2) | instskip(NEXT) | instid1(VALU_DEP_2)
	v_and_b32_e32 v3, 0x80000000, v4
	v_lshl_add_u32 v4, v5, 23, 0x3b800000
	s_delay_alu instid0(VALU_DEP_3) | instskip(NEXT) | instid1(VALU_DEP_1)
	v_lshlrev_b32_e32 v2, 20, v2
	v_or3_b32 v2, v3, v4, v2
	s_delay_alu instid0(VALU_DEP_1) | instskip(NEXT) | instid1(VALU_DEP_1)
	v_trunc_f32_e32 v2, v2
	v_mul_f32_e64 v3, 0x2f800000, |v2|
	s_delay_alu instid0(VALU_DEP_1) | instskip(NEXT) | instid1(VALU_DEP_1)
	v_floor_f32_e32 v3, v3
	v_fma_f32 v4, 0xcf800000, v3, |v2|
	v_ashrrev_i32_e32 v2, 31, v2
	v_cvt_u32_f32_e32 v5, v3
	s_delay_alu instid0(VALU_DEP_3) | instskip(NEXT) | instid1(VALU_DEP_2)
	v_cvt_u32_f32_e32 v4, v4
	v_dual_mov_b32 v3, v2 :: v_dual_bitop2_b32 v5, v5, v2 bitop3:0x14
	s_delay_alu instid0(VALU_DEP_2) | instskip(NEXT) | instid1(VALU_DEP_1)
	v_xor_b32_e32 v4, v4, v2
	v_sub_nc_u64_e32 v[2:3], v[4:5], v[2:3]
.LBB110_488:
	s_or_b32 exec_lo, exec_lo, s27
.LBB110_489:
	s_mov_b32 s27, -1
.LBB110_490:
	s_mov_b32 s28, 0
.LBB110_491:
	s_delay_alu instid0(SALU_CYCLE_1)
	s_and_b32 vcc_lo, exec_lo, s28
	s_cbranch_vccz .LBB110_524
; %bb.492:
	s_cmp_gt_i32 s0, 22
	s_cbranch_scc0 .LBB110_500
; %bb.493:
	s_cmp_lt_i32 s0, 24
	s_cbranch_scc1 .LBB110_503
; %bb.494:
	s_cmp_gt_i32 s0, 24
	s_cbranch_scc0 .LBB110_504
; %bb.495:
	global_load_u8 v4, v[0:1], off
	s_mov_b32 s28, 0
	s_mov_b32 s27, exec_lo
	s_wait_loadcnt 0x0
	v_cmpx_lt_i16_e32 0x7f, v4
	s_xor_b32 s27, exec_lo, s27
	s_cbranch_execz .LBB110_516
; %bb.496:
	v_cmp_ne_u16_e32 vcc_lo, 0x80, v4
	s_and_b32 s28, vcc_lo, exec_lo
	s_and_not1_saveexec_b32 s27, s27
	s_cbranch_execnz .LBB110_517
.LBB110_497:
	s_or_b32 exec_lo, exec_lo, s27
	v_mov_b64_e32 v[2:3], 0
	s_and_saveexec_b32 s27, s28
	s_cbranch_execz .LBB110_499
.LBB110_498:
	v_and_b32_e32 v2, 0xffff, v4
	s_delay_alu instid0(VALU_DEP_1) | instskip(SKIP_1) | instid1(VALU_DEP_2)
	v_and_b32_e32 v3, 3, v2
	v_bfe_u32 v8, v2, 2, 5
	v_clz_i32_u32_e32 v5, v3
	s_delay_alu instid0(VALU_DEP_2) | instskip(NEXT) | instid1(VALU_DEP_2)
	v_cmp_eq_u32_e32 vcc_lo, 0, v8
	v_min_u32_e32 v5, 32, v5
	s_delay_alu instid0(VALU_DEP_1) | instskip(NEXT) | instid1(VALU_DEP_1)
	v_subrev_nc_u32_e32 v7, 29, v5
	v_dual_lshlrev_b32 v2, v7, v2 :: v_dual_sub_nc_u32 v5, 30, v5
	s_delay_alu instid0(VALU_DEP_1) | instskip(NEXT) | instid1(VALU_DEP_1)
	v_dual_lshlrev_b32 v4, 24, v4 :: v_dual_bitop2_b32 v2, 3, v2 bitop3:0x40
	v_dual_cndmask_b32 v5, v8, v5 :: v_dual_cndmask_b32 v2, v3, v2
	s_delay_alu instid0(VALU_DEP_2) | instskip(NEXT) | instid1(VALU_DEP_2)
	v_and_b32_e32 v3, 0x80000000, v4
	v_lshl_add_u32 v4, v5, 23, 0x37800000
	s_delay_alu instid0(VALU_DEP_3) | instskip(NEXT) | instid1(VALU_DEP_1)
	v_lshlrev_b32_e32 v2, 21, v2
	v_or3_b32 v2, v3, v4, v2
	s_delay_alu instid0(VALU_DEP_1) | instskip(NEXT) | instid1(VALU_DEP_1)
	v_trunc_f32_e32 v2, v2
	v_mul_f32_e64 v3, 0x2f800000, |v2|
	s_delay_alu instid0(VALU_DEP_1) | instskip(NEXT) | instid1(VALU_DEP_1)
	v_floor_f32_e32 v3, v3
	v_fma_f32 v4, 0xcf800000, v3, |v2|
	v_ashrrev_i32_e32 v2, 31, v2
	v_cvt_u32_f32_e32 v5, v3
	s_delay_alu instid0(VALU_DEP_3) | instskip(NEXT) | instid1(VALU_DEP_2)
	v_cvt_u32_f32_e32 v4, v4
	v_dual_mov_b32 v3, v2 :: v_dual_bitop2_b32 v5, v5, v2 bitop3:0x14
	s_delay_alu instid0(VALU_DEP_2) | instskip(NEXT) | instid1(VALU_DEP_1)
	v_xor_b32_e32 v4, v4, v2
	v_sub_nc_u64_e32 v[2:3], v[4:5], v[2:3]
.LBB110_499:
	s_or_b32 exec_lo, exec_lo, s27
	s_mov_b32 s27, 0
	s_branch .LBB110_505
.LBB110_500:
	s_mov_b32 s28, -1
                                        ; implicit-def: $vgpr2_vgpr3
	s_branch .LBB110_511
.LBB110_501:
	s_and_not1_saveexec_b32 s27, s27
	s_cbranch_execz .LBB110_486
.LBB110_502:
	v_cmp_ne_u16_e32 vcc_lo, 0, v4
	s_and_not1_b32 s28, s28, exec_lo
	s_and_b32 s29, vcc_lo, exec_lo
	s_delay_alu instid0(SALU_CYCLE_1)
	s_or_b32 s28, s28, s29
	s_or_b32 exec_lo, exec_lo, s27
	v_mov_b64_e32 v[2:3], 0
	s_and_saveexec_b32 s27, s28
	s_cbranch_execnz .LBB110_487
	s_branch .LBB110_488
.LBB110_503:
	s_mov_b32 s27, -1
                                        ; implicit-def: $vgpr2_vgpr3
	s_branch .LBB110_508
.LBB110_504:
	s_mov_b32 s27, -1
                                        ; implicit-def: $vgpr2_vgpr3
.LBB110_505:
	s_delay_alu instid0(SALU_CYCLE_1)
	s_and_b32 vcc_lo, exec_lo, s27
	s_cbranch_vccz .LBB110_507
; %bb.506:
	s_wait_loadcnt 0x0
	global_load_u8 v2, v[0:1], off
	s_wait_loadcnt 0x0
	v_lshlrev_b32_e32 v2, 24, v2
	s_delay_alu instid0(VALU_DEP_1) | instskip(NEXT) | instid1(VALU_DEP_1)
	v_and_b32_e32 v3, 0x7f000000, v2
	v_clz_i32_u32_e32 v4, v3
	v_add_nc_u32_e32 v7, 0x1000000, v3
	v_cmp_ne_u32_e32 vcc_lo, 0, v3
	s_delay_alu instid0(VALU_DEP_3) | instskip(NEXT) | instid1(VALU_DEP_1)
	v_min_u32_e32 v4, 32, v4
	v_sub_nc_u32_e64 v4, v4, 4 clamp
	s_delay_alu instid0(VALU_DEP_1) | instskip(NEXT) | instid1(VALU_DEP_1)
	v_dual_lshlrev_b32 v5, v4, v3 :: v_dual_lshlrev_b32 v4, 23, v4
	v_lshrrev_b32_e32 v5, 4, v5
	s_delay_alu instid0(VALU_DEP_1) | instskip(NEXT) | instid1(VALU_DEP_1)
	v_dual_sub_nc_u32 v4, v5, v4 :: v_dual_ashrrev_i32 v5, 8, v7
	v_add_nc_u32_e32 v4, 0x3c000000, v4
	s_delay_alu instid0(VALU_DEP_1) | instskip(NEXT) | instid1(VALU_DEP_1)
	v_and_or_b32 v4, 0x7f800000, v5, v4
	v_cndmask_b32_e32 v3, 0, v4, vcc_lo
	s_delay_alu instid0(VALU_DEP_1) | instskip(NEXT) | instid1(VALU_DEP_1)
	v_and_or_b32 v2, 0x80000000, v2, v3
	v_trunc_f32_e32 v2, v2
	s_delay_alu instid0(VALU_DEP_1) | instskip(NEXT) | instid1(VALU_DEP_1)
	v_mul_f32_e64 v3, 0x2f800000, |v2|
	v_floor_f32_e32 v3, v3
	s_delay_alu instid0(VALU_DEP_1) | instskip(SKIP_2) | instid1(VALU_DEP_3)
	v_fma_f32 v4, 0xcf800000, v3, |v2|
	v_ashrrev_i32_e32 v2, 31, v2
	v_cvt_u32_f32_e32 v5, v3
	v_cvt_u32_f32_e32 v4, v4
	s_delay_alu instid0(VALU_DEP_2) | instskip(NEXT) | instid1(VALU_DEP_2)
	v_dual_mov_b32 v3, v2 :: v_dual_bitop2_b32 v5, v5, v2 bitop3:0x14
	v_xor_b32_e32 v4, v4, v2
	s_delay_alu instid0(VALU_DEP_1)
	v_sub_nc_u64_e32 v[2:3], v[4:5], v[2:3]
.LBB110_507:
	s_mov_b32 s27, 0
.LBB110_508:
	s_delay_alu instid0(SALU_CYCLE_1)
	s_and_not1_b32 vcc_lo, exec_lo, s27
	s_cbranch_vccnz .LBB110_510
; %bb.509:
	s_wait_loadcnt 0x0
	global_load_u8 v2, v[0:1], off
	s_wait_loadcnt 0x0
	v_lshlrev_b32_e32 v3, 25, v2
	v_lshlrev_b16 v2, 8, v2
	s_delay_alu instid0(VALU_DEP_1) | instskip(SKIP_1) | instid1(VALU_DEP_2)
	v_and_or_b32 v5, 0x7f00, v2, 0.5
	v_bfe_i32 v2, v2, 0, 16
	v_dual_add_f32 v5, -0.5, v5 :: v_dual_lshrrev_b32 v4, 4, v3
	v_cmp_gt_u32_e32 vcc_lo, 0x8000000, v3
	s_delay_alu instid0(VALU_DEP_2) | instskip(NEXT) | instid1(VALU_DEP_1)
	v_or_b32_e32 v4, 0x70000000, v4
	v_mul_f32_e32 v4, 0x7800000, v4
	s_delay_alu instid0(VALU_DEP_1) | instskip(NEXT) | instid1(VALU_DEP_1)
	v_cndmask_b32_e32 v3, v4, v5, vcc_lo
	v_and_or_b32 v2, 0x80000000, v2, v3
	s_delay_alu instid0(VALU_DEP_1) | instskip(NEXT) | instid1(VALU_DEP_1)
	v_trunc_f32_e32 v2, v2
	v_mul_f32_e64 v3, 0x2f800000, |v2|
	s_delay_alu instid0(VALU_DEP_1) | instskip(NEXT) | instid1(VALU_DEP_1)
	v_floor_f32_e32 v3, v3
	v_fma_f32 v4, 0xcf800000, v3, |v2|
	v_ashrrev_i32_e32 v2, 31, v2
	v_cvt_u32_f32_e32 v5, v3
	s_delay_alu instid0(VALU_DEP_3) | instskip(NEXT) | instid1(VALU_DEP_2)
	v_cvt_u32_f32_e32 v4, v4
	v_dual_mov_b32 v3, v2 :: v_dual_bitop2_b32 v5, v5, v2 bitop3:0x14
	s_delay_alu instid0(VALU_DEP_2) | instskip(NEXT) | instid1(VALU_DEP_1)
	v_xor_b32_e32 v4, v4, v2
	v_sub_nc_u64_e32 v[2:3], v[4:5], v[2:3]
.LBB110_510:
	s_mov_b32 s28, 0
	s_mov_b32 s27, -1
.LBB110_511:
	s_and_not1_b32 vcc_lo, exec_lo, s28
	s_cbranch_vccnz .LBB110_524
; %bb.512:
	s_cmp_gt_i32 s0, 14
	s_cbranch_scc0 .LBB110_515
; %bb.513:
	s_cmp_eq_u32 s0, 15
	s_cbranch_scc0 .LBB110_518
; %bb.514:
	s_wait_loadcnt 0x0
	global_load_u16 v2, v[0:1], off
	s_mov_b32 s27, -1
	s_mov_b32 s26, 0
	s_wait_loadcnt 0x0
	v_lshlrev_b32_e32 v2, 16, v2
	s_delay_alu instid0(VALU_DEP_1) | instskip(NEXT) | instid1(VALU_DEP_1)
	v_trunc_f32_e32 v2, v2
	v_mul_f32_e64 v3, 0x2f800000, |v2|
	s_delay_alu instid0(VALU_DEP_1) | instskip(NEXT) | instid1(VALU_DEP_1)
	v_floor_f32_e32 v3, v3
	v_fma_f32 v4, 0xcf800000, v3, |v2|
	v_ashrrev_i32_e32 v2, 31, v2
	v_cvt_u32_f32_e32 v5, v3
	s_delay_alu instid0(VALU_DEP_3) | instskip(NEXT) | instid1(VALU_DEP_2)
	v_cvt_u32_f32_e32 v4, v4
	v_dual_mov_b32 v3, v2 :: v_dual_bitop2_b32 v5, v5, v2 bitop3:0x14
	s_delay_alu instid0(VALU_DEP_2) | instskip(NEXT) | instid1(VALU_DEP_1)
	v_xor_b32_e32 v4, v4, v2
	v_sub_nc_u64_e32 v[2:3], v[4:5], v[2:3]
	s_branch .LBB110_519
.LBB110_515:
	s_mov_b32 s28, -1
                                        ; implicit-def: $vgpr2_vgpr3
	s_branch .LBB110_520
.LBB110_516:
	s_and_not1_saveexec_b32 s27, s27
	s_cbranch_execz .LBB110_497
.LBB110_517:
	v_cmp_ne_u16_e32 vcc_lo, 0, v4
	s_and_not1_b32 s28, s28, exec_lo
	s_and_b32 s29, vcc_lo, exec_lo
	s_delay_alu instid0(SALU_CYCLE_1)
	s_or_b32 s28, s28, s29
	s_or_b32 exec_lo, exec_lo, s27
	v_mov_b64_e32 v[2:3], 0
	s_and_saveexec_b32 s27, s28
	s_cbranch_execnz .LBB110_498
	s_branch .LBB110_499
.LBB110_518:
	s_mov_b32 s26, -1
                                        ; implicit-def: $vgpr2_vgpr3
.LBB110_519:
	s_mov_b32 s28, 0
.LBB110_520:
	s_delay_alu instid0(SALU_CYCLE_1)
	s_and_b32 vcc_lo, exec_lo, s28
	s_cbranch_vccz .LBB110_524
; %bb.521:
	s_cmp_eq_u32 s0, 11
	s_cbranch_scc0 .LBB110_523
; %bb.522:
	s_wait_loadcnt 0x0
	global_load_u8 v2, v[0:1], off
	s_mov_b32 s26, 0
	s_mov_b32 s27, -1
	v_mov_b32_e32 v3, s26
	s_wait_loadcnt 0x0
	v_cmp_ne_u16_e32 vcc_lo, 0, v2
	v_cndmask_b32_e64 v2, 0, 1, vcc_lo
	s_branch .LBB110_524
.LBB110_523:
	s_mov_b32 s26, -1
                                        ; implicit-def: $vgpr2_vgpr3
.LBB110_524:
	s_mov_b32 s28, 0
.LBB110_525:
	s_delay_alu instid0(SALU_CYCLE_1)
	s_and_b32 vcc_lo, exec_lo, s28
	s_cbranch_vccz .LBB110_574
; %bb.526:
	s_cmp_lt_i32 s0, 5
	s_cbranch_scc1 .LBB110_531
; %bb.527:
	s_cmp_lt_i32 s0, 8
	s_cbranch_scc1 .LBB110_532
	;; [unrolled: 3-line block ×3, first 2 shown]
; %bb.529:
	s_cmp_gt_i32 s0, 9
	s_cbranch_scc0 .LBB110_534
; %bb.530:
	s_wait_loadcnt 0x0
	global_load_b64 v[2:3], v[0:1], off
	s_mov_b32 s27, 0
	s_wait_loadcnt 0x0
	v_trunc_f64_e32 v[2:3], v[2:3]
	s_delay_alu instid0(VALU_DEP_1) | instskip(NEXT) | instid1(VALU_DEP_1)
	v_ldexp_f64 v[4:5], v[2:3], 0xffffffe0
	v_floor_f64_e32 v[4:5], v[4:5]
	s_delay_alu instid0(VALU_DEP_1) | instskip(SKIP_1) | instid1(VALU_DEP_2)
	v_fmamk_f64 v[8:9], v[4:5], 0xc1f00000, v[2:3]
	v_cvt_i32_f64_e32 v3, v[4:5]
	v_cvt_u32_f64_e32 v2, v[8:9]
	s_branch .LBB110_535
.LBB110_531:
	s_mov_b32 s27, -1
                                        ; implicit-def: $vgpr2_vgpr3
	s_branch .LBB110_553
.LBB110_532:
	s_mov_b32 s27, -1
                                        ; implicit-def: $vgpr2_vgpr3
	s_branch .LBB110_541
.LBB110_533:
	s_mov_b32 s27, -1
                                        ; implicit-def: $vgpr2_vgpr3
	s_branch .LBB110_538
.LBB110_534:
	s_mov_b32 s27, -1
                                        ; implicit-def: $vgpr2_vgpr3
.LBB110_535:
	s_delay_alu instid0(SALU_CYCLE_1)
	s_and_not1_b32 vcc_lo, exec_lo, s27
	s_cbranch_vccnz .LBB110_537
; %bb.536:
	s_wait_loadcnt 0x0
	global_load_b32 v2, v[0:1], off
	s_wait_loadcnt 0x0
	v_trunc_f32_e32 v2, v2
	s_delay_alu instid0(VALU_DEP_1) | instskip(NEXT) | instid1(VALU_DEP_1)
	v_mul_f32_e64 v3, 0x2f800000, |v2|
	v_floor_f32_e32 v3, v3
	s_delay_alu instid0(VALU_DEP_1) | instskip(SKIP_2) | instid1(VALU_DEP_3)
	v_fma_f32 v4, 0xcf800000, v3, |v2|
	v_ashrrev_i32_e32 v2, 31, v2
	v_cvt_u32_f32_e32 v5, v3
	v_cvt_u32_f32_e32 v4, v4
	s_delay_alu instid0(VALU_DEP_2) | instskip(NEXT) | instid1(VALU_DEP_2)
	v_dual_mov_b32 v3, v2 :: v_dual_bitop2_b32 v5, v5, v2 bitop3:0x14
	v_xor_b32_e32 v4, v4, v2
	s_delay_alu instid0(VALU_DEP_1)
	v_sub_nc_u64_e32 v[2:3], v[4:5], v[2:3]
.LBB110_537:
	s_mov_b32 s27, 0
.LBB110_538:
	s_delay_alu instid0(SALU_CYCLE_1)
	s_and_not1_b32 vcc_lo, exec_lo, s27
	s_cbranch_vccnz .LBB110_540
; %bb.539:
	s_wait_loadcnt 0x0
	global_load_b32 v2, v[0:1], off
	s_wait_loadcnt 0x0
	v_cvt_f32_f16_e32 v2, v2
	s_delay_alu instid0(VALU_DEP_1) | instskip(NEXT) | instid1(VALU_DEP_1)
	v_cvt_i32_f32_e32 v2, v2
	v_ashrrev_i32_e32 v3, 31, v2
.LBB110_540:
	s_mov_b32 s27, 0
.LBB110_541:
	s_delay_alu instid0(SALU_CYCLE_1)
	s_and_not1_b32 vcc_lo, exec_lo, s27
	s_cbranch_vccnz .LBB110_552
; %bb.542:
	s_cmp_lt_i32 s0, 6
	s_cbranch_scc1 .LBB110_545
; %bb.543:
	s_cmp_gt_i32 s0, 6
	s_cbranch_scc0 .LBB110_546
; %bb.544:
	s_wait_loadcnt 0x0
	global_load_b64 v[2:3], v[0:1], off
	s_mov_b32 s27, 0
	s_wait_loadcnt 0x0
	v_trunc_f64_e32 v[2:3], v[2:3]
	s_delay_alu instid0(VALU_DEP_1) | instskip(NEXT) | instid1(VALU_DEP_1)
	v_ldexp_f64 v[4:5], v[2:3], 0xffffffe0
	v_floor_f64_e32 v[4:5], v[4:5]
	s_delay_alu instid0(VALU_DEP_1) | instskip(SKIP_1) | instid1(VALU_DEP_2)
	v_fmamk_f64 v[8:9], v[4:5], 0xc1f00000, v[2:3]
	v_cvt_i32_f64_e32 v3, v[4:5]
	v_cvt_u32_f64_e32 v2, v[8:9]
	s_branch .LBB110_547
.LBB110_545:
	s_mov_b32 s27, -1
                                        ; implicit-def: $vgpr2_vgpr3
	s_branch .LBB110_550
.LBB110_546:
	s_mov_b32 s27, -1
                                        ; implicit-def: $vgpr2_vgpr3
.LBB110_547:
	s_delay_alu instid0(SALU_CYCLE_1)
	s_and_not1_b32 vcc_lo, exec_lo, s27
	s_cbranch_vccnz .LBB110_549
; %bb.548:
	s_wait_loadcnt 0x0
	global_load_b32 v2, v[0:1], off
	s_wait_loadcnt 0x0
	v_trunc_f32_e32 v2, v2
	s_delay_alu instid0(VALU_DEP_1) | instskip(NEXT) | instid1(VALU_DEP_1)
	v_mul_f32_e64 v3, 0x2f800000, |v2|
	v_floor_f32_e32 v3, v3
	s_delay_alu instid0(VALU_DEP_1) | instskip(SKIP_2) | instid1(VALU_DEP_3)
	v_fma_f32 v4, 0xcf800000, v3, |v2|
	v_ashrrev_i32_e32 v2, 31, v2
	v_cvt_u32_f32_e32 v5, v3
	v_cvt_u32_f32_e32 v4, v4
	s_delay_alu instid0(VALU_DEP_2) | instskip(NEXT) | instid1(VALU_DEP_2)
	v_dual_mov_b32 v3, v2 :: v_dual_bitop2_b32 v5, v5, v2 bitop3:0x14
	v_xor_b32_e32 v4, v4, v2
	s_delay_alu instid0(VALU_DEP_1)
	v_sub_nc_u64_e32 v[2:3], v[4:5], v[2:3]
.LBB110_549:
	s_mov_b32 s27, 0
.LBB110_550:
	s_delay_alu instid0(SALU_CYCLE_1)
	s_and_not1_b32 vcc_lo, exec_lo, s27
	s_cbranch_vccnz .LBB110_552
; %bb.551:
	s_wait_loadcnt 0x0
	global_load_u16 v2, v[0:1], off
	s_wait_loadcnt 0x0
	v_cvt_f32_f16_e32 v2, v2
	s_delay_alu instid0(VALU_DEP_1) | instskip(NEXT) | instid1(VALU_DEP_1)
	v_cvt_i32_f32_e32 v2, v2
	v_ashrrev_i32_e32 v3, 31, v2
.LBB110_552:
	s_mov_b32 s27, 0
.LBB110_553:
	s_delay_alu instid0(SALU_CYCLE_1)
	s_and_not1_b32 vcc_lo, exec_lo, s27
	s_cbranch_vccnz .LBB110_573
; %bb.554:
	s_cmp_lt_i32 s0, 2
	s_cbranch_scc1 .LBB110_558
; %bb.555:
	s_cmp_lt_i32 s0, 3
	s_cbranch_scc1 .LBB110_559
; %bb.556:
	s_cmp_gt_i32 s0, 3
	s_cbranch_scc0 .LBB110_560
; %bb.557:
	s_wait_loadcnt 0x0
	global_load_b64 v[2:3], v[0:1], off
	s_mov_b32 s27, 0
	s_branch .LBB110_561
.LBB110_558:
	s_mov_b32 s27, -1
                                        ; implicit-def: $vgpr2_vgpr3
	s_branch .LBB110_567
.LBB110_559:
	s_mov_b32 s27, -1
                                        ; implicit-def: $vgpr2_vgpr3
	s_branch .LBB110_564
.LBB110_560:
	s_mov_b32 s27, -1
                                        ; implicit-def: $vgpr2_vgpr3
.LBB110_561:
	s_delay_alu instid0(SALU_CYCLE_1)
	s_and_not1_b32 vcc_lo, exec_lo, s27
	s_cbranch_vccnz .LBB110_563
; %bb.562:
	s_wait_loadcnt 0x0
	global_load_b32 v2, v[0:1], off
	s_wait_loadcnt 0x0
	v_ashrrev_i32_e32 v3, 31, v2
.LBB110_563:
	s_mov_b32 s27, 0
.LBB110_564:
	s_delay_alu instid0(SALU_CYCLE_1)
	s_and_not1_b32 vcc_lo, exec_lo, s27
	s_cbranch_vccnz .LBB110_566
; %bb.565:
	s_wait_loadcnt 0x0
	global_load_u16 v2, v[0:1], off
	s_wait_loadcnt 0x0
	v_bfe_i32 v2, v2, 0, 16
	s_delay_alu instid0(VALU_DEP_1)
	v_ashrrev_i32_e32 v3, 31, v2
.LBB110_566:
	s_mov_b32 s27, 0
.LBB110_567:
	s_delay_alu instid0(SALU_CYCLE_1)
	s_and_not1_b32 vcc_lo, exec_lo, s27
	s_cbranch_vccnz .LBB110_573
; %bb.568:
	s_cmp_gt_i32 s0, 0
	s_mov_b32 s0, 0
	s_cbranch_scc0 .LBB110_570
; %bb.569:
	s_wait_loadcnt 0x0
	global_load_i8 v2, v[0:1], off
	s_wait_loadcnt 0x0
	v_bfe_i32 v2, v2, 0, 16
	s_delay_alu instid0(VALU_DEP_1)
	v_ashrrev_i32_e32 v3, 31, v2
	s_branch .LBB110_571
.LBB110_570:
	s_mov_b32 s0, -1
                                        ; implicit-def: $vgpr2_vgpr3
.LBB110_571:
	s_delay_alu instid0(SALU_CYCLE_1)
	s_and_not1_b32 vcc_lo, exec_lo, s0
	s_cbranch_vccnz .LBB110_573
; %bb.572:
	global_load_u8 v0, v[0:1], off
	s_mov_b32 s0, 0
	s_wait_loadcnt 0x1
	v_mov_b32_e32 v3, s0
	s_wait_loadcnt 0x0
	v_and_b32_e32 v2, 0xffff, v0
.LBB110_573:
	s_mov_b32 s27, -1
.LBB110_574:
	s_delay_alu instid0(SALU_CYCLE_1)
	s_and_not1_b32 vcc_lo, exec_lo, s27
	s_cbranch_vccnz .LBB110_583
; %bb.575:
	s_wait_loadcnt 0x0
	s_delay_alu instid0(VALU_DEP_1)
	v_cmp_le_i64_e32 vcc_lo, s[8:9], v[2:3]
	v_cmp_gt_i64_e64 s0, s[10:11], v[2:3]
	s_mov_b32 s28, 0
	s_mov_b32 s29, -1
	s_mov_b32 s27, s22
	s_and_b32 s0, vcc_lo, s0
	s_delay_alu instid0(SALU_CYCLE_1)
	s_and_b32 s30, s15, s0
	s_wait_xcnt 0x0
	s_and_saveexec_b32 s0, s30
	s_cbranch_execz .LBB110_671
; %bb.576:
	v_mul_lo_u32 v0, v6, s2
	s_and_b32 s28, s12, 0xff
	s_delay_alu instid0(SALU_CYCLE_1) | instskip(NEXT) | instid1(VALU_DEP_1)
	s_cmp_lt_i32 s28, 11
	v_ashrrev_i32_e32 v1, 31, v0
	s_delay_alu instid0(VALU_DEP_1)
	v_add_nc_u64_e32 v[0:1], s[4:5], v[0:1]
	s_cbranch_scc1 .LBB110_584
; %bb.577:
	s_and_b32 s29, 0xffff, s28
	s_delay_alu instid0(SALU_CYCLE_1)
	s_cmp_gt_i32 s29, 25
	s_cbranch_scc0 .LBB110_585
; %bb.578:
	s_cmp_gt_i32 s29, 28
	s_cbranch_scc0 .LBB110_586
; %bb.579:
	;; [unrolled: 3-line block ×4, first 2 shown]
	s_mov_b32 s31, 0
	s_mov_b32 s27, -1
	s_cmp_eq_u32 s29, 46
	s_mov_b32 s30, 0
	s_cbranch_scc0 .LBB110_589
; %bb.582:
	v_mov_b32_e32 v2, 0
	s_mov_b32 s30, -1
	s_mov_b32 s27, 0
	global_store_b32 v[0:1], v2, off
	s_branch .LBB110_589
.LBB110_583:
	s_mov_b32 s28, 0
	s_mov_b32 s27, s22
	;; [unrolled: 1-line block ×3, first 2 shown]
                                        ; implicit-def: $vgpr6
	s_branch .LBB110_672
.LBB110_584:
	s_mov_b32 s30, 0
	s_mov_b32 s27, s22
	s_branch .LBB110_628
.LBB110_585:
	s_mov_b32 s30, 0
	s_mov_b32 s27, s22
	s_branch .LBB110_608
.LBB110_586:
	s_mov_b32 s30, 0
	s_mov_b32 s27, s22
	s_branch .LBB110_597
.LBB110_587:
	s_mov_b32 s30, 0
	s_mov_b32 s27, s22
	s_branch .LBB110_593
.LBB110_588:
	s_mov_b32 s30, 0
	s_mov_b32 s27, s22
.LBB110_589:
	s_and_b32 vcc_lo, exec_lo, s31
	s_cbranch_vccz .LBB110_592
; %bb.590:
	s_cmp_eq_u32 s29, 44
	s_mov_b32 s27, -1
	s_cbranch_scc0 .LBB110_592
; %bb.591:
	s_wait_xcnt 0x0
	v_mov_b32_e32 v2, 0
	s_mov_b32 s30, -1
	s_mov_b32 s27, 0
	global_store_b8 v[0:1], v2, off
.LBB110_592:
	s_mov_b32 s31, 0
.LBB110_593:
	s_delay_alu instid0(SALU_CYCLE_1)
	s_and_b32 vcc_lo, exec_lo, s31
	s_cbranch_vccz .LBB110_596
; %bb.594:
	s_cmp_eq_u32 s29, 29
	s_mov_b32 s27, -1
	s_cbranch_scc0 .LBB110_596
; %bb.595:
	s_wait_xcnt 0x0
	v_mov_b64_e32 v[2:3], 0
	s_mov_b32 s30, -1
	s_mov_b32 s27, 0
	s_mov_b32 s31, 0
	global_store_b64 v[0:1], v[2:3], off
	s_branch .LBB110_597
.LBB110_596:
	s_mov_b32 s31, 0
.LBB110_597:
	s_delay_alu instid0(SALU_CYCLE_1)
	s_and_b32 vcc_lo, exec_lo, s31
	s_cbranch_vccz .LBB110_607
; %bb.598:
	s_cmp_lt_i32 s29, 27
	s_mov_b32 s30, -1
	s_cbranch_scc1 .LBB110_604
; %bb.599:
	s_cmp_gt_i32 s29, 27
	s_cbranch_scc0 .LBB110_601
; %bb.600:
	s_wait_xcnt 0x0
	v_mov_b32_e32 v2, 0
	s_mov_b32 s30, 0
	global_store_b32 v[0:1], v2, off
.LBB110_601:
	s_and_not1_b32 vcc_lo, exec_lo, s30
	s_cbranch_vccnz .LBB110_603
; %bb.602:
	s_wait_xcnt 0x0
	v_mov_b32_e32 v2, 0
	global_store_b16 v[0:1], v2, off
.LBB110_603:
	s_mov_b32 s30, 0
.LBB110_604:
	s_delay_alu instid0(SALU_CYCLE_1)
	s_and_not1_b32 vcc_lo, exec_lo, s30
	s_cbranch_vccnz .LBB110_606
; %bb.605:
	s_wait_xcnt 0x0
	v_mov_b32_e32 v2, 0
	global_store_b8 v[0:1], v2, off
.LBB110_606:
	s_mov_b32 s30, -1
.LBB110_607:
	s_mov_b32 s31, 0
.LBB110_608:
	s_delay_alu instid0(SALU_CYCLE_1)
	s_and_b32 vcc_lo, exec_lo, s31
	s_cbranch_vccz .LBB110_627
; %bb.609:
	s_cmp_gt_i32 s29, 22
	s_mov_b32 s31, -1
	s_cbranch_scc0 .LBB110_619
; %bb.610:
	s_cmp_lt_i32 s29, 24
	s_mov_b32 s30, -1
	s_cbranch_scc1 .LBB110_616
; %bb.611:
	s_cmp_gt_i32 s29, 24
	s_cbranch_scc0 .LBB110_613
; %bb.612:
	s_wait_xcnt 0x0
	v_mov_b32_e32 v2, 0
	s_mov_b32 s30, 0
	global_store_b8 v[0:1], v2, off
.LBB110_613:
	s_and_not1_b32 vcc_lo, exec_lo, s30
	s_cbranch_vccnz .LBB110_615
; %bb.614:
	s_wait_xcnt 0x0
	v_mov_b32_e32 v2, 0
	global_store_b8 v[0:1], v2, off
.LBB110_615:
	s_mov_b32 s30, 0
.LBB110_616:
	s_delay_alu instid0(SALU_CYCLE_1)
	s_and_not1_b32 vcc_lo, exec_lo, s30
	s_cbranch_vccnz .LBB110_618
; %bb.617:
	s_wait_xcnt 0x0
	v_mov_b32_e32 v2, 0
	global_store_b8 v[0:1], v2, off
.LBB110_618:
	s_mov_b32 s31, 0
	s_mov_b32 s30, -1
.LBB110_619:
	s_and_not1_b32 vcc_lo, exec_lo, s31
	s_cbranch_vccnz .LBB110_627
; %bb.620:
	s_cmp_gt_i32 s29, 14
	s_mov_b32 s31, -1
	s_cbranch_scc0 .LBB110_624
; %bb.621:
	s_cmp_eq_u32 s29, 15
	s_mov_b32 s27, -1
	s_cbranch_scc0 .LBB110_623
; %bb.622:
	s_wait_xcnt 0x0
	v_mov_b32_e32 v2, 0
	s_mov_b32 s30, -1
	s_mov_b32 s27, 0
	global_store_b16 v[0:1], v2, off
.LBB110_623:
	s_mov_b32 s31, 0
.LBB110_624:
	s_delay_alu instid0(SALU_CYCLE_1)
	s_and_b32 vcc_lo, exec_lo, s31
	s_cbranch_vccz .LBB110_627
; %bb.625:
	s_cmp_eq_u32 s29, 11
	s_mov_b32 s27, -1
	s_cbranch_scc0 .LBB110_627
; %bb.626:
	s_wait_xcnt 0x0
	v_mov_b32_e32 v2, 0
	s_mov_b32 s30, -1
	s_mov_b32 s27, 0
	global_store_b8 v[0:1], v2, off
.LBB110_627:
	s_mov_b32 s29, 0
.LBB110_628:
	s_delay_alu instid0(SALU_CYCLE_1)
	s_and_b32 vcc_lo, exec_lo, s29
	s_cbranch_vccz .LBB110_667
; %bb.629:
	s_and_b32 s28, 0xffff, s28
	s_mov_b32 s29, -1
	s_cmp_lt_i32 s28, 5
	s_cbranch_scc1 .LBB110_650
; %bb.630:
	s_cmp_lt_i32 s28, 8
	s_cbranch_scc1 .LBB110_640
; %bb.631:
	;; [unrolled: 3-line block ×3, first 2 shown]
	s_cmp_gt_i32 s28, 9
	s_cbranch_scc0 .LBB110_634
; %bb.633:
	s_wait_xcnt 0x0
	v_mov_b32_e32 v2, 0
	s_mov_b32 s29, 0
	s_delay_alu instid0(VALU_DEP_1)
	v_dual_mov_b32 v3, v2 :: v_dual_mov_b32 v4, v2
	v_mov_b32_e32 v5, v2
	global_store_b128 v[0:1], v[2:5], off
.LBB110_634:
	s_and_not1_b32 vcc_lo, exec_lo, s29
	s_cbranch_vccnz .LBB110_636
; %bb.635:
	s_wait_xcnt 0x0
	v_mov_b64_e32 v[2:3], 0
	global_store_b64 v[0:1], v[2:3], off
.LBB110_636:
	s_mov_b32 s29, 0
.LBB110_637:
	s_delay_alu instid0(SALU_CYCLE_1)
	s_and_not1_b32 vcc_lo, exec_lo, s29
	s_cbranch_vccnz .LBB110_639
; %bb.638:
	s_wait_xcnt 0x0
	v_mov_b32_e32 v2, 0
	global_store_b32 v[0:1], v2, off
.LBB110_639:
	s_mov_b32 s29, 0
.LBB110_640:
	s_delay_alu instid0(SALU_CYCLE_1)
	s_and_not1_b32 vcc_lo, exec_lo, s29
	s_cbranch_vccnz .LBB110_649
; %bb.641:
	s_cmp_lt_i32 s28, 6
	s_mov_b32 s29, -1
	s_cbranch_scc1 .LBB110_647
; %bb.642:
	s_cmp_gt_i32 s28, 6
	s_cbranch_scc0 .LBB110_644
; %bb.643:
	s_wait_xcnt 0x0
	v_mov_b64_e32 v[2:3], 0
	s_mov_b32 s29, 0
	global_store_b64 v[0:1], v[2:3], off
.LBB110_644:
	s_and_not1_b32 vcc_lo, exec_lo, s29
	s_cbranch_vccnz .LBB110_646
; %bb.645:
	s_wait_xcnt 0x0
	v_mov_b32_e32 v2, 0
	global_store_b32 v[0:1], v2, off
.LBB110_646:
	s_mov_b32 s29, 0
.LBB110_647:
	s_delay_alu instid0(SALU_CYCLE_1)
	s_and_not1_b32 vcc_lo, exec_lo, s29
	s_cbranch_vccnz .LBB110_649
; %bb.648:
	s_wait_xcnt 0x0
	v_mov_b32_e32 v2, 0
	global_store_b16 v[0:1], v2, off
.LBB110_649:
	s_mov_b32 s29, 0
.LBB110_650:
	s_delay_alu instid0(SALU_CYCLE_1)
	s_and_not1_b32 vcc_lo, exec_lo, s29
	s_cbranch_vccnz .LBB110_666
; %bb.651:
	s_cmp_lt_i32 s28, 2
	s_mov_b32 s29, -1
	s_cbranch_scc1 .LBB110_661
; %bb.652:
	s_cmp_lt_i32 s28, 3
	s_cbranch_scc1 .LBB110_658
; %bb.653:
	s_cmp_gt_i32 s28, 3
	s_cbranch_scc0 .LBB110_655
; %bb.654:
	s_wait_xcnt 0x0
	v_mov_b64_e32 v[2:3], 0
	s_mov_b32 s29, 0
	global_store_b64 v[0:1], v[2:3], off
.LBB110_655:
	s_and_not1_b32 vcc_lo, exec_lo, s29
	s_cbranch_vccnz .LBB110_657
; %bb.656:
	s_wait_xcnt 0x0
	v_mov_b32_e32 v2, 0
	global_store_b32 v[0:1], v2, off
.LBB110_657:
	s_mov_b32 s29, 0
.LBB110_658:
	s_delay_alu instid0(SALU_CYCLE_1)
	s_and_not1_b32 vcc_lo, exec_lo, s29
	s_cbranch_vccnz .LBB110_660
; %bb.659:
	s_wait_xcnt 0x0
	v_mov_b32_e32 v2, 0
	global_store_b16 v[0:1], v2, off
.LBB110_660:
	s_mov_b32 s29, 0
.LBB110_661:
	s_delay_alu instid0(SALU_CYCLE_1)
	s_and_not1_b32 vcc_lo, exec_lo, s29
	s_cbranch_vccnz .LBB110_666
; %bb.662:
	s_cmp_gt_i32 s28, 0
	s_mov_b32 s28, -1
	s_cbranch_scc0 .LBB110_664
; %bb.663:
	s_wait_xcnt 0x0
	v_mov_b32_e32 v2, 0
	s_mov_b32 s28, 0
	global_store_b8 v[0:1], v2, off
.LBB110_664:
	s_and_not1_b32 vcc_lo, exec_lo, s28
	s_cbranch_vccnz .LBB110_666
; %bb.665:
	s_wait_xcnt 0x0
	v_mov_b32_e32 v2, 0
	global_store_b8 v[0:1], v2, off
.LBB110_666:
	s_mov_b32 s30, -1
.LBB110_667:
	s_delay_alu instid0(SALU_CYCLE_1)
	s_and_not1_b32 vcc_lo, exec_lo, s30
	s_cbranch_vccnz .LBB110_669
; %bb.668:
	v_add_nc_u32_e32 v6, 0x80, v6
	s_mov_b32 s28, -1
	s_branch .LBB110_670
.LBB110_669:
	s_mov_b32 s28, 0
                                        ; implicit-def: $vgpr6
.LBB110_670:
	s_and_not1_b32 s29, s22, exec_lo
	s_and_b32 s27, s27, exec_lo
	s_and_b32 s28, s28, exec_lo
	s_or_b32 s27, s29, s27
	s_xor_b32 s29, exec_lo, -1
.LBB110_671:
	s_wait_xcnt 0x0
	s_or_b32 exec_lo, exec_lo, s0
.LBB110_672:
	s_delay_alu instid0(SALU_CYCLE_1)
	s_and_not1_b32 s0, s22, exec_lo
	s_and_b32 s27, s27, exec_lo
	s_and_b32 s29, s29, exec_lo
	s_or_b32 s27, s0, s27
	s_and_not1_b32 s0, s23, exec_lo
	s_and_not1_b32 s30, s21, exec_lo
	s_and_b32 s31, s26, exec_lo
	s_or_b32 s26, s0, s29
	s_or_b32 s0, s30, s31
	s_or_not1_b32 s31, s28, exec_lo
.LBB110_673:
	s_wait_xcnt 0x0
	s_or_b32 exec_lo, exec_lo, s25
	s_mov_b32 s28, 0
	s_mov_b32 s29, 0
	;; [unrolled: 1-line block ×3, first 2 shown]
                                        ; implicit-def: $vgpr0_vgpr1
                                        ; implicit-def: $vgpr2_vgpr3
	s_and_saveexec_b32 s25, s31
	s_cbranch_execz .LBB110_750
; %bb.674:
	v_cmp_gt_i32_e32 vcc_lo, s16, v6
	s_mov_b32 s33, s0
	s_mov_b32 s31, 0
	;; [unrolled: 1-line block ×3, first 2 shown]
                                        ; implicit-def: $vgpr0_vgpr1
                                        ; implicit-def: $vgpr2_vgpr3
	s_and_saveexec_b32 s16, vcc_lo
	s_cbranch_execz .LBB110_749
; %bb.675:
	v_mul_lo_u32 v0, v6, s3
	s_and_b32 s28, 0xffff, s13
	s_delay_alu instid0(SALU_CYCLE_1) | instskip(NEXT) | instid1(VALU_DEP_1)
	s_cmp_lt_i32 s28, 11
	v_ashrrev_i32_e32 v1, 31, v0
	s_delay_alu instid0(VALU_DEP_1)
	v_add_nc_u64_e32 v[0:1], s[6:7], v[0:1]
	s_cbranch_scc1 .LBB110_682
; %bb.676:
	s_cmp_gt_i32 s28, 25
	s_cbranch_scc0 .LBB110_683
; %bb.677:
	s_cmp_gt_i32 s28, 28
	s_cbranch_scc0 .LBB110_684
; %bb.678:
	s_cmp_gt_i32 s28, 43
	s_cbranch_scc0 .LBB110_685
; %bb.679:
	s_cmp_gt_i32 s28, 45
	s_cbranch_scc0 .LBB110_686
; %bb.680:
	s_cmp_eq_u32 s28, 46
	s_mov_b32 s33, 0
	s_cbranch_scc0 .LBB110_687
; %bb.681:
	s_wait_loadcnt 0x0
	global_load_b32 v2, v[0:1], off
	s_mov_b32 s31, -1
	s_wait_loadcnt 0x0
	v_lshlrev_b32_e32 v2, 16, v2
	s_delay_alu instid0(VALU_DEP_1) | instskip(NEXT) | instid1(VALU_DEP_1)
	v_trunc_f32_e32 v2, v2
	v_mul_f32_e64 v3, 0x2f800000, |v2|
	s_delay_alu instid0(VALU_DEP_1) | instskip(NEXT) | instid1(VALU_DEP_1)
	v_floor_f32_e32 v3, v3
	v_fma_f32 v4, 0xcf800000, v3, |v2|
	v_ashrrev_i32_e32 v2, 31, v2
	v_cvt_u32_f32_e32 v5, v3
	s_delay_alu instid0(VALU_DEP_3) | instskip(NEXT) | instid1(VALU_DEP_2)
	v_cvt_u32_f32_e32 v4, v4
	v_dual_mov_b32 v3, v2 :: v_dual_bitop2_b32 v5, v5, v2 bitop3:0x14
	s_delay_alu instid0(VALU_DEP_2) | instskip(NEXT) | instid1(VALU_DEP_1)
	v_xor_b32_e32 v4, v4, v2
	v_sub_nc_u64_e32 v[2:3], v[4:5], v[2:3]
	s_branch .LBB110_689
.LBB110_682:
	s_mov_b32 s28, -1
	s_mov_b32 s29, s0
                                        ; implicit-def: $vgpr2_vgpr3
	s_branch .LBB110_748
.LBB110_683:
	s_mov_b32 s33, -1
	s_mov_b32 s29, s0
                                        ; implicit-def: $vgpr2_vgpr3
	s_branch .LBB110_716
.LBB110_684:
	s_mov_b32 s33, -1
	s_mov_b32 s29, s0
                                        ; implicit-def: $vgpr2_vgpr3
	s_branch .LBB110_699
.LBB110_685:
	s_mov_b32 s33, -1
	s_mov_b32 s29, s0
                                        ; implicit-def: $vgpr2_vgpr3
	s_branch .LBB110_694
.LBB110_686:
	s_mov_b32 s33, -1
	s_mov_b32 s29, s0
	s_branch .LBB110_688
.LBB110_687:
	s_mov_b32 s29, -1
.LBB110_688:
                                        ; implicit-def: $vgpr2_vgpr3
.LBB110_689:
	s_and_b32 vcc_lo, exec_lo, s33
	s_cbranch_vccz .LBB110_693
; %bb.690:
	s_cmp_eq_u32 s28, 44
	s_cbranch_scc0 .LBB110_692
; %bb.691:
	global_load_u8 v7, v[0:1], off
	s_mov_b32 s29, 0
	s_mov_b32 s31, -1
	s_wait_loadcnt 0x0
	v_lshlrev_b32_e32 v2, 23, v7
	v_cmp_ne_u32_e32 vcc_lo, 0, v7
	s_delay_alu instid0(VALU_DEP_2) | instskip(NEXT) | instid1(VALU_DEP_1)
	v_trunc_f32_e32 v2, v2
	v_mul_f32_e64 v3, 0x2f800000, |v2|
	s_delay_alu instid0(VALU_DEP_1) | instskip(NEXT) | instid1(VALU_DEP_1)
	v_floor_f32_e32 v3, v3
	v_fma_f32 v4, 0xcf800000, v3, |v2|
	v_ashrrev_i32_e32 v2, 31, v2
	v_cvt_u32_f32_e32 v5, v3
	s_delay_alu instid0(VALU_DEP_3) | instskip(NEXT) | instid1(VALU_DEP_2)
	v_cvt_u32_f32_e32 v4, v4
	v_dual_mov_b32 v3, v2 :: v_dual_bitop2_b32 v5, v5, v2 bitop3:0x14
	s_delay_alu instid0(VALU_DEP_2) | instskip(NEXT) | instid1(VALU_DEP_1)
	v_xor_b32_e32 v4, v4, v2
	v_sub_nc_u64_e32 v[2:3], v[4:5], v[2:3]
	s_delay_alu instid0(VALU_DEP_1)
	v_dual_cndmask_b32 v3, 0, v3 :: v_dual_cndmask_b32 v2, 0, v2
	s_branch .LBB110_693
.LBB110_692:
	s_mov_b32 s29, -1
                                        ; implicit-def: $vgpr2_vgpr3
.LBB110_693:
	s_mov_b32 s33, 0
.LBB110_694:
	s_delay_alu instid0(SALU_CYCLE_1)
	s_and_b32 vcc_lo, exec_lo, s33
	s_cbranch_vccz .LBB110_698
; %bb.695:
	s_cmp_eq_u32 s28, 29
	s_cbranch_scc0 .LBB110_697
; %bb.696:
	s_wait_loadcnt 0x0
	global_load_b64 v[2:3], v[0:1], off
	s_mov_b32 s29, 0
	s_mov_b32 s31, -1
	s_branch .LBB110_698
.LBB110_697:
	s_mov_b32 s29, -1
                                        ; implicit-def: $vgpr2_vgpr3
.LBB110_698:
	s_mov_b32 s33, 0
.LBB110_699:
	s_delay_alu instid0(SALU_CYCLE_1)
	s_and_b32 vcc_lo, exec_lo, s33
	s_cbranch_vccz .LBB110_715
; %bb.700:
	s_cmp_lt_i32 s28, 27
	s_cbranch_scc1 .LBB110_703
; %bb.701:
	s_cmp_gt_i32 s28, 27
	s_cbranch_scc0 .LBB110_704
; %bb.702:
	s_wait_loadcnt 0x0
	global_load_b32 v2, v[0:1], off
	v_mov_b32_e32 v3, 0
	s_mov_b32 s31, 0
	s_branch .LBB110_705
.LBB110_703:
	s_mov_b32 s31, -1
                                        ; implicit-def: $vgpr2_vgpr3
	s_branch .LBB110_708
.LBB110_704:
	s_mov_b32 s31, -1
                                        ; implicit-def: $vgpr2_vgpr3
.LBB110_705:
	s_delay_alu instid0(SALU_CYCLE_1)
	s_and_not1_b32 vcc_lo, exec_lo, s31
	s_cbranch_vccnz .LBB110_707
; %bb.706:
	s_wait_loadcnt 0x0
	global_load_u16 v2, v[0:1], off
	s_mov_b32 s31, 0
	s_delay_alu instid0(SALU_CYCLE_1)
	v_mov_b32_e32 v3, s31
	s_wait_loadcnt 0x0
	v_and_b32_e32 v2, 0xffff, v2
.LBB110_707:
	s_mov_b32 s31, 0
.LBB110_708:
	s_delay_alu instid0(SALU_CYCLE_1)
	s_and_not1_b32 vcc_lo, exec_lo, s31
	s_cbranch_vccnz .LBB110_714
; %bb.709:
	global_load_u8 v4, v[0:1], off
	s_mov_b32 s33, 0
	s_mov_b32 s31, exec_lo
	s_wait_loadcnt 0x0
	v_cmpx_lt_i16_e32 0x7f, v4
	s_xor_b32 s31, exec_lo, s31
	s_cbranch_execz .LBB110_726
; %bb.710:
	v_cmp_ne_u16_e32 vcc_lo, 0x80, v4
	s_and_b32 s33, vcc_lo, exec_lo
	s_and_not1_saveexec_b32 s31, s31
	s_cbranch_execnz .LBB110_727
.LBB110_711:
	s_or_b32 exec_lo, exec_lo, s31
	v_mov_b64_e32 v[2:3], 0
	s_and_saveexec_b32 s31, s33
	s_cbranch_execz .LBB110_713
.LBB110_712:
	v_and_b32_e32 v2, 0xffff, v4
	s_delay_alu instid0(VALU_DEP_1) | instskip(SKIP_1) | instid1(VALU_DEP_2)
	v_and_b32_e32 v3, 7, v2
	v_bfe_u32 v8, v2, 3, 4
	v_clz_i32_u32_e32 v5, v3
	s_delay_alu instid0(VALU_DEP_2) | instskip(NEXT) | instid1(VALU_DEP_2)
	v_cmp_eq_u32_e32 vcc_lo, 0, v8
	v_min_u32_e32 v5, 32, v5
	s_delay_alu instid0(VALU_DEP_1) | instskip(NEXT) | instid1(VALU_DEP_1)
	v_subrev_nc_u32_e32 v7, 28, v5
	v_dual_lshlrev_b32 v2, v7, v2 :: v_dual_sub_nc_u32 v5, 29, v5
	s_delay_alu instid0(VALU_DEP_1) | instskip(NEXT) | instid1(VALU_DEP_1)
	v_dual_lshlrev_b32 v4, 24, v4 :: v_dual_bitop2_b32 v2, 7, v2 bitop3:0x40
	v_dual_cndmask_b32 v5, v8, v5 :: v_dual_cndmask_b32 v2, v3, v2
	s_delay_alu instid0(VALU_DEP_2) | instskip(NEXT) | instid1(VALU_DEP_2)
	v_and_b32_e32 v3, 0x80000000, v4
	v_lshl_add_u32 v4, v5, 23, 0x3b800000
	s_delay_alu instid0(VALU_DEP_3) | instskip(NEXT) | instid1(VALU_DEP_1)
	v_lshlrev_b32_e32 v2, 20, v2
	v_or3_b32 v2, v3, v4, v2
	s_delay_alu instid0(VALU_DEP_1) | instskip(NEXT) | instid1(VALU_DEP_1)
	v_trunc_f32_e32 v2, v2
	v_mul_f32_e64 v3, 0x2f800000, |v2|
	s_delay_alu instid0(VALU_DEP_1) | instskip(NEXT) | instid1(VALU_DEP_1)
	v_floor_f32_e32 v3, v3
	v_fma_f32 v4, 0xcf800000, v3, |v2|
	v_ashrrev_i32_e32 v2, 31, v2
	v_cvt_u32_f32_e32 v5, v3
	s_delay_alu instid0(VALU_DEP_3) | instskip(NEXT) | instid1(VALU_DEP_2)
	v_cvt_u32_f32_e32 v4, v4
	v_dual_mov_b32 v3, v2 :: v_dual_bitop2_b32 v5, v5, v2 bitop3:0x14
	s_delay_alu instid0(VALU_DEP_2) | instskip(NEXT) | instid1(VALU_DEP_1)
	v_xor_b32_e32 v4, v4, v2
	v_sub_nc_u64_e32 v[2:3], v[4:5], v[2:3]
.LBB110_713:
	s_or_b32 exec_lo, exec_lo, s31
.LBB110_714:
	s_mov_b32 s31, -1
.LBB110_715:
	s_mov_b32 s33, 0
.LBB110_716:
	s_delay_alu instid0(SALU_CYCLE_1)
	s_and_b32 vcc_lo, exec_lo, s33
	s_cbranch_vccz .LBB110_747
; %bb.717:
	s_cmp_gt_i32 s28, 22
	s_cbranch_scc0 .LBB110_725
; %bb.718:
	s_cmp_lt_i32 s28, 24
	s_cbranch_scc1 .LBB110_728
; %bb.719:
	s_cmp_gt_i32 s28, 24
	s_cbranch_scc0 .LBB110_729
; %bb.720:
	global_load_u8 v4, v[0:1], off
	s_mov_b32 s31, 0
	s_mov_b32 s30, exec_lo
	s_wait_loadcnt 0x0
	v_cmpx_lt_i16_e32 0x7f, v4
	s_xor_b32 s30, exec_lo, s30
	s_cbranch_execz .LBB110_741
; %bb.721:
	v_cmp_ne_u16_e32 vcc_lo, 0x80, v4
	s_and_b32 s31, vcc_lo, exec_lo
	s_and_not1_saveexec_b32 s30, s30
	s_cbranch_execnz .LBB110_742
.LBB110_722:
	s_or_b32 exec_lo, exec_lo, s30
	v_mov_b64_e32 v[2:3], 0
	s_and_saveexec_b32 s30, s31
	s_cbranch_execz .LBB110_724
.LBB110_723:
	v_and_b32_e32 v2, 0xffff, v4
	s_delay_alu instid0(VALU_DEP_1) | instskip(SKIP_1) | instid1(VALU_DEP_2)
	v_and_b32_e32 v3, 3, v2
	v_bfe_u32 v8, v2, 2, 5
	v_clz_i32_u32_e32 v5, v3
	s_delay_alu instid0(VALU_DEP_2) | instskip(NEXT) | instid1(VALU_DEP_2)
	v_cmp_eq_u32_e32 vcc_lo, 0, v8
	v_min_u32_e32 v5, 32, v5
	s_delay_alu instid0(VALU_DEP_1) | instskip(NEXT) | instid1(VALU_DEP_1)
	v_subrev_nc_u32_e32 v7, 29, v5
	v_dual_lshlrev_b32 v2, v7, v2 :: v_dual_sub_nc_u32 v5, 30, v5
	s_delay_alu instid0(VALU_DEP_1) | instskip(NEXT) | instid1(VALU_DEP_1)
	v_dual_lshlrev_b32 v4, 24, v4 :: v_dual_bitop2_b32 v2, 3, v2 bitop3:0x40
	v_dual_cndmask_b32 v5, v8, v5 :: v_dual_cndmask_b32 v2, v3, v2
	s_delay_alu instid0(VALU_DEP_2) | instskip(NEXT) | instid1(VALU_DEP_2)
	v_and_b32_e32 v3, 0x80000000, v4
	v_lshl_add_u32 v4, v5, 23, 0x37800000
	s_delay_alu instid0(VALU_DEP_3) | instskip(NEXT) | instid1(VALU_DEP_1)
	v_lshlrev_b32_e32 v2, 21, v2
	v_or3_b32 v2, v3, v4, v2
	s_delay_alu instid0(VALU_DEP_1) | instskip(NEXT) | instid1(VALU_DEP_1)
	v_trunc_f32_e32 v2, v2
	v_mul_f32_e64 v3, 0x2f800000, |v2|
	s_delay_alu instid0(VALU_DEP_1) | instskip(NEXT) | instid1(VALU_DEP_1)
	v_floor_f32_e32 v3, v3
	v_fma_f32 v4, 0xcf800000, v3, |v2|
	v_ashrrev_i32_e32 v2, 31, v2
	v_cvt_u32_f32_e32 v5, v3
	s_delay_alu instid0(VALU_DEP_3) | instskip(NEXT) | instid1(VALU_DEP_2)
	v_cvt_u32_f32_e32 v4, v4
	v_dual_mov_b32 v3, v2 :: v_dual_bitop2_b32 v5, v5, v2 bitop3:0x14
	s_delay_alu instid0(VALU_DEP_2) | instskip(NEXT) | instid1(VALU_DEP_1)
	v_xor_b32_e32 v4, v4, v2
	v_sub_nc_u64_e32 v[2:3], v[4:5], v[2:3]
.LBB110_724:
	s_or_b32 exec_lo, exec_lo, s30
	s_mov_b32 s30, 0
	s_branch .LBB110_730
.LBB110_725:
	s_mov_b32 s30, -1
                                        ; implicit-def: $vgpr2_vgpr3
	s_branch .LBB110_736
.LBB110_726:
	s_and_not1_saveexec_b32 s31, s31
	s_cbranch_execz .LBB110_711
.LBB110_727:
	v_cmp_ne_u16_e32 vcc_lo, 0, v4
	s_and_not1_b32 s33, s33, exec_lo
	s_and_b32 s34, vcc_lo, exec_lo
	s_delay_alu instid0(SALU_CYCLE_1)
	s_or_b32 s33, s33, s34
	s_or_b32 exec_lo, exec_lo, s31
	v_mov_b64_e32 v[2:3], 0
	s_and_saveexec_b32 s31, s33
	s_cbranch_execnz .LBB110_712
	s_branch .LBB110_713
.LBB110_728:
	s_mov_b32 s30, -1
                                        ; implicit-def: $vgpr2_vgpr3
	s_branch .LBB110_733
.LBB110_729:
	s_mov_b32 s30, -1
                                        ; implicit-def: $vgpr2_vgpr3
.LBB110_730:
	s_delay_alu instid0(SALU_CYCLE_1)
	s_and_b32 vcc_lo, exec_lo, s30
	s_cbranch_vccz .LBB110_732
; %bb.731:
	s_wait_loadcnt 0x0
	global_load_u8 v2, v[0:1], off
	s_wait_loadcnt 0x0
	v_lshlrev_b32_e32 v2, 24, v2
	s_delay_alu instid0(VALU_DEP_1) | instskip(NEXT) | instid1(VALU_DEP_1)
	v_and_b32_e32 v3, 0x7f000000, v2
	v_clz_i32_u32_e32 v4, v3
	v_add_nc_u32_e32 v7, 0x1000000, v3
	v_cmp_ne_u32_e32 vcc_lo, 0, v3
	s_delay_alu instid0(VALU_DEP_3) | instskip(NEXT) | instid1(VALU_DEP_1)
	v_min_u32_e32 v4, 32, v4
	v_sub_nc_u32_e64 v4, v4, 4 clamp
	s_delay_alu instid0(VALU_DEP_1) | instskip(NEXT) | instid1(VALU_DEP_1)
	v_dual_lshlrev_b32 v5, v4, v3 :: v_dual_lshlrev_b32 v4, 23, v4
	v_lshrrev_b32_e32 v5, 4, v5
	s_delay_alu instid0(VALU_DEP_1) | instskip(NEXT) | instid1(VALU_DEP_1)
	v_dual_sub_nc_u32 v4, v5, v4 :: v_dual_ashrrev_i32 v5, 8, v7
	v_add_nc_u32_e32 v4, 0x3c000000, v4
	s_delay_alu instid0(VALU_DEP_1) | instskip(NEXT) | instid1(VALU_DEP_1)
	v_and_or_b32 v4, 0x7f800000, v5, v4
	v_cndmask_b32_e32 v3, 0, v4, vcc_lo
	s_delay_alu instid0(VALU_DEP_1) | instskip(NEXT) | instid1(VALU_DEP_1)
	v_and_or_b32 v2, 0x80000000, v2, v3
	v_trunc_f32_e32 v2, v2
	s_delay_alu instid0(VALU_DEP_1) | instskip(NEXT) | instid1(VALU_DEP_1)
	v_mul_f32_e64 v3, 0x2f800000, |v2|
	v_floor_f32_e32 v3, v3
	s_delay_alu instid0(VALU_DEP_1) | instskip(SKIP_2) | instid1(VALU_DEP_3)
	v_fma_f32 v4, 0xcf800000, v3, |v2|
	v_ashrrev_i32_e32 v2, 31, v2
	v_cvt_u32_f32_e32 v5, v3
	v_cvt_u32_f32_e32 v4, v4
	s_delay_alu instid0(VALU_DEP_2) | instskip(NEXT) | instid1(VALU_DEP_2)
	v_dual_mov_b32 v3, v2 :: v_dual_bitop2_b32 v5, v5, v2 bitop3:0x14
	v_xor_b32_e32 v4, v4, v2
	s_delay_alu instid0(VALU_DEP_1)
	v_sub_nc_u64_e32 v[2:3], v[4:5], v[2:3]
.LBB110_732:
	s_mov_b32 s30, 0
.LBB110_733:
	s_delay_alu instid0(SALU_CYCLE_1)
	s_and_not1_b32 vcc_lo, exec_lo, s30
	s_cbranch_vccnz .LBB110_735
; %bb.734:
	s_wait_loadcnt 0x0
	global_load_u8 v2, v[0:1], off
	s_wait_loadcnt 0x0
	v_lshlrev_b32_e32 v3, 25, v2
	v_lshlrev_b16 v2, 8, v2
	s_delay_alu instid0(VALU_DEP_1) | instskip(SKIP_1) | instid1(VALU_DEP_2)
	v_and_or_b32 v5, 0x7f00, v2, 0.5
	v_bfe_i32 v2, v2, 0, 16
	v_dual_add_f32 v5, -0.5, v5 :: v_dual_lshrrev_b32 v4, 4, v3
	v_cmp_gt_u32_e32 vcc_lo, 0x8000000, v3
	s_delay_alu instid0(VALU_DEP_2) | instskip(NEXT) | instid1(VALU_DEP_1)
	v_or_b32_e32 v4, 0x70000000, v4
	v_mul_f32_e32 v4, 0x7800000, v4
	s_delay_alu instid0(VALU_DEP_1) | instskip(NEXT) | instid1(VALU_DEP_1)
	v_cndmask_b32_e32 v3, v4, v5, vcc_lo
	v_and_or_b32 v2, 0x80000000, v2, v3
	s_delay_alu instid0(VALU_DEP_1) | instskip(NEXT) | instid1(VALU_DEP_1)
	v_trunc_f32_e32 v2, v2
	v_mul_f32_e64 v3, 0x2f800000, |v2|
	s_delay_alu instid0(VALU_DEP_1) | instskip(NEXT) | instid1(VALU_DEP_1)
	v_floor_f32_e32 v3, v3
	v_fma_f32 v4, 0xcf800000, v3, |v2|
	v_ashrrev_i32_e32 v2, 31, v2
	v_cvt_u32_f32_e32 v5, v3
	s_delay_alu instid0(VALU_DEP_3) | instskip(NEXT) | instid1(VALU_DEP_2)
	v_cvt_u32_f32_e32 v4, v4
	v_dual_mov_b32 v3, v2 :: v_dual_bitop2_b32 v5, v5, v2 bitop3:0x14
	s_delay_alu instid0(VALU_DEP_2) | instskip(NEXT) | instid1(VALU_DEP_1)
	v_xor_b32_e32 v4, v4, v2
	v_sub_nc_u64_e32 v[2:3], v[4:5], v[2:3]
.LBB110_735:
	s_mov_b32 s30, 0
	s_mov_b32 s31, -1
.LBB110_736:
	s_and_not1_b32 vcc_lo, exec_lo, s30
	s_mov_b32 s30, 0
	s_cbranch_vccnz .LBB110_747
; %bb.737:
	s_cmp_gt_i32 s28, 14
	s_cbranch_scc0 .LBB110_740
; %bb.738:
	s_cmp_eq_u32 s28, 15
	s_cbranch_scc0 .LBB110_743
; %bb.739:
	s_wait_loadcnt 0x0
	global_load_u16 v2, v[0:1], off
	s_mov_b32 s29, 0
	s_mov_b32 s31, -1
	s_wait_loadcnt 0x0
	v_lshlrev_b32_e32 v2, 16, v2
	s_delay_alu instid0(VALU_DEP_1) | instskip(NEXT) | instid1(VALU_DEP_1)
	v_trunc_f32_e32 v2, v2
	v_mul_f32_e64 v3, 0x2f800000, |v2|
	s_delay_alu instid0(VALU_DEP_1) | instskip(NEXT) | instid1(VALU_DEP_1)
	v_floor_f32_e32 v3, v3
	v_fma_f32 v4, 0xcf800000, v3, |v2|
	v_ashrrev_i32_e32 v2, 31, v2
	v_cvt_u32_f32_e32 v5, v3
	s_delay_alu instid0(VALU_DEP_3) | instskip(NEXT) | instid1(VALU_DEP_2)
	v_cvt_u32_f32_e32 v4, v4
	v_dual_mov_b32 v3, v2 :: v_dual_bitop2_b32 v5, v5, v2 bitop3:0x14
	s_delay_alu instid0(VALU_DEP_2) | instskip(NEXT) | instid1(VALU_DEP_1)
	v_xor_b32_e32 v4, v4, v2
	v_sub_nc_u64_e32 v[2:3], v[4:5], v[2:3]
	s_branch .LBB110_745
.LBB110_740:
	s_mov_b32 s30, -1
	s_branch .LBB110_744
.LBB110_741:
	s_and_not1_saveexec_b32 s30, s30
	s_cbranch_execz .LBB110_722
.LBB110_742:
	v_cmp_ne_u16_e32 vcc_lo, 0, v4
	s_and_not1_b32 s31, s31, exec_lo
	s_and_b32 s33, vcc_lo, exec_lo
	s_delay_alu instid0(SALU_CYCLE_1)
	s_or_b32 s31, s31, s33
	s_or_b32 exec_lo, exec_lo, s30
	v_mov_b64_e32 v[2:3], 0
	s_and_saveexec_b32 s30, s31
	s_cbranch_execnz .LBB110_723
	s_branch .LBB110_724
.LBB110_743:
	s_mov_b32 s29, -1
.LBB110_744:
                                        ; implicit-def: $vgpr2_vgpr3
.LBB110_745:
	s_and_b32 vcc_lo, exec_lo, s30
	s_mov_b32 s30, 0
	s_cbranch_vccz .LBB110_747
; %bb.746:
	s_cmp_lg_u32 s28, 11
	s_mov_b32 s30, -1
	s_cselect_b32 s28, -1, 0
	s_and_not1_b32 s29, s29, exec_lo
	s_and_b32 s28, s28, exec_lo
	s_delay_alu instid0(SALU_CYCLE_1)
	s_or_b32 s29, s29, s28
.LBB110_747:
	s_mov_b32 s28, 0
.LBB110_748:
	s_and_not1_b32 s33, s0, exec_lo
	s_and_b32 s29, s29, exec_lo
	s_and_b32 s34, s31, exec_lo
	;; [unrolled: 1-line block ×4, first 2 shown]
	s_or_b32 s33, s33, s29
.LBB110_749:
	s_wait_xcnt 0x0
	s_or_b32 exec_lo, exec_lo, s16
	s_delay_alu instid0(SALU_CYCLE_1)
	s_and_not1_b32 s0, s0, exec_lo
	s_and_b32 s16, s33, exec_lo
	s_and_b32 s30, s34, exec_lo
	;; [unrolled: 1-line block ×4, first 2 shown]
	s_or_b32 s0, s0, s16
.LBB110_750:
	s_or_b32 exec_lo, exec_lo, s25
	s_delay_alu instid0(SALU_CYCLE_1)
	s_and_not1_b32 s16, s22, exec_lo
	s_and_b32 s22, s27, exec_lo
	s_and_not1_b32 s23, s23, exec_lo
	s_and_b32 s25, s26, exec_lo
	s_or_b32 s22, s16, s22
	s_and_not1_b32 s16, s21, exec_lo
	s_and_b32 s0, s0, exec_lo
	s_or_b32 s23, s23, s25
	s_and_b32 s27, s30, exec_lo
	s_and_b32 s26, s29, exec_lo
	;; [unrolled: 1-line block ×3, first 2 shown]
	s_or_b32 s21, s16, s0
.LBB110_751:
	s_or_b32 exec_lo, exec_lo, s24
	s_delay_alu instid0(SALU_CYCLE_1)
	s_and_not1_b32 s0, s17, exec_lo
	s_and_b32 s16, s22, exec_lo
	s_and_not1_b32 s18, s18, exec_lo
	s_and_b32 s22, s23, exec_lo
	s_or_b32 s17, s0, s16
	s_and_not1_b32 s16, s19, exec_lo
	s_and_b32 s19, s21, exec_lo
	s_or_b32 s18, s18, s22
	s_and_b32 s0, s27, exec_lo
	s_and_b32 s22, s26, exec_lo
	;; [unrolled: 1-line block ×3, first 2 shown]
	s_or_b32 s19, s16, s19
	s_or_b32 exec_lo, exec_lo, s20
	s_mov_b32 s16, 0
	s_and_saveexec_b32 s20, s19
	s_cbranch_execz .LBB110_231
.LBB110_752:
	s_mov_b32 s16, exec_lo
	s_and_not1_b32 s21, s21, exec_lo
	s_trap 2
	s_or_b32 exec_lo, exec_lo, s20
	s_and_saveexec_b32 s19, s21
	s_delay_alu instid0(SALU_CYCLE_1)
	s_xor_b32 s19, exec_lo, s19
	s_cbranch_execnz .LBB110_232
.LBB110_753:
	s_or_b32 exec_lo, exec_lo, s19
	s_and_saveexec_b32 s19, s22
	s_cbranch_execz .LBB110_799
.LBB110_754:
	s_sext_i32_i16 s20, s13
	s_delay_alu instid0(SALU_CYCLE_1)
	s_cmp_lt_i32 s20, 5
	s_cbranch_scc1 .LBB110_759
; %bb.755:
	s_cmp_lt_i32 s20, 8
	s_cbranch_scc1 .LBB110_760
; %bb.756:
	;; [unrolled: 3-line block ×3, first 2 shown]
	s_cmp_gt_i32 s20, 9
	s_cbranch_scc0 .LBB110_762
; %bb.758:
	s_wait_loadcnt 0x0
	global_load_b64 v[2:3], v[0:1], off
	s_mov_b32 s20, 0
	s_wait_loadcnt 0x0
	v_trunc_f64_e32 v[2:3], v[2:3]
	s_delay_alu instid0(VALU_DEP_1) | instskip(NEXT) | instid1(VALU_DEP_1)
	v_ldexp_f64 v[4:5], v[2:3], 0xffffffe0
	v_floor_f64_e32 v[4:5], v[4:5]
	s_delay_alu instid0(VALU_DEP_1) | instskip(SKIP_1) | instid1(VALU_DEP_2)
	v_fmamk_f64 v[8:9], v[4:5], 0xc1f00000, v[2:3]
	v_cvt_i32_f64_e32 v3, v[4:5]
	v_cvt_u32_f64_e32 v2, v[8:9]
	s_branch .LBB110_763
.LBB110_759:
                                        ; implicit-def: $vgpr2_vgpr3
	s_branch .LBB110_780
.LBB110_760:
                                        ; implicit-def: $vgpr2_vgpr3
	s_branch .LBB110_769
.LBB110_761:
	s_mov_b32 s20, -1
                                        ; implicit-def: $vgpr2_vgpr3
	s_branch .LBB110_766
.LBB110_762:
	s_mov_b32 s20, -1
                                        ; implicit-def: $vgpr2_vgpr3
.LBB110_763:
	s_delay_alu instid0(SALU_CYCLE_1)
	s_and_not1_b32 vcc_lo, exec_lo, s20
	s_cbranch_vccnz .LBB110_765
; %bb.764:
	s_wait_loadcnt 0x0
	global_load_b32 v2, v[0:1], off
	s_wait_loadcnt 0x0
	v_trunc_f32_e32 v2, v2
	s_delay_alu instid0(VALU_DEP_1) | instskip(NEXT) | instid1(VALU_DEP_1)
	v_mul_f32_e64 v3, 0x2f800000, |v2|
	v_floor_f32_e32 v3, v3
	s_delay_alu instid0(VALU_DEP_1) | instskip(SKIP_2) | instid1(VALU_DEP_3)
	v_fma_f32 v4, 0xcf800000, v3, |v2|
	v_ashrrev_i32_e32 v2, 31, v2
	v_cvt_u32_f32_e32 v5, v3
	v_cvt_u32_f32_e32 v4, v4
	s_delay_alu instid0(VALU_DEP_2) | instskip(NEXT) | instid1(VALU_DEP_2)
	v_dual_mov_b32 v3, v2 :: v_dual_bitop2_b32 v5, v5, v2 bitop3:0x14
	v_xor_b32_e32 v4, v4, v2
	s_delay_alu instid0(VALU_DEP_1)
	v_sub_nc_u64_e32 v[2:3], v[4:5], v[2:3]
.LBB110_765:
	s_mov_b32 s20, 0
.LBB110_766:
	s_delay_alu instid0(SALU_CYCLE_1)
	s_and_not1_b32 vcc_lo, exec_lo, s20
	s_cbranch_vccnz .LBB110_768
; %bb.767:
	s_wait_loadcnt 0x0
	global_load_b32 v2, v[0:1], off
	s_wait_loadcnt 0x0
	v_cvt_f32_f16_e32 v2, v2
	s_delay_alu instid0(VALU_DEP_1) | instskip(NEXT) | instid1(VALU_DEP_1)
	v_cvt_i32_f32_e32 v2, v2
	v_ashrrev_i32_e32 v3, 31, v2
.LBB110_768:
	s_cbranch_execnz .LBB110_779
.LBB110_769:
	s_sext_i32_i16 s20, s13
	s_delay_alu instid0(SALU_CYCLE_1)
	s_cmp_lt_i32 s20, 6
	s_cbranch_scc1 .LBB110_772
; %bb.770:
	s_cmp_gt_i32 s20, 6
	s_cbranch_scc0 .LBB110_773
; %bb.771:
	s_wait_loadcnt 0x0
	global_load_b64 v[2:3], v[0:1], off
	s_mov_b32 s20, 0
	s_wait_loadcnt 0x0
	v_trunc_f64_e32 v[2:3], v[2:3]
	s_delay_alu instid0(VALU_DEP_1) | instskip(NEXT) | instid1(VALU_DEP_1)
	v_ldexp_f64 v[4:5], v[2:3], 0xffffffe0
	v_floor_f64_e32 v[4:5], v[4:5]
	s_delay_alu instid0(VALU_DEP_1) | instskip(SKIP_1) | instid1(VALU_DEP_2)
	v_fmamk_f64 v[8:9], v[4:5], 0xc1f00000, v[2:3]
	v_cvt_i32_f64_e32 v3, v[4:5]
	v_cvt_u32_f64_e32 v2, v[8:9]
	s_branch .LBB110_774
.LBB110_772:
	s_mov_b32 s20, -1
                                        ; implicit-def: $vgpr2_vgpr3
	s_branch .LBB110_777
.LBB110_773:
	s_mov_b32 s20, -1
                                        ; implicit-def: $vgpr2_vgpr3
.LBB110_774:
	s_delay_alu instid0(SALU_CYCLE_1)
	s_and_not1_b32 vcc_lo, exec_lo, s20
	s_cbranch_vccnz .LBB110_776
; %bb.775:
	s_wait_loadcnt 0x0
	global_load_b32 v2, v[0:1], off
	s_wait_loadcnt 0x0
	v_trunc_f32_e32 v2, v2
	s_delay_alu instid0(VALU_DEP_1) | instskip(NEXT) | instid1(VALU_DEP_1)
	v_mul_f32_e64 v3, 0x2f800000, |v2|
	v_floor_f32_e32 v3, v3
	s_delay_alu instid0(VALU_DEP_1) | instskip(SKIP_2) | instid1(VALU_DEP_3)
	v_fma_f32 v4, 0xcf800000, v3, |v2|
	v_ashrrev_i32_e32 v2, 31, v2
	v_cvt_u32_f32_e32 v5, v3
	v_cvt_u32_f32_e32 v4, v4
	s_delay_alu instid0(VALU_DEP_2) | instskip(NEXT) | instid1(VALU_DEP_2)
	v_dual_mov_b32 v3, v2 :: v_dual_bitop2_b32 v5, v5, v2 bitop3:0x14
	v_xor_b32_e32 v4, v4, v2
	s_delay_alu instid0(VALU_DEP_1)
	v_sub_nc_u64_e32 v[2:3], v[4:5], v[2:3]
.LBB110_776:
	s_mov_b32 s20, 0
.LBB110_777:
	s_delay_alu instid0(SALU_CYCLE_1)
	s_and_not1_b32 vcc_lo, exec_lo, s20
	s_cbranch_vccnz .LBB110_779
; %bb.778:
	s_wait_loadcnt 0x0
	global_load_u16 v2, v[0:1], off
	s_wait_loadcnt 0x0
	v_cvt_f32_f16_e32 v2, v2
	s_delay_alu instid0(VALU_DEP_1) | instskip(NEXT) | instid1(VALU_DEP_1)
	v_cvt_i32_f32_e32 v2, v2
	v_ashrrev_i32_e32 v3, 31, v2
.LBB110_779:
	s_cbranch_execnz .LBB110_798
.LBB110_780:
	s_sext_i32_i16 s20, s13
	s_delay_alu instid0(SALU_CYCLE_1)
	s_cmp_lt_i32 s20, 2
	s_cbranch_scc1 .LBB110_784
; %bb.781:
	s_cmp_lt_i32 s20, 3
	s_cbranch_scc1 .LBB110_785
; %bb.782:
	s_cmp_gt_i32 s20, 3
	s_cbranch_scc0 .LBB110_786
; %bb.783:
	s_wait_loadcnt 0x0
	global_load_b64 v[2:3], v[0:1], off
	s_mov_b32 s20, 0
	s_branch .LBB110_787
.LBB110_784:
                                        ; implicit-def: $vgpr2_vgpr3
	s_branch .LBB110_793
.LBB110_785:
	s_mov_b32 s20, -1
                                        ; implicit-def: $vgpr2_vgpr3
	s_branch .LBB110_790
.LBB110_786:
	s_mov_b32 s20, -1
                                        ; implicit-def: $vgpr2_vgpr3
.LBB110_787:
	s_delay_alu instid0(SALU_CYCLE_1)
	s_and_not1_b32 vcc_lo, exec_lo, s20
	s_cbranch_vccnz .LBB110_789
; %bb.788:
	s_wait_loadcnt 0x0
	global_load_b32 v2, v[0:1], off
	s_wait_loadcnt 0x0
	v_ashrrev_i32_e32 v3, 31, v2
.LBB110_789:
	s_mov_b32 s20, 0
.LBB110_790:
	s_delay_alu instid0(SALU_CYCLE_1)
	s_and_not1_b32 vcc_lo, exec_lo, s20
	s_cbranch_vccnz .LBB110_792
; %bb.791:
	s_wait_loadcnt 0x0
	global_load_u16 v2, v[0:1], off
	s_wait_loadcnt 0x0
	v_bfe_i32 v2, v2, 0, 16
	s_delay_alu instid0(VALU_DEP_1)
	v_ashrrev_i32_e32 v3, 31, v2
.LBB110_792:
	s_cbranch_execnz .LBB110_798
.LBB110_793:
	s_sext_i32_i16 s20, s13
	s_delay_alu instid0(SALU_CYCLE_1)
	s_cmp_gt_i32 s20, 0
	s_mov_b32 s20, 0
	s_cbranch_scc0 .LBB110_795
; %bb.794:
	s_wait_loadcnt 0x0
	global_load_i8 v2, v[0:1], off
	s_wait_loadcnt 0x0
	v_bfe_i32 v2, v2, 0, 16
	s_delay_alu instid0(VALU_DEP_1)
	v_ashrrev_i32_e32 v3, 31, v2
	s_branch .LBB110_796
.LBB110_795:
	s_mov_b32 s20, -1
                                        ; implicit-def: $vgpr2_vgpr3
.LBB110_796:
	s_delay_alu instid0(SALU_CYCLE_1)
	s_and_not1_b32 vcc_lo, exec_lo, s20
	s_cbranch_vccnz .LBB110_798
; %bb.797:
	global_load_u8 v0, v[0:1], off
	s_mov_b32 s20, 0
	s_wait_loadcnt 0x1
	v_mov_b32_e32 v3, s20
	s_wait_loadcnt 0x0
	v_and_b32_e32 v2, 0xffff, v0
.LBB110_798:
	s_or_b32 s0, s0, exec_lo
.LBB110_799:
	s_wait_xcnt 0x0
	s_or_b32 exec_lo, exec_lo, s19
	s_mov_b32 s20, 0
	s_and_saveexec_b32 s19, s0
	s_delay_alu instid0(SALU_CYCLE_1)
	s_xor_b32 s19, exec_lo, s19
	s_cbranch_execz .LBB110_801
; %bb.800:
	s_wait_loadcnt 0x0
	s_delay_alu instid0(VALU_DEP_1) | instskip(SKIP_3) | instid1(SALU_CYCLE_1)
	v_cmp_le_i64_e32 vcc_lo, s[8:9], v[2:3]
	v_cmp_gt_i64_e64 s0, s[10:11], v[2:3]
	s_mov_b32 s20, exec_lo
	s_and_b32 s0, vcc_lo, s0
	s_and_b32 s0, s15, s0
	s_and_not1_b32 s15, s18, exec_lo
	s_xor_b32 s0, s0, -1
	s_delay_alu instid0(SALU_CYCLE_1) | instskip(NEXT) | instid1(SALU_CYCLE_1)
	s_and_b32 s0, s0, exec_lo
	s_or_b32 s18, s15, s0
.LBB110_801:
	s_or_b32 exec_lo, exec_lo, s19
	s_and_saveexec_b32 s0, s18
	s_cbranch_execnz .LBB110_814
.LBB110_802:
	s_or_b32 exec_lo, exec_lo, s0
	s_mov_b32 s18, 0
	s_mov_b32 s19, 0
                                        ; implicit-def: $sgpr0
                                        ; implicit-def: $vgpr0_vgpr1
	s_and_saveexec_b32 s15, s20
	s_cbranch_execz .LBB110_810
; %bb.803:
	v_mul_lo_u32 v0, v6, s2
	s_and_b32 s0, s12, 0xff
	s_delay_alu instid0(SALU_CYCLE_1) | instskip(NEXT) | instid1(VALU_DEP_1)
	s_cmp_lt_i32 s0, 11
	v_ashrrev_i32_e32 v1, 31, v0
	s_delay_alu instid0(VALU_DEP_1)
	v_add_nc_u64_e32 v[0:1], s[4:5], v[0:1]
	s_cbranch_scc1 .LBB110_813
; %bb.804:
	s_and_b32 s19, 0xffff, s0
	s_mov_b32 s20, -1
	s_cmp_gt_i32 s19, 25
	s_mov_b32 s18, s17
	s_cbranch_scc0 .LBB110_834
; %bb.805:
	s_cmp_gt_i32 s19, 28
	s_mov_b32 s18, s17
	s_cbranch_scc0 .LBB110_824
; %bb.806:
	;; [unrolled: 4-line block ×4, first 2 shown]
	s_cmp_eq_u32 s19, 46
	s_mov_b32 s18, -1
	s_cbranch_scc0 .LBB110_815
; %bb.809:
	s_wait_loadcnt 0x0
	v_mov_b32_e32 v2, 0
	s_mov_b32 s18, 0
	s_mov_b32 s20, 0
	global_store_b32 v[0:1], v2, off
	s_branch .LBB110_816
.LBB110_810:
	s_or_b32 exec_lo, exec_lo, s15
	s_and_saveexec_b32 s15, s17
	s_cbranch_execnz .LBB110_854
.LBB110_811:
	s_or_b32 exec_lo, exec_lo, s15
	s_and_saveexec_b32 s15, s18
	s_delay_alu instid0(SALU_CYCLE_1)
	s_xor_b32 s15, exec_lo, s15
	s_cbranch_execz .LBB110_855
.LBB110_812:
	s_wait_loadcnt 0x0
	v_mov_b32_e32 v2, 0
	global_store_b8 v[0:1], v2, off
	s_wait_xcnt 0x0
	s_or_b32 exec_lo, exec_lo, s15
	s_and_saveexec_b32 s15, s19
	s_delay_alu instid0(SALU_CYCLE_1)
	s_xor_b32 s15, exec_lo, s15
	s_cbranch_execz .LBB110_893
	s_branch .LBB110_856
.LBB110_813:
	s_mov_b32 s21, 0
	s_mov_b32 s20, -1
	s_mov_b32 s18, s17
	s_branch .LBB110_853
.LBB110_814:
	s_or_b32 s16, s16, exec_lo
	s_and_not1_b32 s20, s20, exec_lo
	s_trap 2
	s_branch .LBB110_802
.LBB110_815:
	s_mov_b32 s20, 0
.LBB110_816:
	s_delay_alu instid0(SALU_CYCLE_1)
	s_and_b32 vcc_lo, exec_lo, s20
	s_cbranch_vccz .LBB110_819
; %bb.817:
	s_cmp_eq_u32 s19, 44
	s_mov_b32 s18, -1
	s_cbranch_scc0 .LBB110_819
; %bb.818:
	s_wait_loadcnt 0x0
	v_mov_b32_e32 v2, 0
	s_mov_b32 s18, 0
	s_mov_b32 s20, 0
	global_store_b8 v[0:1], v2, off
	s_branch .LBB110_820
.LBB110_819:
	s_mov_b32 s20, 0
.LBB110_820:
	s_delay_alu instid0(SALU_CYCLE_1)
	s_and_b32 vcc_lo, exec_lo, s20
	s_cbranch_vccz .LBB110_823
; %bb.821:
	s_cmp_eq_u32 s19, 29
	s_mov_b32 s18, -1
	s_cbranch_scc0 .LBB110_823
; %bb.822:
	s_wait_loadcnt 0x0
	v_mov_b64_e32 v[2:3], 0
	s_mov_b32 s18, 0
	s_mov_b32 s20, 0
	global_store_b64 v[0:1], v[2:3], off
	s_branch .LBB110_824
.LBB110_823:
	s_mov_b32 s20, 0
.LBB110_824:
	s_delay_alu instid0(SALU_CYCLE_1)
	s_and_b32 vcc_lo, exec_lo, s20
	s_cbranch_vccz .LBB110_833
; %bb.825:
	s_cmp_lt_i32 s19, 27
	s_mov_b32 s20, -1
	s_cbranch_scc1 .LBB110_831
; %bb.826:
	s_cmp_gt_i32 s19, 27
	s_cbranch_scc0 .LBB110_828
; %bb.827:
	s_wait_loadcnt 0x0
	v_mov_b32_e32 v2, 0
	s_mov_b32 s20, 0
	global_store_b32 v[0:1], v2, off
.LBB110_828:
	s_and_not1_b32 vcc_lo, exec_lo, s20
	s_cbranch_vccnz .LBB110_830
; %bb.829:
	s_wait_loadcnt 0x0
	v_mov_b32_e32 v2, 0
	global_store_b16 v[0:1], v2, off
.LBB110_830:
	s_mov_b32 s20, 0
.LBB110_831:
	s_delay_alu instid0(SALU_CYCLE_1)
	s_and_not1_b32 vcc_lo, exec_lo, s20
	s_cbranch_vccnz .LBB110_833
; %bb.832:
	s_wait_loadcnt 0x0
	v_mov_b32_e32 v2, 0
	global_store_b8 v[0:1], v2, off
.LBB110_833:
	s_mov_b32 s20, 0
.LBB110_834:
	s_delay_alu instid0(SALU_CYCLE_1)
	s_and_b32 vcc_lo, exec_lo, s20
	s_mov_b32 s20, 0
	s_cbranch_vccz .LBB110_852
; %bb.835:
	s_cmp_gt_i32 s19, 22
	s_mov_b32 s21, -1
	s_cbranch_scc0 .LBB110_845
; %bb.836:
	s_cmp_lt_i32 s19, 24
	s_cbranch_scc1 .LBB110_842
; %bb.837:
	s_cmp_gt_i32 s19, 24
	s_cbranch_scc0 .LBB110_839
; %bb.838:
	s_wait_loadcnt 0x0
	v_mov_b32_e32 v2, 0
	s_mov_b32 s21, 0
	global_store_b8 v[0:1], v2, off
.LBB110_839:
	s_and_not1_b32 vcc_lo, exec_lo, s21
	s_cbranch_vccnz .LBB110_841
; %bb.840:
	s_wait_loadcnt 0x0
	v_mov_b32_e32 v2, 0
	global_store_b8 v[0:1], v2, off
.LBB110_841:
	s_mov_b32 s21, 0
.LBB110_842:
	s_delay_alu instid0(SALU_CYCLE_1)
	s_and_not1_b32 vcc_lo, exec_lo, s21
	s_cbranch_vccnz .LBB110_844
; %bb.843:
	s_wait_loadcnt 0x0
	v_mov_b32_e32 v2, 0
	global_store_b8 v[0:1], v2, off
.LBB110_844:
	s_mov_b32 s21, 0
.LBB110_845:
	s_delay_alu instid0(SALU_CYCLE_1)
	s_and_not1_b32 vcc_lo, exec_lo, s21
	s_mov_b32 s21, 0
	s_cbranch_vccnz .LBB110_853
; %bb.846:
	s_cmp_gt_i32 s19, 14
	s_mov_b32 s21, -1
	s_cbranch_scc0 .LBB110_850
; %bb.847:
	s_cmp_eq_u32 s19, 15
	s_mov_b32 s18, -1
	s_cbranch_scc0 .LBB110_849
; %bb.848:
	s_wait_loadcnt 0x0
	v_mov_b32_e32 v2, 0
	s_mov_b32 s18, 0
	global_store_b16 v[0:1], v2, off
.LBB110_849:
	s_mov_b32 s21, 0
.LBB110_850:
	s_delay_alu instid0(SALU_CYCLE_1)
	s_and_b32 vcc_lo, exec_lo, s21
	s_mov_b32 s21, 0
	s_cbranch_vccz .LBB110_853
; %bb.851:
	s_cmp_lg_u32 s19, 11
	s_mov_b32 s21, -1
	s_cselect_b32 s19, -1, 0
	s_and_not1_b32 s18, s18, exec_lo
	s_and_b32 s19, s19, exec_lo
	s_delay_alu instid0(SALU_CYCLE_1)
	s_or_b32 s18, s18, s19
	s_branch .LBB110_853
.LBB110_852:
	s_mov_b32 s21, 0
.LBB110_853:
	s_and_b32 s19, s20, exec_lo
	s_and_not1_b32 s17, s17, exec_lo
	s_and_b32 s20, s18, exec_lo
	s_and_b32 s18, s21, exec_lo
	s_or_b32 s17, s17, s20
	s_wait_xcnt 0x0
	s_or_b32 exec_lo, exec_lo, s15
	s_and_saveexec_b32 s15, s17
	s_cbranch_execz .LBB110_811
.LBB110_854:
	s_or_b32 s16, s16, exec_lo
	s_and_not1_b32 s18, s18, exec_lo
	s_trap 2
	s_or_b32 exec_lo, exec_lo, s15
	s_and_saveexec_b32 s15, s18
	s_delay_alu instid0(SALU_CYCLE_1)
	s_xor_b32 s15, exec_lo, s15
	s_cbranch_execnz .LBB110_812
.LBB110_855:
	s_or_b32 exec_lo, exec_lo, s15
	s_and_saveexec_b32 s15, s19
	s_delay_alu instid0(SALU_CYCLE_1)
	s_xor_b32 s15, exec_lo, s15
	s_cbranch_execz .LBB110_893
.LBB110_856:
	s_sext_i32_i16 s18, s0
	s_mov_b32 s17, -1
	s_cmp_lt_i32 s18, 5
	s_cbranch_scc1 .LBB110_877
; %bb.857:
	s_cmp_lt_i32 s18, 8
	s_cbranch_scc1 .LBB110_867
; %bb.858:
	;; [unrolled: 3-line block ×3, first 2 shown]
	s_cmp_gt_i32 s18, 9
	s_cbranch_scc0 .LBB110_861
; %bb.860:
	s_wait_loadcnt 0x0
	v_mov_b32_e32 v2, 0
	s_mov_b32 s17, 0
	s_delay_alu instid0(VALU_DEP_1)
	v_dual_mov_b32 v3, v2 :: v_dual_mov_b32 v4, v2
	v_mov_b32_e32 v5, v2
	global_store_b128 v[0:1], v[2:5], off
.LBB110_861:
	s_and_not1_b32 vcc_lo, exec_lo, s17
	s_cbranch_vccnz .LBB110_863
; %bb.862:
	s_wait_loadcnt 0x0
	v_mov_b64_e32 v[2:3], 0
	global_store_b64 v[0:1], v[2:3], off
.LBB110_863:
	s_mov_b32 s17, 0
.LBB110_864:
	s_delay_alu instid0(SALU_CYCLE_1)
	s_and_not1_b32 vcc_lo, exec_lo, s17
	s_cbranch_vccnz .LBB110_866
; %bb.865:
	s_wait_loadcnt 0x0
	v_mov_b32_e32 v2, 0
	global_store_b32 v[0:1], v2, off
.LBB110_866:
	s_mov_b32 s17, 0
.LBB110_867:
	s_delay_alu instid0(SALU_CYCLE_1)
	s_and_not1_b32 vcc_lo, exec_lo, s17
	s_cbranch_vccnz .LBB110_876
; %bb.868:
	s_sext_i32_i16 s18, s0
	s_mov_b32 s17, -1
	s_cmp_lt_i32 s18, 6
	s_cbranch_scc1 .LBB110_874
; %bb.869:
	s_cmp_gt_i32 s18, 6
	s_cbranch_scc0 .LBB110_871
; %bb.870:
	s_wait_loadcnt 0x0
	v_mov_b64_e32 v[2:3], 0
	s_mov_b32 s17, 0
	global_store_b64 v[0:1], v[2:3], off
.LBB110_871:
	s_and_not1_b32 vcc_lo, exec_lo, s17
	s_cbranch_vccnz .LBB110_873
; %bb.872:
	s_wait_loadcnt 0x0
	v_mov_b32_e32 v2, 0
	global_store_b32 v[0:1], v2, off
.LBB110_873:
	s_mov_b32 s17, 0
.LBB110_874:
	s_delay_alu instid0(SALU_CYCLE_1)
	s_and_not1_b32 vcc_lo, exec_lo, s17
	s_cbranch_vccnz .LBB110_876
; %bb.875:
	s_wait_loadcnt 0x0
	v_mov_b32_e32 v2, 0
	global_store_b16 v[0:1], v2, off
.LBB110_876:
	s_mov_b32 s17, 0
.LBB110_877:
	s_delay_alu instid0(SALU_CYCLE_1)
	s_and_not1_b32 vcc_lo, exec_lo, s17
	s_cbranch_vccnz .LBB110_893
; %bb.878:
	s_sext_i32_i16 s18, s0
	s_mov_b32 s17, -1
	s_cmp_lt_i32 s18, 2
	s_cbranch_scc1 .LBB110_888
; %bb.879:
	s_cmp_lt_i32 s18, 3
	s_cbranch_scc1 .LBB110_885
; %bb.880:
	s_cmp_gt_i32 s18, 3
	s_cbranch_scc0 .LBB110_882
; %bb.881:
	s_wait_loadcnt 0x0
	v_mov_b64_e32 v[2:3], 0
	s_mov_b32 s17, 0
	global_store_b64 v[0:1], v[2:3], off
.LBB110_882:
	s_and_not1_b32 vcc_lo, exec_lo, s17
	s_cbranch_vccnz .LBB110_884
; %bb.883:
	s_wait_loadcnt 0x0
	v_mov_b32_e32 v2, 0
	global_store_b32 v[0:1], v2, off
.LBB110_884:
	s_mov_b32 s17, 0
.LBB110_885:
	s_delay_alu instid0(SALU_CYCLE_1)
	s_and_not1_b32 vcc_lo, exec_lo, s17
	s_cbranch_vccnz .LBB110_887
; %bb.886:
	s_wait_loadcnt 0x0
	v_mov_b32_e32 v2, 0
	global_store_b16 v[0:1], v2, off
.LBB110_887:
	s_mov_b32 s17, 0
.LBB110_888:
	s_delay_alu instid0(SALU_CYCLE_1)
	s_and_not1_b32 vcc_lo, exec_lo, s17
	s_cbranch_vccnz .LBB110_893
; %bb.889:
	s_sext_i32_i16 s0, s0
	s_delay_alu instid0(SALU_CYCLE_1)
	s_cmp_gt_i32 s0, 0
	s_mov_b32 s0, -1
	s_cbranch_scc0 .LBB110_891
; %bb.890:
	s_wait_loadcnt 0x0
	v_mov_b32_e32 v2, 0
	s_mov_b32 s0, 0
	global_store_b8 v[0:1], v2, off
.LBB110_891:
	s_and_not1_b32 vcc_lo, exec_lo, s0
	s_cbranch_vccnz .LBB110_893
; %bb.892:
	s_wait_loadcnt 0x0
	v_mov_b32_e32 v2, 0
	global_store_b8 v[0:1], v2, off
.LBB110_893:
	s_wait_xcnt 0x0
	s_or_b32 exec_lo, exec_lo, s15
	s_delay_alu instid0(SALU_CYCLE_1)
	s_and_b32 s15, s16, exec_lo
                                        ; implicit-def: $vgpr6
.LBB110_894:
	s_or_saveexec_b32 s14, s14
	s_mov_b32 s17, 0
                                        ; implicit-def: $sgpr0
                                        ; implicit-def: $vgpr2_vgpr3
	s_xor_b32 exec_lo, exec_lo, s14
	s_cbranch_execz .LBB110_1729
; %bb.895:
	v_mul_lo_u32 v0, s3, v6
	s_and_b32 s17, 0xffff, s13
	s_delay_alu instid0(SALU_CYCLE_1) | instskip(NEXT) | instid1(VALU_DEP_1)
	s_cmp_lt_i32 s17, 11
	v_ashrrev_i32_e32 v1, 31, v0
	s_wait_loadcnt 0x0
	s_delay_alu instid0(VALU_DEP_1)
	v_add_nc_u64_e32 v[2:3], s[6:7], v[0:1]
	s_cbranch_scc1 .LBB110_902
; %bb.896:
	s_cmp_gt_i32 s17, 25
	s_mov_b32 s13, 0
	s_cbranch_scc0 .LBB110_913
; %bb.897:
	s_cmp_gt_i32 s17, 28
	s_cbranch_scc0 .LBB110_914
; %bb.898:
	s_cmp_gt_i32 s17, 43
	;; [unrolled: 3-line block ×3, first 2 shown]
	s_cbranch_scc0 .LBB110_928
; %bb.900:
	s_cmp_eq_u32 s17, 46
	s_cbranch_scc0 .LBB110_931
; %bb.901:
	global_load_b32 v1, v[2:3], off
	s_mov_b32 s0, 0
	s_mov_b32 s16, -1
	s_wait_loadcnt 0x0
	v_lshlrev_b32_e32 v1, 16, v1
	s_delay_alu instid0(VALU_DEP_1) | instskip(NEXT) | instid1(VALU_DEP_1)
	v_trunc_f32_e32 v1, v1
	v_mul_f32_e64 v4, 0x2f800000, |v1|
	s_delay_alu instid0(VALU_DEP_1) | instskip(SKIP_1) | instid1(VALU_DEP_2)
	v_floor_f32_e32 v5, v4
	v_ashrrev_i32_e32 v4, 31, v1
	v_fma_f32 v7, 0xcf800000, v5, |v1|
	v_cvt_u32_f32_e32 v1, v5
	s_delay_alu instid0(VALU_DEP_3) | instskip(NEXT) | instid1(VALU_DEP_3)
	v_mov_b32_e32 v5, v4
	v_cvt_u32_f32_e32 v7, v7
	s_delay_alu instid0(VALU_DEP_3) | instskip(NEXT) | instid1(VALU_DEP_2)
	v_xor_b32_e32 v9, v1, v4
	v_xor_b32_e32 v8, v7, v4
	s_delay_alu instid0(VALU_DEP_1)
	v_sub_nc_u64_e32 v[4:5], v[8:9], v[4:5]
	s_branch .LBB110_933
.LBB110_902:
	s_mov_b32 s16, 0
	s_mov_b32 s1, s15
                                        ; implicit-def: $vgpr4_vgpr5
	s_cbranch_execnz .LBB110_993
.LBB110_903:
	s_and_not1_b32 vcc_lo, exec_lo, s16
	s_cbranch_vccnz .LBB110_1038
.LBB110_904:
	s_wait_loadcnt 0x0
	s_delay_alu instid0(VALU_DEP_1)
	v_cmp_gt_i64_e32 vcc_lo, s[8:9], v[4:5]
	v_cmp_le_i64_e64 s0, s[10:11], v[4:5]
	s_get_pc_i64 s[18:19]
	s_add_nc_u64 s[18:19], s[18:19], .str.5@rel64+4
	s_or_b32 s0, vcc_lo, s0
	s_cmp_eq_u64 s[18:19], 0
	s_cselect_b32 s13, -1, 0
	s_delay_alu instid0(SALU_CYCLE_1) | instskip(SKIP_2) | instid1(SALU_CYCLE_1)
	s_or_b32 s0, s13, s0
	s_wait_xcnt 0x0
	s_and_saveexec_b32 s13, s0
	s_xor_b32 s0, exec_lo, s13
	s_cbranch_execnz .LBB110_1288
.LBB110_905:
	s_or_saveexec_b32 s13, s0
	s_mov_b32 s16, 0
	s_mov_b32 s19, 0
                                        ; implicit-def: $sgpr0
                                        ; implicit-def: $vgpr2_vgpr3
	s_xor_b32 exec_lo, exec_lo, s13
	s_cbranch_execz .LBB110_1727
; %bb.906:
	s_lshl_b32 s20, s3, 7
	s_cmp_lt_i32 s17, 11
	v_add_nc_u32_e32 v0, s20, v0
	s_delay_alu instid0(VALU_DEP_1) | instskip(NEXT) | instid1(VALU_DEP_1)
	v_ashrrev_i32_e32 v1, 31, v0
	v_add_nc_u64_e32 v[2:3], s[6:7], v[0:1]
	s_cbranch_scc1 .LBB110_915
; %bb.907:
	s_cmp_gt_i32 s17, 25
	s_cbranch_scc0 .LBB110_927
; %bb.908:
	s_cmp_gt_i32 s17, 28
	s_cbranch_scc0 .LBB110_929
	;; [unrolled: 3-line block ×4, first 2 shown]
; %bb.911:
	s_cmp_eq_u32 s17, 46
	s_mov_b32 s3, 0
	s_cbranch_scc0 .LBB110_1042
; %bb.912:
	global_load_b32 v1, v[2:3], off
	s_mov_b32 s0, 0
	s_mov_b32 s18, -1
	s_wait_loadcnt 0x0
	v_lshlrev_b32_e32 v1, 16, v1
	s_delay_alu instid0(VALU_DEP_1) | instskip(NEXT) | instid1(VALU_DEP_1)
	v_trunc_f32_e32 v1, v1
	v_mul_f32_e64 v4, 0x2f800000, |v1|
	s_delay_alu instid0(VALU_DEP_1) | instskip(SKIP_1) | instid1(VALU_DEP_2)
	v_floor_f32_e32 v5, v4
	v_ashrrev_i32_e32 v4, 31, v1
	v_fma_f32 v7, 0xcf800000, v5, |v1|
	v_cvt_u32_f32_e32 v1, v5
	s_delay_alu instid0(VALU_DEP_3) | instskip(NEXT) | instid1(VALU_DEP_3)
	v_mov_b32_e32 v5, v4
	v_cvt_u32_f32_e32 v7, v7
	s_delay_alu instid0(VALU_DEP_3) | instskip(NEXT) | instid1(VALU_DEP_2)
	v_xor_b32_e32 v9, v1, v4
	v_xor_b32_e32 v8, v7, v4
	s_delay_alu instid0(VALU_DEP_1)
	v_sub_nc_u64_e32 v[4:5], v[8:9], v[4:5]
	s_branch .LBB110_1044
.LBB110_913:
	s_mov_b32 s16, 0
	s_mov_b32 s0, 0
                                        ; implicit-def: $vgpr4_vgpr5
	s_cbranch_execnz .LBB110_960
	s_branch .LBB110_989
.LBB110_914:
	s_mov_b32 s16, 0
	s_mov_b32 s0, 0
                                        ; implicit-def: $vgpr4_vgpr5
	s_cbranch_execz .LBB110_959
	s_branch .LBB110_944
.LBB110_915:
	s_mov_b32 s18, 0
	s_mov_b32 s3, s1
                                        ; implicit-def: $vgpr4_vgpr5
	s_cbranch_execnz .LBB110_1107
.LBB110_916:
	s_and_not1_b32 vcc_lo, exec_lo, s18
	s_cbranch_vccnz .LBB110_1155
.LBB110_917:
	s_wait_loadcnt 0x0
	s_delay_alu instid0(VALU_DEP_1) | instskip(SKIP_4) | instid1(SALU_CYCLE_1)
	v_cmp_gt_i64_e32 vcc_lo, s[8:9], v[4:5]
	v_cmp_le_i64_e64 s0, s[10:11], v[4:5]
	s_or_b32 s0, vcc_lo, s0
	s_wait_xcnt 0x0
	s_and_saveexec_b32 s16, s0
	s_xor_b32 s0, exec_lo, s16
	s_cbranch_execnz .LBB110_1775
.LBB110_918:
	s_or_saveexec_b32 s16, s0
	s_mov_b32 s18, 0
	s_mov_b32 s19, 0
                                        ; implicit-def: $sgpr0
                                        ; implicit-def: $vgpr2_vgpr3
	s_xor_b32 exec_lo, exec_lo, s16
	s_cbranch_execz .LBB110_1725
; %bb.919:
	v_add_nc_u32_e32 v0, s20, v0
	s_cmp_lt_i32 s17, 11
	s_delay_alu instid0(VALU_DEP_1) | instskip(NEXT) | instid1(VALU_DEP_1)
	v_ashrrev_i32_e32 v1, 31, v0
	v_add_nc_u64_e32 v[2:3], s[6:7], v[0:1]
	s_cbranch_scc1 .LBB110_930
; %bb.920:
	s_cmp_gt_i32 s17, 25
	s_cbranch_scc0 .LBB110_938
; %bb.921:
	s_cmp_gt_i32 s17, 28
	s_cbranch_scc0 .LBB110_1041
	;; [unrolled: 3-line block ×4, first 2 shown]
; %bb.924:
	s_cmp_eq_u32 s17, 46
	s_cbranch_scc0 .LBB110_1158
; %bb.925:
	global_load_b32 v1, v[2:3], off
	s_mov_b32 s0, 0
	s_mov_b32 s21, -1
	s_wait_loadcnt 0x0
	v_lshlrev_b32_e32 v1, 16, v1
	s_delay_alu instid0(VALU_DEP_1) | instskip(NEXT) | instid1(VALU_DEP_1)
	v_trunc_f32_e32 v1, v1
	v_mul_f32_e64 v4, 0x2f800000, |v1|
	s_delay_alu instid0(VALU_DEP_1) | instskip(SKIP_1) | instid1(VALU_DEP_2)
	v_floor_f32_e32 v5, v4
	v_ashrrev_i32_e32 v4, 31, v1
	v_fma_f32 v7, 0xcf800000, v5, |v1|
	v_cvt_u32_f32_e32 v1, v5
	s_delay_alu instid0(VALU_DEP_3) | instskip(NEXT) | instid1(VALU_DEP_3)
	v_mov_b32_e32 v5, v4
	v_cvt_u32_f32_e32 v7, v7
	s_delay_alu instid0(VALU_DEP_3) | instskip(NEXT) | instid1(VALU_DEP_2)
	v_xor_b32_e32 v9, v1, v4
	v_xor_b32_e32 v8, v7, v4
	s_delay_alu instid0(VALU_DEP_1)
	v_sub_nc_u64_e32 v[4:5], v[8:9], v[4:5]
	s_branch .LBB110_1160
.LBB110_926:
	s_mov_b32 s16, 0
	s_mov_b32 s0, 0
                                        ; implicit-def: $vgpr4_vgpr5
	s_cbranch_execnz .LBB110_940
	s_branch .LBB110_943
.LBB110_927:
	s_mov_b32 s3, -1
	s_mov_b32 s18, 0
	s_mov_b32 s0, 0
                                        ; implicit-def: $vgpr4_vgpr5
	s_branch .LBB110_1072
.LBB110_928:
	s_mov_b32 s1, -1
	s_mov_b32 s16, 0
	s_mov_b32 s0, 0
	s_branch .LBB110_932
.LBB110_929:
	s_mov_b32 s3, -1
	s_mov_b32 s18, 0
	s_mov_b32 s0, 0
                                        ; implicit-def: $vgpr4_vgpr5
	s_branch .LBB110_1055
.LBB110_930:
	s_mov_b32 s0, -1
	s_mov_b32 s21, 0
	s_mov_b32 s18, s3
                                        ; implicit-def: $vgpr4_vgpr5
	s_branch .LBB110_1222
.LBB110_931:
	s_mov_b32 s0, -1
	s_mov_b32 s16, 0
.LBB110_932:
                                        ; implicit-def: $vgpr4_vgpr5
.LBB110_933:
	s_and_b32 vcc_lo, exec_lo, s1
	s_cbranch_vccz .LBB110_936
; %bb.934:
	s_cmp_eq_u32 s17, 44
	s_cbranch_scc0 .LBB110_939
; %bb.935:
	global_load_u8 v1, v[2:3], off
	s_mov_b32 s0, 0
	s_mov_b32 s16, -1
	s_wait_loadcnt 0x0
	v_lshlrev_b32_e32 v4, 23, v1
	v_cmp_ne_u32_e32 vcc_lo, 0, v1
	s_delay_alu instid0(VALU_DEP_2) | instskip(NEXT) | instid1(VALU_DEP_1)
	v_trunc_f32_e32 v4, v4
	v_mul_f32_e64 v5, 0x2f800000, |v4|
	s_delay_alu instid0(VALU_DEP_1) | instskip(NEXT) | instid1(VALU_DEP_1)
	v_floor_f32_e32 v5, v5
	v_fma_f32 v7, 0xcf800000, v5, |v4|
	v_ashrrev_i32_e32 v4, 31, v4
	v_cvt_u32_f32_e32 v8, v5
	s_delay_alu instid0(VALU_DEP_3) | instskip(NEXT) | instid1(VALU_DEP_3)
	v_cvt_u32_f32_e32 v7, v7
	v_mov_b32_e32 v5, v4
	s_delay_alu instid0(VALU_DEP_3) | instskip(NEXT) | instid1(VALU_DEP_3)
	v_xor_b32_e32 v9, v8, v4
	v_xor_b32_e32 v8, v7, v4
	s_delay_alu instid0(VALU_DEP_1) | instskip(NEXT) | instid1(VALU_DEP_1)
	v_sub_nc_u64_e32 v[4:5], v[8:9], v[4:5]
	v_dual_cndmask_b32 v5, 0, v5 :: v_dual_cndmask_b32 v4, 0, v4
.LBB110_936:
	s_branch .LBB110_943
.LBB110_937:
	s_mov_b32 s3, -1
	s_mov_b32 s18, 0
	s_mov_b32 s0, 0
                                        ; implicit-def: $vgpr4_vgpr5
	s_branch .LBB110_1050
.LBB110_938:
	s_mov_b32 s18, -1
	s_mov_b32 s21, 0
	s_mov_b32 s0, 0
                                        ; implicit-def: $vgpr4_vgpr5
	s_branch .LBB110_1187
.LBB110_939:
	s_mov_b32 s0, -1
                                        ; implicit-def: $vgpr4_vgpr5
	s_branch .LBB110_943
.LBB110_940:
	s_cmp_eq_u32 s17, 29
	s_cbranch_scc0 .LBB110_942
; %bb.941:
	global_load_b64 v[4:5], v[2:3], off
	s_mov_b32 s0, 0
	s_mov_b32 s16, -1
	s_branch .LBB110_943
.LBB110_942:
	s_mov_b32 s0, -1
                                        ; implicit-def: $vgpr4_vgpr5
.LBB110_943:
	s_branch .LBB110_959
.LBB110_944:
	s_cmp_lt_i32 s17, 27
	s_cbranch_scc1 .LBB110_947
; %bb.945:
	s_cmp_gt_i32 s17, 27
	s_cbranch_scc0 .LBB110_948
; %bb.946:
	s_wait_loadcnt 0x0
	global_load_b32 v4, v[2:3], off
	v_mov_b32_e32 v5, 0
	s_mov_b32 s1, 0
	s_branch .LBB110_949
.LBB110_947:
	s_mov_b32 s1, -1
                                        ; implicit-def: $vgpr4_vgpr5
	s_branch .LBB110_952
.LBB110_948:
	s_mov_b32 s1, -1
                                        ; implicit-def: $vgpr4_vgpr5
.LBB110_949:
	s_delay_alu instid0(SALU_CYCLE_1)
	s_and_not1_b32 vcc_lo, exec_lo, s1
	s_cbranch_vccnz .LBB110_951
; %bb.950:
	global_load_u16 v1, v[2:3], off
	s_mov_b32 s1, 0
	s_wait_loadcnt 0x1
	v_mov_b32_e32 v5, s1
	s_wait_loadcnt 0x0
	v_and_b32_e32 v4, 0xffff, v1
.LBB110_951:
	s_mov_b32 s1, 0
.LBB110_952:
	s_delay_alu instid0(SALU_CYCLE_1)
	s_and_not1_b32 vcc_lo, exec_lo, s1
	s_cbranch_vccnz .LBB110_958
; %bb.953:
	global_load_u8 v1, v[2:3], off
	s_mov_b32 s16, 0
	s_mov_b32 s1, exec_lo
	s_wait_loadcnt 0x0
	v_cmpx_lt_i16_e32 0x7f, v1
	s_xor_b32 s1, exec_lo, s1
	s_cbranch_execz .LBB110_969
; %bb.954:
	v_cmp_ne_u16_e32 vcc_lo, 0x80, v1
	s_and_b32 s16, vcc_lo, exec_lo
	s_and_not1_saveexec_b32 s1, s1
	s_cbranch_execnz .LBB110_970
.LBB110_955:
	s_or_b32 exec_lo, exec_lo, s1
	v_mov_b64_e32 v[4:5], 0
	s_and_saveexec_b32 s1, s16
	s_cbranch_execz .LBB110_957
.LBB110_956:
	v_and_b32_e32 v4, 0xffff, v1
	s_delay_alu instid0(VALU_DEP_1) | instskip(SKIP_1) | instid1(VALU_DEP_2)
	v_and_b32_e32 v5, 7, v4
	v_bfe_u32 v9, v4, 3, 4
	v_clz_i32_u32_e32 v7, v5
	s_delay_alu instid0(VALU_DEP_2) | instskip(NEXT) | instid1(VALU_DEP_2)
	v_cmp_eq_u32_e32 vcc_lo, 0, v9
	v_min_u32_e32 v7, 32, v7
	s_delay_alu instid0(VALU_DEP_1) | instskip(NEXT) | instid1(VALU_DEP_1)
	v_subrev_nc_u32_e32 v8, 28, v7
	v_dual_lshlrev_b32 v4, v8, v4 :: v_dual_sub_nc_u32 v7, 29, v7
	s_delay_alu instid0(VALU_DEP_1) | instskip(NEXT) | instid1(VALU_DEP_2)
	v_dual_lshlrev_b32 v1, 24, v1 :: v_dual_bitop2_b32 v4, 7, v4 bitop3:0x40
	v_cndmask_b32_e32 v7, v9, v7, vcc_lo
	s_delay_alu instid0(VALU_DEP_2) | instskip(NEXT) | instid1(VALU_DEP_3)
	v_cndmask_b32_e32 v4, v5, v4, vcc_lo
	v_and_b32_e32 v1, 0x80000000, v1
	s_delay_alu instid0(VALU_DEP_3) | instskip(NEXT) | instid1(VALU_DEP_3)
	v_lshl_add_u32 v5, v7, 23, 0x3b800000
	v_lshlrev_b32_e32 v4, 20, v4
	s_delay_alu instid0(VALU_DEP_1) | instskip(NEXT) | instid1(VALU_DEP_1)
	v_or3_b32 v1, v1, v5, v4
	v_trunc_f32_e32 v1, v1
	s_delay_alu instid0(VALU_DEP_1) | instskip(NEXT) | instid1(VALU_DEP_1)
	v_mul_f32_e64 v4, 0x2f800000, |v1|
	v_floor_f32_e32 v5, v4
	v_ashrrev_i32_e32 v4, 31, v1
	s_delay_alu instid0(VALU_DEP_2) | instskip(SKIP_1) | instid1(VALU_DEP_3)
	v_fma_f32 v7, 0xcf800000, v5, |v1|
	v_cvt_u32_f32_e32 v1, v5
	v_mov_b32_e32 v5, v4
	s_delay_alu instid0(VALU_DEP_3) | instskip(NEXT) | instid1(VALU_DEP_3)
	v_cvt_u32_f32_e32 v7, v7
	v_xor_b32_e32 v9, v1, v4
	s_delay_alu instid0(VALU_DEP_2) | instskip(NEXT) | instid1(VALU_DEP_1)
	v_xor_b32_e32 v8, v7, v4
	v_sub_nc_u64_e32 v[4:5], v[8:9], v[4:5]
.LBB110_957:
	s_or_b32 exec_lo, exec_lo, s1
.LBB110_958:
	s_mov_b32 s16, -1
.LBB110_959:
	s_branch .LBB110_989
.LBB110_960:
	s_cmp_gt_i32 s17, 22
	s_cbranch_scc0 .LBB110_968
; %bb.961:
	s_cmp_lt_i32 s17, 24
	s_cbranch_scc1 .LBB110_971
; %bb.962:
	s_cmp_gt_i32 s17, 24
	s_cbranch_scc0 .LBB110_972
; %bb.963:
	global_load_u8 v1, v[2:3], off
	s_mov_b32 s1, exec_lo
	s_wait_loadcnt 0x0
	v_cmpx_lt_i16_e32 0x7f, v1
	s_xor_b32 s1, exec_lo, s1
	s_cbranch_execz .LBB110_983
; %bb.964:
	v_cmp_ne_u16_e32 vcc_lo, 0x80, v1
	s_and_b32 s13, vcc_lo, exec_lo
	s_and_not1_saveexec_b32 s1, s1
	s_cbranch_execnz .LBB110_984
.LBB110_965:
	s_or_b32 exec_lo, exec_lo, s1
	v_mov_b64_e32 v[4:5], 0
	s_and_saveexec_b32 s1, s13
	s_cbranch_execz .LBB110_967
.LBB110_966:
	v_and_b32_e32 v4, 0xffff, v1
	s_delay_alu instid0(VALU_DEP_1) | instskip(SKIP_1) | instid1(VALU_DEP_2)
	v_and_b32_e32 v5, 3, v4
	v_bfe_u32 v9, v4, 2, 5
	v_clz_i32_u32_e32 v7, v5
	s_delay_alu instid0(VALU_DEP_2) | instskip(NEXT) | instid1(VALU_DEP_2)
	v_cmp_eq_u32_e32 vcc_lo, 0, v9
	v_min_u32_e32 v7, 32, v7
	s_delay_alu instid0(VALU_DEP_1) | instskip(NEXT) | instid1(VALU_DEP_1)
	v_subrev_nc_u32_e32 v8, 29, v7
	v_dual_lshlrev_b32 v4, v8, v4 :: v_dual_sub_nc_u32 v7, 30, v7
	s_delay_alu instid0(VALU_DEP_1) | instskip(NEXT) | instid1(VALU_DEP_2)
	v_dual_lshlrev_b32 v1, 24, v1 :: v_dual_bitop2_b32 v4, 3, v4 bitop3:0x40
	v_cndmask_b32_e32 v7, v9, v7, vcc_lo
	s_delay_alu instid0(VALU_DEP_2) | instskip(NEXT) | instid1(VALU_DEP_3)
	v_cndmask_b32_e32 v4, v5, v4, vcc_lo
	v_and_b32_e32 v1, 0x80000000, v1
	s_delay_alu instid0(VALU_DEP_3) | instskip(NEXT) | instid1(VALU_DEP_3)
	v_lshl_add_u32 v5, v7, 23, 0x37800000
	v_lshlrev_b32_e32 v4, 21, v4
	s_delay_alu instid0(VALU_DEP_1) | instskip(NEXT) | instid1(VALU_DEP_1)
	v_or3_b32 v1, v1, v5, v4
	v_trunc_f32_e32 v1, v1
	s_delay_alu instid0(VALU_DEP_1) | instskip(NEXT) | instid1(VALU_DEP_1)
	v_mul_f32_e64 v4, 0x2f800000, |v1|
	v_floor_f32_e32 v5, v4
	v_ashrrev_i32_e32 v4, 31, v1
	s_delay_alu instid0(VALU_DEP_2) | instskip(SKIP_1) | instid1(VALU_DEP_3)
	v_fma_f32 v7, 0xcf800000, v5, |v1|
	v_cvt_u32_f32_e32 v1, v5
	v_mov_b32_e32 v5, v4
	s_delay_alu instid0(VALU_DEP_3) | instskip(NEXT) | instid1(VALU_DEP_3)
	v_cvt_u32_f32_e32 v7, v7
	v_xor_b32_e32 v9, v1, v4
	s_delay_alu instid0(VALU_DEP_2) | instskip(NEXT) | instid1(VALU_DEP_1)
	v_xor_b32_e32 v8, v7, v4
	v_sub_nc_u64_e32 v[4:5], v[8:9], v[4:5]
.LBB110_967:
	s_or_b32 exec_lo, exec_lo, s1
	s_mov_b32 s1, 0
	s_branch .LBB110_973
.LBB110_968:
                                        ; implicit-def: $vgpr4_vgpr5
	s_mov_b32 s13, 0
	s_branch .LBB110_979
.LBB110_969:
	s_and_not1_saveexec_b32 s1, s1
	s_cbranch_execz .LBB110_955
.LBB110_970:
	v_cmp_ne_u16_e32 vcc_lo, 0, v1
	s_and_not1_b32 s16, s16, exec_lo
	s_and_b32 s18, vcc_lo, exec_lo
	s_delay_alu instid0(SALU_CYCLE_1)
	s_or_b32 s16, s16, s18
	s_or_b32 exec_lo, exec_lo, s1
	v_mov_b64_e32 v[4:5], 0
	s_and_saveexec_b32 s1, s16
	s_cbranch_execnz .LBB110_956
	s_branch .LBB110_957
.LBB110_971:
	s_mov_b32 s1, -1
                                        ; implicit-def: $vgpr4_vgpr5
	s_branch .LBB110_976
.LBB110_972:
	s_mov_b32 s1, -1
                                        ; implicit-def: $vgpr4_vgpr5
.LBB110_973:
	s_delay_alu instid0(SALU_CYCLE_1)
	s_and_b32 vcc_lo, exec_lo, s1
	s_cbranch_vccz .LBB110_975
; %bb.974:
	global_load_u8 v1, v[2:3], off
	s_wait_loadcnt 0x0
	v_lshlrev_b32_e32 v1, 24, v1
	s_delay_alu instid0(VALU_DEP_1) | instskip(NEXT) | instid1(VALU_DEP_1)
	v_and_b32_e32 v4, 0x7f000000, v1
	v_clz_i32_u32_e32 v5, v4
	v_add_nc_u32_e32 v8, 0x1000000, v4
	v_cmp_ne_u32_e32 vcc_lo, 0, v4
	s_delay_alu instid0(VALU_DEP_3) | instskip(NEXT) | instid1(VALU_DEP_1)
	v_min_u32_e32 v5, 32, v5
	v_sub_nc_u32_e64 v5, v5, 4 clamp
	s_delay_alu instid0(VALU_DEP_1) | instskip(NEXT) | instid1(VALU_DEP_1)
	v_dual_lshlrev_b32 v7, v5, v4 :: v_dual_lshlrev_b32 v5, 23, v5
	v_lshrrev_b32_e32 v7, 4, v7
	s_delay_alu instid0(VALU_DEP_1) | instskip(NEXT) | instid1(VALU_DEP_1)
	v_dual_sub_nc_u32 v5, v7, v5 :: v_dual_ashrrev_i32 v7, 8, v8
	v_add_nc_u32_e32 v5, 0x3c000000, v5
	s_delay_alu instid0(VALU_DEP_1) | instskip(NEXT) | instid1(VALU_DEP_1)
	v_and_or_b32 v5, 0x7f800000, v7, v5
	v_cndmask_b32_e32 v4, 0, v5, vcc_lo
	s_delay_alu instid0(VALU_DEP_1) | instskip(NEXT) | instid1(VALU_DEP_1)
	v_and_or_b32 v1, 0x80000000, v1, v4
	v_trunc_f32_e32 v1, v1
	s_delay_alu instid0(VALU_DEP_1) | instskip(NEXT) | instid1(VALU_DEP_1)
	v_mul_f32_e64 v4, 0x2f800000, |v1|
	v_floor_f32_e32 v5, v4
	v_ashrrev_i32_e32 v4, 31, v1
	s_delay_alu instid0(VALU_DEP_2) | instskip(SKIP_1) | instid1(VALU_DEP_3)
	v_fma_f32 v7, 0xcf800000, v5, |v1|
	v_cvt_u32_f32_e32 v1, v5
	v_mov_b32_e32 v5, v4
	s_delay_alu instid0(VALU_DEP_3) | instskip(NEXT) | instid1(VALU_DEP_3)
	v_cvt_u32_f32_e32 v7, v7
	v_xor_b32_e32 v9, v1, v4
	s_delay_alu instid0(VALU_DEP_2) | instskip(NEXT) | instid1(VALU_DEP_1)
	v_xor_b32_e32 v8, v7, v4
	v_sub_nc_u64_e32 v[4:5], v[8:9], v[4:5]
.LBB110_975:
	s_mov_b32 s1, 0
.LBB110_976:
	s_delay_alu instid0(SALU_CYCLE_1)
	s_and_not1_b32 vcc_lo, exec_lo, s1
	s_cbranch_vccnz .LBB110_978
; %bb.977:
	global_load_u8 v1, v[2:3], off
	s_wait_loadcnt 0x0
	v_lshlrev_b32_e32 v4, 25, v1
	v_lshlrev_b16 v1, 8, v1
	s_delay_alu instid0(VALU_DEP_1) | instskip(SKIP_1) | instid1(VALU_DEP_2)
	v_and_or_b32 v7, 0x7f00, v1, 0.5
	v_bfe_i32 v1, v1, 0, 16
	v_dual_add_f32 v7, -0.5, v7 :: v_dual_lshrrev_b32 v5, 4, v4
	v_cmp_gt_u32_e32 vcc_lo, 0x8000000, v4
	s_delay_alu instid0(VALU_DEP_2) | instskip(NEXT) | instid1(VALU_DEP_1)
	v_or_b32_e32 v5, 0x70000000, v5
	v_mul_f32_e32 v5, 0x7800000, v5
	s_delay_alu instid0(VALU_DEP_1) | instskip(NEXT) | instid1(VALU_DEP_1)
	v_cndmask_b32_e32 v4, v5, v7, vcc_lo
	v_and_or_b32 v1, 0x80000000, v1, v4
	s_delay_alu instid0(VALU_DEP_1) | instskip(NEXT) | instid1(VALU_DEP_1)
	v_trunc_f32_e32 v1, v1
	v_mul_f32_e64 v4, 0x2f800000, |v1|
	s_delay_alu instid0(VALU_DEP_1) | instskip(SKIP_1) | instid1(VALU_DEP_2)
	v_floor_f32_e32 v5, v4
	v_ashrrev_i32_e32 v4, 31, v1
	v_fma_f32 v7, 0xcf800000, v5, |v1|
	v_cvt_u32_f32_e32 v1, v5
	s_delay_alu instid0(VALU_DEP_3) | instskip(NEXT) | instid1(VALU_DEP_3)
	v_mov_b32_e32 v5, v4
	v_cvt_u32_f32_e32 v7, v7
	s_delay_alu instid0(VALU_DEP_3) | instskip(NEXT) | instid1(VALU_DEP_2)
	v_xor_b32_e32 v9, v1, v4
	v_xor_b32_e32 v8, v7, v4
	s_delay_alu instid0(VALU_DEP_1)
	v_sub_nc_u64_e32 v[4:5], v[8:9], v[4:5]
.LBB110_978:
	s_mov_b32 s16, -1
	s_mov_b32 s13, 0
	s_cbranch_execnz .LBB110_989
.LBB110_979:
	s_cmp_gt_i32 s17, 14
	s_cbranch_scc0 .LBB110_982
; %bb.980:
	s_cmp_eq_u32 s17, 15
	s_cbranch_scc0 .LBB110_985
; %bb.981:
	global_load_u16 v1, v[2:3], off
	s_mov_b32 s0, 0
	s_mov_b32 s16, -1
	s_wait_loadcnt 0x0
	v_lshlrev_b32_e32 v1, 16, v1
	s_delay_alu instid0(VALU_DEP_1) | instskip(NEXT) | instid1(VALU_DEP_1)
	v_trunc_f32_e32 v1, v1
	v_mul_f32_e64 v4, 0x2f800000, |v1|
	s_delay_alu instid0(VALU_DEP_1) | instskip(SKIP_1) | instid1(VALU_DEP_2)
	v_floor_f32_e32 v5, v4
	v_ashrrev_i32_e32 v4, 31, v1
	v_fma_f32 v7, 0xcf800000, v5, |v1|
	v_cvt_u32_f32_e32 v1, v5
	s_delay_alu instid0(VALU_DEP_3) | instskip(NEXT) | instid1(VALU_DEP_3)
	v_mov_b32_e32 v5, v4
	v_cvt_u32_f32_e32 v7, v7
	s_delay_alu instid0(VALU_DEP_3) | instskip(NEXT) | instid1(VALU_DEP_2)
	v_xor_b32_e32 v9, v1, v4
	v_xor_b32_e32 v8, v7, v4
	s_delay_alu instid0(VALU_DEP_1)
	v_sub_nc_u64_e32 v[4:5], v[8:9], v[4:5]
	s_branch .LBB110_986
.LBB110_982:
	s_mov_b32 s1, -1
                                        ; implicit-def: $vgpr4_vgpr5
	s_branch .LBB110_987
.LBB110_983:
	s_and_not1_saveexec_b32 s1, s1
	s_cbranch_execz .LBB110_965
.LBB110_984:
	v_cmp_ne_u16_e32 vcc_lo, 0, v1
	s_and_not1_b32 s13, s13, exec_lo
	s_and_b32 s16, vcc_lo, exec_lo
	s_delay_alu instid0(SALU_CYCLE_1)
	s_or_b32 s13, s13, s16
	s_or_b32 exec_lo, exec_lo, s1
	v_mov_b64_e32 v[4:5], 0
	s_and_saveexec_b32 s1, s13
	s_cbranch_execnz .LBB110_966
	s_branch .LBB110_967
.LBB110_985:
	s_mov_b32 s0, -1
                                        ; implicit-def: $vgpr4_vgpr5
.LBB110_986:
	s_mov_b32 s1, 0
.LBB110_987:
	s_delay_alu instid0(SALU_CYCLE_1)
	s_and_b32 vcc_lo, exec_lo, s1
	s_cbranch_vccz .LBB110_989
; %bb.988:
	s_cmp_lg_u32 s17, 11
	s_mov_b32 s13, -1
	s_cselect_b32 s0, -1, 0
.LBB110_989:
	s_delay_alu instid0(SALU_CYCLE_1)
	s_and_b32 vcc_lo, exec_lo, s0
	s_mov_b32 s1, s15
	s_cbranch_vccnz .LBB110_1039
; %bb.990:
	s_and_not1_b32 vcc_lo, exec_lo, s13
	s_cbranch_vccnz .LBB110_992
.LBB110_991:
	global_load_u8 v1, v[2:3], off
	s_mov_b32 s0, 0
	s_mov_b32 s16, -1
	s_wait_loadcnt 0x1
	v_mov_b32_e32 v5, s0
	s_wait_loadcnt 0x0
	v_cmp_ne_u16_e32 vcc_lo, 0, v1
	v_cndmask_b32_e64 v4, 0, 1, vcc_lo
.LBB110_992:
	s_branch .LBB110_903
.LBB110_993:
	s_cmp_lt_i32 s17, 5
	s_cbranch_scc1 .LBB110_998
; %bb.994:
	s_cmp_lt_i32 s17, 8
	s_cbranch_scc1 .LBB110_999
; %bb.995:
	;; [unrolled: 3-line block ×3, first 2 shown]
	s_cmp_gt_i32 s17, 9
	s_cbranch_scc0 .LBB110_1001
; %bb.997:
	s_wait_loadcnt 0x0
	global_load_b64 v[4:5], v[2:3], off
	s_mov_b32 s0, 0
	s_wait_loadcnt 0x0
	v_trunc_f64_e32 v[4:5], v[4:5]
	s_delay_alu instid0(VALU_DEP_1) | instskip(NEXT) | instid1(VALU_DEP_1)
	v_ldexp_f64 v[8:9], v[4:5], 0xffffffe0
	v_floor_f64_e32 v[8:9], v[8:9]
	s_delay_alu instid0(VALU_DEP_1) | instskip(SKIP_1) | instid1(VALU_DEP_2)
	v_fmamk_f64 v[10:11], v[8:9], 0xc1f00000, v[4:5]
	v_cvt_i32_f64_e32 v5, v[8:9]
	v_cvt_u32_f64_e32 v4, v[10:11]
	s_branch .LBB110_1002
.LBB110_998:
                                        ; implicit-def: $vgpr4_vgpr5
	s_branch .LBB110_1019
.LBB110_999:
                                        ; implicit-def: $vgpr4_vgpr5
	s_branch .LBB110_1008
.LBB110_1000:
	s_mov_b32 s0, -1
                                        ; implicit-def: $vgpr4_vgpr5
	s_branch .LBB110_1005
.LBB110_1001:
	s_mov_b32 s0, -1
                                        ; implicit-def: $vgpr4_vgpr5
.LBB110_1002:
	s_delay_alu instid0(SALU_CYCLE_1)
	s_and_not1_b32 vcc_lo, exec_lo, s0
	s_cbranch_vccnz .LBB110_1004
; %bb.1003:
	global_load_b32 v1, v[2:3], off
	s_wait_loadcnt 0x0
	v_trunc_f32_e32 v1, v1
	s_delay_alu instid0(VALU_DEP_1) | instskip(NEXT) | instid1(VALU_DEP_1)
	v_mul_f32_e64 v4, 0x2f800000, |v1|
	v_floor_f32_e32 v5, v4
	v_ashrrev_i32_e32 v4, 31, v1
	s_delay_alu instid0(VALU_DEP_2) | instskip(SKIP_1) | instid1(VALU_DEP_3)
	v_fma_f32 v7, 0xcf800000, v5, |v1|
	v_cvt_u32_f32_e32 v1, v5
	v_mov_b32_e32 v5, v4
	s_delay_alu instid0(VALU_DEP_3) | instskip(NEXT) | instid1(VALU_DEP_3)
	v_cvt_u32_f32_e32 v7, v7
	v_xor_b32_e32 v9, v1, v4
	s_delay_alu instid0(VALU_DEP_2) | instskip(NEXT) | instid1(VALU_DEP_1)
	v_xor_b32_e32 v8, v7, v4
	v_sub_nc_u64_e32 v[4:5], v[8:9], v[4:5]
.LBB110_1004:
	s_mov_b32 s0, 0
.LBB110_1005:
	s_delay_alu instid0(SALU_CYCLE_1)
	s_and_not1_b32 vcc_lo, exec_lo, s0
	s_cbranch_vccnz .LBB110_1007
; %bb.1006:
	global_load_b32 v1, v[2:3], off
	s_wait_loadcnt 0x0
	v_cvt_f32_f16_e32 v1, v1
	s_delay_alu instid0(VALU_DEP_1) | instskip(NEXT) | instid1(VALU_DEP_1)
	v_cvt_i32_f32_e32 v4, v1
	v_ashrrev_i32_e32 v5, 31, v4
.LBB110_1007:
	s_cbranch_execnz .LBB110_1018
.LBB110_1008:
	s_cmp_lt_i32 s17, 6
	s_cbranch_scc1 .LBB110_1011
; %bb.1009:
	s_cmp_gt_i32 s17, 6
	s_cbranch_scc0 .LBB110_1012
; %bb.1010:
	s_wait_loadcnt 0x0
	global_load_b64 v[4:5], v[2:3], off
	s_mov_b32 s0, 0
	s_wait_loadcnt 0x0
	v_trunc_f64_e32 v[4:5], v[4:5]
	s_delay_alu instid0(VALU_DEP_1) | instskip(NEXT) | instid1(VALU_DEP_1)
	v_ldexp_f64 v[8:9], v[4:5], 0xffffffe0
	v_floor_f64_e32 v[8:9], v[8:9]
	s_delay_alu instid0(VALU_DEP_1) | instskip(SKIP_1) | instid1(VALU_DEP_2)
	v_fmamk_f64 v[10:11], v[8:9], 0xc1f00000, v[4:5]
	v_cvt_i32_f64_e32 v5, v[8:9]
	v_cvt_u32_f64_e32 v4, v[10:11]
	s_branch .LBB110_1013
.LBB110_1011:
	s_mov_b32 s0, -1
                                        ; implicit-def: $vgpr4_vgpr5
	s_branch .LBB110_1016
.LBB110_1012:
	s_mov_b32 s0, -1
                                        ; implicit-def: $vgpr4_vgpr5
.LBB110_1013:
	s_delay_alu instid0(SALU_CYCLE_1)
	s_and_not1_b32 vcc_lo, exec_lo, s0
	s_cbranch_vccnz .LBB110_1015
; %bb.1014:
	global_load_b32 v1, v[2:3], off
	s_wait_loadcnt 0x0
	v_trunc_f32_e32 v1, v1
	s_delay_alu instid0(VALU_DEP_1) | instskip(NEXT) | instid1(VALU_DEP_1)
	v_mul_f32_e64 v4, 0x2f800000, |v1|
	v_floor_f32_e32 v5, v4
	v_ashrrev_i32_e32 v4, 31, v1
	s_delay_alu instid0(VALU_DEP_2) | instskip(SKIP_1) | instid1(VALU_DEP_3)
	v_fma_f32 v7, 0xcf800000, v5, |v1|
	v_cvt_u32_f32_e32 v1, v5
	v_mov_b32_e32 v5, v4
	s_delay_alu instid0(VALU_DEP_3) | instskip(NEXT) | instid1(VALU_DEP_3)
	v_cvt_u32_f32_e32 v7, v7
	v_xor_b32_e32 v9, v1, v4
	s_delay_alu instid0(VALU_DEP_2) | instskip(NEXT) | instid1(VALU_DEP_1)
	v_xor_b32_e32 v8, v7, v4
	v_sub_nc_u64_e32 v[4:5], v[8:9], v[4:5]
.LBB110_1015:
	s_mov_b32 s0, 0
.LBB110_1016:
	s_delay_alu instid0(SALU_CYCLE_1)
	s_and_not1_b32 vcc_lo, exec_lo, s0
	s_cbranch_vccnz .LBB110_1018
; %bb.1017:
	global_load_u16 v1, v[2:3], off
	s_wait_loadcnt 0x0
	v_cvt_f32_f16_e32 v1, v1
	s_delay_alu instid0(VALU_DEP_1) | instskip(NEXT) | instid1(VALU_DEP_1)
	v_cvt_i32_f32_e32 v4, v1
	v_ashrrev_i32_e32 v5, 31, v4
.LBB110_1018:
	s_cbranch_execnz .LBB110_1037
.LBB110_1019:
	s_cmp_lt_i32 s17, 2
	s_cbranch_scc1 .LBB110_1023
; %bb.1020:
	s_cmp_lt_i32 s17, 3
	s_cbranch_scc1 .LBB110_1024
; %bb.1021:
	s_cmp_gt_i32 s17, 3
	s_cbranch_scc0 .LBB110_1025
; %bb.1022:
	s_wait_loadcnt 0x0
	global_load_b64 v[4:5], v[2:3], off
	s_mov_b32 s0, 0
	s_branch .LBB110_1026
.LBB110_1023:
                                        ; implicit-def: $vgpr4_vgpr5
	s_branch .LBB110_1032
.LBB110_1024:
	s_mov_b32 s0, -1
                                        ; implicit-def: $vgpr4_vgpr5
	s_branch .LBB110_1029
.LBB110_1025:
	s_mov_b32 s0, -1
                                        ; implicit-def: $vgpr4_vgpr5
.LBB110_1026:
	s_delay_alu instid0(SALU_CYCLE_1)
	s_and_not1_b32 vcc_lo, exec_lo, s0
	s_cbranch_vccnz .LBB110_1028
; %bb.1027:
	s_wait_loadcnt 0x0
	global_load_b32 v4, v[2:3], off
	s_wait_loadcnt 0x0
	v_ashrrev_i32_e32 v5, 31, v4
.LBB110_1028:
	s_mov_b32 s0, 0
.LBB110_1029:
	s_delay_alu instid0(SALU_CYCLE_1)
	s_and_not1_b32 vcc_lo, exec_lo, s0
	s_cbranch_vccnz .LBB110_1031
; %bb.1030:
	global_load_u16 v1, v[2:3], off
	s_wait_loadcnt 0x0
	v_bfe_i32 v4, v1, 0, 16
	s_delay_alu instid0(VALU_DEP_1)
	v_ashrrev_i32_e32 v5, 31, v4
.LBB110_1031:
	s_cbranch_execnz .LBB110_1037
.LBB110_1032:
	s_cmp_gt_i32 s17, 0
	s_mov_b32 s0, 0
	s_cbranch_scc0 .LBB110_1034
; %bb.1033:
	global_load_i8 v1, v[2:3], off
	s_wait_loadcnt 0x0
	v_bfe_i32 v4, v1, 0, 16
	s_delay_alu instid0(VALU_DEP_1)
	v_ashrrev_i32_e32 v5, 31, v4
	s_branch .LBB110_1035
.LBB110_1034:
	s_mov_b32 s0, -1
                                        ; implicit-def: $vgpr4_vgpr5
.LBB110_1035:
	s_delay_alu instid0(SALU_CYCLE_1)
	s_and_not1_b32 vcc_lo, exec_lo, s0
	s_cbranch_vccnz .LBB110_1037
; %bb.1036:
	global_load_u8 v1, v[2:3], off
	s_mov_b32 s0, 0
	s_wait_loadcnt 0x1
	v_mov_b32_e32 v5, s0
	s_wait_loadcnt 0x0
	v_and_b32_e32 v4, 0xffff, v1
.LBB110_1037:
	s_branch .LBB110_904
.LBB110_1038:
	s_mov_b32 s16, 0
	s_mov_b32 s19, 0
                                        ; implicit-def: $sgpr0
                                        ; implicit-def: $vgpr2_vgpr3
	s_branch .LBB110_1728
.LBB110_1039:
	s_or_b32 s1, s15, exec_lo
	s_trap 2
	s_cbranch_execz .LBB110_991
	s_branch .LBB110_992
.LBB110_1040:
	s_mov_b32 s3, -1
	s_mov_b32 s18, 0
	s_mov_b32 s0, 0
	s_branch .LBB110_1043
.LBB110_1041:
	s_mov_b32 s18, -1
	s_mov_b32 s21, 0
	s_mov_b32 s0, 0
                                        ; implicit-def: $vgpr4_vgpr5
	s_branch .LBB110_1170
.LBB110_1042:
	s_mov_b32 s0, -1
	s_mov_b32 s18, 0
.LBB110_1043:
                                        ; implicit-def: $vgpr4_vgpr5
.LBB110_1044:
	s_and_b32 vcc_lo, exec_lo, s3
	s_cbranch_vccz .LBB110_1049
; %bb.1045:
	s_cmp_eq_u32 s17, 44
	s_cbranch_scc0 .LBB110_1048
; %bb.1046:
	global_load_u8 v1, v[2:3], off
	s_mov_b32 s0, 0
	s_mov_b32 s18, -1
	s_wait_loadcnt 0x0
	v_lshlrev_b32_e32 v4, 23, v1
	v_cmp_ne_u32_e32 vcc_lo, 0, v1
	s_delay_alu instid0(VALU_DEP_2) | instskip(NEXT) | instid1(VALU_DEP_1)
	v_trunc_f32_e32 v4, v4
	v_mul_f32_e64 v5, 0x2f800000, |v4|
	s_delay_alu instid0(VALU_DEP_1) | instskip(NEXT) | instid1(VALU_DEP_1)
	v_floor_f32_e32 v5, v5
	v_fma_f32 v7, 0xcf800000, v5, |v4|
	v_ashrrev_i32_e32 v4, 31, v4
	v_cvt_u32_f32_e32 v8, v5
	s_delay_alu instid0(VALU_DEP_3) | instskip(NEXT) | instid1(VALU_DEP_3)
	v_cvt_u32_f32_e32 v7, v7
	v_mov_b32_e32 v5, v4
	s_delay_alu instid0(VALU_DEP_3) | instskip(NEXT) | instid1(VALU_DEP_3)
	v_xor_b32_e32 v9, v8, v4
	v_xor_b32_e32 v8, v7, v4
	s_delay_alu instid0(VALU_DEP_1) | instskip(NEXT) | instid1(VALU_DEP_1)
	v_sub_nc_u64_e32 v[4:5], v[8:9], v[4:5]
	v_dual_cndmask_b32 v5, 0, v5 :: v_dual_cndmask_b32 v4, 0, v4
	s_branch .LBB110_1049
.LBB110_1047:
	s_mov_b32 s18, -1
	s_mov_b32 s21, 0
	s_mov_b32 s0, 0
                                        ; implicit-def: $vgpr4_vgpr5
	s_branch .LBB110_1165
.LBB110_1048:
	s_mov_b32 s0, -1
                                        ; implicit-def: $vgpr4_vgpr5
.LBB110_1049:
	s_mov_b32 s3, 0
.LBB110_1050:
	s_delay_alu instid0(SALU_CYCLE_1)
	s_and_b32 vcc_lo, exec_lo, s3
	s_cbranch_vccz .LBB110_1054
; %bb.1051:
	s_cmp_eq_u32 s17, 29
	s_cbranch_scc0 .LBB110_1053
; %bb.1052:
	global_load_b64 v[4:5], v[2:3], off
	s_mov_b32 s0, 0
	s_mov_b32 s18, -1
	s_branch .LBB110_1054
.LBB110_1053:
	s_mov_b32 s0, -1
                                        ; implicit-def: $vgpr4_vgpr5
.LBB110_1054:
	s_mov_b32 s3, 0
.LBB110_1055:
	s_delay_alu instid0(SALU_CYCLE_1)
	s_and_b32 vcc_lo, exec_lo, s3
	s_cbranch_vccz .LBB110_1071
; %bb.1056:
	s_cmp_lt_i32 s17, 27
	s_cbranch_scc1 .LBB110_1059
; %bb.1057:
	s_cmp_gt_i32 s17, 27
	s_cbranch_scc0 .LBB110_1060
; %bb.1058:
	s_wait_loadcnt 0x0
	global_load_b32 v4, v[2:3], off
	v_mov_b32_e32 v5, 0
	s_mov_b32 s3, 0
	s_branch .LBB110_1061
.LBB110_1059:
	s_mov_b32 s3, -1
                                        ; implicit-def: $vgpr4_vgpr5
	s_branch .LBB110_1064
.LBB110_1060:
	s_mov_b32 s3, -1
                                        ; implicit-def: $vgpr4_vgpr5
.LBB110_1061:
	s_delay_alu instid0(SALU_CYCLE_1)
	s_and_not1_b32 vcc_lo, exec_lo, s3
	s_cbranch_vccnz .LBB110_1063
; %bb.1062:
	global_load_u16 v1, v[2:3], off
	s_mov_b32 s3, 0
	s_wait_loadcnt 0x1
	v_mov_b32_e32 v5, s3
	s_wait_loadcnt 0x0
	v_and_b32_e32 v4, 0xffff, v1
.LBB110_1063:
	s_mov_b32 s3, 0
.LBB110_1064:
	s_delay_alu instid0(SALU_CYCLE_1)
	s_and_not1_b32 vcc_lo, exec_lo, s3
	s_cbranch_vccnz .LBB110_1070
; %bb.1065:
	global_load_u8 v1, v[2:3], off
	s_mov_b32 s18, 0
	s_mov_b32 s3, exec_lo
	s_wait_loadcnt 0x0
	v_cmpx_lt_i16_e32 0x7f, v1
	s_xor_b32 s3, exec_lo, s3
	s_cbranch_execz .LBB110_1082
; %bb.1066:
	v_cmp_ne_u16_e32 vcc_lo, 0x80, v1
	s_and_b32 s18, vcc_lo, exec_lo
	s_and_not1_saveexec_b32 s3, s3
	s_cbranch_execnz .LBB110_1083
.LBB110_1067:
	s_or_b32 exec_lo, exec_lo, s3
	v_mov_b64_e32 v[4:5], 0
	s_and_saveexec_b32 s3, s18
	s_cbranch_execz .LBB110_1069
.LBB110_1068:
	v_and_b32_e32 v4, 0xffff, v1
	s_delay_alu instid0(VALU_DEP_1) | instskip(SKIP_1) | instid1(VALU_DEP_2)
	v_and_b32_e32 v5, 7, v4
	v_bfe_u32 v9, v4, 3, 4
	v_clz_i32_u32_e32 v7, v5
	s_delay_alu instid0(VALU_DEP_2) | instskip(NEXT) | instid1(VALU_DEP_2)
	v_cmp_eq_u32_e32 vcc_lo, 0, v9
	v_min_u32_e32 v7, 32, v7
	s_delay_alu instid0(VALU_DEP_1) | instskip(NEXT) | instid1(VALU_DEP_1)
	v_subrev_nc_u32_e32 v8, 28, v7
	v_dual_lshlrev_b32 v4, v8, v4 :: v_dual_sub_nc_u32 v7, 29, v7
	s_delay_alu instid0(VALU_DEP_1) | instskip(NEXT) | instid1(VALU_DEP_2)
	v_dual_lshlrev_b32 v1, 24, v1 :: v_dual_bitop2_b32 v4, 7, v4 bitop3:0x40
	v_cndmask_b32_e32 v7, v9, v7, vcc_lo
	s_delay_alu instid0(VALU_DEP_2) | instskip(NEXT) | instid1(VALU_DEP_3)
	v_cndmask_b32_e32 v4, v5, v4, vcc_lo
	v_and_b32_e32 v1, 0x80000000, v1
	s_delay_alu instid0(VALU_DEP_3) | instskip(NEXT) | instid1(VALU_DEP_3)
	v_lshl_add_u32 v5, v7, 23, 0x3b800000
	v_lshlrev_b32_e32 v4, 20, v4
	s_delay_alu instid0(VALU_DEP_1) | instskip(NEXT) | instid1(VALU_DEP_1)
	v_or3_b32 v1, v1, v5, v4
	v_trunc_f32_e32 v1, v1
	s_delay_alu instid0(VALU_DEP_1) | instskip(NEXT) | instid1(VALU_DEP_1)
	v_mul_f32_e64 v4, 0x2f800000, |v1|
	v_floor_f32_e32 v5, v4
	v_ashrrev_i32_e32 v4, 31, v1
	s_delay_alu instid0(VALU_DEP_2) | instskip(SKIP_1) | instid1(VALU_DEP_3)
	v_fma_f32 v7, 0xcf800000, v5, |v1|
	v_cvt_u32_f32_e32 v1, v5
	v_mov_b32_e32 v5, v4
	s_delay_alu instid0(VALU_DEP_3) | instskip(NEXT) | instid1(VALU_DEP_3)
	v_cvt_u32_f32_e32 v7, v7
	v_xor_b32_e32 v9, v1, v4
	s_delay_alu instid0(VALU_DEP_2) | instskip(NEXT) | instid1(VALU_DEP_1)
	v_xor_b32_e32 v8, v7, v4
	v_sub_nc_u64_e32 v[4:5], v[8:9], v[4:5]
.LBB110_1069:
	s_or_b32 exec_lo, exec_lo, s3
.LBB110_1070:
	s_mov_b32 s18, -1
.LBB110_1071:
	s_mov_b32 s3, 0
.LBB110_1072:
	s_delay_alu instid0(SALU_CYCLE_1)
	s_and_b32 vcc_lo, exec_lo, s3
	s_cbranch_vccz .LBB110_1103
; %bb.1073:
	s_cmp_gt_i32 s17, 22
	s_cbranch_scc0 .LBB110_1081
; %bb.1074:
	s_cmp_lt_i32 s17, 24
	s_cbranch_scc1 .LBB110_1084
; %bb.1075:
	s_cmp_gt_i32 s17, 24
	s_cbranch_scc0 .LBB110_1085
; %bb.1076:
	global_load_u8 v1, v[2:3], off
	s_mov_b32 s3, exec_lo
	s_wait_loadcnt 0x0
	v_cmpx_lt_i16_e32 0x7f, v1
	s_xor_b32 s3, exec_lo, s3
	s_cbranch_execz .LBB110_1097
; %bb.1077:
	v_cmp_ne_u16_e32 vcc_lo, 0x80, v1
	s_and_b32 s16, vcc_lo, exec_lo
	s_and_not1_saveexec_b32 s3, s3
	s_cbranch_execnz .LBB110_1098
.LBB110_1078:
	s_or_b32 exec_lo, exec_lo, s3
	v_mov_b64_e32 v[4:5], 0
	s_and_saveexec_b32 s3, s16
	s_cbranch_execz .LBB110_1080
.LBB110_1079:
	v_and_b32_e32 v4, 0xffff, v1
	s_delay_alu instid0(VALU_DEP_1) | instskip(SKIP_1) | instid1(VALU_DEP_2)
	v_and_b32_e32 v5, 3, v4
	v_bfe_u32 v9, v4, 2, 5
	v_clz_i32_u32_e32 v7, v5
	s_delay_alu instid0(VALU_DEP_2) | instskip(NEXT) | instid1(VALU_DEP_2)
	v_cmp_eq_u32_e32 vcc_lo, 0, v9
	v_min_u32_e32 v7, 32, v7
	s_delay_alu instid0(VALU_DEP_1) | instskip(NEXT) | instid1(VALU_DEP_1)
	v_subrev_nc_u32_e32 v8, 29, v7
	v_dual_lshlrev_b32 v4, v8, v4 :: v_dual_sub_nc_u32 v7, 30, v7
	s_delay_alu instid0(VALU_DEP_1) | instskip(NEXT) | instid1(VALU_DEP_2)
	v_dual_lshlrev_b32 v1, 24, v1 :: v_dual_bitop2_b32 v4, 3, v4 bitop3:0x40
	v_cndmask_b32_e32 v7, v9, v7, vcc_lo
	s_delay_alu instid0(VALU_DEP_2) | instskip(NEXT) | instid1(VALU_DEP_3)
	v_cndmask_b32_e32 v4, v5, v4, vcc_lo
	v_and_b32_e32 v1, 0x80000000, v1
	s_delay_alu instid0(VALU_DEP_3) | instskip(NEXT) | instid1(VALU_DEP_3)
	v_lshl_add_u32 v5, v7, 23, 0x37800000
	v_lshlrev_b32_e32 v4, 21, v4
	s_delay_alu instid0(VALU_DEP_1) | instskip(NEXT) | instid1(VALU_DEP_1)
	v_or3_b32 v1, v1, v5, v4
	v_trunc_f32_e32 v1, v1
	s_delay_alu instid0(VALU_DEP_1) | instskip(NEXT) | instid1(VALU_DEP_1)
	v_mul_f32_e64 v4, 0x2f800000, |v1|
	v_floor_f32_e32 v5, v4
	v_ashrrev_i32_e32 v4, 31, v1
	s_delay_alu instid0(VALU_DEP_2) | instskip(SKIP_1) | instid1(VALU_DEP_3)
	v_fma_f32 v7, 0xcf800000, v5, |v1|
	v_cvt_u32_f32_e32 v1, v5
	v_mov_b32_e32 v5, v4
	s_delay_alu instid0(VALU_DEP_3) | instskip(NEXT) | instid1(VALU_DEP_3)
	v_cvt_u32_f32_e32 v7, v7
	v_xor_b32_e32 v9, v1, v4
	s_delay_alu instid0(VALU_DEP_2) | instskip(NEXT) | instid1(VALU_DEP_1)
	v_xor_b32_e32 v8, v7, v4
	v_sub_nc_u64_e32 v[4:5], v[8:9], v[4:5]
.LBB110_1080:
	s_or_b32 exec_lo, exec_lo, s3
	s_mov_b32 s3, 0
	s_branch .LBB110_1086
.LBB110_1081:
	s_mov_b32 s3, -1
                                        ; implicit-def: $vgpr4_vgpr5
	s_branch .LBB110_1092
.LBB110_1082:
	s_and_not1_saveexec_b32 s3, s3
	s_cbranch_execz .LBB110_1067
.LBB110_1083:
	v_cmp_ne_u16_e32 vcc_lo, 0, v1
	s_and_not1_b32 s18, s18, exec_lo
	s_and_b32 s19, vcc_lo, exec_lo
	s_delay_alu instid0(SALU_CYCLE_1)
	s_or_b32 s18, s18, s19
	s_or_b32 exec_lo, exec_lo, s3
	v_mov_b64_e32 v[4:5], 0
	s_and_saveexec_b32 s3, s18
	s_cbranch_execnz .LBB110_1068
	s_branch .LBB110_1069
.LBB110_1084:
	s_mov_b32 s3, -1
                                        ; implicit-def: $vgpr4_vgpr5
	s_branch .LBB110_1089
.LBB110_1085:
	s_mov_b32 s3, -1
                                        ; implicit-def: $vgpr4_vgpr5
.LBB110_1086:
	s_delay_alu instid0(SALU_CYCLE_1)
	s_and_b32 vcc_lo, exec_lo, s3
	s_cbranch_vccz .LBB110_1088
; %bb.1087:
	global_load_u8 v1, v[2:3], off
	s_wait_loadcnt 0x0
	v_lshlrev_b32_e32 v1, 24, v1
	s_delay_alu instid0(VALU_DEP_1) | instskip(NEXT) | instid1(VALU_DEP_1)
	v_and_b32_e32 v4, 0x7f000000, v1
	v_clz_i32_u32_e32 v5, v4
	v_add_nc_u32_e32 v8, 0x1000000, v4
	v_cmp_ne_u32_e32 vcc_lo, 0, v4
	s_delay_alu instid0(VALU_DEP_3) | instskip(NEXT) | instid1(VALU_DEP_1)
	v_min_u32_e32 v5, 32, v5
	v_sub_nc_u32_e64 v5, v5, 4 clamp
	s_delay_alu instid0(VALU_DEP_1) | instskip(NEXT) | instid1(VALU_DEP_1)
	v_dual_lshlrev_b32 v7, v5, v4 :: v_dual_lshlrev_b32 v5, 23, v5
	v_lshrrev_b32_e32 v7, 4, v7
	s_delay_alu instid0(VALU_DEP_1) | instskip(NEXT) | instid1(VALU_DEP_1)
	v_dual_sub_nc_u32 v5, v7, v5 :: v_dual_ashrrev_i32 v7, 8, v8
	v_add_nc_u32_e32 v5, 0x3c000000, v5
	s_delay_alu instid0(VALU_DEP_1) | instskip(NEXT) | instid1(VALU_DEP_1)
	v_and_or_b32 v5, 0x7f800000, v7, v5
	v_cndmask_b32_e32 v4, 0, v5, vcc_lo
	s_delay_alu instid0(VALU_DEP_1) | instskip(NEXT) | instid1(VALU_DEP_1)
	v_and_or_b32 v1, 0x80000000, v1, v4
	v_trunc_f32_e32 v1, v1
	s_delay_alu instid0(VALU_DEP_1) | instskip(NEXT) | instid1(VALU_DEP_1)
	v_mul_f32_e64 v4, 0x2f800000, |v1|
	v_floor_f32_e32 v5, v4
	v_ashrrev_i32_e32 v4, 31, v1
	s_delay_alu instid0(VALU_DEP_2) | instskip(SKIP_1) | instid1(VALU_DEP_3)
	v_fma_f32 v7, 0xcf800000, v5, |v1|
	v_cvt_u32_f32_e32 v1, v5
	v_mov_b32_e32 v5, v4
	s_delay_alu instid0(VALU_DEP_3) | instskip(NEXT) | instid1(VALU_DEP_3)
	v_cvt_u32_f32_e32 v7, v7
	v_xor_b32_e32 v9, v1, v4
	s_delay_alu instid0(VALU_DEP_2) | instskip(NEXT) | instid1(VALU_DEP_1)
	v_xor_b32_e32 v8, v7, v4
	v_sub_nc_u64_e32 v[4:5], v[8:9], v[4:5]
.LBB110_1088:
	s_mov_b32 s3, 0
.LBB110_1089:
	s_delay_alu instid0(SALU_CYCLE_1)
	s_and_not1_b32 vcc_lo, exec_lo, s3
	s_cbranch_vccnz .LBB110_1091
; %bb.1090:
	global_load_u8 v1, v[2:3], off
	s_wait_loadcnt 0x0
	v_lshlrev_b32_e32 v4, 25, v1
	v_lshlrev_b16 v1, 8, v1
	s_delay_alu instid0(VALU_DEP_1) | instskip(SKIP_1) | instid1(VALU_DEP_2)
	v_and_or_b32 v7, 0x7f00, v1, 0.5
	v_bfe_i32 v1, v1, 0, 16
	v_dual_add_f32 v7, -0.5, v7 :: v_dual_lshrrev_b32 v5, 4, v4
	v_cmp_gt_u32_e32 vcc_lo, 0x8000000, v4
	s_delay_alu instid0(VALU_DEP_2) | instskip(NEXT) | instid1(VALU_DEP_1)
	v_or_b32_e32 v5, 0x70000000, v5
	v_mul_f32_e32 v5, 0x7800000, v5
	s_delay_alu instid0(VALU_DEP_1) | instskip(NEXT) | instid1(VALU_DEP_1)
	v_cndmask_b32_e32 v4, v5, v7, vcc_lo
	v_and_or_b32 v1, 0x80000000, v1, v4
	s_delay_alu instid0(VALU_DEP_1) | instskip(NEXT) | instid1(VALU_DEP_1)
	v_trunc_f32_e32 v1, v1
	v_mul_f32_e64 v4, 0x2f800000, |v1|
	s_delay_alu instid0(VALU_DEP_1) | instskip(SKIP_1) | instid1(VALU_DEP_2)
	v_floor_f32_e32 v5, v4
	v_ashrrev_i32_e32 v4, 31, v1
	v_fma_f32 v7, 0xcf800000, v5, |v1|
	v_cvt_u32_f32_e32 v1, v5
	s_delay_alu instid0(VALU_DEP_3) | instskip(NEXT) | instid1(VALU_DEP_3)
	v_mov_b32_e32 v5, v4
	v_cvt_u32_f32_e32 v7, v7
	s_delay_alu instid0(VALU_DEP_3) | instskip(NEXT) | instid1(VALU_DEP_2)
	v_xor_b32_e32 v9, v1, v4
	v_xor_b32_e32 v8, v7, v4
	s_delay_alu instid0(VALU_DEP_1)
	v_sub_nc_u64_e32 v[4:5], v[8:9], v[4:5]
.LBB110_1091:
	s_mov_b32 s3, 0
	s_mov_b32 s18, -1
.LBB110_1092:
	s_and_not1_b32 vcc_lo, exec_lo, s3
	s_mov_b32 s16, 0
	s_cbranch_vccnz .LBB110_1103
; %bb.1093:
	s_cmp_gt_i32 s17, 14
	s_cbranch_scc0 .LBB110_1096
; %bb.1094:
	s_cmp_eq_u32 s17, 15
	s_cbranch_scc0 .LBB110_1099
; %bb.1095:
	global_load_u16 v1, v[2:3], off
	s_mov_b32 s0, 0
	s_mov_b32 s18, -1
	s_wait_loadcnt 0x0
	v_lshlrev_b32_e32 v1, 16, v1
	s_delay_alu instid0(VALU_DEP_1) | instskip(NEXT) | instid1(VALU_DEP_1)
	v_trunc_f32_e32 v1, v1
	v_mul_f32_e64 v4, 0x2f800000, |v1|
	s_delay_alu instid0(VALU_DEP_1) | instskip(SKIP_1) | instid1(VALU_DEP_2)
	v_floor_f32_e32 v5, v4
	v_ashrrev_i32_e32 v4, 31, v1
	v_fma_f32 v7, 0xcf800000, v5, |v1|
	v_cvt_u32_f32_e32 v1, v5
	s_delay_alu instid0(VALU_DEP_3) | instskip(NEXT) | instid1(VALU_DEP_3)
	v_mov_b32_e32 v5, v4
	v_cvt_u32_f32_e32 v7, v7
	s_delay_alu instid0(VALU_DEP_3) | instskip(NEXT) | instid1(VALU_DEP_2)
	v_xor_b32_e32 v9, v1, v4
	v_xor_b32_e32 v8, v7, v4
	s_delay_alu instid0(VALU_DEP_1)
	v_sub_nc_u64_e32 v[4:5], v[8:9], v[4:5]
	s_branch .LBB110_1100
.LBB110_1096:
	s_mov_b32 s3, -1
                                        ; implicit-def: $vgpr4_vgpr5
	s_branch .LBB110_1101
.LBB110_1097:
	s_and_not1_saveexec_b32 s3, s3
	s_cbranch_execz .LBB110_1078
.LBB110_1098:
	v_cmp_ne_u16_e32 vcc_lo, 0, v1
	s_and_not1_b32 s16, s16, exec_lo
	s_and_b32 s18, vcc_lo, exec_lo
	s_delay_alu instid0(SALU_CYCLE_1)
	s_or_b32 s16, s16, s18
	s_or_b32 exec_lo, exec_lo, s3
	v_mov_b64_e32 v[4:5], 0
	s_and_saveexec_b32 s3, s16
	s_cbranch_execnz .LBB110_1079
	s_branch .LBB110_1080
.LBB110_1099:
	s_mov_b32 s0, -1
                                        ; implicit-def: $vgpr4_vgpr5
.LBB110_1100:
	s_mov_b32 s3, 0
.LBB110_1101:
	s_delay_alu instid0(SALU_CYCLE_1)
	s_and_b32 vcc_lo, exec_lo, s3
	s_cbranch_vccz .LBB110_1103
; %bb.1102:
	s_cmp_lg_u32 s17, 11
	s_mov_b32 s16, -1
	s_cselect_b32 s0, -1, 0
.LBB110_1103:
	s_delay_alu instid0(SALU_CYCLE_1)
	s_and_b32 vcc_lo, exec_lo, s0
	s_mov_b32 s3, s1
	s_cbranch_vccnz .LBB110_1156
; %bb.1104:
	s_and_not1_b32 vcc_lo, exec_lo, s16
	s_cbranch_vccnz .LBB110_1106
.LBB110_1105:
	global_load_u8 v1, v[2:3], off
	s_mov_b32 s0, 0
	s_mov_b32 s18, -1
	s_wait_loadcnt 0x1
	v_mov_b32_e32 v5, s0
	s_wait_loadcnt 0x0
	v_cmp_ne_u16_e32 vcc_lo, 0, v1
	v_cndmask_b32_e64 v4, 0, 1, vcc_lo
.LBB110_1106:
	s_branch .LBB110_916
.LBB110_1107:
	s_cmp_lt_i32 s17, 5
	s_cbranch_scc1 .LBB110_1112
; %bb.1108:
	s_cmp_lt_i32 s17, 8
	s_cbranch_scc1 .LBB110_1113
; %bb.1109:
	s_cmp_lt_i32 s17, 9
	s_cbranch_scc1 .LBB110_1114
; %bb.1110:
	s_cmp_gt_i32 s17, 9
	s_cbranch_scc0 .LBB110_1115
; %bb.1111:
	s_wait_loadcnt 0x0
	global_load_b64 v[4:5], v[2:3], off
	s_mov_b32 s0, 0
	s_wait_loadcnt 0x0
	v_trunc_f64_e32 v[4:5], v[4:5]
	s_delay_alu instid0(VALU_DEP_1) | instskip(NEXT) | instid1(VALU_DEP_1)
	v_ldexp_f64 v[8:9], v[4:5], 0xffffffe0
	v_floor_f64_e32 v[8:9], v[8:9]
	s_delay_alu instid0(VALU_DEP_1) | instskip(SKIP_1) | instid1(VALU_DEP_2)
	v_fmamk_f64 v[10:11], v[8:9], 0xc1f00000, v[4:5]
	v_cvt_i32_f64_e32 v5, v[8:9]
	v_cvt_u32_f64_e32 v4, v[10:11]
	s_branch .LBB110_1116
.LBB110_1112:
	s_mov_b32 s0, -1
                                        ; implicit-def: $vgpr4_vgpr5
	s_branch .LBB110_1134
.LBB110_1113:
	s_mov_b32 s0, -1
                                        ; implicit-def: $vgpr4_vgpr5
	s_branch .LBB110_1122
.LBB110_1114:
	s_mov_b32 s0, -1
                                        ; implicit-def: $vgpr4_vgpr5
	s_branch .LBB110_1119
.LBB110_1115:
	s_mov_b32 s0, -1
                                        ; implicit-def: $vgpr4_vgpr5
.LBB110_1116:
	s_delay_alu instid0(SALU_CYCLE_1)
	s_and_not1_b32 vcc_lo, exec_lo, s0
	s_cbranch_vccnz .LBB110_1118
; %bb.1117:
	global_load_b32 v1, v[2:3], off
	s_wait_loadcnt 0x0
	v_trunc_f32_e32 v1, v1
	s_delay_alu instid0(VALU_DEP_1) | instskip(NEXT) | instid1(VALU_DEP_1)
	v_mul_f32_e64 v4, 0x2f800000, |v1|
	v_floor_f32_e32 v5, v4
	v_ashrrev_i32_e32 v4, 31, v1
	s_delay_alu instid0(VALU_DEP_2) | instskip(SKIP_1) | instid1(VALU_DEP_3)
	v_fma_f32 v7, 0xcf800000, v5, |v1|
	v_cvt_u32_f32_e32 v1, v5
	v_mov_b32_e32 v5, v4
	s_delay_alu instid0(VALU_DEP_3) | instskip(NEXT) | instid1(VALU_DEP_3)
	v_cvt_u32_f32_e32 v7, v7
	v_xor_b32_e32 v9, v1, v4
	s_delay_alu instid0(VALU_DEP_2) | instskip(NEXT) | instid1(VALU_DEP_1)
	v_xor_b32_e32 v8, v7, v4
	v_sub_nc_u64_e32 v[4:5], v[8:9], v[4:5]
.LBB110_1118:
	s_mov_b32 s0, 0
.LBB110_1119:
	s_delay_alu instid0(SALU_CYCLE_1)
	s_and_not1_b32 vcc_lo, exec_lo, s0
	s_cbranch_vccnz .LBB110_1121
; %bb.1120:
	global_load_b32 v1, v[2:3], off
	s_wait_loadcnt 0x0
	v_cvt_f32_f16_e32 v1, v1
	s_delay_alu instid0(VALU_DEP_1) | instskip(NEXT) | instid1(VALU_DEP_1)
	v_cvt_i32_f32_e32 v4, v1
	v_ashrrev_i32_e32 v5, 31, v4
.LBB110_1121:
	s_mov_b32 s0, 0
.LBB110_1122:
	s_delay_alu instid0(SALU_CYCLE_1)
	s_and_not1_b32 vcc_lo, exec_lo, s0
	s_cbranch_vccnz .LBB110_1133
; %bb.1123:
	s_cmp_lt_i32 s17, 6
	s_cbranch_scc1 .LBB110_1126
; %bb.1124:
	s_cmp_gt_i32 s17, 6
	s_cbranch_scc0 .LBB110_1127
; %bb.1125:
	s_wait_loadcnt 0x0
	global_load_b64 v[4:5], v[2:3], off
	s_mov_b32 s0, 0
	s_wait_loadcnt 0x0
	v_trunc_f64_e32 v[4:5], v[4:5]
	s_delay_alu instid0(VALU_DEP_1) | instskip(NEXT) | instid1(VALU_DEP_1)
	v_ldexp_f64 v[8:9], v[4:5], 0xffffffe0
	v_floor_f64_e32 v[8:9], v[8:9]
	s_delay_alu instid0(VALU_DEP_1) | instskip(SKIP_1) | instid1(VALU_DEP_2)
	v_fmamk_f64 v[10:11], v[8:9], 0xc1f00000, v[4:5]
	v_cvt_i32_f64_e32 v5, v[8:9]
	v_cvt_u32_f64_e32 v4, v[10:11]
	s_branch .LBB110_1128
.LBB110_1126:
	s_mov_b32 s0, -1
                                        ; implicit-def: $vgpr4_vgpr5
	s_branch .LBB110_1131
.LBB110_1127:
	s_mov_b32 s0, -1
                                        ; implicit-def: $vgpr4_vgpr5
.LBB110_1128:
	s_delay_alu instid0(SALU_CYCLE_1)
	s_and_not1_b32 vcc_lo, exec_lo, s0
	s_cbranch_vccnz .LBB110_1130
; %bb.1129:
	global_load_b32 v1, v[2:3], off
	s_wait_loadcnt 0x0
	v_trunc_f32_e32 v1, v1
	s_delay_alu instid0(VALU_DEP_1) | instskip(NEXT) | instid1(VALU_DEP_1)
	v_mul_f32_e64 v4, 0x2f800000, |v1|
	v_floor_f32_e32 v5, v4
	v_ashrrev_i32_e32 v4, 31, v1
	s_delay_alu instid0(VALU_DEP_2) | instskip(SKIP_1) | instid1(VALU_DEP_3)
	v_fma_f32 v7, 0xcf800000, v5, |v1|
	v_cvt_u32_f32_e32 v1, v5
	v_mov_b32_e32 v5, v4
	s_delay_alu instid0(VALU_DEP_3) | instskip(NEXT) | instid1(VALU_DEP_3)
	v_cvt_u32_f32_e32 v7, v7
	v_xor_b32_e32 v9, v1, v4
	s_delay_alu instid0(VALU_DEP_2) | instskip(NEXT) | instid1(VALU_DEP_1)
	v_xor_b32_e32 v8, v7, v4
	v_sub_nc_u64_e32 v[4:5], v[8:9], v[4:5]
.LBB110_1130:
	s_mov_b32 s0, 0
.LBB110_1131:
	s_delay_alu instid0(SALU_CYCLE_1)
	s_and_not1_b32 vcc_lo, exec_lo, s0
	s_cbranch_vccnz .LBB110_1133
; %bb.1132:
	global_load_u16 v1, v[2:3], off
	s_wait_loadcnt 0x0
	v_cvt_f32_f16_e32 v1, v1
	s_delay_alu instid0(VALU_DEP_1) | instskip(NEXT) | instid1(VALU_DEP_1)
	v_cvt_i32_f32_e32 v4, v1
	v_ashrrev_i32_e32 v5, 31, v4
.LBB110_1133:
	s_mov_b32 s0, 0
.LBB110_1134:
	s_delay_alu instid0(SALU_CYCLE_1)
	s_and_not1_b32 vcc_lo, exec_lo, s0
	s_cbranch_vccnz .LBB110_1154
; %bb.1135:
	s_cmp_lt_i32 s17, 2
	s_cbranch_scc1 .LBB110_1139
; %bb.1136:
	s_cmp_lt_i32 s17, 3
	s_cbranch_scc1 .LBB110_1140
; %bb.1137:
	s_cmp_gt_i32 s17, 3
	s_cbranch_scc0 .LBB110_1141
; %bb.1138:
	s_wait_loadcnt 0x0
	global_load_b64 v[4:5], v[2:3], off
	s_mov_b32 s0, 0
	s_branch .LBB110_1142
.LBB110_1139:
	s_mov_b32 s0, -1
                                        ; implicit-def: $vgpr4_vgpr5
	s_branch .LBB110_1148
.LBB110_1140:
	s_mov_b32 s0, -1
                                        ; implicit-def: $vgpr4_vgpr5
	s_branch .LBB110_1145
.LBB110_1141:
	s_mov_b32 s0, -1
                                        ; implicit-def: $vgpr4_vgpr5
.LBB110_1142:
	s_delay_alu instid0(SALU_CYCLE_1)
	s_and_not1_b32 vcc_lo, exec_lo, s0
	s_cbranch_vccnz .LBB110_1144
; %bb.1143:
	s_wait_loadcnt 0x0
	global_load_b32 v4, v[2:3], off
	s_wait_loadcnt 0x0
	v_ashrrev_i32_e32 v5, 31, v4
.LBB110_1144:
	s_mov_b32 s0, 0
.LBB110_1145:
	s_delay_alu instid0(SALU_CYCLE_1)
	s_and_not1_b32 vcc_lo, exec_lo, s0
	s_cbranch_vccnz .LBB110_1147
; %bb.1146:
	global_load_u16 v1, v[2:3], off
	s_wait_loadcnt 0x0
	v_bfe_i32 v4, v1, 0, 16
	s_delay_alu instid0(VALU_DEP_1)
	v_ashrrev_i32_e32 v5, 31, v4
.LBB110_1147:
	s_mov_b32 s0, 0
.LBB110_1148:
	s_delay_alu instid0(SALU_CYCLE_1)
	s_and_not1_b32 vcc_lo, exec_lo, s0
	s_cbranch_vccnz .LBB110_1154
; %bb.1149:
	s_cmp_gt_i32 s17, 0
	s_mov_b32 s0, 0
	s_cbranch_scc0 .LBB110_1151
; %bb.1150:
	global_load_i8 v1, v[2:3], off
	s_wait_loadcnt 0x0
	v_bfe_i32 v4, v1, 0, 16
	s_delay_alu instid0(VALU_DEP_1)
	v_ashrrev_i32_e32 v5, 31, v4
	s_branch .LBB110_1152
.LBB110_1151:
	s_mov_b32 s0, -1
                                        ; implicit-def: $vgpr4_vgpr5
.LBB110_1152:
	s_delay_alu instid0(SALU_CYCLE_1)
	s_and_not1_b32 vcc_lo, exec_lo, s0
	s_cbranch_vccnz .LBB110_1154
; %bb.1153:
	global_load_u8 v1, v[2:3], off
	s_mov_b32 s0, 0
	s_wait_loadcnt 0x1
	v_mov_b32_e32 v5, s0
	s_wait_loadcnt 0x0
	v_and_b32_e32 v4, 0xffff, v1
.LBB110_1154:
	s_branch .LBB110_917
.LBB110_1155:
	s_mov_b32 s18, 0
	s_mov_b32 s19, 0
                                        ; implicit-def: $sgpr0
                                        ; implicit-def: $vgpr2_vgpr3
	s_branch .LBB110_1726
.LBB110_1156:
	s_or_b32 s3, s1, exec_lo
	s_trap 2
	s_cbranch_execz .LBB110_1105
	s_branch .LBB110_1106
.LBB110_1157:
	s_mov_b32 s18, -1
	s_mov_b32 s21, 0
	s_mov_b32 s0, 0
	s_branch .LBB110_1159
.LBB110_1158:
	s_mov_b32 s0, -1
	s_mov_b32 s21, 0
.LBB110_1159:
                                        ; implicit-def: $vgpr4_vgpr5
.LBB110_1160:
	s_and_b32 vcc_lo, exec_lo, s18
	s_cbranch_vccz .LBB110_1164
; %bb.1161:
	s_cmp_eq_u32 s17, 44
	s_cbranch_scc0 .LBB110_1163
; %bb.1162:
	global_load_u8 v1, v[2:3], off
	s_mov_b32 s0, 0
	s_mov_b32 s21, -1
	s_wait_loadcnt 0x0
	v_lshlrev_b32_e32 v4, 23, v1
	v_cmp_ne_u32_e32 vcc_lo, 0, v1
	s_delay_alu instid0(VALU_DEP_2) | instskip(NEXT) | instid1(VALU_DEP_1)
	v_trunc_f32_e32 v4, v4
	v_mul_f32_e64 v5, 0x2f800000, |v4|
	s_delay_alu instid0(VALU_DEP_1) | instskip(NEXT) | instid1(VALU_DEP_1)
	v_floor_f32_e32 v5, v5
	v_fma_f32 v7, 0xcf800000, v5, |v4|
	v_ashrrev_i32_e32 v4, 31, v4
	v_cvt_u32_f32_e32 v8, v5
	s_delay_alu instid0(VALU_DEP_3) | instskip(NEXT) | instid1(VALU_DEP_3)
	v_cvt_u32_f32_e32 v7, v7
	v_mov_b32_e32 v5, v4
	s_delay_alu instid0(VALU_DEP_3) | instskip(NEXT) | instid1(VALU_DEP_3)
	v_xor_b32_e32 v9, v8, v4
	v_xor_b32_e32 v8, v7, v4
	s_delay_alu instid0(VALU_DEP_1) | instskip(NEXT) | instid1(VALU_DEP_1)
	v_sub_nc_u64_e32 v[4:5], v[8:9], v[4:5]
	v_dual_cndmask_b32 v5, 0, v5 :: v_dual_cndmask_b32 v4, 0, v4
	s_branch .LBB110_1164
.LBB110_1163:
	s_mov_b32 s0, -1
                                        ; implicit-def: $vgpr4_vgpr5
.LBB110_1164:
	s_mov_b32 s18, 0
.LBB110_1165:
	s_delay_alu instid0(SALU_CYCLE_1)
	s_and_b32 vcc_lo, exec_lo, s18
	s_cbranch_vccz .LBB110_1169
; %bb.1166:
	s_cmp_eq_u32 s17, 29
	s_cbranch_scc0 .LBB110_1168
; %bb.1167:
	global_load_b64 v[4:5], v[2:3], off
	s_mov_b32 s0, 0
	s_mov_b32 s21, -1
	s_branch .LBB110_1169
.LBB110_1168:
	s_mov_b32 s0, -1
                                        ; implicit-def: $vgpr4_vgpr5
.LBB110_1169:
	s_mov_b32 s18, 0
.LBB110_1170:
	s_delay_alu instid0(SALU_CYCLE_1)
	s_and_b32 vcc_lo, exec_lo, s18
	s_cbranch_vccz .LBB110_1186
; %bb.1171:
	s_cmp_lt_i32 s17, 27
	s_cbranch_scc1 .LBB110_1174
; %bb.1172:
	s_cmp_gt_i32 s17, 27
	s_cbranch_scc0 .LBB110_1175
; %bb.1173:
	s_wait_loadcnt 0x0
	global_load_b32 v4, v[2:3], off
	v_mov_b32_e32 v5, 0
	s_mov_b32 s18, 0
	s_branch .LBB110_1176
.LBB110_1174:
	s_mov_b32 s18, -1
                                        ; implicit-def: $vgpr4_vgpr5
	s_branch .LBB110_1179
.LBB110_1175:
	s_mov_b32 s18, -1
                                        ; implicit-def: $vgpr4_vgpr5
.LBB110_1176:
	s_delay_alu instid0(SALU_CYCLE_1)
	s_and_not1_b32 vcc_lo, exec_lo, s18
	s_cbranch_vccnz .LBB110_1178
; %bb.1177:
	global_load_u16 v1, v[2:3], off
	s_mov_b32 s18, 0
	s_wait_loadcnt 0x1
	v_mov_b32_e32 v5, s18
	s_wait_loadcnt 0x0
	v_and_b32_e32 v4, 0xffff, v1
.LBB110_1178:
	s_mov_b32 s18, 0
.LBB110_1179:
	s_delay_alu instid0(SALU_CYCLE_1)
	s_and_not1_b32 vcc_lo, exec_lo, s18
	s_cbranch_vccnz .LBB110_1185
; %bb.1180:
	global_load_u8 v1, v[2:3], off
	s_mov_b32 s21, 0
	s_mov_b32 s18, exec_lo
	s_wait_loadcnt 0x0
	v_cmpx_lt_i16_e32 0x7f, v1
	s_xor_b32 s18, exec_lo, s18
	s_cbranch_execz .LBB110_1197
; %bb.1181:
	v_cmp_ne_u16_e32 vcc_lo, 0x80, v1
	s_and_b32 s21, vcc_lo, exec_lo
	s_and_not1_saveexec_b32 s18, s18
	s_cbranch_execnz .LBB110_1198
.LBB110_1182:
	s_or_b32 exec_lo, exec_lo, s18
	v_mov_b64_e32 v[4:5], 0
	s_and_saveexec_b32 s18, s21
	s_cbranch_execz .LBB110_1184
.LBB110_1183:
	v_and_b32_e32 v4, 0xffff, v1
	s_delay_alu instid0(VALU_DEP_1) | instskip(SKIP_1) | instid1(VALU_DEP_2)
	v_and_b32_e32 v5, 7, v4
	v_bfe_u32 v9, v4, 3, 4
	v_clz_i32_u32_e32 v7, v5
	s_delay_alu instid0(VALU_DEP_2) | instskip(NEXT) | instid1(VALU_DEP_2)
	v_cmp_eq_u32_e32 vcc_lo, 0, v9
	v_min_u32_e32 v7, 32, v7
	s_delay_alu instid0(VALU_DEP_1) | instskip(NEXT) | instid1(VALU_DEP_1)
	v_subrev_nc_u32_e32 v8, 28, v7
	v_dual_lshlrev_b32 v4, v8, v4 :: v_dual_sub_nc_u32 v7, 29, v7
	s_delay_alu instid0(VALU_DEP_1) | instskip(NEXT) | instid1(VALU_DEP_2)
	v_dual_lshlrev_b32 v1, 24, v1 :: v_dual_bitop2_b32 v4, 7, v4 bitop3:0x40
	v_cndmask_b32_e32 v7, v9, v7, vcc_lo
	s_delay_alu instid0(VALU_DEP_2) | instskip(NEXT) | instid1(VALU_DEP_3)
	v_cndmask_b32_e32 v4, v5, v4, vcc_lo
	v_and_b32_e32 v1, 0x80000000, v1
	s_delay_alu instid0(VALU_DEP_3) | instskip(NEXT) | instid1(VALU_DEP_3)
	v_lshl_add_u32 v5, v7, 23, 0x3b800000
	v_lshlrev_b32_e32 v4, 20, v4
	s_delay_alu instid0(VALU_DEP_1) | instskip(NEXT) | instid1(VALU_DEP_1)
	v_or3_b32 v1, v1, v5, v4
	v_trunc_f32_e32 v1, v1
	s_delay_alu instid0(VALU_DEP_1) | instskip(NEXT) | instid1(VALU_DEP_1)
	v_mul_f32_e64 v4, 0x2f800000, |v1|
	v_floor_f32_e32 v5, v4
	v_ashrrev_i32_e32 v4, 31, v1
	s_delay_alu instid0(VALU_DEP_2) | instskip(SKIP_1) | instid1(VALU_DEP_3)
	v_fma_f32 v7, 0xcf800000, v5, |v1|
	v_cvt_u32_f32_e32 v1, v5
	v_mov_b32_e32 v5, v4
	s_delay_alu instid0(VALU_DEP_3) | instskip(NEXT) | instid1(VALU_DEP_3)
	v_cvt_u32_f32_e32 v7, v7
	v_xor_b32_e32 v9, v1, v4
	s_delay_alu instid0(VALU_DEP_2) | instskip(NEXT) | instid1(VALU_DEP_1)
	v_xor_b32_e32 v8, v7, v4
	v_sub_nc_u64_e32 v[4:5], v[8:9], v[4:5]
.LBB110_1184:
	s_or_b32 exec_lo, exec_lo, s18
.LBB110_1185:
	s_mov_b32 s21, -1
.LBB110_1186:
	s_mov_b32 s18, 0
.LBB110_1187:
	s_delay_alu instid0(SALU_CYCLE_1)
	s_and_b32 vcc_lo, exec_lo, s18
	s_cbranch_vccz .LBB110_1218
; %bb.1188:
	s_cmp_gt_i32 s17, 22
	s_cbranch_scc0 .LBB110_1196
; %bb.1189:
	s_cmp_lt_i32 s17, 24
	s_cbranch_scc1 .LBB110_1199
; %bb.1190:
	s_cmp_gt_i32 s17, 24
	s_cbranch_scc0 .LBB110_1200
; %bb.1191:
	global_load_u8 v1, v[2:3], off
	s_mov_b32 s18, exec_lo
	s_wait_loadcnt 0x0
	v_cmpx_lt_i16_e32 0x7f, v1
	s_xor_b32 s18, exec_lo, s18
	s_cbranch_execz .LBB110_1212
; %bb.1192:
	v_cmp_ne_u16_e32 vcc_lo, 0x80, v1
	s_and_b32 s19, vcc_lo, exec_lo
	s_and_not1_saveexec_b32 s18, s18
	s_cbranch_execnz .LBB110_1213
.LBB110_1193:
	s_or_b32 exec_lo, exec_lo, s18
	v_mov_b64_e32 v[4:5], 0
	s_and_saveexec_b32 s18, s19
	s_cbranch_execz .LBB110_1195
.LBB110_1194:
	v_and_b32_e32 v4, 0xffff, v1
	s_delay_alu instid0(VALU_DEP_1) | instskip(SKIP_1) | instid1(VALU_DEP_2)
	v_and_b32_e32 v5, 3, v4
	v_bfe_u32 v9, v4, 2, 5
	v_clz_i32_u32_e32 v7, v5
	s_delay_alu instid0(VALU_DEP_2) | instskip(NEXT) | instid1(VALU_DEP_2)
	v_cmp_eq_u32_e32 vcc_lo, 0, v9
	v_min_u32_e32 v7, 32, v7
	s_delay_alu instid0(VALU_DEP_1) | instskip(NEXT) | instid1(VALU_DEP_1)
	v_subrev_nc_u32_e32 v8, 29, v7
	v_dual_lshlrev_b32 v4, v8, v4 :: v_dual_sub_nc_u32 v7, 30, v7
	s_delay_alu instid0(VALU_DEP_1) | instskip(NEXT) | instid1(VALU_DEP_2)
	v_dual_lshlrev_b32 v1, 24, v1 :: v_dual_bitop2_b32 v4, 3, v4 bitop3:0x40
	v_cndmask_b32_e32 v7, v9, v7, vcc_lo
	s_delay_alu instid0(VALU_DEP_2) | instskip(NEXT) | instid1(VALU_DEP_3)
	v_cndmask_b32_e32 v4, v5, v4, vcc_lo
	v_and_b32_e32 v1, 0x80000000, v1
	s_delay_alu instid0(VALU_DEP_3) | instskip(NEXT) | instid1(VALU_DEP_3)
	v_lshl_add_u32 v5, v7, 23, 0x37800000
	v_lshlrev_b32_e32 v4, 21, v4
	s_delay_alu instid0(VALU_DEP_1) | instskip(NEXT) | instid1(VALU_DEP_1)
	v_or3_b32 v1, v1, v5, v4
	v_trunc_f32_e32 v1, v1
	s_delay_alu instid0(VALU_DEP_1) | instskip(NEXT) | instid1(VALU_DEP_1)
	v_mul_f32_e64 v4, 0x2f800000, |v1|
	v_floor_f32_e32 v5, v4
	v_ashrrev_i32_e32 v4, 31, v1
	s_delay_alu instid0(VALU_DEP_2) | instskip(SKIP_1) | instid1(VALU_DEP_3)
	v_fma_f32 v7, 0xcf800000, v5, |v1|
	v_cvt_u32_f32_e32 v1, v5
	v_mov_b32_e32 v5, v4
	s_delay_alu instid0(VALU_DEP_3) | instskip(NEXT) | instid1(VALU_DEP_3)
	v_cvt_u32_f32_e32 v7, v7
	v_xor_b32_e32 v9, v1, v4
	s_delay_alu instid0(VALU_DEP_2) | instskip(NEXT) | instid1(VALU_DEP_1)
	v_xor_b32_e32 v8, v7, v4
	v_sub_nc_u64_e32 v[4:5], v[8:9], v[4:5]
.LBB110_1195:
	s_or_b32 exec_lo, exec_lo, s18
	s_mov_b32 s18, 0
	s_branch .LBB110_1201
.LBB110_1196:
	s_mov_b32 s18, -1
                                        ; implicit-def: $vgpr4_vgpr5
	s_branch .LBB110_1207
.LBB110_1197:
	s_and_not1_saveexec_b32 s18, s18
	s_cbranch_execz .LBB110_1182
.LBB110_1198:
	v_cmp_ne_u16_e32 vcc_lo, 0, v1
	s_and_not1_b32 s21, s21, exec_lo
	s_and_b32 s22, vcc_lo, exec_lo
	s_delay_alu instid0(SALU_CYCLE_1)
	s_or_b32 s21, s21, s22
	s_or_b32 exec_lo, exec_lo, s18
	v_mov_b64_e32 v[4:5], 0
	s_and_saveexec_b32 s18, s21
	s_cbranch_execnz .LBB110_1183
	s_branch .LBB110_1184
.LBB110_1199:
	s_mov_b32 s18, -1
                                        ; implicit-def: $vgpr4_vgpr5
	s_branch .LBB110_1204
.LBB110_1200:
	s_mov_b32 s18, -1
                                        ; implicit-def: $vgpr4_vgpr5
.LBB110_1201:
	s_delay_alu instid0(SALU_CYCLE_1)
	s_and_b32 vcc_lo, exec_lo, s18
	s_cbranch_vccz .LBB110_1203
; %bb.1202:
	global_load_u8 v1, v[2:3], off
	s_wait_loadcnt 0x0
	v_lshlrev_b32_e32 v1, 24, v1
	s_delay_alu instid0(VALU_DEP_1) | instskip(NEXT) | instid1(VALU_DEP_1)
	v_and_b32_e32 v4, 0x7f000000, v1
	v_clz_i32_u32_e32 v5, v4
	v_add_nc_u32_e32 v8, 0x1000000, v4
	v_cmp_ne_u32_e32 vcc_lo, 0, v4
	s_delay_alu instid0(VALU_DEP_3) | instskip(NEXT) | instid1(VALU_DEP_1)
	v_min_u32_e32 v5, 32, v5
	v_sub_nc_u32_e64 v5, v5, 4 clamp
	s_delay_alu instid0(VALU_DEP_1) | instskip(NEXT) | instid1(VALU_DEP_1)
	v_dual_lshlrev_b32 v7, v5, v4 :: v_dual_lshlrev_b32 v5, 23, v5
	v_lshrrev_b32_e32 v7, 4, v7
	s_delay_alu instid0(VALU_DEP_1) | instskip(NEXT) | instid1(VALU_DEP_1)
	v_dual_sub_nc_u32 v5, v7, v5 :: v_dual_ashrrev_i32 v7, 8, v8
	v_add_nc_u32_e32 v5, 0x3c000000, v5
	s_delay_alu instid0(VALU_DEP_1) | instskip(NEXT) | instid1(VALU_DEP_1)
	v_and_or_b32 v5, 0x7f800000, v7, v5
	v_cndmask_b32_e32 v4, 0, v5, vcc_lo
	s_delay_alu instid0(VALU_DEP_1) | instskip(NEXT) | instid1(VALU_DEP_1)
	v_and_or_b32 v1, 0x80000000, v1, v4
	v_trunc_f32_e32 v1, v1
	s_delay_alu instid0(VALU_DEP_1) | instskip(NEXT) | instid1(VALU_DEP_1)
	v_mul_f32_e64 v4, 0x2f800000, |v1|
	v_floor_f32_e32 v5, v4
	v_ashrrev_i32_e32 v4, 31, v1
	s_delay_alu instid0(VALU_DEP_2) | instskip(SKIP_1) | instid1(VALU_DEP_3)
	v_fma_f32 v7, 0xcf800000, v5, |v1|
	v_cvt_u32_f32_e32 v1, v5
	v_mov_b32_e32 v5, v4
	s_delay_alu instid0(VALU_DEP_3) | instskip(NEXT) | instid1(VALU_DEP_3)
	v_cvt_u32_f32_e32 v7, v7
	v_xor_b32_e32 v9, v1, v4
	s_delay_alu instid0(VALU_DEP_2) | instskip(NEXT) | instid1(VALU_DEP_1)
	v_xor_b32_e32 v8, v7, v4
	v_sub_nc_u64_e32 v[4:5], v[8:9], v[4:5]
.LBB110_1203:
	s_mov_b32 s18, 0
.LBB110_1204:
	s_delay_alu instid0(SALU_CYCLE_1)
	s_and_not1_b32 vcc_lo, exec_lo, s18
	s_cbranch_vccnz .LBB110_1206
; %bb.1205:
	global_load_u8 v1, v[2:3], off
	s_wait_loadcnt 0x0
	v_lshlrev_b32_e32 v4, 25, v1
	v_lshlrev_b16 v1, 8, v1
	s_delay_alu instid0(VALU_DEP_1) | instskip(SKIP_1) | instid1(VALU_DEP_2)
	v_and_or_b32 v7, 0x7f00, v1, 0.5
	v_bfe_i32 v1, v1, 0, 16
	v_dual_add_f32 v7, -0.5, v7 :: v_dual_lshrrev_b32 v5, 4, v4
	v_cmp_gt_u32_e32 vcc_lo, 0x8000000, v4
	s_delay_alu instid0(VALU_DEP_2) | instskip(NEXT) | instid1(VALU_DEP_1)
	v_or_b32_e32 v5, 0x70000000, v5
	v_mul_f32_e32 v5, 0x7800000, v5
	s_delay_alu instid0(VALU_DEP_1) | instskip(NEXT) | instid1(VALU_DEP_1)
	v_cndmask_b32_e32 v4, v5, v7, vcc_lo
	v_and_or_b32 v1, 0x80000000, v1, v4
	s_delay_alu instid0(VALU_DEP_1) | instskip(NEXT) | instid1(VALU_DEP_1)
	v_trunc_f32_e32 v1, v1
	v_mul_f32_e64 v4, 0x2f800000, |v1|
	s_delay_alu instid0(VALU_DEP_1) | instskip(SKIP_1) | instid1(VALU_DEP_2)
	v_floor_f32_e32 v5, v4
	v_ashrrev_i32_e32 v4, 31, v1
	v_fma_f32 v7, 0xcf800000, v5, |v1|
	v_cvt_u32_f32_e32 v1, v5
	s_delay_alu instid0(VALU_DEP_3) | instskip(NEXT) | instid1(VALU_DEP_3)
	v_mov_b32_e32 v5, v4
	v_cvt_u32_f32_e32 v7, v7
	s_delay_alu instid0(VALU_DEP_3) | instskip(NEXT) | instid1(VALU_DEP_2)
	v_xor_b32_e32 v9, v1, v4
	v_xor_b32_e32 v8, v7, v4
	s_delay_alu instid0(VALU_DEP_1)
	v_sub_nc_u64_e32 v[4:5], v[8:9], v[4:5]
.LBB110_1206:
	s_mov_b32 s18, 0
	s_mov_b32 s21, -1
.LBB110_1207:
	s_and_not1_b32 vcc_lo, exec_lo, s18
	s_mov_b32 s19, 0
	s_cbranch_vccnz .LBB110_1218
; %bb.1208:
	s_cmp_gt_i32 s17, 14
	s_cbranch_scc0 .LBB110_1211
; %bb.1209:
	s_cmp_eq_u32 s17, 15
	s_cbranch_scc0 .LBB110_1214
; %bb.1210:
	global_load_u16 v1, v[2:3], off
	s_mov_b32 s0, 0
	s_mov_b32 s21, -1
	s_wait_loadcnt 0x0
	v_lshlrev_b32_e32 v1, 16, v1
	s_delay_alu instid0(VALU_DEP_1) | instskip(NEXT) | instid1(VALU_DEP_1)
	v_trunc_f32_e32 v1, v1
	v_mul_f32_e64 v4, 0x2f800000, |v1|
	s_delay_alu instid0(VALU_DEP_1) | instskip(SKIP_1) | instid1(VALU_DEP_2)
	v_floor_f32_e32 v5, v4
	v_ashrrev_i32_e32 v4, 31, v1
	v_fma_f32 v7, 0xcf800000, v5, |v1|
	v_cvt_u32_f32_e32 v1, v5
	s_delay_alu instid0(VALU_DEP_3) | instskip(NEXT) | instid1(VALU_DEP_3)
	v_mov_b32_e32 v5, v4
	v_cvt_u32_f32_e32 v7, v7
	s_delay_alu instid0(VALU_DEP_3) | instskip(NEXT) | instid1(VALU_DEP_2)
	v_xor_b32_e32 v9, v1, v4
	v_xor_b32_e32 v8, v7, v4
	s_delay_alu instid0(VALU_DEP_1)
	v_sub_nc_u64_e32 v[4:5], v[8:9], v[4:5]
	s_branch .LBB110_1215
.LBB110_1211:
	s_mov_b32 s18, -1
                                        ; implicit-def: $vgpr4_vgpr5
	s_branch .LBB110_1216
.LBB110_1212:
	s_and_not1_saveexec_b32 s18, s18
	s_cbranch_execz .LBB110_1193
.LBB110_1213:
	v_cmp_ne_u16_e32 vcc_lo, 0, v1
	s_and_not1_b32 s19, s19, exec_lo
	s_and_b32 s21, vcc_lo, exec_lo
	s_delay_alu instid0(SALU_CYCLE_1)
	s_or_b32 s19, s19, s21
	s_or_b32 exec_lo, exec_lo, s18
	v_mov_b64_e32 v[4:5], 0
	s_and_saveexec_b32 s18, s19
	s_cbranch_execnz .LBB110_1194
	s_branch .LBB110_1195
.LBB110_1214:
	s_mov_b32 s0, -1
                                        ; implicit-def: $vgpr4_vgpr5
.LBB110_1215:
	s_mov_b32 s18, 0
.LBB110_1216:
	s_delay_alu instid0(SALU_CYCLE_1)
	s_and_b32 vcc_lo, exec_lo, s18
	s_cbranch_vccz .LBB110_1218
; %bb.1217:
	s_cmp_lg_u32 s17, 11
	s_mov_b32 s19, -1
	s_cselect_b32 s0, -1, 0
.LBB110_1218:
	s_delay_alu instid0(SALU_CYCLE_1)
	s_and_b32 vcc_lo, exec_lo, s0
	s_mov_b32 s18, s3
	s_cbranch_vccnz .LBB110_1285
; %bb.1219:
	s_and_not1_b32 vcc_lo, exec_lo, s19
	s_cbranch_vccnz .LBB110_1221
.LBB110_1220:
	global_load_u8 v1, v[2:3], off
	s_mov_b32 s0, 0
	s_mov_b32 s21, -1
	s_wait_loadcnt 0x1
	v_mov_b32_e32 v5, s0
	s_wait_loadcnt 0x0
	v_cmp_ne_u16_e32 vcc_lo, 0, v1
	v_cndmask_b32_e64 v4, 0, 1, vcc_lo
.LBB110_1221:
	s_mov_b32 s0, 0
.LBB110_1222:
	s_delay_alu instid0(SALU_CYCLE_1)
	s_and_b32 vcc_lo, exec_lo, s0
	s_cbranch_vccz .LBB110_1271
; %bb.1223:
	s_cmp_lt_i32 s17, 5
	s_cbranch_scc1 .LBB110_1228
; %bb.1224:
	s_cmp_lt_i32 s17, 8
	s_cbranch_scc1 .LBB110_1229
	;; [unrolled: 3-line block ×3, first 2 shown]
; %bb.1226:
	s_cmp_gt_i32 s17, 9
	s_cbranch_scc0 .LBB110_1231
; %bb.1227:
	s_wait_loadcnt 0x0
	global_load_b64 v[4:5], v[2:3], off
	s_mov_b32 s0, 0
	s_wait_loadcnt 0x0
	v_trunc_f64_e32 v[4:5], v[4:5]
	s_delay_alu instid0(VALU_DEP_1) | instskip(NEXT) | instid1(VALU_DEP_1)
	v_ldexp_f64 v[8:9], v[4:5], 0xffffffe0
	v_floor_f64_e32 v[8:9], v[8:9]
	s_delay_alu instid0(VALU_DEP_1) | instskip(SKIP_1) | instid1(VALU_DEP_2)
	v_fmamk_f64 v[10:11], v[8:9], 0xc1f00000, v[4:5]
	v_cvt_i32_f64_e32 v5, v[8:9]
	v_cvt_u32_f64_e32 v4, v[10:11]
	s_branch .LBB110_1232
.LBB110_1228:
	s_mov_b32 s0, -1
                                        ; implicit-def: $vgpr4_vgpr5
	s_branch .LBB110_1250
.LBB110_1229:
	s_mov_b32 s0, -1
                                        ; implicit-def: $vgpr4_vgpr5
	s_branch .LBB110_1238
.LBB110_1230:
	s_mov_b32 s0, -1
                                        ; implicit-def: $vgpr4_vgpr5
	s_branch .LBB110_1235
.LBB110_1231:
	s_mov_b32 s0, -1
                                        ; implicit-def: $vgpr4_vgpr5
.LBB110_1232:
	s_delay_alu instid0(SALU_CYCLE_1)
	s_and_not1_b32 vcc_lo, exec_lo, s0
	s_cbranch_vccnz .LBB110_1234
; %bb.1233:
	global_load_b32 v1, v[2:3], off
	s_wait_loadcnt 0x0
	v_trunc_f32_e32 v1, v1
	s_delay_alu instid0(VALU_DEP_1) | instskip(NEXT) | instid1(VALU_DEP_1)
	v_mul_f32_e64 v4, 0x2f800000, |v1|
	v_floor_f32_e32 v5, v4
	v_ashrrev_i32_e32 v4, 31, v1
	s_delay_alu instid0(VALU_DEP_2) | instskip(SKIP_1) | instid1(VALU_DEP_3)
	v_fma_f32 v7, 0xcf800000, v5, |v1|
	v_cvt_u32_f32_e32 v1, v5
	v_mov_b32_e32 v5, v4
	s_delay_alu instid0(VALU_DEP_3) | instskip(NEXT) | instid1(VALU_DEP_3)
	v_cvt_u32_f32_e32 v7, v7
	v_xor_b32_e32 v9, v1, v4
	s_delay_alu instid0(VALU_DEP_2) | instskip(NEXT) | instid1(VALU_DEP_1)
	v_xor_b32_e32 v8, v7, v4
	v_sub_nc_u64_e32 v[4:5], v[8:9], v[4:5]
.LBB110_1234:
	s_mov_b32 s0, 0
.LBB110_1235:
	s_delay_alu instid0(SALU_CYCLE_1)
	s_and_not1_b32 vcc_lo, exec_lo, s0
	s_cbranch_vccnz .LBB110_1237
; %bb.1236:
	global_load_b32 v1, v[2:3], off
	s_wait_loadcnt 0x0
	v_cvt_f32_f16_e32 v1, v1
	s_delay_alu instid0(VALU_DEP_1) | instskip(NEXT) | instid1(VALU_DEP_1)
	v_cvt_i32_f32_e32 v4, v1
	v_ashrrev_i32_e32 v5, 31, v4
.LBB110_1237:
	s_mov_b32 s0, 0
.LBB110_1238:
	s_delay_alu instid0(SALU_CYCLE_1)
	s_and_not1_b32 vcc_lo, exec_lo, s0
	s_cbranch_vccnz .LBB110_1249
; %bb.1239:
	s_cmp_lt_i32 s17, 6
	s_cbranch_scc1 .LBB110_1242
; %bb.1240:
	s_cmp_gt_i32 s17, 6
	s_cbranch_scc0 .LBB110_1243
; %bb.1241:
	s_wait_loadcnt 0x0
	global_load_b64 v[4:5], v[2:3], off
	s_mov_b32 s0, 0
	s_wait_loadcnt 0x0
	v_trunc_f64_e32 v[4:5], v[4:5]
	s_delay_alu instid0(VALU_DEP_1) | instskip(NEXT) | instid1(VALU_DEP_1)
	v_ldexp_f64 v[8:9], v[4:5], 0xffffffe0
	v_floor_f64_e32 v[8:9], v[8:9]
	s_delay_alu instid0(VALU_DEP_1) | instskip(SKIP_1) | instid1(VALU_DEP_2)
	v_fmamk_f64 v[10:11], v[8:9], 0xc1f00000, v[4:5]
	v_cvt_i32_f64_e32 v5, v[8:9]
	v_cvt_u32_f64_e32 v4, v[10:11]
	s_branch .LBB110_1244
.LBB110_1242:
	s_mov_b32 s0, -1
                                        ; implicit-def: $vgpr4_vgpr5
	s_branch .LBB110_1247
.LBB110_1243:
	s_mov_b32 s0, -1
                                        ; implicit-def: $vgpr4_vgpr5
.LBB110_1244:
	s_delay_alu instid0(SALU_CYCLE_1)
	s_and_not1_b32 vcc_lo, exec_lo, s0
	s_cbranch_vccnz .LBB110_1246
; %bb.1245:
	global_load_b32 v1, v[2:3], off
	s_wait_loadcnt 0x0
	v_trunc_f32_e32 v1, v1
	s_delay_alu instid0(VALU_DEP_1) | instskip(NEXT) | instid1(VALU_DEP_1)
	v_mul_f32_e64 v4, 0x2f800000, |v1|
	v_floor_f32_e32 v5, v4
	v_ashrrev_i32_e32 v4, 31, v1
	s_delay_alu instid0(VALU_DEP_2) | instskip(SKIP_1) | instid1(VALU_DEP_3)
	v_fma_f32 v7, 0xcf800000, v5, |v1|
	v_cvt_u32_f32_e32 v1, v5
	v_mov_b32_e32 v5, v4
	s_delay_alu instid0(VALU_DEP_3) | instskip(NEXT) | instid1(VALU_DEP_3)
	v_cvt_u32_f32_e32 v7, v7
	v_xor_b32_e32 v9, v1, v4
	s_delay_alu instid0(VALU_DEP_2) | instskip(NEXT) | instid1(VALU_DEP_1)
	v_xor_b32_e32 v8, v7, v4
	v_sub_nc_u64_e32 v[4:5], v[8:9], v[4:5]
.LBB110_1246:
	s_mov_b32 s0, 0
.LBB110_1247:
	s_delay_alu instid0(SALU_CYCLE_1)
	s_and_not1_b32 vcc_lo, exec_lo, s0
	s_cbranch_vccnz .LBB110_1249
; %bb.1248:
	global_load_u16 v1, v[2:3], off
	s_wait_loadcnt 0x0
	v_cvt_f32_f16_e32 v1, v1
	s_delay_alu instid0(VALU_DEP_1) | instskip(NEXT) | instid1(VALU_DEP_1)
	v_cvt_i32_f32_e32 v4, v1
	v_ashrrev_i32_e32 v5, 31, v4
.LBB110_1249:
	s_mov_b32 s0, 0
.LBB110_1250:
	s_delay_alu instid0(SALU_CYCLE_1)
	s_and_not1_b32 vcc_lo, exec_lo, s0
	s_cbranch_vccnz .LBB110_1270
; %bb.1251:
	s_cmp_lt_i32 s17, 2
	s_cbranch_scc1 .LBB110_1255
; %bb.1252:
	s_cmp_lt_i32 s17, 3
	s_cbranch_scc1 .LBB110_1256
; %bb.1253:
	s_cmp_gt_i32 s17, 3
	s_cbranch_scc0 .LBB110_1257
; %bb.1254:
	s_wait_loadcnt 0x0
	global_load_b64 v[4:5], v[2:3], off
	s_mov_b32 s0, 0
	s_branch .LBB110_1258
.LBB110_1255:
	s_mov_b32 s0, -1
                                        ; implicit-def: $vgpr4_vgpr5
	s_branch .LBB110_1264
.LBB110_1256:
	s_mov_b32 s0, -1
                                        ; implicit-def: $vgpr4_vgpr5
	s_branch .LBB110_1261
.LBB110_1257:
	s_mov_b32 s0, -1
                                        ; implicit-def: $vgpr4_vgpr5
.LBB110_1258:
	s_delay_alu instid0(SALU_CYCLE_1)
	s_and_not1_b32 vcc_lo, exec_lo, s0
	s_cbranch_vccnz .LBB110_1260
; %bb.1259:
	s_wait_loadcnt 0x0
	global_load_b32 v4, v[2:3], off
	s_wait_loadcnt 0x0
	v_ashrrev_i32_e32 v5, 31, v4
.LBB110_1260:
	s_mov_b32 s0, 0
.LBB110_1261:
	s_delay_alu instid0(SALU_CYCLE_1)
	s_and_not1_b32 vcc_lo, exec_lo, s0
	s_cbranch_vccnz .LBB110_1263
; %bb.1262:
	global_load_u16 v1, v[2:3], off
	s_wait_loadcnt 0x0
	v_bfe_i32 v4, v1, 0, 16
	s_delay_alu instid0(VALU_DEP_1)
	v_ashrrev_i32_e32 v5, 31, v4
.LBB110_1263:
	s_mov_b32 s0, 0
.LBB110_1264:
	s_delay_alu instid0(SALU_CYCLE_1)
	s_and_not1_b32 vcc_lo, exec_lo, s0
	s_cbranch_vccnz .LBB110_1270
; %bb.1265:
	s_cmp_gt_i32 s17, 0
	s_mov_b32 s0, 0
	s_cbranch_scc0 .LBB110_1267
; %bb.1266:
	global_load_i8 v1, v[2:3], off
	s_wait_loadcnt 0x0
	v_bfe_i32 v4, v1, 0, 16
	s_delay_alu instid0(VALU_DEP_1)
	v_ashrrev_i32_e32 v5, 31, v4
	s_branch .LBB110_1268
.LBB110_1267:
	s_mov_b32 s0, -1
                                        ; implicit-def: $vgpr4_vgpr5
.LBB110_1268:
	s_delay_alu instid0(SALU_CYCLE_1)
	s_and_not1_b32 vcc_lo, exec_lo, s0
	s_cbranch_vccnz .LBB110_1270
; %bb.1269:
	global_load_u8 v1, v[2:3], off
	s_mov_b32 s0, 0
	s_wait_loadcnt 0x1
	v_mov_b32_e32 v5, s0
	s_wait_loadcnt 0x0
	v_and_b32_e32 v4, 0xffff, v1
.LBB110_1270:
	s_mov_b32 s21, -1
.LBB110_1271:
	s_delay_alu instid0(SALU_CYCLE_1)
	s_and_not1_b32 vcc_lo, exec_lo, s21
	s_cbranch_vccnz .LBB110_1281
; %bb.1272:
	s_wait_loadcnt 0x0
	s_delay_alu instid0(VALU_DEP_1) | instskip(SKIP_4) | instid1(SALU_CYCLE_1)
	v_cmp_gt_i64_e32 vcc_lo, s[8:9], v[4:5]
	v_cmp_le_i64_e64 s0, s[10:11], v[4:5]
	s_or_b32 s0, vcc_lo, s0
	s_wait_xcnt 0x0
	s_and_saveexec_b32 s19, s0
	s_xor_b32 s0, exec_lo, s19
	s_cbranch_execnz .LBB110_1778
.LBB110_1273:
	s_or_saveexec_b32 s19, s0
	s_mov_b32 s21, 0
	s_mov_b32 s22, 0
                                        ; implicit-def: $sgpr0
                                        ; implicit-def: $vgpr2_vgpr3
	s_xor_b32 exec_lo, exec_lo, s19
	s_cbranch_execz .LBB110_1723
; %bb.1274:
	v_add_nc_u32_e32 v0, s20, v0
	s_cmp_lt_i32 s17, 11
	s_delay_alu instid0(VALU_DEP_1) | instskip(NEXT) | instid1(VALU_DEP_1)
	v_ashrrev_i32_e32 v1, 31, v0
	v_add_nc_u64_e32 v[0:1], s[6:7], v[0:1]
	s_cbranch_scc1 .LBB110_1282
; %bb.1275:
	s_cmp_gt_i32 s17, 25
	s_mov_b32 s7, 0
	s_cbranch_scc0 .LBB110_1283
; %bb.1276:
	s_cmp_gt_i32 s17, 28
	s_cbranch_scc0 .LBB110_1284
; %bb.1277:
	s_cmp_gt_i32 s17, 43
	;; [unrolled: 3-line block ×3, first 2 shown]
	s_cbranch_scc0 .LBB110_1287
; %bb.1279:
	s_cmp_eq_u32 s17, 46
	s_mov_b32 s6, 0
	s_cbranch_scc0 .LBB110_1289
; %bb.1280:
	global_load_b32 v2, v[0:1], off
	s_mov_b32 s0, 0
	s_mov_b32 s20, -1
	s_wait_loadcnt 0x0
	v_lshlrev_b32_e32 v2, 16, v2
	s_delay_alu instid0(VALU_DEP_1) | instskip(NEXT) | instid1(VALU_DEP_1)
	v_trunc_f32_e32 v2, v2
	v_mul_f32_e64 v3, 0x2f800000, |v2|
	s_delay_alu instid0(VALU_DEP_1) | instskip(NEXT) | instid1(VALU_DEP_1)
	v_floor_f32_e32 v3, v3
	v_fma_f32 v4, 0xcf800000, v3, |v2|
	v_ashrrev_i32_e32 v2, 31, v2
	v_cvt_u32_f32_e32 v5, v3
	s_delay_alu instid0(VALU_DEP_3) | instskip(NEXT) | instid1(VALU_DEP_2)
	v_cvt_u32_f32_e32 v4, v4
	v_dual_mov_b32 v3, v2 :: v_dual_bitop2_b32 v5, v5, v2 bitop3:0x14
	s_delay_alu instid0(VALU_DEP_2) | instskip(NEXT) | instid1(VALU_DEP_1)
	v_xor_b32_e32 v4, v4, v2
	v_sub_nc_u64_e32 v[2:3], v[4:5], v[2:3]
	s_branch .LBB110_1291
.LBB110_1281:
	s_mov_b32 s21, 0
	s_mov_b32 s22, 0
                                        ; implicit-def: $sgpr0
                                        ; implicit-def: $vgpr2_vgpr3
	s_branch .LBB110_1724
.LBB110_1282:
	s_mov_b32 s0, -1
	s_mov_b32 s20, 0
	s_mov_b32 s6, s18
                                        ; implicit-def: $vgpr2_vgpr3
	s_branch .LBB110_1353
.LBB110_1283:
	s_mov_b32 s6, -1
	s_mov_b32 s20, 0
	s_mov_b32 s0, 0
                                        ; implicit-def: $vgpr2_vgpr3
	s_branch .LBB110_1318
.LBB110_1284:
	s_mov_b32 s6, -1
	s_mov_b32 s20, 0
	s_mov_b32 s0, 0
                                        ; implicit-def: $vgpr2_vgpr3
	s_branch .LBB110_1301
.LBB110_1285:
	s_or_b32 s18, s3, exec_lo
	s_trap 2
	s_cbranch_execz .LBB110_1220
	s_branch .LBB110_1221
.LBB110_1286:
	s_mov_b32 s6, -1
	s_mov_b32 s20, 0
	s_mov_b32 s0, 0
                                        ; implicit-def: $vgpr2_vgpr3
	s_branch .LBB110_1296
.LBB110_1287:
	s_mov_b32 s6, -1
	s_mov_b32 s20, 0
	s_mov_b32 s0, 0
	s_branch .LBB110_1290
.LBB110_1288:
	s_or_b32 s1, s1, exec_lo
	s_trap 2
                                        ; implicit-def: $vgpr0
                                        ; implicit-def: $vgpr6
	s_branch .LBB110_905
.LBB110_1289:
	s_mov_b32 s0, -1
	s_mov_b32 s20, 0
.LBB110_1290:
                                        ; implicit-def: $vgpr2_vgpr3
.LBB110_1291:
	s_and_b32 vcc_lo, exec_lo, s6
	s_cbranch_vccz .LBB110_1295
; %bb.1292:
	s_cmp_eq_u32 s17, 44
	s_cbranch_scc0 .LBB110_1294
; %bb.1293:
	global_load_u8 v7, v[0:1], off
	s_mov_b32 s0, 0
	s_mov_b32 s20, -1
	s_wait_loadcnt 0x0
	v_lshlrev_b32_e32 v2, 23, v7
	v_cmp_ne_u32_e32 vcc_lo, 0, v7
	s_delay_alu instid0(VALU_DEP_2) | instskip(NEXT) | instid1(VALU_DEP_1)
	v_trunc_f32_e32 v2, v2
	v_mul_f32_e64 v3, 0x2f800000, |v2|
	s_delay_alu instid0(VALU_DEP_1) | instskip(NEXT) | instid1(VALU_DEP_1)
	v_floor_f32_e32 v3, v3
	v_fma_f32 v4, 0xcf800000, v3, |v2|
	v_ashrrev_i32_e32 v2, 31, v2
	v_cvt_u32_f32_e32 v5, v3
	s_delay_alu instid0(VALU_DEP_3) | instskip(NEXT) | instid1(VALU_DEP_2)
	v_cvt_u32_f32_e32 v4, v4
	v_dual_mov_b32 v3, v2 :: v_dual_bitop2_b32 v5, v5, v2 bitop3:0x14
	s_delay_alu instid0(VALU_DEP_2) | instskip(NEXT) | instid1(VALU_DEP_1)
	v_xor_b32_e32 v4, v4, v2
	v_sub_nc_u64_e32 v[2:3], v[4:5], v[2:3]
	s_delay_alu instid0(VALU_DEP_1)
	v_dual_cndmask_b32 v3, 0, v3 :: v_dual_cndmask_b32 v2, 0, v2
	s_branch .LBB110_1295
.LBB110_1294:
	s_mov_b32 s0, -1
                                        ; implicit-def: $vgpr2_vgpr3
.LBB110_1295:
	s_mov_b32 s6, 0
.LBB110_1296:
	s_delay_alu instid0(SALU_CYCLE_1)
	s_and_b32 vcc_lo, exec_lo, s6
	s_cbranch_vccz .LBB110_1300
; %bb.1297:
	s_cmp_eq_u32 s17, 29
	s_cbranch_scc0 .LBB110_1299
; %bb.1298:
	global_load_b64 v[2:3], v[0:1], off
	s_mov_b32 s0, 0
	s_mov_b32 s20, -1
	s_branch .LBB110_1300
.LBB110_1299:
	s_mov_b32 s0, -1
                                        ; implicit-def: $vgpr2_vgpr3
.LBB110_1300:
	s_mov_b32 s6, 0
.LBB110_1301:
	s_delay_alu instid0(SALU_CYCLE_1)
	s_and_b32 vcc_lo, exec_lo, s6
	s_cbranch_vccz .LBB110_1317
; %bb.1302:
	s_cmp_lt_i32 s17, 27
	s_cbranch_scc1 .LBB110_1305
; %bb.1303:
	s_cmp_gt_i32 s17, 27
	s_cbranch_scc0 .LBB110_1306
; %bb.1304:
	s_wait_loadcnt 0x0
	global_load_b32 v2, v[0:1], off
	v_mov_b32_e32 v3, 0
	s_mov_b32 s6, 0
	s_branch .LBB110_1307
.LBB110_1305:
	s_mov_b32 s6, -1
                                        ; implicit-def: $vgpr2_vgpr3
	s_branch .LBB110_1310
.LBB110_1306:
	s_mov_b32 s6, -1
                                        ; implicit-def: $vgpr2_vgpr3
.LBB110_1307:
	s_delay_alu instid0(SALU_CYCLE_1)
	s_and_not1_b32 vcc_lo, exec_lo, s6
	s_cbranch_vccnz .LBB110_1309
; %bb.1308:
	s_wait_loadcnt 0x0
	global_load_u16 v2, v[0:1], off
	s_mov_b32 s6, 0
	s_delay_alu instid0(SALU_CYCLE_1)
	v_mov_b32_e32 v3, s6
	s_wait_loadcnt 0x0
	v_and_b32_e32 v2, 0xffff, v2
.LBB110_1309:
	s_mov_b32 s6, 0
.LBB110_1310:
	s_delay_alu instid0(SALU_CYCLE_1)
	s_and_not1_b32 vcc_lo, exec_lo, s6
	s_cbranch_vccnz .LBB110_1316
; %bb.1311:
	global_load_u8 v4, v[0:1], off
	s_mov_b32 s20, 0
	s_mov_b32 s6, exec_lo
	s_wait_loadcnt 0x0
	v_cmpx_lt_i16_e32 0x7f, v4
	s_xor_b32 s6, exec_lo, s6
	s_cbranch_execz .LBB110_1328
; %bb.1312:
	v_cmp_ne_u16_e32 vcc_lo, 0x80, v4
	s_and_b32 s20, vcc_lo, exec_lo
	s_and_not1_saveexec_b32 s6, s6
	s_cbranch_execnz .LBB110_1329
.LBB110_1313:
	s_or_b32 exec_lo, exec_lo, s6
	v_mov_b64_e32 v[2:3], 0
	s_and_saveexec_b32 s6, s20
	s_cbranch_execz .LBB110_1315
.LBB110_1314:
	v_and_b32_e32 v2, 0xffff, v4
	s_delay_alu instid0(VALU_DEP_1) | instskip(SKIP_1) | instid1(VALU_DEP_2)
	v_and_b32_e32 v3, 7, v2
	v_bfe_u32 v8, v2, 3, 4
	v_clz_i32_u32_e32 v5, v3
	s_delay_alu instid0(VALU_DEP_2) | instskip(NEXT) | instid1(VALU_DEP_2)
	v_cmp_eq_u32_e32 vcc_lo, 0, v8
	v_min_u32_e32 v5, 32, v5
	s_delay_alu instid0(VALU_DEP_1) | instskip(NEXT) | instid1(VALU_DEP_1)
	v_subrev_nc_u32_e32 v7, 28, v5
	v_dual_lshlrev_b32 v2, v7, v2 :: v_dual_sub_nc_u32 v5, 29, v5
	s_delay_alu instid0(VALU_DEP_1) | instskip(NEXT) | instid1(VALU_DEP_1)
	v_dual_lshlrev_b32 v4, 24, v4 :: v_dual_bitop2_b32 v2, 7, v2 bitop3:0x40
	v_dual_cndmask_b32 v5, v8, v5 :: v_dual_cndmask_b32 v2, v3, v2
	s_delay_alu instid0(VALU_DEP_2) | instskip(NEXT) | instid1(VALU_DEP_2)
	v_and_b32_e32 v3, 0x80000000, v4
	v_lshl_add_u32 v4, v5, 23, 0x3b800000
	s_delay_alu instid0(VALU_DEP_3) | instskip(NEXT) | instid1(VALU_DEP_1)
	v_lshlrev_b32_e32 v2, 20, v2
	v_or3_b32 v2, v3, v4, v2
	s_delay_alu instid0(VALU_DEP_1) | instskip(NEXT) | instid1(VALU_DEP_1)
	v_trunc_f32_e32 v2, v2
	v_mul_f32_e64 v3, 0x2f800000, |v2|
	s_delay_alu instid0(VALU_DEP_1) | instskip(NEXT) | instid1(VALU_DEP_1)
	v_floor_f32_e32 v3, v3
	v_fma_f32 v4, 0xcf800000, v3, |v2|
	v_ashrrev_i32_e32 v2, 31, v2
	v_cvt_u32_f32_e32 v5, v3
	s_delay_alu instid0(VALU_DEP_3) | instskip(NEXT) | instid1(VALU_DEP_2)
	v_cvt_u32_f32_e32 v4, v4
	v_dual_mov_b32 v3, v2 :: v_dual_bitop2_b32 v5, v5, v2 bitop3:0x14
	s_delay_alu instid0(VALU_DEP_2) | instskip(NEXT) | instid1(VALU_DEP_1)
	v_xor_b32_e32 v4, v4, v2
	v_sub_nc_u64_e32 v[2:3], v[4:5], v[2:3]
.LBB110_1315:
	s_or_b32 exec_lo, exec_lo, s6
.LBB110_1316:
	s_mov_b32 s20, -1
.LBB110_1317:
	s_mov_b32 s6, 0
.LBB110_1318:
	s_delay_alu instid0(SALU_CYCLE_1)
	s_and_b32 vcc_lo, exec_lo, s6
	s_cbranch_vccz .LBB110_1349
; %bb.1319:
	s_cmp_gt_i32 s17, 22
	s_cbranch_scc0 .LBB110_1327
; %bb.1320:
	s_cmp_lt_i32 s17, 24
	s_cbranch_scc1 .LBB110_1330
; %bb.1321:
	s_cmp_gt_i32 s17, 24
	s_cbranch_scc0 .LBB110_1331
; %bb.1322:
	global_load_u8 v4, v[0:1], off
	s_mov_b32 s6, exec_lo
	s_wait_loadcnt 0x0
	v_cmpx_lt_i16_e32 0x7f, v4
	s_xor_b32 s6, exec_lo, s6
	s_cbranch_execz .LBB110_1343
; %bb.1323:
	v_cmp_ne_u16_e32 vcc_lo, 0x80, v4
	s_and_b32 s7, vcc_lo, exec_lo
	s_and_not1_saveexec_b32 s6, s6
	s_cbranch_execnz .LBB110_1344
.LBB110_1324:
	s_or_b32 exec_lo, exec_lo, s6
	v_mov_b64_e32 v[2:3], 0
	s_and_saveexec_b32 s6, s7
	s_cbranch_execz .LBB110_1326
.LBB110_1325:
	v_and_b32_e32 v2, 0xffff, v4
	s_delay_alu instid0(VALU_DEP_1) | instskip(SKIP_1) | instid1(VALU_DEP_2)
	v_and_b32_e32 v3, 3, v2
	v_bfe_u32 v8, v2, 2, 5
	v_clz_i32_u32_e32 v5, v3
	s_delay_alu instid0(VALU_DEP_2) | instskip(NEXT) | instid1(VALU_DEP_2)
	v_cmp_eq_u32_e32 vcc_lo, 0, v8
	v_min_u32_e32 v5, 32, v5
	s_delay_alu instid0(VALU_DEP_1) | instskip(NEXT) | instid1(VALU_DEP_1)
	v_subrev_nc_u32_e32 v7, 29, v5
	v_dual_lshlrev_b32 v2, v7, v2 :: v_dual_sub_nc_u32 v5, 30, v5
	s_delay_alu instid0(VALU_DEP_1) | instskip(NEXT) | instid1(VALU_DEP_1)
	v_dual_lshlrev_b32 v4, 24, v4 :: v_dual_bitop2_b32 v2, 3, v2 bitop3:0x40
	v_dual_cndmask_b32 v5, v8, v5 :: v_dual_cndmask_b32 v2, v3, v2
	s_delay_alu instid0(VALU_DEP_2) | instskip(NEXT) | instid1(VALU_DEP_2)
	v_and_b32_e32 v3, 0x80000000, v4
	v_lshl_add_u32 v4, v5, 23, 0x37800000
	s_delay_alu instid0(VALU_DEP_3) | instskip(NEXT) | instid1(VALU_DEP_1)
	v_lshlrev_b32_e32 v2, 21, v2
	v_or3_b32 v2, v3, v4, v2
	s_delay_alu instid0(VALU_DEP_1) | instskip(NEXT) | instid1(VALU_DEP_1)
	v_trunc_f32_e32 v2, v2
	v_mul_f32_e64 v3, 0x2f800000, |v2|
	s_delay_alu instid0(VALU_DEP_1) | instskip(NEXT) | instid1(VALU_DEP_1)
	v_floor_f32_e32 v3, v3
	v_fma_f32 v4, 0xcf800000, v3, |v2|
	v_ashrrev_i32_e32 v2, 31, v2
	v_cvt_u32_f32_e32 v5, v3
	s_delay_alu instid0(VALU_DEP_3) | instskip(NEXT) | instid1(VALU_DEP_2)
	v_cvt_u32_f32_e32 v4, v4
	v_dual_mov_b32 v3, v2 :: v_dual_bitop2_b32 v5, v5, v2 bitop3:0x14
	s_delay_alu instid0(VALU_DEP_2) | instskip(NEXT) | instid1(VALU_DEP_1)
	v_xor_b32_e32 v4, v4, v2
	v_sub_nc_u64_e32 v[2:3], v[4:5], v[2:3]
.LBB110_1326:
	s_or_b32 exec_lo, exec_lo, s6
	s_mov_b32 s6, 0
	s_branch .LBB110_1332
.LBB110_1327:
	s_mov_b32 s6, -1
                                        ; implicit-def: $vgpr2_vgpr3
	s_branch .LBB110_1338
.LBB110_1328:
	s_and_not1_saveexec_b32 s6, s6
	s_cbranch_execz .LBB110_1313
.LBB110_1329:
	v_cmp_ne_u16_e32 vcc_lo, 0, v4
	s_and_not1_b32 s20, s20, exec_lo
	s_and_b32 s21, vcc_lo, exec_lo
	s_delay_alu instid0(SALU_CYCLE_1)
	s_or_b32 s20, s20, s21
	s_or_b32 exec_lo, exec_lo, s6
	v_mov_b64_e32 v[2:3], 0
	s_and_saveexec_b32 s6, s20
	s_cbranch_execnz .LBB110_1314
	s_branch .LBB110_1315
.LBB110_1330:
	s_mov_b32 s6, -1
                                        ; implicit-def: $vgpr2_vgpr3
	s_branch .LBB110_1335
.LBB110_1331:
	s_mov_b32 s6, -1
                                        ; implicit-def: $vgpr2_vgpr3
.LBB110_1332:
	s_delay_alu instid0(SALU_CYCLE_1)
	s_and_b32 vcc_lo, exec_lo, s6
	s_cbranch_vccz .LBB110_1334
; %bb.1333:
	s_wait_loadcnt 0x0
	global_load_u8 v2, v[0:1], off
	s_wait_loadcnt 0x0
	v_lshlrev_b32_e32 v2, 24, v2
	s_delay_alu instid0(VALU_DEP_1) | instskip(NEXT) | instid1(VALU_DEP_1)
	v_and_b32_e32 v3, 0x7f000000, v2
	v_clz_i32_u32_e32 v4, v3
	v_add_nc_u32_e32 v7, 0x1000000, v3
	v_cmp_ne_u32_e32 vcc_lo, 0, v3
	s_delay_alu instid0(VALU_DEP_3) | instskip(NEXT) | instid1(VALU_DEP_1)
	v_min_u32_e32 v4, 32, v4
	v_sub_nc_u32_e64 v4, v4, 4 clamp
	s_delay_alu instid0(VALU_DEP_1) | instskip(NEXT) | instid1(VALU_DEP_1)
	v_dual_lshlrev_b32 v5, v4, v3 :: v_dual_lshlrev_b32 v4, 23, v4
	v_lshrrev_b32_e32 v5, 4, v5
	s_delay_alu instid0(VALU_DEP_1) | instskip(NEXT) | instid1(VALU_DEP_1)
	v_dual_sub_nc_u32 v4, v5, v4 :: v_dual_ashrrev_i32 v5, 8, v7
	v_add_nc_u32_e32 v4, 0x3c000000, v4
	s_delay_alu instid0(VALU_DEP_1) | instskip(NEXT) | instid1(VALU_DEP_1)
	v_and_or_b32 v4, 0x7f800000, v5, v4
	v_cndmask_b32_e32 v3, 0, v4, vcc_lo
	s_delay_alu instid0(VALU_DEP_1) | instskip(NEXT) | instid1(VALU_DEP_1)
	v_and_or_b32 v2, 0x80000000, v2, v3
	v_trunc_f32_e32 v2, v2
	s_delay_alu instid0(VALU_DEP_1) | instskip(NEXT) | instid1(VALU_DEP_1)
	v_mul_f32_e64 v3, 0x2f800000, |v2|
	v_floor_f32_e32 v3, v3
	s_delay_alu instid0(VALU_DEP_1) | instskip(SKIP_2) | instid1(VALU_DEP_3)
	v_fma_f32 v4, 0xcf800000, v3, |v2|
	v_ashrrev_i32_e32 v2, 31, v2
	v_cvt_u32_f32_e32 v5, v3
	v_cvt_u32_f32_e32 v4, v4
	s_delay_alu instid0(VALU_DEP_2) | instskip(NEXT) | instid1(VALU_DEP_2)
	v_dual_mov_b32 v3, v2 :: v_dual_bitop2_b32 v5, v5, v2 bitop3:0x14
	v_xor_b32_e32 v4, v4, v2
	s_delay_alu instid0(VALU_DEP_1)
	v_sub_nc_u64_e32 v[2:3], v[4:5], v[2:3]
.LBB110_1334:
	s_mov_b32 s6, 0
.LBB110_1335:
	s_delay_alu instid0(SALU_CYCLE_1)
	s_and_not1_b32 vcc_lo, exec_lo, s6
	s_cbranch_vccnz .LBB110_1337
; %bb.1336:
	s_wait_loadcnt 0x0
	global_load_u8 v2, v[0:1], off
	s_wait_loadcnt 0x0
	v_lshlrev_b32_e32 v3, 25, v2
	v_lshlrev_b16 v2, 8, v2
	s_delay_alu instid0(VALU_DEP_1) | instskip(SKIP_1) | instid1(VALU_DEP_2)
	v_and_or_b32 v5, 0x7f00, v2, 0.5
	v_bfe_i32 v2, v2, 0, 16
	v_dual_add_f32 v5, -0.5, v5 :: v_dual_lshrrev_b32 v4, 4, v3
	v_cmp_gt_u32_e32 vcc_lo, 0x8000000, v3
	s_delay_alu instid0(VALU_DEP_2) | instskip(NEXT) | instid1(VALU_DEP_1)
	v_or_b32_e32 v4, 0x70000000, v4
	v_mul_f32_e32 v4, 0x7800000, v4
	s_delay_alu instid0(VALU_DEP_1) | instskip(NEXT) | instid1(VALU_DEP_1)
	v_cndmask_b32_e32 v3, v4, v5, vcc_lo
	v_and_or_b32 v2, 0x80000000, v2, v3
	s_delay_alu instid0(VALU_DEP_1) | instskip(NEXT) | instid1(VALU_DEP_1)
	v_trunc_f32_e32 v2, v2
	v_mul_f32_e64 v3, 0x2f800000, |v2|
	s_delay_alu instid0(VALU_DEP_1) | instskip(NEXT) | instid1(VALU_DEP_1)
	v_floor_f32_e32 v3, v3
	v_fma_f32 v4, 0xcf800000, v3, |v2|
	v_ashrrev_i32_e32 v2, 31, v2
	v_cvt_u32_f32_e32 v5, v3
	s_delay_alu instid0(VALU_DEP_3) | instskip(NEXT) | instid1(VALU_DEP_2)
	v_cvt_u32_f32_e32 v4, v4
	v_dual_mov_b32 v3, v2 :: v_dual_bitop2_b32 v5, v5, v2 bitop3:0x14
	s_delay_alu instid0(VALU_DEP_2) | instskip(NEXT) | instid1(VALU_DEP_1)
	v_xor_b32_e32 v4, v4, v2
	v_sub_nc_u64_e32 v[2:3], v[4:5], v[2:3]
.LBB110_1337:
	s_mov_b32 s6, 0
	s_mov_b32 s20, -1
.LBB110_1338:
	s_and_not1_b32 vcc_lo, exec_lo, s6
	s_mov_b32 s7, 0
	s_cbranch_vccnz .LBB110_1349
; %bb.1339:
	s_cmp_gt_i32 s17, 14
	s_cbranch_scc0 .LBB110_1342
; %bb.1340:
	s_cmp_eq_u32 s17, 15
	s_cbranch_scc0 .LBB110_1345
; %bb.1341:
	s_wait_loadcnt 0x0
	global_load_u16 v2, v[0:1], off
	s_mov_b32 s0, 0
	s_mov_b32 s20, -1
	s_wait_loadcnt 0x0
	v_lshlrev_b32_e32 v2, 16, v2
	s_delay_alu instid0(VALU_DEP_1) | instskip(NEXT) | instid1(VALU_DEP_1)
	v_trunc_f32_e32 v2, v2
	v_mul_f32_e64 v3, 0x2f800000, |v2|
	s_delay_alu instid0(VALU_DEP_1) | instskip(NEXT) | instid1(VALU_DEP_1)
	v_floor_f32_e32 v3, v3
	v_fma_f32 v4, 0xcf800000, v3, |v2|
	v_ashrrev_i32_e32 v2, 31, v2
	v_cvt_u32_f32_e32 v5, v3
	s_delay_alu instid0(VALU_DEP_3) | instskip(NEXT) | instid1(VALU_DEP_2)
	v_cvt_u32_f32_e32 v4, v4
	v_dual_mov_b32 v3, v2 :: v_dual_bitop2_b32 v5, v5, v2 bitop3:0x14
	s_delay_alu instid0(VALU_DEP_2) | instskip(NEXT) | instid1(VALU_DEP_1)
	v_xor_b32_e32 v4, v4, v2
	v_sub_nc_u64_e32 v[2:3], v[4:5], v[2:3]
	s_branch .LBB110_1346
.LBB110_1342:
	s_mov_b32 s6, -1
                                        ; implicit-def: $vgpr2_vgpr3
	s_branch .LBB110_1347
.LBB110_1343:
	s_and_not1_saveexec_b32 s6, s6
	s_cbranch_execz .LBB110_1324
.LBB110_1344:
	v_cmp_ne_u16_e32 vcc_lo, 0, v4
	s_and_not1_b32 s7, s7, exec_lo
	s_and_b32 s20, vcc_lo, exec_lo
	s_delay_alu instid0(SALU_CYCLE_1)
	s_or_b32 s7, s7, s20
	s_or_b32 exec_lo, exec_lo, s6
	v_mov_b64_e32 v[2:3], 0
	s_and_saveexec_b32 s6, s7
	s_cbranch_execnz .LBB110_1325
	s_branch .LBB110_1326
.LBB110_1345:
	s_mov_b32 s0, -1
                                        ; implicit-def: $vgpr2_vgpr3
.LBB110_1346:
	s_mov_b32 s6, 0
.LBB110_1347:
	s_delay_alu instid0(SALU_CYCLE_1)
	s_and_b32 vcc_lo, exec_lo, s6
	s_cbranch_vccz .LBB110_1349
; %bb.1348:
	s_cmp_lg_u32 s17, 11
	s_mov_b32 s7, -1
	s_cselect_b32 s0, -1, 0
.LBB110_1349:
	s_delay_alu instid0(SALU_CYCLE_1)
	s_and_b32 vcc_lo, exec_lo, s0
	s_mov_b32 s6, s18
	s_cbranch_vccnz .LBB110_1772
; %bb.1350:
	s_and_not1_b32 vcc_lo, exec_lo, s7
	s_cbranch_vccnz .LBB110_1352
.LBB110_1351:
	s_wait_loadcnt 0x0
	global_load_u8 v2, v[0:1], off
	s_mov_b32 s0, 0
	s_mov_b32 s20, -1
	v_mov_b32_e32 v3, s0
	s_wait_loadcnt 0x0
	v_cmp_ne_u16_e32 vcc_lo, 0, v2
	v_cndmask_b32_e64 v2, 0, 1, vcc_lo
.LBB110_1352:
	s_mov_b32 s0, 0
.LBB110_1353:
	s_delay_alu instid0(SALU_CYCLE_1)
	s_and_b32 vcc_lo, exec_lo, s0
	s_cbranch_vccz .LBB110_1402
; %bb.1354:
	s_cmp_lt_i32 s17, 5
	s_cbranch_scc1 .LBB110_1359
; %bb.1355:
	s_cmp_lt_i32 s17, 8
	s_cbranch_scc1 .LBB110_1360
	;; [unrolled: 3-line block ×3, first 2 shown]
; %bb.1357:
	s_cmp_gt_i32 s17, 9
	s_cbranch_scc0 .LBB110_1362
; %bb.1358:
	s_wait_loadcnt 0x0
	global_load_b64 v[2:3], v[0:1], off
	s_mov_b32 s0, 0
	s_wait_loadcnt 0x0
	v_trunc_f64_e32 v[2:3], v[2:3]
	s_delay_alu instid0(VALU_DEP_1) | instskip(NEXT) | instid1(VALU_DEP_1)
	v_ldexp_f64 v[4:5], v[2:3], 0xffffffe0
	v_floor_f64_e32 v[4:5], v[4:5]
	s_delay_alu instid0(VALU_DEP_1) | instskip(SKIP_1) | instid1(VALU_DEP_2)
	v_fmamk_f64 v[8:9], v[4:5], 0xc1f00000, v[2:3]
	v_cvt_i32_f64_e32 v3, v[4:5]
	v_cvt_u32_f64_e32 v2, v[8:9]
	s_branch .LBB110_1363
.LBB110_1359:
	s_mov_b32 s0, -1
                                        ; implicit-def: $vgpr2_vgpr3
	s_branch .LBB110_1381
.LBB110_1360:
	s_mov_b32 s0, -1
                                        ; implicit-def: $vgpr2_vgpr3
	s_branch .LBB110_1369
.LBB110_1361:
	s_mov_b32 s0, -1
                                        ; implicit-def: $vgpr2_vgpr3
	s_branch .LBB110_1366
.LBB110_1362:
	s_mov_b32 s0, -1
                                        ; implicit-def: $vgpr2_vgpr3
.LBB110_1363:
	s_delay_alu instid0(SALU_CYCLE_1)
	s_and_not1_b32 vcc_lo, exec_lo, s0
	s_cbranch_vccnz .LBB110_1365
; %bb.1364:
	s_wait_loadcnt 0x0
	global_load_b32 v2, v[0:1], off
	s_wait_loadcnt 0x0
	v_trunc_f32_e32 v2, v2
	s_delay_alu instid0(VALU_DEP_1) | instskip(NEXT) | instid1(VALU_DEP_1)
	v_mul_f32_e64 v3, 0x2f800000, |v2|
	v_floor_f32_e32 v3, v3
	s_delay_alu instid0(VALU_DEP_1) | instskip(SKIP_2) | instid1(VALU_DEP_3)
	v_fma_f32 v4, 0xcf800000, v3, |v2|
	v_ashrrev_i32_e32 v2, 31, v2
	v_cvt_u32_f32_e32 v5, v3
	v_cvt_u32_f32_e32 v4, v4
	s_delay_alu instid0(VALU_DEP_2) | instskip(NEXT) | instid1(VALU_DEP_2)
	v_dual_mov_b32 v3, v2 :: v_dual_bitop2_b32 v5, v5, v2 bitop3:0x14
	v_xor_b32_e32 v4, v4, v2
	s_delay_alu instid0(VALU_DEP_1)
	v_sub_nc_u64_e32 v[2:3], v[4:5], v[2:3]
.LBB110_1365:
	s_mov_b32 s0, 0
.LBB110_1366:
	s_delay_alu instid0(SALU_CYCLE_1)
	s_and_not1_b32 vcc_lo, exec_lo, s0
	s_cbranch_vccnz .LBB110_1368
; %bb.1367:
	s_wait_loadcnt 0x0
	global_load_b32 v2, v[0:1], off
	s_wait_loadcnt 0x0
	v_cvt_f32_f16_e32 v2, v2
	s_delay_alu instid0(VALU_DEP_1) | instskip(NEXT) | instid1(VALU_DEP_1)
	v_cvt_i32_f32_e32 v2, v2
	v_ashrrev_i32_e32 v3, 31, v2
.LBB110_1368:
	s_mov_b32 s0, 0
.LBB110_1369:
	s_delay_alu instid0(SALU_CYCLE_1)
	s_and_not1_b32 vcc_lo, exec_lo, s0
	s_cbranch_vccnz .LBB110_1380
; %bb.1370:
	s_cmp_lt_i32 s17, 6
	s_cbranch_scc1 .LBB110_1373
; %bb.1371:
	s_cmp_gt_i32 s17, 6
	s_cbranch_scc0 .LBB110_1374
; %bb.1372:
	s_wait_loadcnt 0x0
	global_load_b64 v[2:3], v[0:1], off
	s_mov_b32 s0, 0
	s_wait_loadcnt 0x0
	v_trunc_f64_e32 v[2:3], v[2:3]
	s_delay_alu instid0(VALU_DEP_1) | instskip(NEXT) | instid1(VALU_DEP_1)
	v_ldexp_f64 v[4:5], v[2:3], 0xffffffe0
	v_floor_f64_e32 v[4:5], v[4:5]
	s_delay_alu instid0(VALU_DEP_1) | instskip(SKIP_1) | instid1(VALU_DEP_2)
	v_fmamk_f64 v[8:9], v[4:5], 0xc1f00000, v[2:3]
	v_cvt_i32_f64_e32 v3, v[4:5]
	v_cvt_u32_f64_e32 v2, v[8:9]
	s_branch .LBB110_1375
.LBB110_1373:
	s_mov_b32 s0, -1
                                        ; implicit-def: $vgpr2_vgpr3
	s_branch .LBB110_1378
.LBB110_1374:
	s_mov_b32 s0, -1
                                        ; implicit-def: $vgpr2_vgpr3
.LBB110_1375:
	s_delay_alu instid0(SALU_CYCLE_1)
	s_and_not1_b32 vcc_lo, exec_lo, s0
	s_cbranch_vccnz .LBB110_1377
; %bb.1376:
	s_wait_loadcnt 0x0
	global_load_b32 v2, v[0:1], off
	s_wait_loadcnt 0x0
	v_trunc_f32_e32 v2, v2
	s_delay_alu instid0(VALU_DEP_1) | instskip(NEXT) | instid1(VALU_DEP_1)
	v_mul_f32_e64 v3, 0x2f800000, |v2|
	v_floor_f32_e32 v3, v3
	s_delay_alu instid0(VALU_DEP_1) | instskip(SKIP_2) | instid1(VALU_DEP_3)
	v_fma_f32 v4, 0xcf800000, v3, |v2|
	v_ashrrev_i32_e32 v2, 31, v2
	v_cvt_u32_f32_e32 v5, v3
	v_cvt_u32_f32_e32 v4, v4
	s_delay_alu instid0(VALU_DEP_2) | instskip(NEXT) | instid1(VALU_DEP_2)
	v_dual_mov_b32 v3, v2 :: v_dual_bitop2_b32 v5, v5, v2 bitop3:0x14
	v_xor_b32_e32 v4, v4, v2
	s_delay_alu instid0(VALU_DEP_1)
	v_sub_nc_u64_e32 v[2:3], v[4:5], v[2:3]
.LBB110_1377:
	s_mov_b32 s0, 0
.LBB110_1378:
	s_delay_alu instid0(SALU_CYCLE_1)
	s_and_not1_b32 vcc_lo, exec_lo, s0
	s_cbranch_vccnz .LBB110_1380
; %bb.1379:
	s_wait_loadcnt 0x0
	global_load_u16 v2, v[0:1], off
	s_wait_loadcnt 0x0
	v_cvt_f32_f16_e32 v2, v2
	s_delay_alu instid0(VALU_DEP_1) | instskip(NEXT) | instid1(VALU_DEP_1)
	v_cvt_i32_f32_e32 v2, v2
	v_ashrrev_i32_e32 v3, 31, v2
.LBB110_1380:
	s_mov_b32 s0, 0
.LBB110_1381:
	s_delay_alu instid0(SALU_CYCLE_1)
	s_and_not1_b32 vcc_lo, exec_lo, s0
	s_cbranch_vccnz .LBB110_1401
; %bb.1382:
	s_cmp_lt_i32 s17, 2
	s_cbranch_scc1 .LBB110_1386
; %bb.1383:
	s_cmp_lt_i32 s17, 3
	s_cbranch_scc1 .LBB110_1387
; %bb.1384:
	s_cmp_gt_i32 s17, 3
	s_cbranch_scc0 .LBB110_1388
; %bb.1385:
	s_wait_loadcnt 0x0
	global_load_b64 v[2:3], v[0:1], off
	s_mov_b32 s0, 0
	s_branch .LBB110_1389
.LBB110_1386:
	s_mov_b32 s0, -1
                                        ; implicit-def: $vgpr2_vgpr3
	s_branch .LBB110_1395
.LBB110_1387:
	s_mov_b32 s0, -1
                                        ; implicit-def: $vgpr2_vgpr3
	s_branch .LBB110_1392
.LBB110_1388:
	s_mov_b32 s0, -1
                                        ; implicit-def: $vgpr2_vgpr3
.LBB110_1389:
	s_delay_alu instid0(SALU_CYCLE_1)
	s_and_not1_b32 vcc_lo, exec_lo, s0
	s_cbranch_vccnz .LBB110_1391
; %bb.1390:
	s_wait_loadcnt 0x0
	global_load_b32 v2, v[0:1], off
	s_wait_loadcnt 0x0
	v_ashrrev_i32_e32 v3, 31, v2
.LBB110_1391:
	s_mov_b32 s0, 0
.LBB110_1392:
	s_delay_alu instid0(SALU_CYCLE_1)
	s_and_not1_b32 vcc_lo, exec_lo, s0
	s_cbranch_vccnz .LBB110_1394
; %bb.1393:
	s_wait_loadcnt 0x0
	global_load_u16 v2, v[0:1], off
	s_wait_loadcnt 0x0
	v_bfe_i32 v2, v2, 0, 16
	s_delay_alu instid0(VALU_DEP_1)
	v_ashrrev_i32_e32 v3, 31, v2
.LBB110_1394:
	s_mov_b32 s0, 0
.LBB110_1395:
	s_delay_alu instid0(SALU_CYCLE_1)
	s_and_not1_b32 vcc_lo, exec_lo, s0
	s_cbranch_vccnz .LBB110_1401
; %bb.1396:
	s_cmp_gt_i32 s17, 0
	s_mov_b32 s0, 0
	s_cbranch_scc0 .LBB110_1398
; %bb.1397:
	s_wait_loadcnt 0x0
	global_load_i8 v2, v[0:1], off
	s_wait_loadcnt 0x0
	v_bfe_i32 v2, v2, 0, 16
	s_delay_alu instid0(VALU_DEP_1)
	v_ashrrev_i32_e32 v3, 31, v2
	s_branch .LBB110_1399
.LBB110_1398:
	s_mov_b32 s0, -1
                                        ; implicit-def: $vgpr2_vgpr3
.LBB110_1399:
	s_delay_alu instid0(SALU_CYCLE_1)
	s_and_not1_b32 vcc_lo, exec_lo, s0
	s_cbranch_vccnz .LBB110_1401
; %bb.1400:
	global_load_u8 v0, v[0:1], off
	s_mov_b32 s0, 0
	s_wait_loadcnt 0x1
	v_mov_b32_e32 v3, s0
	s_wait_loadcnt 0x0
	v_and_b32_e32 v2, 0xffff, v0
.LBB110_1401:
	s_mov_b32 s20, -1
.LBB110_1402:
	s_delay_alu instid0(SALU_CYCLE_1)
	s_and_not1_b32 vcc_lo, exec_lo, s20
	s_cbranch_vccnz .LBB110_1453
; %bb.1403:
	s_wait_loadcnt 0x0
	s_delay_alu instid0(VALU_DEP_1) | instskip(SKIP_4) | instid1(SALU_CYCLE_1)
	v_cmp_gt_i64_e32 vcc_lo, s[8:9], v[2:3]
	v_cmp_le_i64_e64 s0, s[10:11], v[2:3]
	s_or_b32 s0, vcc_lo, s0
	s_wait_xcnt 0x0
	s_and_saveexec_b32 s7, s0
	s_xor_b32 s0, exec_lo, s7
	s_cbranch_execnz .LBB110_1780
.LBB110_1404:
	s_or_saveexec_b32 s7, s0
	s_mov_b32 s8, 0
	s_mov_b32 s9, 0
                                        ; implicit-def: $sgpr0
                                        ; implicit-def: $vgpr2_vgpr3
	s_xor_b32 exec_lo, exec_lo, s7
	s_cbranch_execz .LBB110_1721
; %bb.1405:
	v_mul_lo_u32 v0, s2, v6
	s_and_b32 s0, s12, 0xff
	s_delay_alu instid0(SALU_CYCLE_1) | instskip(NEXT) | instid1(VALU_DEP_1)
	s_cmp_lt_i32 s0, 11
	v_ashrrev_i32_e32 v1, 31, v0
	s_delay_alu instid0(VALU_DEP_1)
	v_add_nc_u64_e32 v[2:3], s[4:5], v[0:1]
	s_cbranch_scc1 .LBB110_1454
; %bb.1406:
	s_and_b32 s8, 0xffff, s0
	s_mov_b32 s12, -1
	s_mov_b32 s11, 0
	s_cmp_gt_i32 s8, 25
	s_mov_b32 s10, 0
	s_cbranch_scc0 .LBB110_1431
; %bb.1407:
	s_cmp_gt_i32 s8, 28
	s_cbranch_scc0 .LBB110_1420
; %bb.1408:
	s_cmp_gt_i32 s8, 43
	;; [unrolled: 3-line block ×3, first 2 shown]
	s_cbranch_scc0 .LBB110_1412
; %bb.1410:
	s_mov_b32 s9, -1
	s_mov_b32 s12, 0
	s_cmp_eq_u32 s8, 46
	s_cbranch_scc0 .LBB110_1412
; %bb.1411:
	v_mov_b32_e32 v1, 0
	s_mov_b32 s9, 0
	s_mov_b32 s10, -1
	global_store_b32 v[2:3], v1, off
.LBB110_1412:
	s_and_b32 vcc_lo, exec_lo, s12
	s_cbranch_vccz .LBB110_1415
; %bb.1413:
	s_cmp_eq_u32 s8, 44
	s_mov_b32 s9, -1
	s_cbranch_scc0 .LBB110_1415
; %bb.1414:
	s_wait_xcnt 0x0
	v_mov_b32_e32 v1, 0
	s_mov_b32 s9, 0
	s_mov_b32 s10, -1
	global_store_b8 v[2:3], v1, off
.LBB110_1415:
	s_mov_b32 s12, 0
.LBB110_1416:
	s_delay_alu instid0(SALU_CYCLE_1)
	s_and_b32 vcc_lo, exec_lo, s12
	s_cbranch_vccz .LBB110_1419
; %bb.1417:
	s_cmp_eq_u32 s8, 29
	s_mov_b32 s9, -1
	s_cbranch_scc0 .LBB110_1419
; %bb.1418:
	v_mov_b64_e32 v[4:5], 0
	s_mov_b32 s9, 0
	s_mov_b32 s10, -1
	global_store_b64 v[2:3], v[4:5], off
.LBB110_1419:
	s_mov_b32 s12, 0
.LBB110_1420:
	s_delay_alu instid0(SALU_CYCLE_1)
	s_and_b32 vcc_lo, exec_lo, s12
	s_cbranch_vccz .LBB110_1430
; %bb.1421:
	s_cmp_lt_i32 s8, 27
	s_mov_b32 s10, -1
	s_cbranch_scc1 .LBB110_1427
; %bb.1422:
	s_cmp_gt_i32 s8, 27
	s_cbranch_scc0 .LBB110_1424
; %bb.1423:
	s_wait_xcnt 0x0
	v_mov_b32_e32 v1, 0
	s_mov_b32 s10, 0
	global_store_b32 v[2:3], v1, off
.LBB110_1424:
	s_and_not1_b32 vcc_lo, exec_lo, s10
	s_cbranch_vccnz .LBB110_1426
; %bb.1425:
	s_wait_xcnt 0x0
	v_mov_b32_e32 v1, 0
	global_store_b16 v[2:3], v1, off
.LBB110_1426:
	s_mov_b32 s10, 0
.LBB110_1427:
	s_delay_alu instid0(SALU_CYCLE_1)
	s_and_not1_b32 vcc_lo, exec_lo, s10
	s_cbranch_vccnz .LBB110_1429
; %bb.1428:
	s_wait_xcnt 0x0
	v_mov_b32_e32 v1, 0
	global_store_b8 v[2:3], v1, off
.LBB110_1429:
	s_mov_b32 s10, -1
.LBB110_1430:
	s_mov_b32 s12, 0
.LBB110_1431:
	s_delay_alu instid0(SALU_CYCLE_1)
	s_and_b32 vcc_lo, exec_lo, s12
	s_cbranch_vccz .LBB110_1449
; %bb.1432:
	s_cmp_gt_i32 s8, 22
	s_mov_b32 s11, -1
	s_cbranch_scc0 .LBB110_1442
; %bb.1433:
	s_cmp_lt_i32 s8, 24
	s_mov_b32 s10, -1
	s_cbranch_scc1 .LBB110_1439
; %bb.1434:
	s_cmp_gt_i32 s8, 24
	s_cbranch_scc0 .LBB110_1436
; %bb.1435:
	s_wait_xcnt 0x0
	v_mov_b32_e32 v1, 0
	s_mov_b32 s10, 0
	global_store_b8 v[2:3], v1, off
.LBB110_1436:
	s_and_not1_b32 vcc_lo, exec_lo, s10
	s_cbranch_vccnz .LBB110_1438
; %bb.1437:
	s_wait_xcnt 0x0
	v_mov_b32_e32 v1, 0
	global_store_b8 v[2:3], v1, off
.LBB110_1438:
	s_mov_b32 s10, 0
.LBB110_1439:
	s_delay_alu instid0(SALU_CYCLE_1)
	s_and_not1_b32 vcc_lo, exec_lo, s10
	s_cbranch_vccnz .LBB110_1441
; %bb.1440:
	s_wait_xcnt 0x0
	v_mov_b32_e32 v1, 0
	global_store_b8 v[2:3], v1, off
.LBB110_1441:
	s_mov_b32 s11, 0
	s_mov_b32 s10, -1
.LBB110_1442:
	s_and_not1_b32 vcc_lo, exec_lo, s11
	s_mov_b32 s11, 0
	s_cbranch_vccnz .LBB110_1449
; %bb.1443:
	s_cmp_gt_i32 s8, 14
	s_mov_b32 s11, -1
	s_cbranch_scc0 .LBB110_1447
; %bb.1444:
	s_cmp_eq_u32 s8, 15
	s_mov_b32 s9, -1
	s_cbranch_scc0 .LBB110_1446
; %bb.1445:
	s_wait_xcnt 0x0
	v_mov_b32_e32 v1, 0
	s_mov_b32 s9, 0
	s_mov_b32 s10, -1
	global_store_b16 v[2:3], v1, off
.LBB110_1446:
	s_mov_b32 s11, 0
.LBB110_1447:
	s_delay_alu instid0(SALU_CYCLE_1)
	s_and_b32 vcc_lo, exec_lo, s11
	s_mov_b32 s11, 0
	s_cbranch_vccz .LBB110_1449
; %bb.1448:
	s_cmp_lg_u32 s8, 11
	s_mov_b32 s11, -1
	s_cselect_b32 s9, -1, 0
.LBB110_1449:
	s_delay_alu instid0(SALU_CYCLE_1)
	s_and_b32 vcc_lo, exec_lo, s9
	s_mov_b32 s8, s6
	s_cbranch_vccnz .LBB110_1774
; %bb.1450:
	s_and_not1_b32 vcc_lo, exec_lo, s11
	s_cbranch_vccnz .LBB110_1452
.LBB110_1451:
	s_wait_xcnt 0x0
	v_mov_b32_e32 v1, 0
	s_mov_b32 s10, -1
	global_store_b8 v[2:3], v1, off
.LBB110_1452:
	s_mov_b32 s9, 0
	s_branch .LBB110_1455
.LBB110_1453:
	s_mov_b32 s8, 0
	s_mov_b32 s9, 0
                                        ; implicit-def: $sgpr0
                                        ; implicit-def: $vgpr2_vgpr3
	s_branch .LBB110_1722
.LBB110_1454:
	s_mov_b32 s9, -1
	s_mov_b32 s10, 0
	s_mov_b32 s8, s6
.LBB110_1455:
	s_and_b32 vcc_lo, exec_lo, s9
	s_cbranch_vccz .LBB110_1494
; %bb.1456:
	s_and_b32 s9, 0xffff, s0
	s_mov_b32 s10, -1
	s_cmp_lt_i32 s9, 5
	s_cbranch_scc1 .LBB110_1477
; %bb.1457:
	s_cmp_lt_i32 s9, 8
	s_cbranch_scc1 .LBB110_1467
; %bb.1458:
	;; [unrolled: 3-line block ×3, first 2 shown]
	s_cmp_gt_i32 s9, 9
	s_cbranch_scc0 .LBB110_1461
; %bb.1460:
	s_wait_xcnt 0x0
	v_mov_b32_e32 v4, 0
	s_mov_b32 s10, 0
	s_delay_alu instid0(VALU_DEP_1)
	v_dual_mov_b32 v5, v4 :: v_dual_mov_b32 v6, v4
	v_mov_b32_e32 v7, v4
	global_store_b128 v[2:3], v[4:7], off
.LBB110_1461:
	s_and_not1_b32 vcc_lo, exec_lo, s10
	s_cbranch_vccnz .LBB110_1463
; %bb.1462:
	s_wait_xcnt 0x0
	v_mov_b64_e32 v[4:5], 0
	global_store_b64 v[2:3], v[4:5], off
.LBB110_1463:
	s_mov_b32 s10, 0
.LBB110_1464:
	s_delay_alu instid0(SALU_CYCLE_1)
	s_and_not1_b32 vcc_lo, exec_lo, s10
	s_cbranch_vccnz .LBB110_1466
; %bb.1465:
	s_wait_xcnt 0x0
	v_mov_b32_e32 v1, 0
	global_store_b32 v[2:3], v1, off
.LBB110_1466:
	s_mov_b32 s10, 0
.LBB110_1467:
	s_delay_alu instid0(SALU_CYCLE_1)
	s_and_not1_b32 vcc_lo, exec_lo, s10
	s_cbranch_vccnz .LBB110_1476
; %bb.1468:
	s_cmp_lt_i32 s9, 6
	s_mov_b32 s10, -1
	s_cbranch_scc1 .LBB110_1474
; %bb.1469:
	s_cmp_gt_i32 s9, 6
	s_cbranch_scc0 .LBB110_1471
; %bb.1470:
	s_wait_xcnt 0x0
	v_mov_b64_e32 v[4:5], 0
	s_mov_b32 s10, 0
	global_store_b64 v[2:3], v[4:5], off
.LBB110_1471:
	s_and_not1_b32 vcc_lo, exec_lo, s10
	s_cbranch_vccnz .LBB110_1473
; %bb.1472:
	s_wait_xcnt 0x0
	v_mov_b32_e32 v1, 0
	global_store_b32 v[2:3], v1, off
.LBB110_1473:
	s_mov_b32 s10, 0
.LBB110_1474:
	s_delay_alu instid0(SALU_CYCLE_1)
	s_and_not1_b32 vcc_lo, exec_lo, s10
	s_cbranch_vccnz .LBB110_1476
; %bb.1475:
	s_wait_xcnt 0x0
	v_mov_b32_e32 v1, 0
	global_store_b16 v[2:3], v1, off
.LBB110_1476:
	s_mov_b32 s10, 0
.LBB110_1477:
	s_delay_alu instid0(SALU_CYCLE_1)
	s_and_not1_b32 vcc_lo, exec_lo, s10
	s_cbranch_vccnz .LBB110_1493
; %bb.1478:
	s_cmp_lt_i32 s9, 2
	s_mov_b32 s10, -1
	s_cbranch_scc1 .LBB110_1488
; %bb.1479:
	s_cmp_lt_i32 s9, 3
	s_cbranch_scc1 .LBB110_1485
; %bb.1480:
	s_cmp_gt_i32 s9, 3
	s_cbranch_scc0 .LBB110_1482
; %bb.1481:
	s_wait_xcnt 0x0
	v_mov_b64_e32 v[4:5], 0
	s_mov_b32 s10, 0
	global_store_b64 v[2:3], v[4:5], off
.LBB110_1482:
	s_and_not1_b32 vcc_lo, exec_lo, s10
	s_cbranch_vccnz .LBB110_1484
; %bb.1483:
	s_wait_xcnt 0x0
	v_mov_b32_e32 v1, 0
	global_store_b32 v[2:3], v1, off
.LBB110_1484:
	s_mov_b32 s10, 0
.LBB110_1485:
	s_delay_alu instid0(SALU_CYCLE_1)
	s_and_not1_b32 vcc_lo, exec_lo, s10
	s_cbranch_vccnz .LBB110_1487
; %bb.1486:
	s_wait_xcnt 0x0
	v_mov_b32_e32 v1, 0
	global_store_b16 v[2:3], v1, off
.LBB110_1487:
	s_mov_b32 s10, 0
.LBB110_1488:
	s_delay_alu instid0(SALU_CYCLE_1)
	s_and_not1_b32 vcc_lo, exec_lo, s10
	s_cbranch_vccnz .LBB110_1493
; %bb.1489:
	s_cmp_gt_i32 s9, 0
	s_mov_b32 s9, -1
	s_cbranch_scc0 .LBB110_1491
; %bb.1490:
	s_wait_xcnt 0x0
	v_mov_b32_e32 v1, 0
	s_mov_b32 s9, 0
	global_store_b8 v[2:3], v1, off
.LBB110_1491:
	s_and_not1_b32 vcc_lo, exec_lo, s9
	s_cbranch_vccnz .LBB110_1493
; %bb.1492:
	s_wait_xcnt 0x0
	v_mov_b32_e32 v1, 0
	global_store_b8 v[2:3], v1, off
.LBB110_1493:
	s_mov_b32 s10, -1
.LBB110_1494:
	s_delay_alu instid0(SALU_CYCLE_1)
	s_and_not1_b32 vcc_lo, exec_lo, s10
	s_cbranch_vccnz .LBB110_1719
; %bb.1495:
	s_lshl_b32 s2, s2, 7
	s_cmp_lt_i32 s0, 11
	v_add_nc_u32_e32 v0, s2, v0
	s_wait_xcnt 0x0
	s_delay_alu instid0(VALU_DEP_1) | instskip(NEXT) | instid1(VALU_DEP_1)
	v_ashrrev_i32_e32 v1, 31, v0
	v_add_nc_u64_e32 v[2:3], s[4:5], v[0:1]
	s_cbranch_scc1 .LBB110_1543
; %bb.1496:
	s_and_b32 s9, 0xffff, s0
	s_mov_b32 s17, -1
	s_mov_b32 s12, 0
	s_cmp_gt_i32 s9, 25
	s_mov_b32 s11, 0
	s_mov_b32 s10, 0
	s_cbranch_scc0 .LBB110_1521
; %bb.1497:
	s_cmp_gt_i32 s9, 28
	s_cbranch_scc0 .LBB110_1510
; %bb.1498:
	s_cmp_gt_i32 s9, 43
	s_cbranch_scc0 .LBB110_1506
; %bb.1499:
	s_cmp_gt_i32 s9, 45
	s_cbranch_scc0 .LBB110_1502
; %bb.1500:
	s_mov_b32 s10, -1
	s_mov_b32 s17, 0
	s_cmp_eq_u32 s9, 46
	s_cbranch_scc0 .LBB110_1502
; %bb.1501:
	v_mov_b32_e32 v1, 0
	s_mov_b32 s10, 0
	s_mov_b32 s11, -1
	global_store_b32 v[2:3], v1, off
.LBB110_1502:
	s_and_b32 vcc_lo, exec_lo, s17
	s_cbranch_vccz .LBB110_1505
; %bb.1503:
	s_cmp_eq_u32 s9, 44
	s_mov_b32 s10, -1
	s_cbranch_scc0 .LBB110_1505
; %bb.1504:
	s_wait_xcnt 0x0
	v_mov_b32_e32 v1, 0
	s_mov_b32 s10, 0
	s_mov_b32 s11, -1
	global_store_b8 v[2:3], v1, off
.LBB110_1505:
	s_mov_b32 s17, 0
.LBB110_1506:
	s_delay_alu instid0(SALU_CYCLE_1)
	s_and_b32 vcc_lo, exec_lo, s17
	s_cbranch_vccz .LBB110_1509
; %bb.1507:
	s_cmp_eq_u32 s9, 29
	s_mov_b32 s10, -1
	s_cbranch_scc0 .LBB110_1509
; %bb.1508:
	v_mov_b64_e32 v[4:5], 0
	s_mov_b32 s10, 0
	s_mov_b32 s11, -1
	global_store_b64 v[2:3], v[4:5], off
.LBB110_1509:
	s_mov_b32 s17, 0
.LBB110_1510:
	s_delay_alu instid0(SALU_CYCLE_1)
	s_and_b32 vcc_lo, exec_lo, s17
	s_cbranch_vccz .LBB110_1520
; %bb.1511:
	s_cmp_lt_i32 s9, 27
	s_mov_b32 s11, -1
	s_cbranch_scc1 .LBB110_1517
; %bb.1512:
	s_cmp_gt_i32 s9, 27
	s_cbranch_scc0 .LBB110_1514
; %bb.1513:
	s_wait_xcnt 0x0
	v_mov_b32_e32 v1, 0
	s_mov_b32 s11, 0
	global_store_b32 v[2:3], v1, off
.LBB110_1514:
	s_and_not1_b32 vcc_lo, exec_lo, s11
	s_cbranch_vccnz .LBB110_1516
; %bb.1515:
	s_wait_xcnt 0x0
	v_mov_b32_e32 v1, 0
	global_store_b16 v[2:3], v1, off
.LBB110_1516:
	s_mov_b32 s11, 0
.LBB110_1517:
	s_delay_alu instid0(SALU_CYCLE_1)
	s_and_not1_b32 vcc_lo, exec_lo, s11
	s_cbranch_vccnz .LBB110_1519
; %bb.1518:
	s_wait_xcnt 0x0
	v_mov_b32_e32 v1, 0
	global_store_b8 v[2:3], v1, off
.LBB110_1519:
	s_mov_b32 s11, -1
.LBB110_1520:
	s_mov_b32 s17, 0
.LBB110_1521:
	s_delay_alu instid0(SALU_CYCLE_1)
	s_and_b32 vcc_lo, exec_lo, s17
	s_cbranch_vccz .LBB110_1539
; %bb.1522:
	s_cmp_gt_i32 s9, 22
	s_mov_b32 s12, -1
	s_cbranch_scc0 .LBB110_1532
; %bb.1523:
	s_cmp_lt_i32 s9, 24
	s_mov_b32 s11, -1
	s_cbranch_scc1 .LBB110_1529
; %bb.1524:
	s_cmp_gt_i32 s9, 24
	s_cbranch_scc0 .LBB110_1526
; %bb.1525:
	s_wait_xcnt 0x0
	v_mov_b32_e32 v1, 0
	s_mov_b32 s11, 0
	global_store_b8 v[2:3], v1, off
.LBB110_1526:
	s_and_not1_b32 vcc_lo, exec_lo, s11
	s_cbranch_vccnz .LBB110_1528
; %bb.1527:
	s_wait_xcnt 0x0
	v_mov_b32_e32 v1, 0
	global_store_b8 v[2:3], v1, off
.LBB110_1528:
	s_mov_b32 s11, 0
.LBB110_1529:
	s_delay_alu instid0(SALU_CYCLE_1)
	s_and_not1_b32 vcc_lo, exec_lo, s11
	s_cbranch_vccnz .LBB110_1531
; %bb.1530:
	s_wait_xcnt 0x0
	v_mov_b32_e32 v1, 0
	global_store_b8 v[2:3], v1, off
.LBB110_1531:
	s_mov_b32 s12, 0
	s_mov_b32 s11, -1
.LBB110_1532:
	s_and_not1_b32 vcc_lo, exec_lo, s12
	s_mov_b32 s12, 0
	s_cbranch_vccnz .LBB110_1539
; %bb.1533:
	s_cmp_gt_i32 s9, 14
	s_mov_b32 s12, -1
	s_cbranch_scc0 .LBB110_1537
; %bb.1534:
	s_cmp_eq_u32 s9, 15
	s_mov_b32 s10, -1
	s_cbranch_scc0 .LBB110_1536
; %bb.1535:
	s_wait_xcnt 0x0
	v_mov_b32_e32 v1, 0
	s_mov_b32 s10, 0
	s_mov_b32 s11, -1
	global_store_b16 v[2:3], v1, off
.LBB110_1536:
	s_mov_b32 s12, 0
.LBB110_1537:
	s_delay_alu instid0(SALU_CYCLE_1)
	s_and_b32 vcc_lo, exec_lo, s12
	s_mov_b32 s12, 0
	s_cbranch_vccz .LBB110_1539
; %bb.1538:
	s_cmp_lg_u32 s9, 11
	s_mov_b32 s12, -1
	s_cselect_b32 s10, -1, 0
.LBB110_1539:
	s_delay_alu instid0(SALU_CYCLE_1)
	s_and_b32 vcc_lo, exec_lo, s10
	s_cbranch_vccnz .LBB110_1776
; %bb.1540:
	s_and_not1_b32 vcc_lo, exec_lo, s12
	s_cbranch_vccnz .LBB110_1542
.LBB110_1541:
	s_wait_xcnt 0x0
	v_mov_b32_e32 v1, 0
	s_mov_b32 s11, -1
	global_store_b8 v[2:3], v1, off
.LBB110_1542:
	s_mov_b32 s9, 0
	s_branch .LBB110_1544
.LBB110_1543:
	s_mov_b32 s9, -1
	s_mov_b32 s11, 0
.LBB110_1544:
	s_and_b32 vcc_lo, exec_lo, s9
	s_cbranch_vccz .LBB110_1583
; %bb.1545:
	s_and_b32 s9, 0xffff, s0
	s_mov_b32 s10, -1
	s_cmp_lt_i32 s9, 5
	s_cbranch_scc1 .LBB110_1566
; %bb.1546:
	s_cmp_lt_i32 s9, 8
	s_cbranch_scc1 .LBB110_1556
; %bb.1547:
	;; [unrolled: 3-line block ×3, first 2 shown]
	s_cmp_gt_i32 s9, 9
	s_cbranch_scc0 .LBB110_1550
; %bb.1549:
	s_wait_xcnt 0x0
	v_mov_b32_e32 v4, 0
	s_mov_b32 s10, 0
	s_delay_alu instid0(VALU_DEP_1)
	v_dual_mov_b32 v5, v4 :: v_dual_mov_b32 v6, v4
	v_mov_b32_e32 v7, v4
	global_store_b128 v[2:3], v[4:7], off
.LBB110_1550:
	s_and_not1_b32 vcc_lo, exec_lo, s10
	s_cbranch_vccnz .LBB110_1552
; %bb.1551:
	s_wait_xcnt 0x0
	v_mov_b64_e32 v[4:5], 0
	global_store_b64 v[2:3], v[4:5], off
.LBB110_1552:
	s_mov_b32 s10, 0
.LBB110_1553:
	s_delay_alu instid0(SALU_CYCLE_1)
	s_and_not1_b32 vcc_lo, exec_lo, s10
	s_cbranch_vccnz .LBB110_1555
; %bb.1554:
	s_wait_xcnt 0x0
	v_mov_b32_e32 v1, 0
	global_store_b32 v[2:3], v1, off
.LBB110_1555:
	s_mov_b32 s10, 0
.LBB110_1556:
	s_delay_alu instid0(SALU_CYCLE_1)
	s_and_not1_b32 vcc_lo, exec_lo, s10
	s_cbranch_vccnz .LBB110_1565
; %bb.1557:
	s_cmp_lt_i32 s9, 6
	s_mov_b32 s10, -1
	s_cbranch_scc1 .LBB110_1563
; %bb.1558:
	s_cmp_gt_i32 s9, 6
	s_cbranch_scc0 .LBB110_1560
; %bb.1559:
	s_wait_xcnt 0x0
	v_mov_b64_e32 v[4:5], 0
	s_mov_b32 s10, 0
	global_store_b64 v[2:3], v[4:5], off
.LBB110_1560:
	s_and_not1_b32 vcc_lo, exec_lo, s10
	s_cbranch_vccnz .LBB110_1562
; %bb.1561:
	s_wait_xcnt 0x0
	v_mov_b32_e32 v1, 0
	global_store_b32 v[2:3], v1, off
.LBB110_1562:
	s_mov_b32 s10, 0
.LBB110_1563:
	s_delay_alu instid0(SALU_CYCLE_1)
	s_and_not1_b32 vcc_lo, exec_lo, s10
	s_cbranch_vccnz .LBB110_1565
; %bb.1564:
	s_wait_xcnt 0x0
	v_mov_b32_e32 v1, 0
	global_store_b16 v[2:3], v1, off
.LBB110_1565:
	s_mov_b32 s10, 0
.LBB110_1566:
	s_delay_alu instid0(SALU_CYCLE_1)
	s_and_not1_b32 vcc_lo, exec_lo, s10
	s_cbranch_vccnz .LBB110_1582
; %bb.1567:
	s_cmp_lt_i32 s9, 2
	s_mov_b32 s10, -1
	s_cbranch_scc1 .LBB110_1577
; %bb.1568:
	s_cmp_lt_i32 s9, 3
	s_cbranch_scc1 .LBB110_1574
; %bb.1569:
	s_cmp_gt_i32 s9, 3
	s_cbranch_scc0 .LBB110_1571
; %bb.1570:
	s_wait_xcnt 0x0
	v_mov_b64_e32 v[4:5], 0
	s_mov_b32 s10, 0
	global_store_b64 v[2:3], v[4:5], off
.LBB110_1571:
	s_and_not1_b32 vcc_lo, exec_lo, s10
	s_cbranch_vccnz .LBB110_1573
; %bb.1572:
	s_wait_xcnt 0x0
	v_mov_b32_e32 v1, 0
	global_store_b32 v[2:3], v1, off
.LBB110_1573:
	s_mov_b32 s10, 0
.LBB110_1574:
	s_delay_alu instid0(SALU_CYCLE_1)
	s_and_not1_b32 vcc_lo, exec_lo, s10
	s_cbranch_vccnz .LBB110_1576
; %bb.1575:
	s_wait_xcnt 0x0
	v_mov_b32_e32 v1, 0
	global_store_b16 v[2:3], v1, off
.LBB110_1576:
	s_mov_b32 s10, 0
.LBB110_1577:
	s_delay_alu instid0(SALU_CYCLE_1)
	s_and_not1_b32 vcc_lo, exec_lo, s10
	s_cbranch_vccnz .LBB110_1582
; %bb.1578:
	s_cmp_gt_i32 s9, 0
	s_mov_b32 s9, -1
	s_cbranch_scc0 .LBB110_1580
; %bb.1579:
	s_wait_xcnt 0x0
	v_mov_b32_e32 v1, 0
	s_mov_b32 s9, 0
	global_store_b8 v[2:3], v1, off
.LBB110_1580:
	s_and_not1_b32 vcc_lo, exec_lo, s9
	s_cbranch_vccnz .LBB110_1582
; %bb.1581:
	s_wait_xcnt 0x0
	v_mov_b32_e32 v1, 0
	global_store_b8 v[2:3], v1, off
.LBB110_1582:
	s_mov_b32 s11, -1
.LBB110_1583:
	s_delay_alu instid0(SALU_CYCLE_1)
	s_and_not1_b32 vcc_lo, exec_lo, s11
	s_cbranch_vccnz .LBB110_1719
; %bb.1584:
	v_add_nc_u32_e32 v0, s2, v0
	s_cmp_lt_i32 s0, 11
	s_wait_xcnt 0x0
	s_delay_alu instid0(VALU_DEP_1) | instskip(NEXT) | instid1(VALU_DEP_1)
	v_ashrrev_i32_e32 v1, 31, v0
	v_add_nc_u64_e32 v[2:3], s[4:5], v[0:1]
	s_cbranch_scc1 .LBB110_1632
; %bb.1585:
	s_and_b32 s9, 0xffff, s0
	s_mov_b32 s17, -1
	s_mov_b32 s12, 0
	s_cmp_gt_i32 s9, 25
	s_mov_b32 s11, 0
	s_mov_b32 s10, 0
	s_cbranch_scc0 .LBB110_1610
; %bb.1586:
	s_cmp_gt_i32 s9, 28
	s_cbranch_scc0 .LBB110_1599
; %bb.1587:
	s_cmp_gt_i32 s9, 43
	;; [unrolled: 3-line block ×3, first 2 shown]
	s_cbranch_scc0 .LBB110_1591
; %bb.1589:
	s_mov_b32 s10, -1
	s_mov_b32 s17, 0
	s_cmp_eq_u32 s9, 46
	s_cbranch_scc0 .LBB110_1591
; %bb.1590:
	v_mov_b32_e32 v1, 0
	s_mov_b32 s10, 0
	s_mov_b32 s11, -1
	global_store_b32 v[2:3], v1, off
.LBB110_1591:
	s_and_b32 vcc_lo, exec_lo, s17
	s_cbranch_vccz .LBB110_1594
; %bb.1592:
	s_cmp_eq_u32 s9, 44
	s_mov_b32 s10, -1
	s_cbranch_scc0 .LBB110_1594
; %bb.1593:
	s_wait_xcnt 0x0
	v_mov_b32_e32 v1, 0
	s_mov_b32 s10, 0
	s_mov_b32 s11, -1
	global_store_b8 v[2:3], v1, off
.LBB110_1594:
	s_mov_b32 s17, 0
.LBB110_1595:
	s_delay_alu instid0(SALU_CYCLE_1)
	s_and_b32 vcc_lo, exec_lo, s17
	s_cbranch_vccz .LBB110_1598
; %bb.1596:
	s_cmp_eq_u32 s9, 29
	s_mov_b32 s10, -1
	s_cbranch_scc0 .LBB110_1598
; %bb.1597:
	v_mov_b64_e32 v[4:5], 0
	s_mov_b32 s10, 0
	s_mov_b32 s11, -1
	global_store_b64 v[2:3], v[4:5], off
.LBB110_1598:
	s_mov_b32 s17, 0
.LBB110_1599:
	s_delay_alu instid0(SALU_CYCLE_1)
	s_and_b32 vcc_lo, exec_lo, s17
	s_cbranch_vccz .LBB110_1609
; %bb.1600:
	s_cmp_lt_i32 s9, 27
	s_mov_b32 s11, -1
	s_cbranch_scc1 .LBB110_1606
; %bb.1601:
	s_cmp_gt_i32 s9, 27
	s_cbranch_scc0 .LBB110_1603
; %bb.1602:
	s_wait_xcnt 0x0
	v_mov_b32_e32 v1, 0
	s_mov_b32 s11, 0
	global_store_b32 v[2:3], v1, off
.LBB110_1603:
	s_and_not1_b32 vcc_lo, exec_lo, s11
	s_cbranch_vccnz .LBB110_1605
; %bb.1604:
	s_wait_xcnt 0x0
	v_mov_b32_e32 v1, 0
	global_store_b16 v[2:3], v1, off
.LBB110_1605:
	s_mov_b32 s11, 0
.LBB110_1606:
	s_delay_alu instid0(SALU_CYCLE_1)
	s_and_not1_b32 vcc_lo, exec_lo, s11
	s_cbranch_vccnz .LBB110_1608
; %bb.1607:
	s_wait_xcnt 0x0
	v_mov_b32_e32 v1, 0
	global_store_b8 v[2:3], v1, off
.LBB110_1608:
	s_mov_b32 s11, -1
.LBB110_1609:
	s_mov_b32 s17, 0
.LBB110_1610:
	s_delay_alu instid0(SALU_CYCLE_1)
	s_and_b32 vcc_lo, exec_lo, s17
	s_cbranch_vccz .LBB110_1628
; %bb.1611:
	s_cmp_gt_i32 s9, 22
	s_mov_b32 s12, -1
	s_cbranch_scc0 .LBB110_1621
; %bb.1612:
	s_cmp_lt_i32 s9, 24
	s_mov_b32 s11, -1
	s_cbranch_scc1 .LBB110_1618
; %bb.1613:
	s_cmp_gt_i32 s9, 24
	s_cbranch_scc0 .LBB110_1615
; %bb.1614:
	s_wait_xcnt 0x0
	v_mov_b32_e32 v1, 0
	s_mov_b32 s11, 0
	global_store_b8 v[2:3], v1, off
.LBB110_1615:
	s_and_not1_b32 vcc_lo, exec_lo, s11
	s_cbranch_vccnz .LBB110_1617
; %bb.1616:
	s_wait_xcnt 0x0
	v_mov_b32_e32 v1, 0
	global_store_b8 v[2:3], v1, off
.LBB110_1617:
	s_mov_b32 s11, 0
.LBB110_1618:
	s_delay_alu instid0(SALU_CYCLE_1)
	s_and_not1_b32 vcc_lo, exec_lo, s11
	s_cbranch_vccnz .LBB110_1620
; %bb.1619:
	s_wait_xcnt 0x0
	v_mov_b32_e32 v1, 0
	global_store_b8 v[2:3], v1, off
.LBB110_1620:
	s_mov_b32 s12, 0
	s_mov_b32 s11, -1
.LBB110_1621:
	s_and_not1_b32 vcc_lo, exec_lo, s12
	s_mov_b32 s12, 0
	s_cbranch_vccnz .LBB110_1628
; %bb.1622:
	s_cmp_gt_i32 s9, 14
	s_mov_b32 s12, -1
	s_cbranch_scc0 .LBB110_1626
; %bb.1623:
	s_cmp_eq_u32 s9, 15
	s_mov_b32 s10, -1
	s_cbranch_scc0 .LBB110_1625
; %bb.1624:
	s_wait_xcnt 0x0
	v_mov_b32_e32 v1, 0
	s_mov_b32 s10, 0
	s_mov_b32 s11, -1
	global_store_b16 v[2:3], v1, off
.LBB110_1625:
	s_mov_b32 s12, 0
.LBB110_1626:
	s_delay_alu instid0(SALU_CYCLE_1)
	s_and_b32 vcc_lo, exec_lo, s12
	s_mov_b32 s12, 0
	s_cbranch_vccz .LBB110_1628
; %bb.1627:
	s_cmp_lg_u32 s9, 11
	s_mov_b32 s12, -1
	s_cselect_b32 s10, -1, 0
.LBB110_1628:
	s_delay_alu instid0(SALU_CYCLE_1)
	s_and_b32 vcc_lo, exec_lo, s10
	s_cbranch_vccnz .LBB110_1777
; %bb.1629:
	s_and_not1_b32 vcc_lo, exec_lo, s12
	s_cbranch_vccnz .LBB110_1631
.LBB110_1630:
	s_wait_xcnt 0x0
	v_mov_b32_e32 v1, 0
	s_mov_b32 s11, -1
	global_store_b8 v[2:3], v1, off
.LBB110_1631:
	s_mov_b32 s9, 0
	s_branch .LBB110_1633
.LBB110_1632:
	s_mov_b32 s9, -1
	s_mov_b32 s11, 0
.LBB110_1633:
	s_and_b32 vcc_lo, exec_lo, s9
	s_cbranch_vccz .LBB110_1672
; %bb.1634:
	s_and_b32 s9, 0xffff, s0
	s_mov_b32 s10, -1
	s_cmp_lt_i32 s9, 5
	s_cbranch_scc1 .LBB110_1655
; %bb.1635:
	s_cmp_lt_i32 s9, 8
	s_cbranch_scc1 .LBB110_1645
; %bb.1636:
	;; [unrolled: 3-line block ×3, first 2 shown]
	s_cmp_gt_i32 s9, 9
	s_cbranch_scc0 .LBB110_1639
; %bb.1638:
	s_wait_xcnt 0x0
	v_mov_b32_e32 v4, 0
	s_mov_b32 s10, 0
	s_delay_alu instid0(VALU_DEP_1)
	v_dual_mov_b32 v5, v4 :: v_dual_mov_b32 v6, v4
	v_mov_b32_e32 v7, v4
	global_store_b128 v[2:3], v[4:7], off
.LBB110_1639:
	s_and_not1_b32 vcc_lo, exec_lo, s10
	s_cbranch_vccnz .LBB110_1641
; %bb.1640:
	s_wait_xcnt 0x0
	v_mov_b64_e32 v[4:5], 0
	global_store_b64 v[2:3], v[4:5], off
.LBB110_1641:
	s_mov_b32 s10, 0
.LBB110_1642:
	s_delay_alu instid0(SALU_CYCLE_1)
	s_and_not1_b32 vcc_lo, exec_lo, s10
	s_cbranch_vccnz .LBB110_1644
; %bb.1643:
	s_wait_xcnt 0x0
	v_mov_b32_e32 v1, 0
	global_store_b32 v[2:3], v1, off
.LBB110_1644:
	s_mov_b32 s10, 0
.LBB110_1645:
	s_delay_alu instid0(SALU_CYCLE_1)
	s_and_not1_b32 vcc_lo, exec_lo, s10
	s_cbranch_vccnz .LBB110_1654
; %bb.1646:
	s_cmp_lt_i32 s9, 6
	s_mov_b32 s10, -1
	s_cbranch_scc1 .LBB110_1652
; %bb.1647:
	s_cmp_gt_i32 s9, 6
	s_cbranch_scc0 .LBB110_1649
; %bb.1648:
	s_wait_xcnt 0x0
	v_mov_b64_e32 v[4:5], 0
	s_mov_b32 s10, 0
	global_store_b64 v[2:3], v[4:5], off
.LBB110_1649:
	s_and_not1_b32 vcc_lo, exec_lo, s10
	s_cbranch_vccnz .LBB110_1651
; %bb.1650:
	s_wait_xcnt 0x0
	v_mov_b32_e32 v1, 0
	global_store_b32 v[2:3], v1, off
.LBB110_1651:
	s_mov_b32 s10, 0
.LBB110_1652:
	s_delay_alu instid0(SALU_CYCLE_1)
	s_and_not1_b32 vcc_lo, exec_lo, s10
	s_cbranch_vccnz .LBB110_1654
; %bb.1653:
	s_wait_xcnt 0x0
	v_mov_b32_e32 v1, 0
	global_store_b16 v[2:3], v1, off
.LBB110_1654:
	s_mov_b32 s10, 0
.LBB110_1655:
	s_delay_alu instid0(SALU_CYCLE_1)
	s_and_not1_b32 vcc_lo, exec_lo, s10
	s_cbranch_vccnz .LBB110_1671
; %bb.1656:
	s_cmp_lt_i32 s9, 2
	s_mov_b32 s10, -1
	s_cbranch_scc1 .LBB110_1666
; %bb.1657:
	s_cmp_lt_i32 s9, 3
	s_cbranch_scc1 .LBB110_1663
; %bb.1658:
	s_cmp_gt_i32 s9, 3
	s_cbranch_scc0 .LBB110_1660
; %bb.1659:
	s_wait_xcnt 0x0
	v_mov_b64_e32 v[4:5], 0
	s_mov_b32 s10, 0
	global_store_b64 v[2:3], v[4:5], off
.LBB110_1660:
	s_and_not1_b32 vcc_lo, exec_lo, s10
	s_cbranch_vccnz .LBB110_1662
; %bb.1661:
	s_wait_xcnt 0x0
	v_mov_b32_e32 v1, 0
	global_store_b32 v[2:3], v1, off
.LBB110_1662:
	s_mov_b32 s10, 0
.LBB110_1663:
	s_delay_alu instid0(SALU_CYCLE_1)
	s_and_not1_b32 vcc_lo, exec_lo, s10
	s_cbranch_vccnz .LBB110_1665
; %bb.1664:
	s_wait_xcnt 0x0
	v_mov_b32_e32 v1, 0
	global_store_b16 v[2:3], v1, off
.LBB110_1665:
	s_mov_b32 s10, 0
.LBB110_1666:
	s_delay_alu instid0(SALU_CYCLE_1)
	s_and_not1_b32 vcc_lo, exec_lo, s10
	s_cbranch_vccnz .LBB110_1671
; %bb.1667:
	s_cmp_gt_i32 s9, 0
	s_mov_b32 s9, -1
	s_cbranch_scc0 .LBB110_1669
; %bb.1668:
	s_wait_xcnt 0x0
	v_mov_b32_e32 v1, 0
	s_mov_b32 s9, 0
	global_store_b8 v[2:3], v1, off
.LBB110_1669:
	s_and_not1_b32 vcc_lo, exec_lo, s9
	s_cbranch_vccnz .LBB110_1671
; %bb.1670:
	s_wait_xcnt 0x0
	v_mov_b32_e32 v1, 0
	global_store_b8 v[2:3], v1, off
.LBB110_1671:
	s_mov_b32 s11, -1
.LBB110_1672:
	s_delay_alu instid0(SALU_CYCLE_1)
	s_and_not1_b32 vcc_lo, exec_lo, s11
	s_cbranch_vccnz .LBB110_1719
; %bb.1673:
	v_add_nc_u32_e32 v0, s2, v0
	s_cmp_lt_i32 s0, 11
	s_wait_xcnt 0x0
	s_delay_alu instid0(VALU_DEP_1) | instskip(NEXT) | instid1(VALU_DEP_1)
	v_ashrrev_i32_e32 v1, 31, v0
	v_add_nc_u64_e32 v[2:3], s[4:5], v[0:1]
	s_cbranch_scc1 .LBB110_1773
; %bb.1674:
	s_and_b32 s4, 0xffff, s0
	s_mov_b32 s9, -1
	s_mov_b32 s2, 0
	s_cmp_gt_i32 s4, 25
	s_mov_b32 s5, 0
	s_cbranch_scc0 .LBB110_1699
; %bb.1675:
	s_cmp_gt_i32 s4, 28
	s_cbranch_scc0 .LBB110_1689
; %bb.1676:
	s_cmp_gt_i32 s4, 43
	;; [unrolled: 3-line block ×3, first 2 shown]
	s_cbranch_scc0 .LBB110_1681
; %bb.1678:
	s_cmp_eq_u32 s4, 46
	s_mov_b32 s5, -1
	s_cbranch_scc0 .LBB110_1680
; %bb.1679:
	v_mov_b32_e32 v0, 0
	s_mov_b32 s5, 0
	global_store_b32 v[2:3], v0, off
.LBB110_1680:
	s_mov_b32 s9, 0
.LBB110_1681:
	s_delay_alu instid0(SALU_CYCLE_1)
	s_and_b32 vcc_lo, exec_lo, s9
	s_cbranch_vccz .LBB110_1684
; %bb.1682:
	s_cmp_eq_u32 s4, 44
	s_mov_b32 s5, -1
	s_cbranch_scc0 .LBB110_1684
; %bb.1683:
	s_wait_xcnt 0x0
	v_mov_b32_e32 v0, 0
	s_mov_b32 s5, 0
	global_store_b8 v[2:3], v0, off
.LBB110_1684:
	s_mov_b32 s9, 0
.LBB110_1685:
	s_delay_alu instid0(SALU_CYCLE_1)
	s_and_b32 vcc_lo, exec_lo, s9
	s_cbranch_vccz .LBB110_1688
; %bb.1686:
	s_cmp_eq_u32 s4, 29
	s_mov_b32 s5, -1
	s_cbranch_scc0 .LBB110_1688
; %bb.1687:
	s_wait_xcnt 0x0
	v_mov_b64_e32 v[0:1], 0
	s_mov_b32 s5, 0
	global_store_b64 v[2:3], v[0:1], off
.LBB110_1688:
	s_mov_b32 s9, 0
.LBB110_1689:
	s_delay_alu instid0(SALU_CYCLE_1)
	s_and_b32 vcc_lo, exec_lo, s9
	s_cbranch_vccz .LBB110_1698
; %bb.1690:
	s_cmp_lt_i32 s4, 27
	s_mov_b32 s9, -1
	s_cbranch_scc1 .LBB110_1696
; %bb.1691:
	s_cmp_gt_i32 s4, 27
	s_cbranch_scc0 .LBB110_1693
; %bb.1692:
	s_wait_xcnt 0x0
	v_mov_b32_e32 v0, 0
	s_mov_b32 s9, 0
	global_store_b32 v[2:3], v0, off
.LBB110_1693:
	s_and_not1_b32 vcc_lo, exec_lo, s9
	s_cbranch_vccnz .LBB110_1695
; %bb.1694:
	s_wait_xcnt 0x0
	v_mov_b32_e32 v0, 0
	global_store_b16 v[2:3], v0, off
.LBB110_1695:
	s_mov_b32 s9, 0
.LBB110_1696:
	s_delay_alu instid0(SALU_CYCLE_1)
	s_and_not1_b32 vcc_lo, exec_lo, s9
	s_cbranch_vccnz .LBB110_1698
; %bb.1697:
	s_wait_xcnt 0x0
	v_mov_b32_e32 v0, 0
	global_store_b8 v[2:3], v0, off
.LBB110_1698:
	s_mov_b32 s9, 0
.LBB110_1699:
	s_delay_alu instid0(SALU_CYCLE_1)
	s_and_b32 vcc_lo, exec_lo, s9
	s_cbranch_vccz .LBB110_1717
; %bb.1700:
	s_cmp_gt_i32 s4, 22
	s_mov_b32 s2, -1
	s_cbranch_scc0 .LBB110_1710
; %bb.1701:
	s_cmp_lt_i32 s4, 24
	s_cbranch_scc1 .LBB110_1707
; %bb.1702:
	s_cmp_gt_i32 s4, 24
	s_cbranch_scc0 .LBB110_1704
; %bb.1703:
	s_wait_xcnt 0x0
	v_mov_b32_e32 v0, 0
	s_mov_b32 s2, 0
	global_store_b8 v[2:3], v0, off
.LBB110_1704:
	s_and_not1_b32 vcc_lo, exec_lo, s2
	s_cbranch_vccnz .LBB110_1706
; %bb.1705:
	s_wait_xcnt 0x0
	v_mov_b32_e32 v0, 0
	global_store_b8 v[2:3], v0, off
.LBB110_1706:
	s_mov_b32 s2, 0
.LBB110_1707:
	s_delay_alu instid0(SALU_CYCLE_1)
	s_and_not1_b32 vcc_lo, exec_lo, s2
	s_cbranch_vccnz .LBB110_1709
; %bb.1708:
	s_wait_xcnt 0x0
	v_mov_b32_e32 v0, 0
	global_store_b8 v[2:3], v0, off
.LBB110_1709:
	s_mov_b32 s2, 0
.LBB110_1710:
	s_delay_alu instid0(SALU_CYCLE_1)
	s_and_not1_b32 vcc_lo, exec_lo, s2
	s_mov_b32 s2, 0
	s_cbranch_vccnz .LBB110_1717
; %bb.1711:
	s_cmp_gt_i32 s4, 14
	s_mov_b32 s2, -1
	s_cbranch_scc0 .LBB110_1715
; %bb.1712:
	s_cmp_eq_u32 s4, 15
	s_mov_b32 s5, -1
	s_cbranch_scc0 .LBB110_1714
; %bb.1713:
	s_wait_xcnt 0x0
	v_mov_b32_e32 v0, 0
	s_mov_b32 s5, 0
	global_store_b16 v[2:3], v0, off
.LBB110_1714:
	s_mov_b32 s2, 0
.LBB110_1715:
	s_delay_alu instid0(SALU_CYCLE_1)
	s_and_b32 vcc_lo, exec_lo, s2
	s_mov_b32 s2, 0
	s_cbranch_vccz .LBB110_1717
; %bb.1716:
	s_cmp_lg_u32 s4, 11
	s_mov_b32 s2, -1
	s_cselect_b32 s5, -1, 0
.LBB110_1717:
	s_delay_alu instid0(SALU_CYCLE_1)
	s_and_b32 vcc_lo, exec_lo, s5
	s_cbranch_vccnz .LBB110_1779
.LBB110_1718:
	s_mov_b32 s4, 0
	s_branch .LBB110_1720
.LBB110_1719:
	s_mov_b32 s4, 0
	s_mov_b32 s2, 0
                                        ; implicit-def: $sgpr0
                                        ; implicit-def: $vgpr2_vgpr3
.LBB110_1720:
	s_and_b32 s9, s4, exec_lo
	s_and_not1_b32 s4, s6, exec_lo
	s_and_b32 s5, s8, exec_lo
	s_and_b32 s8, s2, exec_lo
	s_or_b32 s6, s4, s5
.LBB110_1721:
	s_wait_xcnt 0x0
	s_or_b32 exec_lo, exec_lo, s7
.LBB110_1722:
	s_delay_alu instid0(SALU_CYCLE_1)
	s_and_not1_b32 s2, s18, exec_lo
	s_and_b32 s4, s6, exec_lo
	s_and_b32 s22, s9, exec_lo
	;; [unrolled: 1-line block ×3, first 2 shown]
	s_or_b32 s18, s2, s4
.LBB110_1723:
	s_wait_xcnt 0x0
	s_or_b32 exec_lo, exec_lo, s19
.LBB110_1724:
	s_delay_alu instid0(SALU_CYCLE_1)
	s_and_not1_b32 s2, s3, exec_lo
	s_and_b32 s3, s18, exec_lo
	s_and_b32 s19, s22, exec_lo
	;; [unrolled: 1-line block ×3, first 2 shown]
	s_or_b32 s3, s2, s3
.LBB110_1725:
	s_wait_xcnt 0x0
	s_or_b32 exec_lo, exec_lo, s16
.LBB110_1726:
	s_delay_alu instid0(SALU_CYCLE_1)
	s_and_not1_b32 s1, s1, exec_lo
	s_and_b32 s2, s3, exec_lo
	s_and_b32 s19, s19, exec_lo
	;; [unrolled: 1-line block ×3, first 2 shown]
	s_or_b32 s1, s1, s2
.LBB110_1727:
	s_wait_xcnt 0x0
	s_or_b32 exec_lo, exec_lo, s13
.LBB110_1728:
	s_delay_alu instid0(SALU_CYCLE_1)
	s_and_not1_b32 s2, s15, exec_lo
	s_and_b32 s3, s1, exec_lo
	s_and_b32 s17, s19, exec_lo
	;; [unrolled: 1-line block ×3, first 2 shown]
	s_or_b32 s15, s2, s3
.LBB110_1729:
	s_wait_xcnt 0x0
	s_or_b32 exec_lo, exec_lo, s14
	s_and_saveexec_b32 s2, s15
	s_cbranch_execz .LBB110_1732
; %bb.1730:
	; divergent unreachable
	s_or_b32 exec_lo, exec_lo, s2
	s_and_saveexec_b32 s2, s1
	s_delay_alu instid0(SALU_CYCLE_1)
	s_xor_b32 s1, exec_lo, s2
	s_cbranch_execnz .LBB110_1733
.LBB110_1731:
	s_or_b32 exec_lo, exec_lo, s1
	s_and_saveexec_b32 s1, s17
	s_cbranch_execnz .LBB110_1734
	s_branch .LBB110_1771
.LBB110_1732:
	s_or_b32 exec_lo, exec_lo, s2
	s_and_saveexec_b32 s2, s1
	s_delay_alu instid0(SALU_CYCLE_1)
	s_xor_b32 s1, exec_lo, s2
	s_cbranch_execz .LBB110_1731
.LBB110_1733:
	v_mov_b32_e32 v0, 0
	s_wait_loadcnt 0x0
	global_store_b8 v[2:3], v0, off
	s_wait_xcnt 0x0
	s_or_b32 exec_lo, exec_lo, s1
	s_and_saveexec_b32 s1, s17
	s_cbranch_execz .LBB110_1771
.LBB110_1734:
	s_sext_i32_i16 s2, s0
	s_mov_b32 s1, -1
	s_cmp_lt_i32 s2, 5
	s_cbranch_scc1 .LBB110_1755
; %bb.1735:
	s_cmp_lt_i32 s2, 8
	s_cbranch_scc1 .LBB110_1745
; %bb.1736:
	;; [unrolled: 3-line block ×3, first 2 shown]
	s_cmp_gt_i32 s2, 9
	s_cbranch_scc0 .LBB110_1739
; %bb.1738:
	s_wait_loadcnt 0x0
	v_mov_b32_e32 v4, 0
	s_mov_b32 s1, 0
	s_delay_alu instid0(VALU_DEP_1)
	v_dual_mov_b32 v5, v4 :: v_dual_mov_b32 v6, v4
	v_mov_b32_e32 v7, v4
	global_store_b128 v[2:3], v[4:7], off
.LBB110_1739:
	s_and_not1_b32 vcc_lo, exec_lo, s1
	s_cbranch_vccnz .LBB110_1741
; %bb.1740:
	v_mov_b64_e32 v[0:1], 0
	s_wait_loadcnt 0x0
	global_store_b64 v[2:3], v[0:1], off
.LBB110_1741:
	s_mov_b32 s1, 0
.LBB110_1742:
	s_delay_alu instid0(SALU_CYCLE_1)
	s_and_not1_b32 vcc_lo, exec_lo, s1
	s_cbranch_vccnz .LBB110_1744
; %bb.1743:
	s_wait_xcnt 0x0
	v_mov_b32_e32 v0, 0
	s_wait_loadcnt 0x0
	global_store_b32 v[2:3], v0, off
.LBB110_1744:
	s_mov_b32 s1, 0
.LBB110_1745:
	s_delay_alu instid0(SALU_CYCLE_1)
	s_and_not1_b32 vcc_lo, exec_lo, s1
	s_cbranch_vccnz .LBB110_1754
; %bb.1746:
	s_sext_i32_i16 s2, s0
	s_mov_b32 s1, -1
	s_cmp_lt_i32 s2, 6
	s_cbranch_scc1 .LBB110_1752
; %bb.1747:
	s_cmp_gt_i32 s2, 6
	s_cbranch_scc0 .LBB110_1749
; %bb.1748:
	s_wait_xcnt 0x0
	v_mov_b64_e32 v[0:1], 0
	s_mov_b32 s1, 0
	s_wait_loadcnt 0x0
	global_store_b64 v[2:3], v[0:1], off
.LBB110_1749:
	s_and_not1_b32 vcc_lo, exec_lo, s1
	s_cbranch_vccnz .LBB110_1751
; %bb.1750:
	s_wait_xcnt 0x0
	v_mov_b32_e32 v0, 0
	s_wait_loadcnt 0x0
	global_store_b32 v[2:3], v0, off
.LBB110_1751:
	s_mov_b32 s1, 0
.LBB110_1752:
	s_delay_alu instid0(SALU_CYCLE_1)
	s_and_not1_b32 vcc_lo, exec_lo, s1
	s_cbranch_vccnz .LBB110_1754
; %bb.1753:
	s_wait_xcnt 0x0
	v_mov_b32_e32 v0, 0
	s_wait_loadcnt 0x0
	global_store_b16 v[2:3], v0, off
.LBB110_1754:
	s_mov_b32 s1, 0
.LBB110_1755:
	s_delay_alu instid0(SALU_CYCLE_1)
	s_and_not1_b32 vcc_lo, exec_lo, s1
	s_cbranch_vccnz .LBB110_1771
; %bb.1756:
	s_sext_i32_i16 s2, s0
	s_mov_b32 s1, -1
	s_cmp_lt_i32 s2, 2
	s_cbranch_scc1 .LBB110_1766
; %bb.1757:
	s_cmp_lt_i32 s2, 3
	s_cbranch_scc1 .LBB110_1763
; %bb.1758:
	s_cmp_gt_i32 s2, 3
	s_cbranch_scc0 .LBB110_1760
; %bb.1759:
	s_wait_xcnt 0x0
	v_mov_b64_e32 v[0:1], 0
	s_mov_b32 s1, 0
	s_wait_loadcnt 0x0
	global_store_b64 v[2:3], v[0:1], off
.LBB110_1760:
	s_and_not1_b32 vcc_lo, exec_lo, s1
	s_cbranch_vccnz .LBB110_1762
; %bb.1761:
	s_wait_xcnt 0x0
	v_mov_b32_e32 v0, 0
	s_wait_loadcnt 0x0
	global_store_b32 v[2:3], v0, off
.LBB110_1762:
	s_mov_b32 s1, 0
.LBB110_1763:
	s_delay_alu instid0(SALU_CYCLE_1)
	s_and_not1_b32 vcc_lo, exec_lo, s1
	s_cbranch_vccnz .LBB110_1765
; %bb.1764:
	s_wait_xcnt 0x0
	v_mov_b32_e32 v0, 0
	s_wait_loadcnt 0x0
	global_store_b16 v[2:3], v0, off
.LBB110_1765:
	s_mov_b32 s1, 0
.LBB110_1766:
	s_delay_alu instid0(SALU_CYCLE_1)
	s_and_not1_b32 vcc_lo, exec_lo, s1
	s_cbranch_vccnz .LBB110_1771
; %bb.1767:
	s_sext_i32_i16 s0, s0
	s_delay_alu instid0(SALU_CYCLE_1)
	s_cmp_gt_i32 s0, 0
	s_mov_b32 s0, -1
	s_cbranch_scc0 .LBB110_1769
; %bb.1768:
	s_wait_xcnt 0x0
	v_mov_b32_e32 v0, 0
	s_mov_b32 s0, 0
	s_wait_loadcnt 0x0
	global_store_b8 v[2:3], v0, off
.LBB110_1769:
	s_and_not1_b32 vcc_lo, exec_lo, s0
	s_cbranch_vccnz .LBB110_1771
; %bb.1770:
	s_wait_xcnt 0x0
	v_mov_b32_e32 v0, 0
	s_wait_loadcnt 0x0
	global_store_b8 v[2:3], v0, off
	s_endpgm
.LBB110_1771:
	s_endpgm
.LBB110_1772:
	s_or_b32 s6, s18, exec_lo
	s_trap 2
	s_cbranch_execz .LBB110_1351
	s_branch .LBB110_1352
.LBB110_1773:
	s_mov_b32 s2, 0
	s_mov_b32 s4, -1
	s_branch .LBB110_1720
.LBB110_1774:
	s_or_b32 s8, s6, exec_lo
	s_trap 2
	s_cbranch_execz .LBB110_1451
	s_branch .LBB110_1452
.LBB110_1775:
	s_or_b32 s3, s3, exec_lo
	s_trap 2
                                        ; implicit-def: $vgpr0
                                        ; implicit-def: $vgpr6
	s_branch .LBB110_918
.LBB110_1776:
	s_or_b32 s8, s8, exec_lo
	s_trap 2
	s_cbranch_execz .LBB110_1541
	s_branch .LBB110_1542
.LBB110_1777:
	s_or_b32 s8, s8, exec_lo
	s_trap 2
	s_cbranch_execz .LBB110_1630
	s_branch .LBB110_1631
.LBB110_1778:
	s_or_b32 s18, s18, exec_lo
	s_trap 2
                                        ; implicit-def: $vgpr0
                                        ; implicit-def: $vgpr6
	s_branch .LBB110_1273
.LBB110_1779:
	s_mov_b32 s2, 0
	s_or_b32 s8, s8, exec_lo
	s_trap 2
	s_branch .LBB110_1718
.LBB110_1780:
	s_or_b32 s6, s6, exec_lo
	s_trap 2
                                        ; implicit-def: $vgpr6
	s_branch .LBB110_1404
	.section	.rodata,"a",@progbits
	.p2align	6, 0x0
	.amdhsa_kernel _ZN2at6native32elementwise_kernel_manual_unrollILi128ELi4EZNS0_15gpu_kernel_implIZZZNS0_12_GLOBAL__N_142_validate_compressed_sparse_indices_kernelILNS3_8CDimNameE1ENS3_18CUDAKernelLauncherENS3_14EmptyVecKernelENS3_8DummyVecELm0EEEvRKNS_6TensorESB_lllENKUlvE0_clEvENKUlvE0_clEvEUllE_EEvRNS_18TensorIteratorBaseERKT_EUlibE_EEviT1_
		.amdhsa_group_segment_fixed_size 0
		.amdhsa_private_segment_fixed_size 0
		.amdhsa_kernarg_size 56
		.amdhsa_user_sgpr_count 2
		.amdhsa_user_sgpr_dispatch_ptr 0
		.amdhsa_user_sgpr_queue_ptr 0
		.amdhsa_user_sgpr_kernarg_segment_ptr 1
		.amdhsa_user_sgpr_dispatch_id 0
		.amdhsa_user_sgpr_kernarg_preload_length 0
		.amdhsa_user_sgpr_kernarg_preload_offset 0
		.amdhsa_user_sgpr_private_segment_size 0
		.amdhsa_wavefront_size32 1
		.amdhsa_uses_dynamic_stack 0
		.amdhsa_enable_private_segment 0
		.amdhsa_system_sgpr_workgroup_id_x 1
		.amdhsa_system_sgpr_workgroup_id_y 0
		.amdhsa_system_sgpr_workgroup_id_z 0
		.amdhsa_system_sgpr_workgroup_info 0
		.amdhsa_system_vgpr_workitem_id 0
		.amdhsa_next_free_vgpr 12
		.amdhsa_next_free_sgpr 35
		.amdhsa_named_barrier_count 0
		.amdhsa_reserve_vcc 1
		.amdhsa_float_round_mode_32 0
		.amdhsa_float_round_mode_16_64 0
		.amdhsa_float_denorm_mode_32 3
		.amdhsa_float_denorm_mode_16_64 3
		.amdhsa_fp16_overflow 0
		.amdhsa_memory_ordered 1
		.amdhsa_forward_progress 1
		.amdhsa_inst_pref_size 255
		.amdhsa_round_robin_scheduling 0
		.amdhsa_exception_fp_ieee_invalid_op 0
		.amdhsa_exception_fp_denorm_src 0
		.amdhsa_exception_fp_ieee_div_zero 0
		.amdhsa_exception_fp_ieee_overflow 0
		.amdhsa_exception_fp_ieee_underflow 0
		.amdhsa_exception_fp_ieee_inexact 0
		.amdhsa_exception_int_div_zero 0
	.end_amdhsa_kernel
	.section	.text._ZN2at6native32elementwise_kernel_manual_unrollILi128ELi4EZNS0_15gpu_kernel_implIZZZNS0_12_GLOBAL__N_142_validate_compressed_sparse_indices_kernelILNS3_8CDimNameE1ENS3_18CUDAKernelLauncherENS3_14EmptyVecKernelENS3_8DummyVecELm0EEEvRKNS_6TensorESB_lllENKUlvE0_clEvENKUlvE0_clEvEUllE_EEvRNS_18TensorIteratorBaseERKT_EUlibE_EEviT1_,"axG",@progbits,_ZN2at6native32elementwise_kernel_manual_unrollILi128ELi4EZNS0_15gpu_kernel_implIZZZNS0_12_GLOBAL__N_142_validate_compressed_sparse_indices_kernelILNS3_8CDimNameE1ENS3_18CUDAKernelLauncherENS3_14EmptyVecKernelENS3_8DummyVecELm0EEEvRKNS_6TensorESB_lllENKUlvE0_clEvENKUlvE0_clEvEUllE_EEvRNS_18TensorIteratorBaseERKT_EUlibE_EEviT1_,comdat
.Lfunc_end110:
	.size	_ZN2at6native32elementwise_kernel_manual_unrollILi128ELi4EZNS0_15gpu_kernel_implIZZZNS0_12_GLOBAL__N_142_validate_compressed_sparse_indices_kernelILNS3_8CDimNameE1ENS3_18CUDAKernelLauncherENS3_14EmptyVecKernelENS3_8DummyVecELm0EEEvRKNS_6TensorESB_lllENKUlvE0_clEvENKUlvE0_clEvEUllE_EEvRNS_18TensorIteratorBaseERKT_EUlibE_EEviT1_, .Lfunc_end110-_ZN2at6native32elementwise_kernel_manual_unrollILi128ELi4EZNS0_15gpu_kernel_implIZZZNS0_12_GLOBAL__N_142_validate_compressed_sparse_indices_kernelILNS3_8CDimNameE1ENS3_18CUDAKernelLauncherENS3_14EmptyVecKernelENS3_8DummyVecELm0EEEvRKNS_6TensorESB_lllENKUlvE0_clEvENKUlvE0_clEvEUllE_EEvRNS_18TensorIteratorBaseERKT_EUlibE_EEviT1_
                                        ; -- End function
	.set _ZN2at6native32elementwise_kernel_manual_unrollILi128ELi4EZNS0_15gpu_kernel_implIZZZNS0_12_GLOBAL__N_142_validate_compressed_sparse_indices_kernelILNS3_8CDimNameE1ENS3_18CUDAKernelLauncherENS3_14EmptyVecKernelENS3_8DummyVecELm0EEEvRKNS_6TensorESB_lllENKUlvE0_clEvENKUlvE0_clEvEUllE_EEvRNS_18TensorIteratorBaseERKT_EUlibE_EEviT1_.num_vgpr, 12
	.set _ZN2at6native32elementwise_kernel_manual_unrollILi128ELi4EZNS0_15gpu_kernel_implIZZZNS0_12_GLOBAL__N_142_validate_compressed_sparse_indices_kernelILNS3_8CDimNameE1ENS3_18CUDAKernelLauncherENS3_14EmptyVecKernelENS3_8DummyVecELm0EEEvRKNS_6TensorESB_lllENKUlvE0_clEvENKUlvE0_clEvEUllE_EEvRNS_18TensorIteratorBaseERKT_EUlibE_EEviT1_.num_agpr, 0
	.set _ZN2at6native32elementwise_kernel_manual_unrollILi128ELi4EZNS0_15gpu_kernel_implIZZZNS0_12_GLOBAL__N_142_validate_compressed_sparse_indices_kernelILNS3_8CDimNameE1ENS3_18CUDAKernelLauncherENS3_14EmptyVecKernelENS3_8DummyVecELm0EEEvRKNS_6TensorESB_lllENKUlvE0_clEvENKUlvE0_clEvEUllE_EEvRNS_18TensorIteratorBaseERKT_EUlibE_EEviT1_.numbered_sgpr, 35
	.set _ZN2at6native32elementwise_kernel_manual_unrollILi128ELi4EZNS0_15gpu_kernel_implIZZZNS0_12_GLOBAL__N_142_validate_compressed_sparse_indices_kernelILNS3_8CDimNameE1ENS3_18CUDAKernelLauncherENS3_14EmptyVecKernelENS3_8DummyVecELm0EEEvRKNS_6TensorESB_lllENKUlvE0_clEvENKUlvE0_clEvEUllE_EEvRNS_18TensorIteratorBaseERKT_EUlibE_EEviT1_.num_named_barrier, 0
	.set _ZN2at6native32elementwise_kernel_manual_unrollILi128ELi4EZNS0_15gpu_kernel_implIZZZNS0_12_GLOBAL__N_142_validate_compressed_sparse_indices_kernelILNS3_8CDimNameE1ENS3_18CUDAKernelLauncherENS3_14EmptyVecKernelENS3_8DummyVecELm0EEEvRKNS_6TensorESB_lllENKUlvE0_clEvENKUlvE0_clEvEUllE_EEvRNS_18TensorIteratorBaseERKT_EUlibE_EEviT1_.private_seg_size, 0
	.set _ZN2at6native32elementwise_kernel_manual_unrollILi128ELi4EZNS0_15gpu_kernel_implIZZZNS0_12_GLOBAL__N_142_validate_compressed_sparse_indices_kernelILNS3_8CDimNameE1ENS3_18CUDAKernelLauncherENS3_14EmptyVecKernelENS3_8DummyVecELm0EEEvRKNS_6TensorESB_lllENKUlvE0_clEvENKUlvE0_clEvEUllE_EEvRNS_18TensorIteratorBaseERKT_EUlibE_EEviT1_.uses_vcc, 1
	.set _ZN2at6native32elementwise_kernel_manual_unrollILi128ELi4EZNS0_15gpu_kernel_implIZZZNS0_12_GLOBAL__N_142_validate_compressed_sparse_indices_kernelILNS3_8CDimNameE1ENS3_18CUDAKernelLauncherENS3_14EmptyVecKernelENS3_8DummyVecELm0EEEvRKNS_6TensorESB_lllENKUlvE0_clEvENKUlvE0_clEvEUllE_EEvRNS_18TensorIteratorBaseERKT_EUlibE_EEviT1_.uses_flat_scratch, 0
	.set _ZN2at6native32elementwise_kernel_manual_unrollILi128ELi4EZNS0_15gpu_kernel_implIZZZNS0_12_GLOBAL__N_142_validate_compressed_sparse_indices_kernelILNS3_8CDimNameE1ENS3_18CUDAKernelLauncherENS3_14EmptyVecKernelENS3_8DummyVecELm0EEEvRKNS_6TensorESB_lllENKUlvE0_clEvENKUlvE0_clEvEUllE_EEvRNS_18TensorIteratorBaseERKT_EUlibE_EEviT1_.has_dyn_sized_stack, 0
	.set _ZN2at6native32elementwise_kernel_manual_unrollILi128ELi4EZNS0_15gpu_kernel_implIZZZNS0_12_GLOBAL__N_142_validate_compressed_sparse_indices_kernelILNS3_8CDimNameE1ENS3_18CUDAKernelLauncherENS3_14EmptyVecKernelENS3_8DummyVecELm0EEEvRKNS_6TensorESB_lllENKUlvE0_clEvENKUlvE0_clEvEUllE_EEvRNS_18TensorIteratorBaseERKT_EUlibE_EEviT1_.has_recursion, 0
	.set _ZN2at6native32elementwise_kernel_manual_unrollILi128ELi4EZNS0_15gpu_kernel_implIZZZNS0_12_GLOBAL__N_142_validate_compressed_sparse_indices_kernelILNS3_8CDimNameE1ENS3_18CUDAKernelLauncherENS3_14EmptyVecKernelENS3_8DummyVecELm0EEEvRKNS_6TensorESB_lllENKUlvE0_clEvENKUlvE0_clEvEUllE_EEvRNS_18TensorIteratorBaseERKT_EUlibE_EEviT1_.has_indirect_call, 0
	.section	.AMDGPU.csdata,"",@progbits
; Kernel info:
; codeLenInByte = 34852
; TotalNumSgprs: 37
; NumVgprs: 12
; ScratchSize: 0
; MemoryBound: 1
; FloatMode: 240
; IeeeMode: 1
; LDSByteSize: 0 bytes/workgroup (compile time only)
; SGPRBlocks: 0
; VGPRBlocks: 0
; NumSGPRsForWavesPerEU: 37
; NumVGPRsForWavesPerEU: 12
; NamedBarCnt: 0
; Occupancy: 16
; WaveLimiterHint : 0
; COMPUTE_PGM_RSRC2:SCRATCH_EN: 0
; COMPUTE_PGM_RSRC2:USER_SGPR: 2
; COMPUTE_PGM_RSRC2:TRAP_HANDLER: 0
; COMPUTE_PGM_RSRC2:TGID_X_EN: 1
; COMPUTE_PGM_RSRC2:TGID_Y_EN: 0
; COMPUTE_PGM_RSRC2:TGID_Z_EN: 0
; COMPUTE_PGM_RSRC2:TIDIG_COMP_CNT: 0
	.section	.text._ZN2at6native32elementwise_kernel_manual_unrollILi128ELi4EZNS0_15gpu_kernel_implIZZZNS0_12_GLOBAL__N_142_validate_compressed_sparse_indices_kernelILNS3_8CDimNameE1ENS3_18CUDAKernelLauncherENS3_14EmptyVecKernelENS3_8DummyVecELm0EEEvRKNS_6TensorESB_lllENKUlvE0_clEvENKUlvE0_clEvEUllE_EEvRNS_18TensorIteratorBaseERKT_EUlibE0_EEviT1_,"axG",@progbits,_ZN2at6native32elementwise_kernel_manual_unrollILi128ELi4EZNS0_15gpu_kernel_implIZZZNS0_12_GLOBAL__N_142_validate_compressed_sparse_indices_kernelILNS3_8CDimNameE1ENS3_18CUDAKernelLauncherENS3_14EmptyVecKernelENS3_8DummyVecELm0EEEvRKNS_6TensorESB_lllENKUlvE0_clEvENKUlvE0_clEvEUllE_EEvRNS_18TensorIteratorBaseERKT_EUlibE0_EEviT1_,comdat
	.globl	_ZN2at6native32elementwise_kernel_manual_unrollILi128ELi4EZNS0_15gpu_kernel_implIZZZNS0_12_GLOBAL__N_142_validate_compressed_sparse_indices_kernelILNS3_8CDimNameE1ENS3_18CUDAKernelLauncherENS3_14EmptyVecKernelENS3_8DummyVecELm0EEEvRKNS_6TensorESB_lllENKUlvE0_clEvENKUlvE0_clEvEUllE_EEvRNS_18TensorIteratorBaseERKT_EUlibE0_EEviT1_ ; -- Begin function _ZN2at6native32elementwise_kernel_manual_unrollILi128ELi4EZNS0_15gpu_kernel_implIZZZNS0_12_GLOBAL__N_142_validate_compressed_sparse_indices_kernelILNS3_8CDimNameE1ENS3_18CUDAKernelLauncherENS3_14EmptyVecKernelENS3_8DummyVecELm0EEEvRKNS_6TensorESB_lllENKUlvE0_clEvENKUlvE0_clEvEUllE_EEvRNS_18TensorIteratorBaseERKT_EUlibE0_EEviT1_
	.p2align	8
	.type	_ZN2at6native32elementwise_kernel_manual_unrollILi128ELi4EZNS0_15gpu_kernel_implIZZZNS0_12_GLOBAL__N_142_validate_compressed_sparse_indices_kernelILNS3_8CDimNameE1ENS3_18CUDAKernelLauncherENS3_14EmptyVecKernelENS3_8DummyVecELm0EEEvRKNS_6TensorESB_lllENKUlvE0_clEvENKUlvE0_clEvEUllE_EEvRNS_18TensorIteratorBaseERKT_EUlibE0_EEviT1_,@function
_ZN2at6native32elementwise_kernel_manual_unrollILi128ELi4EZNS0_15gpu_kernel_implIZZZNS0_12_GLOBAL__N_142_validate_compressed_sparse_indices_kernelILNS3_8CDimNameE1ENS3_18CUDAKernelLauncherENS3_14EmptyVecKernelENS3_8DummyVecELm0EEEvRKNS_6TensorESB_lllENKUlvE0_clEvENKUlvE0_clEvEUllE_EEvRNS_18TensorIteratorBaseERKT_EUlibE0_EEviT1_: ; @_ZN2at6native32elementwise_kernel_manual_unrollILi128ELi4EZNS0_15gpu_kernel_implIZZZNS0_12_GLOBAL__N_142_validate_compressed_sparse_indices_kernelILNS3_8CDimNameE1ENS3_18CUDAKernelLauncherENS3_14EmptyVecKernelENS3_8DummyVecELm0EEEvRKNS_6TensorESB_lllENKUlvE0_clEvENKUlvE0_clEvEUllE_EEvRNS_18TensorIteratorBaseERKT_EUlibE0_EEviT1_
; %bb.0:
	s_clause 0x1
	s_load_b32 s33, s[0:1], 0x8
	s_load_b32 s41, s[0:1], 0x0
	s_bfe_u32 s2, ttmp6, 0x4000c
	s_and_b32 s3, ttmp6, 15
	s_add_co_i32 s2, s2, 1
	s_getreg_b32 s4, hwreg(HW_REG_IB_STS2, 6, 4)
	s_mul_i32 s2, ttmp9, s2
	s_mov_b32 s35, 0
	s_add_co_i32 s3, s3, s2
	s_cmp_eq_u32 s4, 0
	s_mov_b32 s26, -1
	s_cselect_b32 s2, ttmp9, s3
	s_mov_b32 s12, 0
	v_lshl_or_b32 v0, s2, 9, v0
	s_add_nc_u64 s[2:3], s[0:1], 8
	s_wait_xcnt 0x0
	s_mov_b32 s0, exec_lo
	s_delay_alu instid0(VALU_DEP_1) | instskip(SKIP_2) | instid1(SALU_CYCLE_1)
	v_or_b32_e32 v9, 0x180, v0
	s_wait_kmcnt 0x0
	s_add_co_i32 s34, s33, -1
	s_cmp_gt_u32 s34, 1
	s_cselect_b32 s36, -1, 0
	v_cmpx_le_i32_e64 s41, v9
	s_xor_b32 s37, exec_lo, s0
	s_cbranch_execz .LBB111_958
; %bb.1:
	s_clause 0x4
	s_load_b128 s[12:15], s[2:3], 0x4
	s_load_b32 s38, s[2:3], 0x168
	s_load_b64 s[0:1], s[2:3], 0x14
	s_load_b128 s[16:19], s[2:3], 0xc4
	s_load_b256 s[4:11], s[2:3], 0x148
	s_cmp_lg_u32 s33, 0
	s_get_pc_i64 s[28:29]
	s_add_nc_u64 s[28:29], s[28:29], .str.5@rel64+4
	s_cselect_b32 s43, -1, 0
	s_min_u32 s42, s34, 15
	s_cmp_gt_u32 s33, 1
	s_mov_b32 s21, 0
	s_cselect_b32 s40, -1, 0
	s_add_nc_u64 s[24:25], s[2:3], 0xc4
	s_mov_b32 s23, s21
	s_mov_b32 s46, s21
	;; [unrolled: 1-line block ×4, first 2 shown]
	s_mov_b32 s47, exec_lo
	s_wait_kmcnt 0x0
	s_mov_b32 s20, s13
	s_bfe_u32 s39, s38, 0x80008
	s_cmp_lg_u64 s[28:29], 0
	s_mov_b32 s22, s0
	s_cselect_b32 s13, -1, 0
	v_cmpx_gt_i32_e64 s41, v0
	s_cbranch_execz .LBB111_236
; %bb.2:
	s_and_not1_b32 vcc_lo, exec_lo, s36
	s_cbranch_vccnz .LBB111_8
; %bb.3:
	s_and_not1_b32 vcc_lo, exec_lo, s43
	s_cbranch_vccnz .LBB111_9
; %bb.4:
	s_add_co_i32 s0, s42, 1
	s_cmp_eq_u32 s34, 2
	s_cbranch_scc1 .LBB111_10
; %bb.5:
	v_dual_mov_b32 v2, 0 :: v_dual_mov_b32 v4, 0
	v_mov_b32_e32 v1, v0
	s_and_b32 s26, s0, 28
	s_mov_b32 s27, 0
	s_mov_b64 s[28:29], s[2:3]
	s_mov_b64 s[30:31], s[24:25]
.LBB111_6:                              ; =>This Inner Loop Header: Depth=1
	s_clause 0x1
	s_load_b256 s[48:55], s[28:29], 0x4
	s_load_b128 s[64:67], s[28:29], 0x24
	s_load_b256 s[56:63], s[30:31], 0x0
	s_add_co_i32 s27, s27, 4
	s_wait_xcnt 0x0
	s_add_nc_u64 s[28:29], s[28:29], 48
	s_cmp_lg_u32 s26, s27
	s_add_nc_u64 s[30:31], s[30:31], 32
	s_wait_kmcnt 0x0
	v_mul_hi_u32 v3, s49, v1
	s_delay_alu instid0(VALU_DEP_1) | instskip(NEXT) | instid1(VALU_DEP_1)
	v_add_nc_u32_e32 v3, v1, v3
	v_lshrrev_b32_e32 v3, s50, v3
	s_delay_alu instid0(VALU_DEP_1) | instskip(NEXT) | instid1(VALU_DEP_1)
	v_mul_hi_u32 v5, s52, v3
	v_add_nc_u32_e32 v5, v3, v5
	s_delay_alu instid0(VALU_DEP_1) | instskip(NEXT) | instid1(VALU_DEP_1)
	v_lshrrev_b32_e32 v5, s53, v5
	v_mul_hi_u32 v6, s55, v5
	s_delay_alu instid0(VALU_DEP_1) | instskip(SKIP_1) | instid1(VALU_DEP_1)
	v_add_nc_u32_e32 v6, v5, v6
	v_mul_lo_u32 v7, v3, s48
	v_sub_nc_u32_e32 v1, v1, v7
	v_mul_lo_u32 v7, v5, s51
	s_delay_alu instid0(VALU_DEP_4) | instskip(NEXT) | instid1(VALU_DEP_3)
	v_lshrrev_b32_e32 v6, s64, v6
	v_mad_u32 v4, v1, s57, v4
	v_mad_u32 v1, v1, s56, v2
	s_delay_alu instid0(VALU_DEP_4) | instskip(NEXT) | instid1(VALU_DEP_4)
	v_sub_nc_u32_e32 v2, v3, v7
	v_mul_hi_u32 v8, s66, v6
	v_mul_lo_u32 v3, v6, s54
	s_delay_alu instid0(VALU_DEP_3) | instskip(SKIP_1) | instid1(VALU_DEP_3)
	v_mad_u32 v4, v2, s59, v4
	v_mad_u32 v2, v2, s58, v1
	v_dual_add_nc_u32 v7, v6, v8 :: v_dual_sub_nc_u32 v3, v5, v3
	s_delay_alu instid0(VALU_DEP_1) | instskip(NEXT) | instid1(VALU_DEP_2)
	v_lshrrev_b32_e32 v1, s67, v7
	v_mad_u32 v4, v3, s61, v4
	s_delay_alu instid0(VALU_DEP_4) | instskip(NEXT) | instid1(VALU_DEP_3)
	v_mad_u32 v2, v3, s60, v2
	v_mul_lo_u32 v5, v1, s65
	s_delay_alu instid0(VALU_DEP_1) | instskip(NEXT) | instid1(VALU_DEP_1)
	v_sub_nc_u32_e32 v3, v6, v5
	v_mad_u32 v4, v3, s63, v4
	s_delay_alu instid0(VALU_DEP_4)
	v_mad_u32 v2, v3, s62, v2
	s_cbranch_scc1 .LBB111_6
; %bb.7:
	s_delay_alu instid0(VALU_DEP_2)
	v_mov_b32_e32 v3, v4
	s_and_b32 s0, s0, 3
	s_mov_b32 s27, 0
	s_cmp_eq_u32 s0, 0
	s_cbranch_scc0 .LBB111_11
	s_branch .LBB111_14
.LBB111_8:
                                        ; implicit-def: $vgpr4
                                        ; implicit-def: $vgpr2
	s_branch .LBB111_15
.LBB111_9:
	v_dual_mov_b32 v4, 0 :: v_dual_mov_b32 v2, 0
	s_branch .LBB111_14
.LBB111_10:
	v_mov_b64_e32 v[2:3], 0
	v_mov_b32_e32 v1, v0
	s_mov_b32 s26, 0
                                        ; implicit-def: $vgpr4
	s_and_b32 s0, s0, 3
	s_mov_b32 s27, 0
	s_cmp_eq_u32 s0, 0
	s_cbranch_scc1 .LBB111_14
.LBB111_11:
	s_lshl_b32 s28, s26, 3
	s_mov_b32 s29, s27
	s_mul_u64 s[30:31], s[26:27], 12
	s_add_nc_u64 s[28:29], s[2:3], s[28:29]
	s_delay_alu instid0(SALU_CYCLE_1)
	s_add_nc_u64 s[26:27], s[28:29], 0xc4
	s_add_nc_u64 s[28:29], s[2:3], s[30:31]
.LBB111_12:                             ; =>This Inner Loop Header: Depth=1
	s_load_b96 s[44:46], s[28:29], 0x4
	s_load_b64 s[30:31], s[26:27], 0x0
	s_add_co_i32 s0, s0, -1
	s_wait_xcnt 0x0
	s_add_nc_u64 s[28:29], s[28:29], 12
	s_cmp_lg_u32 s0, 0
	s_add_nc_u64 s[26:27], s[26:27], 8
	s_wait_kmcnt 0x0
	v_mul_hi_u32 v4, s45, v1
	s_delay_alu instid0(VALU_DEP_1) | instskip(NEXT) | instid1(VALU_DEP_1)
	v_add_nc_u32_e32 v4, v1, v4
	v_lshrrev_b32_e32 v4, s46, v4
	s_delay_alu instid0(VALU_DEP_1) | instskip(NEXT) | instid1(VALU_DEP_1)
	v_mul_lo_u32 v5, v4, s44
	v_sub_nc_u32_e32 v1, v1, v5
	s_delay_alu instid0(VALU_DEP_1)
	v_mad_u32 v3, v1, s31, v3
	v_mad_u32 v2, v1, s30, v2
	v_mov_b32_e32 v1, v4
	s_cbranch_scc1 .LBB111_12
; %bb.13:
	s_delay_alu instid0(VALU_DEP_3)
	v_mov_b32_e32 v4, v3
.LBB111_14:
	s_cbranch_execnz .LBB111_17
.LBB111_15:
	v_mov_b32_e32 v1, 0
	s_and_not1_b32 vcc_lo, exec_lo, s40
	s_delay_alu instid0(VALU_DEP_1) | instskip(NEXT) | instid1(VALU_DEP_1)
	v_mul_u64_e32 v[2:3], s[20:21], v[0:1]
	v_add_nc_u32_e32 v2, v0, v3
	s_delay_alu instid0(VALU_DEP_1) | instskip(NEXT) | instid1(VALU_DEP_1)
	v_lshrrev_b32_e32 v6, s14, v2
	v_mul_lo_u32 v2, v6, s12
	s_delay_alu instid0(VALU_DEP_1) | instskip(NEXT) | instid1(VALU_DEP_1)
	v_sub_nc_u32_e32 v2, v0, v2
	v_mul_lo_u32 v4, v2, s17
	v_mul_lo_u32 v2, v2, s16
	s_cbranch_vccnz .LBB111_17
; %bb.16:
	v_mov_b32_e32 v7, v1
	s_delay_alu instid0(VALU_DEP_1) | instskip(NEXT) | instid1(VALU_DEP_1)
	v_mul_u64_e32 v[8:9], s[22:23], v[6:7]
	v_add_nc_u32_e32 v1, v6, v9
	s_delay_alu instid0(VALU_DEP_1) | instskip(NEXT) | instid1(VALU_DEP_1)
	v_lshrrev_b32_e32 v1, s1, v1
	v_mul_lo_u32 v1, v1, s15
	s_delay_alu instid0(VALU_DEP_1) | instskip(NEXT) | instid1(VALU_DEP_1)
	v_sub_nc_u32_e32 v1, v6, v1
	v_mad_u32 v2, v1, s18, v2
	v_mad_u32 v4, v1, s19, v4
.LBB111_17:
	v_mov_b32_e32 v5, 0
	s_and_b32 s0, 0xffff, s39
	s_delay_alu instid0(SALU_CYCLE_1) | instskip(NEXT) | instid1(VALU_DEP_1)
	s_cmp_lt_i32 s0, 11
	v_add_nc_u64_e32 v[4:5], s[6:7], v[4:5]
	s_cbranch_scc1 .LBB111_24
; %bb.18:
	s_cmp_gt_i32 s0, 25
	s_cbranch_scc0 .LBB111_34
; %bb.19:
	s_cmp_gt_i32 s0, 28
	s_cbranch_scc0 .LBB111_38
	;; [unrolled: 3-line block ×4, first 2 shown]
; %bb.22:
	s_cmp_eq_u32 s0, 46
	s_mov_b32 s28, 0
	s_cbranch_scc0 .LBB111_44
; %bb.23:
	global_load_b32 v1, v[4:5], off
	s_mov_b32 s27, -1
	s_mov_b32 s26, 0
	s_wait_loadcnt 0x0
	v_lshlrev_b32_e32 v1, 16, v1
	s_delay_alu instid0(VALU_DEP_1) | instskip(NEXT) | instid1(VALU_DEP_1)
	v_trunc_f32_e32 v1, v1
	v_mul_f32_e64 v3, 0x2f800000, |v1|
	v_ashrrev_i32_e32 v6, 31, v1
	s_delay_alu instid0(VALU_DEP_2) | instskip(NEXT) | instid1(VALU_DEP_1)
	v_floor_f32_e32 v3, v3
	v_fma_f32 v7, 0xcf800000, v3, |v1|
	v_cvt_u32_f32_e32 v1, v3
	s_delay_alu instid0(VALU_DEP_2) | instskip(NEXT) | instid1(VALU_DEP_2)
	v_cvt_u32_f32_e32 v3, v7
	v_dual_mov_b32 v7, v6 :: v_dual_bitop2_b32 v9, v1, v6 bitop3:0x14
	s_delay_alu instid0(VALU_DEP_2) | instskip(NEXT) | instid1(VALU_DEP_1)
	v_xor_b32_e32 v8, v3, v6
	v_sub_nc_u64_e32 v[6:7], v[8:9], v[6:7]
	s_branch .LBB111_46
.LBB111_24:
	s_mov_b32 s26, 0
	s_mov_b32 s27, 0
                                        ; implicit-def: $vgpr6_vgpr7
	s_cbranch_execnz .LBB111_106
.LBB111_25:
	s_and_not1_b32 vcc_lo, exec_lo, s27
	s_cbranch_vccnz .LBB111_153
.LBB111_26:
	s_wait_loadcnt 0x0
	s_delay_alu instid0(VALU_DEP_1)
	v_cmp_le_i64_e32 vcc_lo, s[8:9], v[6:7]
	v_cmp_gt_i64_e64 s0, s[10:11], v[6:7]
	s_mov_b32 s28, -1
	s_mov_b32 s27, 0
	s_mov_b32 s29, 0
	s_and_b32 s0, vcc_lo, s0
	s_delay_alu instid0(SALU_CYCLE_1) | instskip(NEXT) | instid1(SALU_CYCLE_1)
	s_and_b32 s30, s13, s0
	s_and_saveexec_b32 s0, s30
	s_cbranch_execz .LBB111_234
; %bb.27:
	v_mov_b32_e32 v3, 0
	s_and_b32 s28, s38, 0xff
	s_delay_alu instid0(SALU_CYCLE_1) | instskip(NEXT) | instid1(VALU_DEP_1)
	s_cmp_lt_i32 s28, 11
	v_add_nc_u64_e32 v[2:3], s[4:5], v[2:3]
	s_cbranch_scc1 .LBB111_35
; %bb.28:
	s_and_b32 s29, 0xffff, s28
	s_delay_alu instid0(SALU_CYCLE_1)
	s_cmp_gt_i32 s29, 25
	s_cbranch_scc0 .LBB111_39
; %bb.29:
	s_cmp_gt_i32 s29, 28
	s_cbranch_scc0 .LBB111_41
; %bb.30:
	;; [unrolled: 3-line block ×4, first 2 shown]
	s_mov_b32 s31, 0
	s_mov_b32 s27, -1
	s_cmp_eq_u32 s29, 46
	s_mov_b32 s30, 0
	s_cbranch_scc0 .LBB111_155
; %bb.33:
	v_mov_b32_e32 v1, 0
	s_mov_b32 s30, -1
	s_mov_b32 s27, 0
	global_store_b32 v[2:3], v1, off
	s_branch .LBB111_155
.LBB111_34:
	s_mov_b32 s26, 0
	s_mov_b32 s27, 0
                                        ; implicit-def: $vgpr6_vgpr7
	s_cbranch_execnz .LBB111_73
	s_branch .LBB111_105
.LBB111_35:
	s_mov_b32 s30, 0
	s_cbranch_execnz .LBB111_194
.LBB111_36:
	s_and_not1_b32 vcc_lo, exec_lo, s30
	s_cbranch_vccnz .LBB111_232
.LBB111_37:
	v_add_nc_u32_e32 v0, 0x80, v0
	s_mov_b32 s30, -1
	s_branch .LBB111_233
.LBB111_38:
	s_mov_b32 s28, -1
	s_mov_b32 s26, 0
	s_mov_b32 s27, 0
                                        ; implicit-def: $vgpr6_vgpr7
	s_branch .LBB111_56
.LBB111_39:
	s_mov_b32 s31, -1
	s_mov_b32 s30, 0
	s_branch .LBB111_174
.LBB111_40:
	s_mov_b32 s28, -1
	s_mov_b32 s26, 0
	s_mov_b32 s27, 0
                                        ; implicit-def: $vgpr6_vgpr7
	s_branch .LBB111_51
.LBB111_41:
	s_mov_b32 s31, -1
	s_mov_b32 s30, 0
	s_branch .LBB111_163
.LBB111_42:
	s_mov_b32 s28, -1
	s_mov_b32 s26, 0
	s_branch .LBB111_45
.LBB111_43:
	s_mov_b32 s31, -1
	s_mov_b32 s30, 0
	s_branch .LBB111_159
.LBB111_44:
	s_mov_b32 s26, -1
.LBB111_45:
	s_mov_b32 s27, 0
                                        ; implicit-def: $vgpr6_vgpr7
.LBB111_46:
	s_and_b32 vcc_lo, exec_lo, s28
	s_cbranch_vccz .LBB111_50
; %bb.47:
	s_cmp_eq_u32 s0, 44
	s_cbranch_scc0 .LBB111_49
; %bb.48:
	global_load_u8 v1, v[4:5], off
	s_mov_b32 s26, 0
	s_mov_b32 s27, -1
	s_wait_loadcnt 0x0
	v_lshlrev_b32_e32 v3, 23, v1
	v_cmp_ne_u32_e32 vcc_lo, 0, v1
	s_delay_alu instid0(VALU_DEP_2) | instskip(NEXT) | instid1(VALU_DEP_1)
	v_trunc_f32_e32 v3, v3
	v_mul_f32_e64 v6, 0x2f800000, |v3|
	s_delay_alu instid0(VALU_DEP_1) | instskip(SKIP_1) | instid1(VALU_DEP_2)
	v_floor_f32_e32 v7, v6
	v_ashrrev_i32_e32 v6, 31, v3
	v_fma_f32 v8, 0xcf800000, v7, |v3|
	v_cvt_u32_f32_e32 v3, v7
	s_delay_alu instid0(VALU_DEP_3) | instskip(NEXT) | instid1(VALU_DEP_3)
	v_mov_b32_e32 v7, v6
	v_cvt_u32_f32_e32 v8, v8
	s_delay_alu instid0(VALU_DEP_3) | instskip(NEXT) | instid1(VALU_DEP_2)
	v_xor_b32_e32 v9, v3, v6
	v_xor_b32_e32 v8, v8, v6
	s_delay_alu instid0(VALU_DEP_1) | instskip(NEXT) | instid1(VALU_DEP_1)
	v_sub_nc_u64_e32 v[6:7], v[8:9], v[6:7]
	v_dual_cndmask_b32 v7, 0, v7 :: v_dual_cndmask_b32 v6, 0, v6
	s_branch .LBB111_50
.LBB111_49:
	s_mov_b32 s26, -1
                                        ; implicit-def: $vgpr6_vgpr7
.LBB111_50:
	s_mov_b32 s28, 0
.LBB111_51:
	s_delay_alu instid0(SALU_CYCLE_1)
	s_and_b32 vcc_lo, exec_lo, s28
	s_cbranch_vccz .LBB111_55
; %bb.52:
	s_cmp_eq_u32 s0, 29
	s_cbranch_scc0 .LBB111_54
; %bb.53:
	global_load_b64 v[6:7], v[4:5], off
	s_mov_b32 s27, -1
	s_mov_b32 s26, 0
	s_branch .LBB111_55
.LBB111_54:
	s_mov_b32 s26, -1
                                        ; implicit-def: $vgpr6_vgpr7
.LBB111_55:
	s_mov_b32 s28, 0
.LBB111_56:
	s_delay_alu instid0(SALU_CYCLE_1)
	s_and_b32 vcc_lo, exec_lo, s28
	s_cbranch_vccz .LBB111_72
; %bb.57:
	s_cmp_lt_i32 s0, 27
	s_cbranch_scc1 .LBB111_60
; %bb.58:
	s_cmp_gt_i32 s0, 27
	s_cbranch_scc0 .LBB111_61
; %bb.59:
	s_wait_loadcnt 0x0
	global_load_b32 v6, v[4:5], off
	v_mov_b32_e32 v7, 0
	s_mov_b32 s27, 0
	s_branch .LBB111_62
.LBB111_60:
	s_mov_b32 s27, -1
                                        ; implicit-def: $vgpr6_vgpr7
	s_branch .LBB111_65
.LBB111_61:
	s_mov_b32 s27, -1
                                        ; implicit-def: $vgpr6_vgpr7
.LBB111_62:
	s_delay_alu instid0(SALU_CYCLE_1)
	s_and_not1_b32 vcc_lo, exec_lo, s27
	s_cbranch_vccnz .LBB111_64
; %bb.63:
	global_load_u16 v1, v[4:5], off
	s_mov_b32 s27, 0
	s_wait_loadcnt 0x1
	v_mov_b32_e32 v7, s27
	s_wait_loadcnt 0x0
	v_and_b32_e32 v6, 0xffff, v1
.LBB111_64:
	s_mov_b32 s27, 0
.LBB111_65:
	s_delay_alu instid0(SALU_CYCLE_1)
	s_and_not1_b32 vcc_lo, exec_lo, s27
	s_cbranch_vccnz .LBB111_71
; %bb.66:
	global_load_u8 v1, v[4:5], off
	s_mov_b32 s28, 0
	s_mov_b32 s27, exec_lo
	s_wait_loadcnt 0x0
	v_cmpx_lt_i16_e32 0x7f, v1
	s_xor_b32 s27, exec_lo, s27
	s_cbranch_execz .LBB111_82
; %bb.67:
	v_cmp_ne_u16_e32 vcc_lo, 0x80, v1
	s_and_b32 s28, vcc_lo, exec_lo
	s_and_not1_saveexec_b32 s27, s27
	s_cbranch_execnz .LBB111_83
.LBB111_68:
	s_or_b32 exec_lo, exec_lo, s27
	v_mov_b64_e32 v[6:7], 0
	s_and_saveexec_b32 s27, s28
	s_cbranch_execz .LBB111_70
.LBB111_69:
	v_and_b32_e32 v3, 0xffff, v1
	s_delay_alu instid0(VALU_DEP_1) | instskip(SKIP_1) | instid1(VALU_DEP_2)
	v_dual_lshlrev_b32 v1, 24, v1 :: v_dual_bitop2_b32 v6, 7, v3 bitop3:0x40
	v_bfe_u32 v9, v3, 3, 4
	v_and_b32_e32 v1, 0x80000000, v1
	s_delay_alu instid0(VALU_DEP_3) | instskip(NEXT) | instid1(VALU_DEP_3)
	v_clz_i32_u32_e32 v7, v6
	v_cmp_eq_u32_e32 vcc_lo, 0, v9
	s_delay_alu instid0(VALU_DEP_2) | instskip(NEXT) | instid1(VALU_DEP_1)
	v_min_u32_e32 v7, 32, v7
	v_subrev_nc_u32_e32 v8, 28, v7
	v_sub_nc_u32_e32 v7, 29, v7
	s_delay_alu instid0(VALU_DEP_2) | instskip(NEXT) | instid1(VALU_DEP_2)
	v_lshlrev_b32_e32 v3, v8, v3
	v_cndmask_b32_e32 v7, v9, v7, vcc_lo
	s_delay_alu instid0(VALU_DEP_2) | instskip(NEXT) | instid1(VALU_DEP_1)
	v_and_b32_e32 v3, 7, v3
	v_cndmask_b32_e32 v3, v6, v3, vcc_lo
	s_delay_alu instid0(VALU_DEP_3) | instskip(NEXT) | instid1(VALU_DEP_2)
	v_lshl_add_u32 v6, v7, 23, 0x3b800000
	v_lshlrev_b32_e32 v3, 20, v3
	s_delay_alu instid0(VALU_DEP_1) | instskip(NEXT) | instid1(VALU_DEP_1)
	v_or3_b32 v1, v1, v6, v3
	v_trunc_f32_e32 v1, v1
	s_delay_alu instid0(VALU_DEP_1) | instskip(SKIP_1) | instid1(VALU_DEP_2)
	v_mul_f32_e64 v3, 0x2f800000, |v1|
	v_ashrrev_i32_e32 v6, 31, v1
	v_floor_f32_e32 v3, v3
	s_delay_alu instid0(VALU_DEP_1) | instskip(SKIP_1) | instid1(VALU_DEP_2)
	v_fma_f32 v7, 0xcf800000, v3, |v1|
	v_cvt_u32_f32_e32 v1, v3
	v_cvt_u32_f32_e32 v3, v7
	s_delay_alu instid0(VALU_DEP_2) | instskip(NEXT) | instid1(VALU_DEP_2)
	v_dual_mov_b32 v7, v6 :: v_dual_bitop2_b32 v9, v1, v6 bitop3:0x14
	v_xor_b32_e32 v8, v3, v6
	s_delay_alu instid0(VALU_DEP_1)
	v_sub_nc_u64_e32 v[6:7], v[8:9], v[6:7]
.LBB111_70:
	s_or_b32 exec_lo, exec_lo, s27
.LBB111_71:
	s_mov_b32 s27, -1
.LBB111_72:
	s_branch .LBB111_105
.LBB111_73:
	s_cmp_gt_i32 s0, 22
	s_cbranch_scc0 .LBB111_81
; %bb.74:
	s_cmp_lt_i32 s0, 24
	s_cbranch_scc1 .LBB111_84
; %bb.75:
	s_cmp_gt_i32 s0, 24
	s_cbranch_scc0 .LBB111_85
; %bb.76:
	global_load_u8 v1, v[4:5], off
	s_mov_b32 s28, 0
	s_mov_b32 s27, exec_lo
	s_wait_loadcnt 0x0
	v_cmpx_lt_i16_e32 0x7f, v1
	s_xor_b32 s27, exec_lo, s27
	s_cbranch_execz .LBB111_97
; %bb.77:
	v_cmp_ne_u16_e32 vcc_lo, 0x80, v1
	s_and_b32 s28, vcc_lo, exec_lo
	s_and_not1_saveexec_b32 s27, s27
	s_cbranch_execnz .LBB111_98
.LBB111_78:
	s_or_b32 exec_lo, exec_lo, s27
	v_mov_b64_e32 v[6:7], 0
	s_and_saveexec_b32 s27, s28
	s_cbranch_execz .LBB111_80
.LBB111_79:
	v_and_b32_e32 v3, 0xffff, v1
	s_delay_alu instid0(VALU_DEP_1) | instskip(SKIP_1) | instid1(VALU_DEP_2)
	v_dual_lshlrev_b32 v1, 24, v1 :: v_dual_bitop2_b32 v6, 3, v3 bitop3:0x40
	v_bfe_u32 v9, v3, 2, 5
	v_and_b32_e32 v1, 0x80000000, v1
	s_delay_alu instid0(VALU_DEP_3) | instskip(NEXT) | instid1(VALU_DEP_3)
	v_clz_i32_u32_e32 v7, v6
	v_cmp_eq_u32_e32 vcc_lo, 0, v9
	s_delay_alu instid0(VALU_DEP_2) | instskip(NEXT) | instid1(VALU_DEP_1)
	v_min_u32_e32 v7, 32, v7
	v_subrev_nc_u32_e32 v8, 29, v7
	v_sub_nc_u32_e32 v7, 30, v7
	s_delay_alu instid0(VALU_DEP_2) | instskip(NEXT) | instid1(VALU_DEP_2)
	v_lshlrev_b32_e32 v3, v8, v3
	v_cndmask_b32_e32 v7, v9, v7, vcc_lo
	s_delay_alu instid0(VALU_DEP_2) | instskip(NEXT) | instid1(VALU_DEP_1)
	v_and_b32_e32 v3, 3, v3
	v_cndmask_b32_e32 v3, v6, v3, vcc_lo
	s_delay_alu instid0(VALU_DEP_3) | instskip(NEXT) | instid1(VALU_DEP_2)
	v_lshl_add_u32 v6, v7, 23, 0x37800000
	v_lshlrev_b32_e32 v3, 21, v3
	s_delay_alu instid0(VALU_DEP_1) | instskip(NEXT) | instid1(VALU_DEP_1)
	v_or3_b32 v1, v1, v6, v3
	v_trunc_f32_e32 v1, v1
	s_delay_alu instid0(VALU_DEP_1) | instskip(SKIP_1) | instid1(VALU_DEP_2)
	v_mul_f32_e64 v3, 0x2f800000, |v1|
	v_ashrrev_i32_e32 v6, 31, v1
	v_floor_f32_e32 v3, v3
	s_delay_alu instid0(VALU_DEP_1) | instskip(SKIP_1) | instid1(VALU_DEP_2)
	v_fma_f32 v7, 0xcf800000, v3, |v1|
	v_cvt_u32_f32_e32 v1, v3
	v_cvt_u32_f32_e32 v3, v7
	s_delay_alu instid0(VALU_DEP_2) | instskip(NEXT) | instid1(VALU_DEP_2)
	v_dual_mov_b32 v7, v6 :: v_dual_bitop2_b32 v9, v1, v6 bitop3:0x14
	v_xor_b32_e32 v8, v3, v6
	s_delay_alu instid0(VALU_DEP_1)
	v_sub_nc_u64_e32 v[6:7], v[8:9], v[6:7]
.LBB111_80:
	s_or_b32 exec_lo, exec_lo, s27
	s_mov_b32 s27, 0
	s_branch .LBB111_86
.LBB111_81:
	s_mov_b32 s28, -1
                                        ; implicit-def: $vgpr6_vgpr7
	s_branch .LBB111_92
.LBB111_82:
	s_and_not1_saveexec_b32 s27, s27
	s_cbranch_execz .LBB111_68
.LBB111_83:
	v_cmp_ne_u16_e32 vcc_lo, 0, v1
	s_and_not1_b32 s28, s28, exec_lo
	s_and_b32 s29, vcc_lo, exec_lo
	s_delay_alu instid0(SALU_CYCLE_1)
	s_or_b32 s28, s28, s29
	s_or_b32 exec_lo, exec_lo, s27
	v_mov_b64_e32 v[6:7], 0
	s_and_saveexec_b32 s27, s28
	s_cbranch_execnz .LBB111_69
	s_branch .LBB111_70
.LBB111_84:
	s_mov_b32 s27, -1
                                        ; implicit-def: $vgpr6_vgpr7
	s_branch .LBB111_89
.LBB111_85:
	s_mov_b32 s27, -1
                                        ; implicit-def: $vgpr6_vgpr7
.LBB111_86:
	s_delay_alu instid0(SALU_CYCLE_1)
	s_and_b32 vcc_lo, exec_lo, s27
	s_cbranch_vccz .LBB111_88
; %bb.87:
	global_load_u8 v1, v[4:5], off
	s_wait_loadcnt 0x0
	v_lshlrev_b32_e32 v1, 24, v1
	s_delay_alu instid0(VALU_DEP_1) | instskip(NEXT) | instid1(VALU_DEP_1)
	v_and_b32_e32 v3, 0x7f000000, v1
	v_clz_i32_u32_e32 v6, v3
	v_cmp_ne_u32_e32 vcc_lo, 0, v3
	v_add_nc_u32_e32 v8, 0x1000000, v3
	s_delay_alu instid0(VALU_DEP_3) | instskip(NEXT) | instid1(VALU_DEP_1)
	v_min_u32_e32 v6, 32, v6
	v_sub_nc_u32_e64 v6, v6, 4 clamp
	s_delay_alu instid0(VALU_DEP_1) | instskip(NEXT) | instid1(VALU_DEP_1)
	v_dual_lshlrev_b32 v7, v6, v3 :: v_dual_lshlrev_b32 v6, 23, v6
	v_lshrrev_b32_e32 v7, 4, v7
	s_delay_alu instid0(VALU_DEP_1) | instskip(NEXT) | instid1(VALU_DEP_1)
	v_dual_sub_nc_u32 v6, v7, v6 :: v_dual_ashrrev_i32 v7, 8, v8
	v_add_nc_u32_e32 v6, 0x3c000000, v6
	s_delay_alu instid0(VALU_DEP_1) | instskip(NEXT) | instid1(VALU_DEP_1)
	v_and_or_b32 v6, 0x7f800000, v7, v6
	v_cndmask_b32_e32 v3, 0, v6, vcc_lo
	s_delay_alu instid0(VALU_DEP_1) | instskip(NEXT) | instid1(VALU_DEP_1)
	v_and_or_b32 v1, 0x80000000, v1, v3
	v_trunc_f32_e32 v1, v1
	s_delay_alu instid0(VALU_DEP_1) | instskip(SKIP_1) | instid1(VALU_DEP_2)
	v_mul_f32_e64 v3, 0x2f800000, |v1|
	v_ashrrev_i32_e32 v6, 31, v1
	v_floor_f32_e32 v3, v3
	s_delay_alu instid0(VALU_DEP_1) | instskip(SKIP_1) | instid1(VALU_DEP_2)
	v_fma_f32 v7, 0xcf800000, v3, |v1|
	v_cvt_u32_f32_e32 v1, v3
	v_cvt_u32_f32_e32 v3, v7
	s_delay_alu instid0(VALU_DEP_2) | instskip(NEXT) | instid1(VALU_DEP_2)
	v_dual_mov_b32 v7, v6 :: v_dual_bitop2_b32 v9, v1, v6 bitop3:0x14
	v_xor_b32_e32 v8, v3, v6
	s_delay_alu instid0(VALU_DEP_1)
	v_sub_nc_u64_e32 v[6:7], v[8:9], v[6:7]
.LBB111_88:
	s_mov_b32 s27, 0
.LBB111_89:
	s_delay_alu instid0(SALU_CYCLE_1)
	s_and_not1_b32 vcc_lo, exec_lo, s27
	s_cbranch_vccnz .LBB111_91
; %bb.90:
	global_load_u8 v1, v[4:5], off
	s_wait_loadcnt 0x0
	v_lshlrev_b32_e32 v3, 25, v1
	v_lshlrev_b16 v1, 8, v1
	s_delay_alu instid0(VALU_DEP_1) | instskip(SKIP_1) | instid1(VALU_DEP_2)
	v_and_or_b32 v7, 0x7f00, v1, 0.5
	v_bfe_i32 v1, v1, 0, 16
	v_add_f32_e32 v7, -0.5, v7
	v_lshrrev_b32_e32 v6, 4, v3
	v_cmp_gt_u32_e32 vcc_lo, 0x8000000, v3
	s_delay_alu instid0(VALU_DEP_2) | instskip(NEXT) | instid1(VALU_DEP_1)
	v_or_b32_e32 v6, 0x70000000, v6
	v_mul_f32_e32 v6, 0x7800000, v6
	s_delay_alu instid0(VALU_DEP_1) | instskip(NEXT) | instid1(VALU_DEP_1)
	v_cndmask_b32_e32 v3, v6, v7, vcc_lo
	v_and_or_b32 v1, 0x80000000, v1, v3
	s_delay_alu instid0(VALU_DEP_1) | instskip(NEXT) | instid1(VALU_DEP_1)
	v_trunc_f32_e32 v1, v1
	v_mul_f32_e64 v3, 0x2f800000, |v1|
	v_ashrrev_i32_e32 v6, 31, v1
	s_delay_alu instid0(VALU_DEP_2) | instskip(NEXT) | instid1(VALU_DEP_1)
	v_floor_f32_e32 v3, v3
	v_fma_f32 v7, 0xcf800000, v3, |v1|
	v_cvt_u32_f32_e32 v1, v3
	s_delay_alu instid0(VALU_DEP_2) | instskip(NEXT) | instid1(VALU_DEP_2)
	v_cvt_u32_f32_e32 v3, v7
	v_dual_mov_b32 v7, v6 :: v_dual_bitop2_b32 v9, v1, v6 bitop3:0x14
	s_delay_alu instid0(VALU_DEP_2) | instskip(NEXT) | instid1(VALU_DEP_1)
	v_xor_b32_e32 v8, v3, v6
	v_sub_nc_u64_e32 v[6:7], v[8:9], v[6:7]
.LBB111_91:
	s_mov_b32 s28, 0
	s_mov_b32 s27, -1
.LBB111_92:
	s_and_not1_b32 vcc_lo, exec_lo, s28
	s_cbranch_vccnz .LBB111_105
; %bb.93:
	s_cmp_gt_i32 s0, 14
	s_cbranch_scc0 .LBB111_96
; %bb.94:
	s_cmp_eq_u32 s0, 15
	s_cbranch_scc0 .LBB111_99
; %bb.95:
	global_load_u16 v1, v[4:5], off
	s_mov_b32 s27, -1
	s_mov_b32 s26, 0
	s_wait_loadcnt 0x0
	v_lshlrev_b32_e32 v1, 16, v1
	s_delay_alu instid0(VALU_DEP_1) | instskip(NEXT) | instid1(VALU_DEP_1)
	v_trunc_f32_e32 v1, v1
	v_mul_f32_e64 v3, 0x2f800000, |v1|
	v_ashrrev_i32_e32 v6, 31, v1
	s_delay_alu instid0(VALU_DEP_2) | instskip(NEXT) | instid1(VALU_DEP_1)
	v_floor_f32_e32 v3, v3
	v_fma_f32 v7, 0xcf800000, v3, |v1|
	v_cvt_u32_f32_e32 v1, v3
	s_delay_alu instid0(VALU_DEP_2) | instskip(NEXT) | instid1(VALU_DEP_2)
	v_cvt_u32_f32_e32 v3, v7
	v_dual_mov_b32 v7, v6 :: v_dual_bitop2_b32 v9, v1, v6 bitop3:0x14
	s_delay_alu instid0(VALU_DEP_2) | instskip(NEXT) | instid1(VALU_DEP_1)
	v_xor_b32_e32 v8, v3, v6
	v_sub_nc_u64_e32 v[6:7], v[8:9], v[6:7]
	s_branch .LBB111_100
.LBB111_96:
	s_mov_b32 s28, -1
                                        ; implicit-def: $vgpr6_vgpr7
	s_branch .LBB111_101
.LBB111_97:
	s_and_not1_saveexec_b32 s27, s27
	s_cbranch_execz .LBB111_78
.LBB111_98:
	v_cmp_ne_u16_e32 vcc_lo, 0, v1
	s_and_not1_b32 s28, s28, exec_lo
	s_and_b32 s29, vcc_lo, exec_lo
	s_delay_alu instid0(SALU_CYCLE_1)
	s_or_b32 s28, s28, s29
	s_or_b32 exec_lo, exec_lo, s27
	v_mov_b64_e32 v[6:7], 0
	s_and_saveexec_b32 s27, s28
	s_cbranch_execnz .LBB111_79
	s_branch .LBB111_80
.LBB111_99:
	s_mov_b32 s26, -1
                                        ; implicit-def: $vgpr6_vgpr7
.LBB111_100:
	s_mov_b32 s28, 0
.LBB111_101:
	s_delay_alu instid0(SALU_CYCLE_1)
	s_and_b32 vcc_lo, exec_lo, s28
	s_cbranch_vccz .LBB111_105
; %bb.102:
	s_cmp_eq_u32 s0, 11
	s_cbranch_scc0 .LBB111_104
; %bb.103:
	global_load_u8 v1, v[4:5], off
	s_mov_b32 s26, 0
	s_mov_b32 s27, -1
	s_wait_loadcnt 0x1
	v_mov_b32_e32 v7, s26
	s_wait_loadcnt 0x0
	v_cmp_ne_u16_e32 vcc_lo, 0, v1
	v_cndmask_b32_e64 v6, 0, 1, vcc_lo
	s_branch .LBB111_105
.LBB111_104:
	s_mov_b32 s26, -1
                                        ; implicit-def: $vgpr6_vgpr7
.LBB111_105:
	s_branch .LBB111_25
.LBB111_106:
	s_cmp_lt_i32 s0, 5
	s_cbranch_scc1 .LBB111_111
; %bb.107:
	s_cmp_lt_i32 s0, 8
	s_cbranch_scc1 .LBB111_112
; %bb.108:
	s_cmp_lt_i32 s0, 9
	s_cbranch_scc1 .LBB111_113
; %bb.109:
	s_cmp_gt_i32 s0, 9
	s_cbranch_scc0 .LBB111_114
; %bb.110:
	s_wait_loadcnt 0x0
	global_load_b64 v[6:7], v[4:5], off
	s_mov_b32 s27, 0
	s_wait_loadcnt 0x0
	v_trunc_f64_e32 v[6:7], v[6:7]
	s_delay_alu instid0(VALU_DEP_1) | instskip(NEXT) | instid1(VALU_DEP_1)
	v_ldexp_f64 v[8:9], v[6:7], 0xffffffe0
	v_floor_f64_e32 v[8:9], v[8:9]
	s_delay_alu instid0(VALU_DEP_1) | instskip(SKIP_1) | instid1(VALU_DEP_2)
	v_fmamk_f64 v[10:11], v[8:9], 0xc1f00000, v[6:7]
	v_cvt_i32_f64_e32 v7, v[8:9]
	v_cvt_u32_f64_e32 v6, v[10:11]
	s_branch .LBB111_115
.LBB111_111:
                                        ; implicit-def: $vgpr6_vgpr7
	s_branch .LBB111_133
.LBB111_112:
	s_mov_b32 s27, -1
                                        ; implicit-def: $vgpr6_vgpr7
	s_branch .LBB111_121
.LBB111_113:
	s_mov_b32 s27, -1
                                        ; implicit-def: $vgpr6_vgpr7
	s_branch .LBB111_118
.LBB111_114:
	s_mov_b32 s27, -1
                                        ; implicit-def: $vgpr6_vgpr7
.LBB111_115:
	s_delay_alu instid0(SALU_CYCLE_1)
	s_and_not1_b32 vcc_lo, exec_lo, s27
	s_cbranch_vccnz .LBB111_117
; %bb.116:
	global_load_b32 v1, v[4:5], off
	s_wait_loadcnt 0x0
	v_trunc_f32_e32 v1, v1
	s_delay_alu instid0(VALU_DEP_1) | instskip(SKIP_1) | instid1(VALU_DEP_2)
	v_mul_f32_e64 v3, 0x2f800000, |v1|
	v_ashrrev_i32_e32 v6, 31, v1
	v_floor_f32_e32 v3, v3
	s_delay_alu instid0(VALU_DEP_1) | instskip(SKIP_1) | instid1(VALU_DEP_2)
	v_fma_f32 v7, 0xcf800000, v3, |v1|
	v_cvt_u32_f32_e32 v1, v3
	v_cvt_u32_f32_e32 v3, v7
	s_delay_alu instid0(VALU_DEP_2) | instskip(NEXT) | instid1(VALU_DEP_2)
	v_dual_mov_b32 v7, v6 :: v_dual_bitop2_b32 v9, v1, v6 bitop3:0x14
	v_xor_b32_e32 v8, v3, v6
	s_delay_alu instid0(VALU_DEP_1)
	v_sub_nc_u64_e32 v[6:7], v[8:9], v[6:7]
.LBB111_117:
	s_mov_b32 s27, 0
.LBB111_118:
	s_delay_alu instid0(SALU_CYCLE_1)
	s_and_not1_b32 vcc_lo, exec_lo, s27
	s_cbranch_vccnz .LBB111_120
; %bb.119:
	global_load_b32 v1, v[4:5], off
	s_wait_loadcnt 0x0
	v_cvt_f32_f16_e32 v1, v1
	s_delay_alu instid0(VALU_DEP_1) | instskip(NEXT) | instid1(VALU_DEP_1)
	v_cvt_i32_f32_e32 v6, v1
	v_ashrrev_i32_e32 v7, 31, v6
.LBB111_120:
	s_mov_b32 s27, 0
.LBB111_121:
	s_delay_alu instid0(SALU_CYCLE_1)
	s_and_not1_b32 vcc_lo, exec_lo, s27
	s_cbranch_vccnz .LBB111_132
; %bb.122:
	s_cmp_lt_i32 s0, 6
	s_cbranch_scc1 .LBB111_125
; %bb.123:
	s_cmp_gt_i32 s0, 6
	s_cbranch_scc0 .LBB111_126
; %bb.124:
	s_wait_loadcnt 0x0
	global_load_b64 v[6:7], v[4:5], off
	s_mov_b32 s27, 0
	s_wait_loadcnt 0x0
	v_trunc_f64_e32 v[6:7], v[6:7]
	s_delay_alu instid0(VALU_DEP_1) | instskip(NEXT) | instid1(VALU_DEP_1)
	v_ldexp_f64 v[8:9], v[6:7], 0xffffffe0
	v_floor_f64_e32 v[8:9], v[8:9]
	s_delay_alu instid0(VALU_DEP_1) | instskip(SKIP_1) | instid1(VALU_DEP_2)
	v_fmamk_f64 v[10:11], v[8:9], 0xc1f00000, v[6:7]
	v_cvt_i32_f64_e32 v7, v[8:9]
	v_cvt_u32_f64_e32 v6, v[10:11]
	s_branch .LBB111_127
.LBB111_125:
	s_mov_b32 s27, -1
                                        ; implicit-def: $vgpr6_vgpr7
	s_branch .LBB111_130
.LBB111_126:
	s_mov_b32 s27, -1
                                        ; implicit-def: $vgpr6_vgpr7
.LBB111_127:
	s_delay_alu instid0(SALU_CYCLE_1)
	s_and_not1_b32 vcc_lo, exec_lo, s27
	s_cbranch_vccnz .LBB111_129
; %bb.128:
	global_load_b32 v1, v[4:5], off
	s_wait_loadcnt 0x0
	v_trunc_f32_e32 v1, v1
	s_delay_alu instid0(VALU_DEP_1) | instskip(SKIP_1) | instid1(VALU_DEP_2)
	v_mul_f32_e64 v3, 0x2f800000, |v1|
	v_ashrrev_i32_e32 v6, 31, v1
	v_floor_f32_e32 v3, v3
	s_delay_alu instid0(VALU_DEP_1) | instskip(SKIP_1) | instid1(VALU_DEP_2)
	v_fma_f32 v7, 0xcf800000, v3, |v1|
	v_cvt_u32_f32_e32 v1, v3
	v_cvt_u32_f32_e32 v3, v7
	s_delay_alu instid0(VALU_DEP_2) | instskip(NEXT) | instid1(VALU_DEP_2)
	v_dual_mov_b32 v7, v6 :: v_dual_bitop2_b32 v9, v1, v6 bitop3:0x14
	v_xor_b32_e32 v8, v3, v6
	s_delay_alu instid0(VALU_DEP_1)
	v_sub_nc_u64_e32 v[6:7], v[8:9], v[6:7]
.LBB111_129:
	s_mov_b32 s27, 0
.LBB111_130:
	s_delay_alu instid0(SALU_CYCLE_1)
	s_and_not1_b32 vcc_lo, exec_lo, s27
	s_cbranch_vccnz .LBB111_132
; %bb.131:
	global_load_u16 v1, v[4:5], off
	s_wait_loadcnt 0x0
	v_cvt_f32_f16_e32 v1, v1
	s_delay_alu instid0(VALU_DEP_1) | instskip(NEXT) | instid1(VALU_DEP_1)
	v_cvt_i32_f32_e32 v6, v1
	v_ashrrev_i32_e32 v7, 31, v6
.LBB111_132:
	s_cbranch_execnz .LBB111_152
.LBB111_133:
	s_cmp_lt_i32 s0, 2
	s_cbranch_scc1 .LBB111_137
; %bb.134:
	s_cmp_lt_i32 s0, 3
	s_cbranch_scc1 .LBB111_138
; %bb.135:
	s_cmp_gt_i32 s0, 3
	s_cbranch_scc0 .LBB111_139
; %bb.136:
	s_wait_loadcnt 0x0
	global_load_b64 v[6:7], v[4:5], off
	s_mov_b32 s27, 0
	s_branch .LBB111_140
.LBB111_137:
	s_mov_b32 s27, -1
                                        ; implicit-def: $vgpr6_vgpr7
	s_branch .LBB111_146
.LBB111_138:
	s_mov_b32 s27, -1
                                        ; implicit-def: $vgpr6_vgpr7
	s_branch .LBB111_143
.LBB111_139:
	s_mov_b32 s27, -1
                                        ; implicit-def: $vgpr6_vgpr7
.LBB111_140:
	s_delay_alu instid0(SALU_CYCLE_1)
	s_and_not1_b32 vcc_lo, exec_lo, s27
	s_cbranch_vccnz .LBB111_142
; %bb.141:
	s_wait_loadcnt 0x0
	global_load_b32 v6, v[4:5], off
	s_wait_loadcnt 0x0
	v_ashrrev_i32_e32 v7, 31, v6
.LBB111_142:
	s_mov_b32 s27, 0
.LBB111_143:
	s_delay_alu instid0(SALU_CYCLE_1)
	s_and_not1_b32 vcc_lo, exec_lo, s27
	s_cbranch_vccnz .LBB111_145
; %bb.144:
	global_load_u16 v1, v[4:5], off
	s_wait_loadcnt 0x0
	v_bfe_i32 v6, v1, 0, 16
	s_delay_alu instid0(VALU_DEP_1)
	v_ashrrev_i32_e32 v7, 31, v6
.LBB111_145:
	s_mov_b32 s27, 0
.LBB111_146:
	s_delay_alu instid0(SALU_CYCLE_1)
	s_and_not1_b32 vcc_lo, exec_lo, s27
	s_cbranch_vccnz .LBB111_152
; %bb.147:
	s_cmp_gt_i32 s0, 0
	s_mov_b32 s0, 0
	s_cbranch_scc0 .LBB111_149
; %bb.148:
	global_load_i8 v1, v[4:5], off
	s_wait_loadcnt 0x0
	v_bfe_i32 v6, v1, 0, 16
	s_delay_alu instid0(VALU_DEP_1)
	v_ashrrev_i32_e32 v7, 31, v6
	s_branch .LBB111_150
.LBB111_149:
	s_mov_b32 s0, -1
                                        ; implicit-def: $vgpr6_vgpr7
.LBB111_150:
	s_delay_alu instid0(SALU_CYCLE_1)
	s_and_not1_b32 vcc_lo, exec_lo, s0
	s_cbranch_vccnz .LBB111_152
; %bb.151:
	global_load_u8 v1, v[4:5], off
	s_mov_b32 s0, 0
	s_wait_loadcnt 0x1
	v_mov_b32_e32 v7, s0
	s_wait_loadcnt 0x0
	v_and_b32_e32 v6, 0xffff, v1
.LBB111_152:
	s_branch .LBB111_26
.LBB111_153:
	s_mov_b32 s27, 0
	s_mov_b32 s28, 0
	;; [unrolled: 1-line block ×3, first 2 shown]
                                        ; implicit-def: $vgpr0
	s_branch .LBB111_235
.LBB111_154:
	s_mov_b32 s31, -1
	s_mov_b32 s30, 0
.LBB111_155:
	s_and_b32 vcc_lo, exec_lo, s31
	s_cbranch_vccz .LBB111_158
; %bb.156:
	s_cmp_eq_u32 s29, 44
	s_mov_b32 s27, -1
	s_cbranch_scc0 .LBB111_158
; %bb.157:
	s_wait_xcnt 0x0
	v_mov_b32_e32 v1, 0
	s_mov_b32 s30, -1
	s_mov_b32 s27, 0
	s_mov_b32 s31, 0
	global_store_b8 v[2:3], v1, off
	s_branch .LBB111_159
.LBB111_158:
	s_mov_b32 s31, 0
.LBB111_159:
	s_delay_alu instid0(SALU_CYCLE_1)
	s_and_b32 vcc_lo, exec_lo, s31
	s_cbranch_vccz .LBB111_162
; %bb.160:
	s_cmp_eq_u32 s29, 29
	s_mov_b32 s27, -1
	s_cbranch_scc0 .LBB111_162
; %bb.161:
	v_mov_b64_e32 v[4:5], 0
	s_mov_b32 s30, -1
	s_mov_b32 s27, 0
	s_mov_b32 s31, 0
	global_store_b64 v[2:3], v[4:5], off
	s_branch .LBB111_163
.LBB111_162:
	s_mov_b32 s31, 0
.LBB111_163:
	s_delay_alu instid0(SALU_CYCLE_1)
	s_and_b32 vcc_lo, exec_lo, s31
	s_cbranch_vccz .LBB111_173
; %bb.164:
	s_cmp_lt_i32 s29, 27
	s_mov_b32 s30, -1
	s_cbranch_scc1 .LBB111_170
; %bb.165:
	s_cmp_gt_i32 s29, 27
	s_cbranch_scc0 .LBB111_167
; %bb.166:
	s_wait_xcnt 0x0
	v_mov_b32_e32 v1, 0
	s_mov_b32 s30, 0
	global_store_b32 v[2:3], v1, off
.LBB111_167:
	s_and_not1_b32 vcc_lo, exec_lo, s30
	s_cbranch_vccnz .LBB111_169
; %bb.168:
	s_wait_xcnt 0x0
	v_mov_b32_e32 v1, 0
	global_store_b16 v[2:3], v1, off
.LBB111_169:
	s_mov_b32 s30, 0
.LBB111_170:
	s_delay_alu instid0(SALU_CYCLE_1)
	s_and_not1_b32 vcc_lo, exec_lo, s30
	s_cbranch_vccnz .LBB111_172
; %bb.171:
	s_wait_xcnt 0x0
	v_mov_b32_e32 v1, 0
	global_store_b8 v[2:3], v1, off
.LBB111_172:
	s_mov_b32 s30, -1
.LBB111_173:
	s_mov_b32 s31, 0
.LBB111_174:
	s_delay_alu instid0(SALU_CYCLE_1)
	s_and_b32 vcc_lo, exec_lo, s31
	s_cbranch_vccz .LBB111_193
; %bb.175:
	s_cmp_gt_i32 s29, 22
	s_mov_b32 s31, -1
	s_cbranch_scc0 .LBB111_185
; %bb.176:
	s_cmp_lt_i32 s29, 24
	s_mov_b32 s30, -1
	s_cbranch_scc1 .LBB111_182
; %bb.177:
	s_cmp_gt_i32 s29, 24
	s_cbranch_scc0 .LBB111_179
; %bb.178:
	s_wait_xcnt 0x0
	v_mov_b32_e32 v1, 0
	s_mov_b32 s30, 0
	global_store_b8 v[2:3], v1, off
.LBB111_179:
	s_and_not1_b32 vcc_lo, exec_lo, s30
	s_cbranch_vccnz .LBB111_181
; %bb.180:
	s_wait_xcnt 0x0
	v_mov_b32_e32 v1, 0
	global_store_b8 v[2:3], v1, off
.LBB111_181:
	s_mov_b32 s30, 0
.LBB111_182:
	s_delay_alu instid0(SALU_CYCLE_1)
	s_and_not1_b32 vcc_lo, exec_lo, s30
	s_cbranch_vccnz .LBB111_184
; %bb.183:
	s_wait_xcnt 0x0
	v_mov_b32_e32 v1, 0
	global_store_b8 v[2:3], v1, off
.LBB111_184:
	s_mov_b32 s31, 0
	s_mov_b32 s30, -1
.LBB111_185:
	s_and_not1_b32 vcc_lo, exec_lo, s31
	s_cbranch_vccnz .LBB111_193
; %bb.186:
	s_cmp_gt_i32 s29, 14
	s_mov_b32 s31, -1
	s_cbranch_scc0 .LBB111_190
; %bb.187:
	s_cmp_eq_u32 s29, 15
	s_mov_b32 s27, -1
	s_cbranch_scc0 .LBB111_189
; %bb.188:
	s_wait_xcnt 0x0
	v_mov_b32_e32 v1, 0
	s_mov_b32 s30, -1
	s_mov_b32 s27, 0
	global_store_b16 v[2:3], v1, off
.LBB111_189:
	s_mov_b32 s31, 0
.LBB111_190:
	s_delay_alu instid0(SALU_CYCLE_1)
	s_and_b32 vcc_lo, exec_lo, s31
	s_cbranch_vccz .LBB111_193
; %bb.191:
	s_cmp_eq_u32 s29, 11
	s_mov_b32 s27, -1
	s_cbranch_scc0 .LBB111_193
; %bb.192:
	s_wait_xcnt 0x0
	v_mov_b32_e32 v1, 0
	s_mov_b32 s30, -1
	s_mov_b32 s27, 0
	global_store_b8 v[2:3], v1, off
.LBB111_193:
	s_branch .LBB111_36
.LBB111_194:
	s_and_b32 s28, 0xffff, s28
	s_mov_b32 s29, -1
	s_cmp_lt_i32 s28, 5
	s_cbranch_scc1 .LBB111_215
; %bb.195:
	s_cmp_lt_i32 s28, 8
	s_cbranch_scc1 .LBB111_205
; %bb.196:
	;; [unrolled: 3-line block ×3, first 2 shown]
	s_cmp_gt_i32 s28, 9
	s_cbranch_scc0 .LBB111_199
; %bb.198:
	s_wait_xcnt 0x0
	v_mov_b32_e32 v4, 0
	s_mov_b32 s29, 0
	s_delay_alu instid0(VALU_DEP_1)
	v_dual_mov_b32 v5, v4 :: v_dual_mov_b32 v6, v4
	v_mov_b32_e32 v7, v4
	global_store_b128 v[2:3], v[4:7], off
.LBB111_199:
	s_and_not1_b32 vcc_lo, exec_lo, s29
	s_cbranch_vccnz .LBB111_201
; %bb.200:
	s_wait_xcnt 0x0
	v_mov_b64_e32 v[4:5], 0
	global_store_b64 v[2:3], v[4:5], off
.LBB111_201:
	s_mov_b32 s29, 0
.LBB111_202:
	s_delay_alu instid0(SALU_CYCLE_1)
	s_and_not1_b32 vcc_lo, exec_lo, s29
	s_cbranch_vccnz .LBB111_204
; %bb.203:
	s_wait_xcnt 0x0
	v_mov_b32_e32 v1, 0
	global_store_b32 v[2:3], v1, off
.LBB111_204:
	s_mov_b32 s29, 0
.LBB111_205:
	s_delay_alu instid0(SALU_CYCLE_1)
	s_and_not1_b32 vcc_lo, exec_lo, s29
	s_cbranch_vccnz .LBB111_214
; %bb.206:
	s_cmp_lt_i32 s28, 6
	s_mov_b32 s29, -1
	s_cbranch_scc1 .LBB111_212
; %bb.207:
	s_cmp_gt_i32 s28, 6
	s_cbranch_scc0 .LBB111_209
; %bb.208:
	s_wait_xcnt 0x0
	v_mov_b64_e32 v[4:5], 0
	s_mov_b32 s29, 0
	global_store_b64 v[2:3], v[4:5], off
.LBB111_209:
	s_and_not1_b32 vcc_lo, exec_lo, s29
	s_cbranch_vccnz .LBB111_211
; %bb.210:
	s_wait_xcnt 0x0
	v_mov_b32_e32 v1, 0
	global_store_b32 v[2:3], v1, off
.LBB111_211:
	s_mov_b32 s29, 0
.LBB111_212:
	s_delay_alu instid0(SALU_CYCLE_1)
	s_and_not1_b32 vcc_lo, exec_lo, s29
	s_cbranch_vccnz .LBB111_214
; %bb.213:
	s_wait_xcnt 0x0
	v_mov_b32_e32 v1, 0
	global_store_b16 v[2:3], v1, off
.LBB111_214:
	s_mov_b32 s29, 0
.LBB111_215:
	s_delay_alu instid0(SALU_CYCLE_1)
	s_and_not1_b32 vcc_lo, exec_lo, s29
	s_cbranch_vccnz .LBB111_231
; %bb.216:
	s_cmp_lt_i32 s28, 2
	s_mov_b32 s29, -1
	s_cbranch_scc1 .LBB111_226
; %bb.217:
	s_cmp_lt_i32 s28, 3
	s_cbranch_scc1 .LBB111_223
; %bb.218:
	s_cmp_gt_i32 s28, 3
	s_cbranch_scc0 .LBB111_220
; %bb.219:
	s_wait_xcnt 0x0
	v_mov_b64_e32 v[4:5], 0
	s_mov_b32 s29, 0
	global_store_b64 v[2:3], v[4:5], off
.LBB111_220:
	s_and_not1_b32 vcc_lo, exec_lo, s29
	s_cbranch_vccnz .LBB111_222
; %bb.221:
	s_wait_xcnt 0x0
	v_mov_b32_e32 v1, 0
	global_store_b32 v[2:3], v1, off
.LBB111_222:
	s_mov_b32 s29, 0
.LBB111_223:
	s_delay_alu instid0(SALU_CYCLE_1)
	s_and_not1_b32 vcc_lo, exec_lo, s29
	s_cbranch_vccnz .LBB111_225
; %bb.224:
	s_wait_xcnt 0x0
	v_mov_b32_e32 v1, 0
	global_store_b16 v[2:3], v1, off
.LBB111_225:
	s_mov_b32 s29, 0
.LBB111_226:
	s_delay_alu instid0(SALU_CYCLE_1)
	s_and_not1_b32 vcc_lo, exec_lo, s29
	s_cbranch_vccnz .LBB111_231
; %bb.227:
	s_cmp_gt_i32 s28, 0
	s_mov_b32 s28, -1
	s_cbranch_scc0 .LBB111_229
; %bb.228:
	s_wait_xcnt 0x0
	v_mov_b32_e32 v1, 0
	s_mov_b32 s28, 0
	global_store_b8 v[2:3], v1, off
.LBB111_229:
	s_and_not1_b32 vcc_lo, exec_lo, s28
	s_cbranch_vccnz .LBB111_231
; %bb.230:
	s_wait_xcnt 0x0
	v_mov_b32_e32 v1, 0
	global_store_b8 v[2:3], v1, off
.LBB111_231:
	s_branch .LBB111_37
.LBB111_232:
	s_mov_b32 s30, 0
                                        ; implicit-def: $vgpr0
.LBB111_233:
	s_and_b32 s29, s27, exec_lo
	s_xor_b32 s28, exec_lo, -1
	s_and_b32 s27, s30, exec_lo
.LBB111_234:
	s_wait_xcnt 0x0
	s_or_b32 exec_lo, exec_lo, s0
.LBB111_235:
	s_delay_alu instid0(SALU_CYCLE_1)
	s_and_b32 s44, s29, exec_lo
	s_and_b32 s45, s28, exec_lo
	;; [unrolled: 1-line block ×3, first 2 shown]
	s_or_not1_b32 s26, s27, exec_lo
.LBB111_236:
	s_wait_xcnt 0x0
	s_or_b32 exec_lo, exec_lo, s47
	s_mov_b32 s27, 0
	s_mov_b32 s0, 0
                                        ; implicit-def: $vgpr4_vgpr5
                                        ; implicit-def: $vgpr2
                                        ; implicit-def: $vgpr6_vgpr7
	s_and_saveexec_b32 s47, s26
	s_cbranch_execz .LBB111_244
; %bb.237:
	s_mov_b32 s0, -1
	s_mov_b32 s48, s46
	s_mov_b32 s50, s45
	;; [unrolled: 1-line block ×3, first 2 shown]
	s_mov_b32 s51, exec_lo
	v_cmpx_gt_i32_e64 s41, v0
	s_cbranch_execz .LBB111_479
; %bb.238:
	s_and_not1_b32 vcc_lo, exec_lo, s36
	s_cbranch_vccnz .LBB111_247
; %bb.239:
	s_and_not1_b32 vcc_lo, exec_lo, s43
	s_cbranch_vccnz .LBB111_248
; %bb.240:
	s_add_co_i32 s0, s42, 1
	s_cmp_eq_u32 s34, 2
	s_cbranch_scc1 .LBB111_249
; %bb.241:
	v_dual_mov_b32 v2, 0 :: v_dual_mov_b32 v4, 0
	v_mov_b32_e32 v1, v0
	s_and_b32 s26, s0, 28
	s_mov_b64 s[28:29], s[2:3]
	s_mov_b64 s[30:31], s[24:25]
.LBB111_242:                            ; =>This Inner Loop Header: Depth=1
	s_clause 0x1
	s_load_b256 s[52:59], s[28:29], 0x4
	s_load_b128 s[68:71], s[28:29], 0x24
	s_load_b256 s[60:67], s[30:31], 0x0
	s_add_co_i32 s27, s27, 4
	s_wait_xcnt 0x0
	s_add_nc_u64 s[28:29], s[28:29], 48
	s_cmp_eq_u32 s26, s27
	s_add_nc_u64 s[30:31], s[30:31], 32
	s_wait_kmcnt 0x0
	v_mul_hi_u32 v3, s53, v1
	s_delay_alu instid0(VALU_DEP_1) | instskip(NEXT) | instid1(VALU_DEP_1)
	v_add_nc_u32_e32 v3, v1, v3
	v_lshrrev_b32_e32 v3, s54, v3
	s_delay_alu instid0(VALU_DEP_1) | instskip(NEXT) | instid1(VALU_DEP_1)
	v_mul_hi_u32 v5, s56, v3
	v_add_nc_u32_e32 v5, v3, v5
	s_delay_alu instid0(VALU_DEP_1) | instskip(SKIP_1) | instid1(VALU_DEP_1)
	v_lshrrev_b32_e32 v5, s57, v5
	s_wait_loadcnt 0x0
	v_mul_hi_u32 v6, s59, v5
	s_delay_alu instid0(VALU_DEP_1) | instskip(SKIP_1) | instid1(VALU_DEP_1)
	v_add_nc_u32_e32 v6, v5, v6
	v_mul_lo_u32 v7, v3, s52
	v_sub_nc_u32_e32 v1, v1, v7
	v_mul_lo_u32 v7, v5, s55
	s_delay_alu instid0(VALU_DEP_4) | instskip(NEXT) | instid1(VALU_DEP_3)
	v_lshrrev_b32_e32 v6, s68, v6
	v_mad_u32 v4, v1, s61, v4
	v_mad_u32 v1, v1, s60, v2
	s_delay_alu instid0(VALU_DEP_4) | instskip(NEXT) | instid1(VALU_DEP_4)
	v_sub_nc_u32_e32 v2, v3, v7
	v_mul_hi_u32 v8, s70, v6
	v_mul_lo_u32 v3, v6, s58
	s_delay_alu instid0(VALU_DEP_3) | instskip(SKIP_1) | instid1(VALU_DEP_3)
	v_mad_u32 v4, v2, s63, v4
	v_mad_u32 v2, v2, s62, v1
	v_dual_add_nc_u32 v7, v6, v8 :: v_dual_sub_nc_u32 v3, v5, v3
	s_delay_alu instid0(VALU_DEP_1) | instskip(NEXT) | instid1(VALU_DEP_2)
	v_lshrrev_b32_e32 v1, s71, v7
	v_mad_u32 v4, v3, s65, v4
	s_delay_alu instid0(VALU_DEP_4) | instskip(NEXT) | instid1(VALU_DEP_3)
	v_mad_u32 v2, v3, s64, v2
	v_mul_lo_u32 v5, v1, s69
	s_delay_alu instid0(VALU_DEP_1) | instskip(NEXT) | instid1(VALU_DEP_1)
	v_sub_nc_u32_e32 v3, v6, v5
	v_mad_u32 v4, v3, s67, v4
	s_delay_alu instid0(VALU_DEP_4)
	v_mad_u32 v2, v3, s66, v2
	s_cbranch_scc0 .LBB111_242
; %bb.243:
	s_delay_alu instid0(VALU_DEP_2)
	v_mov_b32_e32 v3, v4
	s_branch .LBB111_250
.LBB111_244:
	s_or_b32 exec_lo, exec_lo, s47
	s_mov_b32 s1, 0
	s_and_saveexec_b32 s6, s46
	s_cbranch_execnz .LBB111_817
.LBB111_245:
	s_or_b32 exec_lo, exec_lo, s6
	s_and_saveexec_b32 s6, s21
	s_delay_alu instid0(SALU_CYCLE_1)
	s_xor_b32 s6, exec_lo, s6
	s_cbranch_execz .LBB111_818
.LBB111_246:
	global_load_u8 v0, v[4:5], off
	s_mov_b32 s7, 0
	s_or_b32 s0, s0, exec_lo
	s_wait_loadcnt 0x1
	v_mov_b32_e32 v7, s7
	s_wait_loadcnt 0x0
	v_cmp_ne_u16_e32 vcc_lo, 0, v0
	v_cndmask_b32_e64 v6, 0, 1, vcc_lo
	s_wait_xcnt 0x0
	s_or_b32 exec_lo, exec_lo, s6
	s_and_saveexec_b32 s6, s27
	s_cbranch_execz .LBB111_864
	s_branch .LBB111_819
.LBB111_247:
                                        ; implicit-def: $vgpr4
                                        ; implicit-def: $vgpr2
	s_and_not1_b32 vcc_lo, exec_lo, s0
	s_cbranch_vccnz .LBB111_257
	s_branch .LBB111_255
.LBB111_248:
	v_dual_mov_b32 v4, 0 :: v_dual_mov_b32 v2, 0
	s_branch .LBB111_254
.LBB111_249:
	v_mov_b64_e32 v[2:3], 0
	v_mov_b32_e32 v1, v0
	s_mov_b32 s26, 0
                                        ; implicit-def: $vgpr4
.LBB111_250:
	s_and_b32 s0, s0, 3
	s_mov_b32 s27, 0
	s_cmp_eq_u32 s0, 0
	s_cbranch_scc1 .LBB111_254
; %bb.251:
	s_lshl_b32 s28, s26, 3
	s_mov_b32 s29, s27
	s_mul_u64 s[30:31], s[26:27], 12
	s_add_nc_u64 s[28:29], s[2:3], s[28:29]
	s_delay_alu instid0(SALU_CYCLE_1)
	s_add_nc_u64 s[26:27], s[28:29], 0xc4
	s_add_nc_u64 s[28:29], s[2:3], s[30:31]
.LBB111_252:                            ; =>This Inner Loop Header: Depth=1
	s_load_b96 s[48:50], s[28:29], 0x4
	s_load_b64 s[30:31], s[26:27], 0x0
	s_add_co_i32 s0, s0, -1
	s_wait_xcnt 0x0
	s_add_nc_u64 s[28:29], s[28:29], 12
	s_cmp_lg_u32 s0, 0
	s_add_nc_u64 s[26:27], s[26:27], 8
	s_wait_kmcnt 0x0
	v_mul_hi_u32 v4, s49, v1
	s_delay_alu instid0(VALU_DEP_1) | instskip(NEXT) | instid1(VALU_DEP_1)
	v_add_nc_u32_e32 v4, v1, v4
	v_lshrrev_b32_e32 v4, s50, v4
	s_delay_alu instid0(VALU_DEP_1) | instskip(NEXT) | instid1(VALU_DEP_1)
	v_mul_lo_u32 v5, v4, s48
	v_sub_nc_u32_e32 v1, v1, v5
	s_delay_alu instid0(VALU_DEP_1)
	v_mad_u32 v3, v1, s31, v3
	v_mad_u32 v2, v1, s30, v2
	v_mov_b32_e32 v1, v4
	s_cbranch_scc1 .LBB111_252
; %bb.253:
	s_delay_alu instid0(VALU_DEP_3)
	v_mov_b32_e32 v4, v3
.LBB111_254:
	s_cbranch_execnz .LBB111_257
.LBB111_255:
	v_mov_b32_e32 v1, 0
	s_and_not1_b32 vcc_lo, exec_lo, s40
	s_delay_alu instid0(VALU_DEP_1) | instskip(NEXT) | instid1(VALU_DEP_1)
	v_mul_u64_e32 v[2:3], s[20:21], v[0:1]
	v_add_nc_u32_e32 v2, v0, v3
	s_wait_loadcnt 0x0
	s_delay_alu instid0(VALU_DEP_1) | instskip(NEXT) | instid1(VALU_DEP_1)
	v_lshrrev_b32_e32 v6, s14, v2
	v_mul_lo_u32 v2, v6, s12
	s_delay_alu instid0(VALU_DEP_1) | instskip(NEXT) | instid1(VALU_DEP_1)
	v_sub_nc_u32_e32 v2, v0, v2
	v_mul_lo_u32 v4, v2, s17
	v_mul_lo_u32 v2, v2, s16
	s_cbranch_vccnz .LBB111_257
; %bb.256:
	v_mov_b32_e32 v7, v1
	s_delay_alu instid0(VALU_DEP_1) | instskip(NEXT) | instid1(VALU_DEP_1)
	v_mul_u64_e32 v[8:9], s[22:23], v[6:7]
	v_add_nc_u32_e32 v1, v6, v9
	s_delay_alu instid0(VALU_DEP_1) | instskip(NEXT) | instid1(VALU_DEP_1)
	v_lshrrev_b32_e32 v1, s1, v1
	v_mul_lo_u32 v1, v1, s15
	s_delay_alu instid0(VALU_DEP_1) | instskip(NEXT) | instid1(VALU_DEP_1)
	v_sub_nc_u32_e32 v1, v6, v1
	v_mad_u32 v2, v1, s18, v2
	v_mad_u32 v4, v1, s19, v4
.LBB111_257:
	v_mov_b32_e32 v5, 0
	s_and_b32 s0, 0xffff, s39
	s_delay_alu instid0(SALU_CYCLE_1) | instskip(NEXT) | instid1(VALU_DEP_1)
	s_cmp_lt_i32 s0, 11
	v_add_nc_u64_e32 v[4:5], s[6:7], v[4:5]
	s_cbranch_scc1 .LBB111_264
; %bb.258:
	s_cmp_gt_i32 s0, 25
	s_cbranch_scc0 .LBB111_274
; %bb.259:
	s_cmp_gt_i32 s0, 28
	s_cbranch_scc0 .LBB111_276
; %bb.260:
	s_cmp_gt_i32 s0, 43
	s_cbranch_scc0 .LBB111_278
; %bb.261:
	s_cmp_gt_i32 s0, 45
	s_cbranch_scc0 .LBB111_280
; %bb.262:
	s_cmp_eq_u32 s0, 46
	s_mov_b32 s28, 0
	s_cbranch_scc0 .LBB111_282
; %bb.263:
	global_load_b32 v1, v[4:5], off
	s_mov_b32 s27, -1
	s_mov_b32 s26, 0
	s_wait_loadcnt 0x0
	v_lshlrev_b32_e32 v1, 16, v1
	s_delay_alu instid0(VALU_DEP_1) | instskip(NEXT) | instid1(VALU_DEP_1)
	v_trunc_f32_e32 v1, v1
	v_mul_f32_e64 v3, 0x2f800000, |v1|
	v_ashrrev_i32_e32 v6, 31, v1
	s_delay_alu instid0(VALU_DEP_2) | instskip(NEXT) | instid1(VALU_DEP_1)
	v_floor_f32_e32 v3, v3
	v_fma_f32 v7, 0xcf800000, v3, |v1|
	v_cvt_u32_f32_e32 v1, v3
	s_delay_alu instid0(VALU_DEP_2) | instskip(NEXT) | instid1(VALU_DEP_2)
	v_cvt_u32_f32_e32 v3, v7
	v_dual_mov_b32 v7, v6 :: v_dual_bitop2_b32 v9, v1, v6 bitop3:0x14
	s_delay_alu instid0(VALU_DEP_2) | instskip(NEXT) | instid1(VALU_DEP_1)
	v_xor_b32_e32 v8, v3, v6
	v_sub_nc_u64_e32 v[6:7], v[8:9], v[6:7]
	s_branch .LBB111_284
.LBB111_264:
	s_mov_b32 s27, 0
	s_mov_b32 s26, s46
                                        ; implicit-def: $vgpr6_vgpr7
	s_cbranch_execnz .LBB111_345
.LBB111_265:
	s_and_not1_b32 vcc_lo, exec_lo, s27
	s_cbranch_vccnz .LBB111_393
.LBB111_266:
	s_wait_loadcnt 0x0
	s_delay_alu instid0(VALU_DEP_1)
	v_cmp_le_i64_e32 vcc_lo, s[8:9], v[6:7]
	v_cmp_gt_i64_e64 s0, s[10:11], v[6:7]
	s_mov_b32 s27, 0
	s_mov_b32 s28, -1
	s_mov_b32 s29, s44
	s_and_b32 s0, vcc_lo, s0
	s_delay_alu instid0(SALU_CYCLE_1)
	s_and_b32 s30, s13, s0
	s_wait_xcnt 0x0
	s_and_saveexec_b32 s0, s30
	s_cbranch_execz .LBB111_477
; %bb.267:
	v_mov_b32_e32 v3, 0
	s_and_b32 s28, s38, 0xff
	s_delay_alu instid0(SALU_CYCLE_1) | instskip(NEXT) | instid1(VALU_DEP_1)
	s_cmp_lt_i32 s28, 11
	v_add_nc_u64_e32 v[2:3], s[4:5], v[2:3]
	s_cbranch_scc1 .LBB111_275
; %bb.268:
	s_and_b32 s29, 0xffff, s28
	s_delay_alu instid0(SALU_CYCLE_1)
	s_cmp_gt_i32 s29, 25
	s_cbranch_scc0 .LBB111_277
; %bb.269:
	s_cmp_gt_i32 s29, 28
	s_cbranch_scc0 .LBB111_279
; %bb.270:
	;; [unrolled: 3-line block ×4, first 2 shown]
	s_mov_b32 s31, 0
	s_mov_b32 s27, -1
	s_cmp_eq_u32 s29, 46
	s_mov_b32 s30, 0
	s_cbranch_scc0 .LBB111_395
; %bb.273:
	v_mov_b32_e32 v1, 0
	s_mov_b32 s30, -1
	s_mov_b32 s27, 0
	global_store_b32 v[2:3], v1, off
	s_branch .LBB111_395
.LBB111_274:
	s_mov_b32 s28, -1
	s_mov_b32 s27, 0
	s_mov_b32 s26, s46
                                        ; implicit-def: $vgpr6_vgpr7
	s_branch .LBB111_311
.LBB111_275:
	s_mov_b32 s29, -1
	s_mov_b32 s30, 0
	s_mov_b32 s27, s44
	s_branch .LBB111_434
.LBB111_276:
	s_mov_b32 s28, -1
	s_mov_b32 s27, 0
	s_mov_b32 s26, s46
                                        ; implicit-def: $vgpr6_vgpr7
	s_branch .LBB111_294
.LBB111_277:
	s_mov_b32 s31, -1
	s_mov_b32 s30, 0
	s_mov_b32 s27, s44
	s_branch .LBB111_414
.LBB111_278:
	s_mov_b32 s28, -1
	s_mov_b32 s27, 0
	s_mov_b32 s26, s46
                                        ; implicit-def: $vgpr6_vgpr7
	s_branch .LBB111_289
.LBB111_279:
	s_mov_b32 s31, -1
	s_mov_b32 s30, 0
	s_mov_b32 s27, s44
	s_branch .LBB111_403
.LBB111_280:
	s_mov_b32 s28, -1
	s_mov_b32 s27, 0
	s_mov_b32 s26, s46
	s_branch .LBB111_283
.LBB111_281:
	s_mov_b32 s31, -1
	s_mov_b32 s30, 0
	s_mov_b32 s27, s44
	s_branch .LBB111_399
.LBB111_282:
	s_mov_b32 s26, -1
	s_mov_b32 s27, 0
.LBB111_283:
                                        ; implicit-def: $vgpr6_vgpr7
.LBB111_284:
	s_and_b32 vcc_lo, exec_lo, s28
	s_cbranch_vccz .LBB111_288
; %bb.285:
	s_cmp_eq_u32 s0, 44
	s_cbranch_scc0 .LBB111_287
; %bb.286:
	global_load_u8 v1, v[4:5], off
	s_mov_b32 s26, 0
	s_mov_b32 s27, -1
	s_wait_loadcnt 0x0
	v_lshlrev_b32_e32 v3, 23, v1
	v_cmp_ne_u32_e32 vcc_lo, 0, v1
	s_delay_alu instid0(VALU_DEP_2) | instskip(NEXT) | instid1(VALU_DEP_1)
	v_trunc_f32_e32 v3, v3
	v_mul_f32_e64 v6, 0x2f800000, |v3|
	s_delay_alu instid0(VALU_DEP_1) | instskip(SKIP_1) | instid1(VALU_DEP_2)
	v_floor_f32_e32 v7, v6
	v_ashrrev_i32_e32 v6, 31, v3
	v_fma_f32 v8, 0xcf800000, v7, |v3|
	v_cvt_u32_f32_e32 v3, v7
	s_delay_alu instid0(VALU_DEP_3) | instskip(NEXT) | instid1(VALU_DEP_3)
	v_mov_b32_e32 v7, v6
	v_cvt_u32_f32_e32 v8, v8
	s_delay_alu instid0(VALU_DEP_3) | instskip(NEXT) | instid1(VALU_DEP_2)
	v_xor_b32_e32 v9, v3, v6
	v_xor_b32_e32 v8, v8, v6
	s_delay_alu instid0(VALU_DEP_1) | instskip(NEXT) | instid1(VALU_DEP_1)
	v_sub_nc_u64_e32 v[6:7], v[8:9], v[6:7]
	v_dual_cndmask_b32 v7, 0, v7 :: v_dual_cndmask_b32 v6, 0, v6
	s_branch .LBB111_288
.LBB111_287:
	s_mov_b32 s26, -1
                                        ; implicit-def: $vgpr6_vgpr7
.LBB111_288:
	s_mov_b32 s28, 0
.LBB111_289:
	s_delay_alu instid0(SALU_CYCLE_1)
	s_and_b32 vcc_lo, exec_lo, s28
	s_cbranch_vccz .LBB111_293
; %bb.290:
	s_cmp_eq_u32 s0, 29
	s_cbranch_scc0 .LBB111_292
; %bb.291:
	s_wait_loadcnt 0x0
	global_load_b64 v[6:7], v[4:5], off
	s_mov_b32 s27, -1
	s_mov_b32 s26, 0
	s_branch .LBB111_293
.LBB111_292:
	s_mov_b32 s26, -1
                                        ; implicit-def: $vgpr6_vgpr7
.LBB111_293:
	s_mov_b32 s28, 0
.LBB111_294:
	s_delay_alu instid0(SALU_CYCLE_1)
	s_and_b32 vcc_lo, exec_lo, s28
	s_cbranch_vccz .LBB111_310
; %bb.295:
	s_cmp_lt_i32 s0, 27
	s_cbranch_scc1 .LBB111_298
; %bb.296:
	s_cmp_gt_i32 s0, 27
	s_cbranch_scc0 .LBB111_299
; %bb.297:
	s_wait_loadcnt 0x0
	global_load_b32 v6, v[4:5], off
	v_mov_b32_e32 v7, 0
	s_mov_b32 s27, 0
	s_branch .LBB111_300
.LBB111_298:
	s_mov_b32 s27, -1
                                        ; implicit-def: $vgpr6_vgpr7
	s_branch .LBB111_303
.LBB111_299:
	s_mov_b32 s27, -1
                                        ; implicit-def: $vgpr6_vgpr7
.LBB111_300:
	s_delay_alu instid0(SALU_CYCLE_1)
	s_and_not1_b32 vcc_lo, exec_lo, s27
	s_cbranch_vccnz .LBB111_302
; %bb.301:
	global_load_u16 v1, v[4:5], off
	s_mov_b32 s27, 0
	s_wait_loadcnt 0x1
	v_mov_b32_e32 v7, s27
	s_wait_loadcnt 0x0
	v_and_b32_e32 v6, 0xffff, v1
.LBB111_302:
	s_mov_b32 s27, 0
.LBB111_303:
	s_delay_alu instid0(SALU_CYCLE_1)
	s_and_not1_b32 vcc_lo, exec_lo, s27
	s_cbranch_vccnz .LBB111_309
; %bb.304:
	global_load_u8 v1, v[4:5], off
	s_mov_b32 s28, 0
	s_mov_b32 s27, exec_lo
	s_wait_loadcnt 0x0
	v_cmpx_lt_i16_e32 0x7f, v1
	s_xor_b32 s27, exec_lo, s27
	s_cbranch_execz .LBB111_321
; %bb.305:
	v_cmp_ne_u16_e32 vcc_lo, 0x80, v1
	s_and_b32 s28, vcc_lo, exec_lo
	s_and_not1_saveexec_b32 s27, s27
	s_cbranch_execnz .LBB111_322
.LBB111_306:
	s_or_b32 exec_lo, exec_lo, s27
	v_mov_b64_e32 v[6:7], 0
	s_and_saveexec_b32 s27, s28
	s_cbranch_execz .LBB111_308
.LBB111_307:
	v_and_b32_e32 v3, 0xffff, v1
	s_delay_alu instid0(VALU_DEP_1) | instskip(SKIP_1) | instid1(VALU_DEP_2)
	v_dual_lshlrev_b32 v1, 24, v1 :: v_dual_bitop2_b32 v6, 7, v3 bitop3:0x40
	v_bfe_u32 v9, v3, 3, 4
	v_and_b32_e32 v1, 0x80000000, v1
	s_delay_alu instid0(VALU_DEP_3) | instskip(NEXT) | instid1(VALU_DEP_3)
	v_clz_i32_u32_e32 v7, v6
	v_cmp_eq_u32_e32 vcc_lo, 0, v9
	s_delay_alu instid0(VALU_DEP_2) | instskip(NEXT) | instid1(VALU_DEP_1)
	v_min_u32_e32 v7, 32, v7
	v_subrev_nc_u32_e32 v8, 28, v7
	v_sub_nc_u32_e32 v7, 29, v7
	s_delay_alu instid0(VALU_DEP_2) | instskip(NEXT) | instid1(VALU_DEP_2)
	v_lshlrev_b32_e32 v3, v8, v3
	v_cndmask_b32_e32 v7, v9, v7, vcc_lo
	s_delay_alu instid0(VALU_DEP_2) | instskip(NEXT) | instid1(VALU_DEP_1)
	v_and_b32_e32 v3, 7, v3
	v_cndmask_b32_e32 v3, v6, v3, vcc_lo
	s_delay_alu instid0(VALU_DEP_3) | instskip(NEXT) | instid1(VALU_DEP_2)
	v_lshl_add_u32 v6, v7, 23, 0x3b800000
	v_lshlrev_b32_e32 v3, 20, v3
	s_delay_alu instid0(VALU_DEP_1) | instskip(NEXT) | instid1(VALU_DEP_1)
	v_or3_b32 v1, v1, v6, v3
	v_trunc_f32_e32 v1, v1
	s_delay_alu instid0(VALU_DEP_1) | instskip(SKIP_1) | instid1(VALU_DEP_2)
	v_mul_f32_e64 v3, 0x2f800000, |v1|
	v_ashrrev_i32_e32 v6, 31, v1
	v_floor_f32_e32 v3, v3
	s_delay_alu instid0(VALU_DEP_1) | instskip(SKIP_1) | instid1(VALU_DEP_2)
	v_fma_f32 v7, 0xcf800000, v3, |v1|
	v_cvt_u32_f32_e32 v1, v3
	v_cvt_u32_f32_e32 v3, v7
	s_delay_alu instid0(VALU_DEP_2) | instskip(NEXT) | instid1(VALU_DEP_2)
	v_dual_mov_b32 v7, v6 :: v_dual_bitop2_b32 v9, v1, v6 bitop3:0x14
	v_xor_b32_e32 v8, v3, v6
	s_delay_alu instid0(VALU_DEP_1)
	v_sub_nc_u64_e32 v[6:7], v[8:9], v[6:7]
.LBB111_308:
	s_or_b32 exec_lo, exec_lo, s27
.LBB111_309:
	s_mov_b32 s27, -1
.LBB111_310:
	s_mov_b32 s28, 0
.LBB111_311:
	s_delay_alu instid0(SALU_CYCLE_1)
	s_and_b32 vcc_lo, exec_lo, s28
	s_cbranch_vccz .LBB111_344
; %bb.312:
	s_cmp_gt_i32 s0, 22
	s_cbranch_scc0 .LBB111_320
; %bb.313:
	s_cmp_lt_i32 s0, 24
	s_cbranch_scc1 .LBB111_323
; %bb.314:
	s_cmp_gt_i32 s0, 24
	s_cbranch_scc0 .LBB111_324
; %bb.315:
	global_load_u8 v1, v[4:5], off
	s_mov_b32 s28, 0
	s_mov_b32 s27, exec_lo
	s_wait_loadcnt 0x0
	v_cmpx_lt_i16_e32 0x7f, v1
	s_xor_b32 s27, exec_lo, s27
	s_cbranch_execz .LBB111_336
; %bb.316:
	v_cmp_ne_u16_e32 vcc_lo, 0x80, v1
	s_and_b32 s28, vcc_lo, exec_lo
	s_and_not1_saveexec_b32 s27, s27
	s_cbranch_execnz .LBB111_337
.LBB111_317:
	s_or_b32 exec_lo, exec_lo, s27
	v_mov_b64_e32 v[6:7], 0
	s_and_saveexec_b32 s27, s28
	s_cbranch_execz .LBB111_319
.LBB111_318:
	v_and_b32_e32 v3, 0xffff, v1
	s_delay_alu instid0(VALU_DEP_1) | instskip(SKIP_1) | instid1(VALU_DEP_2)
	v_dual_lshlrev_b32 v1, 24, v1 :: v_dual_bitop2_b32 v6, 3, v3 bitop3:0x40
	v_bfe_u32 v9, v3, 2, 5
	v_and_b32_e32 v1, 0x80000000, v1
	s_delay_alu instid0(VALU_DEP_3) | instskip(NEXT) | instid1(VALU_DEP_3)
	v_clz_i32_u32_e32 v7, v6
	v_cmp_eq_u32_e32 vcc_lo, 0, v9
	s_delay_alu instid0(VALU_DEP_2) | instskip(NEXT) | instid1(VALU_DEP_1)
	v_min_u32_e32 v7, 32, v7
	v_subrev_nc_u32_e32 v8, 29, v7
	v_sub_nc_u32_e32 v7, 30, v7
	s_delay_alu instid0(VALU_DEP_2) | instskip(NEXT) | instid1(VALU_DEP_2)
	v_lshlrev_b32_e32 v3, v8, v3
	v_cndmask_b32_e32 v7, v9, v7, vcc_lo
	s_delay_alu instid0(VALU_DEP_2) | instskip(NEXT) | instid1(VALU_DEP_1)
	v_and_b32_e32 v3, 3, v3
	v_cndmask_b32_e32 v3, v6, v3, vcc_lo
	s_delay_alu instid0(VALU_DEP_3) | instskip(NEXT) | instid1(VALU_DEP_2)
	v_lshl_add_u32 v6, v7, 23, 0x37800000
	v_lshlrev_b32_e32 v3, 21, v3
	s_delay_alu instid0(VALU_DEP_1) | instskip(NEXT) | instid1(VALU_DEP_1)
	v_or3_b32 v1, v1, v6, v3
	v_trunc_f32_e32 v1, v1
	s_delay_alu instid0(VALU_DEP_1) | instskip(SKIP_1) | instid1(VALU_DEP_2)
	v_mul_f32_e64 v3, 0x2f800000, |v1|
	v_ashrrev_i32_e32 v6, 31, v1
	v_floor_f32_e32 v3, v3
	s_delay_alu instid0(VALU_DEP_1) | instskip(SKIP_1) | instid1(VALU_DEP_2)
	v_fma_f32 v7, 0xcf800000, v3, |v1|
	v_cvt_u32_f32_e32 v1, v3
	v_cvt_u32_f32_e32 v3, v7
	s_delay_alu instid0(VALU_DEP_2) | instskip(NEXT) | instid1(VALU_DEP_2)
	v_dual_mov_b32 v7, v6 :: v_dual_bitop2_b32 v9, v1, v6 bitop3:0x14
	v_xor_b32_e32 v8, v3, v6
	s_delay_alu instid0(VALU_DEP_1)
	v_sub_nc_u64_e32 v[6:7], v[8:9], v[6:7]
.LBB111_319:
	s_or_b32 exec_lo, exec_lo, s27
	s_mov_b32 s27, 0
	s_branch .LBB111_325
.LBB111_320:
	s_mov_b32 s28, -1
                                        ; implicit-def: $vgpr6_vgpr7
	s_branch .LBB111_331
.LBB111_321:
	s_and_not1_saveexec_b32 s27, s27
	s_cbranch_execz .LBB111_306
.LBB111_322:
	v_cmp_ne_u16_e32 vcc_lo, 0, v1
	s_and_not1_b32 s28, s28, exec_lo
	s_and_b32 s29, vcc_lo, exec_lo
	s_delay_alu instid0(SALU_CYCLE_1)
	s_or_b32 s28, s28, s29
	s_or_b32 exec_lo, exec_lo, s27
	v_mov_b64_e32 v[6:7], 0
	s_and_saveexec_b32 s27, s28
	s_cbranch_execnz .LBB111_307
	s_branch .LBB111_308
.LBB111_323:
	s_mov_b32 s27, -1
                                        ; implicit-def: $vgpr6_vgpr7
	s_branch .LBB111_328
.LBB111_324:
	s_mov_b32 s27, -1
                                        ; implicit-def: $vgpr6_vgpr7
.LBB111_325:
	s_delay_alu instid0(SALU_CYCLE_1)
	s_and_b32 vcc_lo, exec_lo, s27
	s_cbranch_vccz .LBB111_327
; %bb.326:
	global_load_u8 v1, v[4:5], off
	s_wait_loadcnt 0x0
	v_lshlrev_b32_e32 v1, 24, v1
	s_delay_alu instid0(VALU_DEP_1) | instskip(NEXT) | instid1(VALU_DEP_1)
	v_and_b32_e32 v3, 0x7f000000, v1
	v_clz_i32_u32_e32 v6, v3
	v_cmp_ne_u32_e32 vcc_lo, 0, v3
	v_add_nc_u32_e32 v8, 0x1000000, v3
	s_delay_alu instid0(VALU_DEP_3) | instskip(NEXT) | instid1(VALU_DEP_1)
	v_min_u32_e32 v6, 32, v6
	v_sub_nc_u32_e64 v6, v6, 4 clamp
	s_delay_alu instid0(VALU_DEP_1) | instskip(NEXT) | instid1(VALU_DEP_1)
	v_dual_lshlrev_b32 v7, v6, v3 :: v_dual_lshlrev_b32 v6, 23, v6
	v_lshrrev_b32_e32 v7, 4, v7
	s_delay_alu instid0(VALU_DEP_1) | instskip(NEXT) | instid1(VALU_DEP_1)
	v_dual_sub_nc_u32 v6, v7, v6 :: v_dual_ashrrev_i32 v7, 8, v8
	v_add_nc_u32_e32 v6, 0x3c000000, v6
	s_delay_alu instid0(VALU_DEP_1) | instskip(NEXT) | instid1(VALU_DEP_1)
	v_and_or_b32 v6, 0x7f800000, v7, v6
	v_cndmask_b32_e32 v3, 0, v6, vcc_lo
	s_delay_alu instid0(VALU_DEP_1) | instskip(NEXT) | instid1(VALU_DEP_1)
	v_and_or_b32 v1, 0x80000000, v1, v3
	v_trunc_f32_e32 v1, v1
	s_delay_alu instid0(VALU_DEP_1) | instskip(SKIP_1) | instid1(VALU_DEP_2)
	v_mul_f32_e64 v3, 0x2f800000, |v1|
	v_ashrrev_i32_e32 v6, 31, v1
	v_floor_f32_e32 v3, v3
	s_delay_alu instid0(VALU_DEP_1) | instskip(SKIP_1) | instid1(VALU_DEP_2)
	v_fma_f32 v7, 0xcf800000, v3, |v1|
	v_cvt_u32_f32_e32 v1, v3
	v_cvt_u32_f32_e32 v3, v7
	s_delay_alu instid0(VALU_DEP_2) | instskip(NEXT) | instid1(VALU_DEP_2)
	v_dual_mov_b32 v7, v6 :: v_dual_bitop2_b32 v9, v1, v6 bitop3:0x14
	v_xor_b32_e32 v8, v3, v6
	s_delay_alu instid0(VALU_DEP_1)
	v_sub_nc_u64_e32 v[6:7], v[8:9], v[6:7]
.LBB111_327:
	s_mov_b32 s27, 0
.LBB111_328:
	s_delay_alu instid0(SALU_CYCLE_1)
	s_and_not1_b32 vcc_lo, exec_lo, s27
	s_cbranch_vccnz .LBB111_330
; %bb.329:
	global_load_u8 v1, v[4:5], off
	s_wait_loadcnt 0x0
	v_lshlrev_b32_e32 v3, 25, v1
	v_lshlrev_b16 v1, 8, v1
	s_delay_alu instid0(VALU_DEP_1) | instskip(SKIP_1) | instid1(VALU_DEP_2)
	v_and_or_b32 v7, 0x7f00, v1, 0.5
	v_bfe_i32 v1, v1, 0, 16
	v_add_f32_e32 v7, -0.5, v7
	v_lshrrev_b32_e32 v6, 4, v3
	v_cmp_gt_u32_e32 vcc_lo, 0x8000000, v3
	s_delay_alu instid0(VALU_DEP_2) | instskip(NEXT) | instid1(VALU_DEP_1)
	v_or_b32_e32 v6, 0x70000000, v6
	v_mul_f32_e32 v6, 0x7800000, v6
	s_delay_alu instid0(VALU_DEP_1) | instskip(NEXT) | instid1(VALU_DEP_1)
	v_cndmask_b32_e32 v3, v6, v7, vcc_lo
	v_and_or_b32 v1, 0x80000000, v1, v3
	s_delay_alu instid0(VALU_DEP_1) | instskip(NEXT) | instid1(VALU_DEP_1)
	v_trunc_f32_e32 v1, v1
	v_mul_f32_e64 v3, 0x2f800000, |v1|
	v_ashrrev_i32_e32 v6, 31, v1
	s_delay_alu instid0(VALU_DEP_2) | instskip(NEXT) | instid1(VALU_DEP_1)
	v_floor_f32_e32 v3, v3
	v_fma_f32 v7, 0xcf800000, v3, |v1|
	v_cvt_u32_f32_e32 v1, v3
	s_delay_alu instid0(VALU_DEP_2) | instskip(NEXT) | instid1(VALU_DEP_2)
	v_cvt_u32_f32_e32 v3, v7
	v_dual_mov_b32 v7, v6 :: v_dual_bitop2_b32 v9, v1, v6 bitop3:0x14
	s_delay_alu instid0(VALU_DEP_2) | instskip(NEXT) | instid1(VALU_DEP_1)
	v_xor_b32_e32 v8, v3, v6
	v_sub_nc_u64_e32 v[6:7], v[8:9], v[6:7]
.LBB111_330:
	s_mov_b32 s28, 0
	s_mov_b32 s27, -1
.LBB111_331:
	s_and_not1_b32 vcc_lo, exec_lo, s28
	s_cbranch_vccnz .LBB111_344
; %bb.332:
	s_cmp_gt_i32 s0, 14
	s_cbranch_scc0 .LBB111_335
; %bb.333:
	s_cmp_eq_u32 s0, 15
	s_cbranch_scc0 .LBB111_338
; %bb.334:
	global_load_u16 v1, v[4:5], off
	s_mov_b32 s27, -1
	s_mov_b32 s26, 0
	s_wait_loadcnt 0x0
	v_lshlrev_b32_e32 v1, 16, v1
	s_delay_alu instid0(VALU_DEP_1) | instskip(NEXT) | instid1(VALU_DEP_1)
	v_trunc_f32_e32 v1, v1
	v_mul_f32_e64 v3, 0x2f800000, |v1|
	v_ashrrev_i32_e32 v6, 31, v1
	s_delay_alu instid0(VALU_DEP_2) | instskip(NEXT) | instid1(VALU_DEP_1)
	v_floor_f32_e32 v3, v3
	v_fma_f32 v7, 0xcf800000, v3, |v1|
	v_cvt_u32_f32_e32 v1, v3
	s_delay_alu instid0(VALU_DEP_2) | instskip(NEXT) | instid1(VALU_DEP_2)
	v_cvt_u32_f32_e32 v3, v7
	v_dual_mov_b32 v7, v6 :: v_dual_bitop2_b32 v9, v1, v6 bitop3:0x14
	s_delay_alu instid0(VALU_DEP_2) | instskip(NEXT) | instid1(VALU_DEP_1)
	v_xor_b32_e32 v8, v3, v6
	v_sub_nc_u64_e32 v[6:7], v[8:9], v[6:7]
	s_branch .LBB111_339
.LBB111_335:
	s_mov_b32 s28, -1
                                        ; implicit-def: $vgpr6_vgpr7
	s_branch .LBB111_340
.LBB111_336:
	s_and_not1_saveexec_b32 s27, s27
	s_cbranch_execz .LBB111_317
.LBB111_337:
	v_cmp_ne_u16_e32 vcc_lo, 0, v1
	s_and_not1_b32 s28, s28, exec_lo
	s_and_b32 s29, vcc_lo, exec_lo
	s_delay_alu instid0(SALU_CYCLE_1)
	s_or_b32 s28, s28, s29
	s_or_b32 exec_lo, exec_lo, s27
	v_mov_b64_e32 v[6:7], 0
	s_and_saveexec_b32 s27, s28
	s_cbranch_execnz .LBB111_318
	s_branch .LBB111_319
.LBB111_338:
	s_mov_b32 s26, -1
                                        ; implicit-def: $vgpr6_vgpr7
.LBB111_339:
	s_mov_b32 s28, 0
.LBB111_340:
	s_delay_alu instid0(SALU_CYCLE_1)
	s_and_b32 vcc_lo, exec_lo, s28
	s_cbranch_vccz .LBB111_344
; %bb.341:
	s_cmp_eq_u32 s0, 11
	s_cbranch_scc0 .LBB111_343
; %bb.342:
	global_load_u8 v1, v[4:5], off
	s_mov_b32 s26, 0
	s_mov_b32 s27, -1
	s_wait_loadcnt 0x1
	v_mov_b32_e32 v7, s26
	s_wait_loadcnt 0x0
	v_cmp_ne_u16_e32 vcc_lo, 0, v1
	v_cndmask_b32_e64 v6, 0, 1, vcc_lo
	s_branch .LBB111_344
.LBB111_343:
	s_mov_b32 s26, -1
                                        ; implicit-def: $vgpr6_vgpr7
.LBB111_344:
	s_branch .LBB111_265
.LBB111_345:
	s_cmp_lt_i32 s0, 5
	s_cbranch_scc1 .LBB111_350
; %bb.346:
	s_cmp_lt_i32 s0, 8
	s_cbranch_scc1 .LBB111_351
; %bb.347:
	s_cmp_lt_i32 s0, 9
	s_cbranch_scc1 .LBB111_352
; %bb.348:
	s_cmp_gt_i32 s0, 9
	s_cbranch_scc0 .LBB111_353
; %bb.349:
	s_wait_loadcnt 0x0
	global_load_b64 v[6:7], v[4:5], off
	s_mov_b32 s27, 0
	s_wait_loadcnt 0x0
	v_trunc_f64_e32 v[6:7], v[6:7]
	s_delay_alu instid0(VALU_DEP_1) | instskip(NEXT) | instid1(VALU_DEP_1)
	v_ldexp_f64 v[8:9], v[6:7], 0xffffffe0
	v_floor_f64_e32 v[8:9], v[8:9]
	s_delay_alu instid0(VALU_DEP_1) | instskip(SKIP_1) | instid1(VALU_DEP_2)
	v_fmamk_f64 v[10:11], v[8:9], 0xc1f00000, v[6:7]
	v_cvt_i32_f64_e32 v7, v[8:9]
	v_cvt_u32_f64_e32 v6, v[10:11]
	s_branch .LBB111_354
.LBB111_350:
	s_mov_b32 s27, -1
                                        ; implicit-def: $vgpr6_vgpr7
	s_branch .LBB111_372
.LBB111_351:
	s_mov_b32 s27, -1
                                        ; implicit-def: $vgpr6_vgpr7
	s_branch .LBB111_360
.LBB111_352:
	s_mov_b32 s27, -1
                                        ; implicit-def: $vgpr6_vgpr7
	s_branch .LBB111_357
.LBB111_353:
	s_mov_b32 s27, -1
                                        ; implicit-def: $vgpr6_vgpr7
.LBB111_354:
	s_delay_alu instid0(SALU_CYCLE_1)
	s_and_not1_b32 vcc_lo, exec_lo, s27
	s_cbranch_vccnz .LBB111_356
; %bb.355:
	global_load_b32 v1, v[4:5], off
	s_wait_loadcnt 0x0
	v_trunc_f32_e32 v1, v1
	s_delay_alu instid0(VALU_DEP_1) | instskip(SKIP_1) | instid1(VALU_DEP_2)
	v_mul_f32_e64 v3, 0x2f800000, |v1|
	v_ashrrev_i32_e32 v6, 31, v1
	v_floor_f32_e32 v3, v3
	s_delay_alu instid0(VALU_DEP_1) | instskip(SKIP_1) | instid1(VALU_DEP_2)
	v_fma_f32 v7, 0xcf800000, v3, |v1|
	v_cvt_u32_f32_e32 v1, v3
	v_cvt_u32_f32_e32 v3, v7
	s_delay_alu instid0(VALU_DEP_2) | instskip(NEXT) | instid1(VALU_DEP_2)
	v_dual_mov_b32 v7, v6 :: v_dual_bitop2_b32 v9, v1, v6 bitop3:0x14
	v_xor_b32_e32 v8, v3, v6
	s_delay_alu instid0(VALU_DEP_1)
	v_sub_nc_u64_e32 v[6:7], v[8:9], v[6:7]
.LBB111_356:
	s_mov_b32 s27, 0
.LBB111_357:
	s_delay_alu instid0(SALU_CYCLE_1)
	s_and_not1_b32 vcc_lo, exec_lo, s27
	s_cbranch_vccnz .LBB111_359
; %bb.358:
	global_load_b32 v1, v[4:5], off
	s_wait_loadcnt 0x0
	v_cvt_f32_f16_e32 v1, v1
	s_delay_alu instid0(VALU_DEP_1) | instskip(NEXT) | instid1(VALU_DEP_1)
	v_cvt_i32_f32_e32 v6, v1
	v_ashrrev_i32_e32 v7, 31, v6
.LBB111_359:
	s_mov_b32 s27, 0
.LBB111_360:
	s_delay_alu instid0(SALU_CYCLE_1)
	s_and_not1_b32 vcc_lo, exec_lo, s27
	s_cbranch_vccnz .LBB111_371
; %bb.361:
	s_cmp_lt_i32 s0, 6
	s_cbranch_scc1 .LBB111_364
; %bb.362:
	s_cmp_gt_i32 s0, 6
	s_cbranch_scc0 .LBB111_365
; %bb.363:
	s_wait_loadcnt 0x0
	global_load_b64 v[6:7], v[4:5], off
	s_mov_b32 s27, 0
	s_wait_loadcnt 0x0
	v_trunc_f64_e32 v[6:7], v[6:7]
	s_delay_alu instid0(VALU_DEP_1) | instskip(NEXT) | instid1(VALU_DEP_1)
	v_ldexp_f64 v[8:9], v[6:7], 0xffffffe0
	v_floor_f64_e32 v[8:9], v[8:9]
	s_delay_alu instid0(VALU_DEP_1) | instskip(SKIP_1) | instid1(VALU_DEP_2)
	v_fmamk_f64 v[10:11], v[8:9], 0xc1f00000, v[6:7]
	v_cvt_i32_f64_e32 v7, v[8:9]
	v_cvt_u32_f64_e32 v6, v[10:11]
	s_branch .LBB111_366
.LBB111_364:
	s_mov_b32 s27, -1
                                        ; implicit-def: $vgpr6_vgpr7
	s_branch .LBB111_369
.LBB111_365:
	s_mov_b32 s27, -1
                                        ; implicit-def: $vgpr6_vgpr7
.LBB111_366:
	s_delay_alu instid0(SALU_CYCLE_1)
	s_and_not1_b32 vcc_lo, exec_lo, s27
	s_cbranch_vccnz .LBB111_368
; %bb.367:
	global_load_b32 v1, v[4:5], off
	s_wait_loadcnt 0x0
	v_trunc_f32_e32 v1, v1
	s_delay_alu instid0(VALU_DEP_1) | instskip(SKIP_1) | instid1(VALU_DEP_2)
	v_mul_f32_e64 v3, 0x2f800000, |v1|
	v_ashrrev_i32_e32 v6, 31, v1
	v_floor_f32_e32 v3, v3
	s_delay_alu instid0(VALU_DEP_1) | instskip(SKIP_1) | instid1(VALU_DEP_2)
	v_fma_f32 v7, 0xcf800000, v3, |v1|
	v_cvt_u32_f32_e32 v1, v3
	v_cvt_u32_f32_e32 v3, v7
	s_delay_alu instid0(VALU_DEP_2) | instskip(NEXT) | instid1(VALU_DEP_2)
	v_dual_mov_b32 v7, v6 :: v_dual_bitop2_b32 v9, v1, v6 bitop3:0x14
	v_xor_b32_e32 v8, v3, v6
	s_delay_alu instid0(VALU_DEP_1)
	v_sub_nc_u64_e32 v[6:7], v[8:9], v[6:7]
.LBB111_368:
	s_mov_b32 s27, 0
.LBB111_369:
	s_delay_alu instid0(SALU_CYCLE_1)
	s_and_not1_b32 vcc_lo, exec_lo, s27
	s_cbranch_vccnz .LBB111_371
; %bb.370:
	global_load_u16 v1, v[4:5], off
	s_wait_loadcnt 0x0
	v_cvt_f32_f16_e32 v1, v1
	s_delay_alu instid0(VALU_DEP_1) | instskip(NEXT) | instid1(VALU_DEP_1)
	v_cvt_i32_f32_e32 v6, v1
	v_ashrrev_i32_e32 v7, 31, v6
.LBB111_371:
	s_mov_b32 s27, 0
.LBB111_372:
	s_delay_alu instid0(SALU_CYCLE_1)
	s_and_not1_b32 vcc_lo, exec_lo, s27
	s_cbranch_vccnz .LBB111_392
; %bb.373:
	s_cmp_lt_i32 s0, 2
	s_cbranch_scc1 .LBB111_377
; %bb.374:
	s_cmp_lt_i32 s0, 3
	s_cbranch_scc1 .LBB111_378
; %bb.375:
	s_cmp_gt_i32 s0, 3
	s_cbranch_scc0 .LBB111_379
; %bb.376:
	s_wait_loadcnt 0x0
	global_load_b64 v[6:7], v[4:5], off
	s_mov_b32 s27, 0
	s_branch .LBB111_380
.LBB111_377:
	s_mov_b32 s27, -1
                                        ; implicit-def: $vgpr6_vgpr7
	s_branch .LBB111_386
.LBB111_378:
	s_mov_b32 s27, -1
                                        ; implicit-def: $vgpr6_vgpr7
	s_branch .LBB111_383
.LBB111_379:
	s_mov_b32 s27, -1
                                        ; implicit-def: $vgpr6_vgpr7
.LBB111_380:
	s_delay_alu instid0(SALU_CYCLE_1)
	s_and_not1_b32 vcc_lo, exec_lo, s27
	s_cbranch_vccnz .LBB111_382
; %bb.381:
	s_wait_loadcnt 0x0
	global_load_b32 v6, v[4:5], off
	s_wait_loadcnt 0x0
	v_ashrrev_i32_e32 v7, 31, v6
.LBB111_382:
	s_mov_b32 s27, 0
.LBB111_383:
	s_delay_alu instid0(SALU_CYCLE_1)
	s_and_not1_b32 vcc_lo, exec_lo, s27
	s_cbranch_vccnz .LBB111_385
; %bb.384:
	global_load_u16 v1, v[4:5], off
	s_wait_loadcnt 0x0
	v_bfe_i32 v6, v1, 0, 16
	s_delay_alu instid0(VALU_DEP_1)
	v_ashrrev_i32_e32 v7, 31, v6
.LBB111_385:
	s_mov_b32 s27, 0
.LBB111_386:
	s_delay_alu instid0(SALU_CYCLE_1)
	s_and_not1_b32 vcc_lo, exec_lo, s27
	s_cbranch_vccnz .LBB111_392
; %bb.387:
	s_cmp_gt_i32 s0, 0
	s_mov_b32 s0, 0
	s_cbranch_scc0 .LBB111_389
; %bb.388:
	global_load_i8 v1, v[4:5], off
	s_wait_loadcnt 0x0
	v_bfe_i32 v6, v1, 0, 16
	s_delay_alu instid0(VALU_DEP_1)
	v_ashrrev_i32_e32 v7, 31, v6
	s_branch .LBB111_390
.LBB111_389:
	s_mov_b32 s0, -1
                                        ; implicit-def: $vgpr6_vgpr7
.LBB111_390:
	s_delay_alu instid0(SALU_CYCLE_1)
	s_and_not1_b32 vcc_lo, exec_lo, s0
	s_cbranch_vccnz .LBB111_392
; %bb.391:
	global_load_u8 v1, v[4:5], off
	s_mov_b32 s0, 0
	s_wait_loadcnt 0x1
	v_mov_b32_e32 v7, s0
	s_wait_loadcnt 0x0
	v_and_b32_e32 v6, 0xffff, v1
.LBB111_392:
	s_branch .LBB111_266
.LBB111_393:
	s_mov_b32 s27, 0
	s_mov_b32 s29, s44
	;; [unrolled: 1-line block ×3, first 2 shown]
                                        ; implicit-def: $vgpr0
	s_branch .LBB111_478
.LBB111_394:
	s_mov_b32 s31, -1
	s_mov_b32 s30, 0
	s_mov_b32 s27, s44
.LBB111_395:
	s_and_b32 vcc_lo, exec_lo, s31
	s_cbranch_vccz .LBB111_398
; %bb.396:
	s_cmp_eq_u32 s29, 44
	s_mov_b32 s27, -1
	s_cbranch_scc0 .LBB111_398
; %bb.397:
	s_wait_xcnt 0x0
	v_mov_b32_e32 v1, 0
	s_mov_b32 s30, -1
	s_mov_b32 s27, 0
	global_store_b8 v[2:3], v1, off
.LBB111_398:
	s_mov_b32 s31, 0
.LBB111_399:
	s_delay_alu instid0(SALU_CYCLE_1)
	s_and_b32 vcc_lo, exec_lo, s31
	s_cbranch_vccz .LBB111_402
; %bb.400:
	s_cmp_eq_u32 s29, 29
	s_mov_b32 s27, -1
	s_cbranch_scc0 .LBB111_402
; %bb.401:
	v_mov_b64_e32 v[4:5], 0
	s_mov_b32 s30, -1
	s_mov_b32 s27, 0
	s_mov_b32 s31, 0
	global_store_b64 v[2:3], v[4:5], off
	s_branch .LBB111_403
.LBB111_402:
	s_mov_b32 s31, 0
.LBB111_403:
	s_delay_alu instid0(SALU_CYCLE_1)
	s_and_b32 vcc_lo, exec_lo, s31
	s_cbranch_vccz .LBB111_413
; %bb.404:
	s_cmp_lt_i32 s29, 27
	s_mov_b32 s30, -1
	s_cbranch_scc1 .LBB111_410
; %bb.405:
	s_cmp_gt_i32 s29, 27
	s_cbranch_scc0 .LBB111_407
; %bb.406:
	s_wait_xcnt 0x0
	v_mov_b32_e32 v1, 0
	s_mov_b32 s30, 0
	global_store_b32 v[2:3], v1, off
.LBB111_407:
	s_and_not1_b32 vcc_lo, exec_lo, s30
	s_cbranch_vccnz .LBB111_409
; %bb.408:
	s_wait_xcnt 0x0
	v_mov_b32_e32 v1, 0
	global_store_b16 v[2:3], v1, off
.LBB111_409:
	s_mov_b32 s30, 0
.LBB111_410:
	s_delay_alu instid0(SALU_CYCLE_1)
	s_and_not1_b32 vcc_lo, exec_lo, s30
	s_cbranch_vccnz .LBB111_412
; %bb.411:
	s_wait_xcnt 0x0
	v_mov_b32_e32 v1, 0
	global_store_b8 v[2:3], v1, off
.LBB111_412:
	s_mov_b32 s30, -1
.LBB111_413:
	s_mov_b32 s31, 0
.LBB111_414:
	s_delay_alu instid0(SALU_CYCLE_1)
	s_and_b32 vcc_lo, exec_lo, s31
	s_cbranch_vccz .LBB111_433
; %bb.415:
	s_cmp_gt_i32 s29, 22
	s_mov_b32 s31, -1
	s_cbranch_scc0 .LBB111_425
; %bb.416:
	s_cmp_lt_i32 s29, 24
	s_mov_b32 s30, -1
	s_cbranch_scc1 .LBB111_422
; %bb.417:
	s_cmp_gt_i32 s29, 24
	s_cbranch_scc0 .LBB111_419
; %bb.418:
	s_wait_xcnt 0x0
	v_mov_b32_e32 v1, 0
	s_mov_b32 s30, 0
	global_store_b8 v[2:3], v1, off
.LBB111_419:
	s_and_not1_b32 vcc_lo, exec_lo, s30
	s_cbranch_vccnz .LBB111_421
; %bb.420:
	s_wait_xcnt 0x0
	v_mov_b32_e32 v1, 0
	global_store_b8 v[2:3], v1, off
.LBB111_421:
	s_mov_b32 s30, 0
.LBB111_422:
	s_delay_alu instid0(SALU_CYCLE_1)
	s_and_not1_b32 vcc_lo, exec_lo, s30
	s_cbranch_vccnz .LBB111_424
; %bb.423:
	s_wait_xcnt 0x0
	v_mov_b32_e32 v1, 0
	global_store_b8 v[2:3], v1, off
.LBB111_424:
	s_mov_b32 s31, 0
	s_mov_b32 s30, -1
.LBB111_425:
	s_and_not1_b32 vcc_lo, exec_lo, s31
	s_cbranch_vccnz .LBB111_433
; %bb.426:
	s_cmp_gt_i32 s29, 14
	s_mov_b32 s31, -1
	s_cbranch_scc0 .LBB111_430
; %bb.427:
	s_cmp_eq_u32 s29, 15
	s_mov_b32 s27, -1
	s_cbranch_scc0 .LBB111_429
; %bb.428:
	s_wait_xcnt 0x0
	v_mov_b32_e32 v1, 0
	s_mov_b32 s30, -1
	s_mov_b32 s27, 0
	global_store_b16 v[2:3], v1, off
.LBB111_429:
	s_mov_b32 s31, 0
.LBB111_430:
	s_delay_alu instid0(SALU_CYCLE_1)
	s_and_b32 vcc_lo, exec_lo, s31
	s_cbranch_vccz .LBB111_433
; %bb.431:
	s_cmp_eq_u32 s29, 11
	s_mov_b32 s27, -1
	s_cbranch_scc0 .LBB111_433
; %bb.432:
	s_wait_xcnt 0x0
	v_mov_b32_e32 v1, 0
	s_mov_b32 s30, -1
	s_mov_b32 s27, 0
	global_store_b8 v[2:3], v1, off
.LBB111_433:
	s_mov_b32 s29, 0
.LBB111_434:
	s_delay_alu instid0(SALU_CYCLE_1)
	s_and_b32 vcc_lo, exec_lo, s29
	s_cbranch_vccz .LBB111_473
; %bb.435:
	s_and_b32 s28, 0xffff, s28
	s_mov_b32 s29, -1
	s_cmp_lt_i32 s28, 5
	s_cbranch_scc1 .LBB111_456
; %bb.436:
	s_cmp_lt_i32 s28, 8
	s_cbranch_scc1 .LBB111_446
; %bb.437:
	;; [unrolled: 3-line block ×3, first 2 shown]
	s_cmp_gt_i32 s28, 9
	s_cbranch_scc0 .LBB111_440
; %bb.439:
	s_wait_xcnt 0x0
	v_mov_b32_e32 v4, 0
	s_mov_b32 s29, 0
	s_delay_alu instid0(VALU_DEP_1)
	v_dual_mov_b32 v5, v4 :: v_dual_mov_b32 v6, v4
	v_mov_b32_e32 v7, v4
	global_store_b128 v[2:3], v[4:7], off
.LBB111_440:
	s_and_not1_b32 vcc_lo, exec_lo, s29
	s_cbranch_vccnz .LBB111_442
; %bb.441:
	s_wait_xcnt 0x0
	v_mov_b64_e32 v[4:5], 0
	global_store_b64 v[2:3], v[4:5], off
.LBB111_442:
	s_mov_b32 s29, 0
.LBB111_443:
	s_delay_alu instid0(SALU_CYCLE_1)
	s_and_not1_b32 vcc_lo, exec_lo, s29
	s_cbranch_vccnz .LBB111_445
; %bb.444:
	s_wait_xcnt 0x0
	v_mov_b32_e32 v1, 0
	global_store_b32 v[2:3], v1, off
.LBB111_445:
	s_mov_b32 s29, 0
.LBB111_446:
	s_delay_alu instid0(SALU_CYCLE_1)
	s_and_not1_b32 vcc_lo, exec_lo, s29
	s_cbranch_vccnz .LBB111_455
; %bb.447:
	s_cmp_lt_i32 s28, 6
	s_mov_b32 s29, -1
	s_cbranch_scc1 .LBB111_453
; %bb.448:
	s_cmp_gt_i32 s28, 6
	s_cbranch_scc0 .LBB111_450
; %bb.449:
	s_wait_xcnt 0x0
	v_mov_b64_e32 v[4:5], 0
	s_mov_b32 s29, 0
	global_store_b64 v[2:3], v[4:5], off
.LBB111_450:
	s_and_not1_b32 vcc_lo, exec_lo, s29
	s_cbranch_vccnz .LBB111_452
; %bb.451:
	s_wait_xcnt 0x0
	v_mov_b32_e32 v1, 0
	global_store_b32 v[2:3], v1, off
.LBB111_452:
	s_mov_b32 s29, 0
.LBB111_453:
	s_delay_alu instid0(SALU_CYCLE_1)
	s_and_not1_b32 vcc_lo, exec_lo, s29
	s_cbranch_vccnz .LBB111_455
; %bb.454:
	s_wait_xcnt 0x0
	v_mov_b32_e32 v1, 0
	global_store_b16 v[2:3], v1, off
.LBB111_455:
	s_mov_b32 s29, 0
.LBB111_456:
	s_delay_alu instid0(SALU_CYCLE_1)
	s_and_not1_b32 vcc_lo, exec_lo, s29
	s_cbranch_vccnz .LBB111_472
; %bb.457:
	s_cmp_lt_i32 s28, 2
	s_mov_b32 s29, -1
	s_cbranch_scc1 .LBB111_467
; %bb.458:
	s_cmp_lt_i32 s28, 3
	s_cbranch_scc1 .LBB111_464
; %bb.459:
	s_cmp_gt_i32 s28, 3
	s_cbranch_scc0 .LBB111_461
; %bb.460:
	s_wait_xcnt 0x0
	v_mov_b64_e32 v[4:5], 0
	s_mov_b32 s29, 0
	global_store_b64 v[2:3], v[4:5], off
.LBB111_461:
	s_and_not1_b32 vcc_lo, exec_lo, s29
	s_cbranch_vccnz .LBB111_463
; %bb.462:
	s_wait_xcnt 0x0
	v_mov_b32_e32 v1, 0
	global_store_b32 v[2:3], v1, off
.LBB111_463:
	s_mov_b32 s29, 0
.LBB111_464:
	s_delay_alu instid0(SALU_CYCLE_1)
	s_and_not1_b32 vcc_lo, exec_lo, s29
	s_cbranch_vccnz .LBB111_466
; %bb.465:
	s_wait_xcnt 0x0
	v_mov_b32_e32 v1, 0
	global_store_b16 v[2:3], v1, off
.LBB111_466:
	s_mov_b32 s29, 0
.LBB111_467:
	s_delay_alu instid0(SALU_CYCLE_1)
	s_and_not1_b32 vcc_lo, exec_lo, s29
	s_cbranch_vccnz .LBB111_472
; %bb.468:
	s_cmp_gt_i32 s28, 0
	s_mov_b32 s28, -1
	s_cbranch_scc0 .LBB111_470
; %bb.469:
	s_wait_xcnt 0x0
	v_mov_b32_e32 v1, 0
	s_mov_b32 s28, 0
	global_store_b8 v[2:3], v1, off
.LBB111_470:
	s_and_not1_b32 vcc_lo, exec_lo, s28
	s_cbranch_vccnz .LBB111_472
; %bb.471:
	s_wait_xcnt 0x0
	v_mov_b32_e32 v1, 0
	global_store_b8 v[2:3], v1, off
.LBB111_472:
	s_mov_b32 s30, -1
.LBB111_473:
	s_delay_alu instid0(SALU_CYCLE_1)
	s_and_not1_b32 vcc_lo, exec_lo, s30
	s_cbranch_vccnz .LBB111_475
; %bb.474:
	v_add_nc_u32_e32 v0, 0x80, v0
	s_mov_b32 s30, -1
	s_branch .LBB111_476
.LBB111_475:
	s_mov_b32 s30, 0
                                        ; implicit-def: $vgpr0
.LBB111_476:
	s_and_not1_b32 s28, s44, exec_lo
	s_and_b32 s27, s27, exec_lo
	s_delay_alu instid0(SALU_CYCLE_1)
	s_or_b32 s29, s28, s27
	s_xor_b32 s28, exec_lo, -1
	s_and_b32 s27, s30, exec_lo
.LBB111_477:
	s_wait_xcnt 0x0
	s_or_b32 exec_lo, exec_lo, s0
.LBB111_478:
	s_delay_alu instid0(SALU_CYCLE_1)
	s_and_not1_b32 s0, s44, exec_lo
	s_and_b32 s29, s29, exec_lo
	s_and_b32 s28, s28, exec_lo
	s_or_b32 s49, s0, s29
	s_and_not1_b32 s0, s45, exec_lo
	s_and_not1_b32 s29, s46, exec_lo
	s_and_b32 s26, s26, exec_lo
	s_or_b32 s50, s0, s28
	s_or_b32 s48, s29, s26
	s_or_not1_b32 s0, s27, exec_lo
.LBB111_479:
	s_wait_xcnt 0x0
	s_or_b32 exec_lo, exec_lo, s51
	s_mov_b32 s26, 0
	s_mov_b32 s27, 0
	;; [unrolled: 1-line block ×3, first 2 shown]
                                        ; implicit-def: $vgpr4_vgpr5
                                        ; implicit-def: $vgpr2
                                        ; implicit-def: $vgpr6_vgpr7
	s_and_saveexec_b32 s51, s0
	s_cbranch_execz .LBB111_816
; %bb.480:
	s_mov_b32 s29, -1
	s_mov_b32 s0, s48
	s_mov_b32 s31, s50
	;; [unrolled: 1-line block ×3, first 2 shown]
	s_mov_b32 s52, exec_lo
	v_cmpx_gt_i32_e64 s41, v0
	s_cbranch_execz .LBB111_721
; %bb.481:
	s_and_not1_b32 vcc_lo, exec_lo, s36
	s_cbranch_vccnz .LBB111_487
; %bb.482:
	s_and_not1_b32 vcc_lo, exec_lo, s43
	s_cbranch_vccnz .LBB111_488
; %bb.483:
	s_add_co_i32 s0, s42, 1
	s_cmp_eq_u32 s34, 2
	s_cbranch_scc1 .LBB111_489
; %bb.484:
	v_dual_mov_b32 v2, 0 :: v_dual_mov_b32 v4, 0
	v_mov_b32_e32 v1, v0
	s_and_b32 s26, s0, 28
	s_mov_b64 s[28:29], s[2:3]
	s_mov_b64 s[30:31], s[24:25]
.LBB111_485:                            ; =>This Inner Loop Header: Depth=1
	s_clause 0x1
	s_load_b256 s[56:63], s[28:29], 0x4
	s_load_b128 s[72:75], s[28:29], 0x24
	s_load_b256 s[64:71], s[30:31], 0x0
	s_add_co_i32 s27, s27, 4
	s_wait_xcnt 0x0
	s_add_nc_u64 s[28:29], s[28:29], 48
	s_cmp_eq_u32 s26, s27
	s_add_nc_u64 s[30:31], s[30:31], 32
	s_wait_kmcnt 0x0
	v_mul_hi_u32 v3, s57, v1
	s_delay_alu instid0(VALU_DEP_1) | instskip(NEXT) | instid1(VALU_DEP_1)
	v_add_nc_u32_e32 v3, v1, v3
	v_lshrrev_b32_e32 v3, s58, v3
	s_delay_alu instid0(VALU_DEP_1) | instskip(NEXT) | instid1(VALU_DEP_1)
	v_mul_hi_u32 v5, s60, v3
	v_add_nc_u32_e32 v5, v3, v5
	s_delay_alu instid0(VALU_DEP_1) | instskip(SKIP_1) | instid1(VALU_DEP_1)
	v_lshrrev_b32_e32 v5, s61, v5
	s_wait_loadcnt 0x0
	v_mul_hi_u32 v6, s63, v5
	s_delay_alu instid0(VALU_DEP_1) | instskip(SKIP_1) | instid1(VALU_DEP_1)
	v_add_nc_u32_e32 v6, v5, v6
	v_mul_lo_u32 v7, v3, s56
	v_sub_nc_u32_e32 v1, v1, v7
	v_mul_lo_u32 v7, v5, s59
	s_delay_alu instid0(VALU_DEP_4) | instskip(NEXT) | instid1(VALU_DEP_3)
	v_lshrrev_b32_e32 v6, s72, v6
	v_mad_u32 v4, v1, s65, v4
	v_mad_u32 v1, v1, s64, v2
	s_delay_alu instid0(VALU_DEP_4) | instskip(NEXT) | instid1(VALU_DEP_4)
	v_sub_nc_u32_e32 v2, v3, v7
	v_mul_hi_u32 v8, s74, v6
	v_mul_lo_u32 v3, v6, s62
	s_delay_alu instid0(VALU_DEP_3) | instskip(SKIP_1) | instid1(VALU_DEP_3)
	v_mad_u32 v4, v2, s67, v4
	v_mad_u32 v2, v2, s66, v1
	v_dual_add_nc_u32 v7, v6, v8 :: v_dual_sub_nc_u32 v3, v5, v3
	s_delay_alu instid0(VALU_DEP_1) | instskip(NEXT) | instid1(VALU_DEP_2)
	v_lshrrev_b32_e32 v1, s75, v7
	v_mad_u32 v4, v3, s69, v4
	s_delay_alu instid0(VALU_DEP_4) | instskip(NEXT) | instid1(VALU_DEP_3)
	v_mad_u32 v2, v3, s68, v2
	v_mul_lo_u32 v5, v1, s73
	s_delay_alu instid0(VALU_DEP_1) | instskip(NEXT) | instid1(VALU_DEP_1)
	v_sub_nc_u32_e32 v3, v6, v5
	v_mad_u32 v4, v3, s71, v4
	s_delay_alu instid0(VALU_DEP_4)
	v_mad_u32 v2, v3, s70, v2
	s_cbranch_scc0 .LBB111_485
; %bb.486:
	s_delay_alu instid0(VALU_DEP_2)
	v_mov_b32_e32 v3, v4
	s_branch .LBB111_490
.LBB111_487:
	s_mov_b32 s0, -1
                                        ; implicit-def: $vgpr4
                                        ; implicit-def: $vgpr2
	s_branch .LBB111_495
.LBB111_488:
	v_dual_mov_b32 v4, 0 :: v_dual_mov_b32 v2, 0
	s_branch .LBB111_494
.LBB111_489:
	v_mov_b64_e32 v[2:3], 0
	v_mov_b32_e32 v1, v0
                                        ; implicit-def: $vgpr4
.LBB111_490:
	s_and_b32 s0, s0, 3
	s_mov_b32 s27, 0
	s_cmp_eq_u32 s0, 0
	s_cbranch_scc1 .LBB111_494
; %bb.491:
	s_lshl_b32 s28, s26, 3
	s_mov_b32 s29, s27
	s_mul_u64 s[30:31], s[26:27], 12
	s_add_nc_u64 s[28:29], s[2:3], s[28:29]
	s_delay_alu instid0(SALU_CYCLE_1)
	s_add_nc_u64 s[26:27], s[28:29], 0xc4
	s_add_nc_u64 s[28:29], s[2:3], s[30:31]
.LBB111_492:                            ; =>This Inner Loop Header: Depth=1
	s_load_b96 s[56:58], s[28:29], 0x4
	s_load_b64 s[30:31], s[26:27], 0x0
	s_add_co_i32 s0, s0, -1
	s_wait_xcnt 0x0
	s_add_nc_u64 s[28:29], s[28:29], 12
	s_cmp_lg_u32 s0, 0
	s_add_nc_u64 s[26:27], s[26:27], 8
	s_wait_kmcnt 0x0
	v_mul_hi_u32 v4, s57, v1
	s_delay_alu instid0(VALU_DEP_1) | instskip(NEXT) | instid1(VALU_DEP_1)
	v_add_nc_u32_e32 v4, v1, v4
	v_lshrrev_b32_e32 v4, s58, v4
	s_delay_alu instid0(VALU_DEP_1) | instskip(NEXT) | instid1(VALU_DEP_1)
	v_mul_lo_u32 v5, v4, s56
	v_sub_nc_u32_e32 v1, v1, v5
	s_delay_alu instid0(VALU_DEP_1)
	v_mad_u32 v3, v1, s31, v3
	v_mad_u32 v2, v1, s30, v2
	v_mov_b32_e32 v1, v4
	s_cbranch_scc1 .LBB111_492
; %bb.493:
	s_delay_alu instid0(VALU_DEP_3)
	v_mov_b32_e32 v4, v3
.LBB111_494:
	s_mov_b32 s0, 0
.LBB111_495:
	s_delay_alu instid0(SALU_CYCLE_1)
	s_and_not1_b32 vcc_lo, exec_lo, s0
	s_cbranch_vccnz .LBB111_498
; %bb.496:
	v_mov_b32_e32 v1, 0
	s_and_not1_b32 vcc_lo, exec_lo, s40
	s_delay_alu instid0(VALU_DEP_1) | instskip(NEXT) | instid1(VALU_DEP_1)
	v_mul_u64_e32 v[2:3], s[20:21], v[0:1]
	v_add_nc_u32_e32 v2, v0, v3
	s_wait_loadcnt 0x0
	s_delay_alu instid0(VALU_DEP_1) | instskip(NEXT) | instid1(VALU_DEP_1)
	v_lshrrev_b32_e32 v6, s14, v2
	v_mul_lo_u32 v2, v6, s12
	s_delay_alu instid0(VALU_DEP_1) | instskip(NEXT) | instid1(VALU_DEP_1)
	v_sub_nc_u32_e32 v2, v0, v2
	v_mul_lo_u32 v4, v2, s17
	v_mul_lo_u32 v2, v2, s16
	s_cbranch_vccnz .LBB111_498
; %bb.497:
	v_mov_b32_e32 v7, v1
	s_delay_alu instid0(VALU_DEP_1) | instskip(NEXT) | instid1(VALU_DEP_1)
	v_mul_u64_e32 v[8:9], s[22:23], v[6:7]
	v_add_nc_u32_e32 v1, v6, v9
	s_delay_alu instid0(VALU_DEP_1) | instskip(NEXT) | instid1(VALU_DEP_1)
	v_lshrrev_b32_e32 v1, s1, v1
	v_mul_lo_u32 v1, v1, s15
	s_delay_alu instid0(VALU_DEP_1) | instskip(NEXT) | instid1(VALU_DEP_1)
	v_sub_nc_u32_e32 v1, v6, v1
	v_mad_u32 v2, v1, s18, v2
	v_mad_u32 v4, v1, s19, v4
.LBB111_498:
	v_mov_b32_e32 v5, 0
	s_and_b32 s0, 0xffff, s39
	s_delay_alu instid0(SALU_CYCLE_1) | instskip(NEXT) | instid1(VALU_DEP_1)
	s_cmp_lt_i32 s0, 11
	v_add_nc_u64_e32 v[4:5], s[6:7], v[4:5]
	s_cbranch_scc1 .LBB111_505
; %bb.499:
	s_cmp_gt_i32 s0, 25
	s_cbranch_scc0 .LBB111_506
; %bb.500:
	s_cmp_gt_i32 s0, 28
	s_cbranch_scc0 .LBB111_507
	;; [unrolled: 3-line block ×4, first 2 shown]
; %bb.503:
	s_cmp_eq_u32 s0, 46
	s_mov_b32 s28, 0
	s_cbranch_scc0 .LBB111_510
; %bb.504:
	global_load_b32 v1, v[4:5], off
	s_mov_b32 s27, -1
	s_mov_b32 s26, 0
	s_wait_loadcnt 0x0
	v_lshlrev_b32_e32 v1, 16, v1
	s_delay_alu instid0(VALU_DEP_1) | instskip(NEXT) | instid1(VALU_DEP_1)
	v_trunc_f32_e32 v1, v1
	v_mul_f32_e64 v3, 0x2f800000, |v1|
	v_ashrrev_i32_e32 v6, 31, v1
	s_delay_alu instid0(VALU_DEP_2) | instskip(NEXT) | instid1(VALU_DEP_1)
	v_floor_f32_e32 v3, v3
	v_fma_f32 v7, 0xcf800000, v3, |v1|
	v_cvt_u32_f32_e32 v1, v3
	s_delay_alu instid0(VALU_DEP_2) | instskip(NEXT) | instid1(VALU_DEP_2)
	v_cvt_u32_f32_e32 v3, v7
	v_dual_mov_b32 v7, v6 :: v_dual_bitop2_b32 v9, v1, v6 bitop3:0x14
	s_delay_alu instid0(VALU_DEP_2) | instskip(NEXT) | instid1(VALU_DEP_1)
	v_xor_b32_e32 v8, v3, v6
	v_sub_nc_u64_e32 v[6:7], v[8:9], v[6:7]
	s_branch .LBB111_512
.LBB111_505:
	s_mov_b32 s28, -1
	s_mov_b32 s27, 0
	s_mov_b32 s26, s48
                                        ; implicit-def: $vgpr6_vgpr7
	s_branch .LBB111_573
.LBB111_506:
	s_mov_b32 s28, -1
	s_mov_b32 s27, 0
	s_mov_b32 s26, s48
                                        ; implicit-def: $vgpr6_vgpr7
	s_branch .LBB111_539
.LBB111_507:
	s_mov_b32 s28, -1
	s_mov_b32 s27, 0
	s_mov_b32 s26, s48
                                        ; implicit-def: $vgpr6_vgpr7
	s_branch .LBB111_522
.LBB111_508:
	s_mov_b32 s28, -1
	s_mov_b32 s27, 0
	s_mov_b32 s26, s48
                                        ; implicit-def: $vgpr6_vgpr7
	s_branch .LBB111_517
.LBB111_509:
	s_mov_b32 s28, -1
	s_mov_b32 s27, 0
	s_mov_b32 s26, s48
	s_branch .LBB111_511
.LBB111_510:
	s_mov_b32 s26, -1
	s_mov_b32 s27, 0
.LBB111_511:
                                        ; implicit-def: $vgpr6_vgpr7
.LBB111_512:
	s_and_b32 vcc_lo, exec_lo, s28
	s_cbranch_vccz .LBB111_516
; %bb.513:
	s_cmp_eq_u32 s0, 44
	s_cbranch_scc0 .LBB111_515
; %bb.514:
	global_load_u8 v1, v[4:5], off
	s_mov_b32 s26, 0
	s_mov_b32 s27, -1
	s_wait_loadcnt 0x0
	v_lshlrev_b32_e32 v3, 23, v1
	v_cmp_ne_u32_e32 vcc_lo, 0, v1
	s_delay_alu instid0(VALU_DEP_2) | instskip(NEXT) | instid1(VALU_DEP_1)
	v_trunc_f32_e32 v3, v3
	v_mul_f32_e64 v6, 0x2f800000, |v3|
	s_delay_alu instid0(VALU_DEP_1) | instskip(SKIP_1) | instid1(VALU_DEP_2)
	v_floor_f32_e32 v7, v6
	v_ashrrev_i32_e32 v6, 31, v3
	v_fma_f32 v8, 0xcf800000, v7, |v3|
	v_cvt_u32_f32_e32 v3, v7
	s_delay_alu instid0(VALU_DEP_3) | instskip(NEXT) | instid1(VALU_DEP_3)
	v_mov_b32_e32 v7, v6
	v_cvt_u32_f32_e32 v8, v8
	s_delay_alu instid0(VALU_DEP_3) | instskip(NEXT) | instid1(VALU_DEP_2)
	v_xor_b32_e32 v9, v3, v6
	v_xor_b32_e32 v8, v8, v6
	s_delay_alu instid0(VALU_DEP_1) | instskip(NEXT) | instid1(VALU_DEP_1)
	v_sub_nc_u64_e32 v[6:7], v[8:9], v[6:7]
	v_dual_cndmask_b32 v7, 0, v7 :: v_dual_cndmask_b32 v6, 0, v6
	s_branch .LBB111_516
.LBB111_515:
	s_mov_b32 s26, -1
                                        ; implicit-def: $vgpr6_vgpr7
.LBB111_516:
	s_mov_b32 s28, 0
.LBB111_517:
	s_delay_alu instid0(SALU_CYCLE_1)
	s_and_b32 vcc_lo, exec_lo, s28
	s_cbranch_vccz .LBB111_521
; %bb.518:
	s_cmp_eq_u32 s0, 29
	s_cbranch_scc0 .LBB111_520
; %bb.519:
	s_wait_loadcnt 0x0
	global_load_b64 v[6:7], v[4:5], off
	s_mov_b32 s27, -1
	s_mov_b32 s26, 0
	s_branch .LBB111_521
.LBB111_520:
	s_mov_b32 s26, -1
                                        ; implicit-def: $vgpr6_vgpr7
.LBB111_521:
	s_mov_b32 s28, 0
.LBB111_522:
	s_delay_alu instid0(SALU_CYCLE_1)
	s_and_b32 vcc_lo, exec_lo, s28
	s_cbranch_vccz .LBB111_538
; %bb.523:
	s_cmp_lt_i32 s0, 27
	s_cbranch_scc1 .LBB111_526
; %bb.524:
	s_cmp_gt_i32 s0, 27
	s_cbranch_scc0 .LBB111_527
; %bb.525:
	s_wait_loadcnt 0x0
	global_load_b32 v6, v[4:5], off
	v_mov_b32_e32 v7, 0
	s_mov_b32 s27, 0
	s_branch .LBB111_528
.LBB111_526:
	s_mov_b32 s27, -1
                                        ; implicit-def: $vgpr6_vgpr7
	s_branch .LBB111_531
.LBB111_527:
	s_mov_b32 s27, -1
                                        ; implicit-def: $vgpr6_vgpr7
.LBB111_528:
	s_delay_alu instid0(SALU_CYCLE_1)
	s_and_not1_b32 vcc_lo, exec_lo, s27
	s_cbranch_vccnz .LBB111_530
; %bb.529:
	global_load_u16 v1, v[4:5], off
	s_mov_b32 s27, 0
	s_wait_loadcnt 0x1
	v_mov_b32_e32 v7, s27
	s_wait_loadcnt 0x0
	v_and_b32_e32 v6, 0xffff, v1
.LBB111_530:
	s_mov_b32 s27, 0
.LBB111_531:
	s_delay_alu instid0(SALU_CYCLE_1)
	s_and_not1_b32 vcc_lo, exec_lo, s27
	s_cbranch_vccnz .LBB111_537
; %bb.532:
	global_load_u8 v1, v[4:5], off
	s_mov_b32 s28, 0
	s_mov_b32 s27, exec_lo
	s_wait_loadcnt 0x0
	v_cmpx_lt_i16_e32 0x7f, v1
	s_xor_b32 s27, exec_lo, s27
	s_cbranch_execz .LBB111_549
; %bb.533:
	v_cmp_ne_u16_e32 vcc_lo, 0x80, v1
	s_and_b32 s28, vcc_lo, exec_lo
	s_and_not1_saveexec_b32 s27, s27
	s_cbranch_execnz .LBB111_550
.LBB111_534:
	s_or_b32 exec_lo, exec_lo, s27
	v_mov_b64_e32 v[6:7], 0
	s_and_saveexec_b32 s27, s28
	s_cbranch_execz .LBB111_536
.LBB111_535:
	v_and_b32_e32 v3, 0xffff, v1
	s_delay_alu instid0(VALU_DEP_1) | instskip(SKIP_1) | instid1(VALU_DEP_2)
	v_dual_lshlrev_b32 v1, 24, v1 :: v_dual_bitop2_b32 v6, 7, v3 bitop3:0x40
	v_bfe_u32 v9, v3, 3, 4
	v_and_b32_e32 v1, 0x80000000, v1
	s_delay_alu instid0(VALU_DEP_3) | instskip(NEXT) | instid1(VALU_DEP_3)
	v_clz_i32_u32_e32 v7, v6
	v_cmp_eq_u32_e32 vcc_lo, 0, v9
	s_delay_alu instid0(VALU_DEP_2) | instskip(NEXT) | instid1(VALU_DEP_1)
	v_min_u32_e32 v7, 32, v7
	v_subrev_nc_u32_e32 v8, 28, v7
	v_sub_nc_u32_e32 v7, 29, v7
	s_delay_alu instid0(VALU_DEP_2) | instskip(NEXT) | instid1(VALU_DEP_2)
	v_lshlrev_b32_e32 v3, v8, v3
	v_cndmask_b32_e32 v7, v9, v7, vcc_lo
	s_delay_alu instid0(VALU_DEP_2) | instskip(NEXT) | instid1(VALU_DEP_1)
	v_and_b32_e32 v3, 7, v3
	v_cndmask_b32_e32 v3, v6, v3, vcc_lo
	s_delay_alu instid0(VALU_DEP_3) | instskip(NEXT) | instid1(VALU_DEP_2)
	v_lshl_add_u32 v6, v7, 23, 0x3b800000
	v_lshlrev_b32_e32 v3, 20, v3
	s_delay_alu instid0(VALU_DEP_1) | instskip(NEXT) | instid1(VALU_DEP_1)
	v_or3_b32 v1, v1, v6, v3
	v_trunc_f32_e32 v1, v1
	s_delay_alu instid0(VALU_DEP_1) | instskip(SKIP_1) | instid1(VALU_DEP_2)
	v_mul_f32_e64 v3, 0x2f800000, |v1|
	v_ashrrev_i32_e32 v6, 31, v1
	v_floor_f32_e32 v3, v3
	s_delay_alu instid0(VALU_DEP_1) | instskip(SKIP_1) | instid1(VALU_DEP_2)
	v_fma_f32 v7, 0xcf800000, v3, |v1|
	v_cvt_u32_f32_e32 v1, v3
	v_cvt_u32_f32_e32 v3, v7
	s_delay_alu instid0(VALU_DEP_2) | instskip(NEXT) | instid1(VALU_DEP_2)
	v_dual_mov_b32 v7, v6 :: v_dual_bitop2_b32 v9, v1, v6 bitop3:0x14
	v_xor_b32_e32 v8, v3, v6
	s_delay_alu instid0(VALU_DEP_1)
	v_sub_nc_u64_e32 v[6:7], v[8:9], v[6:7]
.LBB111_536:
	s_or_b32 exec_lo, exec_lo, s27
.LBB111_537:
	s_mov_b32 s27, -1
.LBB111_538:
	s_mov_b32 s28, 0
.LBB111_539:
	s_delay_alu instid0(SALU_CYCLE_1)
	s_and_b32 vcc_lo, exec_lo, s28
	s_cbranch_vccz .LBB111_572
; %bb.540:
	s_cmp_gt_i32 s0, 22
	s_cbranch_scc0 .LBB111_548
; %bb.541:
	s_cmp_lt_i32 s0, 24
	s_cbranch_scc1 .LBB111_551
; %bb.542:
	s_cmp_gt_i32 s0, 24
	s_cbranch_scc0 .LBB111_552
; %bb.543:
	global_load_u8 v1, v[4:5], off
	s_mov_b32 s28, 0
	s_mov_b32 s27, exec_lo
	s_wait_loadcnt 0x0
	v_cmpx_lt_i16_e32 0x7f, v1
	s_xor_b32 s27, exec_lo, s27
	s_cbranch_execz .LBB111_564
; %bb.544:
	v_cmp_ne_u16_e32 vcc_lo, 0x80, v1
	s_and_b32 s28, vcc_lo, exec_lo
	s_and_not1_saveexec_b32 s27, s27
	s_cbranch_execnz .LBB111_565
.LBB111_545:
	s_or_b32 exec_lo, exec_lo, s27
	v_mov_b64_e32 v[6:7], 0
	s_and_saveexec_b32 s27, s28
	s_cbranch_execz .LBB111_547
.LBB111_546:
	v_and_b32_e32 v3, 0xffff, v1
	s_delay_alu instid0(VALU_DEP_1) | instskip(SKIP_1) | instid1(VALU_DEP_2)
	v_dual_lshlrev_b32 v1, 24, v1 :: v_dual_bitop2_b32 v6, 3, v3 bitop3:0x40
	v_bfe_u32 v9, v3, 2, 5
	v_and_b32_e32 v1, 0x80000000, v1
	s_delay_alu instid0(VALU_DEP_3) | instskip(NEXT) | instid1(VALU_DEP_3)
	v_clz_i32_u32_e32 v7, v6
	v_cmp_eq_u32_e32 vcc_lo, 0, v9
	s_delay_alu instid0(VALU_DEP_2) | instskip(NEXT) | instid1(VALU_DEP_1)
	v_min_u32_e32 v7, 32, v7
	v_subrev_nc_u32_e32 v8, 29, v7
	v_sub_nc_u32_e32 v7, 30, v7
	s_delay_alu instid0(VALU_DEP_2) | instskip(NEXT) | instid1(VALU_DEP_2)
	v_lshlrev_b32_e32 v3, v8, v3
	v_cndmask_b32_e32 v7, v9, v7, vcc_lo
	s_delay_alu instid0(VALU_DEP_2) | instskip(NEXT) | instid1(VALU_DEP_1)
	v_and_b32_e32 v3, 3, v3
	v_cndmask_b32_e32 v3, v6, v3, vcc_lo
	s_delay_alu instid0(VALU_DEP_3) | instskip(NEXT) | instid1(VALU_DEP_2)
	v_lshl_add_u32 v6, v7, 23, 0x37800000
	v_lshlrev_b32_e32 v3, 21, v3
	s_delay_alu instid0(VALU_DEP_1) | instskip(NEXT) | instid1(VALU_DEP_1)
	v_or3_b32 v1, v1, v6, v3
	v_trunc_f32_e32 v1, v1
	s_delay_alu instid0(VALU_DEP_1) | instskip(SKIP_1) | instid1(VALU_DEP_2)
	v_mul_f32_e64 v3, 0x2f800000, |v1|
	v_ashrrev_i32_e32 v6, 31, v1
	v_floor_f32_e32 v3, v3
	s_delay_alu instid0(VALU_DEP_1) | instskip(SKIP_1) | instid1(VALU_DEP_2)
	v_fma_f32 v7, 0xcf800000, v3, |v1|
	v_cvt_u32_f32_e32 v1, v3
	v_cvt_u32_f32_e32 v3, v7
	s_delay_alu instid0(VALU_DEP_2) | instskip(NEXT) | instid1(VALU_DEP_2)
	v_dual_mov_b32 v7, v6 :: v_dual_bitop2_b32 v9, v1, v6 bitop3:0x14
	v_xor_b32_e32 v8, v3, v6
	s_delay_alu instid0(VALU_DEP_1)
	v_sub_nc_u64_e32 v[6:7], v[8:9], v[6:7]
.LBB111_547:
	s_or_b32 exec_lo, exec_lo, s27
	s_mov_b32 s27, 0
	s_branch .LBB111_553
.LBB111_548:
	s_mov_b32 s28, -1
                                        ; implicit-def: $vgpr6_vgpr7
	s_branch .LBB111_559
.LBB111_549:
	s_and_not1_saveexec_b32 s27, s27
	s_cbranch_execz .LBB111_534
.LBB111_550:
	v_cmp_ne_u16_e32 vcc_lo, 0, v1
	s_and_not1_b32 s28, s28, exec_lo
	s_and_b32 s29, vcc_lo, exec_lo
	s_delay_alu instid0(SALU_CYCLE_1)
	s_or_b32 s28, s28, s29
	s_or_b32 exec_lo, exec_lo, s27
	v_mov_b64_e32 v[6:7], 0
	s_and_saveexec_b32 s27, s28
	s_cbranch_execnz .LBB111_535
	s_branch .LBB111_536
.LBB111_551:
	s_mov_b32 s27, -1
                                        ; implicit-def: $vgpr6_vgpr7
	s_branch .LBB111_556
.LBB111_552:
	s_mov_b32 s27, -1
                                        ; implicit-def: $vgpr6_vgpr7
.LBB111_553:
	s_delay_alu instid0(SALU_CYCLE_1)
	s_and_b32 vcc_lo, exec_lo, s27
	s_cbranch_vccz .LBB111_555
; %bb.554:
	global_load_u8 v1, v[4:5], off
	s_wait_loadcnt 0x0
	v_lshlrev_b32_e32 v1, 24, v1
	s_delay_alu instid0(VALU_DEP_1) | instskip(NEXT) | instid1(VALU_DEP_1)
	v_and_b32_e32 v3, 0x7f000000, v1
	v_clz_i32_u32_e32 v6, v3
	v_cmp_ne_u32_e32 vcc_lo, 0, v3
	v_add_nc_u32_e32 v8, 0x1000000, v3
	s_delay_alu instid0(VALU_DEP_3) | instskip(NEXT) | instid1(VALU_DEP_1)
	v_min_u32_e32 v6, 32, v6
	v_sub_nc_u32_e64 v6, v6, 4 clamp
	s_delay_alu instid0(VALU_DEP_1) | instskip(NEXT) | instid1(VALU_DEP_1)
	v_dual_lshlrev_b32 v7, v6, v3 :: v_dual_lshlrev_b32 v6, 23, v6
	v_lshrrev_b32_e32 v7, 4, v7
	s_delay_alu instid0(VALU_DEP_1) | instskip(NEXT) | instid1(VALU_DEP_1)
	v_dual_sub_nc_u32 v6, v7, v6 :: v_dual_ashrrev_i32 v7, 8, v8
	v_add_nc_u32_e32 v6, 0x3c000000, v6
	s_delay_alu instid0(VALU_DEP_1) | instskip(NEXT) | instid1(VALU_DEP_1)
	v_and_or_b32 v6, 0x7f800000, v7, v6
	v_cndmask_b32_e32 v3, 0, v6, vcc_lo
	s_delay_alu instid0(VALU_DEP_1) | instskip(NEXT) | instid1(VALU_DEP_1)
	v_and_or_b32 v1, 0x80000000, v1, v3
	v_trunc_f32_e32 v1, v1
	s_delay_alu instid0(VALU_DEP_1) | instskip(SKIP_1) | instid1(VALU_DEP_2)
	v_mul_f32_e64 v3, 0x2f800000, |v1|
	v_ashrrev_i32_e32 v6, 31, v1
	v_floor_f32_e32 v3, v3
	s_delay_alu instid0(VALU_DEP_1) | instskip(SKIP_1) | instid1(VALU_DEP_2)
	v_fma_f32 v7, 0xcf800000, v3, |v1|
	v_cvt_u32_f32_e32 v1, v3
	v_cvt_u32_f32_e32 v3, v7
	s_delay_alu instid0(VALU_DEP_2) | instskip(NEXT) | instid1(VALU_DEP_2)
	v_dual_mov_b32 v7, v6 :: v_dual_bitop2_b32 v9, v1, v6 bitop3:0x14
	v_xor_b32_e32 v8, v3, v6
	s_delay_alu instid0(VALU_DEP_1)
	v_sub_nc_u64_e32 v[6:7], v[8:9], v[6:7]
.LBB111_555:
	s_mov_b32 s27, 0
.LBB111_556:
	s_delay_alu instid0(SALU_CYCLE_1)
	s_and_not1_b32 vcc_lo, exec_lo, s27
	s_cbranch_vccnz .LBB111_558
; %bb.557:
	global_load_u8 v1, v[4:5], off
	s_wait_loadcnt 0x0
	v_lshlrev_b32_e32 v3, 25, v1
	v_lshlrev_b16 v1, 8, v1
	s_delay_alu instid0(VALU_DEP_1) | instskip(SKIP_1) | instid1(VALU_DEP_2)
	v_and_or_b32 v7, 0x7f00, v1, 0.5
	v_bfe_i32 v1, v1, 0, 16
	v_add_f32_e32 v7, -0.5, v7
	v_lshrrev_b32_e32 v6, 4, v3
	v_cmp_gt_u32_e32 vcc_lo, 0x8000000, v3
	s_delay_alu instid0(VALU_DEP_2) | instskip(NEXT) | instid1(VALU_DEP_1)
	v_or_b32_e32 v6, 0x70000000, v6
	v_mul_f32_e32 v6, 0x7800000, v6
	s_delay_alu instid0(VALU_DEP_1) | instskip(NEXT) | instid1(VALU_DEP_1)
	v_cndmask_b32_e32 v3, v6, v7, vcc_lo
	v_and_or_b32 v1, 0x80000000, v1, v3
	s_delay_alu instid0(VALU_DEP_1) | instskip(NEXT) | instid1(VALU_DEP_1)
	v_trunc_f32_e32 v1, v1
	v_mul_f32_e64 v3, 0x2f800000, |v1|
	v_ashrrev_i32_e32 v6, 31, v1
	s_delay_alu instid0(VALU_DEP_2) | instskip(NEXT) | instid1(VALU_DEP_1)
	v_floor_f32_e32 v3, v3
	v_fma_f32 v7, 0xcf800000, v3, |v1|
	v_cvt_u32_f32_e32 v1, v3
	s_delay_alu instid0(VALU_DEP_2) | instskip(NEXT) | instid1(VALU_DEP_2)
	v_cvt_u32_f32_e32 v3, v7
	v_dual_mov_b32 v7, v6 :: v_dual_bitop2_b32 v9, v1, v6 bitop3:0x14
	s_delay_alu instid0(VALU_DEP_2) | instskip(NEXT) | instid1(VALU_DEP_1)
	v_xor_b32_e32 v8, v3, v6
	v_sub_nc_u64_e32 v[6:7], v[8:9], v[6:7]
.LBB111_558:
	s_mov_b32 s28, 0
	s_mov_b32 s27, -1
.LBB111_559:
	s_and_not1_b32 vcc_lo, exec_lo, s28
	s_cbranch_vccnz .LBB111_572
; %bb.560:
	s_cmp_gt_i32 s0, 14
	s_cbranch_scc0 .LBB111_563
; %bb.561:
	s_cmp_eq_u32 s0, 15
	s_cbranch_scc0 .LBB111_566
; %bb.562:
	global_load_u16 v1, v[4:5], off
	s_mov_b32 s27, -1
	s_mov_b32 s26, 0
	s_wait_loadcnt 0x0
	v_lshlrev_b32_e32 v1, 16, v1
	s_delay_alu instid0(VALU_DEP_1) | instskip(NEXT) | instid1(VALU_DEP_1)
	v_trunc_f32_e32 v1, v1
	v_mul_f32_e64 v3, 0x2f800000, |v1|
	v_ashrrev_i32_e32 v6, 31, v1
	s_delay_alu instid0(VALU_DEP_2) | instskip(NEXT) | instid1(VALU_DEP_1)
	v_floor_f32_e32 v3, v3
	v_fma_f32 v7, 0xcf800000, v3, |v1|
	v_cvt_u32_f32_e32 v1, v3
	s_delay_alu instid0(VALU_DEP_2) | instskip(NEXT) | instid1(VALU_DEP_2)
	v_cvt_u32_f32_e32 v3, v7
	v_dual_mov_b32 v7, v6 :: v_dual_bitop2_b32 v9, v1, v6 bitop3:0x14
	s_delay_alu instid0(VALU_DEP_2) | instskip(NEXT) | instid1(VALU_DEP_1)
	v_xor_b32_e32 v8, v3, v6
	v_sub_nc_u64_e32 v[6:7], v[8:9], v[6:7]
	s_branch .LBB111_567
.LBB111_563:
	s_mov_b32 s28, -1
                                        ; implicit-def: $vgpr6_vgpr7
	s_branch .LBB111_568
.LBB111_564:
	s_and_not1_saveexec_b32 s27, s27
	s_cbranch_execz .LBB111_545
.LBB111_565:
	v_cmp_ne_u16_e32 vcc_lo, 0, v1
	s_and_not1_b32 s28, s28, exec_lo
	s_and_b32 s29, vcc_lo, exec_lo
	s_delay_alu instid0(SALU_CYCLE_1)
	s_or_b32 s28, s28, s29
	s_or_b32 exec_lo, exec_lo, s27
	v_mov_b64_e32 v[6:7], 0
	s_and_saveexec_b32 s27, s28
	s_cbranch_execnz .LBB111_546
	s_branch .LBB111_547
.LBB111_566:
	s_mov_b32 s26, -1
                                        ; implicit-def: $vgpr6_vgpr7
.LBB111_567:
	s_mov_b32 s28, 0
.LBB111_568:
	s_delay_alu instid0(SALU_CYCLE_1)
	s_and_b32 vcc_lo, exec_lo, s28
	s_cbranch_vccz .LBB111_572
; %bb.569:
	s_cmp_eq_u32 s0, 11
	s_cbranch_scc0 .LBB111_571
; %bb.570:
	global_load_u8 v1, v[4:5], off
	s_mov_b32 s26, 0
	s_mov_b32 s27, -1
	s_wait_loadcnt 0x1
	v_mov_b32_e32 v7, s26
	s_wait_loadcnt 0x0
	v_cmp_ne_u16_e32 vcc_lo, 0, v1
	v_cndmask_b32_e64 v6, 0, 1, vcc_lo
	s_branch .LBB111_572
.LBB111_571:
	s_mov_b32 s26, -1
                                        ; implicit-def: $vgpr6_vgpr7
.LBB111_572:
	s_mov_b32 s28, 0
.LBB111_573:
	s_delay_alu instid0(SALU_CYCLE_1)
	s_and_b32 vcc_lo, exec_lo, s28
	s_cbranch_vccz .LBB111_622
; %bb.574:
	s_cmp_lt_i32 s0, 5
	s_cbranch_scc1 .LBB111_579
; %bb.575:
	s_cmp_lt_i32 s0, 8
	s_cbranch_scc1 .LBB111_580
	;; [unrolled: 3-line block ×3, first 2 shown]
; %bb.577:
	s_cmp_gt_i32 s0, 9
	s_cbranch_scc0 .LBB111_582
; %bb.578:
	s_wait_loadcnt 0x0
	global_load_b64 v[6:7], v[4:5], off
	s_mov_b32 s27, 0
	s_wait_loadcnt 0x0
	v_trunc_f64_e32 v[6:7], v[6:7]
	s_delay_alu instid0(VALU_DEP_1) | instskip(NEXT) | instid1(VALU_DEP_1)
	v_ldexp_f64 v[8:9], v[6:7], 0xffffffe0
	v_floor_f64_e32 v[8:9], v[8:9]
	s_delay_alu instid0(VALU_DEP_1) | instskip(SKIP_1) | instid1(VALU_DEP_2)
	v_fmamk_f64 v[10:11], v[8:9], 0xc1f00000, v[6:7]
	v_cvt_i32_f64_e32 v7, v[8:9]
	v_cvt_u32_f64_e32 v6, v[10:11]
	s_branch .LBB111_583
.LBB111_579:
	s_mov_b32 s27, -1
                                        ; implicit-def: $vgpr6_vgpr7
	s_branch .LBB111_601
.LBB111_580:
	s_mov_b32 s27, -1
                                        ; implicit-def: $vgpr6_vgpr7
	s_branch .LBB111_589
.LBB111_581:
	s_mov_b32 s27, -1
                                        ; implicit-def: $vgpr6_vgpr7
	s_branch .LBB111_586
.LBB111_582:
	s_mov_b32 s27, -1
                                        ; implicit-def: $vgpr6_vgpr7
.LBB111_583:
	s_delay_alu instid0(SALU_CYCLE_1)
	s_and_not1_b32 vcc_lo, exec_lo, s27
	s_cbranch_vccnz .LBB111_585
; %bb.584:
	global_load_b32 v1, v[4:5], off
	s_wait_loadcnt 0x0
	v_trunc_f32_e32 v1, v1
	s_delay_alu instid0(VALU_DEP_1) | instskip(SKIP_1) | instid1(VALU_DEP_2)
	v_mul_f32_e64 v3, 0x2f800000, |v1|
	v_ashrrev_i32_e32 v6, 31, v1
	v_floor_f32_e32 v3, v3
	s_delay_alu instid0(VALU_DEP_1) | instskip(SKIP_1) | instid1(VALU_DEP_2)
	v_fma_f32 v7, 0xcf800000, v3, |v1|
	v_cvt_u32_f32_e32 v1, v3
	v_cvt_u32_f32_e32 v3, v7
	s_delay_alu instid0(VALU_DEP_2) | instskip(NEXT) | instid1(VALU_DEP_2)
	v_dual_mov_b32 v7, v6 :: v_dual_bitop2_b32 v9, v1, v6 bitop3:0x14
	v_xor_b32_e32 v8, v3, v6
	s_delay_alu instid0(VALU_DEP_1)
	v_sub_nc_u64_e32 v[6:7], v[8:9], v[6:7]
.LBB111_585:
	s_mov_b32 s27, 0
.LBB111_586:
	s_delay_alu instid0(SALU_CYCLE_1)
	s_and_not1_b32 vcc_lo, exec_lo, s27
	s_cbranch_vccnz .LBB111_588
; %bb.587:
	global_load_b32 v1, v[4:5], off
	s_wait_loadcnt 0x0
	v_cvt_f32_f16_e32 v1, v1
	s_delay_alu instid0(VALU_DEP_1) | instskip(NEXT) | instid1(VALU_DEP_1)
	v_cvt_i32_f32_e32 v6, v1
	v_ashrrev_i32_e32 v7, 31, v6
.LBB111_588:
	s_mov_b32 s27, 0
.LBB111_589:
	s_delay_alu instid0(SALU_CYCLE_1)
	s_and_not1_b32 vcc_lo, exec_lo, s27
	s_cbranch_vccnz .LBB111_600
; %bb.590:
	s_cmp_lt_i32 s0, 6
	s_cbranch_scc1 .LBB111_593
; %bb.591:
	s_cmp_gt_i32 s0, 6
	s_cbranch_scc0 .LBB111_594
; %bb.592:
	s_wait_loadcnt 0x0
	global_load_b64 v[6:7], v[4:5], off
	s_mov_b32 s27, 0
	s_wait_loadcnt 0x0
	v_trunc_f64_e32 v[6:7], v[6:7]
	s_delay_alu instid0(VALU_DEP_1) | instskip(NEXT) | instid1(VALU_DEP_1)
	v_ldexp_f64 v[8:9], v[6:7], 0xffffffe0
	v_floor_f64_e32 v[8:9], v[8:9]
	s_delay_alu instid0(VALU_DEP_1) | instskip(SKIP_1) | instid1(VALU_DEP_2)
	v_fmamk_f64 v[10:11], v[8:9], 0xc1f00000, v[6:7]
	v_cvt_i32_f64_e32 v7, v[8:9]
	v_cvt_u32_f64_e32 v6, v[10:11]
	s_branch .LBB111_595
.LBB111_593:
	s_mov_b32 s27, -1
                                        ; implicit-def: $vgpr6_vgpr7
	s_branch .LBB111_598
.LBB111_594:
	s_mov_b32 s27, -1
                                        ; implicit-def: $vgpr6_vgpr7
.LBB111_595:
	s_delay_alu instid0(SALU_CYCLE_1)
	s_and_not1_b32 vcc_lo, exec_lo, s27
	s_cbranch_vccnz .LBB111_597
; %bb.596:
	global_load_b32 v1, v[4:5], off
	s_wait_loadcnt 0x0
	v_trunc_f32_e32 v1, v1
	s_delay_alu instid0(VALU_DEP_1) | instskip(SKIP_1) | instid1(VALU_DEP_2)
	v_mul_f32_e64 v3, 0x2f800000, |v1|
	v_ashrrev_i32_e32 v6, 31, v1
	v_floor_f32_e32 v3, v3
	s_delay_alu instid0(VALU_DEP_1) | instskip(SKIP_1) | instid1(VALU_DEP_2)
	v_fma_f32 v7, 0xcf800000, v3, |v1|
	v_cvt_u32_f32_e32 v1, v3
	v_cvt_u32_f32_e32 v3, v7
	s_delay_alu instid0(VALU_DEP_2) | instskip(NEXT) | instid1(VALU_DEP_2)
	v_dual_mov_b32 v7, v6 :: v_dual_bitop2_b32 v9, v1, v6 bitop3:0x14
	v_xor_b32_e32 v8, v3, v6
	s_delay_alu instid0(VALU_DEP_1)
	v_sub_nc_u64_e32 v[6:7], v[8:9], v[6:7]
.LBB111_597:
	s_mov_b32 s27, 0
.LBB111_598:
	s_delay_alu instid0(SALU_CYCLE_1)
	s_and_not1_b32 vcc_lo, exec_lo, s27
	s_cbranch_vccnz .LBB111_600
; %bb.599:
	global_load_u16 v1, v[4:5], off
	s_wait_loadcnt 0x0
	v_cvt_f32_f16_e32 v1, v1
	s_delay_alu instid0(VALU_DEP_1) | instskip(NEXT) | instid1(VALU_DEP_1)
	v_cvt_i32_f32_e32 v6, v1
	v_ashrrev_i32_e32 v7, 31, v6
.LBB111_600:
	s_mov_b32 s27, 0
.LBB111_601:
	s_delay_alu instid0(SALU_CYCLE_1)
	s_and_not1_b32 vcc_lo, exec_lo, s27
	s_cbranch_vccnz .LBB111_621
; %bb.602:
	s_cmp_lt_i32 s0, 2
	s_cbranch_scc1 .LBB111_606
; %bb.603:
	s_cmp_lt_i32 s0, 3
	s_cbranch_scc1 .LBB111_607
; %bb.604:
	s_cmp_gt_i32 s0, 3
	s_cbranch_scc0 .LBB111_608
; %bb.605:
	s_wait_loadcnt 0x0
	global_load_b64 v[6:7], v[4:5], off
	s_mov_b32 s27, 0
	s_branch .LBB111_609
.LBB111_606:
	s_mov_b32 s27, -1
                                        ; implicit-def: $vgpr6_vgpr7
	s_branch .LBB111_615
.LBB111_607:
	s_mov_b32 s27, -1
                                        ; implicit-def: $vgpr6_vgpr7
	s_branch .LBB111_612
.LBB111_608:
	s_mov_b32 s27, -1
                                        ; implicit-def: $vgpr6_vgpr7
.LBB111_609:
	s_delay_alu instid0(SALU_CYCLE_1)
	s_and_not1_b32 vcc_lo, exec_lo, s27
	s_cbranch_vccnz .LBB111_611
; %bb.610:
	s_wait_loadcnt 0x0
	global_load_b32 v6, v[4:5], off
	s_wait_loadcnt 0x0
	v_ashrrev_i32_e32 v7, 31, v6
.LBB111_611:
	s_mov_b32 s27, 0
.LBB111_612:
	s_delay_alu instid0(SALU_CYCLE_1)
	s_and_not1_b32 vcc_lo, exec_lo, s27
	s_cbranch_vccnz .LBB111_614
; %bb.613:
	global_load_u16 v1, v[4:5], off
	s_wait_loadcnt 0x0
	v_bfe_i32 v6, v1, 0, 16
	s_delay_alu instid0(VALU_DEP_1)
	v_ashrrev_i32_e32 v7, 31, v6
.LBB111_614:
	s_mov_b32 s27, 0
.LBB111_615:
	s_delay_alu instid0(SALU_CYCLE_1)
	s_and_not1_b32 vcc_lo, exec_lo, s27
	s_cbranch_vccnz .LBB111_621
; %bb.616:
	s_cmp_gt_i32 s0, 0
	s_mov_b32 s0, 0
	s_cbranch_scc0 .LBB111_618
; %bb.617:
	global_load_i8 v1, v[4:5], off
	s_wait_loadcnt 0x0
	v_bfe_i32 v6, v1, 0, 16
	s_delay_alu instid0(VALU_DEP_1)
	v_ashrrev_i32_e32 v7, 31, v6
	s_branch .LBB111_619
.LBB111_618:
	s_mov_b32 s0, -1
                                        ; implicit-def: $vgpr6_vgpr7
.LBB111_619:
	s_delay_alu instid0(SALU_CYCLE_1)
	s_and_not1_b32 vcc_lo, exec_lo, s0
	s_cbranch_vccnz .LBB111_621
; %bb.620:
	global_load_u8 v1, v[4:5], off
	s_mov_b32 s0, 0
	s_wait_loadcnt 0x1
	v_mov_b32_e32 v7, s0
	s_wait_loadcnt 0x0
	v_and_b32_e32 v6, 0xffff, v1
.LBB111_621:
	s_mov_b32 s27, -1
.LBB111_622:
	s_delay_alu instid0(SALU_CYCLE_1)
	s_and_not1_b32 vcc_lo, exec_lo, s27
	s_cbranch_vccnz .LBB111_631
; %bb.623:
	s_wait_loadcnt 0x0
	s_delay_alu instid0(VALU_DEP_1)
	v_cmp_le_i64_e32 vcc_lo, s[8:9], v[6:7]
	v_cmp_gt_i64_e64 s0, s[10:11], v[6:7]
	s_mov_b32 s27, 0
	s_mov_b32 s28, -1
	s_mov_b32 s29, s49
	s_and_b32 s0, vcc_lo, s0
	s_delay_alu instid0(SALU_CYCLE_1)
	s_and_b32 s30, s13, s0
	s_wait_xcnt 0x0
	s_and_saveexec_b32 s0, s30
	s_cbranch_execz .LBB111_719
; %bb.624:
	v_mov_b32_e32 v3, 0
	s_and_b32 s28, s38, 0xff
	s_delay_alu instid0(SALU_CYCLE_1) | instskip(NEXT) | instid1(VALU_DEP_1)
	s_cmp_lt_i32 s28, 11
	v_add_nc_u64_e32 v[2:3], s[4:5], v[2:3]
	s_cbranch_scc1 .LBB111_632
; %bb.625:
	s_and_b32 s29, 0xffff, s28
	s_delay_alu instid0(SALU_CYCLE_1)
	s_cmp_gt_i32 s29, 25
	s_cbranch_scc0 .LBB111_633
; %bb.626:
	s_cmp_gt_i32 s29, 28
	s_cbranch_scc0 .LBB111_634
; %bb.627:
	;; [unrolled: 3-line block ×4, first 2 shown]
	s_mov_b32 s31, 0
	s_mov_b32 s27, -1
	s_cmp_eq_u32 s29, 46
	s_mov_b32 s30, 0
	s_cbranch_scc0 .LBB111_637
; %bb.630:
	v_mov_b32_e32 v1, 0
	s_mov_b32 s30, -1
	s_mov_b32 s27, 0
	global_store_b32 v[2:3], v1, off
	s_branch .LBB111_637
.LBB111_631:
	s_mov_b32 s27, 0
	s_mov_b32 s29, s49
	;; [unrolled: 1-line block ×3, first 2 shown]
                                        ; implicit-def: $vgpr0
	s_branch .LBB111_720
.LBB111_632:
	s_mov_b32 s29, -1
	s_mov_b32 s30, 0
	s_mov_b32 s27, s49
	s_branch .LBB111_676
.LBB111_633:
	s_mov_b32 s31, -1
	s_mov_b32 s30, 0
	s_mov_b32 s27, s49
	s_branch .LBB111_656
.LBB111_634:
	s_mov_b32 s31, -1
	s_mov_b32 s30, 0
	s_mov_b32 s27, s49
	s_branch .LBB111_645
.LBB111_635:
	s_mov_b32 s31, -1
	s_mov_b32 s30, 0
	s_mov_b32 s27, s49
	s_branch .LBB111_641
.LBB111_636:
	s_mov_b32 s31, -1
	s_mov_b32 s30, 0
	s_mov_b32 s27, s49
.LBB111_637:
	s_and_b32 vcc_lo, exec_lo, s31
	s_cbranch_vccz .LBB111_640
; %bb.638:
	s_cmp_eq_u32 s29, 44
	s_mov_b32 s27, -1
	s_cbranch_scc0 .LBB111_640
; %bb.639:
	s_wait_xcnt 0x0
	v_mov_b32_e32 v1, 0
	s_mov_b32 s30, -1
	s_mov_b32 s27, 0
	global_store_b8 v[2:3], v1, off
.LBB111_640:
	s_mov_b32 s31, 0
.LBB111_641:
	s_delay_alu instid0(SALU_CYCLE_1)
	s_and_b32 vcc_lo, exec_lo, s31
	s_cbranch_vccz .LBB111_644
; %bb.642:
	s_cmp_eq_u32 s29, 29
	s_mov_b32 s27, -1
	s_cbranch_scc0 .LBB111_644
; %bb.643:
	v_mov_b64_e32 v[4:5], 0
	s_mov_b32 s30, -1
	s_mov_b32 s27, 0
	s_mov_b32 s31, 0
	global_store_b64 v[2:3], v[4:5], off
	s_branch .LBB111_645
.LBB111_644:
	s_mov_b32 s31, 0
.LBB111_645:
	s_delay_alu instid0(SALU_CYCLE_1)
	s_and_b32 vcc_lo, exec_lo, s31
	s_cbranch_vccz .LBB111_655
; %bb.646:
	s_cmp_lt_i32 s29, 27
	s_mov_b32 s30, -1
	s_cbranch_scc1 .LBB111_652
; %bb.647:
	s_cmp_gt_i32 s29, 27
	s_cbranch_scc0 .LBB111_649
; %bb.648:
	s_wait_xcnt 0x0
	v_mov_b32_e32 v1, 0
	s_mov_b32 s30, 0
	global_store_b32 v[2:3], v1, off
.LBB111_649:
	s_and_not1_b32 vcc_lo, exec_lo, s30
	s_cbranch_vccnz .LBB111_651
; %bb.650:
	s_wait_xcnt 0x0
	v_mov_b32_e32 v1, 0
	global_store_b16 v[2:3], v1, off
.LBB111_651:
	s_mov_b32 s30, 0
.LBB111_652:
	s_delay_alu instid0(SALU_CYCLE_1)
	s_and_not1_b32 vcc_lo, exec_lo, s30
	s_cbranch_vccnz .LBB111_654
; %bb.653:
	s_wait_xcnt 0x0
	v_mov_b32_e32 v1, 0
	global_store_b8 v[2:3], v1, off
.LBB111_654:
	s_mov_b32 s30, -1
.LBB111_655:
	s_mov_b32 s31, 0
.LBB111_656:
	s_delay_alu instid0(SALU_CYCLE_1)
	s_and_b32 vcc_lo, exec_lo, s31
	s_cbranch_vccz .LBB111_675
; %bb.657:
	s_cmp_gt_i32 s29, 22
	s_mov_b32 s31, -1
	s_cbranch_scc0 .LBB111_667
; %bb.658:
	s_cmp_lt_i32 s29, 24
	s_mov_b32 s30, -1
	s_cbranch_scc1 .LBB111_664
; %bb.659:
	s_cmp_gt_i32 s29, 24
	s_cbranch_scc0 .LBB111_661
; %bb.660:
	s_wait_xcnt 0x0
	v_mov_b32_e32 v1, 0
	s_mov_b32 s30, 0
	global_store_b8 v[2:3], v1, off
.LBB111_661:
	s_and_not1_b32 vcc_lo, exec_lo, s30
	s_cbranch_vccnz .LBB111_663
; %bb.662:
	s_wait_xcnt 0x0
	v_mov_b32_e32 v1, 0
	global_store_b8 v[2:3], v1, off
.LBB111_663:
	s_mov_b32 s30, 0
.LBB111_664:
	s_delay_alu instid0(SALU_CYCLE_1)
	s_and_not1_b32 vcc_lo, exec_lo, s30
	s_cbranch_vccnz .LBB111_666
; %bb.665:
	s_wait_xcnt 0x0
	v_mov_b32_e32 v1, 0
	global_store_b8 v[2:3], v1, off
.LBB111_666:
	s_mov_b32 s31, 0
	s_mov_b32 s30, -1
.LBB111_667:
	s_and_not1_b32 vcc_lo, exec_lo, s31
	s_cbranch_vccnz .LBB111_675
; %bb.668:
	s_cmp_gt_i32 s29, 14
	s_mov_b32 s31, -1
	s_cbranch_scc0 .LBB111_672
; %bb.669:
	s_cmp_eq_u32 s29, 15
	s_mov_b32 s27, -1
	s_cbranch_scc0 .LBB111_671
; %bb.670:
	s_wait_xcnt 0x0
	v_mov_b32_e32 v1, 0
	s_mov_b32 s30, -1
	s_mov_b32 s27, 0
	global_store_b16 v[2:3], v1, off
.LBB111_671:
	s_mov_b32 s31, 0
.LBB111_672:
	s_delay_alu instid0(SALU_CYCLE_1)
	s_and_b32 vcc_lo, exec_lo, s31
	s_cbranch_vccz .LBB111_675
; %bb.673:
	s_cmp_eq_u32 s29, 11
	s_mov_b32 s27, -1
	s_cbranch_scc0 .LBB111_675
; %bb.674:
	s_wait_xcnt 0x0
	v_mov_b32_e32 v1, 0
	s_mov_b32 s30, -1
	s_mov_b32 s27, 0
	global_store_b8 v[2:3], v1, off
.LBB111_675:
	s_mov_b32 s29, 0
.LBB111_676:
	s_delay_alu instid0(SALU_CYCLE_1)
	s_and_b32 vcc_lo, exec_lo, s29
	s_cbranch_vccz .LBB111_715
; %bb.677:
	s_and_b32 s28, 0xffff, s28
	s_mov_b32 s29, -1
	s_cmp_lt_i32 s28, 5
	s_cbranch_scc1 .LBB111_698
; %bb.678:
	s_cmp_lt_i32 s28, 8
	s_cbranch_scc1 .LBB111_688
; %bb.679:
	;; [unrolled: 3-line block ×3, first 2 shown]
	s_cmp_gt_i32 s28, 9
	s_cbranch_scc0 .LBB111_682
; %bb.681:
	s_wait_xcnt 0x0
	v_mov_b32_e32 v4, 0
	s_mov_b32 s29, 0
	s_delay_alu instid0(VALU_DEP_1)
	v_dual_mov_b32 v5, v4 :: v_dual_mov_b32 v6, v4
	v_mov_b32_e32 v7, v4
	global_store_b128 v[2:3], v[4:7], off
.LBB111_682:
	s_and_not1_b32 vcc_lo, exec_lo, s29
	s_cbranch_vccnz .LBB111_684
; %bb.683:
	s_wait_xcnt 0x0
	v_mov_b64_e32 v[4:5], 0
	global_store_b64 v[2:3], v[4:5], off
.LBB111_684:
	s_mov_b32 s29, 0
.LBB111_685:
	s_delay_alu instid0(SALU_CYCLE_1)
	s_and_not1_b32 vcc_lo, exec_lo, s29
	s_cbranch_vccnz .LBB111_687
; %bb.686:
	s_wait_xcnt 0x0
	v_mov_b32_e32 v1, 0
	global_store_b32 v[2:3], v1, off
.LBB111_687:
	s_mov_b32 s29, 0
.LBB111_688:
	s_delay_alu instid0(SALU_CYCLE_1)
	s_and_not1_b32 vcc_lo, exec_lo, s29
	s_cbranch_vccnz .LBB111_697
; %bb.689:
	s_cmp_lt_i32 s28, 6
	s_mov_b32 s29, -1
	s_cbranch_scc1 .LBB111_695
; %bb.690:
	s_cmp_gt_i32 s28, 6
	s_cbranch_scc0 .LBB111_692
; %bb.691:
	s_wait_xcnt 0x0
	v_mov_b64_e32 v[4:5], 0
	s_mov_b32 s29, 0
	global_store_b64 v[2:3], v[4:5], off
.LBB111_692:
	s_and_not1_b32 vcc_lo, exec_lo, s29
	s_cbranch_vccnz .LBB111_694
; %bb.693:
	s_wait_xcnt 0x0
	v_mov_b32_e32 v1, 0
	global_store_b32 v[2:3], v1, off
.LBB111_694:
	s_mov_b32 s29, 0
.LBB111_695:
	s_delay_alu instid0(SALU_CYCLE_1)
	s_and_not1_b32 vcc_lo, exec_lo, s29
	s_cbranch_vccnz .LBB111_697
; %bb.696:
	s_wait_xcnt 0x0
	v_mov_b32_e32 v1, 0
	global_store_b16 v[2:3], v1, off
.LBB111_697:
	s_mov_b32 s29, 0
.LBB111_698:
	s_delay_alu instid0(SALU_CYCLE_1)
	s_and_not1_b32 vcc_lo, exec_lo, s29
	s_cbranch_vccnz .LBB111_714
; %bb.699:
	s_cmp_lt_i32 s28, 2
	s_mov_b32 s29, -1
	s_cbranch_scc1 .LBB111_709
; %bb.700:
	s_cmp_lt_i32 s28, 3
	s_cbranch_scc1 .LBB111_706
; %bb.701:
	s_cmp_gt_i32 s28, 3
	s_cbranch_scc0 .LBB111_703
; %bb.702:
	s_wait_xcnt 0x0
	v_mov_b64_e32 v[4:5], 0
	s_mov_b32 s29, 0
	global_store_b64 v[2:3], v[4:5], off
.LBB111_703:
	s_and_not1_b32 vcc_lo, exec_lo, s29
	s_cbranch_vccnz .LBB111_705
; %bb.704:
	s_wait_xcnt 0x0
	v_mov_b32_e32 v1, 0
	global_store_b32 v[2:3], v1, off
.LBB111_705:
	s_mov_b32 s29, 0
.LBB111_706:
	s_delay_alu instid0(SALU_CYCLE_1)
	s_and_not1_b32 vcc_lo, exec_lo, s29
	s_cbranch_vccnz .LBB111_708
; %bb.707:
	s_wait_xcnt 0x0
	v_mov_b32_e32 v1, 0
	global_store_b16 v[2:3], v1, off
.LBB111_708:
	s_mov_b32 s29, 0
.LBB111_709:
	s_delay_alu instid0(SALU_CYCLE_1)
	s_and_not1_b32 vcc_lo, exec_lo, s29
	s_cbranch_vccnz .LBB111_714
; %bb.710:
	s_cmp_gt_i32 s28, 0
	s_mov_b32 s28, -1
	s_cbranch_scc0 .LBB111_712
; %bb.711:
	s_wait_xcnt 0x0
	v_mov_b32_e32 v1, 0
	s_mov_b32 s28, 0
	global_store_b8 v[2:3], v1, off
.LBB111_712:
	s_and_not1_b32 vcc_lo, exec_lo, s28
	s_cbranch_vccnz .LBB111_714
; %bb.713:
	s_wait_xcnt 0x0
	v_mov_b32_e32 v1, 0
	global_store_b8 v[2:3], v1, off
.LBB111_714:
	s_mov_b32 s30, -1
.LBB111_715:
	s_delay_alu instid0(SALU_CYCLE_1)
	s_and_not1_b32 vcc_lo, exec_lo, s30
	s_cbranch_vccnz .LBB111_717
; %bb.716:
	v_add_nc_u32_e32 v0, 0x80, v0
	s_mov_b32 s30, -1
	s_branch .LBB111_718
.LBB111_717:
	s_mov_b32 s30, 0
                                        ; implicit-def: $vgpr0
.LBB111_718:
	s_and_not1_b32 s28, s49, exec_lo
	s_and_b32 s27, s27, exec_lo
	s_delay_alu instid0(SALU_CYCLE_1)
	s_or_b32 s29, s28, s27
	s_xor_b32 s28, exec_lo, -1
	s_and_b32 s27, s30, exec_lo
.LBB111_719:
	s_wait_xcnt 0x0
	s_or_b32 exec_lo, exec_lo, s0
.LBB111_720:
	s_delay_alu instid0(SALU_CYCLE_1)
	s_and_not1_b32 s0, s49, exec_lo
	s_and_b32 s29, s29, exec_lo
	s_and_b32 s28, s28, exec_lo
	s_or_b32 s30, s0, s29
	s_and_not1_b32 s0, s50, exec_lo
	s_and_not1_b32 s29, s48, exec_lo
	s_and_b32 s26, s26, exec_lo
	s_or_b32 s31, s0, s28
	s_or_b32 s0, s29, s26
	s_or_not1_b32 s29, s27, exec_lo
.LBB111_721:
	s_wait_xcnt 0x0
	s_or_b32 exec_lo, exec_lo, s52
	s_mov_b32 s26, 0
	s_mov_b32 s27, 0
	s_mov_b32 s28, 0
                                        ; implicit-def: $vgpr4_vgpr5
                                        ; implicit-def: $vgpr2
                                        ; implicit-def: $vgpr6_vgpr7
	s_and_saveexec_b32 s52, s29
	s_cbranch_execz .LBB111_815
; %bb.722:
	v_cmp_gt_i32_e32 vcc_lo, s41, v0
	s_mov_b32 s29, s0
                                        ; implicit-def: $vgpr4_vgpr5
                                        ; implicit-def: $vgpr2
                                        ; implicit-def: $vgpr6_vgpr7
	s_and_saveexec_b32 s41, vcc_lo
	s_cbranch_execz .LBB111_814
; %bb.723:
	s_and_not1_b32 vcc_lo, exec_lo, s36
	s_cbranch_vccnz .LBB111_729
; %bb.724:
	s_and_not1_b32 vcc_lo, exec_lo, s43
	s_cbranch_vccnz .LBB111_730
; %bb.725:
	s_add_co_i32 s42, s42, 1
	s_cmp_eq_u32 s34, 2
	s_cbranch_scc1 .LBB111_731
; %bb.726:
	v_dual_mov_b32 v2, 0 :: v_dual_mov_b32 v4, 0
	v_mov_b32_e32 v1, v0
	s_and_b32 s26, s42, 28
	s_mov_b64 s[28:29], s[2:3]
.LBB111_727:                            ; =>This Inner Loop Header: Depth=1
	s_clause 0x1
	s_load_b256 s[56:63], s[28:29], 0x4
	s_load_b128 s[72:75], s[28:29], 0x24
	s_load_b256 s[64:71], s[24:25], 0x0
	s_add_co_i32 s27, s27, 4
	s_wait_xcnt 0x0
	s_add_nc_u64 s[28:29], s[28:29], 48
	s_cmp_eq_u32 s26, s27
	s_add_nc_u64 s[24:25], s[24:25], 32
	s_wait_kmcnt 0x0
	v_mul_hi_u32 v3, s57, v1
	s_delay_alu instid0(VALU_DEP_1) | instskip(NEXT) | instid1(VALU_DEP_1)
	v_add_nc_u32_e32 v3, v1, v3
	v_lshrrev_b32_e32 v3, s58, v3
	s_delay_alu instid0(VALU_DEP_1) | instskip(NEXT) | instid1(VALU_DEP_1)
	v_mul_hi_u32 v5, s60, v3
	v_add_nc_u32_e32 v5, v3, v5
	s_delay_alu instid0(VALU_DEP_1) | instskip(SKIP_1) | instid1(VALU_DEP_1)
	v_lshrrev_b32_e32 v5, s61, v5
	s_wait_loadcnt 0x0
	v_mul_hi_u32 v6, s63, v5
	s_delay_alu instid0(VALU_DEP_1) | instskip(SKIP_1) | instid1(VALU_DEP_1)
	v_add_nc_u32_e32 v6, v5, v6
	v_mul_lo_u32 v7, v3, s56
	v_sub_nc_u32_e32 v1, v1, v7
	v_mul_lo_u32 v7, v5, s59
	s_delay_alu instid0(VALU_DEP_4) | instskip(NEXT) | instid1(VALU_DEP_3)
	v_lshrrev_b32_e32 v6, s72, v6
	v_mad_u32 v4, v1, s65, v4
	v_mad_u32 v1, v1, s64, v2
	s_delay_alu instid0(VALU_DEP_4) | instskip(NEXT) | instid1(VALU_DEP_4)
	v_sub_nc_u32_e32 v2, v3, v7
	v_mul_hi_u32 v8, s74, v6
	v_mul_lo_u32 v3, v6, s62
	s_delay_alu instid0(VALU_DEP_3) | instskip(SKIP_1) | instid1(VALU_DEP_3)
	v_mad_u32 v4, v2, s67, v4
	v_mad_u32 v2, v2, s66, v1
	v_dual_add_nc_u32 v7, v6, v8 :: v_dual_sub_nc_u32 v3, v5, v3
	s_delay_alu instid0(VALU_DEP_1) | instskip(NEXT) | instid1(VALU_DEP_2)
	v_lshrrev_b32_e32 v1, s75, v7
	v_mad_u32 v4, v3, s69, v4
	s_delay_alu instid0(VALU_DEP_4) | instskip(NEXT) | instid1(VALU_DEP_3)
	v_mad_u32 v2, v3, s68, v2
	v_mul_lo_u32 v5, v1, s73
	s_delay_alu instid0(VALU_DEP_1) | instskip(NEXT) | instid1(VALU_DEP_1)
	v_sub_nc_u32_e32 v3, v6, v5
	v_mad_u32 v4, v3, s71, v4
	s_delay_alu instid0(VALU_DEP_4)
	v_mad_u32 v2, v3, s70, v2
	s_cbranch_scc0 .LBB111_727
; %bb.728:
	s_delay_alu instid0(VALU_DEP_2)
	v_mov_b32_e32 v3, v4
	s_branch .LBB111_732
.LBB111_729:
	s_mov_b32 s24, -1
                                        ; implicit-def: $vgpr4
                                        ; implicit-def: $vgpr2
	s_branch .LBB111_737
.LBB111_730:
	v_dual_mov_b32 v4, 0 :: v_dual_mov_b32 v2, 0
	s_branch .LBB111_736
.LBB111_731:
	v_mov_b64_e32 v[2:3], 0
	v_mov_b32_e32 v1, v0
                                        ; implicit-def: $vgpr4
.LBB111_732:
	s_and_b32 s28, s42, 3
	s_mov_b32 s27, 0
	s_cmp_eq_u32 s28, 0
	s_cbranch_scc1 .LBB111_736
; %bb.733:
	s_lshl_b32 s24, s26, 3
	s_mov_b32 s25, s27
	s_mul_u64 s[26:27], s[26:27], 12
	s_add_nc_u64 s[24:25], s[2:3], s[24:25]
	s_add_nc_u64 s[26:27], s[2:3], s[26:27]
	;; [unrolled: 1-line block ×3, first 2 shown]
.LBB111_734:                            ; =>This Inner Loop Header: Depth=1
	s_load_b96 s[56:58], s[26:27], 0x4
	s_load_b64 s[42:43], s[24:25], 0x0
	s_add_co_i32 s28, s28, -1
	s_wait_xcnt 0x0
	s_add_nc_u64 s[26:27], s[26:27], 12
	s_cmp_lg_u32 s28, 0
	s_add_nc_u64 s[24:25], s[24:25], 8
	s_wait_kmcnt 0x0
	v_mul_hi_u32 v4, s57, v1
	s_delay_alu instid0(VALU_DEP_1) | instskip(NEXT) | instid1(VALU_DEP_1)
	v_add_nc_u32_e32 v4, v1, v4
	v_lshrrev_b32_e32 v4, s58, v4
	s_delay_alu instid0(VALU_DEP_1) | instskip(NEXT) | instid1(VALU_DEP_1)
	v_mul_lo_u32 v5, v4, s56
	v_sub_nc_u32_e32 v1, v1, v5
	s_delay_alu instid0(VALU_DEP_1)
	v_mad_u32 v3, v1, s43, v3
	v_mad_u32 v2, v1, s42, v2
	v_mov_b32_e32 v1, v4
	s_cbranch_scc1 .LBB111_734
; %bb.735:
	s_delay_alu instid0(VALU_DEP_3)
	v_mov_b32_e32 v4, v3
.LBB111_736:
	s_mov_b32 s24, 0
.LBB111_737:
	s_delay_alu instid0(SALU_CYCLE_1)
	s_and_not1_b32 vcc_lo, exec_lo, s24
	s_cbranch_vccnz .LBB111_740
; %bb.738:
	v_mov_b32_e32 v1, 0
	s_and_not1_b32 vcc_lo, exec_lo, s40
	s_delay_alu instid0(VALU_DEP_1) | instskip(NEXT) | instid1(VALU_DEP_1)
	v_mul_u64_e32 v[2:3], s[20:21], v[0:1]
	v_add_nc_u32_e32 v2, v0, v3
	s_wait_loadcnt 0x0
	s_delay_alu instid0(VALU_DEP_1) | instskip(NEXT) | instid1(VALU_DEP_1)
	v_lshrrev_b32_e32 v6, s14, v2
	v_mul_lo_u32 v2, v6, s12
	s_delay_alu instid0(VALU_DEP_1) | instskip(NEXT) | instid1(VALU_DEP_1)
	v_sub_nc_u32_e32 v0, v0, v2
	v_mul_lo_u32 v4, v0, s17
	v_mul_lo_u32 v2, v0, s16
	s_cbranch_vccnz .LBB111_740
; %bb.739:
	v_mov_b32_e32 v7, v1
	s_delay_alu instid0(VALU_DEP_1) | instskip(NEXT) | instid1(VALU_DEP_1)
	v_mul_u64_e32 v[0:1], s[22:23], v[6:7]
	v_add_nc_u32_e32 v0, v6, v1
	s_delay_alu instid0(VALU_DEP_1) | instskip(NEXT) | instid1(VALU_DEP_1)
	v_lshrrev_b32_e32 v0, s1, v0
	v_mul_lo_u32 v0, v0, s15
	s_delay_alu instid0(VALU_DEP_1) | instskip(NEXT) | instid1(VALU_DEP_1)
	v_sub_nc_u32_e32 v0, v6, v0
	v_mad_u32 v2, v0, s18, v2
	v_mad_u32 v4, v0, s19, v4
.LBB111_740:
	v_mov_b32_e32 v5, 0
	s_and_b32 s1, 0xffff, s39
	s_delay_alu instid0(SALU_CYCLE_1) | instskip(NEXT) | instid1(VALU_DEP_1)
	s_cmp_lt_i32 s1, 11
	v_add_nc_u64_e32 v[4:5], s[6:7], v[4:5]
	s_cbranch_scc1 .LBB111_747
; %bb.741:
	s_cmp_gt_i32 s1, 25
	s_mov_b32 s7, 0
	s_cbranch_scc0 .LBB111_748
; %bb.742:
	s_cmp_gt_i32 s1, 28
	s_cbranch_scc0 .LBB111_749
; %bb.743:
	s_cmp_gt_i32 s1, 43
	;; [unrolled: 3-line block ×3, first 2 shown]
	s_cbranch_scc0 .LBB111_751
; %bb.745:
	s_cmp_eq_u32 s1, 46
	s_mov_b32 s14, 0
	s_cbranch_scc0 .LBB111_752
; %bb.746:
	global_load_b32 v0, v[4:5], off
	s_mov_b32 s6, 0
	s_mov_b32 s12, -1
	s_wait_loadcnt 0x0
	v_lshlrev_b32_e32 v0, 16, v0
	s_delay_alu instid0(VALU_DEP_1) | instskip(NEXT) | instid1(VALU_DEP_1)
	v_trunc_f32_e32 v0, v0
	v_mul_f32_e64 v1, 0x2f800000, |v0|
	s_delay_alu instid0(VALU_DEP_1) | instskip(NEXT) | instid1(VALU_DEP_1)
	v_floor_f32_e32 v1, v1
	v_fma_f32 v3, 0xcf800000, v1, |v0|
	v_ashrrev_i32_e32 v0, 31, v0
	v_cvt_u32_f32_e32 v6, v1
	s_delay_alu instid0(VALU_DEP_3) | instskip(NEXT) | instid1(VALU_DEP_2)
	v_cvt_u32_f32_e32 v3, v3
	v_dual_mov_b32 v1, v0 :: v_dual_bitop2_b32 v7, v6, v0 bitop3:0x14
	s_delay_alu instid0(VALU_DEP_2) | instskip(NEXT) | instid1(VALU_DEP_1)
	v_xor_b32_e32 v6, v3, v0
	v_sub_nc_u64_e32 v[6:7], v[6:7], v[0:1]
	s_branch .LBB111_754
.LBB111_747:
	s_mov_b32 s1, -1
	s_mov_b32 s12, 0
	s_mov_b32 s7, 0
	;; [unrolled: 1-line block ×3, first 2 shown]
                                        ; implicit-def: $vgpr6_vgpr7
	s_branch .LBB111_813
.LBB111_748:
	s_mov_b32 s14, -1
	s_mov_b32 s12, 0
	s_mov_b32 s6, s0
                                        ; implicit-def: $vgpr6_vgpr7
	s_branch .LBB111_781
.LBB111_749:
	s_mov_b32 s14, -1
	s_mov_b32 s12, 0
	s_mov_b32 s6, s0
                                        ; implicit-def: $vgpr6_vgpr7
	s_branch .LBB111_764
.LBB111_750:
	s_mov_b32 s14, -1
	s_mov_b32 s12, 0
	s_mov_b32 s6, s0
                                        ; implicit-def: $vgpr6_vgpr7
	s_branch .LBB111_759
.LBB111_751:
	s_mov_b32 s14, -1
	s_mov_b32 s12, 0
	s_mov_b32 s6, s0
	s_branch .LBB111_753
.LBB111_752:
	s_mov_b32 s6, -1
	s_mov_b32 s12, 0
.LBB111_753:
                                        ; implicit-def: $vgpr6_vgpr7
.LBB111_754:
	s_and_b32 vcc_lo, exec_lo, s14
	s_cbranch_vccz .LBB111_758
; %bb.755:
	s_cmp_eq_u32 s1, 44
	s_cbranch_scc0 .LBB111_757
; %bb.756:
	global_load_u8 v3, v[4:5], off
	s_mov_b32 s6, 0
	s_mov_b32 s12, -1
	s_wait_loadcnt 0x0
	v_cmp_ne_u32_e32 vcc_lo, 0, v3
	v_lshlrev_b32_e32 v0, 23, v3
	s_delay_alu instid0(VALU_DEP_1) | instskip(NEXT) | instid1(VALU_DEP_1)
	v_trunc_f32_e32 v0, v0
	v_mul_f32_e64 v1, 0x2f800000, |v0|
	s_delay_alu instid0(VALU_DEP_1) | instskip(NEXT) | instid1(VALU_DEP_1)
	v_floor_f32_e32 v1, v1
	v_fma_f32 v6, 0xcf800000, v1, |v0|
	v_ashrrev_i32_e32 v0, 31, v0
	v_cvt_u32_f32_e32 v7, v1
	s_delay_alu instid0(VALU_DEP_3) | instskip(NEXT) | instid1(VALU_DEP_2)
	v_cvt_u32_f32_e32 v6, v6
	v_dual_mov_b32 v1, v0 :: v_dual_bitop2_b32 v7, v7, v0 bitop3:0x14
	s_delay_alu instid0(VALU_DEP_2) | instskip(NEXT) | instid1(VALU_DEP_1)
	v_xor_b32_e32 v6, v6, v0
	v_sub_nc_u64_e32 v[0:1], v[6:7], v[0:1]
	s_delay_alu instid0(VALU_DEP_1)
	v_dual_cndmask_b32 v7, 0, v1 :: v_dual_cndmask_b32 v6, 0, v0
	s_branch .LBB111_758
.LBB111_757:
	s_mov_b32 s6, -1
                                        ; implicit-def: $vgpr6_vgpr7
.LBB111_758:
	s_mov_b32 s14, 0
.LBB111_759:
	s_delay_alu instid0(SALU_CYCLE_1)
	s_and_b32 vcc_lo, exec_lo, s14
	s_cbranch_vccz .LBB111_763
; %bb.760:
	s_cmp_eq_u32 s1, 29
	s_cbranch_scc0 .LBB111_762
; %bb.761:
	s_wait_loadcnt 0x0
	global_load_b64 v[6:7], v[4:5], off
	s_mov_b32 s6, 0
	s_mov_b32 s12, -1
	s_branch .LBB111_763
.LBB111_762:
	s_mov_b32 s6, -1
                                        ; implicit-def: $vgpr6_vgpr7
.LBB111_763:
	s_mov_b32 s14, 0
.LBB111_764:
	s_delay_alu instid0(SALU_CYCLE_1)
	s_and_b32 vcc_lo, exec_lo, s14
	s_cbranch_vccz .LBB111_780
; %bb.765:
	s_cmp_lt_i32 s1, 27
	s_cbranch_scc1 .LBB111_768
; %bb.766:
	s_cmp_gt_i32 s1, 27
	s_cbranch_scc0 .LBB111_769
; %bb.767:
	s_wait_loadcnt 0x0
	global_load_b32 v6, v[4:5], off
	v_mov_b32_e32 v7, 0
	s_mov_b32 s12, 0
	s_branch .LBB111_770
.LBB111_768:
	s_mov_b32 s12, -1
                                        ; implicit-def: $vgpr6_vgpr7
	s_branch .LBB111_773
.LBB111_769:
	s_mov_b32 s12, -1
                                        ; implicit-def: $vgpr6_vgpr7
.LBB111_770:
	s_delay_alu instid0(SALU_CYCLE_1)
	s_and_not1_b32 vcc_lo, exec_lo, s12
	s_cbranch_vccnz .LBB111_772
; %bb.771:
	global_load_u16 v0, v[4:5], off
	s_mov_b32 s12, 0
	s_wait_loadcnt 0x1
	v_mov_b32_e32 v7, s12
	s_wait_loadcnt 0x0
	v_and_b32_e32 v6, 0xffff, v0
.LBB111_772:
	s_mov_b32 s12, 0
.LBB111_773:
	s_delay_alu instid0(SALU_CYCLE_1)
	s_and_not1_b32 vcc_lo, exec_lo, s12
	s_cbranch_vccnz .LBB111_779
; %bb.774:
	global_load_u8 v0, v[4:5], off
	s_mov_b32 s14, 0
	s_mov_b32 s12, exec_lo
	s_wait_loadcnt 0x0
	v_cmpx_lt_i16_e32 0x7f, v0
	s_xor_b32 s12, exec_lo, s12
	s_cbranch_execz .LBB111_791
; %bb.775:
	v_cmp_ne_u16_e32 vcc_lo, 0x80, v0
	s_and_b32 s14, vcc_lo, exec_lo
	s_and_not1_saveexec_b32 s12, s12
	s_cbranch_execnz .LBB111_792
.LBB111_776:
	s_or_b32 exec_lo, exec_lo, s12
	v_mov_b64_e32 v[6:7], 0
	s_and_saveexec_b32 s12, s14
	s_cbranch_execz .LBB111_778
.LBB111_777:
	v_and_b32_e32 v1, 0xffff, v0
	s_delay_alu instid0(VALU_DEP_1) | instskip(SKIP_1) | instid1(VALU_DEP_2)
	v_and_b32_e32 v3, 7, v1
	v_bfe_u32 v8, v1, 3, 4
	v_clz_i32_u32_e32 v6, v3
	s_delay_alu instid0(VALU_DEP_2) | instskip(NEXT) | instid1(VALU_DEP_2)
	v_cmp_eq_u32_e32 vcc_lo, 0, v8
	v_min_u32_e32 v6, 32, v6
	s_delay_alu instid0(VALU_DEP_1) | instskip(NEXT) | instid1(VALU_DEP_1)
	v_subrev_nc_u32_e32 v7, 28, v6
	v_dual_lshlrev_b32 v1, v7, v1 :: v_dual_sub_nc_u32 v6, 29, v6
	s_delay_alu instid0(VALU_DEP_1) | instskip(NEXT) | instid1(VALU_DEP_1)
	v_dual_lshlrev_b32 v0, 24, v0 :: v_dual_bitop2_b32 v1, 7, v1 bitop3:0x40
	v_dual_cndmask_b32 v6, v8, v6 :: v_dual_cndmask_b32 v1, v3, v1
	s_delay_alu instid0(VALU_DEP_2) | instskip(NEXT) | instid1(VALU_DEP_2)
	v_and_b32_e32 v0, 0x80000000, v0
	v_lshl_add_u32 v3, v6, 23, 0x3b800000
	s_delay_alu instid0(VALU_DEP_3) | instskip(NEXT) | instid1(VALU_DEP_1)
	v_lshlrev_b32_e32 v1, 20, v1
	v_or3_b32 v0, v0, v3, v1
	s_delay_alu instid0(VALU_DEP_1) | instskip(NEXT) | instid1(VALU_DEP_1)
	v_trunc_f32_e32 v0, v0
	v_mul_f32_e64 v1, 0x2f800000, |v0|
	s_delay_alu instid0(VALU_DEP_1) | instskip(NEXT) | instid1(VALU_DEP_1)
	v_floor_f32_e32 v1, v1
	v_fma_f32 v3, 0xcf800000, v1, |v0|
	v_ashrrev_i32_e32 v0, 31, v0
	v_cvt_u32_f32_e32 v6, v1
	s_delay_alu instid0(VALU_DEP_3) | instskip(NEXT) | instid1(VALU_DEP_2)
	v_cvt_u32_f32_e32 v3, v3
	v_dual_mov_b32 v1, v0 :: v_dual_bitop2_b32 v7, v6, v0 bitop3:0x14
	s_delay_alu instid0(VALU_DEP_2) | instskip(NEXT) | instid1(VALU_DEP_1)
	v_xor_b32_e32 v6, v3, v0
	v_sub_nc_u64_e32 v[6:7], v[6:7], v[0:1]
.LBB111_778:
	s_or_b32 exec_lo, exec_lo, s12
.LBB111_779:
	s_mov_b32 s12, -1
.LBB111_780:
	s_mov_b32 s14, 0
.LBB111_781:
	s_delay_alu instid0(SALU_CYCLE_1)
	s_and_b32 vcc_lo, exec_lo, s14
	s_cbranch_vccz .LBB111_812
; %bb.782:
	s_cmp_gt_i32 s1, 22
	s_cbranch_scc0 .LBB111_790
; %bb.783:
	s_cmp_lt_i32 s1, 24
	s_cbranch_scc1 .LBB111_793
; %bb.784:
	s_cmp_gt_i32 s1, 24
	s_cbranch_scc0 .LBB111_794
; %bb.785:
	global_load_u8 v0, v[4:5], off
	s_mov_b32 s12, 0
	s_mov_b32 s7, exec_lo
	s_wait_loadcnt 0x0
	v_cmpx_lt_i16_e32 0x7f, v0
	s_xor_b32 s7, exec_lo, s7
	s_cbranch_execz .LBB111_806
; %bb.786:
	v_cmp_ne_u16_e32 vcc_lo, 0x80, v0
	s_and_b32 s12, vcc_lo, exec_lo
	s_and_not1_saveexec_b32 s7, s7
	s_cbranch_execnz .LBB111_807
.LBB111_787:
	s_or_b32 exec_lo, exec_lo, s7
	v_mov_b64_e32 v[6:7], 0
	s_and_saveexec_b32 s7, s12
	s_cbranch_execz .LBB111_789
.LBB111_788:
	v_and_b32_e32 v1, 0xffff, v0
	s_delay_alu instid0(VALU_DEP_1) | instskip(SKIP_1) | instid1(VALU_DEP_2)
	v_and_b32_e32 v3, 3, v1
	v_bfe_u32 v8, v1, 2, 5
	v_clz_i32_u32_e32 v6, v3
	s_delay_alu instid0(VALU_DEP_2) | instskip(NEXT) | instid1(VALU_DEP_2)
	v_cmp_eq_u32_e32 vcc_lo, 0, v8
	v_min_u32_e32 v6, 32, v6
	s_delay_alu instid0(VALU_DEP_1) | instskip(NEXT) | instid1(VALU_DEP_1)
	v_subrev_nc_u32_e32 v7, 29, v6
	v_dual_lshlrev_b32 v1, v7, v1 :: v_dual_sub_nc_u32 v6, 30, v6
	s_delay_alu instid0(VALU_DEP_1) | instskip(NEXT) | instid1(VALU_DEP_1)
	v_dual_lshlrev_b32 v0, 24, v0 :: v_dual_bitop2_b32 v1, 3, v1 bitop3:0x40
	v_dual_cndmask_b32 v6, v8, v6 :: v_dual_cndmask_b32 v1, v3, v1
	s_delay_alu instid0(VALU_DEP_2) | instskip(NEXT) | instid1(VALU_DEP_2)
	v_and_b32_e32 v0, 0x80000000, v0
	v_lshl_add_u32 v3, v6, 23, 0x37800000
	s_delay_alu instid0(VALU_DEP_3) | instskip(NEXT) | instid1(VALU_DEP_1)
	v_lshlrev_b32_e32 v1, 21, v1
	v_or3_b32 v0, v0, v3, v1
	s_delay_alu instid0(VALU_DEP_1) | instskip(NEXT) | instid1(VALU_DEP_1)
	v_trunc_f32_e32 v0, v0
	v_mul_f32_e64 v1, 0x2f800000, |v0|
	s_delay_alu instid0(VALU_DEP_1) | instskip(NEXT) | instid1(VALU_DEP_1)
	v_floor_f32_e32 v1, v1
	v_fma_f32 v3, 0xcf800000, v1, |v0|
	v_ashrrev_i32_e32 v0, 31, v0
	v_cvt_u32_f32_e32 v6, v1
	s_delay_alu instid0(VALU_DEP_3) | instskip(NEXT) | instid1(VALU_DEP_2)
	v_cvt_u32_f32_e32 v3, v3
	v_dual_mov_b32 v1, v0 :: v_dual_bitop2_b32 v7, v6, v0 bitop3:0x14
	s_delay_alu instid0(VALU_DEP_2) | instskip(NEXT) | instid1(VALU_DEP_1)
	v_xor_b32_e32 v6, v3, v0
	v_sub_nc_u64_e32 v[6:7], v[6:7], v[0:1]
.LBB111_789:
	s_or_b32 exec_lo, exec_lo, s7
	s_mov_b32 s7, 0
	s_branch .LBB111_795
.LBB111_790:
	s_mov_b32 s7, -1
                                        ; implicit-def: $vgpr6_vgpr7
	s_branch .LBB111_801
.LBB111_791:
	s_and_not1_saveexec_b32 s12, s12
	s_cbranch_execz .LBB111_776
.LBB111_792:
	v_cmp_ne_u16_e32 vcc_lo, 0, v0
	s_and_not1_b32 s14, s14, exec_lo
	s_and_b32 s15, vcc_lo, exec_lo
	s_delay_alu instid0(SALU_CYCLE_1)
	s_or_b32 s14, s14, s15
	s_or_b32 exec_lo, exec_lo, s12
	v_mov_b64_e32 v[6:7], 0
	s_and_saveexec_b32 s12, s14
	s_cbranch_execnz .LBB111_777
	s_branch .LBB111_778
.LBB111_793:
	s_mov_b32 s7, -1
                                        ; implicit-def: $vgpr6_vgpr7
	s_branch .LBB111_798
.LBB111_794:
	s_mov_b32 s7, -1
                                        ; implicit-def: $vgpr6_vgpr7
.LBB111_795:
	s_delay_alu instid0(SALU_CYCLE_1)
	s_and_b32 vcc_lo, exec_lo, s7
	s_cbranch_vccz .LBB111_797
; %bb.796:
	global_load_u8 v0, v[4:5], off
	s_wait_loadcnt 0x0
	v_lshlrev_b32_e32 v0, 24, v0
	s_delay_alu instid0(VALU_DEP_1) | instskip(NEXT) | instid1(VALU_DEP_1)
	v_and_b32_e32 v1, 0x7f000000, v0
	v_clz_i32_u32_e32 v3, v1
	v_add_nc_u32_e32 v7, 0x1000000, v1
	v_cmp_ne_u32_e32 vcc_lo, 0, v1
	s_delay_alu instid0(VALU_DEP_3) | instskip(NEXT) | instid1(VALU_DEP_1)
	v_min_u32_e32 v3, 32, v3
	v_sub_nc_u32_e64 v3, v3, 4 clamp
	s_delay_alu instid0(VALU_DEP_1) | instskip(NEXT) | instid1(VALU_DEP_1)
	v_dual_lshlrev_b32 v6, v3, v1 :: v_dual_lshlrev_b32 v3, 23, v3
	v_lshrrev_b32_e32 v6, 4, v6
	s_delay_alu instid0(VALU_DEP_1) | instskip(SKIP_1) | instid1(VALU_DEP_2)
	v_sub_nc_u32_e32 v3, v6, v3
	v_ashrrev_i32_e32 v6, 8, v7
	v_add_nc_u32_e32 v3, 0x3c000000, v3
	s_delay_alu instid0(VALU_DEP_1) | instskip(NEXT) | instid1(VALU_DEP_1)
	v_and_or_b32 v3, 0x7f800000, v6, v3
	v_cndmask_b32_e32 v1, 0, v3, vcc_lo
	s_delay_alu instid0(VALU_DEP_1) | instskip(NEXT) | instid1(VALU_DEP_1)
	v_and_or_b32 v0, 0x80000000, v0, v1
	v_trunc_f32_e32 v0, v0
	s_delay_alu instid0(VALU_DEP_1) | instskip(NEXT) | instid1(VALU_DEP_1)
	v_mul_f32_e64 v1, 0x2f800000, |v0|
	v_floor_f32_e32 v1, v1
	s_delay_alu instid0(VALU_DEP_1) | instskip(SKIP_2) | instid1(VALU_DEP_3)
	v_fma_f32 v3, 0xcf800000, v1, |v0|
	v_ashrrev_i32_e32 v0, 31, v0
	v_cvt_u32_f32_e32 v6, v1
	v_cvt_u32_f32_e32 v3, v3
	s_delay_alu instid0(VALU_DEP_2) | instskip(NEXT) | instid1(VALU_DEP_2)
	v_dual_mov_b32 v1, v0 :: v_dual_bitop2_b32 v7, v6, v0 bitop3:0x14
	v_xor_b32_e32 v6, v3, v0
	s_delay_alu instid0(VALU_DEP_1)
	v_sub_nc_u64_e32 v[6:7], v[6:7], v[0:1]
.LBB111_797:
	s_mov_b32 s7, 0
.LBB111_798:
	s_delay_alu instid0(SALU_CYCLE_1)
	s_and_not1_b32 vcc_lo, exec_lo, s7
	s_cbranch_vccnz .LBB111_800
; %bb.799:
	global_load_u8 v0, v[4:5], off
	s_wait_loadcnt 0x0
	v_lshlrev_b32_e32 v1, 25, v0
	v_lshlrev_b16 v0, 8, v0
	s_delay_alu instid0(VALU_DEP_1) | instskip(SKIP_1) | instid1(VALU_DEP_2)
	v_and_or_b32 v6, 0x7f00, v0, 0.5
	v_bfe_i32 v0, v0, 0, 16
	v_dual_add_f32 v6, -0.5, v6 :: v_dual_lshrrev_b32 v3, 4, v1
	v_cmp_gt_u32_e32 vcc_lo, 0x8000000, v1
	s_delay_alu instid0(VALU_DEP_2) | instskip(NEXT) | instid1(VALU_DEP_1)
	v_or_b32_e32 v3, 0x70000000, v3
	v_mul_f32_e32 v3, 0x7800000, v3
	s_delay_alu instid0(VALU_DEP_1) | instskip(NEXT) | instid1(VALU_DEP_1)
	v_cndmask_b32_e32 v1, v3, v6, vcc_lo
	v_and_or_b32 v0, 0x80000000, v0, v1
	s_delay_alu instid0(VALU_DEP_1) | instskip(NEXT) | instid1(VALU_DEP_1)
	v_trunc_f32_e32 v0, v0
	v_mul_f32_e64 v1, 0x2f800000, |v0|
	s_delay_alu instid0(VALU_DEP_1) | instskip(NEXT) | instid1(VALU_DEP_1)
	v_floor_f32_e32 v1, v1
	v_fma_f32 v3, 0xcf800000, v1, |v0|
	v_ashrrev_i32_e32 v0, 31, v0
	v_cvt_u32_f32_e32 v6, v1
	s_delay_alu instid0(VALU_DEP_3) | instskip(NEXT) | instid1(VALU_DEP_2)
	v_cvt_u32_f32_e32 v3, v3
	v_dual_mov_b32 v1, v0 :: v_dual_bitop2_b32 v7, v6, v0 bitop3:0x14
	s_delay_alu instid0(VALU_DEP_2) | instskip(NEXT) | instid1(VALU_DEP_1)
	v_xor_b32_e32 v6, v3, v0
	v_sub_nc_u64_e32 v[6:7], v[6:7], v[0:1]
.LBB111_800:
	s_mov_b32 s7, 0
	s_mov_b32 s12, -1
.LBB111_801:
	s_and_not1_b32 vcc_lo, exec_lo, s7
	s_mov_b32 s7, 0
	s_cbranch_vccnz .LBB111_812
; %bb.802:
	s_cmp_gt_i32 s1, 14
	s_cbranch_scc0 .LBB111_805
; %bb.803:
	s_cmp_eq_u32 s1, 15
	s_cbranch_scc0 .LBB111_808
; %bb.804:
	global_load_u16 v0, v[4:5], off
	s_mov_b32 s6, 0
	s_mov_b32 s12, -1
	s_wait_loadcnt 0x0
	v_lshlrev_b32_e32 v0, 16, v0
	s_delay_alu instid0(VALU_DEP_1) | instskip(NEXT) | instid1(VALU_DEP_1)
	v_trunc_f32_e32 v0, v0
	v_mul_f32_e64 v1, 0x2f800000, |v0|
	s_delay_alu instid0(VALU_DEP_1) | instskip(NEXT) | instid1(VALU_DEP_1)
	v_floor_f32_e32 v1, v1
	v_fma_f32 v3, 0xcf800000, v1, |v0|
	v_ashrrev_i32_e32 v0, 31, v0
	v_cvt_u32_f32_e32 v6, v1
	s_delay_alu instid0(VALU_DEP_3) | instskip(NEXT) | instid1(VALU_DEP_2)
	v_cvt_u32_f32_e32 v3, v3
	v_dual_mov_b32 v1, v0 :: v_dual_bitop2_b32 v7, v6, v0 bitop3:0x14
	s_delay_alu instid0(VALU_DEP_2) | instskip(NEXT) | instid1(VALU_DEP_1)
	v_xor_b32_e32 v6, v3, v0
	v_sub_nc_u64_e32 v[6:7], v[6:7], v[0:1]
	s_branch .LBB111_810
.LBB111_805:
	s_mov_b32 s7, -1
	s_branch .LBB111_809
.LBB111_806:
	s_and_not1_saveexec_b32 s7, s7
	s_cbranch_execz .LBB111_787
.LBB111_807:
	v_cmp_ne_u16_e32 vcc_lo, 0, v0
	s_and_not1_b32 s12, s12, exec_lo
	s_and_b32 s14, vcc_lo, exec_lo
	s_delay_alu instid0(SALU_CYCLE_1)
	s_or_b32 s12, s12, s14
	s_or_b32 exec_lo, exec_lo, s7
	v_mov_b64_e32 v[6:7], 0
	s_and_saveexec_b32 s7, s12
	s_cbranch_execnz .LBB111_788
	s_branch .LBB111_789
.LBB111_808:
	s_mov_b32 s6, -1
.LBB111_809:
                                        ; implicit-def: $vgpr6_vgpr7
.LBB111_810:
	s_and_b32 vcc_lo, exec_lo, s7
	s_mov_b32 s7, 0
	s_cbranch_vccz .LBB111_812
; %bb.811:
	s_cmp_lg_u32 s1, 11
	s_mov_b32 s7, -1
	s_cselect_b32 s1, -1, 0
	s_and_not1_b32 s6, s6, exec_lo
	s_and_b32 s1, s1, exec_lo
	s_delay_alu instid0(SALU_CYCLE_1)
	s_or_b32 s6, s6, s1
.LBB111_812:
	s_mov_b32 s1, 0
.LBB111_813:
	s_delay_alu instid0(SALU_CYCLE_1)
	s_and_b32 s27, s1, exec_lo
	s_and_not1_b32 s1, s0, exec_lo
	s_and_b32 s6, s6, exec_lo
	s_and_b32 s28, s12, exec_lo
	;; [unrolled: 1-line block ×3, first 2 shown]
	s_or_b32 s29, s1, s6
.LBB111_814:
	s_wait_xcnt 0x0
	s_or_b32 exec_lo, exec_lo, s41
	s_delay_alu instid0(SALU_CYCLE_1)
	s_and_not1_b32 s0, s0, exec_lo
	s_and_b32 s1, s29, exec_lo
	s_and_b32 s28, s28, exec_lo
	;; [unrolled: 1-line block ×4, first 2 shown]
	s_or_b32 s0, s0, s1
.LBB111_815:
	s_or_b32 exec_lo, exec_lo, s52
	s_delay_alu instid0(SALU_CYCLE_1)
	s_and_not1_b32 s1, s49, exec_lo
	s_and_b32 s6, s30, exec_lo
	s_and_not1_b32 s7, s50, exec_lo
	s_and_b32 s12, s31, exec_lo
	s_or_b32 s49, s1, s6
	s_and_not1_b32 s1, s48, exec_lo
	s_and_b32 s0, s0, exec_lo
	s_or_b32 s50, s7, s12
	s_and_b32 s28, s28, exec_lo
	s_and_b32 s27, s27, exec_lo
	;; [unrolled: 1-line block ×3, first 2 shown]
	s_or_b32 s48, s1, s0
.LBB111_816:
	s_or_b32 exec_lo, exec_lo, s51
	s_delay_alu instid0(SALU_CYCLE_1)
	s_and_not1_b32 s0, s44, exec_lo
	s_and_b32 s1, s49, exec_lo
	s_and_not1_b32 s6, s45, exec_lo
	s_and_b32 s7, s50, exec_lo
	s_or_b32 s44, s0, s1
	s_or_b32 s45, s6, s7
	s_and_not1_b32 s1, s46, exec_lo
	s_and_b32 s6, s48, exec_lo
	s_and_b32 s0, s28, exec_lo
	;; [unrolled: 1-line block ×4, first 2 shown]
	s_or_b32 s46, s1, s6
	s_or_b32 exec_lo, exec_lo, s47
	s_mov_b32 s1, 0
	s_and_saveexec_b32 s6, s46
	s_cbranch_execz .LBB111_245
.LBB111_817:
	s_mov_b32 s1, exec_lo
	s_and_not1_b32 s21, s21, exec_lo
	s_trap 2
	s_or_b32 exec_lo, exec_lo, s6
	s_and_saveexec_b32 s6, s21
	s_delay_alu instid0(SALU_CYCLE_1)
	s_xor_b32 s6, exec_lo, s6
	s_cbranch_execnz .LBB111_246
.LBB111_818:
	s_or_b32 exec_lo, exec_lo, s6
	s_and_saveexec_b32 s6, s27
	s_cbranch_execz .LBB111_864
.LBB111_819:
	s_sext_i32_i16 s7, s39
	s_delay_alu instid0(SALU_CYCLE_1)
	s_cmp_lt_i32 s7, 5
	s_cbranch_scc1 .LBB111_824
; %bb.820:
	s_cmp_lt_i32 s7, 8
	s_cbranch_scc1 .LBB111_825
; %bb.821:
	s_cmp_lt_i32 s7, 9
	s_cbranch_scc1 .LBB111_826
; %bb.822:
	s_cmp_gt_i32 s7, 9
	s_cbranch_scc0 .LBB111_827
; %bb.823:
	global_load_b64 v[0:1], v[4:5], off
	s_mov_b32 s7, 0
	s_wait_loadcnt 0x0
	v_trunc_f64_e32 v[0:1], v[0:1]
	s_delay_alu instid0(VALU_DEP_1) | instskip(NEXT) | instid1(VALU_DEP_1)
	v_ldexp_f64 v[6:7], v[0:1], 0xffffffe0
	v_floor_f64_e32 v[6:7], v[6:7]
	s_delay_alu instid0(VALU_DEP_1) | instskip(SKIP_1) | instid1(VALU_DEP_2)
	v_fmamk_f64 v[0:1], v[6:7], 0xc1f00000, v[0:1]
	v_cvt_i32_f64_e32 v7, v[6:7]
	v_cvt_u32_f64_e32 v6, v[0:1]
	s_branch .LBB111_828
.LBB111_824:
                                        ; implicit-def: $vgpr6_vgpr7
	s_branch .LBB111_845
.LBB111_825:
                                        ; implicit-def: $vgpr6_vgpr7
	s_branch .LBB111_834
.LBB111_826:
	s_mov_b32 s7, -1
                                        ; implicit-def: $vgpr6_vgpr7
	s_branch .LBB111_831
.LBB111_827:
	s_mov_b32 s7, -1
                                        ; implicit-def: $vgpr6_vgpr7
.LBB111_828:
	s_delay_alu instid0(SALU_CYCLE_1)
	s_and_not1_b32 vcc_lo, exec_lo, s7
	s_cbranch_vccnz .LBB111_830
; %bb.829:
	global_load_b32 v0, v[4:5], off
	s_wait_loadcnt 0x0
	v_trunc_f32_e32 v0, v0
	s_delay_alu instid0(VALU_DEP_1) | instskip(NEXT) | instid1(VALU_DEP_1)
	v_mul_f32_e64 v1, 0x2f800000, |v0|
	v_floor_f32_e32 v1, v1
	s_delay_alu instid0(VALU_DEP_1) | instskip(SKIP_2) | instid1(VALU_DEP_3)
	v_fma_f32 v3, 0xcf800000, v1, |v0|
	v_ashrrev_i32_e32 v0, 31, v0
	v_cvt_u32_f32_e32 v6, v1
	v_cvt_u32_f32_e32 v3, v3
	s_delay_alu instid0(VALU_DEP_2) | instskip(NEXT) | instid1(VALU_DEP_2)
	v_dual_mov_b32 v1, v0 :: v_dual_bitop2_b32 v7, v6, v0 bitop3:0x14
	v_xor_b32_e32 v6, v3, v0
	s_delay_alu instid0(VALU_DEP_1)
	v_sub_nc_u64_e32 v[6:7], v[6:7], v[0:1]
.LBB111_830:
	s_mov_b32 s7, 0
.LBB111_831:
	s_delay_alu instid0(SALU_CYCLE_1)
	s_and_not1_b32 vcc_lo, exec_lo, s7
	s_cbranch_vccnz .LBB111_833
; %bb.832:
	global_load_b32 v0, v[4:5], off
	s_wait_loadcnt 0x0
	v_cvt_f32_f16_e32 v0, v0
	s_delay_alu instid0(VALU_DEP_1) | instskip(NEXT) | instid1(VALU_DEP_1)
	v_cvt_i32_f32_e32 v6, v0
	v_ashrrev_i32_e32 v7, 31, v6
.LBB111_833:
	s_cbranch_execnz .LBB111_844
.LBB111_834:
	s_sext_i32_i16 s7, s39
	s_delay_alu instid0(SALU_CYCLE_1)
	s_cmp_lt_i32 s7, 6
	s_cbranch_scc1 .LBB111_837
; %bb.835:
	s_cmp_gt_i32 s7, 6
	s_cbranch_scc0 .LBB111_838
; %bb.836:
	global_load_b64 v[0:1], v[4:5], off
	s_mov_b32 s7, 0
	s_wait_loadcnt 0x0
	v_trunc_f64_e32 v[0:1], v[0:1]
	s_delay_alu instid0(VALU_DEP_1) | instskip(NEXT) | instid1(VALU_DEP_1)
	v_ldexp_f64 v[6:7], v[0:1], 0xffffffe0
	v_floor_f64_e32 v[6:7], v[6:7]
	s_delay_alu instid0(VALU_DEP_1) | instskip(SKIP_1) | instid1(VALU_DEP_2)
	v_fmamk_f64 v[0:1], v[6:7], 0xc1f00000, v[0:1]
	v_cvt_i32_f64_e32 v7, v[6:7]
	v_cvt_u32_f64_e32 v6, v[0:1]
	s_branch .LBB111_839
.LBB111_837:
	s_mov_b32 s7, -1
                                        ; implicit-def: $vgpr6_vgpr7
	s_branch .LBB111_842
.LBB111_838:
	s_mov_b32 s7, -1
                                        ; implicit-def: $vgpr6_vgpr7
.LBB111_839:
	s_delay_alu instid0(SALU_CYCLE_1)
	s_and_not1_b32 vcc_lo, exec_lo, s7
	s_cbranch_vccnz .LBB111_841
; %bb.840:
	global_load_b32 v0, v[4:5], off
	s_wait_loadcnt 0x0
	v_trunc_f32_e32 v0, v0
	s_delay_alu instid0(VALU_DEP_1) | instskip(NEXT) | instid1(VALU_DEP_1)
	v_mul_f32_e64 v1, 0x2f800000, |v0|
	v_floor_f32_e32 v1, v1
	s_delay_alu instid0(VALU_DEP_1) | instskip(SKIP_2) | instid1(VALU_DEP_3)
	v_fma_f32 v3, 0xcf800000, v1, |v0|
	v_ashrrev_i32_e32 v0, 31, v0
	v_cvt_u32_f32_e32 v6, v1
	v_cvt_u32_f32_e32 v3, v3
	s_delay_alu instid0(VALU_DEP_2) | instskip(NEXT) | instid1(VALU_DEP_2)
	v_dual_mov_b32 v1, v0 :: v_dual_bitop2_b32 v7, v6, v0 bitop3:0x14
	v_xor_b32_e32 v6, v3, v0
	s_delay_alu instid0(VALU_DEP_1)
	v_sub_nc_u64_e32 v[6:7], v[6:7], v[0:1]
.LBB111_841:
	s_mov_b32 s7, 0
.LBB111_842:
	s_delay_alu instid0(SALU_CYCLE_1)
	s_and_not1_b32 vcc_lo, exec_lo, s7
	s_cbranch_vccnz .LBB111_844
; %bb.843:
	global_load_u16 v0, v[4:5], off
	s_wait_loadcnt 0x0
	v_cvt_f32_f16_e32 v0, v0
	s_delay_alu instid0(VALU_DEP_1) | instskip(NEXT) | instid1(VALU_DEP_1)
	v_cvt_i32_f32_e32 v6, v0
	v_ashrrev_i32_e32 v7, 31, v6
.LBB111_844:
	s_cbranch_execnz .LBB111_863
.LBB111_845:
	s_sext_i32_i16 s7, s39
	s_delay_alu instid0(SALU_CYCLE_1)
	s_cmp_lt_i32 s7, 2
	s_cbranch_scc1 .LBB111_849
; %bb.846:
	s_cmp_lt_i32 s7, 3
	s_cbranch_scc1 .LBB111_850
; %bb.847:
	s_cmp_gt_i32 s7, 3
	s_cbranch_scc0 .LBB111_851
; %bb.848:
	s_wait_loadcnt 0x0
	global_load_b64 v[6:7], v[4:5], off
	s_mov_b32 s7, 0
	s_branch .LBB111_852
.LBB111_849:
                                        ; implicit-def: $vgpr6_vgpr7
	s_branch .LBB111_858
.LBB111_850:
	s_mov_b32 s7, -1
                                        ; implicit-def: $vgpr6_vgpr7
	s_branch .LBB111_855
.LBB111_851:
	s_mov_b32 s7, -1
                                        ; implicit-def: $vgpr6_vgpr7
.LBB111_852:
	s_delay_alu instid0(SALU_CYCLE_1)
	s_and_not1_b32 vcc_lo, exec_lo, s7
	s_cbranch_vccnz .LBB111_854
; %bb.853:
	s_wait_loadcnt 0x0
	global_load_b32 v6, v[4:5], off
	s_wait_loadcnt 0x0
	v_ashrrev_i32_e32 v7, 31, v6
.LBB111_854:
	s_mov_b32 s7, 0
.LBB111_855:
	s_delay_alu instid0(SALU_CYCLE_1)
	s_and_not1_b32 vcc_lo, exec_lo, s7
	s_cbranch_vccnz .LBB111_857
; %bb.856:
	global_load_u16 v0, v[4:5], off
	s_wait_loadcnt 0x0
	v_bfe_i32 v6, v0, 0, 16
	s_delay_alu instid0(VALU_DEP_1)
	v_ashrrev_i32_e32 v7, 31, v6
.LBB111_857:
	s_cbranch_execnz .LBB111_863
.LBB111_858:
	s_sext_i32_i16 s7, s39
	s_delay_alu instid0(SALU_CYCLE_1)
	s_cmp_gt_i32 s7, 0
	s_mov_b32 s7, 0
	s_cbranch_scc0 .LBB111_860
; %bb.859:
	global_load_i8 v0, v[4:5], off
	s_wait_loadcnt 0x0
	v_bfe_i32 v6, v0, 0, 16
	s_delay_alu instid0(VALU_DEP_1)
	v_ashrrev_i32_e32 v7, 31, v6
	s_branch .LBB111_861
.LBB111_860:
	s_mov_b32 s7, -1
                                        ; implicit-def: $vgpr6_vgpr7
.LBB111_861:
	s_delay_alu instid0(SALU_CYCLE_1)
	s_and_not1_b32 vcc_lo, exec_lo, s7
	s_cbranch_vccnz .LBB111_863
; %bb.862:
	global_load_u8 v0, v[4:5], off
	s_mov_b32 s7, 0
	s_wait_loadcnt 0x1
	v_mov_b32_e32 v7, s7
	s_wait_loadcnt 0x0
	v_and_b32_e32 v6, 0xffff, v0
.LBB111_863:
	s_or_b32 s0, s0, exec_lo
.LBB111_864:
	s_wait_xcnt 0x0
	s_or_b32 exec_lo, exec_lo, s6
	s_mov_b32 s12, 0
	s_and_saveexec_b32 s6, s0
	s_delay_alu instid0(SALU_CYCLE_1)
	s_xor_b32 s6, exec_lo, s6
	s_cbranch_execz .LBB111_866
; %bb.865:
	s_wait_loadcnt 0x0
	s_delay_alu instid0(VALU_DEP_1) | instskip(SKIP_4) | instid1(SALU_CYCLE_1)
	v_cmp_le_i64_e32 vcc_lo, s[8:9], v[6:7]
	v_cmp_gt_i64_e64 s0, s[10:11], v[6:7]
	s_and_not1_b32 s7, s45, exec_lo
	s_mov_b32 s12, exec_lo
	s_and_b32 s0, vcc_lo, s0
	s_and_b32 s0, s13, s0
	s_delay_alu instid0(SALU_CYCLE_1) | instskip(NEXT) | instid1(SALU_CYCLE_1)
	s_xor_b32 s0, s0, -1
	s_and_b32 s0, s0, exec_lo
	s_delay_alu instid0(SALU_CYCLE_1)
	s_or_b32 s45, s7, s0
.LBB111_866:
	s_or_b32 exec_lo, exec_lo, s6
	s_and_saveexec_b32 s0, s45
	s_cbranch_execnz .LBB111_879
.LBB111_867:
	s_or_b32 exec_lo, exec_lo, s0
	s_mov_b32 s8, 0
	s_mov_b32 s7, 0
                                        ; implicit-def: $sgpr0
                                        ; implicit-def: $vgpr0_vgpr1
	s_and_saveexec_b32 s6, s12
	s_cbranch_execz .LBB111_875
; %bb.868:
	v_mov_b32_e32 v3, 0
	s_and_b32 s0, s38, 0xff
	s_delay_alu instid0(SALU_CYCLE_1) | instskip(NEXT) | instid1(VALU_DEP_1)
	s_cmp_lt_i32 s0, 11
	v_add_nc_u64_e32 v[0:1], s[4:5], v[2:3]
	s_cbranch_scc1 .LBB111_878
; %bb.869:
	s_and_b32 s5, 0xffff, s0
	s_mov_b32 s7, -1
	s_cmp_gt_i32 s5, 25
	s_mov_b32 s4, s44
	s_cbranch_scc0 .LBB111_899
; %bb.870:
	s_cmp_gt_i32 s5, 28
	s_mov_b32 s4, s44
	s_cbranch_scc0 .LBB111_889
; %bb.871:
	;; [unrolled: 4-line block ×4, first 2 shown]
	s_cmp_eq_u32 s5, 46
	s_mov_b32 s4, -1
	s_cbranch_scc0 .LBB111_880
; %bb.874:
	v_mov_b32_e32 v2, 0
	s_mov_b32 s4, 0
	s_mov_b32 s7, 0
	global_store_b32 v[0:1], v2, off
	s_branch .LBB111_881
.LBB111_875:
	s_or_b32 exec_lo, exec_lo, s6
	s_and_saveexec_b32 s4, s44
	s_cbranch_execnz .LBB111_918
.LBB111_876:
	s_or_b32 exec_lo, exec_lo, s4
	s_and_saveexec_b32 s4, s8
	s_delay_alu instid0(SALU_CYCLE_1)
	s_xor_b32 s4, exec_lo, s4
	s_cbranch_execz .LBB111_919
.LBB111_877:
	v_mov_b32_e32 v2, 0
	global_store_b8 v[0:1], v2, off
	s_wait_xcnt 0x0
	s_or_b32 exec_lo, exec_lo, s4
	s_and_saveexec_b32 s4, s7
	s_delay_alu instid0(SALU_CYCLE_1)
	s_xor_b32 s4, exec_lo, s4
	s_cbranch_execz .LBB111_957
	s_branch .LBB111_920
.LBB111_878:
	s_mov_b32 s7, -1
	s_mov_b32 s4, s44
	s_branch .LBB111_917
.LBB111_879:
	s_or_b32 s1, s1, exec_lo
	s_and_not1_b32 s12, s12, exec_lo
	s_trap 2
	s_branch .LBB111_867
.LBB111_880:
	s_mov_b32 s7, 0
.LBB111_881:
	s_delay_alu instid0(SALU_CYCLE_1)
	s_and_b32 vcc_lo, exec_lo, s7
	s_cbranch_vccz .LBB111_884
; %bb.882:
	s_cmp_eq_u32 s5, 44
	s_mov_b32 s4, -1
	s_cbranch_scc0 .LBB111_884
; %bb.883:
	s_wait_xcnt 0x0
	v_mov_b32_e32 v2, 0
	s_mov_b32 s4, 0
	s_mov_b32 s7, 0
	global_store_b8 v[0:1], v2, off
	s_branch .LBB111_885
.LBB111_884:
	s_mov_b32 s7, 0
.LBB111_885:
	s_delay_alu instid0(SALU_CYCLE_1)
	s_and_b32 vcc_lo, exec_lo, s7
	s_cbranch_vccz .LBB111_888
; %bb.886:
	s_cmp_eq_u32 s5, 29
	s_mov_b32 s4, -1
	s_cbranch_scc0 .LBB111_888
; %bb.887:
	s_wait_xcnt 0x0
	v_mov_b64_e32 v[2:3], 0
	s_mov_b32 s4, 0
	s_mov_b32 s7, 0
	global_store_b64 v[0:1], v[2:3], off
	s_branch .LBB111_889
.LBB111_888:
	s_mov_b32 s7, 0
.LBB111_889:
	s_delay_alu instid0(SALU_CYCLE_1)
	s_and_b32 vcc_lo, exec_lo, s7
	s_cbranch_vccz .LBB111_898
; %bb.890:
	s_cmp_lt_i32 s5, 27
	s_mov_b32 s7, -1
	s_cbranch_scc1 .LBB111_896
; %bb.891:
	s_cmp_gt_i32 s5, 27
	s_cbranch_scc0 .LBB111_893
; %bb.892:
	s_wait_xcnt 0x0
	v_mov_b32_e32 v2, 0
	s_mov_b32 s7, 0
	global_store_b32 v[0:1], v2, off
.LBB111_893:
	s_and_not1_b32 vcc_lo, exec_lo, s7
	s_cbranch_vccnz .LBB111_895
; %bb.894:
	s_wait_xcnt 0x0
	v_mov_b32_e32 v2, 0
	global_store_b16 v[0:1], v2, off
.LBB111_895:
	s_mov_b32 s7, 0
.LBB111_896:
	s_delay_alu instid0(SALU_CYCLE_1)
	s_and_not1_b32 vcc_lo, exec_lo, s7
	s_cbranch_vccnz .LBB111_898
; %bb.897:
	s_wait_xcnt 0x0
	v_mov_b32_e32 v2, 0
	global_store_b8 v[0:1], v2, off
.LBB111_898:
	s_mov_b32 s7, 0
.LBB111_899:
	s_delay_alu instid0(SALU_CYCLE_1)
	s_and_b32 vcc_lo, exec_lo, s7
	s_mov_b32 s7, 0
	s_cbranch_vccz .LBB111_917
; %bb.900:
	s_cmp_gt_i32 s5, 22
	s_mov_b32 s8, -1
	s_cbranch_scc0 .LBB111_910
; %bb.901:
	s_cmp_lt_i32 s5, 24
	s_cbranch_scc1 .LBB111_907
; %bb.902:
	s_cmp_gt_i32 s5, 24
	s_cbranch_scc0 .LBB111_904
; %bb.903:
	s_wait_xcnt 0x0
	v_mov_b32_e32 v2, 0
	s_mov_b32 s8, 0
	global_store_b8 v[0:1], v2, off
.LBB111_904:
	s_and_not1_b32 vcc_lo, exec_lo, s8
	s_cbranch_vccnz .LBB111_906
; %bb.905:
	s_wait_xcnt 0x0
	v_mov_b32_e32 v2, 0
	global_store_b8 v[0:1], v2, off
.LBB111_906:
	s_mov_b32 s8, 0
.LBB111_907:
	s_delay_alu instid0(SALU_CYCLE_1)
	s_and_not1_b32 vcc_lo, exec_lo, s8
	s_cbranch_vccnz .LBB111_909
; %bb.908:
	s_wait_xcnt 0x0
	v_mov_b32_e32 v2, 0
	global_store_b8 v[0:1], v2, off
.LBB111_909:
	s_mov_b32 s8, 0
.LBB111_910:
	s_delay_alu instid0(SALU_CYCLE_1)
	s_and_not1_b32 vcc_lo, exec_lo, s8
	s_mov_b32 s8, 0
	s_cbranch_vccnz .LBB111_917
; %bb.911:
	s_cmp_gt_i32 s5, 14
	s_mov_b32 s8, -1
	s_cbranch_scc0 .LBB111_915
; %bb.912:
	s_cmp_eq_u32 s5, 15
	s_mov_b32 s4, -1
	s_cbranch_scc0 .LBB111_914
; %bb.913:
	s_wait_xcnt 0x0
	v_mov_b32_e32 v2, 0
	s_mov_b32 s4, 0
	global_store_b16 v[0:1], v2, off
.LBB111_914:
	s_mov_b32 s8, 0
.LBB111_915:
	s_delay_alu instid0(SALU_CYCLE_1)
	s_and_b32 vcc_lo, exec_lo, s8
	s_mov_b32 s8, 0
	s_cbranch_vccz .LBB111_917
; %bb.916:
	s_cmp_lg_u32 s5, 11
	s_mov_b32 s8, -1
	s_cselect_b32 s5, -1, 0
	s_and_not1_b32 s4, s4, exec_lo
	s_and_b32 s5, s5, exec_lo
	s_delay_alu instid0(SALU_CYCLE_1)
	s_or_b32 s4, s4, s5
.LBB111_917:
	s_and_not1_b32 s5, s44, exec_lo
	s_and_b32 s4, s4, exec_lo
	s_and_b32 s7, s7, exec_lo
	;; [unrolled: 1-line block ×3, first 2 shown]
	s_or_b32 s44, s5, s4
	s_wait_xcnt 0x0
	s_or_b32 exec_lo, exec_lo, s6
	s_and_saveexec_b32 s4, s44
	s_cbranch_execz .LBB111_876
.LBB111_918:
	s_or_b32 s1, s1, exec_lo
	s_and_not1_b32 s8, s8, exec_lo
	s_trap 2
	s_or_b32 exec_lo, exec_lo, s4
	s_and_saveexec_b32 s4, s8
	s_delay_alu instid0(SALU_CYCLE_1)
	s_xor_b32 s4, exec_lo, s4
	s_cbranch_execnz .LBB111_877
.LBB111_919:
	s_or_b32 exec_lo, exec_lo, s4
	s_and_saveexec_b32 s4, s7
	s_delay_alu instid0(SALU_CYCLE_1)
	s_xor_b32 s4, exec_lo, s4
	s_cbranch_execz .LBB111_957
.LBB111_920:
	s_sext_i32_i16 s6, s0
	s_mov_b32 s5, -1
	s_cmp_lt_i32 s6, 5
	s_cbranch_scc1 .LBB111_941
; %bb.921:
	s_cmp_lt_i32 s6, 8
	s_cbranch_scc1 .LBB111_931
; %bb.922:
	;; [unrolled: 3-line block ×3, first 2 shown]
	s_cmp_gt_i32 s6, 9
	s_cbranch_scc0 .LBB111_925
; %bb.924:
	v_mov_b32_e32 v2, 0
	s_mov_b32 s5, 0
	s_delay_alu instid0(VALU_DEP_1)
	v_dual_mov_b32 v3, v2 :: v_dual_mov_b32 v4, v2
	v_mov_b32_e32 v5, v2
	global_store_b128 v[0:1], v[2:5], off
.LBB111_925:
	s_and_not1_b32 vcc_lo, exec_lo, s5
	s_cbranch_vccnz .LBB111_927
; %bb.926:
	s_wait_xcnt 0x0
	v_mov_b64_e32 v[2:3], 0
	global_store_b64 v[0:1], v[2:3], off
.LBB111_927:
	s_mov_b32 s5, 0
.LBB111_928:
	s_delay_alu instid0(SALU_CYCLE_1)
	s_and_not1_b32 vcc_lo, exec_lo, s5
	s_cbranch_vccnz .LBB111_930
; %bb.929:
	s_wait_xcnt 0x0
	v_mov_b32_e32 v2, 0
	global_store_b32 v[0:1], v2, off
.LBB111_930:
	s_mov_b32 s5, 0
.LBB111_931:
	s_delay_alu instid0(SALU_CYCLE_1)
	s_and_not1_b32 vcc_lo, exec_lo, s5
	s_cbranch_vccnz .LBB111_940
; %bb.932:
	s_sext_i32_i16 s6, s0
	s_mov_b32 s5, -1
	s_cmp_lt_i32 s6, 6
	s_cbranch_scc1 .LBB111_938
; %bb.933:
	s_cmp_gt_i32 s6, 6
	s_cbranch_scc0 .LBB111_935
; %bb.934:
	s_wait_xcnt 0x0
	v_mov_b64_e32 v[2:3], 0
	s_mov_b32 s5, 0
	global_store_b64 v[0:1], v[2:3], off
.LBB111_935:
	s_and_not1_b32 vcc_lo, exec_lo, s5
	s_cbranch_vccnz .LBB111_937
; %bb.936:
	s_wait_xcnt 0x0
	v_mov_b32_e32 v2, 0
	global_store_b32 v[0:1], v2, off
.LBB111_937:
	s_mov_b32 s5, 0
.LBB111_938:
	s_delay_alu instid0(SALU_CYCLE_1)
	s_and_not1_b32 vcc_lo, exec_lo, s5
	s_cbranch_vccnz .LBB111_940
; %bb.939:
	s_wait_xcnt 0x0
	v_mov_b32_e32 v2, 0
	global_store_b16 v[0:1], v2, off
.LBB111_940:
	s_mov_b32 s5, 0
.LBB111_941:
	s_delay_alu instid0(SALU_CYCLE_1)
	s_and_not1_b32 vcc_lo, exec_lo, s5
	s_cbranch_vccnz .LBB111_957
; %bb.942:
	s_sext_i32_i16 s6, s0
	s_mov_b32 s5, -1
	s_cmp_lt_i32 s6, 2
	s_cbranch_scc1 .LBB111_952
; %bb.943:
	s_cmp_lt_i32 s6, 3
	s_cbranch_scc1 .LBB111_949
; %bb.944:
	s_cmp_gt_i32 s6, 3
	s_cbranch_scc0 .LBB111_946
; %bb.945:
	s_wait_xcnt 0x0
	v_mov_b64_e32 v[2:3], 0
	s_mov_b32 s5, 0
	global_store_b64 v[0:1], v[2:3], off
.LBB111_946:
	s_and_not1_b32 vcc_lo, exec_lo, s5
	s_cbranch_vccnz .LBB111_948
; %bb.947:
	s_wait_xcnt 0x0
	v_mov_b32_e32 v2, 0
	global_store_b32 v[0:1], v2, off
.LBB111_948:
	s_mov_b32 s5, 0
.LBB111_949:
	s_delay_alu instid0(SALU_CYCLE_1)
	s_and_not1_b32 vcc_lo, exec_lo, s5
	s_cbranch_vccnz .LBB111_951
; %bb.950:
	s_wait_xcnt 0x0
	v_mov_b32_e32 v2, 0
	global_store_b16 v[0:1], v2, off
.LBB111_951:
	s_mov_b32 s5, 0
.LBB111_952:
	s_delay_alu instid0(SALU_CYCLE_1)
	s_and_not1_b32 vcc_lo, exec_lo, s5
	s_cbranch_vccnz .LBB111_957
; %bb.953:
	s_sext_i32_i16 s0, s0
	s_delay_alu instid0(SALU_CYCLE_1)
	s_cmp_gt_i32 s0, 0
	s_mov_b32 s0, -1
	s_cbranch_scc0 .LBB111_955
; %bb.954:
	s_wait_xcnt 0x0
	v_mov_b32_e32 v2, 0
	s_mov_b32 s0, 0
	global_store_b8 v[0:1], v2, off
.LBB111_955:
	s_and_not1_b32 vcc_lo, exec_lo, s0
	s_cbranch_vccnz .LBB111_957
; %bb.956:
	s_wait_xcnt 0x0
	v_mov_b32_e32 v2, 0
	global_store_b8 v[0:1], v2, off
.LBB111_957:
	s_wait_xcnt 0x0
	s_or_b32 exec_lo, exec_lo, s4
	s_delay_alu instid0(SALU_CYCLE_1)
	s_and_b32 s12, s1, exec_lo
                                        ; implicit-def: $vgpr9
                                        ; implicit-def: $vgpr0
.LBB111_958:
	s_or_saveexec_b32 s13, s37
	s_mov_b32 s4, 0
                                        ; implicit-def: $vgpr14_vgpr15
                                        ; implicit-def: $sgpr0
	s_xor_b32 exec_lo, exec_lo, s13
	s_cbranch_execz .LBB111_1853
; %bb.959:
	v_cndmask_b32_e64 v1, 0, 1, s36
	s_and_not1_b32 vcc_lo, exec_lo, s36
	s_cbranch_vccnz .LBB111_965
; %bb.960:
	s_cmp_lg_u32 s33, 0
	s_mov_b32 s8, 0
	s_cbranch_scc0 .LBB111_966
; %bb.961:
	s_min_u32 s1, s34, 15
	s_delay_alu instid0(SALU_CYCLE_1)
	s_add_co_i32 s1, s1, 1
	s_cmp_eq_u32 s34, 2
	s_cbranch_scc1 .LBB111_967
; %bb.962:
	s_wait_loadcnt 0x0
	v_dual_mov_b32 v6, 0 :: v_dual_mov_b32 v14, 0
	v_mov_b32_e32 v2, v0
	s_and_b32 s0, s1, 28
	s_add_nc_u64 s[4:5], s[2:3], 0xc4
	s_mov_b32 s9, 0
	s_mov_b64 s[6:7], s[2:3]
.LBB111_963:                            ; =>This Inner Loop Header: Depth=1
	s_clause 0x1
	s_load_b256 s[16:23], s[6:7], 0x4
	s_load_b128 s[36:39], s[6:7], 0x24
	s_load_b256 s[24:31], s[4:5], 0x0
	s_add_co_i32 s9, s9, 4
	s_wait_xcnt 0x0
	s_add_nc_u64 s[6:7], s[6:7], 48
	s_cmp_lg_u32 s0, s9
	s_add_nc_u64 s[4:5], s[4:5], 32
	s_wait_kmcnt 0x0
	v_mul_hi_u32 v3, s17, v2
	s_delay_alu instid0(VALU_DEP_1) | instskip(NEXT) | instid1(VALU_DEP_1)
	v_add_nc_u32_e32 v3, v2, v3
	v_lshrrev_b32_e32 v3, s18, v3
	s_delay_alu instid0(VALU_DEP_1) | instskip(NEXT) | instid1(VALU_DEP_1)
	v_mul_hi_u32 v4, s20, v3
	v_add_nc_u32_e32 v4, v3, v4
	s_delay_alu instid0(VALU_DEP_1) | instskip(NEXT) | instid1(VALU_DEP_1)
	v_lshrrev_b32_e32 v4, s21, v4
	v_mul_hi_u32 v5, s23, v4
	s_delay_alu instid0(VALU_DEP_1) | instskip(SKIP_1) | instid1(VALU_DEP_1)
	v_add_nc_u32_e32 v5, v4, v5
	v_mul_lo_u32 v7, v3, s16
	v_sub_nc_u32_e32 v2, v2, v7
	v_mul_lo_u32 v7, v4, s19
	s_delay_alu instid0(VALU_DEP_4) | instskip(NEXT) | instid1(VALU_DEP_3)
	v_lshrrev_b32_e32 v5, s36, v5
	v_mad_u32 v10, v2, s25, v14
	v_mad_u32 v2, v2, s24, v6
	s_delay_alu instid0(VALU_DEP_4) | instskip(NEXT) | instid1(VALU_DEP_4)
	v_sub_nc_u32_e32 v3, v3, v7
	v_mul_hi_u32 v8, s38, v5
	v_mul_lo_u32 v6, v5, s22
	s_delay_alu instid0(VALU_DEP_1) | instskip(NEXT) | instid1(VALU_DEP_4)
	v_dual_add_nc_u32 v7, v5, v8 :: v_dual_sub_nc_u32 v4, v4, v6
	v_mad_u32 v8, v3, s27, v10
	v_mad_u32 v3, v3, s26, v2
	s_delay_alu instid0(VALU_DEP_3) | instskip(NEXT) | instid1(VALU_DEP_1)
	v_lshrrev_b32_e32 v2, s39, v7
	v_mul_lo_u32 v6, v2, s37
	s_delay_alu instid0(VALU_DEP_4) | instskip(NEXT) | instid1(VALU_DEP_4)
	v_mad_u32 v7, v4, s29, v8
	v_mad_u32 v3, v4, s28, v3
	s_delay_alu instid0(VALU_DEP_3) | instskip(NEXT) | instid1(VALU_DEP_1)
	v_sub_nc_u32_e32 v4, v5, v6
	v_mad_u32 v14, v4, s31, v7
	s_delay_alu instid0(VALU_DEP_3)
	v_mad_u32 v6, v4, s30, v3
	s_cbranch_scc1 .LBB111_963
; %bb.964:
	s_delay_alu instid0(VALU_DEP_2)
	v_mov_b32_e32 v7, v14
	s_and_b32 s6, s1, 3
	s_mov_b32 s1, 0
	s_cmp_eq_u32 s6, 0
	s_cbranch_scc0 .LBB111_968
	s_branch .LBB111_971
.LBB111_965:
	s_mov_b32 s8, -1
                                        ; implicit-def: $vgpr14
                                        ; implicit-def: $vgpr6
	s_branch .LBB111_971
.LBB111_966:
	s_wait_loadcnt 0x0
	v_dual_mov_b32 v14, 0 :: v_dual_mov_b32 v6, 0
	s_branch .LBB111_971
.LBB111_967:
	s_wait_loadcnt 0x0
	v_mov_b64_e32 v[6:7], 0
	v_mov_b32_e32 v2, v0
	s_mov_b32 s0, 0
                                        ; implicit-def: $vgpr14
	s_and_b32 s6, s1, 3
	s_mov_b32 s1, 0
	s_cmp_eq_u32 s6, 0
	s_cbranch_scc1 .LBB111_971
.LBB111_968:
	s_lshl_b32 s4, s0, 3
	s_mov_b32 s5, s1
	s_mul_u64 s[10:11], s[0:1], 12
	s_add_nc_u64 s[4:5], s[2:3], s[4:5]
	s_delay_alu instid0(SALU_CYCLE_1)
	s_add_nc_u64 s[0:1], s[4:5], 0xc4
	s_add_nc_u64 s[4:5], s[2:3], s[10:11]
.LBB111_969:                            ; =>This Inner Loop Header: Depth=1
	s_load_b96 s[16:18], s[4:5], 0x4
	s_load_b64 s[10:11], s[0:1], 0x0
	s_add_co_i32 s6, s6, -1
	s_wait_xcnt 0x0
	s_add_nc_u64 s[4:5], s[4:5], 12
	s_cmp_lg_u32 s6, 0
	s_add_nc_u64 s[0:1], s[0:1], 8
	s_wait_kmcnt 0x0
	v_mul_hi_u32 v3, s17, v2
	s_delay_alu instid0(VALU_DEP_1) | instskip(NEXT) | instid1(VALU_DEP_1)
	v_add_nc_u32_e32 v3, v2, v3
	v_lshrrev_b32_e32 v3, s18, v3
	s_delay_alu instid0(VALU_DEP_1) | instskip(NEXT) | instid1(VALU_DEP_1)
	v_mul_lo_u32 v4, v3, s16
	v_sub_nc_u32_e32 v2, v2, v4
	s_delay_alu instid0(VALU_DEP_1)
	v_mad_u32 v7, v2, s11, v7
	v_mad_u32 v6, v2, s10, v6
	v_mov_b32_e32 v2, v3
	s_cbranch_scc1 .LBB111_969
; %bb.970:
	s_delay_alu instid0(VALU_DEP_3)
	v_mov_b32_e32 v14, v7
.LBB111_971:
	s_and_not1_b32 vcc_lo, exec_lo, s8
	s_cbranch_vccnz .LBB111_974
; %bb.972:
	s_clause 0x1
	s_load_b96 s[4:6], s[2:3], 0x4
	s_load_b64 s[0:1], s[2:3], 0xc4
	s_cmp_lt_u32 s33, 2
	s_wait_kmcnt 0x0
	v_mul_hi_u32 v2, s5, v0
	s_delay_alu instid0(VALU_DEP_1) | instskip(NEXT) | instid1(VALU_DEP_1)
	v_add_nc_u32_e32 v2, v0, v2
	v_lshrrev_b32_e32 v2, s6, v2
	s_delay_alu instid0(VALU_DEP_1) | instskip(NEXT) | instid1(VALU_DEP_1)
	v_mul_lo_u32 v3, v2, s4
	v_sub_nc_u32_e32 v3, v0, v3
	s_delay_alu instid0(VALU_DEP_1)
	v_mul_lo_u32 v14, v3, s1
	s_wait_loadcnt 0x0
	v_mul_lo_u32 v6, v3, s0
	s_cbranch_scc1 .LBB111_974
; %bb.973:
	s_clause 0x1
	s_load_b96 s[4:6], s[2:3], 0x10
	s_load_b64 s[0:1], s[2:3], 0xcc
	s_wait_kmcnt 0x0
	v_mul_hi_u32 v3, s5, v2
	s_delay_alu instid0(VALU_DEP_1) | instskip(NEXT) | instid1(VALU_DEP_1)
	v_add_nc_u32_e32 v3, v2, v3
	v_lshrrev_b32_e32 v3, s6, v3
	s_delay_alu instid0(VALU_DEP_1) | instskip(NEXT) | instid1(VALU_DEP_1)
	v_mul_lo_u32 v3, v3, s4
	v_sub_nc_u32_e32 v2, v2, v3
	s_delay_alu instid0(VALU_DEP_1)
	v_mad_u32 v6, v2, s0, v6
	v_mad_u32 v14, v2, s1, v14
.LBB111_974:
	v_cmp_ne_u32_e32 vcc_lo, 1, v1
	v_add_nc_u32_e32 v2, 0x80, v0
	s_cbranch_vccnz .LBB111_980
; %bb.975:
	s_cmp_lg_u32 s33, 0
	s_mov_b32 s8, 0
	s_cbranch_scc0 .LBB111_981
; %bb.976:
	s_min_u32 s1, s34, 15
	s_delay_alu instid0(SALU_CYCLE_1)
	s_add_co_i32 s1, s1, 1
	s_cmp_eq_u32 s34, 2
	s_cbranch_scc1 .LBB111_982
; %bb.977:
	v_dual_mov_b32 v4, 0 :: v_dual_mov_b32 v12, 0
	v_mov_b32_e32 v3, v2
	s_and_b32 s0, s1, 28
	s_add_nc_u64 s[4:5], s[2:3], 0xc4
	s_mov_b32 s9, 0
	s_mov_b64 s[6:7], s[2:3]
.LBB111_978:                            ; =>This Inner Loop Header: Depth=1
	s_clause 0x1
	s_load_b256 s[16:23], s[6:7], 0x4
	s_load_b128 s[36:39], s[6:7], 0x24
	s_load_b256 s[24:31], s[4:5], 0x0
	s_add_co_i32 s9, s9, 4
	s_wait_xcnt 0x0
	s_add_nc_u64 s[6:7], s[6:7], 48
	s_cmp_lg_u32 s0, s9
	s_add_nc_u64 s[4:5], s[4:5], 32
	s_wait_kmcnt 0x0
	v_mul_hi_u32 v5, s17, v3
	s_delay_alu instid0(VALU_DEP_1) | instskip(NEXT) | instid1(VALU_DEP_1)
	v_add_nc_u32_e32 v5, v3, v5
	v_lshrrev_b32_e32 v5, s18, v5
	s_wait_loadcnt 0x0
	s_delay_alu instid0(VALU_DEP_1) | instskip(NEXT) | instid1(VALU_DEP_1)
	v_mul_hi_u32 v7, s20, v5
	v_add_nc_u32_e32 v7, v5, v7
	s_delay_alu instid0(VALU_DEP_1) | instskip(NEXT) | instid1(VALU_DEP_1)
	v_lshrrev_b32_e32 v7, s21, v7
	v_mul_hi_u32 v8, s23, v7
	s_delay_alu instid0(VALU_DEP_1) | instskip(SKIP_1) | instid1(VALU_DEP_1)
	v_add_nc_u32_e32 v8, v7, v8
	v_mul_lo_u32 v10, v5, s16
	v_sub_nc_u32_e32 v3, v3, v10
	v_mul_lo_u32 v10, v7, s19
	s_delay_alu instid0(VALU_DEP_4) | instskip(NEXT) | instid1(VALU_DEP_3)
	v_lshrrev_b32_e32 v8, s36, v8
	v_mad_u32 v12, v3, s25, v12
	v_mad_u32 v3, v3, s24, v4
	s_delay_alu instid0(VALU_DEP_4) | instskip(NEXT) | instid1(VALU_DEP_4)
	v_sub_nc_u32_e32 v4, v5, v10
	v_mul_hi_u32 v11, s38, v8
	v_mul_lo_u32 v5, v8, s22
	s_delay_alu instid0(VALU_DEP_1) | instskip(NEXT) | instid1(VALU_DEP_4)
	v_dual_add_nc_u32 v10, v8, v11 :: v_dual_sub_nc_u32 v5, v7, v5
	v_mad_u32 v11, v4, s27, v12
	v_mad_u32 v4, v4, s26, v3
	s_delay_alu instid0(VALU_DEP_3) | instskip(NEXT) | instid1(VALU_DEP_1)
	v_lshrrev_b32_e32 v3, s39, v10
	v_mul_lo_u32 v7, v3, s37
	s_delay_alu instid0(VALU_DEP_4) | instskip(NEXT) | instid1(VALU_DEP_4)
	v_mad_u32 v10, v5, s29, v11
	v_mad_u32 v4, v5, s28, v4
	s_delay_alu instid0(VALU_DEP_3) | instskip(NEXT) | instid1(VALU_DEP_1)
	v_sub_nc_u32_e32 v5, v8, v7
	v_mad_u32 v12, v5, s31, v10
	s_delay_alu instid0(VALU_DEP_3)
	v_mad_u32 v4, v5, s30, v4
	s_cbranch_scc1 .LBB111_978
; %bb.979:
	s_delay_alu instid0(VALU_DEP_2)
	v_mov_b32_e32 v5, v12
	s_and_b32 s6, s1, 3
	s_mov_b32 s1, 0
	s_cmp_eq_u32 s6, 0
	s_cbranch_scc0 .LBB111_983
	s_branch .LBB111_986
.LBB111_980:
	s_mov_b32 s8, -1
                                        ; implicit-def: $vgpr12
                                        ; implicit-def: $vgpr4
	s_branch .LBB111_986
.LBB111_981:
	v_dual_mov_b32 v12, 0 :: v_dual_mov_b32 v4, 0
	s_branch .LBB111_986
.LBB111_982:
	v_mov_b64_e32 v[4:5], 0
	v_mov_b32_e32 v3, v2
	s_mov_b32 s0, 0
                                        ; implicit-def: $vgpr12
	s_and_b32 s6, s1, 3
	s_mov_b32 s1, 0
	s_cmp_eq_u32 s6, 0
	s_cbranch_scc1 .LBB111_986
.LBB111_983:
	s_lshl_b32 s4, s0, 3
	s_mov_b32 s5, s1
	s_mul_u64 s[10:11], s[0:1], 12
	s_add_nc_u64 s[4:5], s[2:3], s[4:5]
	s_delay_alu instid0(SALU_CYCLE_1)
	s_add_nc_u64 s[0:1], s[4:5], 0xc4
	s_add_nc_u64 s[4:5], s[2:3], s[10:11]
.LBB111_984:                            ; =>This Inner Loop Header: Depth=1
	s_load_b96 s[16:18], s[4:5], 0x4
	s_load_b64 s[10:11], s[0:1], 0x0
	s_add_co_i32 s6, s6, -1
	s_wait_xcnt 0x0
	s_add_nc_u64 s[4:5], s[4:5], 12
	s_cmp_lg_u32 s6, 0
	s_add_nc_u64 s[0:1], s[0:1], 8
	s_wait_loadcnt 0x0
	s_wait_kmcnt 0x0
	v_mul_hi_u32 v7, s17, v3
	s_delay_alu instid0(VALU_DEP_1) | instskip(NEXT) | instid1(VALU_DEP_1)
	v_add_nc_u32_e32 v7, v3, v7
	v_lshrrev_b32_e32 v7, s18, v7
	s_delay_alu instid0(VALU_DEP_1) | instskip(NEXT) | instid1(VALU_DEP_1)
	v_mul_lo_u32 v8, v7, s16
	v_sub_nc_u32_e32 v3, v3, v8
	s_delay_alu instid0(VALU_DEP_1)
	v_mad_u32 v5, v3, s11, v5
	v_mad_u32 v4, v3, s10, v4
	v_mov_b32_e32 v3, v7
	s_cbranch_scc1 .LBB111_984
; %bb.985:
	s_delay_alu instid0(VALU_DEP_3)
	v_mov_b32_e32 v12, v5
.LBB111_986:
	s_and_not1_b32 vcc_lo, exec_lo, s8
	s_cbranch_vccnz .LBB111_989
; %bb.987:
	s_clause 0x1
	s_load_b96 s[4:6], s[2:3], 0x4
	s_load_b64 s[0:1], s[2:3], 0xc4
	s_cmp_lt_u32 s33, 2
	s_wait_kmcnt 0x0
	v_mul_hi_u32 v3, s5, v2
	s_delay_alu instid0(VALU_DEP_1) | instskip(NEXT) | instid1(VALU_DEP_1)
	v_add_nc_u32_e32 v3, v2, v3
	v_lshrrev_b32_e32 v3, s6, v3
	s_delay_alu instid0(VALU_DEP_1) | instskip(NEXT) | instid1(VALU_DEP_1)
	v_mul_lo_u32 v4, v3, s4
	v_sub_nc_u32_e32 v2, v2, v4
	s_delay_alu instid0(VALU_DEP_1)
	v_mul_lo_u32 v12, v2, s1
	v_mul_lo_u32 v4, v2, s0
	s_cbranch_scc1 .LBB111_989
; %bb.988:
	s_clause 0x1
	s_load_b96 s[4:6], s[2:3], 0x10
	s_load_b64 s[0:1], s[2:3], 0xcc
	s_wait_kmcnt 0x0
	v_mul_hi_u32 v2, s5, v3
	s_delay_alu instid0(VALU_DEP_1) | instskip(NEXT) | instid1(VALU_DEP_1)
	v_add_nc_u32_e32 v2, v3, v2
	v_lshrrev_b32_e32 v2, s6, v2
	s_delay_alu instid0(VALU_DEP_1) | instskip(NEXT) | instid1(VALU_DEP_1)
	v_mul_lo_u32 v2, v2, s4
	v_sub_nc_u32_e32 v2, v3, v2
	s_delay_alu instid0(VALU_DEP_1)
	v_mad_u32 v4, v2, s0, v4
	v_mad_u32 v12, v2, s1, v12
.LBB111_989:
	v_cmp_ne_u32_e32 vcc_lo, 1, v1
	v_add_nc_u32_e32 v0, 0x100, v0
	s_cbranch_vccnz .LBB111_995
; %bb.990:
	s_cmp_lg_u32 s33, 0
	s_mov_b32 s8, 0
	s_cbranch_scc0 .LBB111_996
; %bb.991:
	s_min_u32 s1, s34, 15
	s_delay_alu instid0(SALU_CYCLE_1)
	s_add_co_i32 s1, s1, 1
	s_cmp_eq_u32 s34, 2
	s_cbranch_scc1 .LBB111_997
; %bb.992:
	v_dual_mov_b32 v2, 0 :: v_dual_mov_b32 v10, 0
	v_mov_b32_e32 v5, v0
	s_and_b32 s0, s1, 28
	s_add_nc_u64 s[4:5], s[2:3], 0xc4
	s_mov_b32 s9, 0
	s_mov_b64 s[6:7], s[2:3]
.LBB111_993:                            ; =>This Inner Loop Header: Depth=1
	s_clause 0x1
	s_load_b256 s[16:23], s[6:7], 0x4
	s_load_b128 s[36:39], s[6:7], 0x24
	s_load_b256 s[24:31], s[4:5], 0x0
	s_add_co_i32 s9, s9, 4
	s_wait_xcnt 0x0
	s_add_nc_u64 s[6:7], s[6:7], 48
	s_cmp_lg_u32 s0, s9
	s_add_nc_u64 s[4:5], s[4:5], 32
	s_wait_kmcnt 0x0
	v_mul_hi_u32 v3, s17, v5
	s_delay_alu instid0(VALU_DEP_1) | instskip(NEXT) | instid1(VALU_DEP_1)
	v_add_nc_u32_e32 v3, v5, v3
	v_lshrrev_b32_e32 v3, s18, v3
	s_wait_loadcnt 0x0
	s_delay_alu instid0(VALU_DEP_1) | instskip(NEXT) | instid1(VALU_DEP_1)
	v_mul_hi_u32 v7, s20, v3
	v_add_nc_u32_e32 v7, v3, v7
	s_delay_alu instid0(VALU_DEP_1) | instskip(NEXT) | instid1(VALU_DEP_1)
	v_lshrrev_b32_e32 v7, s21, v7
	v_mul_hi_u32 v8, s23, v7
	s_delay_alu instid0(VALU_DEP_1) | instskip(NEXT) | instid1(VALU_DEP_1)
	v_add_nc_u32_e32 v8, v7, v8
	v_lshrrev_b32_e32 v8, s36, v8
	v_mul_lo_u32 v11, v3, s16
	s_delay_alu instid0(VALU_DEP_2) | instskip(NEXT) | instid1(VALU_DEP_2)
	v_mul_hi_u32 v13, s38, v8
	v_sub_nc_u32_e32 v5, v5, v11
	s_delay_alu instid0(VALU_DEP_1) | instskip(SKIP_1) | instid1(VALU_DEP_4)
	v_mad_u32 v10, v5, s25, v10
	v_mad_u32 v2, v5, s24, v2
	v_add_nc_u32_e32 v5, v8, v13
	s_delay_alu instid0(VALU_DEP_1) | instskip(SKIP_1) | instid1(VALU_DEP_1)
	v_lshrrev_b32_e32 v5, s39, v5
	v_mul_lo_u32 v11, v7, s19
	v_sub_nc_u32_e32 v3, v3, v11
	v_mul_lo_u32 v11, v8, s22
	s_delay_alu instid0(VALU_DEP_2) | instskip(SKIP_1) | instid1(VALU_DEP_3)
	v_mad_u32 v10, v3, s27, v10
	v_mad_u32 v2, v3, s26, v2
	v_sub_nc_u32_e32 v3, v7, v11
	v_mul_lo_u32 v7, v5, s37
	s_delay_alu instid0(VALU_DEP_2) | instskip(NEXT) | instid1(VALU_DEP_4)
	v_mad_u32 v10, v3, s29, v10
	v_mad_u32 v2, v3, s28, v2
	s_delay_alu instid0(VALU_DEP_3) | instskip(NEXT) | instid1(VALU_DEP_1)
	v_sub_nc_u32_e32 v3, v8, v7
	v_mad_u32 v10, v3, s31, v10
	s_delay_alu instid0(VALU_DEP_3)
	v_mad_u32 v2, v3, s30, v2
	s_cbranch_scc1 .LBB111_993
; %bb.994:
	s_delay_alu instid0(VALU_DEP_2)
	v_mov_b32_e32 v3, v10
	s_and_b32 s6, s1, 3
	s_mov_b32 s1, 0
	s_cmp_eq_u32 s6, 0
	s_cbranch_scc0 .LBB111_998
	s_branch .LBB111_1001
.LBB111_995:
	s_mov_b32 s8, -1
                                        ; implicit-def: $vgpr10
                                        ; implicit-def: $vgpr2
	s_branch .LBB111_1001
.LBB111_996:
	v_dual_mov_b32 v10, 0 :: v_dual_mov_b32 v2, 0
	s_branch .LBB111_1001
.LBB111_997:
	v_mov_b64_e32 v[2:3], 0
	v_mov_b32_e32 v5, v0
	s_mov_b32 s0, 0
                                        ; implicit-def: $vgpr10
	s_and_b32 s6, s1, 3
	s_mov_b32 s1, 0
	s_cmp_eq_u32 s6, 0
	s_cbranch_scc1 .LBB111_1001
.LBB111_998:
	s_lshl_b32 s4, s0, 3
	s_mov_b32 s5, s1
	s_mul_u64 s[10:11], s[0:1], 12
	s_add_nc_u64 s[4:5], s[2:3], s[4:5]
	s_delay_alu instid0(SALU_CYCLE_1)
	s_add_nc_u64 s[0:1], s[4:5], 0xc4
	s_add_nc_u64 s[4:5], s[2:3], s[10:11]
.LBB111_999:                            ; =>This Inner Loop Header: Depth=1
	s_load_b96 s[16:18], s[4:5], 0x4
	s_load_b64 s[10:11], s[0:1], 0x0
	s_add_co_i32 s6, s6, -1
	s_wait_xcnt 0x0
	s_add_nc_u64 s[4:5], s[4:5], 12
	s_cmp_lg_u32 s6, 0
	s_add_nc_u64 s[0:1], s[0:1], 8
	s_wait_loadcnt 0x0
	s_wait_kmcnt 0x0
	v_mul_hi_u32 v7, s17, v5
	s_delay_alu instid0(VALU_DEP_1) | instskip(NEXT) | instid1(VALU_DEP_1)
	v_add_nc_u32_e32 v7, v5, v7
	v_lshrrev_b32_e32 v7, s18, v7
	s_delay_alu instid0(VALU_DEP_1) | instskip(NEXT) | instid1(VALU_DEP_1)
	v_mul_lo_u32 v8, v7, s16
	v_sub_nc_u32_e32 v5, v5, v8
	s_delay_alu instid0(VALU_DEP_1)
	v_mad_u32 v3, v5, s11, v3
	v_mad_u32 v2, v5, s10, v2
	v_mov_b32_e32 v5, v7
	s_cbranch_scc1 .LBB111_999
; %bb.1000:
	s_delay_alu instid0(VALU_DEP_3)
	v_mov_b32_e32 v10, v3
.LBB111_1001:
	s_and_not1_b32 vcc_lo, exec_lo, s8
	s_cbranch_vccnz .LBB111_1004
; %bb.1002:
	s_clause 0x1
	s_load_b96 s[4:6], s[2:3], 0x4
	s_load_b64 s[0:1], s[2:3], 0xc4
	s_cmp_lt_u32 s33, 2
	s_wait_kmcnt 0x0
	v_mul_hi_u32 v2, s5, v0
	s_delay_alu instid0(VALU_DEP_1) | instskip(NEXT) | instid1(VALU_DEP_1)
	v_add_nc_u32_e32 v2, v0, v2
	v_lshrrev_b32_e32 v3, s6, v2
	s_delay_alu instid0(VALU_DEP_1) | instskip(NEXT) | instid1(VALU_DEP_1)
	v_mul_lo_u32 v2, v3, s4
	v_sub_nc_u32_e32 v0, v0, v2
	s_delay_alu instid0(VALU_DEP_1)
	v_mul_lo_u32 v10, v0, s1
	v_mul_lo_u32 v2, v0, s0
	s_cbranch_scc1 .LBB111_1004
; %bb.1003:
	s_clause 0x1
	s_load_b96 s[4:6], s[2:3], 0x10
	s_load_b64 s[0:1], s[2:3], 0xcc
	s_wait_kmcnt 0x0
	v_mul_hi_u32 v0, s5, v3
	s_delay_alu instid0(VALU_DEP_1) | instskip(NEXT) | instid1(VALU_DEP_1)
	v_add_nc_u32_e32 v0, v3, v0
	v_lshrrev_b32_e32 v0, s6, v0
	s_delay_alu instid0(VALU_DEP_1) | instskip(NEXT) | instid1(VALU_DEP_1)
	v_mul_lo_u32 v0, v0, s4
	v_sub_nc_u32_e32 v0, v3, v0
	s_delay_alu instid0(VALU_DEP_1)
	v_mad_u32 v2, v0, s0, v2
	v_mad_u32 v10, v0, s1, v10
.LBB111_1004:
	v_cmp_ne_u32_e32 vcc_lo, 1, v1
	s_cbranch_vccnz .LBB111_1010
; %bb.1005:
	s_cmp_lg_u32 s33, 0
	s_mov_b32 s8, 0
	s_cbranch_scc0 .LBB111_1011
; %bb.1006:
	s_min_u32 s1, s34, 15
	s_delay_alu instid0(SALU_CYCLE_1)
	s_add_co_i32 s1, s1, 1
	s_cmp_eq_u32 s34, 2
	s_cbranch_scc1 .LBB111_1012
; %bb.1007:
	v_dual_mov_b32 v0, 0 :: v_dual_mov_b32 v8, 0
	v_mov_b32_e32 v3, v9
	s_and_b32 s0, s1, 28
	s_add_nc_u64 s[4:5], s[2:3], 0xc4
	s_mov_b32 s9, 0
	s_mov_b64 s[6:7], s[2:3]
.LBB111_1008:                           ; =>This Inner Loop Header: Depth=1
	s_clause 0x1
	s_load_b256 s[16:23], s[6:7], 0x4
	s_load_b128 s[36:39], s[6:7], 0x24
	s_load_b256 s[24:31], s[4:5], 0x0
	s_add_co_i32 s9, s9, 4
	s_wait_xcnt 0x0
	s_add_nc_u64 s[6:7], s[6:7], 48
	s_cmp_lg_u32 s0, s9
	s_add_nc_u64 s[4:5], s[4:5], 32
	s_wait_kmcnt 0x0
	v_mul_hi_u32 v1, s17, v3
	s_delay_alu instid0(VALU_DEP_1) | instskip(NEXT) | instid1(VALU_DEP_1)
	v_add_nc_u32_e32 v1, v3, v1
	v_lshrrev_b32_e32 v1, s18, v1
	s_delay_alu instid0(VALU_DEP_1) | instskip(NEXT) | instid1(VALU_DEP_1)
	v_mul_lo_u32 v11, v1, s16
	v_sub_nc_u32_e32 v3, v3, v11
	v_mul_hi_u32 v5, s20, v1
	s_delay_alu instid0(VALU_DEP_2) | instskip(SKIP_1) | instid1(VALU_DEP_3)
	v_mad_u32 v8, v3, s25, v8
	v_mad_u32 v0, v3, s24, v0
	v_add_nc_u32_e32 v5, v1, v5
	s_delay_alu instid0(VALU_DEP_1) | instskip(NEXT) | instid1(VALU_DEP_1)
	v_lshrrev_b32_e32 v5, s21, v5
	v_mul_lo_u32 v11, v5, s19
	s_delay_alu instid0(VALU_DEP_1) | instskip(SKIP_2) | instid1(VALU_DEP_2)
	v_sub_nc_u32_e32 v1, v1, v11
	s_wait_loadcnt 0x0
	v_mul_hi_u32 v7, s23, v5
	v_mad_u32 v8, v1, s27, v8
	v_mad_u32 v0, v1, s26, v0
	s_delay_alu instid0(VALU_DEP_3) | instskip(NEXT) | instid1(VALU_DEP_1)
	v_add_nc_u32_e32 v7, v5, v7
	v_lshrrev_b32_e32 v7, s36, v7
	s_delay_alu instid0(VALU_DEP_1) | instskip(SKIP_1) | instid1(VALU_DEP_1)
	v_mul_hi_u32 v13, s38, v7
	v_mul_lo_u32 v11, v7, s22
	v_dual_add_nc_u32 v3, v7, v13 :: v_dual_sub_nc_u32 v1, v5, v11
	s_delay_alu instid0(VALU_DEP_1) | instskip(NEXT) | instid1(VALU_DEP_2)
	v_lshrrev_b32_e32 v3, s39, v3
	v_mad_u32 v8, v1, s29, v8
	v_mad_u32 v0, v1, s28, v0
	s_delay_alu instid0(VALU_DEP_3) | instskip(NEXT) | instid1(VALU_DEP_1)
	v_mul_lo_u32 v5, v3, s37
	v_sub_nc_u32_e32 v1, v7, v5
	s_delay_alu instid0(VALU_DEP_1) | instskip(NEXT) | instid1(VALU_DEP_4)
	v_mad_u32 v8, v1, s31, v8
	v_mad_u32 v0, v1, s30, v0
	s_cbranch_scc1 .LBB111_1008
; %bb.1009:
	s_delay_alu instid0(VALU_DEP_2)
	v_mov_b32_e32 v1, v8
	s_and_b32 s6, s1, 3
	s_mov_b32 s1, 0
	s_cmp_eq_u32 s6, 0
	s_cbranch_scc0 .LBB111_1013
	s_branch .LBB111_1016
.LBB111_1010:
	s_mov_b32 s8, -1
                                        ; implicit-def: $vgpr8
                                        ; implicit-def: $vgpr0
	s_branch .LBB111_1016
.LBB111_1011:
	v_dual_mov_b32 v8, 0 :: v_dual_mov_b32 v0, 0
	s_branch .LBB111_1016
.LBB111_1012:
	v_mov_b64_e32 v[0:1], 0
	v_mov_b32_e32 v3, v9
	s_mov_b32 s0, 0
                                        ; implicit-def: $vgpr8
	s_and_b32 s6, s1, 3
	s_mov_b32 s1, 0
	s_cmp_eq_u32 s6, 0
	s_cbranch_scc1 .LBB111_1016
.LBB111_1013:
	s_lshl_b32 s4, s0, 3
	s_mov_b32 s5, s1
	s_mul_u64 s[10:11], s[0:1], 12
	s_add_nc_u64 s[4:5], s[2:3], s[4:5]
	s_delay_alu instid0(SALU_CYCLE_1)
	s_add_nc_u64 s[0:1], s[4:5], 0xc4
	s_add_nc_u64 s[4:5], s[2:3], s[10:11]
.LBB111_1014:                           ; =>This Inner Loop Header: Depth=1
	s_load_b96 s[16:18], s[4:5], 0x4
	s_load_b64 s[10:11], s[0:1], 0x0
	s_add_co_i32 s6, s6, -1
	s_wait_xcnt 0x0
	s_add_nc_u64 s[4:5], s[4:5], 12
	s_cmp_lg_u32 s6, 0
	s_add_nc_u64 s[0:1], s[0:1], 8
	s_wait_kmcnt 0x0
	v_mul_hi_u32 v5, s17, v3
	s_delay_alu instid0(VALU_DEP_1) | instskip(NEXT) | instid1(VALU_DEP_1)
	v_add_nc_u32_e32 v5, v3, v5
	v_lshrrev_b32_e32 v5, s18, v5
	s_wait_loadcnt 0x0
	s_delay_alu instid0(VALU_DEP_1) | instskip(NEXT) | instid1(VALU_DEP_1)
	v_mul_lo_u32 v7, v5, s16
	v_sub_nc_u32_e32 v3, v3, v7
	s_delay_alu instid0(VALU_DEP_1)
	v_mad_u32 v1, v3, s11, v1
	v_mad_u32 v0, v3, s10, v0
	v_mov_b32_e32 v3, v5
	s_cbranch_scc1 .LBB111_1014
; %bb.1015:
	s_delay_alu instid0(VALU_DEP_3)
	v_mov_b32_e32 v8, v1
.LBB111_1016:
	s_and_not1_b32 vcc_lo, exec_lo, s8
	s_cbranch_vccnz .LBB111_1019
; %bb.1017:
	s_clause 0x1
	s_load_b96 s[4:6], s[2:3], 0x4
	s_load_b64 s[0:1], s[2:3], 0xc4
	s_cmp_lt_u32 s33, 2
	s_wait_kmcnt 0x0
	v_mul_hi_u32 v0, s5, v9
	s_delay_alu instid0(VALU_DEP_1) | instskip(NEXT) | instid1(VALU_DEP_1)
	v_add_nc_u32_e32 v0, v9, v0
	v_lshrrev_b32_e32 v1, s6, v0
	s_delay_alu instid0(VALU_DEP_1) | instskip(NEXT) | instid1(VALU_DEP_1)
	v_mul_lo_u32 v0, v1, s4
	v_sub_nc_u32_e32 v0, v9, v0
	s_delay_alu instid0(VALU_DEP_1)
	v_mul_lo_u32 v8, v0, s1
	v_mul_lo_u32 v0, v0, s0
	s_cbranch_scc1 .LBB111_1019
; %bb.1018:
	s_clause 0x1
	s_load_b96 s[4:6], s[2:3], 0x10
	s_load_b64 s[0:1], s[2:3], 0xcc
	s_wait_kmcnt 0x0
	v_mul_hi_u32 v3, s5, v1
	s_delay_alu instid0(VALU_DEP_1) | instskip(NEXT) | instid1(VALU_DEP_1)
	v_add_nc_u32_e32 v3, v1, v3
	v_lshrrev_b32_e32 v3, s6, v3
	s_delay_alu instid0(VALU_DEP_1) | instskip(NEXT) | instid1(VALU_DEP_1)
	v_mul_lo_u32 v3, v3, s4
	v_sub_nc_u32_e32 v1, v1, v3
	s_delay_alu instid0(VALU_DEP_1)
	v_mad_u32 v0, v1, s0, v0
	v_mad_u32 v8, v1, s1, v8
.LBB111_1019:
	v_mov_b32_e32 v15, 0
	s_load_b256 s[4:11], s[2:3], 0x148
	global_load_u8 v1, v15, s[2:3] offset:361
	s_wait_kmcnt 0x0
	v_add_nc_u64_e32 v[14:15], s[6:7], v[14:15]
	s_wait_loadcnt 0x0
	v_and_b32_e32 v3, 0xffff, v1
	v_readfirstlane_b32 s15, v1
	s_delay_alu instid0(VALU_DEP_2)
	v_cmp_gt_i32_e32 vcc_lo, 11, v3
	s_cbranch_vccnz .LBB111_1026
; %bb.1020:
	s_and_b32 s0, 0xffff, s15
	s_mov_b32 s14, 0
	s_cmp_gt_i32 s0, 25
	s_cbranch_scc0 .LBB111_1037
; %bb.1021:
	s_cmp_gt_i32 s0, 28
	s_cbranch_scc0 .LBB111_1038
; %bb.1022:
	s_cmp_gt_i32 s0, 43
	s_cbranch_scc0 .LBB111_1050
; %bb.1023:
	s_cmp_gt_i32 s0, 45
	s_cbranch_scc0 .LBB111_1052
; %bb.1024:
	s_cmp_eq_u32 s0, 46
	s_mov_b32 s17, 0
	s_cbranch_scc0 .LBB111_1055
; %bb.1025:
	global_load_b32 v1, v[14:15], off
	s_mov_b32 s1, 0
	s_mov_b32 s16, -1
	s_wait_loadcnt 0x0
	v_lshlrev_b32_e32 v1, 16, v1
	s_delay_alu instid0(VALU_DEP_1) | instskip(NEXT) | instid1(VALU_DEP_1)
	v_trunc_f32_e32 v1, v1
	v_mul_f32_e64 v3, 0x2f800000, |v1|
	v_ashrrev_i32_e32 v16, 31, v1
	s_delay_alu instid0(VALU_DEP_2) | instskip(NEXT) | instid1(VALU_DEP_2)
	v_floor_f32_e32 v3, v3
	v_mov_b32_e32 v17, v16
	s_delay_alu instid0(VALU_DEP_2) | instskip(SKIP_1) | instid1(VALU_DEP_2)
	v_fma_f32 v5, 0xcf800000, v3, |v1|
	v_cvt_u32_f32_e32 v1, v3
	v_cvt_u32_f32_e32 v3, v5
	s_delay_alu instid0(VALU_DEP_2) | instskip(NEXT) | instid1(VALU_DEP_2)
	v_xor_b32_e32 v19, v1, v16
	v_xor_b32_e32 v18, v3, v16
	s_delay_alu instid0(VALU_DEP_1)
	v_sub_nc_u64_e32 v[16:17], v[18:19], v[16:17]
	s_branch .LBB111_1057
.LBB111_1026:
	s_mov_b32 s16, 0
	s_mov_b32 s1, s12
                                        ; implicit-def: $vgpr16_vgpr17
	s_cbranch_execnz .LBB111_1117
.LBB111_1027:
	s_and_not1_b32 vcc_lo, exec_lo, s16
	s_cbranch_vccnz .LBB111_1162
.LBB111_1028:
	s_wait_loadcnt 0x0
	s_delay_alu instid0(VALU_DEP_1)
	v_cmp_gt_i64_e32 vcc_lo, s[8:9], v[16:17]
	v_cmp_le_i64_e64 s0, s[10:11], v[16:17]
	s_get_pc_i64 s[16:17]
	s_add_nc_u64 s[16:17], s[16:17], .str.5@rel64+4
	s_or_b32 s0, vcc_lo, s0
	s_cmp_eq_u64 s[16:17], 0
	s_cselect_b32 s14, -1, 0
	s_delay_alu instid0(SALU_CYCLE_1) | instskip(SKIP_2) | instid1(SALU_CYCLE_1)
	s_or_b32 s0, s14, s0
	s_wait_xcnt 0x0
	s_and_saveexec_b32 s14, s0
	s_xor_b32 s0, exec_lo, s14
	s_cbranch_execnz .LBB111_1412
.LBB111_1029:
	s_or_saveexec_b32 s14, s0
	s_mov_b32 s16, 0
	s_mov_b32 s18, 0
                                        ; implicit-def: $vgpr14_vgpr15
                                        ; implicit-def: $sgpr0
	s_xor_b32 exec_lo, exec_lo, s14
	s_cbranch_execz .LBB111_1851
; %bb.1030:
	v_mov_b32_e32 v13, 0
	s_and_b32 s19, 0xffff, s15
	s_delay_alu instid0(SALU_CYCLE_1) | instskip(NEXT) | instid1(VALU_DEP_1)
	s_cmp_lt_i32 s19, 11
	v_add_nc_u64_e32 v[12:13], s[6:7], v[12:13]
	s_cbranch_scc1 .LBB111_1039
; %bb.1031:
	s_cmp_gt_i32 s19, 25
	s_cbranch_scc0 .LBB111_1051
; %bb.1032:
	s_cmp_gt_i32 s19, 28
	s_cbranch_scc0 .LBB111_1053
	;; [unrolled: 3-line block ×4, first 2 shown]
; %bb.1035:
	s_cmp_eq_u32 s19, 46
	s_mov_b32 s15, 0
	s_cbranch_scc0 .LBB111_1166
; %bb.1036:
	global_load_b32 v1, v[12:13], off
	s_mov_b32 s0, 0
	s_mov_b32 s17, -1
	s_wait_loadcnt 0x0
	v_lshlrev_b32_e32 v1, 16, v1
	s_delay_alu instid0(VALU_DEP_1) | instskip(NEXT) | instid1(VALU_DEP_1)
	v_trunc_f32_e32 v1, v1
	v_mul_f32_e64 v3, 0x2f800000, |v1|
	v_ashrrev_i32_e32 v14, 31, v1
	s_delay_alu instid0(VALU_DEP_2) | instskip(NEXT) | instid1(VALU_DEP_2)
	v_floor_f32_e32 v3, v3
	v_mov_b32_e32 v15, v14
	s_delay_alu instid0(VALU_DEP_2) | instskip(SKIP_1) | instid1(VALU_DEP_2)
	v_fma_f32 v5, 0xcf800000, v3, |v1|
	v_cvt_u32_f32_e32 v1, v3
	v_cvt_u32_f32_e32 v3, v5
	s_delay_alu instid0(VALU_DEP_2) | instskip(NEXT) | instid1(VALU_DEP_2)
	v_xor_b32_e32 v17, v1, v14
	v_xor_b32_e32 v16, v3, v14
	s_delay_alu instid0(VALU_DEP_1)
	v_sub_nc_u64_e32 v[14:15], v[16:17], v[14:15]
	s_branch .LBB111_1168
.LBB111_1037:
	s_mov_b32 s16, 0
	s_mov_b32 s1, 0
                                        ; implicit-def: $vgpr16_vgpr17
	s_cbranch_execnz .LBB111_1084
	s_branch .LBB111_1113
.LBB111_1038:
	s_mov_b32 s16, 0
	s_mov_b32 s1, 0
                                        ; implicit-def: $vgpr16_vgpr17
	s_cbranch_execz .LBB111_1083
	s_branch .LBB111_1068
.LBB111_1039:
	s_mov_b32 s17, 0
	s_mov_b32 s15, s1
                                        ; implicit-def: $vgpr14_vgpr15
	s_cbranch_execnz .LBB111_1231
.LBB111_1040:
	s_and_not1_b32 vcc_lo, exec_lo, s17
	s_cbranch_vccnz .LBB111_1279
.LBB111_1041:
	s_wait_loadcnt 0x0
	s_delay_alu instid0(VALU_DEP_1) | instskip(SKIP_4) | instid1(SALU_CYCLE_1)
	v_cmp_gt_i64_e32 vcc_lo, s[8:9], v[14:15]
	v_cmp_le_i64_e64 s0, s[10:11], v[14:15]
	s_or_b32 s0, vcc_lo, s0
	s_wait_xcnt 0x0
	s_and_saveexec_b32 s16, s0
	s_xor_b32 s0, exec_lo, s16
	s_cbranch_execnz .LBB111_1899
.LBB111_1042:
	s_or_saveexec_b32 s16, s0
	s_mov_b32 s17, 0
	s_mov_b32 s18, 0
                                        ; implicit-def: $vgpr14_vgpr15
                                        ; implicit-def: $sgpr0
	s_xor_b32 exec_lo, exec_lo, s16
	s_cbranch_execz .LBB111_1849
; %bb.1043:
	v_mov_b32_e32 v11, 0
	s_cmp_lt_i32 s19, 11
	s_delay_alu instid0(VALU_DEP_1)
	v_add_nc_u64_e32 v[10:11], s[6:7], v[10:11]
	s_cbranch_scc1 .LBB111_1054
; %bb.1044:
	s_cmp_gt_i32 s19, 25
	s_cbranch_scc0 .LBB111_1062
; %bb.1045:
	s_cmp_gt_i32 s19, 28
	s_cbranch_scc0 .LBB111_1165
; %bb.1046:
	s_cmp_gt_i32 s19, 43
	s_cbranch_scc0 .LBB111_1171
; %bb.1047:
	s_cmp_gt_i32 s19, 45
	s_cbranch_scc0 .LBB111_1281
; %bb.1048:
	s_cmp_eq_u32 s19, 46
	s_cbranch_scc0 .LBB111_1282
; %bb.1049:
	global_load_b32 v1, v[10:11], off
	s_mov_b32 s0, 0
	s_mov_b32 s20, -1
	s_wait_loadcnt 0x0
	v_lshlrev_b32_e32 v1, 16, v1
	s_delay_alu instid0(VALU_DEP_1) | instskip(NEXT) | instid1(VALU_DEP_1)
	v_trunc_f32_e32 v1, v1
	v_mul_f32_e64 v3, 0x2f800000, |v1|
	v_ashrrev_i32_e32 v12, 31, v1
	s_delay_alu instid0(VALU_DEP_2) | instskip(NEXT) | instid1(VALU_DEP_2)
	v_floor_f32_e32 v3, v3
	v_mov_b32_e32 v13, v12
	s_delay_alu instid0(VALU_DEP_2) | instskip(SKIP_1) | instid1(VALU_DEP_2)
	v_fma_f32 v5, 0xcf800000, v3, |v1|
	v_cvt_u32_f32_e32 v1, v3
	v_cvt_u32_f32_e32 v3, v5
	s_delay_alu instid0(VALU_DEP_2) | instskip(NEXT) | instid1(VALU_DEP_2)
	v_xor_b32_e32 v15, v1, v12
	v_xor_b32_e32 v14, v3, v12
	s_delay_alu instid0(VALU_DEP_1)
	v_sub_nc_u64_e32 v[12:13], v[14:15], v[12:13]
	s_branch .LBB111_1284
.LBB111_1050:
	s_mov_b32 s16, 0
	s_mov_b32 s1, 0
                                        ; implicit-def: $vgpr16_vgpr17
	s_cbranch_execnz .LBB111_1064
	s_branch .LBB111_1067
.LBB111_1051:
	s_mov_b32 s15, -1
	s_mov_b32 s17, 0
	s_mov_b32 s0, 0
                                        ; implicit-def: $vgpr14_vgpr15
	s_branch .LBB111_1196
.LBB111_1052:
	s_mov_b32 s17, -1
	s_mov_b32 s16, 0
	s_mov_b32 s1, 0
	s_branch .LBB111_1056
.LBB111_1053:
	s_mov_b32 s15, -1
	s_mov_b32 s17, 0
	s_mov_b32 s0, 0
                                        ; implicit-def: $vgpr14_vgpr15
	s_branch .LBB111_1179
.LBB111_1054:
	s_mov_b32 s0, -1
	s_mov_b32 s20, 0
	s_mov_b32 s17, s15
                                        ; implicit-def: $vgpr12_vgpr13
	s_branch .LBB111_1346
.LBB111_1055:
	s_mov_b32 s1, -1
	s_mov_b32 s16, 0
.LBB111_1056:
                                        ; implicit-def: $vgpr16_vgpr17
.LBB111_1057:
	s_and_b32 vcc_lo, exec_lo, s17
	s_cbranch_vccz .LBB111_1060
; %bb.1058:
	s_cmp_eq_u32 s0, 44
	s_cbranch_scc0 .LBB111_1063
; %bb.1059:
	global_load_u8 v1, v[14:15], off
	s_mov_b32 s1, 0
	s_mov_b32 s16, -1
	s_wait_loadcnt 0x0
	v_lshlrev_b32_e32 v3, 23, v1
	v_cmp_ne_u32_e32 vcc_lo, 0, v1
	s_delay_alu instid0(VALU_DEP_2) | instskip(NEXT) | instid1(VALU_DEP_1)
	v_trunc_f32_e32 v3, v3
	v_mul_f32_e64 v5, 0x2f800000, |v3|
	v_ashrrev_i32_e32 v16, 31, v3
	s_delay_alu instid0(VALU_DEP_2) | instskip(NEXT) | instid1(VALU_DEP_2)
	v_floor_f32_e32 v5, v5
	v_mov_b32_e32 v17, v16
	s_delay_alu instid0(VALU_DEP_2) | instskip(SKIP_1) | instid1(VALU_DEP_2)
	v_fma_f32 v7, 0xcf800000, v5, |v3|
	v_cvt_u32_f32_e32 v3, v5
	v_cvt_u32_f32_e32 v5, v7
	s_delay_alu instid0(VALU_DEP_2) | instskip(NEXT) | instid1(VALU_DEP_2)
	v_xor_b32_e32 v19, v3, v16
	v_xor_b32_e32 v18, v5, v16
	s_delay_alu instid0(VALU_DEP_1) | instskip(NEXT) | instid1(VALU_DEP_1)
	v_sub_nc_u64_e32 v[16:17], v[18:19], v[16:17]
	v_dual_cndmask_b32 v17, 0, v17 :: v_dual_cndmask_b32 v16, 0, v16
.LBB111_1060:
	s_branch .LBB111_1067
.LBB111_1061:
	s_mov_b32 s15, -1
	s_mov_b32 s17, 0
	s_mov_b32 s0, 0
                                        ; implicit-def: $vgpr14_vgpr15
	s_branch .LBB111_1174
.LBB111_1062:
	s_mov_b32 s17, -1
	s_mov_b32 s20, 0
	s_mov_b32 s0, 0
                                        ; implicit-def: $vgpr12_vgpr13
	s_branch .LBB111_1311
.LBB111_1063:
	s_mov_b32 s1, -1
                                        ; implicit-def: $vgpr16_vgpr17
	s_branch .LBB111_1067
.LBB111_1064:
	s_cmp_eq_u32 s0, 29
	s_cbranch_scc0 .LBB111_1066
; %bb.1065:
	global_load_b64 v[16:17], v[14:15], off
	s_mov_b32 s1, 0
	s_mov_b32 s16, -1
	s_branch .LBB111_1067
.LBB111_1066:
	s_mov_b32 s1, -1
                                        ; implicit-def: $vgpr16_vgpr17
.LBB111_1067:
	s_branch .LBB111_1083
.LBB111_1068:
	s_cmp_lt_i32 s0, 27
	s_cbranch_scc1 .LBB111_1071
; %bb.1069:
	s_cmp_gt_i32 s0, 27
	s_cbranch_scc0 .LBB111_1072
; %bb.1070:
	s_wait_loadcnt 0x0
	global_load_b32 v16, v[14:15], off
	v_mov_b32_e32 v17, 0
	s_mov_b32 s16, 0
	s_branch .LBB111_1073
.LBB111_1071:
	s_mov_b32 s16, -1
                                        ; implicit-def: $vgpr16_vgpr17
	s_branch .LBB111_1076
.LBB111_1072:
	s_mov_b32 s16, -1
                                        ; implicit-def: $vgpr16_vgpr17
.LBB111_1073:
	s_delay_alu instid0(SALU_CYCLE_1)
	s_and_not1_b32 vcc_lo, exec_lo, s16
	s_cbranch_vccnz .LBB111_1075
; %bb.1074:
	global_load_u16 v1, v[14:15], off
	s_mov_b32 s16, 0
	s_wait_loadcnt 0x1
	v_mov_b32_e32 v17, s16
	s_wait_loadcnt 0x0
	v_and_b32_e32 v16, 0xffff, v1
.LBB111_1075:
	s_mov_b32 s16, 0
.LBB111_1076:
	s_delay_alu instid0(SALU_CYCLE_1)
	s_and_not1_b32 vcc_lo, exec_lo, s16
	s_cbranch_vccnz .LBB111_1082
; %bb.1077:
	global_load_u8 v1, v[14:15], off
	s_mov_b32 s17, 0
	s_mov_b32 s16, exec_lo
	s_wait_loadcnt 0x0
	v_cmpx_lt_i16_e32 0x7f, v1
	s_xor_b32 s16, exec_lo, s16
	s_cbranch_execz .LBB111_1093
; %bb.1078:
	v_cmp_ne_u16_e32 vcc_lo, 0x80, v1
	s_and_b32 s17, vcc_lo, exec_lo
	s_and_not1_saveexec_b32 s16, s16
	s_cbranch_execnz .LBB111_1094
.LBB111_1079:
	s_or_b32 exec_lo, exec_lo, s16
	v_mov_b64_e32 v[16:17], 0
	s_and_saveexec_b32 s16, s17
	s_cbranch_execz .LBB111_1081
.LBB111_1080:
	v_and_b32_e32 v3, 0xffff, v1
	s_delay_alu instid0(VALU_DEP_1) | instskip(SKIP_1) | instid1(VALU_DEP_2)
	v_dual_lshlrev_b32 v1, 24, v1 :: v_dual_bitop2_b32 v5, 7, v3 bitop3:0x40
	v_bfe_u32 v11, v3, 3, 4
	v_and_b32_e32 v1, 0x80000000, v1
	s_delay_alu instid0(VALU_DEP_3) | instskip(NEXT) | instid1(VALU_DEP_3)
	v_clz_i32_u32_e32 v7, v5
	v_cmp_eq_u32_e32 vcc_lo, 0, v11
	s_delay_alu instid0(VALU_DEP_2) | instskip(NEXT) | instid1(VALU_DEP_1)
	v_min_u32_e32 v7, 32, v7
	v_subrev_nc_u32_e32 v9, 28, v7
	v_sub_nc_u32_e32 v7, 29, v7
	s_delay_alu instid0(VALU_DEP_2) | instskip(NEXT) | instid1(VALU_DEP_2)
	v_lshlrev_b32_e32 v3, v9, v3
	v_cndmask_b32_e32 v7, v11, v7, vcc_lo
	s_delay_alu instid0(VALU_DEP_2) | instskip(NEXT) | instid1(VALU_DEP_1)
	v_and_b32_e32 v3, 7, v3
	v_cndmask_b32_e32 v3, v5, v3, vcc_lo
	s_delay_alu instid0(VALU_DEP_3) | instskip(NEXT) | instid1(VALU_DEP_2)
	v_lshl_add_u32 v5, v7, 23, 0x3b800000
	v_lshlrev_b32_e32 v3, 20, v3
	s_delay_alu instid0(VALU_DEP_1) | instskip(NEXT) | instid1(VALU_DEP_1)
	v_or3_b32 v1, v1, v5, v3
	v_trunc_f32_e32 v1, v1
	s_delay_alu instid0(VALU_DEP_1) | instskip(SKIP_1) | instid1(VALU_DEP_2)
	v_mul_f32_e64 v3, 0x2f800000, |v1|
	v_ashrrev_i32_e32 v16, 31, v1
	v_floor_f32_e32 v3, v3
	s_delay_alu instid0(VALU_DEP_2) | instskip(NEXT) | instid1(VALU_DEP_2)
	v_mov_b32_e32 v17, v16
	v_fma_f32 v5, 0xcf800000, v3, |v1|
	v_cvt_u32_f32_e32 v1, v3
	s_delay_alu instid0(VALU_DEP_2) | instskip(NEXT) | instid1(VALU_DEP_2)
	v_cvt_u32_f32_e32 v3, v5
	v_xor_b32_e32 v19, v1, v16
	s_delay_alu instid0(VALU_DEP_2) | instskip(NEXT) | instid1(VALU_DEP_1)
	v_xor_b32_e32 v18, v3, v16
	v_sub_nc_u64_e32 v[16:17], v[18:19], v[16:17]
.LBB111_1081:
	s_or_b32 exec_lo, exec_lo, s16
.LBB111_1082:
	s_mov_b32 s16, -1
.LBB111_1083:
	s_branch .LBB111_1113
.LBB111_1084:
	s_cmp_gt_i32 s0, 22
	s_cbranch_scc0 .LBB111_1092
; %bb.1085:
	s_cmp_lt_i32 s0, 24
	s_cbranch_scc1 .LBB111_1095
; %bb.1086:
	s_cmp_gt_i32 s0, 24
	s_cbranch_scc0 .LBB111_1096
; %bb.1087:
	global_load_u8 v1, v[14:15], off
	s_mov_b32 s16, 0
	s_mov_b32 s14, exec_lo
	s_wait_loadcnt 0x0
	v_cmpx_lt_i16_e32 0x7f, v1
	s_xor_b32 s14, exec_lo, s14
	s_cbranch_execz .LBB111_1107
; %bb.1088:
	v_cmp_ne_u16_e32 vcc_lo, 0x80, v1
	s_and_b32 s16, vcc_lo, exec_lo
	s_and_not1_saveexec_b32 s14, s14
	s_cbranch_execnz .LBB111_1108
.LBB111_1089:
	s_or_b32 exec_lo, exec_lo, s14
	v_mov_b64_e32 v[16:17], 0
	s_and_saveexec_b32 s14, s16
	s_cbranch_execz .LBB111_1091
.LBB111_1090:
	v_and_b32_e32 v3, 0xffff, v1
	s_delay_alu instid0(VALU_DEP_1) | instskip(SKIP_1) | instid1(VALU_DEP_2)
	v_dual_lshlrev_b32 v1, 24, v1 :: v_dual_bitop2_b32 v5, 3, v3 bitop3:0x40
	v_bfe_u32 v11, v3, 2, 5
	v_and_b32_e32 v1, 0x80000000, v1
	s_delay_alu instid0(VALU_DEP_3) | instskip(NEXT) | instid1(VALU_DEP_3)
	v_clz_i32_u32_e32 v7, v5
	v_cmp_eq_u32_e32 vcc_lo, 0, v11
	s_delay_alu instid0(VALU_DEP_2) | instskip(NEXT) | instid1(VALU_DEP_1)
	v_min_u32_e32 v7, 32, v7
	v_subrev_nc_u32_e32 v9, 29, v7
	v_sub_nc_u32_e32 v7, 30, v7
	s_delay_alu instid0(VALU_DEP_2) | instskip(NEXT) | instid1(VALU_DEP_2)
	v_lshlrev_b32_e32 v3, v9, v3
	v_cndmask_b32_e32 v7, v11, v7, vcc_lo
	s_delay_alu instid0(VALU_DEP_2) | instskip(NEXT) | instid1(VALU_DEP_1)
	v_and_b32_e32 v3, 3, v3
	v_cndmask_b32_e32 v3, v5, v3, vcc_lo
	s_delay_alu instid0(VALU_DEP_3) | instskip(NEXT) | instid1(VALU_DEP_2)
	v_lshl_add_u32 v5, v7, 23, 0x37800000
	v_lshlrev_b32_e32 v3, 21, v3
	s_delay_alu instid0(VALU_DEP_1) | instskip(NEXT) | instid1(VALU_DEP_1)
	v_or3_b32 v1, v1, v5, v3
	v_trunc_f32_e32 v1, v1
	s_delay_alu instid0(VALU_DEP_1) | instskip(SKIP_1) | instid1(VALU_DEP_2)
	v_mul_f32_e64 v3, 0x2f800000, |v1|
	v_ashrrev_i32_e32 v16, 31, v1
	v_floor_f32_e32 v3, v3
	s_delay_alu instid0(VALU_DEP_2) | instskip(NEXT) | instid1(VALU_DEP_2)
	v_mov_b32_e32 v17, v16
	v_fma_f32 v5, 0xcf800000, v3, |v1|
	v_cvt_u32_f32_e32 v1, v3
	s_delay_alu instid0(VALU_DEP_2) | instskip(NEXT) | instid1(VALU_DEP_2)
	v_cvt_u32_f32_e32 v3, v5
	v_xor_b32_e32 v19, v1, v16
	s_delay_alu instid0(VALU_DEP_2) | instskip(NEXT) | instid1(VALU_DEP_1)
	v_xor_b32_e32 v18, v3, v16
	v_sub_nc_u64_e32 v[16:17], v[18:19], v[16:17]
.LBB111_1091:
	s_or_b32 exec_lo, exec_lo, s14
	s_mov_b32 s14, 0
	s_branch .LBB111_1097
.LBB111_1092:
                                        ; implicit-def: $vgpr16_vgpr17
	s_mov_b32 s14, 0
	s_branch .LBB111_1103
.LBB111_1093:
	s_and_not1_saveexec_b32 s16, s16
	s_cbranch_execz .LBB111_1079
.LBB111_1094:
	v_cmp_ne_u16_e32 vcc_lo, 0, v1
	s_and_not1_b32 s17, s17, exec_lo
	s_and_b32 s18, vcc_lo, exec_lo
	s_delay_alu instid0(SALU_CYCLE_1)
	s_or_b32 s17, s17, s18
	s_or_b32 exec_lo, exec_lo, s16
	v_mov_b64_e32 v[16:17], 0
	s_and_saveexec_b32 s16, s17
	s_cbranch_execnz .LBB111_1080
	s_branch .LBB111_1081
.LBB111_1095:
	s_mov_b32 s14, -1
                                        ; implicit-def: $vgpr16_vgpr17
	s_branch .LBB111_1100
.LBB111_1096:
	s_mov_b32 s14, -1
                                        ; implicit-def: $vgpr16_vgpr17
.LBB111_1097:
	s_delay_alu instid0(SALU_CYCLE_1)
	s_and_b32 vcc_lo, exec_lo, s14
	s_cbranch_vccz .LBB111_1099
; %bb.1098:
	global_load_u8 v1, v[14:15], off
	s_wait_loadcnt 0x0
	v_lshlrev_b32_e32 v1, 24, v1
	s_delay_alu instid0(VALU_DEP_1) | instskip(NEXT) | instid1(VALU_DEP_1)
	v_and_b32_e32 v3, 0x7f000000, v1
	v_clz_i32_u32_e32 v5, v3
	v_add_nc_u32_e32 v9, 0x1000000, v3
	v_cmp_ne_u32_e32 vcc_lo, 0, v3
	s_delay_alu instid0(VALU_DEP_3) | instskip(NEXT) | instid1(VALU_DEP_1)
	v_min_u32_e32 v5, 32, v5
	v_sub_nc_u32_e64 v5, v5, 4 clamp
	s_delay_alu instid0(VALU_DEP_1) | instskip(NEXT) | instid1(VALU_DEP_1)
	v_dual_lshlrev_b32 v7, v5, v3 :: v_dual_lshlrev_b32 v5, 23, v5
	v_lshrrev_b32_e32 v7, 4, v7
	s_delay_alu instid0(VALU_DEP_1) | instskip(SKIP_1) | instid1(VALU_DEP_2)
	v_sub_nc_u32_e32 v5, v7, v5
	v_ashrrev_i32_e32 v7, 8, v9
	v_add_nc_u32_e32 v5, 0x3c000000, v5
	s_delay_alu instid0(VALU_DEP_1) | instskip(NEXT) | instid1(VALU_DEP_1)
	v_and_or_b32 v5, 0x7f800000, v7, v5
	v_cndmask_b32_e32 v3, 0, v5, vcc_lo
	s_delay_alu instid0(VALU_DEP_1) | instskip(NEXT) | instid1(VALU_DEP_1)
	v_and_or_b32 v1, 0x80000000, v1, v3
	v_trunc_f32_e32 v1, v1
	s_delay_alu instid0(VALU_DEP_1) | instskip(SKIP_1) | instid1(VALU_DEP_2)
	v_mul_f32_e64 v3, 0x2f800000, |v1|
	v_ashrrev_i32_e32 v16, 31, v1
	v_floor_f32_e32 v3, v3
	s_delay_alu instid0(VALU_DEP_2) | instskip(NEXT) | instid1(VALU_DEP_2)
	v_mov_b32_e32 v17, v16
	v_fma_f32 v5, 0xcf800000, v3, |v1|
	v_cvt_u32_f32_e32 v1, v3
	s_delay_alu instid0(VALU_DEP_2) | instskip(NEXT) | instid1(VALU_DEP_2)
	v_cvt_u32_f32_e32 v3, v5
	v_xor_b32_e32 v19, v1, v16
	s_delay_alu instid0(VALU_DEP_2) | instskip(NEXT) | instid1(VALU_DEP_1)
	v_xor_b32_e32 v18, v3, v16
	v_sub_nc_u64_e32 v[16:17], v[18:19], v[16:17]
.LBB111_1099:
	s_mov_b32 s14, 0
.LBB111_1100:
	s_delay_alu instid0(SALU_CYCLE_1)
	s_and_not1_b32 vcc_lo, exec_lo, s14
	s_cbranch_vccnz .LBB111_1102
; %bb.1101:
	global_load_u8 v1, v[14:15], off
	s_wait_loadcnt 0x0
	v_lshlrev_b32_e32 v3, 25, v1
	v_lshlrev_b16 v1, 8, v1
	s_delay_alu instid0(VALU_DEP_1) | instskip(SKIP_1) | instid1(VALU_DEP_2)
	v_and_or_b32 v7, 0x7f00, v1, 0.5
	v_bfe_i32 v1, v1, 0, 16
	v_add_f32_e32 v7, -0.5, v7
	v_lshrrev_b32_e32 v5, 4, v3
	v_cmp_gt_u32_e32 vcc_lo, 0x8000000, v3
	s_delay_alu instid0(VALU_DEP_2) | instskip(NEXT) | instid1(VALU_DEP_1)
	v_or_b32_e32 v5, 0x70000000, v5
	v_mul_f32_e32 v5, 0x7800000, v5
	s_delay_alu instid0(VALU_DEP_1) | instskip(NEXT) | instid1(VALU_DEP_1)
	v_cndmask_b32_e32 v3, v5, v7, vcc_lo
	v_and_or_b32 v1, 0x80000000, v1, v3
	s_delay_alu instid0(VALU_DEP_1) | instskip(NEXT) | instid1(VALU_DEP_1)
	v_trunc_f32_e32 v1, v1
	v_mul_f32_e64 v3, 0x2f800000, |v1|
	v_ashrrev_i32_e32 v16, 31, v1
	s_delay_alu instid0(VALU_DEP_2) | instskip(NEXT) | instid1(VALU_DEP_2)
	v_floor_f32_e32 v3, v3
	v_mov_b32_e32 v17, v16
	s_delay_alu instid0(VALU_DEP_2) | instskip(SKIP_1) | instid1(VALU_DEP_2)
	v_fma_f32 v5, 0xcf800000, v3, |v1|
	v_cvt_u32_f32_e32 v1, v3
	v_cvt_u32_f32_e32 v3, v5
	s_delay_alu instid0(VALU_DEP_2) | instskip(NEXT) | instid1(VALU_DEP_2)
	v_xor_b32_e32 v19, v1, v16
	v_xor_b32_e32 v18, v3, v16
	s_delay_alu instid0(VALU_DEP_1)
	v_sub_nc_u64_e32 v[16:17], v[18:19], v[16:17]
.LBB111_1102:
	s_mov_b32 s16, -1
	s_mov_b32 s14, 0
	s_cbranch_execnz .LBB111_1113
.LBB111_1103:
	s_cmp_gt_i32 s0, 14
	s_cbranch_scc0 .LBB111_1106
; %bb.1104:
	s_cmp_eq_u32 s0, 15
	s_cbranch_scc0 .LBB111_1109
; %bb.1105:
	global_load_u16 v1, v[14:15], off
	s_mov_b32 s1, 0
	s_mov_b32 s16, -1
	s_wait_loadcnt 0x0
	v_lshlrev_b32_e32 v1, 16, v1
	s_delay_alu instid0(VALU_DEP_1) | instskip(NEXT) | instid1(VALU_DEP_1)
	v_trunc_f32_e32 v1, v1
	v_mul_f32_e64 v3, 0x2f800000, |v1|
	v_ashrrev_i32_e32 v16, 31, v1
	s_delay_alu instid0(VALU_DEP_2) | instskip(NEXT) | instid1(VALU_DEP_2)
	v_floor_f32_e32 v3, v3
	v_mov_b32_e32 v17, v16
	s_delay_alu instid0(VALU_DEP_2) | instskip(SKIP_1) | instid1(VALU_DEP_2)
	v_fma_f32 v5, 0xcf800000, v3, |v1|
	v_cvt_u32_f32_e32 v1, v3
	v_cvt_u32_f32_e32 v3, v5
	s_delay_alu instid0(VALU_DEP_2) | instskip(NEXT) | instid1(VALU_DEP_2)
	v_xor_b32_e32 v19, v1, v16
	v_xor_b32_e32 v18, v3, v16
	s_delay_alu instid0(VALU_DEP_1)
	v_sub_nc_u64_e32 v[16:17], v[18:19], v[16:17]
	s_branch .LBB111_1111
.LBB111_1106:
	s_mov_b32 s14, -1
	s_branch .LBB111_1110
.LBB111_1107:
	s_and_not1_saveexec_b32 s14, s14
	s_cbranch_execz .LBB111_1089
.LBB111_1108:
	v_cmp_ne_u16_e32 vcc_lo, 0, v1
	s_and_not1_b32 s16, s16, exec_lo
	s_and_b32 s17, vcc_lo, exec_lo
	s_delay_alu instid0(SALU_CYCLE_1)
	s_or_b32 s16, s16, s17
	s_or_b32 exec_lo, exec_lo, s14
	v_mov_b64_e32 v[16:17], 0
	s_and_saveexec_b32 s14, s16
	s_cbranch_execnz .LBB111_1090
	s_branch .LBB111_1091
.LBB111_1109:
	s_mov_b32 s1, -1
.LBB111_1110:
                                        ; implicit-def: $vgpr16_vgpr17
.LBB111_1111:
	s_and_b32 vcc_lo, exec_lo, s14
	s_mov_b32 s14, 0
	s_cbranch_vccz .LBB111_1113
; %bb.1112:
	s_cmp_lg_u32 s0, 11
	s_mov_b32 s14, -1
	s_cselect_b32 s1, -1, 0
.LBB111_1113:
	s_delay_alu instid0(SALU_CYCLE_1)
	s_and_b32 vcc_lo, exec_lo, s1
	s_mov_b32 s1, s12
	s_cbranch_vccnz .LBB111_1163
; %bb.1114:
	s_and_not1_b32 vcc_lo, exec_lo, s14
	s_cbranch_vccnz .LBB111_1116
.LBB111_1115:
	global_load_u8 v1, v[14:15], off
	s_mov_b32 s0, 0
	s_mov_b32 s16, -1
	s_wait_loadcnt 0x1
	v_mov_b32_e32 v17, s0
	s_wait_loadcnt 0x0
	v_cmp_ne_u16_e32 vcc_lo, 0, v1
	v_cndmask_b32_e64 v16, 0, 1, vcc_lo
.LBB111_1116:
	s_branch .LBB111_1027
.LBB111_1117:
	s_and_b32 s0, 0xffff, s15
	s_delay_alu instid0(SALU_CYCLE_1)
	s_cmp_lt_i32 s0, 5
	s_cbranch_scc1 .LBB111_1122
; %bb.1118:
	s_cmp_lt_i32 s0, 8
	s_cbranch_scc1 .LBB111_1123
; %bb.1119:
	;; [unrolled: 3-line block ×3, first 2 shown]
	s_cmp_gt_i32 s0, 9
	s_cbranch_scc0 .LBB111_1125
; %bb.1121:
	s_wait_loadcnt 0x0
	global_load_b64 v[16:17], v[14:15], off
	s_mov_b32 s14, 0
	s_wait_loadcnt 0x0
	v_trunc_f64_e32 v[16:17], v[16:17]
	s_delay_alu instid0(VALU_DEP_1) | instskip(NEXT) | instid1(VALU_DEP_1)
	v_ldexp_f64 v[18:19], v[16:17], 0xffffffe0
	v_floor_f64_e32 v[18:19], v[18:19]
	s_delay_alu instid0(VALU_DEP_1) | instskip(SKIP_1) | instid1(VALU_DEP_2)
	v_fmamk_f64 v[20:21], v[18:19], 0xc1f00000, v[16:17]
	v_cvt_i32_f64_e32 v17, v[18:19]
	v_cvt_u32_f64_e32 v16, v[20:21]
	s_branch .LBB111_1126
.LBB111_1122:
                                        ; implicit-def: $vgpr16_vgpr17
	s_branch .LBB111_1143
.LBB111_1123:
                                        ; implicit-def: $vgpr16_vgpr17
	s_branch .LBB111_1132
.LBB111_1124:
	s_mov_b32 s14, -1
                                        ; implicit-def: $vgpr16_vgpr17
	s_branch .LBB111_1129
.LBB111_1125:
	s_mov_b32 s14, -1
                                        ; implicit-def: $vgpr16_vgpr17
.LBB111_1126:
	s_delay_alu instid0(SALU_CYCLE_1)
	s_and_not1_b32 vcc_lo, exec_lo, s14
	s_cbranch_vccnz .LBB111_1128
; %bb.1127:
	global_load_b32 v1, v[14:15], off
	s_wait_loadcnt 0x0
	v_trunc_f32_e32 v1, v1
	s_delay_alu instid0(VALU_DEP_1) | instskip(SKIP_1) | instid1(VALU_DEP_2)
	v_mul_f32_e64 v3, 0x2f800000, |v1|
	v_ashrrev_i32_e32 v16, 31, v1
	v_floor_f32_e32 v3, v3
	s_delay_alu instid0(VALU_DEP_1) | instskip(SKIP_1) | instid1(VALU_DEP_4)
	v_fma_f32 v5, 0xcf800000, v3, |v1|
	v_cvt_u32_f32_e32 v1, v3
	v_mov_b32_e32 v17, v16
	s_delay_alu instid0(VALU_DEP_3) | instskip(NEXT) | instid1(VALU_DEP_3)
	v_cvt_u32_f32_e32 v3, v5
	v_xor_b32_e32 v19, v1, v16
	s_delay_alu instid0(VALU_DEP_2) | instskip(NEXT) | instid1(VALU_DEP_1)
	v_xor_b32_e32 v18, v3, v16
	v_sub_nc_u64_e32 v[16:17], v[18:19], v[16:17]
.LBB111_1128:
	s_mov_b32 s14, 0
.LBB111_1129:
	s_delay_alu instid0(SALU_CYCLE_1)
	s_and_not1_b32 vcc_lo, exec_lo, s14
	s_cbranch_vccnz .LBB111_1131
; %bb.1130:
	global_load_b32 v1, v[14:15], off
	s_wait_loadcnt 0x0
	v_cvt_f32_f16_e32 v1, v1
	s_delay_alu instid0(VALU_DEP_1) | instskip(NEXT) | instid1(VALU_DEP_1)
	v_cvt_i32_f32_e32 v16, v1
	v_ashrrev_i32_e32 v17, 31, v16
.LBB111_1131:
	s_cbranch_execnz .LBB111_1142
.LBB111_1132:
	s_cmp_lt_i32 s0, 6
	s_cbranch_scc1 .LBB111_1135
; %bb.1133:
	s_cmp_gt_i32 s0, 6
	s_cbranch_scc0 .LBB111_1136
; %bb.1134:
	s_wait_loadcnt 0x0
	global_load_b64 v[16:17], v[14:15], off
	s_mov_b32 s14, 0
	s_wait_loadcnt 0x0
	v_trunc_f64_e32 v[16:17], v[16:17]
	s_delay_alu instid0(VALU_DEP_1) | instskip(NEXT) | instid1(VALU_DEP_1)
	v_ldexp_f64 v[18:19], v[16:17], 0xffffffe0
	v_floor_f64_e32 v[18:19], v[18:19]
	s_delay_alu instid0(VALU_DEP_1) | instskip(SKIP_1) | instid1(VALU_DEP_2)
	v_fmamk_f64 v[20:21], v[18:19], 0xc1f00000, v[16:17]
	v_cvt_i32_f64_e32 v17, v[18:19]
	v_cvt_u32_f64_e32 v16, v[20:21]
	s_branch .LBB111_1137
.LBB111_1135:
	s_mov_b32 s14, -1
                                        ; implicit-def: $vgpr16_vgpr17
	s_branch .LBB111_1140
.LBB111_1136:
	s_mov_b32 s14, -1
                                        ; implicit-def: $vgpr16_vgpr17
.LBB111_1137:
	s_delay_alu instid0(SALU_CYCLE_1)
	s_and_not1_b32 vcc_lo, exec_lo, s14
	s_cbranch_vccnz .LBB111_1139
; %bb.1138:
	global_load_b32 v1, v[14:15], off
	s_wait_loadcnt 0x0
	v_trunc_f32_e32 v1, v1
	s_delay_alu instid0(VALU_DEP_1) | instskip(SKIP_1) | instid1(VALU_DEP_2)
	v_mul_f32_e64 v3, 0x2f800000, |v1|
	v_ashrrev_i32_e32 v16, 31, v1
	v_floor_f32_e32 v3, v3
	s_delay_alu instid0(VALU_DEP_1) | instskip(SKIP_1) | instid1(VALU_DEP_4)
	v_fma_f32 v5, 0xcf800000, v3, |v1|
	v_cvt_u32_f32_e32 v1, v3
	v_mov_b32_e32 v17, v16
	s_delay_alu instid0(VALU_DEP_3) | instskip(NEXT) | instid1(VALU_DEP_3)
	v_cvt_u32_f32_e32 v3, v5
	v_xor_b32_e32 v19, v1, v16
	s_delay_alu instid0(VALU_DEP_2) | instskip(NEXT) | instid1(VALU_DEP_1)
	v_xor_b32_e32 v18, v3, v16
	v_sub_nc_u64_e32 v[16:17], v[18:19], v[16:17]
.LBB111_1139:
	s_mov_b32 s14, 0
.LBB111_1140:
	s_delay_alu instid0(SALU_CYCLE_1)
	s_and_not1_b32 vcc_lo, exec_lo, s14
	s_cbranch_vccnz .LBB111_1142
; %bb.1141:
	global_load_u16 v1, v[14:15], off
	s_wait_loadcnt 0x0
	v_cvt_f32_f16_e32 v1, v1
	s_delay_alu instid0(VALU_DEP_1) | instskip(NEXT) | instid1(VALU_DEP_1)
	v_cvt_i32_f32_e32 v16, v1
	v_ashrrev_i32_e32 v17, 31, v16
.LBB111_1142:
	s_cbranch_execnz .LBB111_1161
.LBB111_1143:
	s_cmp_lt_i32 s0, 2
	s_cbranch_scc1 .LBB111_1147
; %bb.1144:
	s_cmp_lt_i32 s0, 3
	s_cbranch_scc1 .LBB111_1148
; %bb.1145:
	s_cmp_gt_i32 s0, 3
	s_cbranch_scc0 .LBB111_1149
; %bb.1146:
	s_wait_loadcnt 0x0
	global_load_b64 v[16:17], v[14:15], off
	s_mov_b32 s14, 0
	s_branch .LBB111_1150
.LBB111_1147:
                                        ; implicit-def: $vgpr16_vgpr17
	s_branch .LBB111_1156
.LBB111_1148:
	s_mov_b32 s14, -1
                                        ; implicit-def: $vgpr16_vgpr17
	s_branch .LBB111_1153
.LBB111_1149:
	s_mov_b32 s14, -1
                                        ; implicit-def: $vgpr16_vgpr17
.LBB111_1150:
	s_delay_alu instid0(SALU_CYCLE_1)
	s_and_not1_b32 vcc_lo, exec_lo, s14
	s_cbranch_vccnz .LBB111_1152
; %bb.1151:
	s_wait_loadcnt 0x0
	global_load_b32 v16, v[14:15], off
	s_wait_loadcnt 0x0
	v_ashrrev_i32_e32 v17, 31, v16
.LBB111_1152:
	s_mov_b32 s14, 0
.LBB111_1153:
	s_delay_alu instid0(SALU_CYCLE_1)
	s_and_not1_b32 vcc_lo, exec_lo, s14
	s_cbranch_vccnz .LBB111_1155
; %bb.1154:
	global_load_u16 v1, v[14:15], off
	s_wait_loadcnt 0x0
	v_bfe_i32 v16, v1, 0, 16
	s_delay_alu instid0(VALU_DEP_1)
	v_ashrrev_i32_e32 v17, 31, v16
.LBB111_1155:
	s_cbranch_execnz .LBB111_1161
.LBB111_1156:
	s_cmp_gt_i32 s0, 0
	s_mov_b32 s0, 0
	s_cbranch_scc0 .LBB111_1158
; %bb.1157:
	global_load_i8 v1, v[14:15], off
	s_wait_loadcnt 0x0
	v_bfe_i32 v16, v1, 0, 16
	s_delay_alu instid0(VALU_DEP_1)
	v_ashrrev_i32_e32 v17, 31, v16
	s_branch .LBB111_1159
.LBB111_1158:
	s_mov_b32 s0, -1
                                        ; implicit-def: $vgpr16_vgpr17
.LBB111_1159:
	s_delay_alu instid0(SALU_CYCLE_1)
	s_and_not1_b32 vcc_lo, exec_lo, s0
	s_cbranch_vccnz .LBB111_1161
; %bb.1160:
	global_load_u8 v1, v[14:15], off
	s_mov_b32 s0, 0
	s_wait_loadcnt 0x1
	v_mov_b32_e32 v17, s0
	s_wait_loadcnt 0x0
	v_and_b32_e32 v16, 0xffff, v1
.LBB111_1161:
	s_branch .LBB111_1028
.LBB111_1162:
	s_mov_b32 s16, 0
	s_mov_b32 s18, 0
                                        ; implicit-def: $vgpr14_vgpr15
                                        ; implicit-def: $sgpr0
	s_branch .LBB111_1852
.LBB111_1163:
	s_or_b32 s1, s12, exec_lo
	s_trap 2
	s_cbranch_execz .LBB111_1115
	s_branch .LBB111_1116
.LBB111_1164:
	s_mov_b32 s15, -1
	s_mov_b32 s17, 0
	s_mov_b32 s0, 0
	s_branch .LBB111_1167
.LBB111_1165:
	s_mov_b32 s17, -1
	s_mov_b32 s20, 0
	s_mov_b32 s0, 0
                                        ; implicit-def: $vgpr12_vgpr13
	s_branch .LBB111_1294
.LBB111_1166:
	s_mov_b32 s0, -1
	s_mov_b32 s17, 0
.LBB111_1167:
                                        ; implicit-def: $vgpr14_vgpr15
.LBB111_1168:
	s_and_b32 vcc_lo, exec_lo, s15
	s_cbranch_vccz .LBB111_1173
; %bb.1169:
	s_cmp_eq_u32 s19, 44
	s_cbranch_scc0 .LBB111_1172
; %bb.1170:
	global_load_u8 v1, v[12:13], off
	s_mov_b32 s0, 0
	s_mov_b32 s17, -1
	s_wait_loadcnt 0x0
	v_lshlrev_b32_e32 v3, 23, v1
	v_cmp_ne_u32_e32 vcc_lo, 0, v1
	s_delay_alu instid0(VALU_DEP_2) | instskip(NEXT) | instid1(VALU_DEP_1)
	v_trunc_f32_e32 v3, v3
	v_mul_f32_e64 v5, 0x2f800000, |v3|
	v_ashrrev_i32_e32 v14, 31, v3
	s_delay_alu instid0(VALU_DEP_2) | instskip(NEXT) | instid1(VALU_DEP_2)
	v_floor_f32_e32 v5, v5
	v_mov_b32_e32 v15, v14
	s_delay_alu instid0(VALU_DEP_2) | instskip(SKIP_1) | instid1(VALU_DEP_2)
	v_fma_f32 v7, 0xcf800000, v5, |v3|
	v_cvt_u32_f32_e32 v3, v5
	v_cvt_u32_f32_e32 v5, v7
	s_delay_alu instid0(VALU_DEP_2) | instskip(NEXT) | instid1(VALU_DEP_2)
	v_xor_b32_e32 v17, v3, v14
	v_xor_b32_e32 v16, v5, v14
	s_delay_alu instid0(VALU_DEP_1) | instskip(NEXT) | instid1(VALU_DEP_1)
	v_sub_nc_u64_e32 v[14:15], v[16:17], v[14:15]
	v_dual_cndmask_b32 v15, 0, v15 :: v_dual_cndmask_b32 v14, 0, v14
	s_branch .LBB111_1173
.LBB111_1171:
	s_mov_b32 s17, -1
	s_mov_b32 s20, 0
	s_mov_b32 s0, 0
                                        ; implicit-def: $vgpr12_vgpr13
	s_branch .LBB111_1289
.LBB111_1172:
	s_mov_b32 s0, -1
                                        ; implicit-def: $vgpr14_vgpr15
.LBB111_1173:
	s_mov_b32 s15, 0
.LBB111_1174:
	s_delay_alu instid0(SALU_CYCLE_1)
	s_and_b32 vcc_lo, exec_lo, s15
	s_cbranch_vccz .LBB111_1178
; %bb.1175:
	s_cmp_eq_u32 s19, 29
	s_cbranch_scc0 .LBB111_1177
; %bb.1176:
	global_load_b64 v[14:15], v[12:13], off
	s_mov_b32 s0, 0
	s_mov_b32 s17, -1
	s_branch .LBB111_1178
.LBB111_1177:
	s_mov_b32 s0, -1
                                        ; implicit-def: $vgpr14_vgpr15
.LBB111_1178:
	s_mov_b32 s15, 0
.LBB111_1179:
	s_delay_alu instid0(SALU_CYCLE_1)
	s_and_b32 vcc_lo, exec_lo, s15
	s_cbranch_vccz .LBB111_1195
; %bb.1180:
	s_cmp_lt_i32 s19, 27
	s_cbranch_scc1 .LBB111_1183
; %bb.1181:
	s_cmp_gt_i32 s19, 27
	s_cbranch_scc0 .LBB111_1184
; %bb.1182:
	s_wait_loadcnt 0x0
	global_load_b32 v14, v[12:13], off
	v_mov_b32_e32 v15, 0
	s_mov_b32 s15, 0
	s_branch .LBB111_1185
.LBB111_1183:
	s_mov_b32 s15, -1
                                        ; implicit-def: $vgpr14_vgpr15
	s_branch .LBB111_1188
.LBB111_1184:
	s_mov_b32 s15, -1
                                        ; implicit-def: $vgpr14_vgpr15
.LBB111_1185:
	s_delay_alu instid0(SALU_CYCLE_1)
	s_and_not1_b32 vcc_lo, exec_lo, s15
	s_cbranch_vccnz .LBB111_1187
; %bb.1186:
	global_load_u16 v1, v[12:13], off
	s_mov_b32 s15, 0
	s_wait_loadcnt 0x1
	v_mov_b32_e32 v15, s15
	s_wait_loadcnt 0x0
	v_and_b32_e32 v14, 0xffff, v1
.LBB111_1187:
	s_mov_b32 s15, 0
.LBB111_1188:
	s_delay_alu instid0(SALU_CYCLE_1)
	s_and_not1_b32 vcc_lo, exec_lo, s15
	s_cbranch_vccnz .LBB111_1194
; %bb.1189:
	global_load_u8 v1, v[12:13], off
	s_mov_b32 s17, 0
	s_mov_b32 s15, exec_lo
	s_wait_loadcnt 0x0
	v_cmpx_lt_i16_e32 0x7f, v1
	s_xor_b32 s15, exec_lo, s15
	s_cbranch_execz .LBB111_1206
; %bb.1190:
	v_cmp_ne_u16_e32 vcc_lo, 0x80, v1
	s_and_b32 s17, vcc_lo, exec_lo
	s_and_not1_saveexec_b32 s15, s15
	s_cbranch_execnz .LBB111_1207
.LBB111_1191:
	s_or_b32 exec_lo, exec_lo, s15
	v_mov_b64_e32 v[14:15], 0
	s_and_saveexec_b32 s15, s17
	s_cbranch_execz .LBB111_1193
.LBB111_1192:
	v_and_b32_e32 v3, 0xffff, v1
	s_delay_alu instid0(VALU_DEP_1) | instskip(SKIP_1) | instid1(VALU_DEP_2)
	v_dual_lshlrev_b32 v1, 24, v1 :: v_dual_bitop2_b32 v5, 7, v3 bitop3:0x40
	v_bfe_u32 v11, v3, 3, 4
	v_and_b32_e32 v1, 0x80000000, v1
	s_delay_alu instid0(VALU_DEP_3) | instskip(NEXT) | instid1(VALU_DEP_3)
	v_clz_i32_u32_e32 v7, v5
	v_cmp_eq_u32_e32 vcc_lo, 0, v11
	s_delay_alu instid0(VALU_DEP_2) | instskip(NEXT) | instid1(VALU_DEP_1)
	v_min_u32_e32 v7, 32, v7
	v_subrev_nc_u32_e32 v9, 28, v7
	v_sub_nc_u32_e32 v7, 29, v7
	s_delay_alu instid0(VALU_DEP_2) | instskip(NEXT) | instid1(VALU_DEP_2)
	v_lshlrev_b32_e32 v3, v9, v3
	v_cndmask_b32_e32 v7, v11, v7, vcc_lo
	s_delay_alu instid0(VALU_DEP_2) | instskip(NEXT) | instid1(VALU_DEP_1)
	v_and_b32_e32 v3, 7, v3
	v_cndmask_b32_e32 v3, v5, v3, vcc_lo
	s_delay_alu instid0(VALU_DEP_3) | instskip(NEXT) | instid1(VALU_DEP_2)
	v_lshl_add_u32 v5, v7, 23, 0x3b800000
	v_lshlrev_b32_e32 v3, 20, v3
	s_delay_alu instid0(VALU_DEP_1) | instskip(NEXT) | instid1(VALU_DEP_1)
	v_or3_b32 v1, v1, v5, v3
	v_trunc_f32_e32 v1, v1
	s_delay_alu instid0(VALU_DEP_1) | instskip(SKIP_1) | instid1(VALU_DEP_2)
	v_mul_f32_e64 v3, 0x2f800000, |v1|
	v_ashrrev_i32_e32 v14, 31, v1
	v_floor_f32_e32 v3, v3
	s_delay_alu instid0(VALU_DEP_2) | instskip(NEXT) | instid1(VALU_DEP_2)
	v_mov_b32_e32 v15, v14
	v_fma_f32 v5, 0xcf800000, v3, |v1|
	v_cvt_u32_f32_e32 v1, v3
	s_delay_alu instid0(VALU_DEP_2) | instskip(NEXT) | instid1(VALU_DEP_2)
	v_cvt_u32_f32_e32 v3, v5
	v_xor_b32_e32 v17, v1, v14
	s_delay_alu instid0(VALU_DEP_2) | instskip(NEXT) | instid1(VALU_DEP_1)
	v_xor_b32_e32 v16, v3, v14
	v_sub_nc_u64_e32 v[14:15], v[16:17], v[14:15]
.LBB111_1193:
	s_or_b32 exec_lo, exec_lo, s15
.LBB111_1194:
	s_mov_b32 s17, -1
.LBB111_1195:
	s_mov_b32 s15, 0
.LBB111_1196:
	s_delay_alu instid0(SALU_CYCLE_1)
	s_and_b32 vcc_lo, exec_lo, s15
	s_cbranch_vccz .LBB111_1227
; %bb.1197:
	s_cmp_gt_i32 s19, 22
	s_cbranch_scc0 .LBB111_1205
; %bb.1198:
	s_cmp_lt_i32 s19, 24
	s_cbranch_scc1 .LBB111_1208
; %bb.1199:
	s_cmp_gt_i32 s19, 24
	s_cbranch_scc0 .LBB111_1209
; %bb.1200:
	global_load_u8 v1, v[12:13], off
	s_mov_b32 s15, exec_lo
	s_wait_loadcnt 0x0
	v_cmpx_lt_i16_e32 0x7f, v1
	s_xor_b32 s15, exec_lo, s15
	s_cbranch_execz .LBB111_1221
; %bb.1201:
	v_cmp_ne_u16_e32 vcc_lo, 0x80, v1
	s_and_b32 s16, vcc_lo, exec_lo
	s_and_not1_saveexec_b32 s15, s15
	s_cbranch_execnz .LBB111_1222
.LBB111_1202:
	s_or_b32 exec_lo, exec_lo, s15
	v_mov_b64_e32 v[14:15], 0
	s_and_saveexec_b32 s15, s16
	s_cbranch_execz .LBB111_1204
.LBB111_1203:
	v_and_b32_e32 v3, 0xffff, v1
	s_delay_alu instid0(VALU_DEP_1) | instskip(SKIP_1) | instid1(VALU_DEP_2)
	v_dual_lshlrev_b32 v1, 24, v1 :: v_dual_bitop2_b32 v5, 3, v3 bitop3:0x40
	v_bfe_u32 v11, v3, 2, 5
	v_and_b32_e32 v1, 0x80000000, v1
	s_delay_alu instid0(VALU_DEP_3) | instskip(NEXT) | instid1(VALU_DEP_3)
	v_clz_i32_u32_e32 v7, v5
	v_cmp_eq_u32_e32 vcc_lo, 0, v11
	s_delay_alu instid0(VALU_DEP_2) | instskip(NEXT) | instid1(VALU_DEP_1)
	v_min_u32_e32 v7, 32, v7
	v_subrev_nc_u32_e32 v9, 29, v7
	v_sub_nc_u32_e32 v7, 30, v7
	s_delay_alu instid0(VALU_DEP_2) | instskip(NEXT) | instid1(VALU_DEP_2)
	v_lshlrev_b32_e32 v3, v9, v3
	v_cndmask_b32_e32 v7, v11, v7, vcc_lo
	s_delay_alu instid0(VALU_DEP_2) | instskip(NEXT) | instid1(VALU_DEP_1)
	v_and_b32_e32 v3, 3, v3
	v_cndmask_b32_e32 v3, v5, v3, vcc_lo
	s_delay_alu instid0(VALU_DEP_3) | instskip(NEXT) | instid1(VALU_DEP_2)
	v_lshl_add_u32 v5, v7, 23, 0x37800000
	v_lshlrev_b32_e32 v3, 21, v3
	s_delay_alu instid0(VALU_DEP_1) | instskip(NEXT) | instid1(VALU_DEP_1)
	v_or3_b32 v1, v1, v5, v3
	v_trunc_f32_e32 v1, v1
	s_delay_alu instid0(VALU_DEP_1) | instskip(SKIP_1) | instid1(VALU_DEP_2)
	v_mul_f32_e64 v3, 0x2f800000, |v1|
	v_ashrrev_i32_e32 v14, 31, v1
	v_floor_f32_e32 v3, v3
	s_delay_alu instid0(VALU_DEP_2) | instskip(NEXT) | instid1(VALU_DEP_2)
	v_mov_b32_e32 v15, v14
	v_fma_f32 v5, 0xcf800000, v3, |v1|
	v_cvt_u32_f32_e32 v1, v3
	s_delay_alu instid0(VALU_DEP_2) | instskip(NEXT) | instid1(VALU_DEP_2)
	v_cvt_u32_f32_e32 v3, v5
	v_xor_b32_e32 v17, v1, v14
	s_delay_alu instid0(VALU_DEP_2) | instskip(NEXT) | instid1(VALU_DEP_1)
	v_xor_b32_e32 v16, v3, v14
	v_sub_nc_u64_e32 v[14:15], v[16:17], v[14:15]
.LBB111_1204:
	s_or_b32 exec_lo, exec_lo, s15
	s_mov_b32 s15, 0
	s_branch .LBB111_1210
.LBB111_1205:
	s_mov_b32 s15, -1
                                        ; implicit-def: $vgpr14_vgpr15
	s_branch .LBB111_1216
.LBB111_1206:
	s_and_not1_saveexec_b32 s15, s15
	s_cbranch_execz .LBB111_1191
.LBB111_1207:
	v_cmp_ne_u16_e32 vcc_lo, 0, v1
	s_and_not1_b32 s17, s17, exec_lo
	s_and_b32 s18, vcc_lo, exec_lo
	s_delay_alu instid0(SALU_CYCLE_1)
	s_or_b32 s17, s17, s18
	s_or_b32 exec_lo, exec_lo, s15
	v_mov_b64_e32 v[14:15], 0
	s_and_saveexec_b32 s15, s17
	s_cbranch_execnz .LBB111_1192
	s_branch .LBB111_1193
.LBB111_1208:
	s_mov_b32 s15, -1
                                        ; implicit-def: $vgpr14_vgpr15
	s_branch .LBB111_1213
.LBB111_1209:
	s_mov_b32 s15, -1
                                        ; implicit-def: $vgpr14_vgpr15
.LBB111_1210:
	s_delay_alu instid0(SALU_CYCLE_1)
	s_and_b32 vcc_lo, exec_lo, s15
	s_cbranch_vccz .LBB111_1212
; %bb.1211:
	global_load_u8 v1, v[12:13], off
	s_wait_loadcnt 0x0
	v_lshlrev_b32_e32 v1, 24, v1
	s_delay_alu instid0(VALU_DEP_1) | instskip(NEXT) | instid1(VALU_DEP_1)
	v_and_b32_e32 v3, 0x7f000000, v1
	v_clz_i32_u32_e32 v5, v3
	v_add_nc_u32_e32 v9, 0x1000000, v3
	v_cmp_ne_u32_e32 vcc_lo, 0, v3
	s_delay_alu instid0(VALU_DEP_3) | instskip(NEXT) | instid1(VALU_DEP_1)
	v_min_u32_e32 v5, 32, v5
	v_sub_nc_u32_e64 v5, v5, 4 clamp
	s_delay_alu instid0(VALU_DEP_1) | instskip(NEXT) | instid1(VALU_DEP_1)
	v_dual_lshlrev_b32 v7, v5, v3 :: v_dual_lshlrev_b32 v5, 23, v5
	v_lshrrev_b32_e32 v7, 4, v7
	s_delay_alu instid0(VALU_DEP_1) | instskip(SKIP_1) | instid1(VALU_DEP_2)
	v_sub_nc_u32_e32 v5, v7, v5
	v_ashrrev_i32_e32 v7, 8, v9
	v_add_nc_u32_e32 v5, 0x3c000000, v5
	s_delay_alu instid0(VALU_DEP_1) | instskip(NEXT) | instid1(VALU_DEP_1)
	v_and_or_b32 v5, 0x7f800000, v7, v5
	v_cndmask_b32_e32 v3, 0, v5, vcc_lo
	s_delay_alu instid0(VALU_DEP_1) | instskip(NEXT) | instid1(VALU_DEP_1)
	v_and_or_b32 v1, 0x80000000, v1, v3
	v_trunc_f32_e32 v1, v1
	s_delay_alu instid0(VALU_DEP_1) | instskip(SKIP_1) | instid1(VALU_DEP_2)
	v_mul_f32_e64 v3, 0x2f800000, |v1|
	v_ashrrev_i32_e32 v14, 31, v1
	v_floor_f32_e32 v3, v3
	s_delay_alu instid0(VALU_DEP_2) | instskip(NEXT) | instid1(VALU_DEP_2)
	v_mov_b32_e32 v15, v14
	v_fma_f32 v5, 0xcf800000, v3, |v1|
	v_cvt_u32_f32_e32 v1, v3
	s_delay_alu instid0(VALU_DEP_2) | instskip(NEXT) | instid1(VALU_DEP_2)
	v_cvt_u32_f32_e32 v3, v5
	v_xor_b32_e32 v17, v1, v14
	s_delay_alu instid0(VALU_DEP_2) | instskip(NEXT) | instid1(VALU_DEP_1)
	v_xor_b32_e32 v16, v3, v14
	v_sub_nc_u64_e32 v[14:15], v[16:17], v[14:15]
.LBB111_1212:
	s_mov_b32 s15, 0
.LBB111_1213:
	s_delay_alu instid0(SALU_CYCLE_1)
	s_and_not1_b32 vcc_lo, exec_lo, s15
	s_cbranch_vccnz .LBB111_1215
; %bb.1214:
	global_load_u8 v1, v[12:13], off
	s_wait_loadcnt 0x0
	v_lshlrev_b32_e32 v3, 25, v1
	v_lshlrev_b16 v1, 8, v1
	s_delay_alu instid0(VALU_DEP_1) | instskip(SKIP_1) | instid1(VALU_DEP_2)
	v_and_or_b32 v7, 0x7f00, v1, 0.5
	v_bfe_i32 v1, v1, 0, 16
	v_add_f32_e32 v7, -0.5, v7
	v_lshrrev_b32_e32 v5, 4, v3
	v_cmp_gt_u32_e32 vcc_lo, 0x8000000, v3
	s_delay_alu instid0(VALU_DEP_2) | instskip(NEXT) | instid1(VALU_DEP_1)
	v_or_b32_e32 v5, 0x70000000, v5
	v_mul_f32_e32 v5, 0x7800000, v5
	s_delay_alu instid0(VALU_DEP_1) | instskip(NEXT) | instid1(VALU_DEP_1)
	v_cndmask_b32_e32 v3, v5, v7, vcc_lo
	v_and_or_b32 v1, 0x80000000, v1, v3
	s_delay_alu instid0(VALU_DEP_1) | instskip(NEXT) | instid1(VALU_DEP_1)
	v_trunc_f32_e32 v1, v1
	v_mul_f32_e64 v3, 0x2f800000, |v1|
	v_ashrrev_i32_e32 v14, 31, v1
	s_delay_alu instid0(VALU_DEP_2) | instskip(NEXT) | instid1(VALU_DEP_2)
	v_floor_f32_e32 v3, v3
	v_mov_b32_e32 v15, v14
	s_delay_alu instid0(VALU_DEP_2) | instskip(SKIP_1) | instid1(VALU_DEP_2)
	v_fma_f32 v5, 0xcf800000, v3, |v1|
	v_cvt_u32_f32_e32 v1, v3
	v_cvt_u32_f32_e32 v3, v5
	s_delay_alu instid0(VALU_DEP_2) | instskip(NEXT) | instid1(VALU_DEP_2)
	v_xor_b32_e32 v17, v1, v14
	v_xor_b32_e32 v16, v3, v14
	s_delay_alu instid0(VALU_DEP_1)
	v_sub_nc_u64_e32 v[14:15], v[16:17], v[14:15]
.LBB111_1215:
	s_mov_b32 s15, 0
	s_mov_b32 s17, -1
.LBB111_1216:
	s_and_not1_b32 vcc_lo, exec_lo, s15
	s_mov_b32 s16, 0
	s_cbranch_vccnz .LBB111_1227
; %bb.1217:
	s_cmp_gt_i32 s19, 14
	s_cbranch_scc0 .LBB111_1220
; %bb.1218:
	s_cmp_eq_u32 s19, 15
	s_cbranch_scc0 .LBB111_1223
; %bb.1219:
	global_load_u16 v1, v[12:13], off
	s_mov_b32 s0, 0
	s_mov_b32 s17, -1
	s_wait_loadcnt 0x0
	v_lshlrev_b32_e32 v1, 16, v1
	s_delay_alu instid0(VALU_DEP_1) | instskip(NEXT) | instid1(VALU_DEP_1)
	v_trunc_f32_e32 v1, v1
	v_mul_f32_e64 v3, 0x2f800000, |v1|
	v_ashrrev_i32_e32 v14, 31, v1
	s_delay_alu instid0(VALU_DEP_2) | instskip(NEXT) | instid1(VALU_DEP_2)
	v_floor_f32_e32 v3, v3
	v_mov_b32_e32 v15, v14
	s_delay_alu instid0(VALU_DEP_2) | instskip(SKIP_1) | instid1(VALU_DEP_2)
	v_fma_f32 v5, 0xcf800000, v3, |v1|
	v_cvt_u32_f32_e32 v1, v3
	v_cvt_u32_f32_e32 v3, v5
	s_delay_alu instid0(VALU_DEP_2) | instskip(NEXT) | instid1(VALU_DEP_2)
	v_xor_b32_e32 v17, v1, v14
	v_xor_b32_e32 v16, v3, v14
	s_delay_alu instid0(VALU_DEP_1)
	v_sub_nc_u64_e32 v[14:15], v[16:17], v[14:15]
	s_branch .LBB111_1224
.LBB111_1220:
	s_mov_b32 s15, -1
                                        ; implicit-def: $vgpr14_vgpr15
	s_branch .LBB111_1225
.LBB111_1221:
	s_and_not1_saveexec_b32 s15, s15
	s_cbranch_execz .LBB111_1202
.LBB111_1222:
	v_cmp_ne_u16_e32 vcc_lo, 0, v1
	s_and_not1_b32 s16, s16, exec_lo
	s_and_b32 s17, vcc_lo, exec_lo
	s_delay_alu instid0(SALU_CYCLE_1)
	s_or_b32 s16, s16, s17
	s_or_b32 exec_lo, exec_lo, s15
	v_mov_b64_e32 v[14:15], 0
	s_and_saveexec_b32 s15, s16
	s_cbranch_execnz .LBB111_1203
	s_branch .LBB111_1204
.LBB111_1223:
	s_mov_b32 s0, -1
                                        ; implicit-def: $vgpr14_vgpr15
.LBB111_1224:
	s_mov_b32 s15, 0
.LBB111_1225:
	s_delay_alu instid0(SALU_CYCLE_1)
	s_and_b32 vcc_lo, exec_lo, s15
	s_cbranch_vccz .LBB111_1227
; %bb.1226:
	s_cmp_lg_u32 s19, 11
	s_mov_b32 s16, -1
	s_cselect_b32 s0, -1, 0
.LBB111_1227:
	s_delay_alu instid0(SALU_CYCLE_1)
	s_and_b32 vcc_lo, exec_lo, s0
	s_mov_b32 s15, s1
	s_cbranch_vccnz .LBB111_1280
; %bb.1228:
	s_and_not1_b32 vcc_lo, exec_lo, s16
	s_cbranch_vccnz .LBB111_1230
.LBB111_1229:
	global_load_u8 v1, v[12:13], off
	s_mov_b32 s0, 0
	s_mov_b32 s17, -1
	s_wait_loadcnt 0x1
	v_mov_b32_e32 v15, s0
	s_wait_loadcnt 0x0
	v_cmp_ne_u16_e32 vcc_lo, 0, v1
	v_cndmask_b32_e64 v14, 0, 1, vcc_lo
.LBB111_1230:
	s_branch .LBB111_1040
.LBB111_1231:
	s_cmp_lt_i32 s19, 5
	s_cbranch_scc1 .LBB111_1236
; %bb.1232:
	s_cmp_lt_i32 s19, 8
	s_cbranch_scc1 .LBB111_1237
; %bb.1233:
	;; [unrolled: 3-line block ×3, first 2 shown]
	s_cmp_gt_i32 s19, 9
	s_cbranch_scc0 .LBB111_1239
; %bb.1235:
	s_wait_loadcnt 0x0
	global_load_b64 v[14:15], v[12:13], off
	s_mov_b32 s0, 0
	s_wait_loadcnt 0x0
	v_trunc_f64_e32 v[14:15], v[14:15]
	s_delay_alu instid0(VALU_DEP_1) | instskip(NEXT) | instid1(VALU_DEP_1)
	v_ldexp_f64 v[16:17], v[14:15], 0xffffffe0
	v_floor_f64_e32 v[16:17], v[16:17]
	s_delay_alu instid0(VALU_DEP_1) | instskip(SKIP_1) | instid1(VALU_DEP_2)
	v_fmamk_f64 v[18:19], v[16:17], 0xc1f00000, v[14:15]
	v_cvt_i32_f64_e32 v15, v[16:17]
	v_cvt_u32_f64_e32 v14, v[18:19]
	s_branch .LBB111_1240
.LBB111_1236:
	s_mov_b32 s0, -1
                                        ; implicit-def: $vgpr14_vgpr15
	s_branch .LBB111_1258
.LBB111_1237:
	s_mov_b32 s0, -1
                                        ; implicit-def: $vgpr14_vgpr15
	s_branch .LBB111_1246
.LBB111_1238:
	s_mov_b32 s0, -1
                                        ; implicit-def: $vgpr14_vgpr15
	s_branch .LBB111_1243
.LBB111_1239:
	s_mov_b32 s0, -1
                                        ; implicit-def: $vgpr14_vgpr15
.LBB111_1240:
	s_delay_alu instid0(SALU_CYCLE_1)
	s_and_not1_b32 vcc_lo, exec_lo, s0
	s_cbranch_vccnz .LBB111_1242
; %bb.1241:
	global_load_b32 v1, v[12:13], off
	s_wait_loadcnt 0x0
	v_trunc_f32_e32 v1, v1
	s_delay_alu instid0(VALU_DEP_1) | instskip(SKIP_1) | instid1(VALU_DEP_2)
	v_mul_f32_e64 v3, 0x2f800000, |v1|
	v_ashrrev_i32_e32 v14, 31, v1
	v_floor_f32_e32 v3, v3
	s_delay_alu instid0(VALU_DEP_1) | instskip(SKIP_1) | instid1(VALU_DEP_4)
	v_fma_f32 v5, 0xcf800000, v3, |v1|
	v_cvt_u32_f32_e32 v1, v3
	v_mov_b32_e32 v15, v14
	s_delay_alu instid0(VALU_DEP_3) | instskip(NEXT) | instid1(VALU_DEP_3)
	v_cvt_u32_f32_e32 v3, v5
	v_xor_b32_e32 v17, v1, v14
	s_delay_alu instid0(VALU_DEP_2) | instskip(NEXT) | instid1(VALU_DEP_1)
	v_xor_b32_e32 v16, v3, v14
	v_sub_nc_u64_e32 v[14:15], v[16:17], v[14:15]
.LBB111_1242:
	s_mov_b32 s0, 0
.LBB111_1243:
	s_delay_alu instid0(SALU_CYCLE_1)
	s_and_not1_b32 vcc_lo, exec_lo, s0
	s_cbranch_vccnz .LBB111_1245
; %bb.1244:
	global_load_b32 v1, v[12:13], off
	s_wait_loadcnt 0x0
	v_cvt_f32_f16_e32 v1, v1
	s_delay_alu instid0(VALU_DEP_1) | instskip(NEXT) | instid1(VALU_DEP_1)
	v_cvt_i32_f32_e32 v14, v1
	v_ashrrev_i32_e32 v15, 31, v14
.LBB111_1245:
	s_mov_b32 s0, 0
.LBB111_1246:
	s_delay_alu instid0(SALU_CYCLE_1)
	s_and_not1_b32 vcc_lo, exec_lo, s0
	s_cbranch_vccnz .LBB111_1257
; %bb.1247:
	s_cmp_lt_i32 s19, 6
	s_cbranch_scc1 .LBB111_1250
; %bb.1248:
	s_cmp_gt_i32 s19, 6
	s_cbranch_scc0 .LBB111_1251
; %bb.1249:
	s_wait_loadcnt 0x0
	global_load_b64 v[14:15], v[12:13], off
	s_mov_b32 s0, 0
	s_wait_loadcnt 0x0
	v_trunc_f64_e32 v[14:15], v[14:15]
	s_delay_alu instid0(VALU_DEP_1) | instskip(NEXT) | instid1(VALU_DEP_1)
	v_ldexp_f64 v[16:17], v[14:15], 0xffffffe0
	v_floor_f64_e32 v[16:17], v[16:17]
	s_delay_alu instid0(VALU_DEP_1) | instskip(SKIP_1) | instid1(VALU_DEP_2)
	v_fmamk_f64 v[18:19], v[16:17], 0xc1f00000, v[14:15]
	v_cvt_i32_f64_e32 v15, v[16:17]
	v_cvt_u32_f64_e32 v14, v[18:19]
	s_branch .LBB111_1252
.LBB111_1250:
	s_mov_b32 s0, -1
                                        ; implicit-def: $vgpr14_vgpr15
	s_branch .LBB111_1255
.LBB111_1251:
	s_mov_b32 s0, -1
                                        ; implicit-def: $vgpr14_vgpr15
.LBB111_1252:
	s_delay_alu instid0(SALU_CYCLE_1)
	s_and_not1_b32 vcc_lo, exec_lo, s0
	s_cbranch_vccnz .LBB111_1254
; %bb.1253:
	global_load_b32 v1, v[12:13], off
	s_wait_loadcnt 0x0
	v_trunc_f32_e32 v1, v1
	s_delay_alu instid0(VALU_DEP_1) | instskip(SKIP_1) | instid1(VALU_DEP_2)
	v_mul_f32_e64 v3, 0x2f800000, |v1|
	v_ashrrev_i32_e32 v14, 31, v1
	v_floor_f32_e32 v3, v3
	s_delay_alu instid0(VALU_DEP_1) | instskip(SKIP_1) | instid1(VALU_DEP_4)
	v_fma_f32 v5, 0xcf800000, v3, |v1|
	v_cvt_u32_f32_e32 v1, v3
	v_mov_b32_e32 v15, v14
	s_delay_alu instid0(VALU_DEP_3) | instskip(NEXT) | instid1(VALU_DEP_3)
	v_cvt_u32_f32_e32 v3, v5
	v_xor_b32_e32 v17, v1, v14
	s_delay_alu instid0(VALU_DEP_2) | instskip(NEXT) | instid1(VALU_DEP_1)
	v_xor_b32_e32 v16, v3, v14
	v_sub_nc_u64_e32 v[14:15], v[16:17], v[14:15]
.LBB111_1254:
	s_mov_b32 s0, 0
.LBB111_1255:
	s_delay_alu instid0(SALU_CYCLE_1)
	s_and_not1_b32 vcc_lo, exec_lo, s0
	s_cbranch_vccnz .LBB111_1257
; %bb.1256:
	global_load_u16 v1, v[12:13], off
	s_wait_loadcnt 0x0
	v_cvt_f32_f16_e32 v1, v1
	s_delay_alu instid0(VALU_DEP_1) | instskip(NEXT) | instid1(VALU_DEP_1)
	v_cvt_i32_f32_e32 v14, v1
	v_ashrrev_i32_e32 v15, 31, v14
.LBB111_1257:
	s_mov_b32 s0, 0
.LBB111_1258:
	s_delay_alu instid0(SALU_CYCLE_1)
	s_and_not1_b32 vcc_lo, exec_lo, s0
	s_cbranch_vccnz .LBB111_1278
; %bb.1259:
	s_cmp_lt_i32 s19, 2
	s_cbranch_scc1 .LBB111_1263
; %bb.1260:
	s_cmp_lt_i32 s19, 3
	s_cbranch_scc1 .LBB111_1264
; %bb.1261:
	s_cmp_gt_i32 s19, 3
	s_cbranch_scc0 .LBB111_1265
; %bb.1262:
	s_wait_loadcnt 0x0
	global_load_b64 v[14:15], v[12:13], off
	s_mov_b32 s0, 0
	s_branch .LBB111_1266
.LBB111_1263:
	s_mov_b32 s0, -1
                                        ; implicit-def: $vgpr14_vgpr15
	s_branch .LBB111_1272
.LBB111_1264:
	s_mov_b32 s0, -1
                                        ; implicit-def: $vgpr14_vgpr15
	s_branch .LBB111_1269
.LBB111_1265:
	s_mov_b32 s0, -1
                                        ; implicit-def: $vgpr14_vgpr15
.LBB111_1266:
	s_delay_alu instid0(SALU_CYCLE_1)
	s_and_not1_b32 vcc_lo, exec_lo, s0
	s_cbranch_vccnz .LBB111_1268
; %bb.1267:
	s_wait_loadcnt 0x0
	global_load_b32 v14, v[12:13], off
	s_wait_loadcnt 0x0
	v_ashrrev_i32_e32 v15, 31, v14
.LBB111_1268:
	s_mov_b32 s0, 0
.LBB111_1269:
	s_delay_alu instid0(SALU_CYCLE_1)
	s_and_not1_b32 vcc_lo, exec_lo, s0
	s_cbranch_vccnz .LBB111_1271
; %bb.1270:
	global_load_u16 v1, v[12:13], off
	s_wait_loadcnt 0x0
	v_bfe_i32 v14, v1, 0, 16
	s_delay_alu instid0(VALU_DEP_1)
	v_ashrrev_i32_e32 v15, 31, v14
.LBB111_1271:
	s_mov_b32 s0, 0
.LBB111_1272:
	s_delay_alu instid0(SALU_CYCLE_1)
	s_and_not1_b32 vcc_lo, exec_lo, s0
	s_cbranch_vccnz .LBB111_1278
; %bb.1273:
	s_cmp_gt_i32 s19, 0
	s_mov_b32 s0, 0
	s_cbranch_scc0 .LBB111_1275
; %bb.1274:
	global_load_i8 v1, v[12:13], off
	s_wait_loadcnt 0x0
	v_bfe_i32 v14, v1, 0, 16
	s_delay_alu instid0(VALU_DEP_1)
	v_ashrrev_i32_e32 v15, 31, v14
	s_branch .LBB111_1276
.LBB111_1275:
	s_mov_b32 s0, -1
                                        ; implicit-def: $vgpr14_vgpr15
.LBB111_1276:
	s_delay_alu instid0(SALU_CYCLE_1)
	s_and_not1_b32 vcc_lo, exec_lo, s0
	s_cbranch_vccnz .LBB111_1278
; %bb.1277:
	global_load_u8 v1, v[12:13], off
	s_mov_b32 s0, 0
	s_wait_loadcnt 0x1
	v_mov_b32_e32 v15, s0
	s_wait_loadcnt 0x0
	v_and_b32_e32 v14, 0xffff, v1
.LBB111_1278:
	s_branch .LBB111_1041
.LBB111_1279:
	s_mov_b32 s17, 0
	s_mov_b32 s18, 0
                                        ; implicit-def: $vgpr14_vgpr15
                                        ; implicit-def: $sgpr0
	s_branch .LBB111_1850
.LBB111_1280:
	s_or_b32 s15, s1, exec_lo
	s_trap 2
	s_cbranch_execz .LBB111_1229
	s_branch .LBB111_1230
.LBB111_1281:
	s_mov_b32 s17, -1
	s_mov_b32 s20, 0
	s_mov_b32 s0, 0
	s_branch .LBB111_1283
.LBB111_1282:
	s_mov_b32 s0, -1
	s_mov_b32 s20, 0
.LBB111_1283:
                                        ; implicit-def: $vgpr12_vgpr13
.LBB111_1284:
	s_and_b32 vcc_lo, exec_lo, s17
	s_cbranch_vccz .LBB111_1288
; %bb.1285:
	s_cmp_eq_u32 s19, 44
	s_cbranch_scc0 .LBB111_1287
; %bb.1286:
	global_load_u8 v1, v[10:11], off
	s_mov_b32 s0, 0
	s_mov_b32 s20, -1
	s_wait_loadcnt 0x0
	v_lshlrev_b32_e32 v3, 23, v1
	v_cmp_ne_u32_e32 vcc_lo, 0, v1
	s_delay_alu instid0(VALU_DEP_2) | instskip(NEXT) | instid1(VALU_DEP_1)
	v_trunc_f32_e32 v3, v3
	v_mul_f32_e64 v5, 0x2f800000, |v3|
	v_ashrrev_i32_e32 v12, 31, v3
	s_delay_alu instid0(VALU_DEP_2) | instskip(NEXT) | instid1(VALU_DEP_2)
	v_floor_f32_e32 v5, v5
	v_mov_b32_e32 v13, v12
	s_delay_alu instid0(VALU_DEP_2) | instskip(SKIP_1) | instid1(VALU_DEP_2)
	v_fma_f32 v7, 0xcf800000, v5, |v3|
	v_cvt_u32_f32_e32 v3, v5
	v_cvt_u32_f32_e32 v5, v7
	s_delay_alu instid0(VALU_DEP_2) | instskip(NEXT) | instid1(VALU_DEP_2)
	v_xor_b32_e32 v15, v3, v12
	v_xor_b32_e32 v14, v5, v12
	s_delay_alu instid0(VALU_DEP_1) | instskip(NEXT) | instid1(VALU_DEP_1)
	v_sub_nc_u64_e32 v[12:13], v[14:15], v[12:13]
	v_dual_cndmask_b32 v13, 0, v13 :: v_dual_cndmask_b32 v12, 0, v12
	s_branch .LBB111_1288
.LBB111_1287:
	s_mov_b32 s0, -1
                                        ; implicit-def: $vgpr12_vgpr13
.LBB111_1288:
	s_mov_b32 s17, 0
.LBB111_1289:
	s_delay_alu instid0(SALU_CYCLE_1)
	s_and_b32 vcc_lo, exec_lo, s17
	s_cbranch_vccz .LBB111_1293
; %bb.1290:
	s_cmp_eq_u32 s19, 29
	s_cbranch_scc0 .LBB111_1292
; %bb.1291:
	global_load_b64 v[12:13], v[10:11], off
	s_mov_b32 s0, 0
	s_mov_b32 s20, -1
	s_branch .LBB111_1293
.LBB111_1292:
	s_mov_b32 s0, -1
                                        ; implicit-def: $vgpr12_vgpr13
.LBB111_1293:
	s_mov_b32 s17, 0
.LBB111_1294:
	s_delay_alu instid0(SALU_CYCLE_1)
	s_and_b32 vcc_lo, exec_lo, s17
	s_cbranch_vccz .LBB111_1310
; %bb.1295:
	s_cmp_lt_i32 s19, 27
	s_cbranch_scc1 .LBB111_1298
; %bb.1296:
	s_cmp_gt_i32 s19, 27
	s_cbranch_scc0 .LBB111_1299
; %bb.1297:
	s_wait_loadcnt 0x0
	global_load_b32 v12, v[10:11], off
	v_mov_b32_e32 v13, 0
	s_mov_b32 s17, 0
	s_branch .LBB111_1300
.LBB111_1298:
	s_mov_b32 s17, -1
                                        ; implicit-def: $vgpr12_vgpr13
	s_branch .LBB111_1303
.LBB111_1299:
	s_mov_b32 s17, -1
                                        ; implicit-def: $vgpr12_vgpr13
.LBB111_1300:
	s_delay_alu instid0(SALU_CYCLE_1)
	s_and_not1_b32 vcc_lo, exec_lo, s17
	s_cbranch_vccnz .LBB111_1302
; %bb.1301:
	global_load_u16 v1, v[10:11], off
	s_mov_b32 s17, 0
	s_wait_loadcnt 0x1
	v_mov_b32_e32 v13, s17
	s_wait_loadcnt 0x0
	v_and_b32_e32 v12, 0xffff, v1
.LBB111_1302:
	s_mov_b32 s17, 0
.LBB111_1303:
	s_delay_alu instid0(SALU_CYCLE_1)
	s_and_not1_b32 vcc_lo, exec_lo, s17
	s_cbranch_vccnz .LBB111_1309
; %bb.1304:
	global_load_u8 v1, v[10:11], off
	s_mov_b32 s20, 0
	s_mov_b32 s17, exec_lo
	s_wait_loadcnt 0x0
	v_cmpx_lt_i16_e32 0x7f, v1
	s_xor_b32 s17, exec_lo, s17
	s_cbranch_execz .LBB111_1321
; %bb.1305:
	v_cmp_ne_u16_e32 vcc_lo, 0x80, v1
	s_and_b32 s20, vcc_lo, exec_lo
	s_and_not1_saveexec_b32 s17, s17
	s_cbranch_execnz .LBB111_1322
.LBB111_1306:
	s_or_b32 exec_lo, exec_lo, s17
	v_mov_b64_e32 v[12:13], 0
	s_and_saveexec_b32 s17, s20
	s_cbranch_execz .LBB111_1308
.LBB111_1307:
	v_and_b32_e32 v3, 0xffff, v1
	s_delay_alu instid0(VALU_DEP_1) | instskip(SKIP_1) | instid1(VALU_DEP_2)
	v_dual_lshlrev_b32 v1, 24, v1 :: v_dual_bitop2_b32 v5, 7, v3 bitop3:0x40
	v_bfe_u32 v12, v3, 3, 4
	v_and_b32_e32 v1, 0x80000000, v1
	s_delay_alu instid0(VALU_DEP_3) | instskip(NEXT) | instid1(VALU_DEP_3)
	v_clz_i32_u32_e32 v7, v5
	v_cmp_eq_u32_e32 vcc_lo, 0, v12
	s_delay_alu instid0(VALU_DEP_2) | instskip(NEXT) | instid1(VALU_DEP_1)
	v_min_u32_e32 v7, 32, v7
	v_subrev_nc_u32_e32 v9, 28, v7
	v_sub_nc_u32_e32 v7, 29, v7
	s_delay_alu instid0(VALU_DEP_2) | instskip(NEXT) | instid1(VALU_DEP_2)
	v_lshlrev_b32_e32 v3, v9, v3
	v_cndmask_b32_e32 v7, v12, v7, vcc_lo
	s_delay_alu instid0(VALU_DEP_2) | instskip(NEXT) | instid1(VALU_DEP_1)
	v_and_b32_e32 v3, 7, v3
	v_cndmask_b32_e32 v3, v5, v3, vcc_lo
	s_delay_alu instid0(VALU_DEP_3) | instskip(NEXT) | instid1(VALU_DEP_2)
	v_lshl_add_u32 v5, v7, 23, 0x3b800000
	v_lshlrev_b32_e32 v3, 20, v3
	s_delay_alu instid0(VALU_DEP_1) | instskip(NEXT) | instid1(VALU_DEP_1)
	v_or3_b32 v1, v1, v5, v3
	v_trunc_f32_e32 v1, v1
	s_delay_alu instid0(VALU_DEP_1) | instskip(SKIP_1) | instid1(VALU_DEP_2)
	v_mul_f32_e64 v3, 0x2f800000, |v1|
	v_ashrrev_i32_e32 v12, 31, v1
	v_floor_f32_e32 v3, v3
	s_delay_alu instid0(VALU_DEP_2) | instskip(NEXT) | instid1(VALU_DEP_2)
	v_mov_b32_e32 v13, v12
	v_fma_f32 v5, 0xcf800000, v3, |v1|
	v_cvt_u32_f32_e32 v1, v3
	s_delay_alu instid0(VALU_DEP_2) | instskip(NEXT) | instid1(VALU_DEP_2)
	v_cvt_u32_f32_e32 v3, v5
	v_xor_b32_e32 v15, v1, v12
	s_delay_alu instid0(VALU_DEP_2) | instskip(NEXT) | instid1(VALU_DEP_1)
	v_xor_b32_e32 v14, v3, v12
	v_sub_nc_u64_e32 v[12:13], v[14:15], v[12:13]
.LBB111_1308:
	s_or_b32 exec_lo, exec_lo, s17
.LBB111_1309:
	s_mov_b32 s20, -1
.LBB111_1310:
	s_mov_b32 s17, 0
.LBB111_1311:
	s_delay_alu instid0(SALU_CYCLE_1)
	s_and_b32 vcc_lo, exec_lo, s17
	s_cbranch_vccz .LBB111_1342
; %bb.1312:
	s_cmp_gt_i32 s19, 22
	s_cbranch_scc0 .LBB111_1320
; %bb.1313:
	s_cmp_lt_i32 s19, 24
	s_cbranch_scc1 .LBB111_1323
; %bb.1314:
	s_cmp_gt_i32 s19, 24
	s_cbranch_scc0 .LBB111_1324
; %bb.1315:
	global_load_u8 v1, v[10:11], off
	s_mov_b32 s17, exec_lo
	s_wait_loadcnt 0x0
	v_cmpx_lt_i16_e32 0x7f, v1
	s_xor_b32 s17, exec_lo, s17
	s_cbranch_execz .LBB111_1336
; %bb.1316:
	v_cmp_ne_u16_e32 vcc_lo, 0x80, v1
	s_and_b32 s18, vcc_lo, exec_lo
	s_and_not1_saveexec_b32 s17, s17
	s_cbranch_execnz .LBB111_1337
.LBB111_1317:
	s_or_b32 exec_lo, exec_lo, s17
	v_mov_b64_e32 v[12:13], 0
	s_and_saveexec_b32 s17, s18
	s_cbranch_execz .LBB111_1319
.LBB111_1318:
	v_and_b32_e32 v3, 0xffff, v1
	s_delay_alu instid0(VALU_DEP_1) | instskip(SKIP_1) | instid1(VALU_DEP_2)
	v_dual_lshlrev_b32 v1, 24, v1 :: v_dual_bitop2_b32 v5, 3, v3 bitop3:0x40
	v_bfe_u32 v12, v3, 2, 5
	v_and_b32_e32 v1, 0x80000000, v1
	s_delay_alu instid0(VALU_DEP_3) | instskip(NEXT) | instid1(VALU_DEP_3)
	v_clz_i32_u32_e32 v7, v5
	v_cmp_eq_u32_e32 vcc_lo, 0, v12
	s_delay_alu instid0(VALU_DEP_2) | instskip(NEXT) | instid1(VALU_DEP_1)
	v_min_u32_e32 v7, 32, v7
	v_subrev_nc_u32_e32 v9, 29, v7
	v_sub_nc_u32_e32 v7, 30, v7
	s_delay_alu instid0(VALU_DEP_2) | instskip(NEXT) | instid1(VALU_DEP_2)
	v_lshlrev_b32_e32 v3, v9, v3
	v_cndmask_b32_e32 v7, v12, v7, vcc_lo
	s_delay_alu instid0(VALU_DEP_2) | instskip(NEXT) | instid1(VALU_DEP_1)
	v_and_b32_e32 v3, 3, v3
	v_cndmask_b32_e32 v3, v5, v3, vcc_lo
	s_delay_alu instid0(VALU_DEP_3) | instskip(NEXT) | instid1(VALU_DEP_2)
	v_lshl_add_u32 v5, v7, 23, 0x37800000
	v_lshlrev_b32_e32 v3, 21, v3
	s_delay_alu instid0(VALU_DEP_1) | instskip(NEXT) | instid1(VALU_DEP_1)
	v_or3_b32 v1, v1, v5, v3
	v_trunc_f32_e32 v1, v1
	s_delay_alu instid0(VALU_DEP_1) | instskip(SKIP_1) | instid1(VALU_DEP_2)
	v_mul_f32_e64 v3, 0x2f800000, |v1|
	v_ashrrev_i32_e32 v12, 31, v1
	v_floor_f32_e32 v3, v3
	s_delay_alu instid0(VALU_DEP_2) | instskip(NEXT) | instid1(VALU_DEP_2)
	v_mov_b32_e32 v13, v12
	v_fma_f32 v5, 0xcf800000, v3, |v1|
	v_cvt_u32_f32_e32 v1, v3
	s_delay_alu instid0(VALU_DEP_2) | instskip(NEXT) | instid1(VALU_DEP_2)
	v_cvt_u32_f32_e32 v3, v5
	v_xor_b32_e32 v15, v1, v12
	s_delay_alu instid0(VALU_DEP_2) | instskip(NEXT) | instid1(VALU_DEP_1)
	v_xor_b32_e32 v14, v3, v12
	v_sub_nc_u64_e32 v[12:13], v[14:15], v[12:13]
.LBB111_1319:
	s_or_b32 exec_lo, exec_lo, s17
	s_mov_b32 s17, 0
	s_branch .LBB111_1325
.LBB111_1320:
	s_mov_b32 s17, -1
                                        ; implicit-def: $vgpr12_vgpr13
	s_branch .LBB111_1331
.LBB111_1321:
	s_and_not1_saveexec_b32 s17, s17
	s_cbranch_execz .LBB111_1306
.LBB111_1322:
	v_cmp_ne_u16_e32 vcc_lo, 0, v1
	s_and_not1_b32 s20, s20, exec_lo
	s_and_b32 s21, vcc_lo, exec_lo
	s_delay_alu instid0(SALU_CYCLE_1)
	s_or_b32 s20, s20, s21
	s_or_b32 exec_lo, exec_lo, s17
	v_mov_b64_e32 v[12:13], 0
	s_and_saveexec_b32 s17, s20
	s_cbranch_execnz .LBB111_1307
	s_branch .LBB111_1308
.LBB111_1323:
	s_mov_b32 s17, -1
                                        ; implicit-def: $vgpr12_vgpr13
	s_branch .LBB111_1328
.LBB111_1324:
	s_mov_b32 s17, -1
                                        ; implicit-def: $vgpr12_vgpr13
.LBB111_1325:
	s_delay_alu instid0(SALU_CYCLE_1)
	s_and_b32 vcc_lo, exec_lo, s17
	s_cbranch_vccz .LBB111_1327
; %bb.1326:
	global_load_u8 v1, v[10:11], off
	s_wait_loadcnt 0x0
	v_lshlrev_b32_e32 v1, 24, v1
	s_delay_alu instid0(VALU_DEP_1) | instskip(NEXT) | instid1(VALU_DEP_1)
	v_and_b32_e32 v3, 0x7f000000, v1
	v_clz_i32_u32_e32 v5, v3
	v_add_nc_u32_e32 v9, 0x1000000, v3
	v_cmp_ne_u32_e32 vcc_lo, 0, v3
	s_delay_alu instid0(VALU_DEP_3) | instskip(NEXT) | instid1(VALU_DEP_1)
	v_min_u32_e32 v5, 32, v5
	v_sub_nc_u32_e64 v5, v5, 4 clamp
	s_delay_alu instid0(VALU_DEP_1) | instskip(NEXT) | instid1(VALU_DEP_1)
	v_dual_lshlrev_b32 v7, v5, v3 :: v_dual_lshlrev_b32 v5, 23, v5
	v_lshrrev_b32_e32 v7, 4, v7
	s_delay_alu instid0(VALU_DEP_1) | instskip(SKIP_1) | instid1(VALU_DEP_2)
	v_sub_nc_u32_e32 v5, v7, v5
	v_ashrrev_i32_e32 v7, 8, v9
	v_add_nc_u32_e32 v5, 0x3c000000, v5
	s_delay_alu instid0(VALU_DEP_1) | instskip(NEXT) | instid1(VALU_DEP_1)
	v_and_or_b32 v5, 0x7f800000, v7, v5
	v_cndmask_b32_e32 v3, 0, v5, vcc_lo
	s_delay_alu instid0(VALU_DEP_1) | instskip(NEXT) | instid1(VALU_DEP_1)
	v_and_or_b32 v1, 0x80000000, v1, v3
	v_trunc_f32_e32 v1, v1
	s_delay_alu instid0(VALU_DEP_1) | instskip(SKIP_1) | instid1(VALU_DEP_2)
	v_mul_f32_e64 v3, 0x2f800000, |v1|
	v_ashrrev_i32_e32 v12, 31, v1
	v_floor_f32_e32 v3, v3
	s_delay_alu instid0(VALU_DEP_2) | instskip(NEXT) | instid1(VALU_DEP_2)
	v_mov_b32_e32 v13, v12
	v_fma_f32 v5, 0xcf800000, v3, |v1|
	v_cvt_u32_f32_e32 v1, v3
	s_delay_alu instid0(VALU_DEP_2) | instskip(NEXT) | instid1(VALU_DEP_2)
	v_cvt_u32_f32_e32 v3, v5
	v_xor_b32_e32 v15, v1, v12
	s_delay_alu instid0(VALU_DEP_2) | instskip(NEXT) | instid1(VALU_DEP_1)
	v_xor_b32_e32 v14, v3, v12
	v_sub_nc_u64_e32 v[12:13], v[14:15], v[12:13]
.LBB111_1327:
	s_mov_b32 s17, 0
.LBB111_1328:
	s_delay_alu instid0(SALU_CYCLE_1)
	s_and_not1_b32 vcc_lo, exec_lo, s17
	s_cbranch_vccnz .LBB111_1330
; %bb.1329:
	global_load_u8 v1, v[10:11], off
	s_wait_loadcnt 0x0
	v_lshlrev_b32_e32 v3, 25, v1
	v_lshlrev_b16 v1, 8, v1
	s_delay_alu instid0(VALU_DEP_1) | instskip(SKIP_1) | instid1(VALU_DEP_2)
	v_and_or_b32 v7, 0x7f00, v1, 0.5
	v_bfe_i32 v1, v1, 0, 16
	v_add_f32_e32 v7, -0.5, v7
	v_lshrrev_b32_e32 v5, 4, v3
	v_cmp_gt_u32_e32 vcc_lo, 0x8000000, v3
	s_delay_alu instid0(VALU_DEP_2) | instskip(NEXT) | instid1(VALU_DEP_1)
	v_or_b32_e32 v5, 0x70000000, v5
	v_mul_f32_e32 v5, 0x7800000, v5
	s_delay_alu instid0(VALU_DEP_1) | instskip(NEXT) | instid1(VALU_DEP_1)
	v_cndmask_b32_e32 v3, v5, v7, vcc_lo
	v_and_or_b32 v1, 0x80000000, v1, v3
	s_delay_alu instid0(VALU_DEP_1) | instskip(NEXT) | instid1(VALU_DEP_1)
	v_trunc_f32_e32 v1, v1
	v_mul_f32_e64 v3, 0x2f800000, |v1|
	v_ashrrev_i32_e32 v12, 31, v1
	s_delay_alu instid0(VALU_DEP_2) | instskip(NEXT) | instid1(VALU_DEP_2)
	v_floor_f32_e32 v3, v3
	v_mov_b32_e32 v13, v12
	s_delay_alu instid0(VALU_DEP_2) | instskip(SKIP_1) | instid1(VALU_DEP_2)
	v_fma_f32 v5, 0xcf800000, v3, |v1|
	v_cvt_u32_f32_e32 v1, v3
	v_cvt_u32_f32_e32 v3, v5
	s_delay_alu instid0(VALU_DEP_2) | instskip(NEXT) | instid1(VALU_DEP_2)
	v_xor_b32_e32 v15, v1, v12
	v_xor_b32_e32 v14, v3, v12
	s_delay_alu instid0(VALU_DEP_1)
	v_sub_nc_u64_e32 v[12:13], v[14:15], v[12:13]
.LBB111_1330:
	s_mov_b32 s17, 0
	s_mov_b32 s20, -1
.LBB111_1331:
	s_and_not1_b32 vcc_lo, exec_lo, s17
	s_mov_b32 s18, 0
	s_cbranch_vccnz .LBB111_1342
; %bb.1332:
	s_cmp_gt_i32 s19, 14
	s_cbranch_scc0 .LBB111_1335
; %bb.1333:
	s_cmp_eq_u32 s19, 15
	s_cbranch_scc0 .LBB111_1338
; %bb.1334:
	global_load_u16 v1, v[10:11], off
	s_mov_b32 s0, 0
	s_mov_b32 s20, -1
	s_wait_loadcnt 0x0
	v_lshlrev_b32_e32 v1, 16, v1
	s_delay_alu instid0(VALU_DEP_1) | instskip(NEXT) | instid1(VALU_DEP_1)
	v_trunc_f32_e32 v1, v1
	v_mul_f32_e64 v3, 0x2f800000, |v1|
	v_ashrrev_i32_e32 v12, 31, v1
	s_delay_alu instid0(VALU_DEP_2) | instskip(NEXT) | instid1(VALU_DEP_2)
	v_floor_f32_e32 v3, v3
	v_mov_b32_e32 v13, v12
	s_delay_alu instid0(VALU_DEP_2) | instskip(SKIP_1) | instid1(VALU_DEP_2)
	v_fma_f32 v5, 0xcf800000, v3, |v1|
	v_cvt_u32_f32_e32 v1, v3
	v_cvt_u32_f32_e32 v3, v5
	s_delay_alu instid0(VALU_DEP_2) | instskip(NEXT) | instid1(VALU_DEP_2)
	v_xor_b32_e32 v15, v1, v12
	v_xor_b32_e32 v14, v3, v12
	s_delay_alu instid0(VALU_DEP_1)
	v_sub_nc_u64_e32 v[12:13], v[14:15], v[12:13]
	s_branch .LBB111_1339
.LBB111_1335:
	s_mov_b32 s17, -1
                                        ; implicit-def: $vgpr12_vgpr13
	s_branch .LBB111_1340
.LBB111_1336:
	s_and_not1_saveexec_b32 s17, s17
	s_cbranch_execz .LBB111_1317
.LBB111_1337:
	v_cmp_ne_u16_e32 vcc_lo, 0, v1
	s_and_not1_b32 s18, s18, exec_lo
	s_and_b32 s20, vcc_lo, exec_lo
	s_delay_alu instid0(SALU_CYCLE_1)
	s_or_b32 s18, s18, s20
	s_or_b32 exec_lo, exec_lo, s17
	v_mov_b64_e32 v[12:13], 0
	s_and_saveexec_b32 s17, s18
	s_cbranch_execnz .LBB111_1318
	s_branch .LBB111_1319
.LBB111_1338:
	s_mov_b32 s0, -1
                                        ; implicit-def: $vgpr12_vgpr13
.LBB111_1339:
	s_mov_b32 s17, 0
.LBB111_1340:
	s_delay_alu instid0(SALU_CYCLE_1)
	s_and_b32 vcc_lo, exec_lo, s17
	s_cbranch_vccz .LBB111_1342
; %bb.1341:
	s_cmp_lg_u32 s19, 11
	s_mov_b32 s18, -1
	s_cselect_b32 s0, -1, 0
.LBB111_1342:
	s_delay_alu instid0(SALU_CYCLE_1)
	s_and_b32 vcc_lo, exec_lo, s0
	s_mov_b32 s17, s15
	s_cbranch_vccnz .LBB111_1409
; %bb.1343:
	s_and_not1_b32 vcc_lo, exec_lo, s18
	s_cbranch_vccnz .LBB111_1345
.LBB111_1344:
	global_load_u8 v1, v[10:11], off
	s_mov_b32 s0, 0
	s_mov_b32 s20, -1
	s_wait_loadcnt 0x1
	v_mov_b32_e32 v13, s0
	s_wait_loadcnt 0x0
	v_cmp_ne_u16_e32 vcc_lo, 0, v1
	v_cndmask_b32_e64 v12, 0, 1, vcc_lo
.LBB111_1345:
	s_mov_b32 s0, 0
.LBB111_1346:
	s_delay_alu instid0(SALU_CYCLE_1)
	s_and_b32 vcc_lo, exec_lo, s0
	s_cbranch_vccz .LBB111_1395
; %bb.1347:
	s_cmp_lt_i32 s19, 5
	s_cbranch_scc1 .LBB111_1352
; %bb.1348:
	s_cmp_lt_i32 s19, 8
	s_cbranch_scc1 .LBB111_1353
	;; [unrolled: 3-line block ×3, first 2 shown]
; %bb.1350:
	s_cmp_gt_i32 s19, 9
	s_cbranch_scc0 .LBB111_1355
; %bb.1351:
	s_wait_loadcnt 0x0
	global_load_b64 v[12:13], v[10:11], off
	s_mov_b32 s0, 0
	s_wait_loadcnt 0x0
	v_trunc_f64_e32 v[12:13], v[12:13]
	s_delay_alu instid0(VALU_DEP_1) | instskip(NEXT) | instid1(VALU_DEP_1)
	v_ldexp_f64 v[14:15], v[12:13], 0xffffffe0
	v_floor_f64_e32 v[14:15], v[14:15]
	s_delay_alu instid0(VALU_DEP_1) | instskip(SKIP_1) | instid1(VALU_DEP_2)
	v_fmamk_f64 v[16:17], v[14:15], 0xc1f00000, v[12:13]
	v_cvt_i32_f64_e32 v13, v[14:15]
	v_cvt_u32_f64_e32 v12, v[16:17]
	s_branch .LBB111_1356
.LBB111_1352:
	s_mov_b32 s0, -1
                                        ; implicit-def: $vgpr12_vgpr13
	s_branch .LBB111_1374
.LBB111_1353:
	s_mov_b32 s0, -1
                                        ; implicit-def: $vgpr12_vgpr13
	s_branch .LBB111_1362
.LBB111_1354:
	s_mov_b32 s0, -1
                                        ; implicit-def: $vgpr12_vgpr13
	s_branch .LBB111_1359
.LBB111_1355:
	s_mov_b32 s0, -1
                                        ; implicit-def: $vgpr12_vgpr13
.LBB111_1356:
	s_delay_alu instid0(SALU_CYCLE_1)
	s_and_not1_b32 vcc_lo, exec_lo, s0
	s_cbranch_vccnz .LBB111_1358
; %bb.1357:
	global_load_b32 v1, v[10:11], off
	s_wait_loadcnt 0x0
	v_trunc_f32_e32 v1, v1
	s_delay_alu instid0(VALU_DEP_1) | instskip(SKIP_1) | instid1(VALU_DEP_2)
	v_mul_f32_e64 v3, 0x2f800000, |v1|
	v_ashrrev_i32_e32 v12, 31, v1
	v_floor_f32_e32 v3, v3
	s_delay_alu instid0(VALU_DEP_1) | instskip(SKIP_1) | instid1(VALU_DEP_4)
	v_fma_f32 v5, 0xcf800000, v3, |v1|
	v_cvt_u32_f32_e32 v1, v3
	v_mov_b32_e32 v13, v12
	s_delay_alu instid0(VALU_DEP_3) | instskip(NEXT) | instid1(VALU_DEP_3)
	v_cvt_u32_f32_e32 v3, v5
	v_xor_b32_e32 v15, v1, v12
	s_delay_alu instid0(VALU_DEP_2) | instskip(NEXT) | instid1(VALU_DEP_1)
	v_xor_b32_e32 v14, v3, v12
	v_sub_nc_u64_e32 v[12:13], v[14:15], v[12:13]
.LBB111_1358:
	s_mov_b32 s0, 0
.LBB111_1359:
	s_delay_alu instid0(SALU_CYCLE_1)
	s_and_not1_b32 vcc_lo, exec_lo, s0
	s_cbranch_vccnz .LBB111_1361
; %bb.1360:
	global_load_b32 v1, v[10:11], off
	s_wait_loadcnt 0x0
	v_cvt_f32_f16_e32 v1, v1
	s_delay_alu instid0(VALU_DEP_1) | instskip(NEXT) | instid1(VALU_DEP_1)
	v_cvt_i32_f32_e32 v12, v1
	v_ashrrev_i32_e32 v13, 31, v12
.LBB111_1361:
	s_mov_b32 s0, 0
.LBB111_1362:
	s_delay_alu instid0(SALU_CYCLE_1)
	s_and_not1_b32 vcc_lo, exec_lo, s0
	s_cbranch_vccnz .LBB111_1373
; %bb.1363:
	s_cmp_lt_i32 s19, 6
	s_cbranch_scc1 .LBB111_1366
; %bb.1364:
	s_cmp_gt_i32 s19, 6
	s_cbranch_scc0 .LBB111_1367
; %bb.1365:
	s_wait_loadcnt 0x0
	global_load_b64 v[12:13], v[10:11], off
	s_mov_b32 s0, 0
	s_wait_loadcnt 0x0
	v_trunc_f64_e32 v[12:13], v[12:13]
	s_delay_alu instid0(VALU_DEP_1) | instskip(NEXT) | instid1(VALU_DEP_1)
	v_ldexp_f64 v[14:15], v[12:13], 0xffffffe0
	v_floor_f64_e32 v[14:15], v[14:15]
	s_delay_alu instid0(VALU_DEP_1) | instskip(SKIP_1) | instid1(VALU_DEP_2)
	v_fmamk_f64 v[16:17], v[14:15], 0xc1f00000, v[12:13]
	v_cvt_i32_f64_e32 v13, v[14:15]
	v_cvt_u32_f64_e32 v12, v[16:17]
	s_branch .LBB111_1368
.LBB111_1366:
	s_mov_b32 s0, -1
                                        ; implicit-def: $vgpr12_vgpr13
	s_branch .LBB111_1371
.LBB111_1367:
	s_mov_b32 s0, -1
                                        ; implicit-def: $vgpr12_vgpr13
.LBB111_1368:
	s_delay_alu instid0(SALU_CYCLE_1)
	s_and_not1_b32 vcc_lo, exec_lo, s0
	s_cbranch_vccnz .LBB111_1370
; %bb.1369:
	global_load_b32 v1, v[10:11], off
	s_wait_loadcnt 0x0
	v_trunc_f32_e32 v1, v1
	s_delay_alu instid0(VALU_DEP_1) | instskip(SKIP_1) | instid1(VALU_DEP_2)
	v_mul_f32_e64 v3, 0x2f800000, |v1|
	v_ashrrev_i32_e32 v12, 31, v1
	v_floor_f32_e32 v3, v3
	s_delay_alu instid0(VALU_DEP_1) | instskip(SKIP_1) | instid1(VALU_DEP_4)
	v_fma_f32 v5, 0xcf800000, v3, |v1|
	v_cvt_u32_f32_e32 v1, v3
	v_mov_b32_e32 v13, v12
	s_delay_alu instid0(VALU_DEP_3) | instskip(NEXT) | instid1(VALU_DEP_3)
	v_cvt_u32_f32_e32 v3, v5
	v_xor_b32_e32 v15, v1, v12
	s_delay_alu instid0(VALU_DEP_2) | instskip(NEXT) | instid1(VALU_DEP_1)
	v_xor_b32_e32 v14, v3, v12
	v_sub_nc_u64_e32 v[12:13], v[14:15], v[12:13]
.LBB111_1370:
	s_mov_b32 s0, 0
.LBB111_1371:
	s_delay_alu instid0(SALU_CYCLE_1)
	s_and_not1_b32 vcc_lo, exec_lo, s0
	s_cbranch_vccnz .LBB111_1373
; %bb.1372:
	global_load_u16 v1, v[10:11], off
	s_wait_loadcnt 0x0
	v_cvt_f32_f16_e32 v1, v1
	s_delay_alu instid0(VALU_DEP_1) | instskip(NEXT) | instid1(VALU_DEP_1)
	v_cvt_i32_f32_e32 v12, v1
	v_ashrrev_i32_e32 v13, 31, v12
.LBB111_1373:
	s_mov_b32 s0, 0
.LBB111_1374:
	s_delay_alu instid0(SALU_CYCLE_1)
	s_and_not1_b32 vcc_lo, exec_lo, s0
	s_cbranch_vccnz .LBB111_1394
; %bb.1375:
	s_cmp_lt_i32 s19, 2
	s_cbranch_scc1 .LBB111_1379
; %bb.1376:
	s_cmp_lt_i32 s19, 3
	s_cbranch_scc1 .LBB111_1380
; %bb.1377:
	s_cmp_gt_i32 s19, 3
	s_cbranch_scc0 .LBB111_1381
; %bb.1378:
	s_wait_loadcnt 0x0
	global_load_b64 v[12:13], v[10:11], off
	s_mov_b32 s0, 0
	s_branch .LBB111_1382
.LBB111_1379:
	s_mov_b32 s0, -1
                                        ; implicit-def: $vgpr12_vgpr13
	s_branch .LBB111_1388
.LBB111_1380:
	s_mov_b32 s0, -1
                                        ; implicit-def: $vgpr12_vgpr13
	s_branch .LBB111_1385
.LBB111_1381:
	s_mov_b32 s0, -1
                                        ; implicit-def: $vgpr12_vgpr13
.LBB111_1382:
	s_delay_alu instid0(SALU_CYCLE_1)
	s_and_not1_b32 vcc_lo, exec_lo, s0
	s_cbranch_vccnz .LBB111_1384
; %bb.1383:
	s_wait_loadcnt 0x0
	global_load_b32 v12, v[10:11], off
	s_wait_loadcnt 0x0
	v_ashrrev_i32_e32 v13, 31, v12
.LBB111_1384:
	s_mov_b32 s0, 0
.LBB111_1385:
	s_delay_alu instid0(SALU_CYCLE_1)
	s_and_not1_b32 vcc_lo, exec_lo, s0
	s_cbranch_vccnz .LBB111_1387
; %bb.1386:
	global_load_u16 v1, v[10:11], off
	s_wait_loadcnt 0x0
	v_bfe_i32 v12, v1, 0, 16
	s_delay_alu instid0(VALU_DEP_1)
	v_ashrrev_i32_e32 v13, 31, v12
.LBB111_1387:
	s_mov_b32 s0, 0
.LBB111_1388:
	s_delay_alu instid0(SALU_CYCLE_1)
	s_and_not1_b32 vcc_lo, exec_lo, s0
	s_cbranch_vccnz .LBB111_1394
; %bb.1389:
	s_cmp_gt_i32 s19, 0
	s_mov_b32 s0, 0
	s_cbranch_scc0 .LBB111_1391
; %bb.1390:
	global_load_i8 v1, v[10:11], off
	s_wait_loadcnt 0x0
	v_bfe_i32 v12, v1, 0, 16
	s_delay_alu instid0(VALU_DEP_1)
	v_ashrrev_i32_e32 v13, 31, v12
	s_branch .LBB111_1392
.LBB111_1391:
	s_mov_b32 s0, -1
                                        ; implicit-def: $vgpr12_vgpr13
.LBB111_1392:
	s_delay_alu instid0(SALU_CYCLE_1)
	s_and_not1_b32 vcc_lo, exec_lo, s0
	s_cbranch_vccnz .LBB111_1394
; %bb.1393:
	global_load_u8 v1, v[10:11], off
	s_mov_b32 s0, 0
	s_wait_loadcnt 0x1
	v_mov_b32_e32 v13, s0
	s_wait_loadcnt 0x0
	v_and_b32_e32 v12, 0xffff, v1
.LBB111_1394:
	s_mov_b32 s20, -1
.LBB111_1395:
	s_delay_alu instid0(SALU_CYCLE_1)
	s_and_not1_b32 vcc_lo, exec_lo, s20
	s_cbranch_vccnz .LBB111_1405
; %bb.1396:
	s_wait_loadcnt 0x0
	s_delay_alu instid0(VALU_DEP_1) | instskip(SKIP_4) | instid1(SALU_CYCLE_1)
	v_cmp_gt_i64_e32 vcc_lo, s[8:9], v[12:13]
	v_cmp_le_i64_e64 s0, s[10:11], v[12:13]
	s_or_b32 s0, vcc_lo, s0
	s_wait_xcnt 0x0
	s_and_saveexec_b32 s18, s0
	s_xor_b32 s0, exec_lo, s18
	s_cbranch_execnz .LBB111_1902
.LBB111_1397:
	s_or_saveexec_b32 s18, s0
	s_mov_b32 s20, 0
	s_mov_b32 s21, 0
                                        ; implicit-def: $vgpr14_vgpr15
                                        ; implicit-def: $sgpr0
	s_xor_b32 exec_lo, exec_lo, s18
	s_cbranch_execz .LBB111_1847
; %bb.1398:
	v_mov_b32_e32 v9, 0
	s_cmp_lt_i32 s19, 11
	s_delay_alu instid0(VALU_DEP_1)
	v_add_nc_u64_e32 v[8:9], s[6:7], v[8:9]
	s_cbranch_scc1 .LBB111_1406
; %bb.1399:
	s_cmp_gt_i32 s19, 25
	s_mov_b32 s7, 0
	s_cbranch_scc0 .LBB111_1407
; %bb.1400:
	s_cmp_gt_i32 s19, 28
	s_cbranch_scc0 .LBB111_1408
; %bb.1401:
	s_cmp_gt_i32 s19, 43
	;; [unrolled: 3-line block ×3, first 2 shown]
	s_cbranch_scc0 .LBB111_1411
; %bb.1403:
	s_cmp_eq_u32 s19, 46
	s_mov_b32 s6, 0
	s_cbranch_scc0 .LBB111_1413
; %bb.1404:
	global_load_b32 v1, v[8:9], off
	s_mov_b32 s0, 0
	s_mov_b32 s20, -1
	s_wait_loadcnt 0x0
	v_lshlrev_b32_e32 v1, 16, v1
	s_delay_alu instid0(VALU_DEP_1) | instskip(NEXT) | instid1(VALU_DEP_1)
	v_trunc_f32_e32 v1, v1
	v_mul_f32_e64 v3, 0x2f800000, |v1|
	v_ashrrev_i32_e32 v10, 31, v1
	s_delay_alu instid0(VALU_DEP_2) | instskip(NEXT) | instid1(VALU_DEP_2)
	v_floor_f32_e32 v3, v3
	v_mov_b32_e32 v11, v10
	s_delay_alu instid0(VALU_DEP_2) | instskip(SKIP_1) | instid1(VALU_DEP_2)
	v_fma_f32 v5, 0xcf800000, v3, |v1|
	v_cvt_u32_f32_e32 v1, v3
	v_cvt_u32_f32_e32 v3, v5
	s_delay_alu instid0(VALU_DEP_2) | instskip(NEXT) | instid1(VALU_DEP_2)
	v_xor_b32_e32 v13, v1, v10
	v_xor_b32_e32 v12, v3, v10
	s_delay_alu instid0(VALU_DEP_1)
	v_sub_nc_u64_e32 v[10:11], v[12:13], v[10:11]
	s_branch .LBB111_1415
.LBB111_1405:
	s_mov_b32 s20, 0
	s_mov_b32 s21, 0
                                        ; implicit-def: $vgpr14_vgpr15
                                        ; implicit-def: $sgpr0
	s_branch .LBB111_1848
.LBB111_1406:
	s_mov_b32 s0, -1
	s_mov_b32 s6, s17
                                        ; implicit-def: $vgpr10_vgpr11
	s_branch .LBB111_1477
.LBB111_1407:
	s_mov_b32 s6, -1
	s_mov_b32 s0, 0
                                        ; implicit-def: $vgpr10_vgpr11
	s_branch .LBB111_1442
.LBB111_1408:
	s_mov_b32 s6, -1
	s_mov_b32 s0, 0
                                        ; implicit-def: $vgpr10_vgpr11
	s_branch .LBB111_1425
.LBB111_1409:
	s_or_b32 s17, s15, exec_lo
	s_trap 2
	s_cbranch_execz .LBB111_1344
	s_branch .LBB111_1345
.LBB111_1410:
	s_mov_b32 s6, -1
	s_mov_b32 s0, 0
                                        ; implicit-def: $vgpr10_vgpr11
	s_branch .LBB111_1420
.LBB111_1411:
	s_mov_b32 s6, -1
	s_mov_b32 s0, 0
	s_branch .LBB111_1414
.LBB111_1412:
	s_or_b32 s1, s1, exec_lo
	s_trap 2
                                        ; implicit-def: $vgpr12
                                        ; implicit-def: $vgpr10
                                        ; implicit-def: $vgpr8
                                        ; implicit-def: $vgpr0
                                        ; implicit-def: $vgpr6
                                        ; implicit-def: $vgpr4
                                        ; implicit-def: $vgpr2
	s_branch .LBB111_1029
.LBB111_1413:
	s_mov_b32 s0, -1
.LBB111_1414:
                                        ; implicit-def: $vgpr10_vgpr11
.LBB111_1415:
	s_and_b32 vcc_lo, exec_lo, s6
	s_cbranch_vccz .LBB111_1419
; %bb.1416:
	s_cmp_eq_u32 s19, 44
	s_cbranch_scc0 .LBB111_1418
; %bb.1417:
	global_load_u8 v1, v[8:9], off
	s_mov_b32 s0, 0
	s_mov_b32 s20, -1
	s_wait_loadcnt 0x0
	v_lshlrev_b32_e32 v3, 23, v1
	v_cmp_ne_u32_e32 vcc_lo, 0, v1
	s_delay_alu instid0(VALU_DEP_2) | instskip(NEXT) | instid1(VALU_DEP_1)
	v_trunc_f32_e32 v3, v3
	v_mul_f32_e64 v5, 0x2f800000, |v3|
	v_ashrrev_i32_e32 v10, 31, v3
	s_delay_alu instid0(VALU_DEP_2) | instskip(NEXT) | instid1(VALU_DEP_2)
	v_floor_f32_e32 v5, v5
	v_mov_b32_e32 v11, v10
	s_delay_alu instid0(VALU_DEP_2) | instskip(SKIP_1) | instid1(VALU_DEP_2)
	v_fma_f32 v7, 0xcf800000, v5, |v3|
	v_cvt_u32_f32_e32 v3, v5
	v_cvt_u32_f32_e32 v5, v7
	s_delay_alu instid0(VALU_DEP_2) | instskip(NEXT) | instid1(VALU_DEP_2)
	v_xor_b32_e32 v13, v3, v10
	v_xor_b32_e32 v12, v5, v10
	s_delay_alu instid0(VALU_DEP_1) | instskip(NEXT) | instid1(VALU_DEP_1)
	v_sub_nc_u64_e32 v[10:11], v[12:13], v[10:11]
	v_dual_cndmask_b32 v11, 0, v11 :: v_dual_cndmask_b32 v10, 0, v10
	s_branch .LBB111_1419
.LBB111_1418:
	s_mov_b32 s0, -1
                                        ; implicit-def: $vgpr10_vgpr11
.LBB111_1419:
	s_mov_b32 s6, 0
.LBB111_1420:
	s_delay_alu instid0(SALU_CYCLE_1)
	s_and_b32 vcc_lo, exec_lo, s6
	s_cbranch_vccz .LBB111_1424
; %bb.1421:
	s_cmp_eq_u32 s19, 29
	s_cbranch_scc0 .LBB111_1423
; %bb.1422:
	global_load_b64 v[10:11], v[8:9], off
	s_mov_b32 s0, 0
	s_mov_b32 s20, -1
	s_branch .LBB111_1424
.LBB111_1423:
	s_mov_b32 s0, -1
                                        ; implicit-def: $vgpr10_vgpr11
.LBB111_1424:
	s_mov_b32 s6, 0
.LBB111_1425:
	s_delay_alu instid0(SALU_CYCLE_1)
	s_and_b32 vcc_lo, exec_lo, s6
	s_cbranch_vccz .LBB111_1441
; %bb.1426:
	s_cmp_lt_i32 s19, 27
	s_cbranch_scc1 .LBB111_1429
; %bb.1427:
	s_cmp_gt_i32 s19, 27
	s_cbranch_scc0 .LBB111_1430
; %bb.1428:
	s_wait_loadcnt 0x0
	global_load_b32 v10, v[8:9], off
	v_mov_b32_e32 v11, 0
	s_mov_b32 s6, 0
	s_branch .LBB111_1431
.LBB111_1429:
	s_mov_b32 s6, -1
                                        ; implicit-def: $vgpr10_vgpr11
	s_branch .LBB111_1434
.LBB111_1430:
	s_mov_b32 s6, -1
                                        ; implicit-def: $vgpr10_vgpr11
.LBB111_1431:
	s_delay_alu instid0(SALU_CYCLE_1)
	s_and_not1_b32 vcc_lo, exec_lo, s6
	s_cbranch_vccnz .LBB111_1433
; %bb.1432:
	global_load_u16 v1, v[8:9], off
	s_mov_b32 s6, 0
	s_wait_loadcnt 0x1
	v_mov_b32_e32 v11, s6
	s_wait_loadcnt 0x0
	v_and_b32_e32 v10, 0xffff, v1
.LBB111_1433:
	s_mov_b32 s6, 0
.LBB111_1434:
	s_delay_alu instid0(SALU_CYCLE_1)
	s_and_not1_b32 vcc_lo, exec_lo, s6
	s_cbranch_vccnz .LBB111_1440
; %bb.1435:
	global_load_u8 v1, v[8:9], off
	s_mov_b32 s20, 0
	s_mov_b32 s6, exec_lo
	s_wait_loadcnt 0x0
	v_cmpx_lt_i16_e32 0x7f, v1
	s_xor_b32 s6, exec_lo, s6
	s_cbranch_execz .LBB111_1452
; %bb.1436:
	v_cmp_ne_u16_e32 vcc_lo, 0x80, v1
	s_and_b32 s20, vcc_lo, exec_lo
	s_and_not1_saveexec_b32 s6, s6
	s_cbranch_execnz .LBB111_1453
.LBB111_1437:
	s_or_b32 exec_lo, exec_lo, s6
	v_mov_b64_e32 v[10:11], 0
	s_and_saveexec_b32 s6, s20
	s_cbranch_execz .LBB111_1439
.LBB111_1438:
	v_and_b32_e32 v3, 0xffff, v1
	s_delay_alu instid0(VALU_DEP_1) | instskip(SKIP_1) | instid1(VALU_DEP_2)
	v_dual_lshlrev_b32 v1, 24, v1 :: v_dual_bitop2_b32 v5, 7, v3 bitop3:0x40
	v_bfe_u32 v11, v3, 3, 4
	v_and_b32_e32 v1, 0x80000000, v1
	s_delay_alu instid0(VALU_DEP_3) | instskip(NEXT) | instid1(VALU_DEP_3)
	v_clz_i32_u32_e32 v7, v5
	v_cmp_eq_u32_e32 vcc_lo, 0, v11
	s_delay_alu instid0(VALU_DEP_2) | instskip(NEXT) | instid1(VALU_DEP_1)
	v_min_u32_e32 v7, 32, v7
	v_subrev_nc_u32_e32 v10, 28, v7
	v_sub_nc_u32_e32 v7, 29, v7
	s_delay_alu instid0(VALU_DEP_2) | instskip(NEXT) | instid1(VALU_DEP_2)
	v_lshlrev_b32_e32 v3, v10, v3
	v_cndmask_b32_e32 v7, v11, v7, vcc_lo
	s_delay_alu instid0(VALU_DEP_2) | instskip(NEXT) | instid1(VALU_DEP_1)
	v_and_b32_e32 v3, 7, v3
	v_cndmask_b32_e32 v3, v5, v3, vcc_lo
	s_delay_alu instid0(VALU_DEP_3) | instskip(NEXT) | instid1(VALU_DEP_2)
	v_lshl_add_u32 v5, v7, 23, 0x3b800000
	v_lshlrev_b32_e32 v3, 20, v3
	s_delay_alu instid0(VALU_DEP_1) | instskip(NEXT) | instid1(VALU_DEP_1)
	v_or3_b32 v1, v1, v5, v3
	v_trunc_f32_e32 v1, v1
	s_delay_alu instid0(VALU_DEP_1) | instskip(SKIP_1) | instid1(VALU_DEP_2)
	v_mul_f32_e64 v3, 0x2f800000, |v1|
	v_ashrrev_i32_e32 v10, 31, v1
	v_floor_f32_e32 v3, v3
	s_delay_alu instid0(VALU_DEP_2) | instskip(NEXT) | instid1(VALU_DEP_2)
	v_mov_b32_e32 v11, v10
	v_fma_f32 v5, 0xcf800000, v3, |v1|
	v_cvt_u32_f32_e32 v1, v3
	s_delay_alu instid0(VALU_DEP_2) | instskip(NEXT) | instid1(VALU_DEP_2)
	v_cvt_u32_f32_e32 v3, v5
	v_xor_b32_e32 v13, v1, v10
	s_delay_alu instid0(VALU_DEP_2) | instskip(NEXT) | instid1(VALU_DEP_1)
	v_xor_b32_e32 v12, v3, v10
	v_sub_nc_u64_e32 v[10:11], v[12:13], v[10:11]
.LBB111_1439:
	s_or_b32 exec_lo, exec_lo, s6
.LBB111_1440:
	s_mov_b32 s20, -1
.LBB111_1441:
	s_mov_b32 s6, 0
.LBB111_1442:
	s_delay_alu instid0(SALU_CYCLE_1)
	s_and_b32 vcc_lo, exec_lo, s6
	s_cbranch_vccz .LBB111_1473
; %bb.1443:
	s_cmp_gt_i32 s19, 22
	s_cbranch_scc0 .LBB111_1451
; %bb.1444:
	s_cmp_lt_i32 s19, 24
	s_cbranch_scc1 .LBB111_1454
; %bb.1445:
	s_cmp_gt_i32 s19, 24
	s_cbranch_scc0 .LBB111_1455
; %bb.1446:
	global_load_u8 v1, v[8:9], off
	s_mov_b32 s6, exec_lo
	s_wait_loadcnt 0x0
	v_cmpx_lt_i16_e32 0x7f, v1
	s_xor_b32 s6, exec_lo, s6
	s_cbranch_execz .LBB111_1467
; %bb.1447:
	v_cmp_ne_u16_e32 vcc_lo, 0x80, v1
	s_and_b32 s7, vcc_lo, exec_lo
	s_and_not1_saveexec_b32 s6, s6
	s_cbranch_execnz .LBB111_1468
.LBB111_1448:
	s_or_b32 exec_lo, exec_lo, s6
	v_mov_b64_e32 v[10:11], 0
	s_and_saveexec_b32 s6, s7
	s_cbranch_execz .LBB111_1450
.LBB111_1449:
	v_and_b32_e32 v3, 0xffff, v1
	s_delay_alu instid0(VALU_DEP_1) | instskip(SKIP_1) | instid1(VALU_DEP_2)
	v_dual_lshlrev_b32 v1, 24, v1 :: v_dual_bitop2_b32 v5, 3, v3 bitop3:0x40
	v_bfe_u32 v11, v3, 2, 5
	v_and_b32_e32 v1, 0x80000000, v1
	s_delay_alu instid0(VALU_DEP_3) | instskip(NEXT) | instid1(VALU_DEP_3)
	v_clz_i32_u32_e32 v7, v5
	v_cmp_eq_u32_e32 vcc_lo, 0, v11
	s_delay_alu instid0(VALU_DEP_2) | instskip(NEXT) | instid1(VALU_DEP_1)
	v_min_u32_e32 v7, 32, v7
	v_subrev_nc_u32_e32 v10, 29, v7
	v_sub_nc_u32_e32 v7, 30, v7
	s_delay_alu instid0(VALU_DEP_2) | instskip(NEXT) | instid1(VALU_DEP_2)
	v_lshlrev_b32_e32 v3, v10, v3
	v_cndmask_b32_e32 v7, v11, v7, vcc_lo
	s_delay_alu instid0(VALU_DEP_2) | instskip(NEXT) | instid1(VALU_DEP_1)
	v_and_b32_e32 v3, 3, v3
	v_cndmask_b32_e32 v3, v5, v3, vcc_lo
	s_delay_alu instid0(VALU_DEP_3) | instskip(NEXT) | instid1(VALU_DEP_2)
	v_lshl_add_u32 v5, v7, 23, 0x37800000
	v_lshlrev_b32_e32 v3, 21, v3
	s_delay_alu instid0(VALU_DEP_1) | instskip(NEXT) | instid1(VALU_DEP_1)
	v_or3_b32 v1, v1, v5, v3
	v_trunc_f32_e32 v1, v1
	s_delay_alu instid0(VALU_DEP_1) | instskip(SKIP_1) | instid1(VALU_DEP_2)
	v_mul_f32_e64 v3, 0x2f800000, |v1|
	v_ashrrev_i32_e32 v10, 31, v1
	v_floor_f32_e32 v3, v3
	s_delay_alu instid0(VALU_DEP_2) | instskip(NEXT) | instid1(VALU_DEP_2)
	v_mov_b32_e32 v11, v10
	v_fma_f32 v5, 0xcf800000, v3, |v1|
	v_cvt_u32_f32_e32 v1, v3
	s_delay_alu instid0(VALU_DEP_2) | instskip(NEXT) | instid1(VALU_DEP_2)
	v_cvt_u32_f32_e32 v3, v5
	v_xor_b32_e32 v13, v1, v10
	s_delay_alu instid0(VALU_DEP_2) | instskip(NEXT) | instid1(VALU_DEP_1)
	v_xor_b32_e32 v12, v3, v10
	v_sub_nc_u64_e32 v[10:11], v[12:13], v[10:11]
.LBB111_1450:
	s_or_b32 exec_lo, exec_lo, s6
	s_mov_b32 s6, 0
	s_branch .LBB111_1456
.LBB111_1451:
	s_mov_b32 s6, -1
                                        ; implicit-def: $vgpr10_vgpr11
	s_branch .LBB111_1462
.LBB111_1452:
	s_and_not1_saveexec_b32 s6, s6
	s_cbranch_execz .LBB111_1437
.LBB111_1453:
	v_cmp_ne_u16_e32 vcc_lo, 0, v1
	s_and_not1_b32 s20, s20, exec_lo
	s_and_b32 s21, vcc_lo, exec_lo
	s_delay_alu instid0(SALU_CYCLE_1)
	s_or_b32 s20, s20, s21
	s_or_b32 exec_lo, exec_lo, s6
	v_mov_b64_e32 v[10:11], 0
	s_and_saveexec_b32 s6, s20
	s_cbranch_execnz .LBB111_1438
	s_branch .LBB111_1439
.LBB111_1454:
	s_mov_b32 s6, -1
                                        ; implicit-def: $vgpr10_vgpr11
	s_branch .LBB111_1459
.LBB111_1455:
	s_mov_b32 s6, -1
                                        ; implicit-def: $vgpr10_vgpr11
.LBB111_1456:
	s_delay_alu instid0(SALU_CYCLE_1)
	s_and_b32 vcc_lo, exec_lo, s6
	s_cbranch_vccz .LBB111_1458
; %bb.1457:
	global_load_u8 v1, v[8:9], off
	s_wait_loadcnt 0x0
	v_lshlrev_b32_e32 v1, 24, v1
	s_delay_alu instid0(VALU_DEP_1) | instskip(NEXT) | instid1(VALU_DEP_1)
	v_and_b32_e32 v3, 0x7f000000, v1
	v_clz_i32_u32_e32 v5, v3
	v_cmp_ne_u32_e32 vcc_lo, 0, v3
	v_add_nc_u32_e32 v10, 0x1000000, v3
	s_delay_alu instid0(VALU_DEP_3) | instskip(NEXT) | instid1(VALU_DEP_1)
	v_min_u32_e32 v5, 32, v5
	v_sub_nc_u32_e64 v5, v5, 4 clamp
	s_delay_alu instid0(VALU_DEP_1) | instskip(NEXT) | instid1(VALU_DEP_1)
	v_dual_lshlrev_b32 v7, v5, v3 :: v_dual_lshlrev_b32 v5, 23, v5
	v_lshrrev_b32_e32 v7, 4, v7
	s_delay_alu instid0(VALU_DEP_1) | instskip(NEXT) | instid1(VALU_DEP_1)
	v_dual_sub_nc_u32 v5, v7, v5 :: v_dual_ashrrev_i32 v7, 8, v10
	v_add_nc_u32_e32 v5, 0x3c000000, v5
	s_delay_alu instid0(VALU_DEP_1) | instskip(NEXT) | instid1(VALU_DEP_1)
	v_and_or_b32 v5, 0x7f800000, v7, v5
	v_cndmask_b32_e32 v3, 0, v5, vcc_lo
	s_delay_alu instid0(VALU_DEP_1) | instskip(NEXT) | instid1(VALU_DEP_1)
	v_and_or_b32 v1, 0x80000000, v1, v3
	v_trunc_f32_e32 v1, v1
	s_delay_alu instid0(VALU_DEP_1) | instskip(SKIP_1) | instid1(VALU_DEP_2)
	v_mul_f32_e64 v3, 0x2f800000, |v1|
	v_ashrrev_i32_e32 v10, 31, v1
	v_floor_f32_e32 v3, v3
	s_delay_alu instid0(VALU_DEP_1) | instskip(SKIP_1) | instid1(VALU_DEP_4)
	v_fma_f32 v5, 0xcf800000, v3, |v1|
	v_cvt_u32_f32_e32 v1, v3
	v_mov_b32_e32 v11, v10
	s_delay_alu instid0(VALU_DEP_3) | instskip(NEXT) | instid1(VALU_DEP_3)
	v_cvt_u32_f32_e32 v3, v5
	v_xor_b32_e32 v13, v1, v10
	s_delay_alu instid0(VALU_DEP_2) | instskip(NEXT) | instid1(VALU_DEP_1)
	v_xor_b32_e32 v12, v3, v10
	v_sub_nc_u64_e32 v[10:11], v[12:13], v[10:11]
.LBB111_1458:
	s_mov_b32 s6, 0
.LBB111_1459:
	s_delay_alu instid0(SALU_CYCLE_1)
	s_and_not1_b32 vcc_lo, exec_lo, s6
	s_cbranch_vccnz .LBB111_1461
; %bb.1460:
	global_load_u8 v1, v[8:9], off
	s_wait_loadcnt 0x0
	v_lshlrev_b32_e32 v3, 25, v1
	v_lshlrev_b16 v1, 8, v1
	s_delay_alu instid0(VALU_DEP_1) | instskip(SKIP_1) | instid1(VALU_DEP_2)
	v_and_or_b32 v7, 0x7f00, v1, 0.5
	v_bfe_i32 v1, v1, 0, 16
	v_add_f32_e32 v7, -0.5, v7
	v_lshrrev_b32_e32 v5, 4, v3
	v_cmp_gt_u32_e32 vcc_lo, 0x8000000, v3
	s_delay_alu instid0(VALU_DEP_2) | instskip(NEXT) | instid1(VALU_DEP_1)
	v_or_b32_e32 v5, 0x70000000, v5
	v_mul_f32_e32 v5, 0x7800000, v5
	s_delay_alu instid0(VALU_DEP_1) | instskip(NEXT) | instid1(VALU_DEP_1)
	v_cndmask_b32_e32 v3, v5, v7, vcc_lo
	v_and_or_b32 v1, 0x80000000, v1, v3
	s_delay_alu instid0(VALU_DEP_1) | instskip(NEXT) | instid1(VALU_DEP_1)
	v_trunc_f32_e32 v1, v1
	v_mul_f32_e64 v3, 0x2f800000, |v1|
	v_ashrrev_i32_e32 v10, 31, v1
	s_delay_alu instid0(VALU_DEP_2) | instskip(NEXT) | instid1(VALU_DEP_2)
	v_floor_f32_e32 v3, v3
	v_mov_b32_e32 v11, v10
	s_delay_alu instid0(VALU_DEP_2) | instskip(SKIP_1) | instid1(VALU_DEP_2)
	v_fma_f32 v5, 0xcf800000, v3, |v1|
	v_cvt_u32_f32_e32 v1, v3
	v_cvt_u32_f32_e32 v3, v5
	s_delay_alu instid0(VALU_DEP_2) | instskip(NEXT) | instid1(VALU_DEP_2)
	v_xor_b32_e32 v13, v1, v10
	v_xor_b32_e32 v12, v3, v10
	s_delay_alu instid0(VALU_DEP_1)
	v_sub_nc_u64_e32 v[10:11], v[12:13], v[10:11]
.LBB111_1461:
	s_mov_b32 s6, 0
	s_mov_b32 s20, -1
.LBB111_1462:
	s_and_not1_b32 vcc_lo, exec_lo, s6
	s_mov_b32 s7, 0
	s_cbranch_vccnz .LBB111_1473
; %bb.1463:
	s_cmp_gt_i32 s19, 14
	s_cbranch_scc0 .LBB111_1466
; %bb.1464:
	s_cmp_eq_u32 s19, 15
	s_cbranch_scc0 .LBB111_1469
; %bb.1465:
	global_load_u16 v1, v[8:9], off
	s_mov_b32 s0, 0
	s_mov_b32 s20, -1
	s_wait_loadcnt 0x0
	v_lshlrev_b32_e32 v1, 16, v1
	s_delay_alu instid0(VALU_DEP_1) | instskip(NEXT) | instid1(VALU_DEP_1)
	v_trunc_f32_e32 v1, v1
	v_mul_f32_e64 v3, 0x2f800000, |v1|
	v_ashrrev_i32_e32 v10, 31, v1
	s_delay_alu instid0(VALU_DEP_2) | instskip(NEXT) | instid1(VALU_DEP_2)
	v_floor_f32_e32 v3, v3
	v_mov_b32_e32 v11, v10
	s_delay_alu instid0(VALU_DEP_2) | instskip(SKIP_1) | instid1(VALU_DEP_2)
	v_fma_f32 v5, 0xcf800000, v3, |v1|
	v_cvt_u32_f32_e32 v1, v3
	v_cvt_u32_f32_e32 v3, v5
	s_delay_alu instid0(VALU_DEP_2) | instskip(NEXT) | instid1(VALU_DEP_2)
	v_xor_b32_e32 v13, v1, v10
	v_xor_b32_e32 v12, v3, v10
	s_delay_alu instid0(VALU_DEP_1)
	v_sub_nc_u64_e32 v[10:11], v[12:13], v[10:11]
	s_branch .LBB111_1470
.LBB111_1466:
	s_mov_b32 s6, -1
                                        ; implicit-def: $vgpr10_vgpr11
	s_branch .LBB111_1471
.LBB111_1467:
	s_and_not1_saveexec_b32 s6, s6
	s_cbranch_execz .LBB111_1448
.LBB111_1468:
	v_cmp_ne_u16_e32 vcc_lo, 0, v1
	s_and_not1_b32 s7, s7, exec_lo
	s_and_b32 s20, vcc_lo, exec_lo
	s_delay_alu instid0(SALU_CYCLE_1)
	s_or_b32 s7, s7, s20
	s_or_b32 exec_lo, exec_lo, s6
	v_mov_b64_e32 v[10:11], 0
	s_and_saveexec_b32 s6, s7
	s_cbranch_execnz .LBB111_1449
	s_branch .LBB111_1450
.LBB111_1469:
	s_mov_b32 s0, -1
                                        ; implicit-def: $vgpr10_vgpr11
.LBB111_1470:
	s_mov_b32 s6, 0
.LBB111_1471:
	s_delay_alu instid0(SALU_CYCLE_1)
	s_and_b32 vcc_lo, exec_lo, s6
	s_cbranch_vccz .LBB111_1473
; %bb.1472:
	s_cmp_lg_u32 s19, 11
	s_mov_b32 s7, -1
	s_cselect_b32 s0, -1, 0
.LBB111_1473:
	s_delay_alu instid0(SALU_CYCLE_1)
	s_and_b32 vcc_lo, exec_lo, s0
	s_mov_b32 s6, s17
	s_cbranch_vccnz .LBB111_1896
; %bb.1474:
	s_and_not1_b32 vcc_lo, exec_lo, s7
	s_cbranch_vccnz .LBB111_1476
.LBB111_1475:
	global_load_u8 v1, v[8:9], off
	s_mov_b32 s0, 0
	s_mov_b32 s20, -1
	s_wait_loadcnt 0x1
	v_mov_b32_e32 v11, s0
	s_wait_loadcnt 0x0
	v_cmp_ne_u16_e32 vcc_lo, 0, v1
	v_cndmask_b32_e64 v10, 0, 1, vcc_lo
.LBB111_1476:
	s_mov_b32 s0, 0
.LBB111_1477:
	s_delay_alu instid0(SALU_CYCLE_1)
	s_and_b32 vcc_lo, exec_lo, s0
	s_cbranch_vccz .LBB111_1526
; %bb.1478:
	s_cmp_lt_i32 s19, 5
	s_cbranch_scc1 .LBB111_1483
; %bb.1479:
	s_cmp_lt_i32 s19, 8
	s_cbranch_scc1 .LBB111_1484
	;; [unrolled: 3-line block ×3, first 2 shown]
; %bb.1481:
	s_cmp_gt_i32 s19, 9
	s_cbranch_scc0 .LBB111_1486
; %bb.1482:
	s_wait_loadcnt 0x0
	global_load_b64 v[10:11], v[8:9], off
	s_mov_b32 s0, 0
	s_wait_loadcnt 0x0
	v_trunc_f64_e32 v[10:11], v[10:11]
	s_delay_alu instid0(VALU_DEP_1) | instskip(NEXT) | instid1(VALU_DEP_1)
	v_ldexp_f64 v[12:13], v[10:11], 0xffffffe0
	v_floor_f64_e32 v[12:13], v[12:13]
	s_delay_alu instid0(VALU_DEP_1) | instskip(SKIP_1) | instid1(VALU_DEP_2)
	v_fmamk_f64 v[14:15], v[12:13], 0xc1f00000, v[10:11]
	v_cvt_i32_f64_e32 v11, v[12:13]
	v_cvt_u32_f64_e32 v10, v[14:15]
	s_branch .LBB111_1487
.LBB111_1483:
	s_mov_b32 s0, -1
                                        ; implicit-def: $vgpr10_vgpr11
	s_branch .LBB111_1505
.LBB111_1484:
	s_mov_b32 s0, -1
                                        ; implicit-def: $vgpr10_vgpr11
	s_branch .LBB111_1493
.LBB111_1485:
	s_mov_b32 s0, -1
                                        ; implicit-def: $vgpr10_vgpr11
	s_branch .LBB111_1490
.LBB111_1486:
	s_mov_b32 s0, -1
                                        ; implicit-def: $vgpr10_vgpr11
.LBB111_1487:
	s_delay_alu instid0(SALU_CYCLE_1)
	s_and_not1_b32 vcc_lo, exec_lo, s0
	s_cbranch_vccnz .LBB111_1489
; %bb.1488:
	global_load_b32 v1, v[8:9], off
	s_wait_loadcnt 0x0
	v_trunc_f32_e32 v1, v1
	s_delay_alu instid0(VALU_DEP_1) | instskip(SKIP_1) | instid1(VALU_DEP_2)
	v_mul_f32_e64 v3, 0x2f800000, |v1|
	v_ashrrev_i32_e32 v10, 31, v1
	v_floor_f32_e32 v3, v3
	s_delay_alu instid0(VALU_DEP_1) | instskip(SKIP_1) | instid1(VALU_DEP_4)
	v_fma_f32 v5, 0xcf800000, v3, |v1|
	v_cvt_u32_f32_e32 v1, v3
	v_mov_b32_e32 v11, v10
	s_delay_alu instid0(VALU_DEP_3) | instskip(NEXT) | instid1(VALU_DEP_3)
	v_cvt_u32_f32_e32 v3, v5
	v_xor_b32_e32 v13, v1, v10
	s_delay_alu instid0(VALU_DEP_2) | instskip(NEXT) | instid1(VALU_DEP_1)
	v_xor_b32_e32 v12, v3, v10
	v_sub_nc_u64_e32 v[10:11], v[12:13], v[10:11]
.LBB111_1489:
	s_mov_b32 s0, 0
.LBB111_1490:
	s_delay_alu instid0(SALU_CYCLE_1)
	s_and_not1_b32 vcc_lo, exec_lo, s0
	s_cbranch_vccnz .LBB111_1492
; %bb.1491:
	global_load_b32 v1, v[8:9], off
	s_wait_loadcnt 0x0
	v_cvt_f32_f16_e32 v1, v1
	s_delay_alu instid0(VALU_DEP_1) | instskip(NEXT) | instid1(VALU_DEP_1)
	v_cvt_i32_f32_e32 v10, v1
	v_ashrrev_i32_e32 v11, 31, v10
.LBB111_1492:
	s_mov_b32 s0, 0
.LBB111_1493:
	s_delay_alu instid0(SALU_CYCLE_1)
	s_and_not1_b32 vcc_lo, exec_lo, s0
	s_cbranch_vccnz .LBB111_1504
; %bb.1494:
	s_cmp_lt_i32 s19, 6
	s_cbranch_scc1 .LBB111_1497
; %bb.1495:
	s_cmp_gt_i32 s19, 6
	s_cbranch_scc0 .LBB111_1498
; %bb.1496:
	s_wait_loadcnt 0x0
	global_load_b64 v[10:11], v[8:9], off
	s_mov_b32 s0, 0
	s_wait_loadcnt 0x0
	v_trunc_f64_e32 v[10:11], v[10:11]
	s_delay_alu instid0(VALU_DEP_1) | instskip(NEXT) | instid1(VALU_DEP_1)
	v_ldexp_f64 v[12:13], v[10:11], 0xffffffe0
	v_floor_f64_e32 v[12:13], v[12:13]
	s_delay_alu instid0(VALU_DEP_1) | instskip(SKIP_1) | instid1(VALU_DEP_2)
	v_fmamk_f64 v[14:15], v[12:13], 0xc1f00000, v[10:11]
	v_cvt_i32_f64_e32 v11, v[12:13]
	v_cvt_u32_f64_e32 v10, v[14:15]
	s_branch .LBB111_1499
.LBB111_1497:
	s_mov_b32 s0, -1
                                        ; implicit-def: $vgpr10_vgpr11
	s_branch .LBB111_1502
.LBB111_1498:
	s_mov_b32 s0, -1
                                        ; implicit-def: $vgpr10_vgpr11
.LBB111_1499:
	s_delay_alu instid0(SALU_CYCLE_1)
	s_and_not1_b32 vcc_lo, exec_lo, s0
	s_cbranch_vccnz .LBB111_1501
; %bb.1500:
	global_load_b32 v1, v[8:9], off
	s_wait_loadcnt 0x0
	v_trunc_f32_e32 v1, v1
	s_delay_alu instid0(VALU_DEP_1) | instskip(SKIP_1) | instid1(VALU_DEP_2)
	v_mul_f32_e64 v3, 0x2f800000, |v1|
	v_ashrrev_i32_e32 v10, 31, v1
	v_floor_f32_e32 v3, v3
	s_delay_alu instid0(VALU_DEP_1) | instskip(SKIP_1) | instid1(VALU_DEP_4)
	v_fma_f32 v5, 0xcf800000, v3, |v1|
	v_cvt_u32_f32_e32 v1, v3
	v_mov_b32_e32 v11, v10
	s_delay_alu instid0(VALU_DEP_3) | instskip(NEXT) | instid1(VALU_DEP_3)
	v_cvt_u32_f32_e32 v3, v5
	v_xor_b32_e32 v13, v1, v10
	s_delay_alu instid0(VALU_DEP_2) | instskip(NEXT) | instid1(VALU_DEP_1)
	v_xor_b32_e32 v12, v3, v10
	v_sub_nc_u64_e32 v[10:11], v[12:13], v[10:11]
.LBB111_1501:
	s_mov_b32 s0, 0
.LBB111_1502:
	s_delay_alu instid0(SALU_CYCLE_1)
	s_and_not1_b32 vcc_lo, exec_lo, s0
	s_cbranch_vccnz .LBB111_1504
; %bb.1503:
	global_load_u16 v1, v[8:9], off
	s_wait_loadcnt 0x0
	v_cvt_f32_f16_e32 v1, v1
	s_delay_alu instid0(VALU_DEP_1) | instskip(NEXT) | instid1(VALU_DEP_1)
	v_cvt_i32_f32_e32 v10, v1
	v_ashrrev_i32_e32 v11, 31, v10
.LBB111_1504:
	s_mov_b32 s0, 0
.LBB111_1505:
	s_delay_alu instid0(SALU_CYCLE_1)
	s_and_not1_b32 vcc_lo, exec_lo, s0
	s_cbranch_vccnz .LBB111_1525
; %bb.1506:
	s_cmp_lt_i32 s19, 2
	s_cbranch_scc1 .LBB111_1510
; %bb.1507:
	s_cmp_lt_i32 s19, 3
	s_cbranch_scc1 .LBB111_1511
; %bb.1508:
	s_cmp_gt_i32 s19, 3
	s_cbranch_scc0 .LBB111_1512
; %bb.1509:
	s_wait_loadcnt 0x0
	global_load_b64 v[10:11], v[8:9], off
	s_mov_b32 s0, 0
	s_branch .LBB111_1513
.LBB111_1510:
	s_mov_b32 s0, -1
                                        ; implicit-def: $vgpr10_vgpr11
	s_branch .LBB111_1519
.LBB111_1511:
	s_mov_b32 s0, -1
                                        ; implicit-def: $vgpr10_vgpr11
	s_branch .LBB111_1516
.LBB111_1512:
	s_mov_b32 s0, -1
                                        ; implicit-def: $vgpr10_vgpr11
.LBB111_1513:
	s_delay_alu instid0(SALU_CYCLE_1)
	s_and_not1_b32 vcc_lo, exec_lo, s0
	s_cbranch_vccnz .LBB111_1515
; %bb.1514:
	s_wait_loadcnt 0x0
	global_load_b32 v10, v[8:9], off
	s_wait_loadcnt 0x0
	v_ashrrev_i32_e32 v11, 31, v10
.LBB111_1515:
	s_mov_b32 s0, 0
.LBB111_1516:
	s_delay_alu instid0(SALU_CYCLE_1)
	s_and_not1_b32 vcc_lo, exec_lo, s0
	s_cbranch_vccnz .LBB111_1518
; %bb.1517:
	global_load_u16 v1, v[8:9], off
	s_wait_loadcnt 0x0
	v_bfe_i32 v10, v1, 0, 16
	s_delay_alu instid0(VALU_DEP_1)
	v_ashrrev_i32_e32 v11, 31, v10
.LBB111_1518:
	s_mov_b32 s0, 0
.LBB111_1519:
	s_delay_alu instid0(SALU_CYCLE_1)
	s_and_not1_b32 vcc_lo, exec_lo, s0
	s_cbranch_vccnz .LBB111_1525
; %bb.1520:
	s_cmp_gt_i32 s19, 0
	s_mov_b32 s0, 0
	s_cbranch_scc0 .LBB111_1522
; %bb.1521:
	global_load_i8 v1, v[8:9], off
	s_wait_loadcnt 0x0
	v_bfe_i32 v10, v1, 0, 16
	s_delay_alu instid0(VALU_DEP_1)
	v_ashrrev_i32_e32 v11, 31, v10
	s_branch .LBB111_1523
.LBB111_1522:
	s_mov_b32 s0, -1
                                        ; implicit-def: $vgpr10_vgpr11
.LBB111_1523:
	s_delay_alu instid0(SALU_CYCLE_1)
	s_and_not1_b32 vcc_lo, exec_lo, s0
	s_cbranch_vccnz .LBB111_1525
; %bb.1524:
	global_load_u8 v1, v[8:9], off
	s_mov_b32 s0, 0
	s_wait_loadcnt 0x1
	v_mov_b32_e32 v11, s0
	s_wait_loadcnt 0x0
	v_and_b32_e32 v10, 0xffff, v1
.LBB111_1525:
	s_mov_b32 s20, -1
.LBB111_1526:
	s_delay_alu instid0(SALU_CYCLE_1)
	s_and_not1_b32 vcc_lo, exec_lo, s20
	s_cbranch_vccnz .LBB111_1577
; %bb.1527:
	s_wait_loadcnt 0x0
	s_delay_alu instid0(VALU_DEP_1) | instskip(SKIP_4) | instid1(SALU_CYCLE_1)
	v_cmp_gt_i64_e32 vcc_lo, s[8:9], v[10:11]
	v_cmp_le_i64_e64 s0, s[10:11], v[10:11]
	s_or_b32 s0, vcc_lo, s0
	s_wait_xcnt 0x0
	s_and_saveexec_b32 s7, s0
	s_xor_b32 s0, exec_lo, s7
	s_cbranch_execnz .LBB111_1904
.LBB111_1528:
	s_or_saveexec_b32 s7, s0
	s_mov_b32 s8, 0
	s_mov_b32 s9, 0
                                        ; implicit-def: $vgpr14_vgpr15
                                        ; implicit-def: $sgpr0
	s_xor_b32 exec_lo, exec_lo, s7
	s_cbranch_execz .LBB111_1845
; %bb.1529:
	s_load_b32 s0, s[2:3], 0x168
	v_mov_b32_e32 v7, 0
	s_delay_alu instid0(VALU_DEP_1) | instskip(SKIP_2) | instid1(SALU_CYCLE_1)
	v_add_nc_u64_e32 v[6:7], s[4:5], v[6:7]
	s_wait_kmcnt 0x0
	s_and_b32 s0, s0, 0xff
	s_cmp_lt_i32 s0, 11
	s_cbranch_scc1 .LBB111_1578
; %bb.1530:
	s_and_b32 s2, 0xffff, s0
	s_mov_b32 s10, -1
	s_cmp_gt_i32 s2, 25
	s_mov_b32 s3, 0
	s_cbranch_scc0 .LBB111_1555
; %bb.1531:
	s_cmp_gt_i32 s2, 28
	s_cbranch_scc0 .LBB111_1544
; %bb.1532:
	s_cmp_gt_i32 s2, 43
	s_cbranch_scc0 .LBB111_1540
; %bb.1533:
	s_cmp_gt_i32 s2, 45
	s_cbranch_scc0 .LBB111_1536
; %bb.1534:
	s_mov_b32 s3, -1
	s_mov_b32 s10, 0
	s_cmp_eq_u32 s2, 46
	s_cbranch_scc0 .LBB111_1536
; %bb.1535:
	v_mov_b32_e32 v1, 0
	s_mov_b32 s3, 0
	s_mov_b32 s8, -1
	global_store_b32 v[6:7], v1, off
.LBB111_1536:
	s_and_b32 vcc_lo, exec_lo, s10
	s_cbranch_vccz .LBB111_1539
; %bb.1537:
	s_cmp_eq_u32 s2, 44
	s_mov_b32 s3, -1
	s_cbranch_scc0 .LBB111_1539
; %bb.1538:
	s_wait_xcnt 0x0
	v_mov_b32_e32 v1, 0
	s_mov_b32 s3, 0
	s_mov_b32 s8, -1
	global_store_b8 v[6:7], v1, off
.LBB111_1539:
	s_mov_b32 s10, 0
.LBB111_1540:
	s_delay_alu instid0(SALU_CYCLE_1)
	s_and_b32 vcc_lo, exec_lo, s10
	s_cbranch_vccz .LBB111_1543
; %bb.1541:
	s_cmp_eq_u32 s2, 29
	s_mov_b32 s3, -1
	s_cbranch_scc0 .LBB111_1543
; %bb.1542:
	v_mov_b64_e32 v[8:9], 0
	s_mov_b32 s3, 0
	s_mov_b32 s8, -1
	global_store_b64 v[6:7], v[8:9], off
.LBB111_1543:
	s_mov_b32 s10, 0
.LBB111_1544:
	s_delay_alu instid0(SALU_CYCLE_1)
	s_and_b32 vcc_lo, exec_lo, s10
	s_cbranch_vccz .LBB111_1554
; %bb.1545:
	s_cmp_lt_i32 s2, 27
	s_mov_b32 s8, -1
	s_cbranch_scc1 .LBB111_1551
; %bb.1546:
	s_cmp_gt_i32 s2, 27
	s_cbranch_scc0 .LBB111_1548
; %bb.1547:
	s_wait_xcnt 0x0
	v_mov_b32_e32 v1, 0
	s_mov_b32 s8, 0
	global_store_b32 v[6:7], v1, off
.LBB111_1548:
	s_and_not1_b32 vcc_lo, exec_lo, s8
	s_cbranch_vccnz .LBB111_1550
; %bb.1549:
	s_wait_xcnt 0x0
	v_mov_b32_e32 v1, 0
	global_store_b16 v[6:7], v1, off
.LBB111_1550:
	s_mov_b32 s8, 0
.LBB111_1551:
	s_delay_alu instid0(SALU_CYCLE_1)
	s_and_not1_b32 vcc_lo, exec_lo, s8
	s_cbranch_vccnz .LBB111_1553
; %bb.1552:
	s_wait_xcnt 0x0
	v_mov_b32_e32 v1, 0
	global_store_b8 v[6:7], v1, off
.LBB111_1553:
	s_mov_b32 s8, -1
.LBB111_1554:
	s_mov_b32 s10, 0
.LBB111_1555:
	s_delay_alu instid0(SALU_CYCLE_1)
	s_and_b32 vcc_lo, exec_lo, s10
	s_cbranch_vccz .LBB111_1573
; %bb.1556:
	s_cmp_gt_i32 s2, 22
	s_mov_b32 s9, -1
	s_cbranch_scc0 .LBB111_1566
; %bb.1557:
	s_cmp_lt_i32 s2, 24
	s_mov_b32 s8, -1
	s_cbranch_scc1 .LBB111_1563
; %bb.1558:
	s_cmp_gt_i32 s2, 24
	s_cbranch_scc0 .LBB111_1560
; %bb.1559:
	s_wait_xcnt 0x0
	v_mov_b32_e32 v1, 0
	s_mov_b32 s8, 0
	global_store_b8 v[6:7], v1, off
.LBB111_1560:
	s_and_not1_b32 vcc_lo, exec_lo, s8
	s_cbranch_vccnz .LBB111_1562
; %bb.1561:
	s_wait_xcnt 0x0
	v_mov_b32_e32 v1, 0
	global_store_b8 v[6:7], v1, off
.LBB111_1562:
	s_mov_b32 s8, 0
.LBB111_1563:
	s_delay_alu instid0(SALU_CYCLE_1)
	s_and_not1_b32 vcc_lo, exec_lo, s8
	s_cbranch_vccnz .LBB111_1565
; %bb.1564:
	s_wait_xcnt 0x0
	v_mov_b32_e32 v1, 0
	global_store_b8 v[6:7], v1, off
.LBB111_1565:
	s_mov_b32 s9, 0
	s_mov_b32 s8, -1
.LBB111_1566:
	s_and_not1_b32 vcc_lo, exec_lo, s9
	s_mov_b32 s9, 0
	s_cbranch_vccnz .LBB111_1573
; %bb.1567:
	s_cmp_gt_i32 s2, 14
	s_mov_b32 s9, -1
	s_cbranch_scc0 .LBB111_1571
; %bb.1568:
	s_cmp_eq_u32 s2, 15
	s_mov_b32 s3, -1
	s_cbranch_scc0 .LBB111_1570
; %bb.1569:
	s_wait_xcnt 0x0
	v_mov_b32_e32 v1, 0
	s_mov_b32 s3, 0
	s_mov_b32 s8, -1
	global_store_b16 v[6:7], v1, off
.LBB111_1570:
	s_mov_b32 s9, 0
.LBB111_1571:
	s_delay_alu instid0(SALU_CYCLE_1)
	s_and_b32 vcc_lo, exec_lo, s9
	s_mov_b32 s9, 0
	s_cbranch_vccz .LBB111_1573
; %bb.1572:
	s_cmp_lg_u32 s2, 11
	s_mov_b32 s9, -1
	s_cselect_b32 s3, -1, 0
.LBB111_1573:
	s_delay_alu instid0(SALU_CYCLE_1)
	s_and_b32 vcc_lo, exec_lo, s3
	s_mov_b32 s2, s6
	s_cbranch_vccnz .LBB111_1898
; %bb.1574:
	s_and_not1_b32 vcc_lo, exec_lo, s9
	s_cbranch_vccnz .LBB111_1576
.LBB111_1575:
	s_wait_xcnt 0x0
	v_mov_b32_e32 v1, 0
	s_mov_b32 s8, -1
	global_store_b8 v[6:7], v1, off
.LBB111_1576:
	s_mov_b32 s3, 0
	s_branch .LBB111_1579
.LBB111_1577:
	s_mov_b32 s8, 0
	s_mov_b32 s9, 0
                                        ; implicit-def: $vgpr14_vgpr15
                                        ; implicit-def: $sgpr0
	s_branch .LBB111_1846
.LBB111_1578:
	s_mov_b32 s3, -1
	s_mov_b32 s2, s6
.LBB111_1579:
	s_and_b32 vcc_lo, exec_lo, s3
	s_cbranch_vccz .LBB111_1618
; %bb.1580:
	s_and_b32 s3, 0xffff, s0
	s_mov_b32 s8, -1
	s_cmp_lt_i32 s3, 5
	s_cbranch_scc1 .LBB111_1601
; %bb.1581:
	s_cmp_lt_i32 s3, 8
	s_cbranch_scc1 .LBB111_1591
; %bb.1582:
	;; [unrolled: 3-line block ×3, first 2 shown]
	s_cmp_gt_i32 s3, 9
	s_cbranch_scc0 .LBB111_1585
; %bb.1584:
	s_wait_xcnt 0x0
	v_mov_b32_e32 v8, 0
	s_mov_b32 s8, 0
	s_delay_alu instid0(VALU_DEP_1)
	v_dual_mov_b32 v9, v8 :: v_dual_mov_b32 v10, v8
	v_mov_b32_e32 v11, v8
	global_store_b128 v[6:7], v[8:11], off
.LBB111_1585:
	s_and_not1_b32 vcc_lo, exec_lo, s8
	s_cbranch_vccnz .LBB111_1587
; %bb.1586:
	s_wait_xcnt 0x0
	v_mov_b64_e32 v[8:9], 0
	global_store_b64 v[6:7], v[8:9], off
.LBB111_1587:
	s_mov_b32 s8, 0
.LBB111_1588:
	s_delay_alu instid0(SALU_CYCLE_1)
	s_and_not1_b32 vcc_lo, exec_lo, s8
	s_cbranch_vccnz .LBB111_1590
; %bb.1589:
	s_wait_xcnt 0x0
	v_mov_b32_e32 v1, 0
	global_store_b32 v[6:7], v1, off
.LBB111_1590:
	s_mov_b32 s8, 0
.LBB111_1591:
	s_delay_alu instid0(SALU_CYCLE_1)
	s_and_not1_b32 vcc_lo, exec_lo, s8
	s_cbranch_vccnz .LBB111_1600
; %bb.1592:
	s_cmp_lt_i32 s3, 6
	s_mov_b32 s8, -1
	s_cbranch_scc1 .LBB111_1598
; %bb.1593:
	s_cmp_gt_i32 s3, 6
	s_cbranch_scc0 .LBB111_1595
; %bb.1594:
	s_wait_xcnt 0x0
	v_mov_b64_e32 v[8:9], 0
	s_mov_b32 s8, 0
	global_store_b64 v[6:7], v[8:9], off
.LBB111_1595:
	s_and_not1_b32 vcc_lo, exec_lo, s8
	s_cbranch_vccnz .LBB111_1597
; %bb.1596:
	s_wait_xcnt 0x0
	v_mov_b32_e32 v1, 0
	global_store_b32 v[6:7], v1, off
.LBB111_1597:
	s_mov_b32 s8, 0
.LBB111_1598:
	s_delay_alu instid0(SALU_CYCLE_1)
	s_and_not1_b32 vcc_lo, exec_lo, s8
	s_cbranch_vccnz .LBB111_1600
; %bb.1599:
	s_wait_xcnt 0x0
	v_mov_b32_e32 v1, 0
	global_store_b16 v[6:7], v1, off
.LBB111_1600:
	s_mov_b32 s8, 0
.LBB111_1601:
	s_delay_alu instid0(SALU_CYCLE_1)
	s_and_not1_b32 vcc_lo, exec_lo, s8
	s_cbranch_vccnz .LBB111_1617
; %bb.1602:
	s_cmp_lt_i32 s3, 2
	s_mov_b32 s8, -1
	s_cbranch_scc1 .LBB111_1612
; %bb.1603:
	s_cmp_lt_i32 s3, 3
	s_cbranch_scc1 .LBB111_1609
; %bb.1604:
	s_cmp_gt_i32 s3, 3
	s_cbranch_scc0 .LBB111_1606
; %bb.1605:
	s_wait_xcnt 0x0
	v_mov_b64_e32 v[8:9], 0
	s_mov_b32 s8, 0
	global_store_b64 v[6:7], v[8:9], off
.LBB111_1606:
	s_and_not1_b32 vcc_lo, exec_lo, s8
	s_cbranch_vccnz .LBB111_1608
; %bb.1607:
	s_wait_xcnt 0x0
	v_mov_b32_e32 v1, 0
	global_store_b32 v[6:7], v1, off
.LBB111_1608:
	s_mov_b32 s8, 0
.LBB111_1609:
	s_delay_alu instid0(SALU_CYCLE_1)
	s_and_not1_b32 vcc_lo, exec_lo, s8
	s_cbranch_vccnz .LBB111_1611
; %bb.1610:
	s_wait_xcnt 0x0
	v_mov_b32_e32 v1, 0
	global_store_b16 v[6:7], v1, off
.LBB111_1611:
	s_mov_b32 s8, 0
.LBB111_1612:
	s_delay_alu instid0(SALU_CYCLE_1)
	s_and_not1_b32 vcc_lo, exec_lo, s8
	s_cbranch_vccnz .LBB111_1617
; %bb.1613:
	s_cmp_gt_i32 s3, 0
	s_mov_b32 s3, -1
	s_cbranch_scc0 .LBB111_1615
; %bb.1614:
	s_wait_xcnt 0x0
	v_mov_b32_e32 v1, 0
	s_mov_b32 s3, 0
	global_store_b8 v[6:7], v1, off
.LBB111_1615:
	s_and_not1_b32 vcc_lo, exec_lo, s3
	s_cbranch_vccnz .LBB111_1617
; %bb.1616:
	s_wait_xcnt 0x0
	v_mov_b32_e32 v1, 0
	global_store_b8 v[6:7], v1, off
.LBB111_1617:
	s_mov_b32 s8, -1
.LBB111_1618:
	s_delay_alu instid0(SALU_CYCLE_1)
	s_and_not1_b32 vcc_lo, exec_lo, s8
	s_cbranch_vccnz .LBB111_1843
; %bb.1619:
	v_mov_b32_e32 v5, 0
	s_and_b32 s3, 0xffff, s0
	s_delay_alu instid0(SALU_CYCLE_1) | instskip(NEXT) | instid1(VALU_DEP_1)
	s_cmp_lt_i32 s3, 11
	v_add_nc_u64_e32 v[4:5], s[4:5], v[4:5]
	s_cbranch_scc1 .LBB111_1667
; %bb.1620:
	s_mov_b32 s11, -1
	s_mov_b32 s10, 0
	s_cmp_gt_i32 s3, 25
	s_mov_b32 s9, 0
	s_mov_b32 s8, 0
	s_cbranch_scc0 .LBB111_1645
; %bb.1621:
	s_cmp_gt_i32 s3, 28
	s_cbranch_scc0 .LBB111_1634
; %bb.1622:
	s_cmp_gt_i32 s3, 43
	;; [unrolled: 3-line block ×3, first 2 shown]
	s_cbranch_scc0 .LBB111_1626
; %bb.1624:
	s_mov_b32 s8, -1
	s_mov_b32 s11, 0
	s_cmp_eq_u32 s3, 46
	s_cbranch_scc0 .LBB111_1626
; %bb.1625:
	s_wait_xcnt 0x0
	v_mov_b32_e32 v1, 0
	s_mov_b32 s8, 0
	s_mov_b32 s9, -1
	global_store_b32 v[4:5], v1, off
.LBB111_1626:
	s_and_b32 vcc_lo, exec_lo, s11
	s_cbranch_vccz .LBB111_1629
; %bb.1627:
	s_cmp_eq_u32 s3, 44
	s_mov_b32 s8, -1
	s_cbranch_scc0 .LBB111_1629
; %bb.1628:
	s_wait_xcnt 0x0
	v_mov_b32_e32 v1, 0
	s_mov_b32 s8, 0
	s_mov_b32 s9, -1
	global_store_b8 v[4:5], v1, off
.LBB111_1629:
	s_mov_b32 s11, 0
.LBB111_1630:
	s_delay_alu instid0(SALU_CYCLE_1)
	s_and_b32 vcc_lo, exec_lo, s11
	s_cbranch_vccz .LBB111_1633
; %bb.1631:
	s_cmp_eq_u32 s3, 29
	s_mov_b32 s8, -1
	s_cbranch_scc0 .LBB111_1633
; %bb.1632:
	s_wait_xcnt 0x0
	v_mov_b64_e32 v[6:7], 0
	s_mov_b32 s8, 0
	s_mov_b32 s9, -1
	global_store_b64 v[4:5], v[6:7], off
.LBB111_1633:
	s_mov_b32 s11, 0
.LBB111_1634:
	s_delay_alu instid0(SALU_CYCLE_1)
	s_and_b32 vcc_lo, exec_lo, s11
	s_cbranch_vccz .LBB111_1644
; %bb.1635:
	s_cmp_lt_i32 s3, 27
	s_mov_b32 s9, -1
	s_cbranch_scc1 .LBB111_1641
; %bb.1636:
	s_cmp_gt_i32 s3, 27
	s_cbranch_scc0 .LBB111_1638
; %bb.1637:
	s_wait_xcnt 0x0
	v_mov_b32_e32 v1, 0
	s_mov_b32 s9, 0
	global_store_b32 v[4:5], v1, off
.LBB111_1638:
	s_and_not1_b32 vcc_lo, exec_lo, s9
	s_cbranch_vccnz .LBB111_1640
; %bb.1639:
	s_wait_xcnt 0x0
	v_mov_b32_e32 v1, 0
	global_store_b16 v[4:5], v1, off
.LBB111_1640:
	s_mov_b32 s9, 0
.LBB111_1641:
	s_delay_alu instid0(SALU_CYCLE_1)
	s_and_not1_b32 vcc_lo, exec_lo, s9
	s_cbranch_vccnz .LBB111_1643
; %bb.1642:
	s_wait_xcnt 0x0
	v_mov_b32_e32 v1, 0
	global_store_b8 v[4:5], v1, off
.LBB111_1643:
	s_mov_b32 s9, -1
.LBB111_1644:
	s_mov_b32 s11, 0
.LBB111_1645:
	s_delay_alu instid0(SALU_CYCLE_1)
	s_and_b32 vcc_lo, exec_lo, s11
	s_cbranch_vccz .LBB111_1663
; %bb.1646:
	s_cmp_gt_i32 s3, 22
	s_mov_b32 s10, -1
	s_cbranch_scc0 .LBB111_1656
; %bb.1647:
	s_cmp_lt_i32 s3, 24
	s_mov_b32 s9, -1
	s_cbranch_scc1 .LBB111_1653
; %bb.1648:
	s_cmp_gt_i32 s3, 24
	s_cbranch_scc0 .LBB111_1650
; %bb.1649:
	s_wait_xcnt 0x0
	v_mov_b32_e32 v1, 0
	s_mov_b32 s9, 0
	global_store_b8 v[4:5], v1, off
.LBB111_1650:
	s_and_not1_b32 vcc_lo, exec_lo, s9
	s_cbranch_vccnz .LBB111_1652
; %bb.1651:
	s_wait_xcnt 0x0
	v_mov_b32_e32 v1, 0
	global_store_b8 v[4:5], v1, off
.LBB111_1652:
	s_mov_b32 s9, 0
.LBB111_1653:
	s_delay_alu instid0(SALU_CYCLE_1)
	s_and_not1_b32 vcc_lo, exec_lo, s9
	s_cbranch_vccnz .LBB111_1655
; %bb.1654:
	s_wait_xcnt 0x0
	v_mov_b32_e32 v1, 0
	global_store_b8 v[4:5], v1, off
.LBB111_1655:
	s_mov_b32 s10, 0
	s_mov_b32 s9, -1
.LBB111_1656:
	s_and_not1_b32 vcc_lo, exec_lo, s10
	s_mov_b32 s10, 0
	s_cbranch_vccnz .LBB111_1663
; %bb.1657:
	s_cmp_gt_i32 s3, 14
	s_mov_b32 s10, -1
	s_cbranch_scc0 .LBB111_1661
; %bb.1658:
	s_cmp_eq_u32 s3, 15
	s_mov_b32 s8, -1
	s_cbranch_scc0 .LBB111_1660
; %bb.1659:
	s_wait_xcnt 0x0
	v_mov_b32_e32 v1, 0
	s_mov_b32 s8, 0
	s_mov_b32 s9, -1
	global_store_b16 v[4:5], v1, off
.LBB111_1660:
	s_mov_b32 s10, 0
.LBB111_1661:
	s_delay_alu instid0(SALU_CYCLE_1)
	s_and_b32 vcc_lo, exec_lo, s10
	s_mov_b32 s10, 0
	s_cbranch_vccz .LBB111_1663
; %bb.1662:
	s_cmp_lg_u32 s3, 11
	s_mov_b32 s10, -1
	s_cselect_b32 s8, -1, 0
.LBB111_1663:
	s_delay_alu instid0(SALU_CYCLE_1)
	s_and_b32 vcc_lo, exec_lo, s8
	s_cbranch_vccnz .LBB111_1900
; %bb.1664:
	s_and_not1_b32 vcc_lo, exec_lo, s10
	s_cbranch_vccnz .LBB111_1666
.LBB111_1665:
	s_wait_xcnt 0x0
	v_mov_b32_e32 v1, 0
	s_mov_b32 s9, -1
	global_store_b8 v[4:5], v1, off
.LBB111_1666:
	s_mov_b32 s8, 0
	s_branch .LBB111_1668
.LBB111_1667:
	s_mov_b32 s8, -1
	s_mov_b32 s9, 0
.LBB111_1668:
	s_and_b32 vcc_lo, exec_lo, s8
	s_cbranch_vccz .LBB111_1707
; %bb.1669:
	s_cmp_lt_i32 s3, 5
	s_mov_b32 s8, -1
	s_cbranch_scc1 .LBB111_1690
; %bb.1670:
	s_cmp_lt_i32 s3, 8
	s_cbranch_scc1 .LBB111_1680
; %bb.1671:
	s_cmp_lt_i32 s3, 9
	s_cbranch_scc1 .LBB111_1677
; %bb.1672:
	s_cmp_gt_i32 s3, 9
	s_cbranch_scc0 .LBB111_1674
; %bb.1673:
	s_wait_xcnt 0x0
	v_mov_b32_e32 v6, 0
	s_mov_b32 s8, 0
	s_delay_alu instid0(VALU_DEP_1)
	v_dual_mov_b32 v7, v6 :: v_dual_mov_b32 v8, v6
	v_mov_b32_e32 v9, v6
	global_store_b128 v[4:5], v[6:9], off
.LBB111_1674:
	s_and_not1_b32 vcc_lo, exec_lo, s8
	s_cbranch_vccnz .LBB111_1676
; %bb.1675:
	s_wait_xcnt 0x0
	v_mov_b64_e32 v[6:7], 0
	global_store_b64 v[4:5], v[6:7], off
.LBB111_1676:
	s_mov_b32 s8, 0
.LBB111_1677:
	s_delay_alu instid0(SALU_CYCLE_1)
	s_and_not1_b32 vcc_lo, exec_lo, s8
	s_cbranch_vccnz .LBB111_1679
; %bb.1678:
	s_wait_xcnt 0x0
	v_mov_b32_e32 v1, 0
	global_store_b32 v[4:5], v1, off
.LBB111_1679:
	s_mov_b32 s8, 0
.LBB111_1680:
	s_delay_alu instid0(SALU_CYCLE_1)
	s_and_not1_b32 vcc_lo, exec_lo, s8
	s_cbranch_vccnz .LBB111_1689
; %bb.1681:
	s_cmp_lt_i32 s3, 6
	s_mov_b32 s8, -1
	s_cbranch_scc1 .LBB111_1687
; %bb.1682:
	s_cmp_gt_i32 s3, 6
	s_cbranch_scc0 .LBB111_1684
; %bb.1683:
	s_wait_xcnt 0x0
	v_mov_b64_e32 v[6:7], 0
	s_mov_b32 s8, 0
	global_store_b64 v[4:5], v[6:7], off
.LBB111_1684:
	s_and_not1_b32 vcc_lo, exec_lo, s8
	s_cbranch_vccnz .LBB111_1686
; %bb.1685:
	s_wait_xcnt 0x0
	v_mov_b32_e32 v1, 0
	global_store_b32 v[4:5], v1, off
.LBB111_1686:
	s_mov_b32 s8, 0
.LBB111_1687:
	s_delay_alu instid0(SALU_CYCLE_1)
	s_and_not1_b32 vcc_lo, exec_lo, s8
	s_cbranch_vccnz .LBB111_1689
; %bb.1688:
	s_wait_xcnt 0x0
	v_mov_b32_e32 v1, 0
	global_store_b16 v[4:5], v1, off
.LBB111_1689:
	s_mov_b32 s8, 0
.LBB111_1690:
	s_delay_alu instid0(SALU_CYCLE_1)
	s_and_not1_b32 vcc_lo, exec_lo, s8
	s_cbranch_vccnz .LBB111_1706
; %bb.1691:
	s_cmp_lt_i32 s3, 2
	s_mov_b32 s8, -1
	s_cbranch_scc1 .LBB111_1701
; %bb.1692:
	s_cmp_lt_i32 s3, 3
	s_cbranch_scc1 .LBB111_1698
; %bb.1693:
	s_cmp_gt_i32 s3, 3
	s_cbranch_scc0 .LBB111_1695
; %bb.1694:
	s_wait_xcnt 0x0
	v_mov_b64_e32 v[6:7], 0
	s_mov_b32 s8, 0
	global_store_b64 v[4:5], v[6:7], off
.LBB111_1695:
	s_and_not1_b32 vcc_lo, exec_lo, s8
	s_cbranch_vccnz .LBB111_1697
; %bb.1696:
	s_wait_xcnt 0x0
	v_mov_b32_e32 v1, 0
	global_store_b32 v[4:5], v1, off
.LBB111_1697:
	s_mov_b32 s8, 0
.LBB111_1698:
	s_delay_alu instid0(SALU_CYCLE_1)
	s_and_not1_b32 vcc_lo, exec_lo, s8
	s_cbranch_vccnz .LBB111_1700
; %bb.1699:
	s_wait_xcnt 0x0
	v_mov_b32_e32 v1, 0
	global_store_b16 v[4:5], v1, off
.LBB111_1700:
	s_mov_b32 s8, 0
.LBB111_1701:
	s_delay_alu instid0(SALU_CYCLE_1)
	s_and_not1_b32 vcc_lo, exec_lo, s8
	s_cbranch_vccnz .LBB111_1706
; %bb.1702:
	s_cmp_gt_i32 s3, 0
	s_mov_b32 s8, -1
	s_cbranch_scc0 .LBB111_1704
; %bb.1703:
	s_wait_xcnt 0x0
	v_mov_b32_e32 v1, 0
	s_mov_b32 s8, 0
	global_store_b8 v[4:5], v1, off
.LBB111_1704:
	s_and_not1_b32 vcc_lo, exec_lo, s8
	s_cbranch_vccnz .LBB111_1706
; %bb.1705:
	s_wait_xcnt 0x0
	v_mov_b32_e32 v1, 0
	global_store_b8 v[4:5], v1, off
.LBB111_1706:
	s_mov_b32 s9, -1
.LBB111_1707:
	s_delay_alu instid0(SALU_CYCLE_1)
	s_and_not1_b32 vcc_lo, exec_lo, s9
	s_cbranch_vccnz .LBB111_1843
; %bb.1708:
	v_mov_b32_e32 v3, 0
	s_cmp_lt_i32 s3, 11
	s_delay_alu instid0(VALU_DEP_1)
	v_add_nc_u64_e32 v[2:3], s[4:5], v[2:3]
	s_cbranch_scc1 .LBB111_1756
; %bb.1709:
	s_mov_b32 s11, -1
	s_mov_b32 s10, 0
	s_cmp_gt_i32 s3, 25
	s_mov_b32 s9, 0
	s_mov_b32 s8, 0
	s_cbranch_scc0 .LBB111_1734
; %bb.1710:
	s_cmp_gt_i32 s3, 28
	s_cbranch_scc0 .LBB111_1723
; %bb.1711:
	s_cmp_gt_i32 s3, 43
	s_cbranch_scc0 .LBB111_1719
; %bb.1712:
	s_cmp_gt_i32 s3, 45
	s_cbranch_scc0 .LBB111_1715
; %bb.1713:
	s_mov_b32 s8, -1
	s_mov_b32 s11, 0
	s_cmp_eq_u32 s3, 46
	s_cbranch_scc0 .LBB111_1715
; %bb.1714:
	s_wait_xcnt 0x0
	v_mov_b32_e32 v1, 0
	s_mov_b32 s8, 0
	s_mov_b32 s9, -1
	global_store_b32 v[2:3], v1, off
.LBB111_1715:
	s_and_b32 vcc_lo, exec_lo, s11
	s_cbranch_vccz .LBB111_1718
; %bb.1716:
	s_cmp_eq_u32 s3, 44
	s_mov_b32 s8, -1
	s_cbranch_scc0 .LBB111_1718
; %bb.1717:
	s_wait_xcnt 0x0
	v_mov_b32_e32 v1, 0
	s_mov_b32 s8, 0
	s_mov_b32 s9, -1
	global_store_b8 v[2:3], v1, off
.LBB111_1718:
	s_mov_b32 s11, 0
.LBB111_1719:
	s_delay_alu instid0(SALU_CYCLE_1)
	s_and_b32 vcc_lo, exec_lo, s11
	s_cbranch_vccz .LBB111_1722
; %bb.1720:
	s_cmp_eq_u32 s3, 29
	s_mov_b32 s8, -1
	s_cbranch_scc0 .LBB111_1722
; %bb.1721:
	s_wait_xcnt 0x0
	v_mov_b64_e32 v[4:5], 0
	s_mov_b32 s8, 0
	s_mov_b32 s9, -1
	global_store_b64 v[2:3], v[4:5], off
.LBB111_1722:
	s_mov_b32 s11, 0
.LBB111_1723:
	s_delay_alu instid0(SALU_CYCLE_1)
	s_and_b32 vcc_lo, exec_lo, s11
	s_cbranch_vccz .LBB111_1733
; %bb.1724:
	s_cmp_lt_i32 s3, 27
	s_mov_b32 s9, -1
	s_cbranch_scc1 .LBB111_1730
; %bb.1725:
	s_cmp_gt_i32 s3, 27
	s_cbranch_scc0 .LBB111_1727
; %bb.1726:
	s_wait_xcnt 0x0
	v_mov_b32_e32 v1, 0
	s_mov_b32 s9, 0
	global_store_b32 v[2:3], v1, off
.LBB111_1727:
	s_and_not1_b32 vcc_lo, exec_lo, s9
	s_cbranch_vccnz .LBB111_1729
; %bb.1728:
	s_wait_xcnt 0x0
	v_mov_b32_e32 v1, 0
	global_store_b16 v[2:3], v1, off
.LBB111_1729:
	s_mov_b32 s9, 0
.LBB111_1730:
	s_delay_alu instid0(SALU_CYCLE_1)
	s_and_not1_b32 vcc_lo, exec_lo, s9
	s_cbranch_vccnz .LBB111_1732
; %bb.1731:
	s_wait_xcnt 0x0
	v_mov_b32_e32 v1, 0
	global_store_b8 v[2:3], v1, off
.LBB111_1732:
	s_mov_b32 s9, -1
.LBB111_1733:
	s_mov_b32 s11, 0
.LBB111_1734:
	s_delay_alu instid0(SALU_CYCLE_1)
	s_and_b32 vcc_lo, exec_lo, s11
	s_cbranch_vccz .LBB111_1752
; %bb.1735:
	s_cmp_gt_i32 s3, 22
	s_mov_b32 s10, -1
	s_cbranch_scc0 .LBB111_1745
; %bb.1736:
	s_cmp_lt_i32 s3, 24
	s_mov_b32 s9, -1
	s_cbranch_scc1 .LBB111_1742
; %bb.1737:
	s_cmp_gt_i32 s3, 24
	s_cbranch_scc0 .LBB111_1739
; %bb.1738:
	s_wait_xcnt 0x0
	v_mov_b32_e32 v1, 0
	s_mov_b32 s9, 0
	global_store_b8 v[2:3], v1, off
.LBB111_1739:
	s_and_not1_b32 vcc_lo, exec_lo, s9
	s_cbranch_vccnz .LBB111_1741
; %bb.1740:
	s_wait_xcnt 0x0
	v_mov_b32_e32 v1, 0
	global_store_b8 v[2:3], v1, off
.LBB111_1741:
	s_mov_b32 s9, 0
.LBB111_1742:
	s_delay_alu instid0(SALU_CYCLE_1)
	s_and_not1_b32 vcc_lo, exec_lo, s9
	s_cbranch_vccnz .LBB111_1744
; %bb.1743:
	s_wait_xcnt 0x0
	v_mov_b32_e32 v1, 0
	global_store_b8 v[2:3], v1, off
.LBB111_1744:
	s_mov_b32 s10, 0
	s_mov_b32 s9, -1
.LBB111_1745:
	s_and_not1_b32 vcc_lo, exec_lo, s10
	s_mov_b32 s10, 0
	s_cbranch_vccnz .LBB111_1752
; %bb.1746:
	s_cmp_gt_i32 s3, 14
	s_mov_b32 s10, -1
	s_cbranch_scc0 .LBB111_1750
; %bb.1747:
	s_cmp_eq_u32 s3, 15
	s_mov_b32 s8, -1
	s_cbranch_scc0 .LBB111_1749
; %bb.1748:
	s_wait_xcnt 0x0
	v_mov_b32_e32 v1, 0
	s_mov_b32 s8, 0
	s_mov_b32 s9, -1
	global_store_b16 v[2:3], v1, off
.LBB111_1749:
	s_mov_b32 s10, 0
.LBB111_1750:
	s_delay_alu instid0(SALU_CYCLE_1)
	s_and_b32 vcc_lo, exec_lo, s10
	s_mov_b32 s10, 0
	s_cbranch_vccz .LBB111_1752
; %bb.1751:
	s_cmp_lg_u32 s3, 11
	s_mov_b32 s10, -1
	s_cselect_b32 s8, -1, 0
.LBB111_1752:
	s_delay_alu instid0(SALU_CYCLE_1)
	s_and_b32 vcc_lo, exec_lo, s8
	s_cbranch_vccnz .LBB111_1901
; %bb.1753:
	s_and_not1_b32 vcc_lo, exec_lo, s10
	s_cbranch_vccnz .LBB111_1755
.LBB111_1754:
	s_wait_xcnt 0x0
	v_mov_b32_e32 v1, 0
	s_mov_b32 s9, -1
	global_store_b8 v[2:3], v1, off
.LBB111_1755:
	s_mov_b32 s8, 0
	s_branch .LBB111_1757
.LBB111_1756:
	s_mov_b32 s8, -1
	s_mov_b32 s9, 0
.LBB111_1757:
	s_and_b32 vcc_lo, exec_lo, s8
	s_cbranch_vccz .LBB111_1796
; %bb.1758:
	s_cmp_lt_i32 s3, 5
	s_mov_b32 s8, -1
	s_cbranch_scc1 .LBB111_1779
; %bb.1759:
	s_cmp_lt_i32 s3, 8
	s_cbranch_scc1 .LBB111_1769
; %bb.1760:
	s_cmp_lt_i32 s3, 9
	s_cbranch_scc1 .LBB111_1766
; %bb.1761:
	s_cmp_gt_i32 s3, 9
	s_cbranch_scc0 .LBB111_1763
; %bb.1762:
	s_wait_xcnt 0x0
	v_mov_b32_e32 v4, 0
	s_mov_b32 s8, 0
	s_delay_alu instid0(VALU_DEP_1)
	v_dual_mov_b32 v5, v4 :: v_dual_mov_b32 v6, v4
	v_mov_b32_e32 v7, v4
	global_store_b128 v[2:3], v[4:7], off
.LBB111_1763:
	s_and_not1_b32 vcc_lo, exec_lo, s8
	s_cbranch_vccnz .LBB111_1765
; %bb.1764:
	s_wait_xcnt 0x0
	v_mov_b64_e32 v[4:5], 0
	global_store_b64 v[2:3], v[4:5], off
.LBB111_1765:
	s_mov_b32 s8, 0
.LBB111_1766:
	s_delay_alu instid0(SALU_CYCLE_1)
	s_and_not1_b32 vcc_lo, exec_lo, s8
	s_cbranch_vccnz .LBB111_1768
; %bb.1767:
	s_wait_xcnt 0x0
	v_mov_b32_e32 v1, 0
	global_store_b32 v[2:3], v1, off
.LBB111_1768:
	s_mov_b32 s8, 0
.LBB111_1769:
	s_delay_alu instid0(SALU_CYCLE_1)
	s_and_not1_b32 vcc_lo, exec_lo, s8
	s_cbranch_vccnz .LBB111_1778
; %bb.1770:
	s_cmp_lt_i32 s3, 6
	s_mov_b32 s8, -1
	s_cbranch_scc1 .LBB111_1776
; %bb.1771:
	s_cmp_gt_i32 s3, 6
	s_cbranch_scc0 .LBB111_1773
; %bb.1772:
	s_wait_xcnt 0x0
	v_mov_b64_e32 v[4:5], 0
	s_mov_b32 s8, 0
	global_store_b64 v[2:3], v[4:5], off
.LBB111_1773:
	s_and_not1_b32 vcc_lo, exec_lo, s8
	s_cbranch_vccnz .LBB111_1775
; %bb.1774:
	s_wait_xcnt 0x0
	v_mov_b32_e32 v1, 0
	global_store_b32 v[2:3], v1, off
.LBB111_1775:
	s_mov_b32 s8, 0
.LBB111_1776:
	s_delay_alu instid0(SALU_CYCLE_1)
	s_and_not1_b32 vcc_lo, exec_lo, s8
	s_cbranch_vccnz .LBB111_1778
; %bb.1777:
	s_wait_xcnt 0x0
	v_mov_b32_e32 v1, 0
	global_store_b16 v[2:3], v1, off
.LBB111_1778:
	s_mov_b32 s8, 0
.LBB111_1779:
	s_delay_alu instid0(SALU_CYCLE_1)
	s_and_not1_b32 vcc_lo, exec_lo, s8
	s_cbranch_vccnz .LBB111_1795
; %bb.1780:
	s_cmp_lt_i32 s3, 2
	s_mov_b32 s8, -1
	s_cbranch_scc1 .LBB111_1790
; %bb.1781:
	s_cmp_lt_i32 s3, 3
	s_cbranch_scc1 .LBB111_1787
; %bb.1782:
	s_cmp_gt_i32 s3, 3
	s_cbranch_scc0 .LBB111_1784
; %bb.1783:
	s_wait_xcnt 0x0
	v_mov_b64_e32 v[4:5], 0
	s_mov_b32 s8, 0
	global_store_b64 v[2:3], v[4:5], off
.LBB111_1784:
	s_and_not1_b32 vcc_lo, exec_lo, s8
	s_cbranch_vccnz .LBB111_1786
; %bb.1785:
	s_wait_xcnt 0x0
	v_mov_b32_e32 v1, 0
	global_store_b32 v[2:3], v1, off
.LBB111_1786:
	s_mov_b32 s8, 0
.LBB111_1787:
	s_delay_alu instid0(SALU_CYCLE_1)
	s_and_not1_b32 vcc_lo, exec_lo, s8
	s_cbranch_vccnz .LBB111_1789
; %bb.1788:
	s_wait_xcnt 0x0
	v_mov_b32_e32 v1, 0
	global_store_b16 v[2:3], v1, off
.LBB111_1789:
	s_mov_b32 s8, 0
.LBB111_1790:
	s_delay_alu instid0(SALU_CYCLE_1)
	s_and_not1_b32 vcc_lo, exec_lo, s8
	s_cbranch_vccnz .LBB111_1795
; %bb.1791:
	s_cmp_gt_i32 s3, 0
	s_mov_b32 s8, -1
	s_cbranch_scc0 .LBB111_1793
; %bb.1792:
	s_wait_xcnt 0x0
	v_mov_b32_e32 v1, 0
	s_mov_b32 s8, 0
	global_store_b8 v[2:3], v1, off
.LBB111_1793:
	s_and_not1_b32 vcc_lo, exec_lo, s8
	s_cbranch_vccnz .LBB111_1795
; %bb.1794:
	s_wait_xcnt 0x0
	v_mov_b32_e32 v1, 0
	global_store_b8 v[2:3], v1, off
.LBB111_1795:
	s_mov_b32 s9, -1
.LBB111_1796:
	s_delay_alu instid0(SALU_CYCLE_1)
	s_and_not1_b32 vcc_lo, exec_lo, s9
	s_cbranch_vccnz .LBB111_1843
; %bb.1797:
	s_wait_xcnt 0x0
	v_mov_b32_e32 v1, 0
	s_cmp_lt_i32 s3, 11
	s_delay_alu instid0(VALU_DEP_1)
	v_add_nc_u64_e32 v[14:15], s[4:5], v[0:1]
	s_cbranch_scc1 .LBB111_1897
; %bb.1798:
	s_mov_b32 s8, -1
	s_mov_b32 s4, 0
	s_cmp_gt_i32 s3, 25
	s_mov_b32 s5, 0
	s_cbranch_scc0 .LBB111_1823
; %bb.1799:
	s_cmp_gt_i32 s3, 28
	s_cbranch_scc0 .LBB111_1813
; %bb.1800:
	s_cmp_gt_i32 s3, 43
	;; [unrolled: 3-line block ×3, first 2 shown]
	s_cbranch_scc0 .LBB111_1805
; %bb.1802:
	s_cmp_eq_u32 s3, 46
	s_mov_b32 s5, -1
	s_cbranch_scc0 .LBB111_1804
; %bb.1803:
	v_mov_b32_e32 v0, 0
	s_mov_b32 s5, 0
	global_store_b32 v[14:15], v0, off
.LBB111_1804:
	s_mov_b32 s8, 0
.LBB111_1805:
	s_delay_alu instid0(SALU_CYCLE_1)
	s_and_b32 vcc_lo, exec_lo, s8
	s_cbranch_vccz .LBB111_1808
; %bb.1806:
	s_cmp_eq_u32 s3, 44
	s_mov_b32 s5, -1
	s_cbranch_scc0 .LBB111_1808
; %bb.1807:
	s_wait_xcnt 0x0
	v_mov_b32_e32 v0, 0
	s_mov_b32 s5, 0
	global_store_b8 v[14:15], v0, off
.LBB111_1808:
	s_mov_b32 s8, 0
.LBB111_1809:
	s_delay_alu instid0(SALU_CYCLE_1)
	s_and_b32 vcc_lo, exec_lo, s8
	s_cbranch_vccz .LBB111_1812
; %bb.1810:
	s_cmp_eq_u32 s3, 29
	s_mov_b32 s5, -1
	s_cbranch_scc0 .LBB111_1812
; %bb.1811:
	s_wait_xcnt 0x0
	v_mov_b64_e32 v[0:1], 0
	s_mov_b32 s5, 0
	global_store_b64 v[14:15], v[0:1], off
.LBB111_1812:
	s_mov_b32 s8, 0
.LBB111_1813:
	s_delay_alu instid0(SALU_CYCLE_1)
	s_and_b32 vcc_lo, exec_lo, s8
	s_cbranch_vccz .LBB111_1822
; %bb.1814:
	s_cmp_lt_i32 s3, 27
	s_mov_b32 s8, -1
	s_cbranch_scc1 .LBB111_1820
; %bb.1815:
	s_cmp_gt_i32 s3, 27
	s_cbranch_scc0 .LBB111_1817
; %bb.1816:
	s_wait_xcnt 0x0
	v_mov_b32_e32 v0, 0
	s_mov_b32 s8, 0
	global_store_b32 v[14:15], v0, off
.LBB111_1817:
	s_and_not1_b32 vcc_lo, exec_lo, s8
	s_cbranch_vccnz .LBB111_1819
; %bb.1818:
	s_wait_xcnt 0x0
	v_mov_b32_e32 v0, 0
	global_store_b16 v[14:15], v0, off
.LBB111_1819:
	s_mov_b32 s8, 0
.LBB111_1820:
	s_delay_alu instid0(SALU_CYCLE_1)
	s_and_not1_b32 vcc_lo, exec_lo, s8
	s_cbranch_vccnz .LBB111_1822
; %bb.1821:
	s_wait_xcnt 0x0
	v_mov_b32_e32 v0, 0
	global_store_b8 v[14:15], v0, off
.LBB111_1822:
	s_mov_b32 s8, 0
.LBB111_1823:
	s_delay_alu instid0(SALU_CYCLE_1)
	s_and_b32 vcc_lo, exec_lo, s8
	s_cbranch_vccz .LBB111_1841
; %bb.1824:
	s_cmp_gt_i32 s3, 22
	s_mov_b32 s4, -1
	s_cbranch_scc0 .LBB111_1834
; %bb.1825:
	s_cmp_lt_i32 s3, 24
	s_cbranch_scc1 .LBB111_1831
; %bb.1826:
	s_cmp_gt_i32 s3, 24
	s_cbranch_scc0 .LBB111_1828
; %bb.1827:
	s_wait_xcnt 0x0
	v_mov_b32_e32 v0, 0
	s_mov_b32 s4, 0
	global_store_b8 v[14:15], v0, off
.LBB111_1828:
	s_and_not1_b32 vcc_lo, exec_lo, s4
	s_cbranch_vccnz .LBB111_1830
; %bb.1829:
	s_wait_xcnt 0x0
	v_mov_b32_e32 v0, 0
	global_store_b8 v[14:15], v0, off
.LBB111_1830:
	s_mov_b32 s4, 0
.LBB111_1831:
	s_delay_alu instid0(SALU_CYCLE_1)
	s_and_not1_b32 vcc_lo, exec_lo, s4
	s_cbranch_vccnz .LBB111_1833
; %bb.1832:
	s_wait_xcnt 0x0
	v_mov_b32_e32 v0, 0
	global_store_b8 v[14:15], v0, off
.LBB111_1833:
	s_mov_b32 s4, 0
.LBB111_1834:
	s_delay_alu instid0(SALU_CYCLE_1)
	s_and_not1_b32 vcc_lo, exec_lo, s4
	s_mov_b32 s4, 0
	s_cbranch_vccnz .LBB111_1841
; %bb.1835:
	s_cmp_gt_i32 s3, 14
	s_mov_b32 s4, -1
	s_cbranch_scc0 .LBB111_1839
; %bb.1836:
	s_cmp_eq_u32 s3, 15
	s_mov_b32 s5, -1
	s_cbranch_scc0 .LBB111_1838
; %bb.1837:
	s_wait_xcnt 0x0
	v_mov_b32_e32 v0, 0
	s_mov_b32 s5, 0
	global_store_b16 v[14:15], v0, off
.LBB111_1838:
	s_mov_b32 s4, 0
.LBB111_1839:
	s_delay_alu instid0(SALU_CYCLE_1)
	s_and_b32 vcc_lo, exec_lo, s4
	s_mov_b32 s4, 0
	s_cbranch_vccz .LBB111_1841
; %bb.1840:
	s_cmp_lg_u32 s3, 11
	s_mov_b32 s4, -1
	s_cselect_b32 s5, -1, 0
.LBB111_1841:
	s_delay_alu instid0(SALU_CYCLE_1)
	s_and_b32 vcc_lo, exec_lo, s5
	s_cbranch_vccnz .LBB111_1903
.LBB111_1842:
	s_mov_b32 s3, 0
	s_branch .LBB111_1844
.LBB111_1843:
	s_mov_b32 s3, 0
	s_mov_b32 s4, 0
                                        ; implicit-def: $vgpr14_vgpr15
                                        ; implicit-def: $sgpr0
.LBB111_1844:
	s_and_b32 s9, s3, exec_lo
	s_and_not1_b32 s3, s6, exec_lo
	s_and_b32 s2, s2, exec_lo
	s_and_b32 s8, s4, exec_lo
	s_or_b32 s6, s3, s2
.LBB111_1845:
	s_wait_xcnt 0x0
	s_or_b32 exec_lo, exec_lo, s7
.LBB111_1846:
	s_delay_alu instid0(SALU_CYCLE_1)
	s_and_not1_b32 s2, s17, exec_lo
	s_and_b32 s3, s6, exec_lo
	s_and_b32 s21, s9, exec_lo
	;; [unrolled: 1-line block ×3, first 2 shown]
	s_or_b32 s17, s2, s3
.LBB111_1847:
	s_wait_xcnt 0x0
	s_or_b32 exec_lo, exec_lo, s18
.LBB111_1848:
	s_delay_alu instid0(SALU_CYCLE_1)
	s_and_not1_b32 s2, s15, exec_lo
	s_and_b32 s3, s17, exec_lo
	s_and_b32 s18, s21, exec_lo
	;; [unrolled: 1-line block ×3, first 2 shown]
	s_or_b32 s15, s2, s3
.LBB111_1849:
	s_wait_xcnt 0x0
	s_or_b32 exec_lo, exec_lo, s16
.LBB111_1850:
	s_delay_alu instid0(SALU_CYCLE_1)
	s_and_not1_b32 s1, s1, exec_lo
	s_and_b32 s2, s15, exec_lo
	s_and_b32 s18, s18, exec_lo
	;; [unrolled: 1-line block ×3, first 2 shown]
	s_or_b32 s1, s1, s2
.LBB111_1851:
	s_wait_xcnt 0x0
	s_or_b32 exec_lo, exec_lo, s14
.LBB111_1852:
	s_delay_alu instid0(SALU_CYCLE_1)
	s_and_not1_b32 s2, s12, exec_lo
	s_and_b32 s1, s1, exec_lo
	s_and_b32 s4, s18, exec_lo
	;; [unrolled: 1-line block ×3, first 2 shown]
	s_or_b32 s12, s2, s1
.LBB111_1853:
	s_wait_xcnt 0x0
	s_or_b32 exec_lo, exec_lo, s13
	s_and_saveexec_b32 s1, s12
	s_cbranch_execz .LBB111_1856
; %bb.1854:
	; divergent unreachable
	s_or_b32 exec_lo, exec_lo, s1
	s_and_saveexec_b32 s1, s35
	s_delay_alu instid0(SALU_CYCLE_1)
	s_xor_b32 s1, exec_lo, s1
	s_cbranch_execnz .LBB111_1857
.LBB111_1855:
	s_or_b32 exec_lo, exec_lo, s1
	s_and_saveexec_b32 s1, s4
	s_cbranch_execnz .LBB111_1858
	s_branch .LBB111_1895
.LBB111_1856:
	s_or_b32 exec_lo, exec_lo, s1
	s_and_saveexec_b32 s1, s35
	s_delay_alu instid0(SALU_CYCLE_1)
	s_xor_b32 s1, exec_lo, s1
	s_cbranch_execz .LBB111_1855
.LBB111_1857:
	v_mov_b32_e32 v0, 0
	s_wait_loadcnt 0x0
	global_store_b8 v[14:15], v0, off
	s_wait_xcnt 0x0
	s_or_b32 exec_lo, exec_lo, s1
	s_and_saveexec_b32 s1, s4
	s_cbranch_execz .LBB111_1895
.LBB111_1858:
	s_sext_i32_i16 s2, s0
	s_mov_b32 s1, -1
	s_cmp_lt_i32 s2, 5
	s_cbranch_scc1 .LBB111_1879
; %bb.1859:
	s_cmp_lt_i32 s2, 8
	s_cbranch_scc1 .LBB111_1869
; %bb.1860:
	;; [unrolled: 3-line block ×3, first 2 shown]
	s_cmp_gt_i32 s2, 9
	s_cbranch_scc0 .LBB111_1863
; %bb.1862:
	v_mov_b32_e32 v0, 0
	s_mov_b32 s1, 0
	s_delay_alu instid0(VALU_DEP_1)
	v_dual_mov_b32 v1, v0 :: v_dual_mov_b32 v2, v0
	v_mov_b32_e32 v3, v0
	s_wait_loadcnt 0x0
	global_store_b128 v[14:15], v[0:3], off
.LBB111_1863:
	s_and_not1_b32 vcc_lo, exec_lo, s1
	s_cbranch_vccnz .LBB111_1865
; %bb.1864:
	s_wait_xcnt 0x0
	v_mov_b64_e32 v[0:1], 0
	s_wait_loadcnt 0x0
	global_store_b64 v[14:15], v[0:1], off
.LBB111_1865:
	s_mov_b32 s1, 0
.LBB111_1866:
	s_delay_alu instid0(SALU_CYCLE_1)
	s_and_not1_b32 vcc_lo, exec_lo, s1
	s_cbranch_vccnz .LBB111_1868
; %bb.1867:
	s_wait_xcnt 0x0
	v_mov_b32_e32 v0, 0
	s_wait_loadcnt 0x0
	global_store_b32 v[14:15], v0, off
.LBB111_1868:
	s_mov_b32 s1, 0
.LBB111_1869:
	s_delay_alu instid0(SALU_CYCLE_1)
	s_and_not1_b32 vcc_lo, exec_lo, s1
	s_cbranch_vccnz .LBB111_1878
; %bb.1870:
	s_sext_i32_i16 s2, s0
	s_mov_b32 s1, -1
	s_cmp_lt_i32 s2, 6
	s_cbranch_scc1 .LBB111_1876
; %bb.1871:
	s_cmp_gt_i32 s2, 6
	s_cbranch_scc0 .LBB111_1873
; %bb.1872:
	s_wait_xcnt 0x0
	v_mov_b64_e32 v[0:1], 0
	s_mov_b32 s1, 0
	s_wait_loadcnt 0x0
	global_store_b64 v[14:15], v[0:1], off
.LBB111_1873:
	s_and_not1_b32 vcc_lo, exec_lo, s1
	s_cbranch_vccnz .LBB111_1875
; %bb.1874:
	s_wait_xcnt 0x0
	v_mov_b32_e32 v0, 0
	s_wait_loadcnt 0x0
	global_store_b32 v[14:15], v0, off
.LBB111_1875:
	s_mov_b32 s1, 0
.LBB111_1876:
	s_delay_alu instid0(SALU_CYCLE_1)
	s_and_not1_b32 vcc_lo, exec_lo, s1
	s_cbranch_vccnz .LBB111_1878
; %bb.1877:
	s_wait_xcnt 0x0
	v_mov_b32_e32 v0, 0
	s_wait_loadcnt 0x0
	global_store_b16 v[14:15], v0, off
.LBB111_1878:
	s_mov_b32 s1, 0
.LBB111_1879:
	s_delay_alu instid0(SALU_CYCLE_1)
	s_and_not1_b32 vcc_lo, exec_lo, s1
	s_cbranch_vccnz .LBB111_1895
; %bb.1880:
	s_sext_i32_i16 s2, s0
	s_mov_b32 s1, -1
	s_cmp_lt_i32 s2, 2
	s_cbranch_scc1 .LBB111_1890
; %bb.1881:
	s_cmp_lt_i32 s2, 3
	s_cbranch_scc1 .LBB111_1887
; %bb.1882:
	s_cmp_gt_i32 s2, 3
	s_cbranch_scc0 .LBB111_1884
; %bb.1883:
	s_wait_xcnt 0x0
	v_mov_b64_e32 v[0:1], 0
	s_mov_b32 s1, 0
	s_wait_loadcnt 0x0
	global_store_b64 v[14:15], v[0:1], off
.LBB111_1884:
	s_and_not1_b32 vcc_lo, exec_lo, s1
	s_cbranch_vccnz .LBB111_1886
; %bb.1885:
	s_wait_xcnt 0x0
	v_mov_b32_e32 v0, 0
	s_wait_loadcnt 0x0
	global_store_b32 v[14:15], v0, off
.LBB111_1886:
	s_mov_b32 s1, 0
.LBB111_1887:
	s_delay_alu instid0(SALU_CYCLE_1)
	s_and_not1_b32 vcc_lo, exec_lo, s1
	s_cbranch_vccnz .LBB111_1889
; %bb.1888:
	s_wait_xcnt 0x0
	v_mov_b32_e32 v0, 0
	s_wait_loadcnt 0x0
	global_store_b16 v[14:15], v0, off
.LBB111_1889:
	s_mov_b32 s1, 0
.LBB111_1890:
	s_delay_alu instid0(SALU_CYCLE_1)
	s_and_not1_b32 vcc_lo, exec_lo, s1
	s_cbranch_vccnz .LBB111_1895
; %bb.1891:
	s_sext_i32_i16 s0, s0
	s_delay_alu instid0(SALU_CYCLE_1)
	s_cmp_gt_i32 s0, 0
	s_mov_b32 s0, -1
	s_cbranch_scc0 .LBB111_1893
; %bb.1892:
	s_wait_xcnt 0x0
	v_mov_b32_e32 v0, 0
	s_mov_b32 s0, 0
	s_wait_loadcnt 0x0
	global_store_b8 v[14:15], v0, off
.LBB111_1893:
	s_and_not1_b32 vcc_lo, exec_lo, s0
	s_cbranch_vccnz .LBB111_1895
; %bb.1894:
	s_wait_xcnt 0x0
	v_mov_b32_e32 v0, 0
	s_wait_loadcnt 0x0
	global_store_b8 v[14:15], v0, off
	s_endpgm
.LBB111_1895:
	s_endpgm
.LBB111_1896:
	s_or_b32 s6, s17, exec_lo
	s_trap 2
	s_cbranch_execz .LBB111_1475
	s_branch .LBB111_1476
.LBB111_1897:
	s_mov_b32 s4, 0
	s_mov_b32 s3, -1
	s_branch .LBB111_1844
.LBB111_1898:
	s_or_b32 s2, s6, exec_lo
	s_trap 2
	s_cbranch_execz .LBB111_1575
	s_branch .LBB111_1576
.LBB111_1899:
	s_or_b32 s15, s15, exec_lo
	s_trap 2
                                        ; implicit-def: $vgpr10
                                        ; implicit-def: $vgpr8
                                        ; implicit-def: $vgpr0
                                        ; implicit-def: $vgpr6
                                        ; implicit-def: $vgpr4
                                        ; implicit-def: $vgpr2
	s_branch .LBB111_1042
.LBB111_1900:
	s_or_b32 s2, s2, exec_lo
	s_trap 2
	s_cbranch_execz .LBB111_1665
	s_branch .LBB111_1666
.LBB111_1901:
	s_or_b32 s2, s2, exec_lo
	s_trap 2
	s_cbranch_execz .LBB111_1754
	s_branch .LBB111_1755
.LBB111_1902:
	s_or_b32 s17, s17, exec_lo
	s_trap 2
                                        ; implicit-def: $vgpr8
                                        ; implicit-def: $vgpr0
                                        ; implicit-def: $vgpr6
                                        ; implicit-def: $vgpr4
                                        ; implicit-def: $vgpr2
	s_branch .LBB111_1397
.LBB111_1903:
	s_mov_b32 s4, 0
	s_or_b32 s2, s2, exec_lo
	s_trap 2
	s_branch .LBB111_1842
.LBB111_1904:
	s_or_b32 s6, s6, exec_lo
	s_trap 2
                                        ; implicit-def: $vgpr0
                                        ; implicit-def: $vgpr6
                                        ; implicit-def: $vgpr4
                                        ; implicit-def: $vgpr2
	s_branch .LBB111_1528
	.section	.rodata,"a",@progbits
	.p2align	6, 0x0
	.amdhsa_kernel _ZN2at6native32elementwise_kernel_manual_unrollILi128ELi4EZNS0_15gpu_kernel_implIZZZNS0_12_GLOBAL__N_142_validate_compressed_sparse_indices_kernelILNS3_8CDimNameE1ENS3_18CUDAKernelLauncherENS3_14EmptyVecKernelENS3_8DummyVecELm0EEEvRKNS_6TensorESB_lllENKUlvE0_clEvENKUlvE0_clEvEUllE_EEvRNS_18TensorIteratorBaseERKT_EUlibE0_EEviT1_
		.amdhsa_group_segment_fixed_size 0
		.amdhsa_private_segment_fixed_size 0
		.amdhsa_kernarg_size 376
		.amdhsa_user_sgpr_count 2
		.amdhsa_user_sgpr_dispatch_ptr 0
		.amdhsa_user_sgpr_queue_ptr 0
		.amdhsa_user_sgpr_kernarg_segment_ptr 1
		.amdhsa_user_sgpr_dispatch_id 0
		.amdhsa_user_sgpr_kernarg_preload_length 0
		.amdhsa_user_sgpr_kernarg_preload_offset 0
		.amdhsa_user_sgpr_private_segment_size 0
		.amdhsa_wavefront_size32 1
		.amdhsa_uses_dynamic_stack 0
		.amdhsa_enable_private_segment 0
		.amdhsa_system_sgpr_workgroup_id_x 1
		.amdhsa_system_sgpr_workgroup_id_y 0
		.amdhsa_system_sgpr_workgroup_id_z 0
		.amdhsa_system_sgpr_workgroup_info 0
		.amdhsa_system_vgpr_workitem_id 0
		.amdhsa_next_free_vgpr 22
		.amdhsa_next_free_sgpr 76
		.amdhsa_named_barrier_count 0
		.amdhsa_reserve_vcc 1
		.amdhsa_float_round_mode_32 0
		.amdhsa_float_round_mode_16_64 0
		.amdhsa_float_denorm_mode_32 3
		.amdhsa_float_denorm_mode_16_64 3
		.amdhsa_fp16_overflow 0
		.amdhsa_memory_ordered 1
		.amdhsa_forward_progress 1
		.amdhsa_inst_pref_size 255
		.amdhsa_round_robin_scheduling 0
		.amdhsa_exception_fp_ieee_invalid_op 0
		.amdhsa_exception_fp_denorm_src 0
		.amdhsa_exception_fp_ieee_div_zero 0
		.amdhsa_exception_fp_ieee_overflow 0
		.amdhsa_exception_fp_ieee_underflow 0
		.amdhsa_exception_fp_ieee_inexact 0
		.amdhsa_exception_int_div_zero 0
	.end_amdhsa_kernel
	.section	.text._ZN2at6native32elementwise_kernel_manual_unrollILi128ELi4EZNS0_15gpu_kernel_implIZZZNS0_12_GLOBAL__N_142_validate_compressed_sparse_indices_kernelILNS3_8CDimNameE1ENS3_18CUDAKernelLauncherENS3_14EmptyVecKernelENS3_8DummyVecELm0EEEvRKNS_6TensorESB_lllENKUlvE0_clEvENKUlvE0_clEvEUllE_EEvRNS_18TensorIteratorBaseERKT_EUlibE0_EEviT1_,"axG",@progbits,_ZN2at6native32elementwise_kernel_manual_unrollILi128ELi4EZNS0_15gpu_kernel_implIZZZNS0_12_GLOBAL__N_142_validate_compressed_sparse_indices_kernelILNS3_8CDimNameE1ENS3_18CUDAKernelLauncherENS3_14EmptyVecKernelENS3_8DummyVecELm0EEEvRKNS_6TensorESB_lllENKUlvE0_clEvENKUlvE0_clEvEUllE_EEvRNS_18TensorIteratorBaseERKT_EUlibE0_EEviT1_,comdat
.Lfunc_end111:
	.size	_ZN2at6native32elementwise_kernel_manual_unrollILi128ELi4EZNS0_15gpu_kernel_implIZZZNS0_12_GLOBAL__N_142_validate_compressed_sparse_indices_kernelILNS3_8CDimNameE1ENS3_18CUDAKernelLauncherENS3_14EmptyVecKernelENS3_8DummyVecELm0EEEvRKNS_6TensorESB_lllENKUlvE0_clEvENKUlvE0_clEvEUllE_EEvRNS_18TensorIteratorBaseERKT_EUlibE0_EEviT1_, .Lfunc_end111-_ZN2at6native32elementwise_kernel_manual_unrollILi128ELi4EZNS0_15gpu_kernel_implIZZZNS0_12_GLOBAL__N_142_validate_compressed_sparse_indices_kernelILNS3_8CDimNameE1ENS3_18CUDAKernelLauncherENS3_14EmptyVecKernelENS3_8DummyVecELm0EEEvRKNS_6TensorESB_lllENKUlvE0_clEvENKUlvE0_clEvEUllE_EEvRNS_18TensorIteratorBaseERKT_EUlibE0_EEviT1_
                                        ; -- End function
	.set _ZN2at6native32elementwise_kernel_manual_unrollILi128ELi4EZNS0_15gpu_kernel_implIZZZNS0_12_GLOBAL__N_142_validate_compressed_sparse_indices_kernelILNS3_8CDimNameE1ENS3_18CUDAKernelLauncherENS3_14EmptyVecKernelENS3_8DummyVecELm0EEEvRKNS_6TensorESB_lllENKUlvE0_clEvENKUlvE0_clEvEUllE_EEvRNS_18TensorIteratorBaseERKT_EUlibE0_EEviT1_.num_vgpr, 22
	.set _ZN2at6native32elementwise_kernel_manual_unrollILi128ELi4EZNS0_15gpu_kernel_implIZZZNS0_12_GLOBAL__N_142_validate_compressed_sparse_indices_kernelILNS3_8CDimNameE1ENS3_18CUDAKernelLauncherENS3_14EmptyVecKernelENS3_8DummyVecELm0EEEvRKNS_6TensorESB_lllENKUlvE0_clEvENKUlvE0_clEvEUllE_EEvRNS_18TensorIteratorBaseERKT_EUlibE0_EEviT1_.num_agpr, 0
	.set _ZN2at6native32elementwise_kernel_manual_unrollILi128ELi4EZNS0_15gpu_kernel_implIZZZNS0_12_GLOBAL__N_142_validate_compressed_sparse_indices_kernelILNS3_8CDimNameE1ENS3_18CUDAKernelLauncherENS3_14EmptyVecKernelENS3_8DummyVecELm0EEEvRKNS_6TensorESB_lllENKUlvE0_clEvENKUlvE0_clEvEUllE_EEvRNS_18TensorIteratorBaseERKT_EUlibE0_EEviT1_.numbered_sgpr, 76
	.set _ZN2at6native32elementwise_kernel_manual_unrollILi128ELi4EZNS0_15gpu_kernel_implIZZZNS0_12_GLOBAL__N_142_validate_compressed_sparse_indices_kernelILNS3_8CDimNameE1ENS3_18CUDAKernelLauncherENS3_14EmptyVecKernelENS3_8DummyVecELm0EEEvRKNS_6TensorESB_lllENKUlvE0_clEvENKUlvE0_clEvEUllE_EEvRNS_18TensorIteratorBaseERKT_EUlibE0_EEviT1_.num_named_barrier, 0
	.set _ZN2at6native32elementwise_kernel_manual_unrollILi128ELi4EZNS0_15gpu_kernel_implIZZZNS0_12_GLOBAL__N_142_validate_compressed_sparse_indices_kernelILNS3_8CDimNameE1ENS3_18CUDAKernelLauncherENS3_14EmptyVecKernelENS3_8DummyVecELm0EEEvRKNS_6TensorESB_lllENKUlvE0_clEvENKUlvE0_clEvEUllE_EEvRNS_18TensorIteratorBaseERKT_EUlibE0_EEviT1_.private_seg_size, 0
	.set _ZN2at6native32elementwise_kernel_manual_unrollILi128ELi4EZNS0_15gpu_kernel_implIZZZNS0_12_GLOBAL__N_142_validate_compressed_sparse_indices_kernelILNS3_8CDimNameE1ENS3_18CUDAKernelLauncherENS3_14EmptyVecKernelENS3_8DummyVecELm0EEEvRKNS_6TensorESB_lllENKUlvE0_clEvENKUlvE0_clEvEUllE_EEvRNS_18TensorIteratorBaseERKT_EUlibE0_EEviT1_.uses_vcc, 1
	.set _ZN2at6native32elementwise_kernel_manual_unrollILi128ELi4EZNS0_15gpu_kernel_implIZZZNS0_12_GLOBAL__N_142_validate_compressed_sparse_indices_kernelILNS3_8CDimNameE1ENS3_18CUDAKernelLauncherENS3_14EmptyVecKernelENS3_8DummyVecELm0EEEvRKNS_6TensorESB_lllENKUlvE0_clEvENKUlvE0_clEvEUllE_EEvRNS_18TensorIteratorBaseERKT_EUlibE0_EEviT1_.uses_flat_scratch, 0
	.set _ZN2at6native32elementwise_kernel_manual_unrollILi128ELi4EZNS0_15gpu_kernel_implIZZZNS0_12_GLOBAL__N_142_validate_compressed_sparse_indices_kernelILNS3_8CDimNameE1ENS3_18CUDAKernelLauncherENS3_14EmptyVecKernelENS3_8DummyVecELm0EEEvRKNS_6TensorESB_lllENKUlvE0_clEvENKUlvE0_clEvEUllE_EEvRNS_18TensorIteratorBaseERKT_EUlibE0_EEviT1_.has_dyn_sized_stack, 0
	.set _ZN2at6native32elementwise_kernel_manual_unrollILi128ELi4EZNS0_15gpu_kernel_implIZZZNS0_12_GLOBAL__N_142_validate_compressed_sparse_indices_kernelILNS3_8CDimNameE1ENS3_18CUDAKernelLauncherENS3_14EmptyVecKernelENS3_8DummyVecELm0EEEvRKNS_6TensorESB_lllENKUlvE0_clEvENKUlvE0_clEvEUllE_EEvRNS_18TensorIteratorBaseERKT_EUlibE0_EEviT1_.has_recursion, 0
	.set _ZN2at6native32elementwise_kernel_manual_unrollILi128ELi4EZNS0_15gpu_kernel_implIZZZNS0_12_GLOBAL__N_142_validate_compressed_sparse_indices_kernelILNS3_8CDimNameE1ENS3_18CUDAKernelLauncherENS3_14EmptyVecKernelENS3_8DummyVecELm0EEEvRKNS_6TensorESB_lllENKUlvE0_clEvENKUlvE0_clEvEUllE_EEvRNS_18TensorIteratorBaseERKT_EUlibE0_EEviT1_.has_indirect_call, 0
	.section	.AMDGPU.csdata,"",@progbits
; Kernel info:
; codeLenInByte = 40364
; TotalNumSgprs: 78
; NumVgprs: 22
; ScratchSize: 0
; MemoryBound: 1
; FloatMode: 240
; IeeeMode: 1
; LDSByteSize: 0 bytes/workgroup (compile time only)
; SGPRBlocks: 0
; VGPRBlocks: 1
; NumSGPRsForWavesPerEU: 78
; NumVGPRsForWavesPerEU: 22
; NamedBarCnt: 0
; Occupancy: 16
; WaveLimiterHint : 1
; COMPUTE_PGM_RSRC2:SCRATCH_EN: 0
; COMPUTE_PGM_RSRC2:USER_SGPR: 2
; COMPUTE_PGM_RSRC2:TRAP_HANDLER: 0
; COMPUTE_PGM_RSRC2:TGID_X_EN: 1
; COMPUTE_PGM_RSRC2:TGID_Y_EN: 0
; COMPUTE_PGM_RSRC2:TGID_Z_EN: 0
; COMPUTE_PGM_RSRC2:TIDIG_COMP_CNT: 0
	.section	.text._ZN2at6native29vectorized_elementwise_kernelILi16EZZZNS0_12_GLOBAL__N_142_validate_compressed_sparse_indices_kernelILNS2_8CDimNameE1ENS2_18CUDAKernelLauncherENS2_14EmptyVecKernelENS2_8DummyVecELm0EEEvRKNS_6TensorESA_lllENKUlvE1_clEvENKUlvE_clEvEUliiiiiE_St5arrayIPcLm6EEEEviT0_T1_,"axG",@progbits,_ZN2at6native29vectorized_elementwise_kernelILi16EZZZNS0_12_GLOBAL__N_142_validate_compressed_sparse_indices_kernelILNS2_8CDimNameE1ENS2_18CUDAKernelLauncherENS2_14EmptyVecKernelENS2_8DummyVecELm0EEEvRKNS_6TensorESA_lllENKUlvE1_clEvENKUlvE_clEvEUliiiiiE_St5arrayIPcLm6EEEEviT0_T1_,comdat
	.globl	_ZN2at6native29vectorized_elementwise_kernelILi16EZZZNS0_12_GLOBAL__N_142_validate_compressed_sparse_indices_kernelILNS2_8CDimNameE1ENS2_18CUDAKernelLauncherENS2_14EmptyVecKernelENS2_8DummyVecELm0EEEvRKNS_6TensorESA_lllENKUlvE1_clEvENKUlvE_clEvEUliiiiiE_St5arrayIPcLm6EEEEviT0_T1_ ; -- Begin function _ZN2at6native29vectorized_elementwise_kernelILi16EZZZNS0_12_GLOBAL__N_142_validate_compressed_sparse_indices_kernelILNS2_8CDimNameE1ENS2_18CUDAKernelLauncherENS2_14EmptyVecKernelENS2_8DummyVecELm0EEEvRKNS_6TensorESA_lllENKUlvE1_clEvENKUlvE_clEvEUliiiiiE_St5arrayIPcLm6EEEEviT0_T1_
	.p2align	8
	.type	_ZN2at6native29vectorized_elementwise_kernelILi16EZZZNS0_12_GLOBAL__N_142_validate_compressed_sparse_indices_kernelILNS2_8CDimNameE1ENS2_18CUDAKernelLauncherENS2_14EmptyVecKernelENS2_8DummyVecELm0EEEvRKNS_6TensorESA_lllENKUlvE1_clEvENKUlvE_clEvEUliiiiiE_St5arrayIPcLm6EEEEviT0_T1_,@function
_ZN2at6native29vectorized_elementwise_kernelILi16EZZZNS0_12_GLOBAL__N_142_validate_compressed_sparse_indices_kernelILNS2_8CDimNameE1ENS2_18CUDAKernelLauncherENS2_14EmptyVecKernelENS2_8DummyVecELm0EEEvRKNS_6TensorESA_lllENKUlvE1_clEvENKUlvE_clEvEUliiiiiE_St5arrayIPcLm6EEEEviT0_T1_: ; @_ZN2at6native29vectorized_elementwise_kernelILi16EZZZNS0_12_GLOBAL__N_142_validate_compressed_sparse_indices_kernelILNS2_8CDimNameE1ENS2_18CUDAKernelLauncherENS2_14EmptyVecKernelENS2_8DummyVecELm0EEEvRKNS_6TensorESA_lllENKUlvE1_clEvENKUlvE_clEvEUliiiiiE_St5arrayIPcLm6EEEEviT0_T1_
; %bb.0:
	s_clause 0x3
	s_load_b32 s3, s[0:1], 0x0
	s_load_b32 s33, s[0:1], 0x8
	s_load_b512 s[4:19], s[0:1], 0x10
	s_load_b256 s[20:27], s[0:1], 0x50
	s_wait_xcnt 0x0
	s_bfe_u32 s0, ttmp6, 0x4000c
	s_and_b32 s1, ttmp6, 15
	s_add_co_i32 s0, s0, 1
	s_getreg_b32 s2, hwreg(HW_REG_IB_STS2, 6, 4)
	s_mul_i32 s0, ttmp9, s0
	s_wait_kmcnt 0x0
	s_mov_b32 s9, 0
	s_add_co_i32 s1, s1, s0
	s_cmp_eq_u32 s2, 0
	s_get_pc_i64 s[28:29]
	s_add_nc_u64 s[28:29], s[28:29], .str.6@rel64+4
	s_cselect_b32 s0, ttmp9, s1
	s_delay_alu instid0(SALU_CYCLE_1)
	s_lshl_b32 s2, s0, 10
	s_mov_b32 s0, -1
	s_sub_co_i32 s5, s3, s2
	s_mov_b32 s3, 0
	s_cmp_gt_i32 s5, 0x3ff
	s_cbranch_scc0 .LBB112_77
; %bb.1:
	s_cmp_eq_u64 s[28:29], 0
	s_cselect_b32 s0, -1, 0
	s_cmp_lg_u64 s[28:29], 0
	s_cbranch_scc0 .LBB112_75
; %bb.2:
	s_ashr_i32 s3, s2, 31
	v_lshlrev_b32_e32 v18, 4, v0
	s_lshl_b64 s[30:31], s[2:3], 2
	s_mov_b32 s0, -1
	s_add_nc_u64 s[36:37], s[18:19], s[30:31]
	s_mov_b32 s3, 0
	global_load_b32 v1, v18, s[36:37]
	s_mov_b32 s48, exec_lo
	s_wait_loadcnt 0x0
	v_cmpx_eq_u32_e64 s33, v1
	s_cbranch_execz .LBB112_74
; %bb.3:
	s_add_nc_u64 s[0:1], s[20:21], s[30:31]
	s_get_pc_i64 s[34:35]
	s_add_nc_u64 s[34:35], s[34:35], .str.7@rel64+4
	global_load_b128 v[14:17], v0, s[0:1] scale_offset
	s_cmp_lg_u64 s[34:35], 0
	v_mov_b32_e32 v19, 0
	s_wait_xcnt 0x0
	s_cselect_b32 s1, -1, 0
	s_mov_b32 s38, -1
	s_mov_b32 s0, 0
	s_mov_b32 s35, 0
	;; [unrolled: 1-line block ×3, first 2 shown]
                                        ; implicit-def: $sgpr49
                                        ; implicit-def: $sgpr50
                                        ; implicit-def: $sgpr34
                                        ; implicit-def: $sgpr53
                                        ; implicit-def: $vgpr10_vgpr11_vgpr12_vgpr13
                                        ; implicit-def: $vgpr2_vgpr3_vgpr4_vgpr5
                                        ; implicit-def: $vgpr6_vgpr7_vgpr8_vgpr9
	s_wait_loadcnt 0x0
	v_cmp_eq_u32_e32 vcc_lo, s6, v14
	s_and_b32 s39, s1, vcc_lo
	s_mov_b32 s1, 0
	s_and_saveexec_b32 s51, s39
	s_cbranch_execz .LBB112_66
; %bb.4:
	s_add_nc_u64 s[0:1], s[22:23], s[30:31]
	s_add_nc_u64 s[34:35], s[24:25], s[30:31]
	s_clause 0x1
	global_load_b128 v[6:9], v0, s[0:1] scale_offset
	global_load_b128 v[2:5], v0, s[34:35] scale_offset
	s_get_pc_i64 s[40:41]
	s_add_nc_u64 s[40:41], s[40:41], .str.8@rel64+4
	s_wait_xcnt 0x0
	s_mov_b32 s35, -1
	s_cmp_lg_u64 s[40:41], 0
	s_mov_b32 s38, 0
	s_cselect_b32 s1, -1, 0
	s_mov_b32 s39, 0
	s_mov_b32 s40, 0
                                        ; implicit-def: $sgpr49
                                        ; implicit-def: $sgpr50
                                        ; implicit-def: $sgpr34
                                        ; implicit-def: $vgpr10_vgpr11_vgpr12_vgpr13
	s_wait_loadcnt 0x0
	v_sub_nc_u32_e32 v1, v2, v6
	s_delay_alu instid0(VALU_DEP_1) | instskip(SKIP_2) | instid1(SALU_CYCLE_1)
	v_cmp_le_i32_e32 vcc_lo, s33, v1
	v_cmp_ge_i32_e64 s0, s4, v1
	s_and_b32 s0, vcc_lo, s0
	s_and_b32 s0, s1, s0
	s_mov_b32 s1, 0
	s_and_saveexec_b32 s52, s0
	s_cbranch_execz .LBB112_65
; %bb.5:
	v_add_nc_u64_e32 v[22:23], s[36:37], v[18:19]
	s_add_nc_u64 s[0:1], s[26:27], s[30:31]
	s_add_co_i32 s34, s8, -1
	global_load_b96 v[18:20], v[22:23], off offset:4
	global_load_b128 v[10:13], v0, s[0:1] scale_offset
	s_wait_xcnt 0x0
	v_cmp_gt_i64_e64 s0, s[6:7], 0
	s_cmp_gt_i32 s34, -1
	v_mov_b64_e32 v[22:23], 0
	s_cselect_b32 s1, -1, 0
	s_delay_alu instid0(SALU_CYCLE_1) | instskip(NEXT) | instid1(SALU_CYCLE_1)
	s_and_b32 s50, s0, s1
	s_and_not1_b32 vcc_lo, exec_lo, s50
	s_cbranch_vccnz .LBB112_12
; %bb.6:
	s_wait_loadcnt 0x0
	v_dual_mov_b32 v22, v10 :: v_dual_ashrrev_i32 v23, 31, v10
	s_mov_b32 s1, 0
	v_mov_b32_e32 v24, 0
	s_mov_b32 s35, s1
	s_mov_b64 s[36:37], 0xffffffff
	v_mul_u64_e32 v[26:27], s[6:7], v[22:23]
	v_mov_b64_e32 v[22:23], 0
	s_lshl_b64 s[40:41], s[34:35], 3
	s_mov_b32 s35, s8
	s_add_nc_u64 s[38:39], s[10:11], s[40:41]
	s_add_nc_u64 s[40:41], s[12:13], s[40:41]
	s_branch .LBB112_8
.LBB112_7:                              ;   in Loop: Header=BB112_8 Depth=1
	s_or_b32 exec_lo, exec_lo, s0
	s_delay_alu instid0(VALU_DEP_1)
	v_mul_u64_e32 v[30:31], s[42:43], v[28:29]
	s_load_b64 s[42:43], s[40:41], 0x0
	s_add_co_i32 s35, s35, -1
	s_add_nc_u64 s[38:39], s[38:39], -8
	s_cmp_eq_u32 s35, 0
	s_wait_xcnt 0x0
	s_add_nc_u64 s[40:41], s[40:41], -8
	s_delay_alu instid0(VALU_DEP_1) | instskip(SKIP_1) | instid1(VALU_DEP_1)
	v_sub_nc_u64_e32 v[26:27], v[26:27], v[30:31]
	s_wait_kmcnt 0x0
	v_mad_nc_u64_u32 v[22:23], v26, s42, v[22:23]
	s_delay_alu instid0(VALU_DEP_1) | instskip(NEXT) | instid1(VALU_DEP_1)
	v_mad_u32 v1, v27, s42, v23
	v_mad_u32 v23, v26, s43, v1
	v_mov_b64_e32 v[26:27], v[28:29]
	s_cbranch_scc1 .LBB112_12
.LBB112_8:                              ; =>This Inner Loop Header: Depth=1
	s_load_b64 s[42:43], s[38:39], 0x0
                                        ; implicit-def: $vgpr28_vgpr29
	s_mov_b32 s0, exec_lo
	s_wait_kmcnt 0x0
	s_delay_alu instid0(VALU_DEP_1) | instskip(NEXT) | instid1(VALU_DEP_1)
	v_or_b32_e32 v25, s43, v27
	v_cmpx_ne_u64_e32 0, v[24:25]
	s_xor_b32 s49, exec_lo, s0
	s_cbranch_execz .LBB112_10
; %bb.9:                                ;   in Loop: Header=BB112_8 Depth=1
	s_ashr_i32 s44, s43, 31
	v_dual_mov_b32 v33, v24 :: v_dual_ashrrev_i32 v28, 31, v27
	s_mov_b32 s45, s44
	v_mov_b32_e32 v41, v24
	s_add_nc_u64 s[46:47], s[42:43], s[44:45]
	s_delay_alu instid0(VALU_DEP_2) | instskip(SKIP_1) | instid1(SALU_CYCLE_1)
	v_mov_b32_e32 v29, v28
	s_xor_b64 s[46:47], s[46:47], s[44:45]
	s_cvt_f32_u32 s0, s46
	s_cvt_f32_u32 s45, s47
	s_sub_nc_u64 s[56:57], 0, s[46:47]
	v_add_nc_u64_e32 v[30:31], v[26:27], v[28:29]
	v_mov_b32_e32 v37, v24
	s_fmamk_f32 s0, s45, 0x4f800000, s0
	s_delay_alu instid0(SALU_CYCLE_3) | instskip(NEXT) | instid1(VALU_DEP_2)
	v_s_rcp_f32 s0, s0
	v_xor_b32_e32 v32, v30, v28
	s_delay_alu instid0(VALU_DEP_3) | instskip(NEXT) | instid1(TRANS32_DEP_1)
	v_xor_b32_e32 v36, v31, v28
	s_mul_f32 s0, s0, 0x5f7ffffc
	s_delay_alu instid0(SALU_CYCLE_3) | instskip(NEXT) | instid1(SALU_CYCLE_3)
	s_mul_f32 s45, s0, 0x2f800000
	s_trunc_f32 s45, s45
	s_delay_alu instid0(SALU_CYCLE_3) | instskip(SKIP_1) | instid1(SALU_CYCLE_2)
	s_fmamk_f32 s0, s45, 0xcf800000, s0
	s_cvt_u32_f32 s55, s45
	s_cvt_u32_f32 s54, s0
	s_delay_alu instid0(SALU_CYCLE_3) | instskip(NEXT) | instid1(SALU_CYCLE_1)
	s_mul_u64 s[58:59], s[56:57], s[54:55]
	s_mul_hi_u32 s61, s54, s59
	s_mul_i32 s60, s54, s59
	s_mul_hi_u32 s0, s54, s58
	s_mul_i32 s53, s55, s58
	s_add_nc_u64 s[60:61], s[0:1], s[60:61]
	s_mul_hi_u32 s45, s55, s58
	s_mul_hi_u32 s62, s55, s59
	s_add_co_u32 s0, s60, s53
	s_add_co_ci_u32 s0, s61, s45
	s_mul_i32 s58, s55, s59
	s_add_co_ci_u32 s59, s62, 0
	s_delay_alu instid0(SALU_CYCLE_1) | instskip(NEXT) | instid1(SALU_CYCLE_1)
	s_add_nc_u64 s[58:59], s[0:1], s[58:59]
	s_add_co_u32 s54, s54, s58
	s_cselect_b32 s0, -1, 0
	s_delay_alu instid0(SALU_CYCLE_1) | instskip(SKIP_1) | instid1(SALU_CYCLE_1)
	s_cmp_lg_u32 s0, 0
	s_add_co_ci_u32 s55, s55, s59
	s_mul_u64 s[56:57], s[56:57], s[54:55]
	s_delay_alu instid0(SALU_CYCLE_1)
	s_mul_hi_u32 s59, s54, s57
	s_mul_i32 s58, s54, s57
	s_mul_hi_u32 s0, s54, s56
	s_mul_i32 s53, s55, s56
	s_add_nc_u64 s[58:59], s[0:1], s[58:59]
	s_mul_hi_u32 s45, s55, s56
	s_mul_hi_u32 s60, s55, s57
	s_add_co_u32 s0, s58, s53
	s_add_co_ci_u32 s0, s59, s45
	s_mul_i32 s56, s55, s57
	s_add_co_ci_u32 s57, s60, 0
	s_delay_alu instid0(SALU_CYCLE_1) | instskip(NEXT) | instid1(SALU_CYCLE_1)
	s_add_nc_u64 s[56:57], s[0:1], s[56:57]
	s_add_co_u32 s54, s54, s56
	s_cselect_b32 s0, -1, 0
	v_mul_hi_u32 v40, v32, s54
	s_cmp_lg_u32 s0, 0
	s_add_co_ci_u32 s0, s55, s57
	s_and_b64 s[56:57], s[54:55], s[36:37]
	v_mul_u64_e32 v[34:35], s[0:1], v[32:33]
	v_mul_u64_e32 v[30:31], s[56:57], v[36:37]
	;; [unrolled: 1-line block ×3, first 2 shown]
	s_delay_alu instid0(VALU_DEP_3) | instskip(NEXT) | instid1(VALU_DEP_1)
	v_add_nc_u64_e32 v[34:35], v[40:41], v[34:35]
	v_add_co_u32 v1, vcc_lo, v34, v30
	s_delay_alu instid0(VALU_DEP_2) | instskip(NEXT) | instid1(VALU_DEP_4)
	v_add_co_ci_u32_e32 v40, vcc_lo, v35, v31, vcc_lo
	v_add_co_ci_u32_e32 v39, vcc_lo, 0, v39, vcc_lo
	s_delay_alu instid0(VALU_DEP_1) | instskip(NEXT) | instid1(VALU_DEP_1)
	v_add_nc_u64_e32 v[30:31], v[40:41], v[38:39]
	v_mul_u64_e32 v[34:35], s[46:47], v[30:31]
	s_delay_alu instid0(VALU_DEP_1) | instskip(NEXT) | instid1(VALU_DEP_2)
	v_sub_nc_u32_e32 v1, v36, v35
	v_sub_co_u32 v10, vcc_lo, v32, v34
	s_delay_alu instid0(VALU_DEP_1) | instskip(NEXT) | instid1(VALU_DEP_3)
	v_sub_co_ci_u32_e64 v25, null, v36, v35, vcc_lo
	v_subrev_co_ci_u32_e64 v1, null, s47, v1, vcc_lo
	s_delay_alu instid0(VALU_DEP_3) | instskip(SKIP_1) | instid1(VALU_DEP_3)
	v_sub_co_u32 v21, s0, v10, s46
	v_add_nc_u64_e32 v[32:33], 2, v[30:31]
	v_subrev_co_ci_u32_e64 v1, null, 0, v1, s0
	s_delay_alu instid0(VALU_DEP_3) | instskip(SKIP_2) | instid1(VALU_DEP_4)
	v_cmp_le_u32_e32 vcc_lo, s46, v21
	v_add_nc_u64_e32 v[34:35], 1, v[30:31]
	v_cndmask_b32_e64 v21, 0, -1, vcc_lo
	v_cmp_le_u32_e32 vcc_lo, s47, v1
	v_cndmask_b32_e64 v29, 0, -1, vcc_lo
	v_cmp_le_u32_e32 vcc_lo, s46, v10
	;; [unrolled: 2-line block ×3, first 2 shown]
	v_cndmask_b32_e64 v36, 0, -1, vcc_lo
	v_cmp_eq_u32_e32 vcc_lo, s47, v1
	v_cndmask_b32_e32 v1, v29, v21, vcc_lo
	v_cmp_eq_u32_e32 vcc_lo, s47, v25
	s_delay_alu instid0(VALU_DEP_4) | instskip(NEXT) | instid1(VALU_DEP_3)
	v_cndmask_b32_e32 v10, v36, v10, vcc_lo
	v_cmp_ne_u32_e32 vcc_lo, 0, v1
	s_delay_alu instid0(VALU_DEP_2) | instskip(SKIP_1) | instid1(VALU_DEP_1)
	v_cmp_ne_u32_e64 s0, 0, v10
	v_dual_cndmask_b32 v1, v35, v33 :: v_dual_cndmask_b32 v10, v34, v32
	v_dual_cndmask_b32 v1, v31, v1, s0 :: v_dual_bitop2_b32 v28, s44, v28 bitop3:0x14
	s_delay_alu instid0(VALU_DEP_1) | instskip(NEXT) | instid1(VALU_DEP_2)
	v_dual_cndmask_b32 v10, v30, v10, s0 :: v_dual_mov_b32 v29, v28
	v_xor_b32_e32 v31, v1, v28
	s_delay_alu instid0(VALU_DEP_2) | instskip(NEXT) | instid1(VALU_DEP_1)
	v_xor_b32_e32 v30, v10, v28
	v_sub_nc_u64_e32 v[28:29], v[30:31], v[28:29]
.LBB112_10:                             ;   in Loop: Header=BB112_8 Depth=1
	s_and_not1_saveexec_b32 s0, s49
	s_cbranch_execz .LBB112_7
; %bb.11:                               ;   in Loop: Header=BB112_8 Depth=1
	v_cvt_f32_u32_e32 v1, s42
	s_sub_co_i32 s44, 0, s42
	v_mov_b32_e32 v29, v24
	s_delay_alu instid0(VALU_DEP_2) | instskip(SKIP_1) | instid1(TRANS32_DEP_1)
	v_rcp_iflag_f32_e32 v1, v1
	v_nop
	v_mul_f32_e32 v1, 0x4f7ffffe, v1
	s_delay_alu instid0(VALU_DEP_1) | instskip(NEXT) | instid1(VALU_DEP_1)
	v_cvt_u32_f32_e32 v1, v1
	v_mul_lo_u32 v10, s44, v1
	s_delay_alu instid0(VALU_DEP_1) | instskip(NEXT) | instid1(VALU_DEP_1)
	v_mul_hi_u32 v10, v1, v10
	v_add_nc_u32_e32 v1, v1, v10
	s_delay_alu instid0(VALU_DEP_1) | instskip(NEXT) | instid1(VALU_DEP_1)
	v_mul_hi_u32 v1, v26, v1
	v_mul_lo_u32 v10, v1, s42
	s_delay_alu instid0(VALU_DEP_1) | instskip(NEXT) | instid1(VALU_DEP_1)
	v_dual_add_nc_u32 v21, 1, v1 :: v_dual_sub_nc_u32 v10, v26, v10
	v_subrev_nc_u32_e32 v25, s42, v10
	v_cmp_le_u32_e32 vcc_lo, s42, v10
	s_delay_alu instid0(VALU_DEP_2) | instskip(NEXT) | instid1(VALU_DEP_4)
	v_cndmask_b32_e32 v10, v10, v25, vcc_lo
	v_cndmask_b32_e32 v1, v1, v21, vcc_lo
	s_delay_alu instid0(VALU_DEP_2) | instskip(NEXT) | instid1(VALU_DEP_2)
	v_cmp_le_u32_e32 vcc_lo, s42, v10
	v_add_nc_u32_e32 v21, 1, v1
	s_delay_alu instid0(VALU_DEP_1)
	v_cndmask_b32_e32 v28, v1, v21, vcc_lo
	s_branch .LBB112_7
.LBB112_12:
	s_get_pc_i64 s[0:1]
	s_add_nc_u64 s[0:1], s[0:1], .str.9@rel64+4
	s_mov_b32 s35, -1
	s_cmp_lg_u64 s[0:1], 0
	s_mov_b32 s0, 0
	s_cselect_b32 s49, -1, 0
	s_mov_b32 s53, 0
	s_mov_b32 s1, exec_lo
	v_cmpx_gt_i32_e64 v2, v6
	s_cbranch_execz .LBB112_18
; %bb.13:
	v_lshlrev_b64_e32 v[22:23], 2, v[22:23]
	v_dual_mov_b32 v24, v6 :: v_dual_ashrrev_i32 v25, 31, v6
	v_dual_mov_b32 v28, v2 :: v_dual_ashrrev_i32 v29, 31, v2
	s_mov_b32 s35, 0
	s_xor_b32 s37, s49, -1
	s_delay_alu instid0(VALU_DEP_2) | instskip(SKIP_1) | instid1(VALU_DEP_2)
	v_lshl_add_u64 v[24:25], v[24:25], 2, v[22:23]
	v_add_nc_u64_e32 v[26:27], s[14:15], v[22:23]
                                        ; implicit-def: $sgpr36
                                        ; implicit-def: $sgpr39
                                        ; implicit-def: $sgpr38
	v_add_nc_u64_e32 v[24:25], s[14:15], v[24:25]
	s_delay_alu instid0(VALU_DEP_1) | instskip(NEXT) | instid1(VALU_DEP_3)
	v_add_nc_u64_e32 v[22:23], 4, v[24:25]
	v_lshl_add_u64 v[24:25], v[28:29], 2, v[26:27]
	s_branch .LBB112_15
.LBB112_14:                             ;   in Loop: Header=BB112_15 Depth=1
	s_or_b32 exec_lo, exec_lo, s40
	s_delay_alu instid0(SALU_CYCLE_1) | instskip(NEXT) | instid1(SALU_CYCLE_1)
	s_and_b32 s40, exec_lo, s39
	s_or_b32 s35, s40, s35
	s_and_not1_b32 s36, s36, exec_lo
	s_and_b32 s40, s38, exec_lo
	s_delay_alu instid0(SALU_CYCLE_1)
	s_or_b32 s36, s36, s40
	s_and_not1_b32 exec_lo, exec_lo, s35
	s_cbranch_execz .LBB112_17
.LBB112_15:                             ; =>This Inner Loop Header: Depth=1
	s_or_b32 s38, s38, exec_lo
	s_or_b32 s39, s39, exec_lo
	s_mov_b32 s40, exec_lo
	s_delay_alu instid0(VALU_DEP_2)
	v_cmpx_lt_u64_e64 v[22:23], v[24:25]
	s_cbranch_execz .LBB112_14
; %bb.16:                               ;   in Loop: Header=BB112_15 Depth=1
	global_load_b64 v[26:27], v[22:23], off offset:-4
	s_wait_xcnt 0x0
	v_add_nc_u64_e32 v[22:23], 4, v[22:23]
	s_and_not1_b32 s39, s39, exec_lo
	s_and_not1_b32 s38, s38, exec_lo
	s_wait_loadcnt 0x0
	v_cmp_ge_i32_e32 vcc_lo, v26, v27
	s_or_b32 s41, s37, vcc_lo
	s_delay_alu instid0(SALU_CYCLE_1) | instskip(NEXT) | instid1(SALU_CYCLE_1)
	s_and_b32 s41, s41, exec_lo
	s_or_b32 s39, s39, s41
	s_branch .LBB112_14
.LBB112_17:
	s_or_b32 exec_lo, exec_lo, s35
	s_delay_alu instid0(SALU_CYCLE_1)
	s_mov_b32 s53, exec_lo
	s_or_not1_b32 s35, s36, exec_lo
.LBB112_18:
	s_or_b32 exec_lo, exec_lo, s1
	s_mov_b32 s36, 0
	s_mov_b32 s37, 0
	;; [unrolled: 1-line block ×3, first 2 shown]
	s_and_saveexec_b32 s54, s35
	s_cbranch_execz .LBB112_64
; %bb.19:
	s_mov_b32 s0, 0
	s_mov_b32 s1, -1
	s_mov_b32 s35, 0
	s_mov_b32 s55, exec_lo
	s_wait_loadcnt 0x1
	v_cmpx_eq_u32_e64 s33, v18
	s_cbranch_execz .LBB112_63
; %bb.20:
	s_mov_b32 s0, -1
	s_mov_b32 s38, 0
	s_mov_b32 s39, 0
	s_mov_b32 s56, exec_lo
	v_cmpx_eq_u32_e64 v15, v14
	s_cbranch_execz .LBB112_62
; %bb.21:
	v_sub_nc_u32_e32 v1, v3, v7
	s_mov_b32 s35, -1
	s_mov_b32 s1, 0
	s_delay_alu instid0(VALU_DEP_1) | instskip(SKIP_2) | instid1(SALU_CYCLE_1)
	v_cmp_le_i32_e32 vcc_lo, s33, v1
	v_cmp_ge_i32_e64 s0, s4, v1
	s_and_b32 s0, vcc_lo, s0
	s_and_saveexec_b32 s57, s0
	s_cbranch_execz .LBB112_61
; %bb.22:
	v_mov_b64_e32 v[22:23], 0
	s_and_not1_b32 vcc_lo, exec_lo, s50
	s_cbranch_vccnz .LBB112_29
; %bb.23:
	s_wait_loadcnt 0x0
	v_dual_mov_b32 v22, v11 :: v_dual_ashrrev_i32 v23, 31, v11
	s_mov_b32 s35, s1
	v_mov_b32_e32 v10, 0
	s_lshl_b64 s[40:41], s[34:35], 3
	s_mov_b64 s[36:37], 0xffffffff
	v_mul_u64_e32 v[24:25], s[6:7], v[22:23]
	v_mov_b64_e32 v[22:23], 0
	s_add_nc_u64 s[38:39], s[10:11], s[40:41]
	s_add_nc_u64 s[40:41], s[12:13], s[40:41]
	s_mov_b32 s35, s8
	s_branch .LBB112_25
.LBB112_24:                             ;   in Loop: Header=BB112_25 Depth=1
	s_or_b32 exec_lo, exec_lo, s0
	s_delay_alu instid0(VALU_DEP_1)
	v_mul_u64_e32 v[28:29], s[42:43], v[26:27]
	s_load_b64 s[42:43], s[40:41], 0x0
	s_add_co_i32 s35, s35, -1
	s_add_nc_u64 s[38:39], s[38:39], -8
	s_cmp_lg_u32 s35, 0
	s_wait_xcnt 0x0
	s_add_nc_u64 s[40:41], s[40:41], -8
	s_delay_alu instid0(VALU_DEP_1) | instskip(SKIP_1) | instid1(VALU_DEP_1)
	v_sub_nc_u64_e32 v[24:25], v[24:25], v[28:29]
	s_wait_kmcnt 0x0
	v_mad_nc_u64_u32 v[22:23], v24, s42, v[22:23]
	s_delay_alu instid0(VALU_DEP_1) | instskip(NEXT) | instid1(VALU_DEP_1)
	v_mad_u32 v1, v25, s42, v23
	v_mad_u32 v23, v24, s43, v1
	v_mov_b64_e32 v[24:25], v[26:27]
	s_cbranch_scc0 .LBB112_29
.LBB112_25:                             ; =>This Inner Loop Header: Depth=1
	s_load_b64 s[42:43], s[38:39], 0x0
                                        ; implicit-def: $vgpr26_vgpr27
	s_mov_b32 s0, exec_lo
	s_wait_kmcnt 0x0
	s_delay_alu instid0(VALU_DEP_1) | instskip(NEXT) | instid1(VALU_DEP_1)
	v_or_b32_e32 v11, s43, v25
	v_cmpx_ne_u64_e32 0, v[10:11]
	s_xor_b32 s58, exec_lo, s0
	s_cbranch_execz .LBB112_27
; %bb.26:                               ;   in Loop: Header=BB112_25 Depth=1
	s_ashr_i32 s44, s43, 31
	v_dual_mov_b32 v31, v10 :: v_dual_ashrrev_i32 v26, 31, v25
	s_mov_b32 s45, s44
	v_mov_b32_e32 v39, v10
	s_add_nc_u64 s[46:47], s[42:43], s[44:45]
	s_delay_alu instid0(VALU_DEP_2) | instskip(SKIP_1) | instid1(SALU_CYCLE_1)
	v_mov_b32_e32 v27, v26
	s_xor_b64 s[46:47], s[46:47], s[44:45]
	s_cvt_f32_u32 s0, s46
	s_cvt_f32_u32 s45, s47
	s_sub_nc_u64 s[62:63], 0, s[46:47]
	v_add_nc_u64_e32 v[28:29], v[24:25], v[26:27]
	v_mov_b32_e32 v35, v10
	s_fmamk_f32 s0, s45, 0x4f800000, s0
	s_delay_alu instid0(SALU_CYCLE_3) | instskip(NEXT) | instid1(VALU_DEP_2)
	v_s_rcp_f32 s0, s0
	v_xor_b32_e32 v30, v28, v26
	s_delay_alu instid0(VALU_DEP_3) | instskip(NEXT) | instid1(TRANS32_DEP_1)
	v_xor_b32_e32 v34, v29, v26
	s_mul_f32 s0, s0, 0x5f7ffffc
	s_delay_alu instid0(SALU_CYCLE_3) | instskip(NEXT) | instid1(SALU_CYCLE_3)
	s_mul_f32 s45, s0, 0x2f800000
	s_trunc_f32 s45, s45
	s_delay_alu instid0(SALU_CYCLE_3) | instskip(SKIP_1) | instid1(SALU_CYCLE_2)
	s_fmamk_f32 s0, s45, 0xcf800000, s0
	s_cvt_u32_f32 s61, s45
	s_cvt_u32_f32 s60, s0
	s_delay_alu instid0(SALU_CYCLE_3) | instskip(NEXT) | instid1(SALU_CYCLE_1)
	s_mul_u64 s[64:65], s[62:63], s[60:61]
	s_mul_hi_u32 s67, s60, s65
	s_mul_i32 s66, s60, s65
	s_mul_hi_u32 s0, s60, s64
	s_mul_i32 s59, s61, s64
	s_add_nc_u64 s[66:67], s[0:1], s[66:67]
	s_mul_hi_u32 s45, s61, s64
	s_mul_hi_u32 s68, s61, s65
	s_add_co_u32 s0, s66, s59
	s_add_co_ci_u32 s0, s67, s45
	s_mul_i32 s64, s61, s65
	s_add_co_ci_u32 s65, s68, 0
	s_delay_alu instid0(SALU_CYCLE_1) | instskip(NEXT) | instid1(SALU_CYCLE_1)
	s_add_nc_u64 s[64:65], s[0:1], s[64:65]
	s_add_co_u32 s60, s60, s64
	s_cselect_b32 s0, -1, 0
	s_delay_alu instid0(SALU_CYCLE_1) | instskip(SKIP_1) | instid1(SALU_CYCLE_1)
	s_cmp_lg_u32 s0, 0
	s_add_co_ci_u32 s61, s61, s65
	s_mul_u64 s[62:63], s[62:63], s[60:61]
	s_delay_alu instid0(SALU_CYCLE_1)
	s_mul_hi_u32 s65, s60, s63
	s_mul_i32 s64, s60, s63
	s_mul_hi_u32 s0, s60, s62
	s_mul_i32 s59, s61, s62
	s_add_nc_u64 s[64:65], s[0:1], s[64:65]
	s_mul_hi_u32 s45, s61, s62
	s_mul_hi_u32 s66, s61, s63
	s_add_co_u32 s0, s64, s59
	s_add_co_ci_u32 s0, s65, s45
	s_mul_i32 s62, s61, s63
	s_add_co_ci_u32 s63, s66, 0
	s_delay_alu instid0(SALU_CYCLE_1) | instskip(NEXT) | instid1(SALU_CYCLE_1)
	s_add_nc_u64 s[62:63], s[0:1], s[62:63]
	s_add_co_u32 s60, s60, s62
	s_cselect_b32 s0, -1, 0
	v_mul_hi_u32 v38, v30, s60
	s_cmp_lg_u32 s0, 0
	s_add_co_ci_u32 s0, s61, s63
	s_and_b64 s[62:63], s[60:61], s[36:37]
	v_mul_u64_e32 v[32:33], s[0:1], v[30:31]
	v_mul_u64_e32 v[28:29], s[62:63], v[34:35]
	;; [unrolled: 1-line block ×3, first 2 shown]
	s_delay_alu instid0(VALU_DEP_3) | instskip(NEXT) | instid1(VALU_DEP_1)
	v_add_nc_u64_e32 v[32:33], v[38:39], v[32:33]
	v_add_co_u32 v1, vcc_lo, v32, v28
	s_delay_alu instid0(VALU_DEP_2) | instskip(NEXT) | instid1(VALU_DEP_4)
	v_add_co_ci_u32_e32 v38, vcc_lo, v33, v29, vcc_lo
	v_add_co_ci_u32_e32 v37, vcc_lo, 0, v37, vcc_lo
	s_delay_alu instid0(VALU_DEP_1) | instskip(NEXT) | instid1(VALU_DEP_1)
	v_add_nc_u64_e32 v[28:29], v[38:39], v[36:37]
	v_mul_u64_e32 v[32:33], s[46:47], v[28:29]
	s_delay_alu instid0(VALU_DEP_1) | instskip(SKIP_1) | instid1(VALU_DEP_3)
	v_sub_co_u32 v2, vcc_lo, v30, v32
	v_add_nc_u64_e32 v[30:31], 2, v[28:29]
	v_sub_nc_u32_e32 v1, v34, v33
	v_sub_co_ci_u32_e64 v11, null, v34, v33, vcc_lo
	s_delay_alu instid0(VALU_DEP_4) | instskip(NEXT) | instid1(VALU_DEP_3)
	v_sub_co_u32 v6, s0, v2, s46
	v_subrev_co_ci_u32_e64 v1, null, s47, v1, vcc_lo
	v_add_nc_u64_e32 v[32:33], 1, v[28:29]
	s_delay_alu instid0(VALU_DEP_3) | instskip(NEXT) | instid1(VALU_DEP_3)
	v_cmp_le_u32_e32 vcc_lo, s46, v6
	v_subrev_co_ci_u32_e64 v1, null, 0, v1, s0
	v_cndmask_b32_e64 v6, 0, -1, vcc_lo
	s_delay_alu instid0(VALU_DEP_2)
	v_cmp_le_u32_e32 vcc_lo, s47, v1
	v_cndmask_b32_e64 v15, 0, -1, vcc_lo
	v_cmp_le_u32_e32 vcc_lo, s46, v2
	v_cndmask_b32_e64 v2, 0, -1, vcc_lo
	;; [unrolled: 2-line block ×3, first 2 shown]
	v_cmp_eq_u32_e32 vcc_lo, s47, v1
	v_cndmask_b32_e32 v1, v15, v6, vcc_lo
	v_cmp_eq_u32_e32 vcc_lo, s47, v11
	s_delay_alu instid0(VALU_DEP_4) | instskip(NEXT) | instid1(VALU_DEP_3)
	v_cndmask_b32_e32 v2, v18, v2, vcc_lo
	v_cmp_ne_u32_e32 vcc_lo, 0, v1
	v_cndmask_b32_e32 v1, v33, v31, vcc_lo
	s_delay_alu instid0(VALU_DEP_3) | instskip(SKIP_1) | instid1(VALU_DEP_2)
	v_cmp_ne_u32_e64 s0, 0, v2
	v_cndmask_b32_e32 v2, v32, v30, vcc_lo
	v_dual_cndmask_b32 v1, v29, v1, s0 :: v_dual_bitop2_b32 v26, s44, v26 bitop3:0x14
	s_delay_alu instid0(VALU_DEP_1) | instskip(NEXT) | instid1(VALU_DEP_2)
	v_dual_cndmask_b32 v2, v28, v2, s0 :: v_dual_mov_b32 v27, v26
	v_xor_b32_e32 v29, v1, v26
	s_delay_alu instid0(VALU_DEP_2) | instskip(NEXT) | instid1(VALU_DEP_1)
	v_xor_b32_e32 v28, v2, v26
	v_sub_nc_u64_e32 v[26:27], v[28:29], v[26:27]
.LBB112_27:                             ;   in Loop: Header=BB112_25 Depth=1
	s_and_not1_saveexec_b32 s0, s58
	s_cbranch_execz .LBB112_24
; %bb.28:                               ;   in Loop: Header=BB112_25 Depth=1
	v_cvt_f32_u32_e32 v1, s42
	s_sub_co_i32 s44, 0, s42
	v_mov_b32_e32 v27, v10
	s_delay_alu instid0(VALU_DEP_2) | instskip(SKIP_1) | instid1(TRANS32_DEP_1)
	v_rcp_iflag_f32_e32 v1, v1
	v_nop
	v_mul_f32_e32 v1, 0x4f7ffffe, v1
	s_delay_alu instid0(VALU_DEP_1) | instskip(NEXT) | instid1(VALU_DEP_1)
	v_cvt_u32_f32_e32 v1, v1
	v_mul_lo_u32 v2, s44, v1
	s_delay_alu instid0(VALU_DEP_1) | instskip(NEXT) | instid1(VALU_DEP_1)
	v_mul_hi_u32 v2, v1, v2
	v_add_nc_u32_e32 v1, v1, v2
	s_delay_alu instid0(VALU_DEP_1) | instskip(NEXT) | instid1(VALU_DEP_1)
	v_mul_hi_u32 v1, v24, v1
	v_mul_lo_u32 v2, v1, s42
	s_delay_alu instid0(VALU_DEP_1) | instskip(NEXT) | instid1(VALU_DEP_1)
	v_dual_add_nc_u32 v6, 1, v1 :: v_dual_sub_nc_u32 v2, v24, v2
	v_subrev_nc_u32_e32 v11, s42, v2
	v_cmp_le_u32_e32 vcc_lo, s42, v2
	s_delay_alu instid0(VALU_DEP_2) | instskip(NEXT) | instid1(VALU_DEP_1)
	v_dual_cndmask_b32 v2, v2, v11 :: v_dual_cndmask_b32 v1, v1, v6
	v_cmp_le_u32_e32 vcc_lo, s42, v2
	s_delay_alu instid0(VALU_DEP_2) | instskip(NEXT) | instid1(VALU_DEP_1)
	v_add_nc_u32_e32 v6, 1, v1
	v_cndmask_b32_e32 v26, v1, v6, vcc_lo
	s_branch .LBB112_24
.LBB112_29:
	s_mov_b32 s35, -1
	s_mov_b32 s0, 0
	s_mov_b32 s58, 0
	s_mov_b32 s1, exec_lo
	v_cmpx_gt_i32_e64 v3, v7
	s_cbranch_execz .LBB112_35
; %bb.30:
	s_wait_loadcnt 0x0
	s_delay_alu instid0(VALU_DEP_2) | instskip(SKIP_3) | instid1(VALU_DEP_1)
	v_lshlrev_b64_e32 v[10:11], 2, v[22:23]
	v_dual_mov_b32 v22, v7 :: v_dual_ashrrev_i32 v23, 31, v7
	s_mov_b32 s35, 0
	s_xor_b32 s37, s49, -1
                                        ; implicit-def: $sgpr36
                                        ; implicit-def: $sgpr39
                                        ; implicit-def: $sgpr38
	v_lshl_add_u64 v[6:7], v[22:23], 2, v[10:11]
	v_add_nc_u64_e32 v[10:11], s[14:15], v[10:11]
	v_dual_mov_b32 v22, v3 :: v_dual_ashrrev_i32 v23, 31, v3
	s_delay_alu instid0(VALU_DEP_3) | instskip(NEXT) | instid1(VALU_DEP_1)
	v_add_nc_u64_e32 v[6:7], s[14:15], v[6:7]
	v_add_nc_u64_e32 v[2:3], 4, v[6:7]
	s_delay_alu instid0(VALU_DEP_3)
	v_lshl_add_u64 v[6:7], v[22:23], 2, v[10:11]
	s_branch .LBB112_32
.LBB112_31:                             ;   in Loop: Header=BB112_32 Depth=1
	s_or_b32 exec_lo, exec_lo, s40
	s_delay_alu instid0(SALU_CYCLE_1) | instskip(NEXT) | instid1(SALU_CYCLE_1)
	s_and_b32 s40, exec_lo, s39
	s_or_b32 s35, s40, s35
	s_and_not1_b32 s36, s36, exec_lo
	s_and_b32 s40, s38, exec_lo
	s_delay_alu instid0(SALU_CYCLE_1)
	s_or_b32 s36, s36, s40
	s_and_not1_b32 exec_lo, exec_lo, s35
	s_cbranch_execz .LBB112_34
.LBB112_32:                             ; =>This Inner Loop Header: Depth=1
	s_or_b32 s38, s38, exec_lo
	s_or_b32 s39, s39, exec_lo
	s_mov_b32 s40, exec_lo
	s_delay_alu instid0(VALU_DEP_2)
	v_cmpx_lt_u64_e64 v[2:3], v[6:7]
	s_cbranch_execz .LBB112_31
; %bb.33:                               ;   in Loop: Header=BB112_32 Depth=1
	global_load_b64 v[10:11], v[2:3], off offset:-4
	s_and_not1_b32 s39, s39, exec_lo
	s_wait_xcnt 0x0
	v_add_nc_u64_e32 v[2:3], 4, v[2:3]
	s_and_not1_b32 s38, s38, exec_lo
	s_wait_loadcnt 0x0
	v_cmp_ge_i32_e32 vcc_lo, v10, v11
	s_or_b32 s41, s37, vcc_lo
	s_delay_alu instid0(SALU_CYCLE_1) | instskip(NEXT) | instid1(SALU_CYCLE_1)
	s_and_b32 s41, s41, exec_lo
	s_or_b32 s39, s39, s41
	s_branch .LBB112_31
.LBB112_34:
	s_or_b32 exec_lo, exec_lo, s35
	s_delay_alu instid0(SALU_CYCLE_1)
	s_mov_b32 s58, exec_lo
	s_or_not1_b32 s35, s36, exec_lo
.LBB112_35:
	s_or_b32 exec_lo, exec_lo, s1
	s_mov_b32 s1, 0
	s_mov_b32 s36, 0
	;; [unrolled: 1-line block ×3, first 2 shown]
	s_and_saveexec_b32 s59, s35
	s_cbranch_execz .LBB112_60
; %bb.36:
	s_mov_b32 s0, 0
	s_mov_b32 s1, -1
	s_mov_b32 s35, 0
	s_mov_b32 s60, exec_lo
	v_cmpx_eq_u32_e64 s33, v19
	s_cbranch_execz .LBB112_59
; %bb.37:
	s_mov_b32 s0, -1
	s_mov_b32 s38, 0
	s_mov_b32 s39, 0
	s_mov_b32 s61, exec_lo
	v_cmpx_eq_u32_e64 v16, v14
	s_cbranch_execz .LBB112_58
; %bb.38:
	v_sub_nc_u32_e32 v1, v4, v8
	s_mov_b32 s35, -1
	s_mov_b32 s1, 0
	s_delay_alu instid0(VALU_DEP_1) | instskip(SKIP_2) | instid1(SALU_CYCLE_1)
	v_cmp_le_i32_e32 vcc_lo, s33, v1
	v_cmp_ge_i32_e64 s0, s4, v1
	s_and_b32 s0, vcc_lo, s0
	s_and_saveexec_b32 s62, s0
	s_cbranch_execz .LBB112_57
; %bb.39:
	v_mov_b64_e32 v[2:3], 0
	s_and_not1_b32 vcc_lo, exec_lo, s50
	s_cbranch_vccnz .LBB112_46
; %bb.40:
	s_wait_loadcnt 0x0
	v_dual_mov_b32 v2, v12 :: v_dual_ashrrev_i32 v3, 31, v12
	s_mov_b32 s35, s1
	v_mov_b32_e32 v6, 0
	s_lshl_b64 s[40:41], s[34:35], 3
	s_mov_b64 s[36:37], 0xffffffff
	v_mul_u64_e32 v[10:11], s[6:7], v[2:3]
	v_mov_b64_e32 v[2:3], 0
	s_add_nc_u64 s[38:39], s[10:11], s[40:41]
	s_add_nc_u64 s[40:41], s[12:13], s[40:41]
	s_mov_b32 s35, s8
	s_branch .LBB112_42
.LBB112_41:                             ;   in Loop: Header=BB112_42 Depth=1
	s_or_b32 exec_lo, exec_lo, s0
	s_delay_alu instid0(VALU_DEP_1)
	v_mul_u64_e32 v[22:23], s[42:43], v[18:19]
	s_load_b64 s[42:43], s[40:41], 0x0
	s_add_co_i32 s35, s35, -1
	s_add_nc_u64 s[38:39], s[38:39], -8
	s_cmp_lg_u32 s35, 0
	s_wait_xcnt 0x0
	s_add_nc_u64 s[40:41], s[40:41], -8
	s_delay_alu instid0(VALU_DEP_1) | instskip(SKIP_1) | instid1(VALU_DEP_1)
	v_sub_nc_u64_e32 v[10:11], v[10:11], v[22:23]
	s_wait_kmcnt 0x0
	v_mad_nc_u64_u32 v[2:3], v10, s42, v[2:3]
	s_delay_alu instid0(VALU_DEP_1) | instskip(NEXT) | instid1(VALU_DEP_1)
	v_mad_u32 v1, v11, s42, v3
	v_mad_u32 v3, v10, s43, v1
	v_mov_b64_e32 v[10:11], v[18:19]
	s_cbranch_scc0 .LBB112_46
.LBB112_42:                             ; =>This Inner Loop Header: Depth=1
	s_load_b64 s[42:43], s[38:39], 0x0
                                        ; implicit-def: $vgpr18_vgpr19
	s_mov_b32 s0, exec_lo
	s_wait_kmcnt 0x0
	s_delay_alu instid0(VALU_DEP_1) | instskip(NEXT) | instid1(VALU_DEP_1)
	v_or_b32_e32 v7, s43, v11
	v_cmpx_ne_u64_e32 0, v[6:7]
	s_xor_b32 s63, exec_lo, s0
	s_cbranch_execz .LBB112_44
; %bb.43:                               ;   in Loop: Header=BB112_42 Depth=1
	s_ashr_i32 s44, s43, 31
	v_dual_mov_b32 v25, v6 :: v_dual_ashrrev_i32 v18, 31, v11
	s_mov_b32 s45, s44
	v_mov_b32_e32 v29, v6
	s_add_nc_u64 s[46:47], s[42:43], s[44:45]
	s_delay_alu instid0(VALU_DEP_2)
	v_mov_b32_e32 v19, v18
	s_xor_b64 s[46:47], s[46:47], s[44:45]
	v_mov_b32_e32 v33, v6
	s_cvt_f32_u32 s0, s46
	s_cvt_f32_u32 s45, s47
	s_sub_nc_u64 s[66:67], 0, s[46:47]
	v_add_nc_u64_e32 v[22:23], v[10:11], v[18:19]
	s_delay_alu instid0(SALU_CYCLE_1) | instskip(NEXT) | instid1(SALU_CYCLE_3)
	s_fmamk_f32 s0, s45, 0x4f800000, s0
	v_s_rcp_f32 s0, s0
	s_delay_alu instid0(VALU_DEP_1) | instskip(NEXT) | instid1(VALU_DEP_2)
	v_xor_b32_e32 v28, v23, v18
	v_xor_b32_e32 v24, v22, v18
	s_delay_alu instid0(TRANS32_DEP_1) | instskip(NEXT) | instid1(SALU_CYCLE_3)
	s_mul_f32 s0, s0, 0x5f7ffffc
	s_mul_f32 s45, s0, 0x2f800000
	s_delay_alu instid0(SALU_CYCLE_3) | instskip(NEXT) | instid1(SALU_CYCLE_3)
	s_trunc_f32 s45, s45
	s_fmamk_f32 s0, s45, 0xcf800000, s0
	s_cvt_u32_f32 s65, s45
	s_delay_alu instid0(SALU_CYCLE_2) | instskip(NEXT) | instid1(SALU_CYCLE_3)
	s_cvt_u32_f32 s64, s0
	s_mul_u64 s[68:69], s[66:67], s[64:65]
	s_delay_alu instid0(SALU_CYCLE_1)
	s_mul_hi_u32 s71, s64, s69
	s_mul_i32 s70, s64, s69
	s_mul_hi_u32 s0, s64, s68
	s_mul_i32 s72, s65, s68
	s_add_nc_u64 s[70:71], s[0:1], s[70:71]
	s_mul_hi_u32 s45, s65, s68
	s_mul_hi_u32 s73, s65, s69
	s_add_co_u32 s0, s70, s72
	s_add_co_ci_u32 s0, s71, s45
	s_mul_i32 s68, s65, s69
	s_add_co_ci_u32 s69, s73, 0
	s_delay_alu instid0(SALU_CYCLE_1) | instskip(NEXT) | instid1(SALU_CYCLE_1)
	s_add_nc_u64 s[68:69], s[0:1], s[68:69]
	s_add_co_u32 s64, s64, s68
	s_cselect_b32 s0, -1, 0
	s_delay_alu instid0(SALU_CYCLE_1) | instskip(SKIP_1) | instid1(SALU_CYCLE_1)
	s_cmp_lg_u32 s0, 0
	s_add_co_ci_u32 s65, s65, s69
	s_mul_u64 s[66:67], s[66:67], s[64:65]
	s_delay_alu instid0(SALU_CYCLE_1)
	s_mul_hi_u32 s69, s64, s67
	s_mul_i32 s68, s64, s67
	s_mul_hi_u32 s0, s64, s66
	s_mul_i32 s70, s65, s66
	s_add_nc_u64 s[68:69], s[0:1], s[68:69]
	s_mul_hi_u32 s45, s65, s66
	s_mul_hi_u32 s71, s65, s67
	s_add_co_u32 s0, s68, s70
	s_add_co_ci_u32 s0, s69, s45
	s_mul_i32 s66, s65, s67
	s_add_co_ci_u32 s67, s71, 0
	s_delay_alu instid0(SALU_CYCLE_1) | instskip(NEXT) | instid1(SALU_CYCLE_1)
	s_add_nc_u64 s[66:67], s[0:1], s[66:67]
	s_add_co_u32 s64, s64, s66
	s_cselect_b32 s0, -1, 0
	v_mul_hi_u32 v32, v24, s64
	s_cmp_lg_u32 s0, 0
	s_add_co_ci_u32 s0, s65, s67
	s_and_b64 s[66:67], s[64:65], s[36:37]
	v_mul_u64_e32 v[26:27], s[0:1], v[24:25]
	v_mul_u64_e32 v[22:23], s[66:67], v[28:29]
	;; [unrolled: 1-line block ×3, first 2 shown]
	s_delay_alu instid0(VALU_DEP_3) | instskip(NEXT) | instid1(VALU_DEP_1)
	v_add_nc_u64_e32 v[26:27], v[32:33], v[26:27]
	v_add_co_u32 v1, vcc_lo, v26, v22
	s_delay_alu instid0(VALU_DEP_2) | instskip(NEXT) | instid1(VALU_DEP_4)
	v_add_co_ci_u32_e32 v32, vcc_lo, v27, v23, vcc_lo
	v_add_co_ci_u32_e32 v31, vcc_lo, 0, v31, vcc_lo
	s_delay_alu instid0(VALU_DEP_1) | instskip(NEXT) | instid1(VALU_DEP_1)
	v_add_nc_u64_e32 v[22:23], v[32:33], v[30:31]
	v_mul_u64_e32 v[26:27], s[46:47], v[22:23]
	s_delay_alu instid0(VALU_DEP_1) | instskip(NEXT) | instid1(VALU_DEP_2)
	v_sub_nc_u32_e32 v1, v28, v27
	v_sub_co_u32 v7, vcc_lo, v24, v26
	s_delay_alu instid0(VALU_DEP_1) | instskip(NEXT) | instid1(VALU_DEP_3)
	v_sub_co_ci_u32_e64 v15, null, v28, v27, vcc_lo
	v_subrev_co_ci_u32_e64 v1, null, s47, v1, vcc_lo
	s_delay_alu instid0(VALU_DEP_3) | instskip(SKIP_1) | instid1(VALU_DEP_3)
	v_sub_co_u32 v12, s0, v7, s46
	v_add_nc_u64_e32 v[24:25], 2, v[22:23]
	v_subrev_co_ci_u32_e64 v1, null, 0, v1, s0
	s_delay_alu instid0(VALU_DEP_3) | instskip(SKIP_2) | instid1(VALU_DEP_4)
	v_cmp_le_u32_e32 vcc_lo, s46, v12
	v_add_nc_u64_e32 v[26:27], 1, v[22:23]
	v_cndmask_b32_e64 v12, 0, -1, vcc_lo
	v_cmp_le_u32_e32 vcc_lo, s47, v1
	v_cndmask_b32_e64 v16, 0, -1, vcc_lo
	v_cmp_le_u32_e32 vcc_lo, s46, v7
	;; [unrolled: 2-line block ×3, first 2 shown]
	v_cndmask_b32_e64 v19, 0, -1, vcc_lo
	v_cmp_eq_u32_e32 vcc_lo, s47, v1
	v_cndmask_b32_e32 v1, v16, v12, vcc_lo
	v_cmp_eq_u32_e32 vcc_lo, s47, v15
	s_delay_alu instid0(VALU_DEP_4) | instskip(NEXT) | instid1(VALU_DEP_3)
	v_cndmask_b32_e32 v7, v19, v7, vcc_lo
	v_cmp_ne_u32_e32 vcc_lo, 0, v1
	s_delay_alu instid0(VALU_DEP_2) | instskip(SKIP_1) | instid1(VALU_DEP_1)
	v_cmp_ne_u32_e64 s0, 0, v7
	v_dual_cndmask_b32 v1, v27, v25, vcc_lo :: v_dual_cndmask_b32 v7, v26, v24, vcc_lo
	v_dual_cndmask_b32 v1, v23, v1, s0 :: v_dual_bitop2_b32 v18, s44, v18 bitop3:0x14
	s_delay_alu instid0(VALU_DEP_1) | instskip(NEXT) | instid1(VALU_DEP_1)
	v_dual_cndmask_b32 v7, v22, v7, s0 :: v_dual_bitop2_b32 v23, v1, v18 bitop3:0x14
	v_dual_mov_b32 v19, v18 :: v_dual_bitop2_b32 v22, v7, v18 bitop3:0x14
	s_delay_alu instid0(VALU_DEP_1)
	v_sub_nc_u64_e32 v[18:19], v[22:23], v[18:19]
.LBB112_44:                             ;   in Loop: Header=BB112_42 Depth=1
	s_and_not1_saveexec_b32 s0, s63
	s_cbranch_execz .LBB112_41
; %bb.45:                               ;   in Loop: Header=BB112_42 Depth=1
	v_cvt_f32_u32_e32 v1, s42
	s_sub_co_i32 s44, 0, s42
	v_mov_b32_e32 v19, v6
	s_delay_alu instid0(VALU_DEP_2) | instskip(SKIP_1) | instid1(TRANS32_DEP_1)
	v_rcp_iflag_f32_e32 v1, v1
	v_nop
	v_mul_f32_e32 v1, 0x4f7ffffe, v1
	s_delay_alu instid0(VALU_DEP_1) | instskip(NEXT) | instid1(VALU_DEP_1)
	v_cvt_u32_f32_e32 v1, v1
	v_mul_lo_u32 v7, s44, v1
	s_delay_alu instid0(VALU_DEP_1) | instskip(NEXT) | instid1(VALU_DEP_1)
	v_mul_hi_u32 v7, v1, v7
	v_add_nc_u32_e32 v1, v1, v7
	s_delay_alu instid0(VALU_DEP_1) | instskip(NEXT) | instid1(VALU_DEP_1)
	v_mul_hi_u32 v1, v10, v1
	v_mul_lo_u32 v7, v1, s42
	s_delay_alu instid0(VALU_DEP_1) | instskip(NEXT) | instid1(VALU_DEP_1)
	v_sub_nc_u32_e32 v7, v10, v7
	v_subrev_nc_u32_e32 v15, s42, v7
	v_cmp_le_u32_e32 vcc_lo, s42, v7
	s_delay_alu instid0(VALU_DEP_2) | instskip(NEXT) | instid1(VALU_DEP_1)
	v_dual_cndmask_b32 v7, v7, v15 :: v_dual_add_nc_u32 v12, 1, v1
	v_cndmask_b32_e32 v1, v1, v12, vcc_lo
	s_delay_alu instid0(VALU_DEP_2) | instskip(NEXT) | instid1(VALU_DEP_2)
	v_cmp_le_u32_e32 vcc_lo, s42, v7
	v_add_nc_u32_e32 v12, 1, v1
	s_delay_alu instid0(VALU_DEP_1)
	v_cndmask_b32_e32 v18, v1, v12, vcc_lo
	s_branch .LBB112_41
.LBB112_46:
	s_mov_b32 s38, -1
	s_mov_b32 s0, 0
	s_mov_b32 s35, 0
	s_mov_b32 s1, exec_lo
	v_cmpx_gt_i32_e64 v4, v8
	s_cbranch_execz .LBB112_52
; %bb.47:
	s_delay_alu instid0(VALU_DEP_2) | instskip(SKIP_3) | instid1(VALU_DEP_2)
	v_lshlrev_b64_e32 v[2:3], 2, v[2:3]
	v_dual_mov_b32 v6, v8 :: v_dual_ashrrev_i32 v7, 31, v8
	v_dual_mov_b32 v18, v4 :: v_dual_ashrrev_i32 v19, 31, v4
	s_xor_b32 s37, s49, -1
                                        ; implicit-def: $sgpr36
                                        ; implicit-def: $sgpr39
                                        ; implicit-def: $sgpr38
	v_lshl_add_u64 v[6:7], v[6:7], 2, v[2:3]
	s_wait_loadcnt 0x0
	v_add_nc_u64_e32 v[10:11], s[14:15], v[2:3]
	s_delay_alu instid0(VALU_DEP_2) | instskip(NEXT) | instid1(VALU_DEP_1)
	v_add_nc_u64_e32 v[6:7], s[14:15], v[6:7]
	v_add_nc_u64_e32 v[2:3], 4, v[6:7]
	s_delay_alu instid0(VALU_DEP_3)
	v_lshl_add_u64 v[6:7], v[18:19], 2, v[10:11]
	s_branch .LBB112_49
.LBB112_48:                             ;   in Loop: Header=BB112_49 Depth=1
	s_or_b32 exec_lo, exec_lo, s40
	s_delay_alu instid0(SALU_CYCLE_1) | instskip(NEXT) | instid1(SALU_CYCLE_1)
	s_and_b32 s40, exec_lo, s39
	s_or_b32 s35, s40, s35
	s_and_not1_b32 s36, s36, exec_lo
	s_and_b32 s40, s38, exec_lo
	s_delay_alu instid0(SALU_CYCLE_1)
	s_or_b32 s36, s36, s40
	s_and_not1_b32 exec_lo, exec_lo, s35
	s_cbranch_execz .LBB112_51
.LBB112_49:                             ; =>This Inner Loop Header: Depth=1
	s_or_b32 s38, s38, exec_lo
	s_or_b32 s39, s39, exec_lo
	s_mov_b32 s40, exec_lo
	s_delay_alu instid0(VALU_DEP_2)
	v_cmpx_lt_u64_e64 v[2:3], v[6:7]
	s_cbranch_execz .LBB112_48
; %bb.50:                               ;   in Loop: Header=BB112_49 Depth=1
	global_load_b64 v[10:11], v[2:3], off offset:-4
	s_and_not1_b32 s39, s39, exec_lo
	s_wait_xcnt 0x0
	v_add_nc_u64_e32 v[2:3], 4, v[2:3]
	s_and_not1_b32 s38, s38, exec_lo
	s_wait_loadcnt 0x0
	v_cmp_ge_i32_e32 vcc_lo, v10, v11
	s_or_b32 s41, s37, vcc_lo
	s_delay_alu instid0(SALU_CYCLE_1) | instskip(NEXT) | instid1(SALU_CYCLE_1)
	s_and_b32 s41, s41, exec_lo
	s_or_b32 s39, s39, s41
	s_branch .LBB112_48
.LBB112_51:
	s_or_b32 exec_lo, exec_lo, s35
	s_delay_alu instid0(SALU_CYCLE_1)
	s_mov_b32 s35, exec_lo
	s_or_not1_b32 s38, s36, exec_lo
.LBB112_52:
	s_or_b32 exec_lo, exec_lo, s1
	s_mov_b32 s36, 0
	s_mov_b32 s37, 0
	s_and_saveexec_b32 s1, s38
	s_cbranch_execz .LBB112_56
; %bb.53:
	s_mov_b32 s0, 0
	s_mov_b32 s37, -1
	s_mov_b32 s38, exec_lo
	v_cmpx_eq_u32_e64 s33, v20
	s_xor_b32 s38, exec_lo, s38
; %bb.54:
	v_cmp_ne_u32_e32 vcc_lo, v17, v14
	s_mov_b32 s36, exec_lo
	s_xor_b32 s37, exec_lo, -1
	s_and_b32 s0, vcc_lo, exec_lo
; %bb.55:
	s_or_b32 exec_lo, exec_lo, s38
	s_delay_alu instid0(SALU_CYCLE_1)
	s_and_b32 s37, s37, exec_lo
	s_and_not1_b32 s35, s35, exec_lo
	s_and_b32 s36, s36, exec_lo
	s_and_b32 s0, s0, exec_lo
.LBB112_56:
	s_or_b32 exec_lo, exec_lo, s1
	s_delay_alu instid0(SALU_CYCLE_1)
	s_and_b32 s38, s37, exec_lo
	s_and_b32 s37, s35, exec_lo
	s_xor_b32 s35, exec_lo, -1
	s_and_b32 s36, s36, exec_lo
	s_and_b32 s1, s0, exec_lo
.LBB112_57:
	s_or_b32 exec_lo, exec_lo, s62
	s_delay_alu instid0(SALU_CYCLE_1)
	s_and_b32 s39, s38, exec_lo
	s_and_b32 s37, s37, exec_lo
	;; [unrolled: 1-line block ×4, first 2 shown]
	s_or_not1_b32 s0, s1, exec_lo
.LBB112_58:
	s_or_b32 exec_lo, exec_lo, s61
	s_delay_alu instid0(SALU_CYCLE_1)
	s_or_not1_b32 s1, s39, exec_lo
	s_and_b32 s37, s37, exec_lo
	s_and_b32 s36, s38, exec_lo
	;; [unrolled: 1-line block ×4, first 2 shown]
.LBB112_59:
	s_or_b32 exec_lo, exec_lo, s60
	s_delay_alu instid0(SALU_CYCLE_1)
	s_and_not1_b32 s38, s58, exec_lo
	s_and_b32 s39, s37, exec_lo
	s_and_b32 s37, s1, exec_lo
	s_or_b32 s58, s38, s39
	s_and_b32 s36, s36, exec_lo
	s_and_b32 s1, s35, exec_lo
	s_and_b32 s0, s0, exec_lo
.LBB112_60:
	s_or_b32 exec_lo, exec_lo, s59
	s_delay_alu instid0(SALU_CYCLE_1)
	s_and_b32 s38, s37, exec_lo
	s_and_b32 s37, s58, exec_lo
	s_or_not1_b32 s35, s36, exec_lo
	s_and_b32 s36, s1, exec_lo
	s_and_b32 s1, s0, exec_lo
.LBB112_61:
	s_or_b32 exec_lo, exec_lo, s57
	s_delay_alu instid0(SALU_CYCLE_1)
	s_and_b32 s39, s38, exec_lo
	s_and_b32 s37, s37, exec_lo
	;; [unrolled: 1-line block ×4, first 2 shown]
	s_or_not1_b32 s0, s1, exec_lo
.LBB112_62:
	s_or_b32 exec_lo, exec_lo, s56
	s_delay_alu instid0(SALU_CYCLE_1)
	s_or_not1_b32 s1, s39, exec_lo
	s_and_b32 s37, s37, exec_lo
	s_and_b32 s36, s38, exec_lo
	;; [unrolled: 1-line block ×4, first 2 shown]
.LBB112_63:
	s_or_b32 exec_lo, exec_lo, s55
	s_delay_alu instid0(SALU_CYCLE_1)
	s_and_not1_b32 s38, s53, exec_lo
	s_and_b32 s37, s37, exec_lo
	s_and_b32 s1, s1, exec_lo
	s_or_b32 s53, s38, s37
	s_and_b32 s37, s36, exec_lo
	s_and_b32 s36, s35, exec_lo
	;; [unrolled: 1-line block ×3, first 2 shown]
.LBB112_64:
	s_or_b32 exec_lo, exec_lo, s54
	s_delay_alu instid0(SALU_CYCLE_1)
	s_and_b32 s1, s1, exec_lo
	s_and_b32 s40, s53, exec_lo
	s_or_not1_b32 s35, s37, exec_lo
	s_and_b32 s39, s36, exec_lo
	s_and_b32 s38, s0, exec_lo
.LBB112_65:
	s_or_b32 exec_lo, exec_lo, s52
	s_delay_alu instid0(SALU_CYCLE_1)
	s_and_b32 s1, s1, exec_lo
	s_and_b32 s52, s40, exec_lo
	;; [unrolled: 1-line block ×4, first 2 shown]
	s_or_not1_b32 s38, s38, exec_lo
	s_mov_b32 s53, s8
.LBB112_66:
	s_or_b32 exec_lo, exec_lo, s51
	s_and_saveexec_b32 s36, s38
	s_cbranch_execnz .LBB112_212
.LBB112_67:
	s_or_b32 exec_lo, exec_lo, s36
	s_mov_b32 s36, 0
	s_and_saveexec_b32 s37, s0
	s_delay_alu instid0(SALU_CYCLE_1)
	s_xor_b32 s37, exec_lo, s37
	s_cbranch_execz .LBB112_106
; %bb.68:
	v_sub_nc_u32_e32 v1, v5, v9
	s_and_not1_b32 s35, s35, exec_lo
	s_mov_b32 s36, exec_lo
	s_delay_alu instid0(VALU_DEP_1) | instskip(SKIP_2) | instid1(SALU_CYCLE_1)
	v_cmp_gt_i32_e32 vcc_lo, s33, v1
	v_cmp_lt_i32_e64 s0, s4, v1
	s_or_b32 s0, vcc_lo, s0
	s_and_b32 s0, s0, exec_lo
	s_delay_alu instid0(SALU_CYCLE_1)
	s_or_b32 s35, s35, s0
	s_or_b32 exec_lo, exec_lo, s37
	s_and_saveexec_b32 s0, s35
	s_cbranch_execz .LBB112_107
.LBB112_69:
	s_or_b32 s3, s3, exec_lo
	s_and_not1_b32 s36, s36, exec_lo
	s_trap 2
	s_or_b32 exec_lo, exec_lo, s0
	s_mov_b32 s0, 0
	s_and_saveexec_b32 s51, s36
	s_cbranch_execnz .LBB112_108
.LBB112_70:
	s_or_b32 exec_lo, exec_lo, s51
	s_and_saveexec_b32 s34, s52
	s_cbranch_execnz .LBB112_175
.LBB112_71:
	s_or_b32 exec_lo, exec_lo, s34
	s_and_saveexec_b32 s34, s0
	s_delay_alu instid0(SALU_CYCLE_1)
	s_xor_b32 s0, exec_lo, s34
	s_cbranch_execz .LBB112_73
.LBB112_72:
	v_mov_b32_e32 v2, 0
	s_add_nc_u64 s[30:31], s[16:17], s[30:31]
	s_delay_alu instid0(VALU_DEP_1)
	v_dual_mov_b32 v3, v2 :: v_dual_mov_b32 v4, v2
	v_mov_b32_e32 v5, v2
	global_store_b128 v0, v[2:5], s[30:31] scale_offset
.LBB112_73:
	s_wait_xcnt 0x0
	s_or_b32 exec_lo, exec_lo, s0
	s_delay_alu instid0(SALU_CYCLE_1)
	s_and_b32 s3, s3, exec_lo
	s_or_not1_b32 s0, s1, exec_lo
.LBB112_74:
	s_or_b32 exec_lo, exec_lo, s48
.LBB112_75:
	s_and_saveexec_b32 s1, s0
	s_delay_alu instid0(SALU_CYCLE_1)
	s_xor_b32 s0, exec_lo, s1
	s_cbranch_execnz .LBB112_210
.LBB112_76:
	s_or_b32 exec_lo, exec_lo, s0
	s_mov_b32 s0, 0
.LBB112_77:
	s_delay_alu instid0(SALU_CYCLE_1)
	s_and_b32 vcc_lo, exec_lo, s0
	s_cbranch_vccz .LBB112_97
; %bb.78:
	v_mov_b64_e32 v[6:7], 0
	v_cmp_gt_i32_e64 s0, s5, v0
	v_dual_mov_b32 v3, 0 :: v_dual_mov_b32 v1, 0
	v_or_b32_e32 v15, 0x100, v0
	v_dual_mov_b32 v2, 0 :: v_dual_mov_b32 v4, 0
	s_wait_loadcnt 0x0
	v_dual_mov_b32 v11, 0 :: v_dual_mov_b32 v9, 0
	v_dual_mov_b32 v10, 0 :: v_dual_mov_b32 v8, 0
	;; [unrolled: 1-line block ×7, first 2 shown]
	v_mov_b32_e32 v24, 0
	s_and_saveexec_b32 s1, s0
	s_cbranch_execz .LBB112_86
; %bb.79:
	v_dual_mov_b32 v18, 0 :: v_dual_bitop2_b32 v1, s2, v0 bitop3:0x54
	v_mov_b64_e32 v[6:7], 0
	v_dual_mov_b32 v14, 0 :: v_dual_mov_b32 v16, 0
	s_clause 0x4
	global_load_b32 v23, v1, s[18:19] scale_offset
	global_load_b32 v21, v1, s[20:21] scale_offset
	;; [unrolled: 1-line block ×5, first 2 shown]
	v_dual_mov_b32 v17, 0 :: v_dual_mov_b32 v19, 0
	v_dual_mov_b32 v13, 0 :: v_dual_mov_b32 v8, 0
	;; [unrolled: 1-line block ×4, first 2 shown]
	s_wait_xcnt 0x0
	v_dual_mov_b32 v2, 0 :: v_dual_mov_b32 v1, 0
	v_mov_b32_e32 v3, 0
	s_mov_b32 s9, exec_lo
	v_cmpx_gt_u32_e64 s5, v15
	s_cbranch_execz .LBB112_85
; %bb.80:
	v_dual_mov_b32 v13, 0 :: v_dual_add_nc_u32 v12, s2, v0
	v_or_b32_e32 v1, 0x200, v0
	v_mov_b64_e32 v[6:7], 0
	v_dual_mov_b32 v8, 0 :: v_dual_mov_b32 v10, 0
	s_clause 0x4
	global_load_b32 v19, v12, s[18:19] offset:1024 scale_offset
	global_load_b32 v17, v12, s[20:21] offset:1024 scale_offset
	;; [unrolled: 1-line block ×5, first 2 shown]
	v_cmp_gt_u32_e32 vcc_lo, s5, v1
	v_dual_mov_b32 v9, 0 :: v_dual_mov_b32 v11, 0
	v_dual_mov_b32 v4, 0 :: v_dual_mov_b32 v2, 0
	;; [unrolled: 1-line block ×3, first 2 shown]
	s_wait_xcnt 0x0
	s_and_saveexec_b32 s30, vcc_lo
	s_cbranch_execz .LBB112_84
; %bb.81:
	v_lshlrev_b64_e32 v[2:3], 2, v[12:13]
	v_or_b32_e32 v1, 0x300, v0
	v_mov_b64_e32 v[6:7], 0
	s_delay_alu instid0(VALU_DEP_2) | instskip(NEXT) | instid1(VALU_DEP_4)
	v_cmp_gt_u32_e32 vcc_lo, s5, v1
	v_add_nc_u64_e32 v[4:5], s[18:19], v[2:3]
	v_add_nc_u64_e32 v[26:27], s[20:21], v[2:3]
	;; [unrolled: 1-line block ×5, first 2 shown]
	v_dual_mov_b32 v2, 0 :: v_dual_mov_b32 v1, 0
	global_load_b32 v11, v[4:5], off offset:2048
	global_load_b32 v9, v[26:27], off offset:2048
	;; [unrolled: 1-line block ×5, first 2 shown]
	v_mov_b32_e32 v3, 0
	s_wait_xcnt 0x0
	s_and_saveexec_b32 s18, vcc_lo
	s_cbranch_execz .LBB112_83
; %bb.82:
	global_load_b32 v6, v[28:29], off offset:3072
	global_load_b32 v3, v[4:5], off offset:3072
	;; [unrolled: 1-line block ×5, first 2 shown]
	s_wait_loadcnt 0x4
	v_ashrrev_i32_e32 v7, 31, v6
.LBB112_83:
	s_wait_xcnt 0x0
	s_or_b32 exec_lo, exec_lo, s18
	s_wait_loadcnt 0x0
	v_dual_mov_b32 v4, v13 :: v_dual_mov_b32 v13, v12
.LBB112_84:
	s_or_b32 exec_lo, exec_lo, s30
.LBB112_85:
	s_delay_alu instid0(SALU_CYCLE_1)
	s_or_b32 exec_lo, exec_lo, s9
.LBB112_86:
	s_delay_alu instid0(SALU_CYCLE_1)
	s_or_b32 exec_lo, exec_lo, s1
	s_get_pc_i64 s[18:19]
	s_add_nc_u64 s[18:19], s[18:19], .str.7@rel64+4
	s_cmp_lg_u64 s[28:29], 0
	s_get_pc_i64 s[20:21]
	s_add_nc_u64 s[20:21], s[20:21], .str.8@rel64+4
	s_cselect_b32 s42, -1, 0
	s_cmp_lg_u64 s[18:19], 0
	v_cmp_gt_i64_e64 s9, s[6:7], 0
	s_cselect_b32 s39, -1, 0
	s_cmp_lg_u64 s[20:21], 0
	s_get_pc_i64 s[20:21]
	s_add_nc_u64 s[20:21], s[20:21], .str.9@rel64+4
	s_cselect_b32 s38, -1, 0
	s_add_co_i32 s18, s8, -1
	s_mov_b32 s1, -1
	s_cmp_gt_i32 s18, -1
	s_mov_b32 s48, 0
	s_cselect_b32 s19, -1, 0
	s_mov_b32 s46, 0
	s_and_b32 s37, s9, s19
	s_cmp_lg_u64 s[20:21], 0
	s_mov_b32 s44, 0
	s_cselect_b32 s36, -1, 0
	s_mov_b32 s43, 0
	s_mov_b32 s41, 0
	s_and_saveexec_b32 s9, s0
	s_cbranch_execz .LBB112_130
; %bb.87:
	s_wait_loadcnt 0x4
	v_cmp_eq_u32_e32 vcc_lo, s33, v23
	s_mov_b32 s19, -1
	s_mov_b32 s1, 0
	s_mov_b32 s20, 0
	;; [unrolled: 1-line block ×3, first 2 shown]
	s_and_b32 s23, s42, vcc_lo
	s_mov_b32 s22, 0
	s_and_saveexec_b32 s40, s23
	s_cbranch_execz .LBB112_129
; %bb.88:
	s_wait_loadcnt 0x3
	v_cmp_eq_u32_e32 vcc_lo, s6, v21
	s_and_b32 s22, s39, vcc_lo
	s_delay_alu instid0(SALU_CYCLE_1)
	s_and_saveexec_b32 s41, s22
	s_cbranch_execz .LBB112_128
; %bb.89:
	s_wait_loadcnt 0x1
	v_sub_nc_u32_e32 v5, v20, v22
	s_delay_alu instid0(VALU_DEP_1)
	v_cmp_le_i32_e32 vcc_lo, s33, v5
	v_cmp_ge_i32_e64 s1, s4, v5
	s_and_b32 s20, vcc_lo, s1
	s_mov_b32 s1, 0
	s_and_b32 s21, s38, s20
	s_mov_b32 s20, 0
	s_and_saveexec_b32 s43, s21
	s_cbranch_execz .LBB112_127
; %bb.90:
	v_mov_b64_e32 v[26:27], 0
	s_and_not1_b32 vcc_lo, exec_lo, s37
	s_cbranch_vccnz .LBB112_115
; %bb.91:
	s_wait_loadcnt 0x0
	v_ashrrev_i32_e32 v25, 31, v24
	s_mov_b32 s21, 0
	v_mov_b64_e32 v[26:27], 0
	s_mov_b32 s19, s21
	s_mov_b64 s[22:23], 0xffffffff
	v_mul_u64_e32 v[28:29], s[6:7], v[24:25]
	v_mov_b32_e32 v24, 0
	s_lshl_b64 s[26:27], s[18:19], 3
	s_mov_b32 s19, s8
	s_add_nc_u64 s[24:25], s[10:11], s[26:27]
	s_add_nc_u64 s[26:27], s[12:13], s[26:27]
	s_branch .LBB112_93
.LBB112_92:                             ;   in Loop: Header=BB112_93 Depth=1
	s_or_b32 exec_lo, exec_lo, s1
	s_delay_alu instid0(VALU_DEP_1)
	v_mul_u64_e32 v[32:33], s[28:29], v[30:31]
	s_load_b64 s[28:29], s[26:27], 0x0
	s_add_co_i32 s19, s19, -1
	s_add_nc_u64 s[24:25], s[24:25], -8
	s_cmp_eq_u32 s19, 0
	s_wait_xcnt 0x0
	s_add_nc_u64 s[26:27], s[26:27], -8
	s_delay_alu instid0(VALU_DEP_1) | instskip(SKIP_1) | instid1(VALU_DEP_1)
	v_sub_nc_u64_e32 v[28:29], v[28:29], v[32:33]
	s_wait_kmcnt 0x0
	v_mad_nc_u64_u32 v[26:27], v28, s28, v[26:27]
	s_delay_alu instid0(VALU_DEP_1) | instskip(NEXT) | instid1(VALU_DEP_1)
	v_mad_u32 v5, v29, s28, v27
	v_mad_u32 v27, v28, s29, v5
	v_mov_b64_e32 v[28:29], v[30:31]
	s_cbranch_scc1 .LBB112_115
.LBB112_93:                             ; =>This Inner Loop Header: Depth=1
	s_load_b64 s[28:29], s[24:25], 0x0
                                        ; implicit-def: $vgpr30_vgpr31
	s_mov_b32 s1, exec_lo
	s_wait_kmcnt 0x0
	s_delay_alu instid0(VALU_DEP_1) | instskip(NEXT) | instid1(VALU_DEP_1)
	v_or_b32_e32 v25, s29, v29
	v_cmpx_ne_u64_e32 0, v[24:25]
	s_xor_b32 s44, exec_lo, s1
	s_cbranch_execz .LBB112_95
; %bb.94:                               ;   in Loop: Header=BB112_93 Depth=1
	s_ashr_i32 s30, s29, 31
	v_dual_mov_b32 v35, v24 :: v_dual_ashrrev_i32 v30, 31, v29
	s_mov_b32 s31, s30
	s_delay_alu instid0(SALU_CYCLE_1) | instskip(NEXT) | instid1(VALU_DEP_1)
	s_add_nc_u64 s[34:35], s[28:29], s[30:31]
	v_mov_b32_e32 v31, v30
	s_xor_b64 s[34:35], s[34:35], s[30:31]
	s_delay_alu instid0(SALU_CYCLE_1)
	s_cvt_f32_u32 s1, s34
	s_cvt_f32_u32 s20, s35
	s_sub_nc_u64 s[50:51], 0, s[34:35]
	v_add_nc_u64_e32 v[32:33], v[28:29], v[30:31]
	v_mov_b32_e32 v39, v24
	s_fmamk_f32 s1, s20, 0x4f800000, s1
	s_delay_alu instid0(SALU_CYCLE_3) | instskip(NEXT) | instid1(VALU_DEP_2)
	v_s_rcp_f32 s1, s1
	v_xor_b32_e32 v34, v32, v30
	s_delay_alu instid0(VALU_DEP_3) | instskip(NEXT) | instid1(TRANS32_DEP_1)
	v_dual_mov_b32 v43, v24 :: v_dual_bitop2_b32 v38, v33, v30 bitop3:0x14
	s_mul_f32 s1, s1, 0x5f7ffffc
	s_delay_alu instid0(SALU_CYCLE_3) | instskip(NEXT) | instid1(SALU_CYCLE_3)
	s_mul_f32 s20, s1, 0x2f800000
	s_trunc_f32 s20, s20
	s_delay_alu instid0(SALU_CYCLE_3) | instskip(SKIP_1) | instid1(SALU_CYCLE_2)
	s_fmamk_f32 s1, s20, 0xcf800000, s1
	s_cvt_u32_f32 s47, s20
	s_cvt_u32_f32 s46, s1
	s_delay_alu instid0(SALU_CYCLE_3) | instskip(NEXT) | instid1(SALU_CYCLE_1)
	s_mul_u64 s[52:53], s[50:51], s[46:47]
	s_mul_hi_u32 s55, s46, s53
	s_mul_i32 s54, s46, s53
	s_mul_hi_u32 s20, s46, s52
	s_mul_i32 s31, s47, s52
	s_add_nc_u64 s[54:55], s[20:21], s[54:55]
	s_mul_hi_u32 s1, s47, s52
	s_mul_hi_u32 s45, s47, s53
	s_add_co_u32 s20, s54, s31
	s_add_co_ci_u32 s20, s55, s1
	s_mul_i32 s52, s47, s53
	s_add_co_ci_u32 s53, s45, 0
	s_delay_alu instid0(SALU_CYCLE_1) | instskip(NEXT) | instid1(SALU_CYCLE_1)
	s_add_nc_u64 s[52:53], s[20:21], s[52:53]
	s_add_co_u32 s46, s46, s52
	s_cselect_b32 s1, -1, 0
	s_delay_alu instid0(SALU_CYCLE_1) | instskip(SKIP_1) | instid1(SALU_CYCLE_1)
	s_cmp_lg_u32 s1, 0
	s_add_co_ci_u32 s47, s47, s53
	s_mul_u64 s[50:51], s[50:51], s[46:47]
	s_delay_alu instid0(SALU_CYCLE_1)
	s_mul_hi_u32 s53, s46, s51
	s_mul_i32 s52, s46, s51
	s_mul_hi_u32 s20, s46, s50
	s_mul_i32 s31, s47, s50
	s_add_nc_u64 s[52:53], s[20:21], s[52:53]
	s_mul_hi_u32 s1, s47, s50
	s_mul_hi_u32 s45, s47, s51
	s_add_co_u32 s20, s52, s31
	s_add_co_ci_u32 s20, s53, s1
	s_mul_i32 s50, s47, s51
	s_add_co_ci_u32 s51, s45, 0
	s_delay_alu instid0(SALU_CYCLE_1) | instskip(NEXT) | instid1(SALU_CYCLE_1)
	s_add_nc_u64 s[50:51], s[20:21], s[50:51]
	s_add_co_u32 s46, s46, s50
	s_cselect_b32 s1, -1, 0
	v_mul_hi_u32 v42, v34, s46
	s_cmp_lg_u32 s1, 0
	s_add_co_ci_u32 s20, s47, s51
	s_and_b64 s[50:51], s[46:47], s[22:23]
	v_mul_u64_e32 v[36:37], s[20:21], v[34:35]
	v_mul_u64_e32 v[32:33], s[50:51], v[38:39]
	;; [unrolled: 1-line block ×3, first 2 shown]
	s_delay_alu instid0(VALU_DEP_3) | instskip(NEXT) | instid1(VALU_DEP_1)
	v_add_nc_u64_e32 v[36:37], v[42:43], v[36:37]
	v_add_co_u32 v5, vcc_lo, v36, v32
	s_delay_alu instid0(VALU_DEP_2) | instskip(NEXT) | instid1(VALU_DEP_4)
	v_add_co_ci_u32_e32 v42, vcc_lo, v37, v33, vcc_lo
	v_add_co_ci_u32_e32 v41, vcc_lo, 0, v41, vcc_lo
	s_delay_alu instid0(VALU_DEP_1) | instskip(NEXT) | instid1(VALU_DEP_1)
	v_add_nc_u64_e32 v[32:33], v[42:43], v[40:41]
	v_mul_u64_e32 v[36:37], s[34:35], v[32:33]
	s_delay_alu instid0(VALU_DEP_1) | instskip(NEXT) | instid1(VALU_DEP_2)
	v_sub_nc_u32_e32 v5, v38, v37
	v_sub_co_u32 v12, vcc_lo, v34, v36
	s_delay_alu instid0(VALU_DEP_1) | instskip(NEXT) | instid1(VALU_DEP_3)
	v_sub_co_ci_u32_e64 v23, null, v38, v37, vcc_lo
	v_subrev_co_ci_u32_e64 v5, null, s35, v5, vcc_lo
	s_delay_alu instid0(VALU_DEP_3) | instskip(SKIP_1) | instid1(VALU_DEP_3)
	v_sub_co_u32 v21, s1, v12, s34
	v_add_nc_u64_e32 v[34:35], 2, v[32:33]
	v_subrev_co_ci_u32_e64 v5, null, 0, v5, s1
	s_delay_alu instid0(VALU_DEP_3) | instskip(SKIP_2) | instid1(VALU_DEP_4)
	v_cmp_le_u32_e32 vcc_lo, s34, v21
	v_add_nc_u64_e32 v[36:37], 1, v[32:33]
	v_cndmask_b32_e64 v21, 0, -1, vcc_lo
	v_cmp_le_u32_e32 vcc_lo, s35, v5
	v_cndmask_b32_e64 v25, 0, -1, vcc_lo
	v_cmp_le_u32_e32 vcc_lo, s34, v12
	;; [unrolled: 2-line block ×3, first 2 shown]
	v_cndmask_b32_e64 v31, 0, -1, vcc_lo
	v_cmp_eq_u32_e32 vcc_lo, s35, v5
	v_cndmask_b32_e32 v5, v25, v21, vcc_lo
	v_cmp_eq_u32_e32 vcc_lo, s35, v23
	s_delay_alu instid0(VALU_DEP_4) | instskip(NEXT) | instid1(VALU_DEP_3)
	v_cndmask_b32_e32 v12, v31, v12, vcc_lo
	v_cmp_ne_u32_e32 vcc_lo, 0, v5
	s_delay_alu instid0(VALU_DEP_2) | instskip(SKIP_1) | instid1(VALU_DEP_1)
	v_cmp_ne_u32_e64 s1, 0, v12
	v_dual_cndmask_b32 v5, v37, v35 :: v_dual_cndmask_b32 v12, v36, v34
	v_dual_cndmask_b32 v5, v33, v5, s1 :: v_dual_bitop2_b32 v30, s30, v30 bitop3:0x14
	s_delay_alu instid0(VALU_DEP_1) | instskip(NEXT) | instid1(VALU_DEP_2)
	v_dual_cndmask_b32 v12, v32, v12, s1 :: v_dual_mov_b32 v31, v30
	v_xor_b32_e32 v33, v5, v30
	s_delay_alu instid0(VALU_DEP_2) | instskip(NEXT) | instid1(VALU_DEP_1)
	v_xor_b32_e32 v32, v12, v30
	v_sub_nc_u64_e32 v[30:31], v[32:33], v[30:31]
.LBB112_95:                             ;   in Loop: Header=BB112_93 Depth=1
	s_and_not1_saveexec_b32 s1, s44
	s_cbranch_execz .LBB112_92
; %bb.96:                               ;   in Loop: Header=BB112_93 Depth=1
	v_cvt_f32_u32_e32 v5, s28
	s_sub_co_i32 s20, 0, s28
	v_mov_b32_e32 v31, v24
	s_delay_alu instid0(VALU_DEP_2) | instskip(SKIP_1) | instid1(TRANS32_DEP_1)
	v_rcp_iflag_f32_e32 v5, v5
	v_nop
	v_mul_f32_e32 v5, 0x4f7ffffe, v5
	s_delay_alu instid0(VALU_DEP_1) | instskip(NEXT) | instid1(VALU_DEP_1)
	v_cvt_u32_f32_e32 v5, v5
	v_mul_lo_u32 v12, s20, v5
	s_delay_alu instid0(VALU_DEP_1) | instskip(NEXT) | instid1(VALU_DEP_1)
	v_mul_hi_u32 v12, v5, v12
	v_add_nc_u32_e32 v5, v5, v12
	s_delay_alu instid0(VALU_DEP_1) | instskip(NEXT) | instid1(VALU_DEP_1)
	v_mul_hi_u32 v5, v28, v5
	v_mul_lo_u32 v12, v5, s28
	s_delay_alu instid0(VALU_DEP_1) | instskip(NEXT) | instid1(VALU_DEP_1)
	v_dual_add_nc_u32 v21, 1, v5 :: v_dual_sub_nc_u32 v12, v28, v12
	v_subrev_nc_u32_e32 v23, s28, v12
	v_cmp_le_u32_e32 vcc_lo, s28, v12
	s_delay_alu instid0(VALU_DEP_2) | instskip(NEXT) | instid1(VALU_DEP_1)
	v_dual_cndmask_b32 v12, v12, v23 :: v_dual_cndmask_b32 v5, v5, v21
	v_cmp_le_u32_e32 vcc_lo, s28, v12
	s_delay_alu instid0(VALU_DEP_2) | instskip(NEXT) | instid1(VALU_DEP_1)
	v_add_nc_u32_e32 v21, 1, v5
	v_cndmask_b32_e32 v30, v5, v21, vcc_lo
	s_branch .LBB112_92
.LBB112_97:
                                        ; implicit-def: $sgpr0
                                        ; implicit-def: $sgpr40
                                        ; implicit-def: $sgpr45
                                        ; implicit-def: $sgpr24
                                        ; implicit-def: $vgpr0
	s_and_saveexec_b32 s1, s3
.LBB112_98:
	; divergent unreachable
.LBB112_99:
	s_delay_alu instid0(SALU_CYCLE_1)
	s_or_b32 exec_lo, exec_lo, s1
	s_and_saveexec_b32 s1, s9
	s_cbranch_execz .LBB112_105
; %bb.100:
	s_and_b32 exec_lo, exec_lo, s0
	s_cbranch_execz .LBB112_105
; %bb.101:
	v_dual_mov_b32 v1, 0 :: v_dual_bitop2_b32 v2, s2, v0 bitop3:0x54
	global_store_b32 v2, v1, s[16:17] scale_offset
	s_wait_xcnt 0x0
	s_and_b32 exec_lo, exec_lo, s40
	s_cbranch_execz .LBB112_105
; %bb.102:
	v_add_nc_u32_e32 v0, s2, v0
	global_store_b32 v0, v1, s[16:17] offset:1024 scale_offset
	s_wait_xcnt 0x0
	s_and_b32 exec_lo, exec_lo, s45
	s_cbranch_execz .LBB112_105
; %bb.103:
	v_lshl_add_u64 v[0:1], v[0:1], 2, s[16:17]
	v_mov_b32_e32 v2, 0
	global_store_b32 v[0:1], v2, off offset:2048
	s_wait_xcnt 0x0
	s_and_b32 exec_lo, exec_lo, s24
	s_cbranch_execz .LBB112_105
; %bb.104:
	global_store_b32 v[0:1], v2, off offset:3072
.LBB112_105:
	s_endpgm
.LBB112_106:
	s_or_b32 exec_lo, exec_lo, s37
	s_and_saveexec_b32 s0, s35
	s_cbranch_execnz .LBB112_69
.LBB112_107:
	s_or_b32 exec_lo, exec_lo, s0
	s_mov_b32 s0, 0
	s_and_saveexec_b32 s51, s36
	s_cbranch_execz .LBB112_70
.LBB112_108:
	v_mov_b64_e32 v[2:3], 0
	s_and_not1_b32 vcc_lo, exec_lo, s50
	s_cbranch_vccnz .LBB112_120
; %bb.109:
	s_wait_loadcnt 0x0
	v_dual_mov_b32 v2, v13 :: v_dual_ashrrev_i32 v3, 31, v13
	s_mov_b32 s35, 0
	v_mov_b32_e32 v6, 0
	s_lshl_b64 s[40:41], s[34:35], 3
	s_mov_b64 s[36:37], 0xffffffff
	v_mul_u64_e32 v[10:11], s[6:7], v[2:3]
	v_mov_b64_e32 v[2:3], 0
	s_add_nc_u64 s[38:39], s[10:11], s[40:41]
	s_add_nc_u64 s[40:41], s[12:13], s[40:41]
	s_branch .LBB112_111
.LBB112_110:                            ;   in Loop: Header=BB112_111 Depth=1
	s_or_b32 exec_lo, exec_lo, s0
	s_delay_alu instid0(VALU_DEP_1)
	v_mul_u64_e32 v[14:15], s[42:43], v[12:13]
	s_load_b64 s[42:43], s[40:41], 0x0
	s_add_co_i32 s53, s53, -1
	s_add_nc_u64 s[38:39], s[38:39], -8
	s_cmp_lg_u32 s53, 0
	s_wait_xcnt 0x0
	s_add_nc_u64 s[40:41], s[40:41], -8
	s_delay_alu instid0(VALU_DEP_1) | instskip(SKIP_1) | instid1(VALU_DEP_1)
	v_sub_nc_u64_e32 v[10:11], v[10:11], v[14:15]
	s_wait_kmcnt 0x0
	v_mad_nc_u64_u32 v[2:3], v10, s42, v[2:3]
	s_delay_alu instid0(VALU_DEP_1) | instskip(NEXT) | instid1(VALU_DEP_1)
	v_mad_u32 v1, v11, s42, v3
	v_mad_u32 v3, v10, s43, v1
	v_mov_b64_e32 v[10:11], v[12:13]
	s_cbranch_scc0 .LBB112_120
.LBB112_111:                            ; =>This Inner Loop Header: Depth=1
	s_load_b64 s[42:43], s[38:39], 0x0
                                        ; implicit-def: $vgpr12_vgpr13
	s_mov_b32 s0, exec_lo
	s_wait_kmcnt 0x0
	s_delay_alu instid0(VALU_DEP_1) | instskip(NEXT) | instid1(VALU_DEP_1)
	v_or_b32_e32 v7, s43, v11
	v_cmpx_ne_u64_e32 0, v[6:7]
	s_xor_b32 s50, exec_lo, s0
	s_cbranch_execz .LBB112_113
; %bb.112:                              ;   in Loop: Header=BB112_111 Depth=1
	s_ashr_i32 s44, s43, 31
	v_dual_mov_b32 v17, v6 :: v_dual_ashrrev_i32 v12, 31, v11
	s_mov_b32 s45, s44
	s_delay_alu instid0(SALU_CYCLE_1) | instskip(NEXT) | instid1(VALU_DEP_1)
	s_add_nc_u64 s[46:47], s[42:43], s[44:45]
	v_mov_b32_e32 v13, v12
	s_xor_b64 s[46:47], s[46:47], s[44:45]
	s_delay_alu instid0(SALU_CYCLE_1)
	s_cvt_f32_u32 s0, s46
	s_cvt_f32_u32 s34, s47
	s_sub_nc_u64 s[56:57], 0, s[46:47]
	v_add_nc_u64_e32 v[14:15], v[10:11], v[12:13]
	v_mov_b32_e32 v21, v6
	s_fmamk_f32 s0, s34, 0x4f800000, s0
	s_delay_alu instid0(SALU_CYCLE_3) | instskip(NEXT) | instid1(VALU_DEP_2)
	v_s_rcp_f32 s0, s0
	v_xor_b32_e32 v16, v14, v12
	s_delay_alu instid0(VALU_DEP_3) | instskip(NEXT) | instid1(TRANS32_DEP_1)
	v_dual_mov_b32 v25, v6 :: v_dual_bitop2_b32 v20, v15, v12 bitop3:0x14
	s_mul_f32 s0, s0, 0x5f7ffffc
	s_delay_alu instid0(SALU_CYCLE_3) | instskip(NEXT) | instid1(SALU_CYCLE_3)
	s_mul_f32 s34, s0, 0x2f800000
	s_trunc_f32 s34, s34
	s_delay_alu instid0(SALU_CYCLE_3) | instskip(SKIP_1) | instid1(SALU_CYCLE_2)
	s_fmamk_f32 s0, s34, 0xcf800000, s0
	s_cvt_u32_f32 s55, s34
	s_cvt_u32_f32 s54, s0
	s_delay_alu instid0(SALU_CYCLE_3) | instskip(NEXT) | instid1(SALU_CYCLE_1)
	s_mul_u64 s[58:59], s[56:57], s[54:55]
	s_mul_hi_u32 s61, s54, s59
	s_mul_i32 s60, s54, s59
	s_mul_hi_u32 s34, s54, s58
	s_mul_i32 s45, s55, s58
	s_add_nc_u64 s[60:61], s[34:35], s[60:61]
	s_mul_hi_u32 s0, s55, s58
	s_mul_hi_u32 s62, s55, s59
	s_add_co_u32 s34, s60, s45
	s_add_co_ci_u32 s34, s61, s0
	s_mul_i32 s58, s55, s59
	s_add_co_ci_u32 s59, s62, 0
	s_delay_alu instid0(SALU_CYCLE_1) | instskip(NEXT) | instid1(SALU_CYCLE_1)
	s_add_nc_u64 s[58:59], s[34:35], s[58:59]
	s_add_co_u32 s54, s54, s58
	s_cselect_b32 s0, -1, 0
	s_delay_alu instid0(SALU_CYCLE_1) | instskip(SKIP_1) | instid1(SALU_CYCLE_1)
	s_cmp_lg_u32 s0, 0
	s_add_co_ci_u32 s55, s55, s59
	s_mul_u64 s[56:57], s[56:57], s[54:55]
	s_delay_alu instid0(SALU_CYCLE_1)
	s_mul_hi_u32 s59, s54, s57
	s_mul_i32 s58, s54, s57
	s_mul_hi_u32 s34, s54, s56
	s_mul_i32 s45, s55, s56
	s_add_nc_u64 s[58:59], s[34:35], s[58:59]
	s_mul_hi_u32 s0, s55, s56
	s_mul_hi_u32 s60, s55, s57
	s_add_co_u32 s34, s58, s45
	s_add_co_ci_u32 s34, s59, s0
	s_mul_i32 s56, s55, s57
	s_add_co_ci_u32 s57, s60, 0
	s_delay_alu instid0(SALU_CYCLE_1) | instskip(NEXT) | instid1(SALU_CYCLE_1)
	s_add_nc_u64 s[56:57], s[34:35], s[56:57]
	s_add_co_u32 s0, s54, s56
	s_cselect_b32 s34, -1, 0
	v_mul_hi_u32 v24, v16, s0
	s_cmp_lg_u32 s34, 0
	s_add_co_ci_u32 s34, s55, s57
	s_and_b64 s[54:55], s[0:1], s[36:37]
	v_mul_u64_e32 v[18:19], s[34:35], v[16:17]
	v_mul_u64_e32 v[14:15], s[54:55], v[20:21]
	v_mul_u64_e32 v[22:23], s[34:35], v[20:21]
	s_delay_alu instid0(VALU_DEP_3) | instskip(NEXT) | instid1(VALU_DEP_1)
	v_add_nc_u64_e32 v[18:19], v[24:25], v[18:19]
	v_add_co_u32 v1, vcc_lo, v18, v14
	s_delay_alu instid0(VALU_DEP_2) | instskip(NEXT) | instid1(VALU_DEP_4)
	v_add_co_ci_u32_e32 v24, vcc_lo, v19, v15, vcc_lo
	v_add_co_ci_u32_e32 v23, vcc_lo, 0, v23, vcc_lo
	s_delay_alu instid0(VALU_DEP_1) | instskip(NEXT) | instid1(VALU_DEP_1)
	v_add_nc_u64_e32 v[14:15], v[24:25], v[22:23]
	v_mul_u64_e32 v[18:19], s[46:47], v[14:15]
	s_delay_alu instid0(VALU_DEP_1) | instskip(NEXT) | instid1(VALU_DEP_2)
	v_sub_nc_u32_e32 v1, v20, v19
	v_sub_co_u32 v4, vcc_lo, v16, v18
	s_delay_alu instid0(VALU_DEP_1) | instskip(NEXT) | instid1(VALU_DEP_3)
	v_sub_co_ci_u32_e64 v8, null, v20, v19, vcc_lo
	v_subrev_co_ci_u32_e64 v1, null, s47, v1, vcc_lo
	s_delay_alu instid0(VALU_DEP_3) | instskip(SKIP_1) | instid1(VALU_DEP_3)
	v_sub_co_u32 v7, s0, v4, s46
	v_add_nc_u64_e32 v[16:17], 2, v[14:15]
	v_subrev_co_ci_u32_e64 v1, null, 0, v1, s0
	s_delay_alu instid0(VALU_DEP_3) | instskip(SKIP_2) | instid1(VALU_DEP_4)
	v_cmp_le_u32_e32 vcc_lo, s46, v7
	v_add_nc_u64_e32 v[18:19], 1, v[14:15]
	v_cndmask_b32_e64 v7, 0, -1, vcc_lo
	v_cmp_le_u32_e32 vcc_lo, s47, v1
	v_cndmask_b32_e64 v13, 0, -1, vcc_lo
	v_cmp_le_u32_e32 vcc_lo, s46, v4
	v_cndmask_b32_e64 v4, 0, -1, vcc_lo
	v_cmp_le_u32_e32 vcc_lo, s47, v8
	v_cndmask_b32_e64 v20, 0, -1, vcc_lo
	v_cmp_eq_u32_e32 vcc_lo, s47, v1
	v_cndmask_b32_e32 v1, v13, v7, vcc_lo
	v_cmp_eq_u32_e32 vcc_lo, s47, v8
	s_delay_alu instid0(VALU_DEP_4) | instskip(NEXT) | instid1(VALU_DEP_3)
	v_cndmask_b32_e32 v4, v20, v4, vcc_lo
	v_cmp_ne_u32_e32 vcc_lo, 0, v1
	s_delay_alu instid0(VALU_DEP_2) | instskip(SKIP_1) | instid1(VALU_DEP_1)
	v_cmp_ne_u32_e64 s0, 0, v4
	v_dual_cndmask_b32 v1, v19, v17 :: v_dual_cndmask_b32 v4, v18, v16
	v_dual_cndmask_b32 v1, v15, v1, s0 :: v_dual_bitop2_b32 v12, s44, v12 bitop3:0x14
	s_delay_alu instid0(VALU_DEP_1) | instskip(NEXT) | instid1(VALU_DEP_2)
	v_dual_cndmask_b32 v4, v14, v4, s0 :: v_dual_mov_b32 v13, v12
	v_xor_b32_e32 v15, v1, v12
	s_delay_alu instid0(VALU_DEP_2) | instskip(NEXT) | instid1(VALU_DEP_1)
	v_xor_b32_e32 v14, v4, v12
	v_sub_nc_u64_e32 v[12:13], v[14:15], v[12:13]
.LBB112_113:                            ;   in Loop: Header=BB112_111 Depth=1
	s_and_not1_saveexec_b32 s0, s50
	s_cbranch_execz .LBB112_110
; %bb.114:                              ;   in Loop: Header=BB112_111 Depth=1
	v_cvt_f32_u32_e32 v1, s42
	s_sub_co_i32 s34, 0, s42
	v_mov_b32_e32 v13, v6
	s_delay_alu instid0(VALU_DEP_2) | instskip(SKIP_1) | instid1(TRANS32_DEP_1)
	v_rcp_iflag_f32_e32 v1, v1
	v_nop
	v_mul_f32_e32 v1, 0x4f7ffffe, v1
	s_delay_alu instid0(VALU_DEP_1) | instskip(NEXT) | instid1(VALU_DEP_1)
	v_cvt_u32_f32_e32 v1, v1
	v_mul_lo_u32 v4, s34, v1
	s_delay_alu instid0(VALU_DEP_1) | instskip(NEXT) | instid1(VALU_DEP_1)
	v_mul_hi_u32 v4, v1, v4
	v_add_nc_u32_e32 v1, v1, v4
	s_delay_alu instid0(VALU_DEP_1) | instskip(NEXT) | instid1(VALU_DEP_1)
	v_mul_hi_u32 v1, v10, v1
	v_mul_lo_u32 v4, v1, s42
	s_delay_alu instid0(VALU_DEP_1) | instskip(NEXT) | instid1(VALU_DEP_1)
	v_sub_nc_u32_e32 v4, v10, v4
	v_subrev_nc_u32_e32 v8, s42, v4
	v_cmp_le_u32_e32 vcc_lo, s42, v4
	s_delay_alu instid0(VALU_DEP_2) | instskip(NEXT) | instid1(VALU_DEP_1)
	v_dual_cndmask_b32 v4, v4, v8 :: v_dual_add_nc_u32 v7, 1, v1
	v_cndmask_b32_e32 v1, v1, v7, vcc_lo
	s_delay_alu instid0(VALU_DEP_2) | instskip(NEXT) | instid1(VALU_DEP_2)
	v_cmp_le_u32_e32 vcc_lo, s42, v4
	v_add_nc_u32_e32 v7, 1, v1
	s_delay_alu instid0(VALU_DEP_1)
	v_cndmask_b32_e32 v12, v1, v7, vcc_lo
	s_branch .LBB112_110
.LBB112_115:
	s_mov_b32 s21, -1
	s_mov_b32 s19, 0
	s_mov_b32 s1, exec_lo
	v_cmpx_gt_i32_e64 v20, v22
	s_cbranch_execz .LBB112_126
; %bb.116:
	s_wait_loadcnt 0x0
	s_delay_alu instid0(VALU_DEP_2) | instskip(SKIP_2) | instid1(VALU_DEP_1)
	v_lshlrev_b64_e32 v[24:25], 2, v[26:27]
	v_dual_ashrrev_i32 v23, 31, v22 :: v_dual_ashrrev_i32 v21, 31, v20
	s_xor_b32 s21, s36, -1
                                        ; implicit-def: $sgpr20
                                        ; implicit-def: $sgpr23
                                        ; implicit-def: $sgpr22
	v_lshl_add_u64 v[22:23], v[22:23], 2, v[24:25]
	v_add_nc_u64_e32 v[24:25], s[14:15], v[24:25]
	s_delay_alu instid0(VALU_DEP_2) | instskip(NEXT) | instid1(VALU_DEP_2)
	v_add_nc_u64_e32 v[22:23], s[14:15], v[22:23]
	v_lshl_add_u64 v[20:21], v[20:21], 2, v[24:25]
	s_delay_alu instid0(VALU_DEP_2)
	v_add_nc_u64_e32 v[22:23], 4, v[22:23]
	s_branch .LBB112_118
.LBB112_117:                            ;   in Loop: Header=BB112_118 Depth=1
	s_or_b32 exec_lo, exec_lo, s24
	s_delay_alu instid0(SALU_CYCLE_1) | instskip(NEXT) | instid1(SALU_CYCLE_1)
	s_and_b32 s24, exec_lo, s23
	s_or_b32 s19, s24, s19
	s_and_not1_b32 s20, s20, exec_lo
	s_and_b32 s24, s22, exec_lo
	s_delay_alu instid0(SALU_CYCLE_1)
	s_or_b32 s20, s20, s24
	s_and_not1_b32 exec_lo, exec_lo, s19
	s_cbranch_execz .LBB112_125
.LBB112_118:                            ; =>This Inner Loop Header: Depth=1
	s_or_b32 s22, s22, exec_lo
	s_or_b32 s23, s23, exec_lo
	s_mov_b32 s24, exec_lo
	s_delay_alu instid0(VALU_DEP_1)
	v_cmpx_lt_u64_e64 v[22:23], v[20:21]
	s_cbranch_execz .LBB112_117
; %bb.119:                              ;   in Loop: Header=BB112_118 Depth=1
	global_load_b64 v[24:25], v[22:23], off offset:-4
	s_wait_xcnt 0x0
	v_add_nc_u64_e32 v[22:23], 4, v[22:23]
	s_and_not1_b32 s23, s23, exec_lo
	s_and_not1_b32 s22, s22, exec_lo
	s_wait_loadcnt 0x0
	v_cmp_ge_i32_e32 vcc_lo, v24, v25
	s_or_b32 s25, s21, vcc_lo
	s_delay_alu instid0(SALU_CYCLE_1) | instskip(NEXT) | instid1(SALU_CYCLE_1)
	s_and_b32 s25, s25, exec_lo
	s_or_b32 s23, s23, s25
	s_branch .LBB112_117
.LBB112_120:
	s_mov_b32 s34, s52
	s_mov_b32 s0, exec_lo
	v_cmpx_gt_i32_e64 v5, v9
	s_cbranch_execz .LBB112_174
; %bb.121:
	s_delay_alu instid0(VALU_DEP_2)
	v_lshlrev_b64_e32 v[2:3], 2, v[2:3]
	v_dual_mov_b32 v6, v9 :: v_dual_ashrrev_i32 v7, 31, v9
	s_wait_loadcnt 0x0
	v_dual_mov_b32 v10, v5 :: v_dual_ashrrev_i32 v11, 31, v5
	s_mov_b32 s34, 0
	s_xor_b32 s36, s49, -1
	s_delay_alu instid0(VALU_DEP_3) | instskip(SKIP_1) | instid1(VALU_DEP_2)
	v_lshl_add_u64 v[6:7], v[6:7], 2, v[2:3]
	v_add_nc_u64_e32 v[8:9], s[14:15], v[2:3]
                                        ; implicit-def: $sgpr35
                                        ; implicit-def: $sgpr38
                                        ; implicit-def: $sgpr37
	v_add_nc_u64_e32 v[6:7], s[14:15], v[6:7]
	s_delay_alu instid0(VALU_DEP_2) | instskip(NEXT) | instid1(VALU_DEP_2)
	v_lshl_add_u64 v[4:5], v[10:11], 2, v[8:9]
	v_add_nc_u64_e32 v[2:3], 4, v[6:7]
	s_branch .LBB112_123
.LBB112_122:                            ;   in Loop: Header=BB112_123 Depth=1
	s_or_b32 exec_lo, exec_lo, s39
	s_xor_b32 s39, s37, -1
	s_and_b32 s40, exec_lo, s38
	s_delay_alu instid0(SALU_CYCLE_1) | instskip(SKIP_2) | instid1(SALU_CYCLE_1)
	s_or_b32 s34, s40, s34
	s_and_not1_b32 s35, s35, exec_lo
	s_and_b32 s39, s39, exec_lo
	s_or_b32 s35, s35, s39
	s_and_not1_b32 exec_lo, exec_lo, s34
	s_cbranch_execz .LBB112_173
.LBB112_123:                            ; =>This Inner Loop Header: Depth=1
	s_or_b32 s37, s37, exec_lo
	s_or_b32 s38, s38, exec_lo
	s_mov_b32 s39, exec_lo
	s_delay_alu instid0(VALU_DEP_1)
	v_cmpx_lt_u64_e64 v[2:3], v[4:5]
	s_cbranch_execz .LBB112_122
; %bb.124:                              ;   in Loop: Header=BB112_123 Depth=1
	global_load_b64 v[6:7], v[2:3], off offset:-4
	s_wait_xcnt 0x0
	v_add_nc_u64_e32 v[2:3], 4, v[2:3]
	s_and_not1_b32 s38, s38, exec_lo
	s_and_not1_b32 s37, s37, exec_lo
	s_wait_loadcnt 0x0
	v_cmp_ge_i32_e32 vcc_lo, v6, v7
	s_or_b32 s40, s36, vcc_lo
	s_delay_alu instid0(SALU_CYCLE_1) | instskip(NEXT) | instid1(SALU_CYCLE_1)
	s_and_b32 s40, s40, exec_lo
	s_or_b32 s38, s38, s40
	s_branch .LBB112_122
.LBB112_125:
	s_or_b32 exec_lo, exec_lo, s19
	s_delay_alu instid0(SALU_CYCLE_1)
	s_mov_b32 s19, exec_lo
	s_or_not1_b32 s21, s20, exec_lo
.LBB112_126:
	s_or_b32 exec_lo, exec_lo, s1
	s_delay_alu instid0(SALU_CYCLE_1)
	s_and_b32 s20, s19, exec_lo
	s_xor_b32 s19, exec_lo, -1
	s_and_b32 s1, s21, exec_lo
.LBB112_127:
	s_or_b32 exec_lo, exec_lo, s43
	s_delay_alu instid0(SALU_CYCLE_1)
	s_and_b32 s21, s20, exec_lo
	s_and_b32 s20, s19, exec_lo
	s_xor_b32 s19, exec_lo, -1
	s_and_b32 s1, s1, exec_lo
.LBB112_128:
	s_or_b32 exec_lo, exec_lo, s41
	s_delay_alu instid0(SALU_CYCLE_1)
	s_and_b32 s22, s21, exec_lo
	s_and_b32 s21, s20, exec_lo
	;; [unrolled: 1-line block ×3, first 2 shown]
	s_xor_b32 s19, exec_lo, -1
	s_and_b32 s1, s1, exec_lo
.LBB112_129:
	s_or_b32 exec_lo, exec_lo, s40
	s_delay_alu instid0(SALU_CYCLE_1)
	s_and_b32 s41, s22, exec_lo
	s_and_b32 s43, s21, exec_lo
	;; [unrolled: 1-line block ×4, first 2 shown]
	s_or_not1_b32 s1, s1, exec_lo
.LBB112_130:
	s_or_b32 exec_lo, exec_lo, s9
	s_mov_b32 s9, 0
                                        ; implicit-def: $sgpr40
                                        ; implicit-def: $sgpr45
                                        ; implicit-def: $sgpr24
	s_and_saveexec_b32 s47, s1
	s_cbranch_execz .LBB112_142
; %bb.131:
	v_cmp_gt_i32_e64 s40, s5, v15
	s_mov_b32 s1, -1
	s_mov_b32 s52, 0
	s_mov_b32 s48, s46
	s_mov_b32 s50, s44
	s_mov_b32 s49, s43
	s_and_saveexec_b32 s45, s40
	s_cbranch_execz .LBB112_181
; %bb.132:
	s_wait_loadcnt 0x4
	v_cmp_eq_u32_e32 vcc_lo, s33, v19
	s_mov_b32 s19, -1
	s_mov_b32 s1, 0
	s_mov_b32 s21, s44
	;; [unrolled: 1-line block ×3, first 2 shown]
	s_and_b32 s23, s42, vcc_lo
	s_mov_b32 s20, 0
	s_and_saveexec_b32 s9, s23
	s_cbranch_execz .LBB112_180
; %bb.133:
	s_wait_loadcnt 0x3
	v_cmp_eq_u32_e32 vcc_lo, s6, v17
	s_mov_b32 s21, s43
	s_and_b32 s22, s39, vcc_lo
	s_delay_alu instid0(SALU_CYCLE_1)
	s_and_saveexec_b32 s48, s22
	s_cbranch_execz .LBB112_179
; %bb.134:
	s_wait_loadcnt 0x1
	v_sub_nc_u32_e32 v5, v14, v16
	s_delay_alu instid0(VALU_DEP_1)
	v_cmp_le_i32_e32 vcc_lo, s33, v5
	v_cmp_ge_i32_e64 s1, s4, v5
	s_and_b32 s20, vcc_lo, s1
	s_mov_b32 s1, 0
	s_and_b32 s21, s38, s20
	s_mov_b32 s20, 0
	s_and_saveexec_b32 s49, s21
	s_cbranch_execz .LBB112_178
; %bb.135:
	v_mov_b64_e32 v[20:21], 0
	s_and_not1_b32 vcc_lo, exec_lo, s37
	s_cbranch_vccnz .LBB112_168
; %bb.136:
	s_wait_loadcnt 0x0
	v_ashrrev_i32_e32 v19, 31, v18
	s_mov_b32 s21, 0
	v_mov_b64_e32 v[20:21], 0
	s_mov_b32 s19, s21
	s_mov_b64 s[22:23], 0xffffffff
	v_mul_u64_e32 v[22:23], s[6:7], v[18:19]
	v_mov_b32_e32 v18, 0
	s_lshl_b64 s[26:27], s[18:19], 3
	s_mov_b32 s19, s8
	s_add_nc_u64 s[24:25], s[10:11], s[26:27]
	s_add_nc_u64 s[26:27], s[12:13], s[26:27]
	s_branch .LBB112_138
.LBB112_137:                            ;   in Loop: Header=BB112_138 Depth=1
	s_or_b32 exec_lo, exec_lo, s1
	s_delay_alu instid0(VALU_DEP_1)
	v_mul_u64_e32 v[26:27], s[28:29], v[24:25]
	s_load_b64 s[28:29], s[26:27], 0x0
	s_add_co_i32 s19, s19, -1
	s_add_nc_u64 s[24:25], s[24:25], -8
	s_cmp_lg_u32 s19, 0
	s_wait_xcnt 0x0
	s_add_nc_u64 s[26:27], s[26:27], -8
	s_delay_alu instid0(VALU_DEP_1) | instskip(SKIP_1) | instid1(VALU_DEP_1)
	v_sub_nc_u64_e32 v[22:23], v[22:23], v[26:27]
	s_wait_kmcnt 0x0
	v_mad_nc_u64_u32 v[20:21], v22, s28, v[20:21]
	s_delay_alu instid0(VALU_DEP_1) | instskip(NEXT) | instid1(VALU_DEP_1)
	v_mad_u32 v5, v23, s28, v21
	v_mad_u32 v21, v22, s29, v5
	v_mov_b64_e32 v[22:23], v[24:25]
	s_cbranch_scc0 .LBB112_168
.LBB112_138:                            ; =>This Inner Loop Header: Depth=1
	s_load_b64 s[28:29], s[24:25], 0x0
                                        ; implicit-def: $vgpr24_vgpr25
	s_mov_b32 s1, exec_lo
	s_wait_kmcnt 0x0
	s_delay_alu instid0(VALU_DEP_1) | instskip(NEXT) | instid1(VALU_DEP_1)
	v_or_b32_e32 v19, s29, v23
	v_cmpx_ne_u64_e32 0, v[18:19]
	s_xor_b32 s50, exec_lo, s1
	s_cbranch_execz .LBB112_140
; %bb.139:                              ;   in Loop: Header=BB112_138 Depth=1
	s_ashr_i32 s30, s29, 31
	v_dual_mov_b32 v29, v18 :: v_dual_ashrrev_i32 v24, 31, v23
	s_mov_b32 s31, s30
	s_delay_alu instid0(SALU_CYCLE_1) | instskip(NEXT) | instid1(VALU_DEP_1)
	s_add_nc_u64 s[34:35], s[28:29], s[30:31]
	v_mov_b32_e32 v25, v24
	s_xor_b64 s[34:35], s[34:35], s[30:31]
	s_delay_alu instid0(SALU_CYCLE_1)
	s_cvt_f32_u32 s1, s34
	s_cvt_f32_u32 s20, s35
	s_sub_nc_u64 s[56:57], 0, s[34:35]
	v_add_nc_u64_e32 v[26:27], v[22:23], v[24:25]
	v_mov_b32_e32 v33, v18
	s_fmamk_f32 s1, s20, 0x4f800000, s1
	s_delay_alu instid0(SALU_CYCLE_3) | instskip(NEXT) | instid1(VALU_DEP_2)
	v_s_rcp_f32 s1, s1
	v_xor_b32_e32 v28, v26, v24
	s_delay_alu instid0(VALU_DEP_3) | instskip(NEXT) | instid1(TRANS32_DEP_1)
	v_dual_mov_b32 v37, v18 :: v_dual_bitop2_b32 v32, v27, v24 bitop3:0x14
	s_mul_f32 s1, s1, 0x5f7ffffc
	s_delay_alu instid0(SALU_CYCLE_3) | instskip(NEXT) | instid1(SALU_CYCLE_3)
	s_mul_f32 s20, s1, 0x2f800000
	s_trunc_f32 s20, s20
	s_delay_alu instid0(SALU_CYCLE_3) | instskip(SKIP_1) | instid1(SALU_CYCLE_2)
	s_fmamk_f32 s1, s20, 0xcf800000, s1
	s_cvt_u32_f32 s55, s20
	s_cvt_u32_f32 s54, s1
	s_delay_alu instid0(SALU_CYCLE_3) | instskip(NEXT) | instid1(SALU_CYCLE_1)
	s_mul_u64 s[58:59], s[56:57], s[54:55]
	s_mul_hi_u32 s61, s54, s59
	s_mul_i32 s60, s54, s59
	s_mul_hi_u32 s20, s54, s58
	s_mul_i32 s31, s55, s58
	s_add_nc_u64 s[60:61], s[20:21], s[60:61]
	s_mul_hi_u32 s1, s55, s58
	s_mul_hi_u32 s51, s55, s59
	s_add_co_u32 s20, s60, s31
	s_add_co_ci_u32 s20, s61, s1
	s_mul_i32 s58, s55, s59
	s_add_co_ci_u32 s59, s51, 0
	s_delay_alu instid0(SALU_CYCLE_1) | instskip(NEXT) | instid1(SALU_CYCLE_1)
	s_add_nc_u64 s[58:59], s[20:21], s[58:59]
	s_add_co_u32 s54, s54, s58
	s_cselect_b32 s1, -1, 0
	s_delay_alu instid0(SALU_CYCLE_1) | instskip(SKIP_1) | instid1(SALU_CYCLE_1)
	s_cmp_lg_u32 s1, 0
	s_add_co_ci_u32 s55, s55, s59
	s_mul_u64 s[56:57], s[56:57], s[54:55]
	s_delay_alu instid0(SALU_CYCLE_1)
	s_mul_hi_u32 s59, s54, s57
	s_mul_i32 s58, s54, s57
	s_mul_hi_u32 s20, s54, s56
	s_mul_i32 s31, s55, s56
	s_add_nc_u64 s[58:59], s[20:21], s[58:59]
	s_mul_hi_u32 s1, s55, s56
	s_mul_hi_u32 s51, s55, s57
	s_add_co_u32 s20, s58, s31
	s_add_co_ci_u32 s20, s59, s1
	s_mul_i32 s56, s55, s57
	s_add_co_ci_u32 s57, s51, 0
	s_delay_alu instid0(SALU_CYCLE_1) | instskip(NEXT) | instid1(SALU_CYCLE_1)
	s_add_nc_u64 s[56:57], s[20:21], s[56:57]
	s_add_co_u32 s54, s54, s56
	s_cselect_b32 s1, -1, 0
	v_mul_hi_u32 v36, v28, s54
	s_cmp_lg_u32 s1, 0
	s_add_co_ci_u32 s20, s55, s57
	s_and_b64 s[56:57], s[54:55], s[22:23]
	v_mul_u64_e32 v[30:31], s[20:21], v[28:29]
	v_mul_u64_e32 v[26:27], s[56:57], v[32:33]
	;; [unrolled: 1-line block ×3, first 2 shown]
	s_delay_alu instid0(VALU_DEP_3) | instskip(NEXT) | instid1(VALU_DEP_1)
	v_add_nc_u64_e32 v[30:31], v[36:37], v[30:31]
	v_add_co_u32 v5, vcc_lo, v30, v26
	s_delay_alu instid0(VALU_DEP_2) | instskip(NEXT) | instid1(VALU_DEP_4)
	v_add_co_ci_u32_e32 v36, vcc_lo, v31, v27, vcc_lo
	v_add_co_ci_u32_e32 v35, vcc_lo, 0, v35, vcc_lo
	s_delay_alu instid0(VALU_DEP_1) | instskip(NEXT) | instid1(VALU_DEP_1)
	v_add_nc_u64_e32 v[26:27], v[36:37], v[34:35]
	v_mul_u64_e32 v[30:31], s[34:35], v[26:27]
	s_delay_alu instid0(VALU_DEP_1) | instskip(NEXT) | instid1(VALU_DEP_2)
	v_sub_nc_u32_e32 v5, v32, v31
	v_sub_co_u32 v12, vcc_lo, v28, v30
	s_delay_alu instid0(VALU_DEP_1) | instskip(NEXT) | instid1(VALU_DEP_3)
	v_sub_co_ci_u32_e64 v17, null, v32, v31, vcc_lo
	v_subrev_co_ci_u32_e64 v5, null, s35, v5, vcc_lo
	s_delay_alu instid0(VALU_DEP_3) | instskip(SKIP_1) | instid1(VALU_DEP_3)
	v_sub_co_u32 v15, s1, v12, s34
	v_add_nc_u64_e32 v[28:29], 2, v[26:27]
	v_subrev_co_ci_u32_e64 v5, null, 0, v5, s1
	s_delay_alu instid0(VALU_DEP_3) | instskip(SKIP_2) | instid1(VALU_DEP_4)
	v_cmp_le_u32_e32 vcc_lo, s34, v15
	v_add_nc_u64_e32 v[30:31], 1, v[26:27]
	v_cndmask_b32_e64 v15, 0, -1, vcc_lo
	v_cmp_le_u32_e32 vcc_lo, s35, v5
	v_cndmask_b32_e64 v19, 0, -1, vcc_lo
	v_cmp_le_u32_e32 vcc_lo, s34, v12
	;; [unrolled: 2-line block ×3, first 2 shown]
	v_cndmask_b32_e64 v25, 0, -1, vcc_lo
	v_cmp_eq_u32_e32 vcc_lo, s35, v5
	v_cndmask_b32_e32 v5, v19, v15, vcc_lo
	v_cmp_eq_u32_e32 vcc_lo, s35, v17
	s_delay_alu instid0(VALU_DEP_4) | instskip(NEXT) | instid1(VALU_DEP_3)
	v_cndmask_b32_e32 v12, v25, v12, vcc_lo
	v_cmp_ne_u32_e32 vcc_lo, 0, v5
	s_delay_alu instid0(VALU_DEP_2) | instskip(SKIP_1) | instid1(VALU_DEP_1)
	v_cmp_ne_u32_e64 s1, 0, v12
	v_dual_cndmask_b32 v5, v31, v29 :: v_dual_cndmask_b32 v12, v30, v28
	v_dual_cndmask_b32 v5, v27, v5, s1 :: v_dual_bitop2_b32 v24, s30, v24 bitop3:0x14
	s_delay_alu instid0(VALU_DEP_1) | instskip(NEXT) | instid1(VALU_DEP_2)
	v_dual_cndmask_b32 v12, v26, v12, s1 :: v_dual_mov_b32 v25, v24
	v_xor_b32_e32 v27, v5, v24
	s_delay_alu instid0(VALU_DEP_2) | instskip(NEXT) | instid1(VALU_DEP_1)
	v_xor_b32_e32 v26, v12, v24
	v_sub_nc_u64_e32 v[24:25], v[26:27], v[24:25]
.LBB112_140:                            ;   in Loop: Header=BB112_138 Depth=1
	s_and_not1_saveexec_b32 s1, s50
	s_cbranch_execz .LBB112_137
; %bb.141:                              ;   in Loop: Header=BB112_138 Depth=1
	v_cvt_f32_u32_e32 v5, s28
	s_sub_co_i32 s20, 0, s28
	v_mov_b32_e32 v25, v18
	s_delay_alu instid0(VALU_DEP_2) | instskip(SKIP_1) | instid1(TRANS32_DEP_1)
	v_rcp_iflag_f32_e32 v5, v5
	v_nop
	v_mul_f32_e32 v5, 0x4f7ffffe, v5
	s_delay_alu instid0(VALU_DEP_1) | instskip(NEXT) | instid1(VALU_DEP_1)
	v_cvt_u32_f32_e32 v5, v5
	v_mul_lo_u32 v12, s20, v5
	s_delay_alu instid0(VALU_DEP_1) | instskip(NEXT) | instid1(VALU_DEP_1)
	v_mul_hi_u32 v12, v5, v12
	v_add_nc_u32_e32 v5, v5, v12
	s_delay_alu instid0(VALU_DEP_1) | instskip(NEXT) | instid1(VALU_DEP_1)
	v_mul_hi_u32 v5, v22, v5
	v_mul_lo_u32 v12, v5, s28
	s_delay_alu instid0(VALU_DEP_1) | instskip(NEXT) | instid1(VALU_DEP_1)
	v_dual_add_nc_u32 v15, 1, v5 :: v_dual_sub_nc_u32 v12, v22, v12
	v_subrev_nc_u32_e32 v17, s28, v12
	v_cmp_le_u32_e32 vcc_lo, s28, v12
	s_delay_alu instid0(VALU_DEP_2) | instskip(NEXT) | instid1(VALU_DEP_1)
	v_dual_cndmask_b32 v12, v12, v17 :: v_dual_cndmask_b32 v5, v5, v15
	v_cmp_le_u32_e32 vcc_lo, s28, v12
	s_delay_alu instid0(VALU_DEP_2) | instskip(NEXT) | instid1(VALU_DEP_1)
	v_add_nc_u32_e32 v15, 1, v5
	v_cndmask_b32_e32 v24, v5, v15, vcc_lo
	s_branch .LBB112_137
.LBB112_142:
	s_or_b32 exec_lo, exec_lo, s47
	s_and_saveexec_b32 s1, s46
	s_cbranch_execnz .LBB112_209
.LBB112_143:
	s_or_b32 exec_lo, exec_lo, s1
	s_mov_b32 s1, 0
	s_and_saveexec_b32 s5, s48
	s_delay_alu instid0(SALU_CYCLE_1)
	s_xor_b32 s5, exec_lo, s5
; %bb.144:
	v_cmp_ne_u32_e32 vcc_lo, s6, v1
	s_xor_b32 s19, s39, -1
	s_and_not1_b32 s20, s44, exec_lo
	s_mov_b32 s1, exec_lo
	s_or_b32 s19, s19, vcc_lo
	s_delay_alu instid0(SALU_CYCLE_1) | instskip(NEXT) | instid1(SALU_CYCLE_1)
	s_and_b32 s19, s19, exec_lo
	s_or_b32 s44, s20, s19
; %bb.145:
	s_or_b32 exec_lo, exec_lo, s5
	s_and_saveexec_b32 s5, s44
	s_cbranch_execnz .LBB112_211
.LBB112_146:
	s_or_b32 exec_lo, exec_lo, s5
	s_mov_b32 s5, 0
	s_and_saveexec_b32 s19, s1
	s_delay_alu instid0(SALU_CYCLE_1)
	s_xor_b32 s19, exec_lo, s19
	s_cbranch_execz .LBB112_151
; %bb.147:
	v_sub_nc_u32_e32 v1, v4, v2
	s_mov_b32 s5, exec_lo
	s_delay_alu instid0(VALU_DEP_1) | instskip(SKIP_3) | instid1(SALU_CYCLE_1)
	v_cmp_le_i32_e32 vcc_lo, s33, v1
	v_cmp_ge_i32_e64 s1, s4, v1
	s_and_not1_b32 s4, s43, exec_lo
	s_and_b32 s1, vcc_lo, s1
	s_and_b32 s1, s38, s1
	s_delay_alu instid0(SALU_CYCLE_1) | instskip(NEXT) | instid1(SALU_CYCLE_1)
	s_xor_b32 s1, s1, -1
	s_and_b32 s1, s1, exec_lo
	s_delay_alu instid0(SALU_CYCLE_1)
	s_or_b32 s43, s4, s1
	s_or_b32 exec_lo, exec_lo, s19
	s_and_saveexec_b32 s1, s43
	s_cbranch_execz .LBB112_152
.LBB112_148:
	s_or_b32 s3, s3, exec_lo
	s_and_not1_b32 s5, s5, exec_lo
	s_trap 2
	s_or_b32 exec_lo, exec_lo, s1
	s_and_saveexec_b32 s25, s5
	s_cbranch_execnz .LBB112_153
.LBB112_149:
	s_or_b32 exec_lo, exec_lo, s25
	s_and_saveexec_b32 s1, s41
	s_cbranch_execnz .LBB112_167
.LBB112_150:
	s_or_b32 exec_lo, exec_lo, s1
	s_and_saveexec_b32 s1, s3
	s_cbranch_execnz .LBB112_98
	s_branch .LBB112_99
.LBB112_151:
	s_or_b32 exec_lo, exec_lo, s19
	s_and_saveexec_b32 s1, s43
	s_cbranch_execnz .LBB112_148
.LBB112_152:
	s_or_b32 exec_lo, exec_lo, s1
	s_and_saveexec_b32 s25, s5
	s_cbranch_execz .LBB112_149
.LBB112_153:
	v_mov_b64_e32 v[8:9], 0
	s_and_not1_b32 vcc_lo, exec_lo, s37
	s_cbranch_vccnz .LBB112_160
; %bb.154:
	v_mul_u64_e32 v[10:11], s[6:7], v[6:7]
	v_mov_b64_e32 v[8:9], 0
	s_mov_b32 s19, 0
	v_mov_b32_e32 v6, 0
	s_lshl_b64 s[20:21], s[18:19], 3
	s_mov_b64 s[4:5], 0xffffffff
	s_add_nc_u64 s[6:7], s[10:11], s[20:21]
	s_add_nc_u64 s[10:11], s[12:13], s[20:21]
	s_branch .LBB112_156
.LBB112_155:                            ;   in Loop: Header=BB112_156 Depth=1
	s_or_b32 exec_lo, exec_lo, s1
	s_wait_loadcnt 0x1
	s_delay_alu instid0(VALU_DEP_1)
	v_mul_u64_e32 v[14:15], s[12:13], v[12:13]
	s_load_b64 s[12:13], s[10:11], 0x0
	s_add_co_i32 s8, s8, -1
	s_add_nc_u64 s[6:7], s[6:7], -8
	s_cmp_lg_u32 s8, 0
	s_wait_xcnt 0x0
	s_add_nc_u64 s[10:11], s[10:11], -8
	s_delay_alu instid0(VALU_DEP_1) | instskip(SKIP_1) | instid1(VALU_DEP_1)
	v_sub_nc_u64_e32 v[10:11], v[10:11], v[14:15]
	s_wait_kmcnt 0x0
	v_mad_nc_u64_u32 v[8:9], v10, s12, v[8:9]
	s_delay_alu instid0(VALU_DEP_1) | instskip(NEXT) | instid1(VALU_DEP_1)
	v_mad_u32 v1, v11, s12, v9
	v_mad_u32 v9, v10, s13, v1
	v_mov_b64_e32 v[10:11], v[12:13]
	s_cbranch_scc0 .LBB112_160
.LBB112_156:                            ; =>This Inner Loop Header: Depth=1
	s_load_b64 s[12:13], s[6:7], 0x0
                                        ; implicit-def: $vgpr12_vgpr13
	s_mov_b32 s1, exec_lo
	s_wait_kmcnt 0x0
	s_delay_alu instid0(VALU_DEP_1) | instskip(NEXT) | instid1(VALU_DEP_1)
	v_or_b32_e32 v7, s13, v11
	v_cmpx_ne_u64_e32 0, v[6:7]
	s_xor_b32 s26, exec_lo, s1
	s_cbranch_execz .LBB112_158
; %bb.157:                              ;   in Loop: Header=BB112_156 Depth=1
	s_ashr_i32 s20, s13, 31
	s_wait_loadcnt 0x3
	v_dual_mov_b32 v17, v6 :: v_dual_ashrrev_i32 v12, 31, v11
	s_mov_b32 s21, s20
	s_delay_alu instid0(SALU_CYCLE_1) | instskip(NEXT) | instid1(VALU_DEP_1)
	s_add_nc_u64 s[22:23], s[12:13], s[20:21]
	v_mov_b32_e32 v13, v12
	s_xor_b64 s[22:23], s[22:23], s[20:21]
	s_delay_alu instid0(SALU_CYCLE_1)
	s_cvt_f32_u32 s1, s22
	s_cvt_f32_u32 s18, s23
	s_sub_nc_u64 s[30:31], 0, s[22:23]
	s_wait_loadcnt 0x1
	v_add_nc_u64_e32 v[14:15], v[10:11], v[12:13]
	v_mov_b32_e32 v21, v6
	s_fmamk_f32 s1, s18, 0x4f800000, s1
	s_delay_alu instid0(SALU_CYCLE_3) | instskip(NEXT) | instid1(VALU_DEP_2)
	v_s_rcp_f32 s1, s1
	v_xor_b32_e32 v16, v14, v12
	s_delay_alu instid0(VALU_DEP_3) | instskip(NEXT) | instid1(TRANS32_DEP_1)
	v_dual_mov_b32 v25, v6 :: v_dual_bitop2_b32 v20, v15, v12 bitop3:0x14
	s_mul_f32 s1, s1, 0x5f7ffffc
	s_delay_alu instid0(SALU_CYCLE_3) | instskip(NEXT) | instid1(SALU_CYCLE_3)
	s_mul_f32 s18, s1, 0x2f800000
	s_trunc_f32 s18, s18
	s_delay_alu instid0(SALU_CYCLE_3) | instskip(SKIP_1) | instid1(SALU_CYCLE_2)
	s_fmamk_f32 s1, s18, 0xcf800000, s1
	s_cvt_u32_f32 s29, s18
	s_cvt_u32_f32 s28, s1
	s_delay_alu instid0(SALU_CYCLE_3) | instskip(NEXT) | instid1(SALU_CYCLE_1)
	s_mul_u64 s[34:35], s[30:31], s[28:29]
	s_mul_hi_u32 s39, s28, s35
	s_mul_i32 s38, s28, s35
	s_mul_hi_u32 s18, s28, s34
	s_mul_i32 s21, s29, s34
	s_add_nc_u64 s[38:39], s[18:19], s[38:39]
	s_mul_hi_u32 s1, s29, s34
	s_mul_hi_u32 s27, s29, s35
	s_add_co_u32 s18, s38, s21
	s_add_co_ci_u32 s18, s39, s1
	s_mul_i32 s34, s29, s35
	s_add_co_ci_u32 s35, s27, 0
	s_delay_alu instid0(SALU_CYCLE_1) | instskip(NEXT) | instid1(SALU_CYCLE_1)
	s_add_nc_u64 s[34:35], s[18:19], s[34:35]
	s_add_co_u32 s28, s28, s34
	s_cselect_b32 s1, -1, 0
	s_delay_alu instid0(SALU_CYCLE_1) | instskip(SKIP_1) | instid1(SALU_CYCLE_1)
	s_cmp_lg_u32 s1, 0
	s_add_co_ci_u32 s29, s29, s35
	s_mul_u64 s[30:31], s[30:31], s[28:29]
	s_delay_alu instid0(SALU_CYCLE_1)
	s_mul_hi_u32 s35, s28, s31
	s_mul_i32 s34, s28, s31
	s_mul_hi_u32 s18, s28, s30
	s_mul_i32 s21, s29, s30
	s_add_nc_u64 s[34:35], s[18:19], s[34:35]
	s_mul_hi_u32 s1, s29, s30
	s_mul_hi_u32 s27, s29, s31
	s_add_co_u32 s18, s34, s21
	s_add_co_ci_u32 s18, s35, s1
	s_mul_i32 s30, s29, s31
	s_add_co_ci_u32 s31, s27, 0
	s_delay_alu instid0(SALU_CYCLE_1) | instskip(NEXT) | instid1(SALU_CYCLE_1)
	s_add_nc_u64 s[30:31], s[18:19], s[30:31]
	s_add_co_u32 s28, s28, s30
	s_cselect_b32 s1, -1, 0
	s_wait_loadcnt 0x0
	v_mul_hi_u32 v24, v16, s28
	s_cmp_lg_u32 s1, 0
	s_add_co_ci_u32 s18, s29, s31
	s_and_b64 s[30:31], s[28:29], s[4:5]
	v_mul_u64_e32 v[18:19], s[18:19], v[16:17]
	v_mul_u64_e32 v[14:15], s[30:31], v[20:21]
	;; [unrolled: 1-line block ×3, first 2 shown]
	s_delay_alu instid0(VALU_DEP_3) | instskip(NEXT) | instid1(VALU_DEP_1)
	v_add_nc_u64_e32 v[18:19], v[24:25], v[18:19]
	v_add_co_u32 v1, vcc_lo, v18, v14
	s_delay_alu instid0(VALU_DEP_2) | instskip(NEXT) | instid1(VALU_DEP_4)
	v_add_co_ci_u32_e32 v24, vcc_lo, v19, v15, vcc_lo
	v_add_co_ci_u32_e32 v23, vcc_lo, 0, v23, vcc_lo
	s_delay_alu instid0(VALU_DEP_1) | instskip(NEXT) | instid1(VALU_DEP_1)
	v_add_nc_u64_e32 v[14:15], v[24:25], v[22:23]
	v_mul_u64_e32 v[18:19], s[22:23], v[14:15]
	s_delay_alu instid0(VALU_DEP_1) | instskip(NEXT) | instid1(VALU_DEP_2)
	v_sub_nc_u32_e32 v1, v20, v19
	v_sub_co_u32 v3, vcc_lo, v16, v18
	s_delay_alu instid0(VALU_DEP_1) | instskip(NEXT) | instid1(VALU_DEP_3)
	v_sub_co_ci_u32_e64 v7, null, v20, v19, vcc_lo
	v_subrev_co_ci_u32_e64 v1, null, s23, v1, vcc_lo
	s_delay_alu instid0(VALU_DEP_3) | instskip(SKIP_1) | instid1(VALU_DEP_3)
	v_sub_co_u32 v5, s1, v3, s22
	v_add_nc_u64_e32 v[16:17], 2, v[14:15]
	v_subrev_co_ci_u32_e64 v1, null, 0, v1, s1
	s_delay_alu instid0(VALU_DEP_3) | instskip(SKIP_2) | instid1(VALU_DEP_4)
	v_cmp_le_u32_e32 vcc_lo, s22, v5
	v_add_nc_u64_e32 v[18:19], 1, v[14:15]
	v_cndmask_b32_e64 v5, 0, -1, vcc_lo
	v_cmp_le_u32_e32 vcc_lo, s23, v1
	v_cndmask_b32_e64 v13, 0, -1, vcc_lo
	v_cmp_le_u32_e32 vcc_lo, s22, v3
	;; [unrolled: 2-line block ×3, first 2 shown]
	v_cndmask_b32_e64 v20, 0, -1, vcc_lo
	v_cmp_eq_u32_e32 vcc_lo, s23, v1
	v_cndmask_b32_e32 v1, v13, v5, vcc_lo
	v_cmp_eq_u32_e32 vcc_lo, s23, v7
	s_delay_alu instid0(VALU_DEP_4) | instskip(NEXT) | instid1(VALU_DEP_3)
	v_cndmask_b32_e32 v3, v20, v3, vcc_lo
	v_cmp_ne_u32_e32 vcc_lo, 0, v1
	s_delay_alu instid0(VALU_DEP_2) | instskip(SKIP_1) | instid1(VALU_DEP_1)
	v_cmp_ne_u32_e64 s1, 0, v3
	v_dual_cndmask_b32 v1, v19, v17, vcc_lo :: v_dual_cndmask_b32 v3, v18, v16, vcc_lo
	v_dual_cndmask_b32 v1, v15, v1, s1 :: v_dual_bitop2_b32 v12, s20, v12 bitop3:0x14
	s_delay_alu instid0(VALU_DEP_1) | instskip(NEXT) | instid1(VALU_DEP_2)
	v_dual_cndmask_b32 v3, v14, v3, s1 :: v_dual_mov_b32 v13, v12
	v_xor_b32_e32 v15, v1, v12
	s_delay_alu instid0(VALU_DEP_2) | instskip(NEXT) | instid1(VALU_DEP_1)
	v_xor_b32_e32 v14, v3, v12
	v_sub_nc_u64_e32 v[12:13], v[14:15], v[12:13]
.LBB112_158:                            ;   in Loop: Header=BB112_156 Depth=1
	s_and_not1_saveexec_b32 s1, s26
	s_cbranch_execz .LBB112_155
; %bb.159:                              ;   in Loop: Header=BB112_156 Depth=1
	v_cvt_f32_u32_e32 v1, s12
	s_sub_co_i32 s18, 0, s12
	v_mov_b32_e32 v13, v6
	s_delay_alu instid0(VALU_DEP_2) | instskip(SKIP_1) | instid1(TRANS32_DEP_1)
	v_rcp_iflag_f32_e32 v1, v1
	v_nop
	v_mul_f32_e32 v1, 0x4f7ffffe, v1
	s_delay_alu instid0(VALU_DEP_1) | instskip(NEXT) | instid1(VALU_DEP_1)
	v_cvt_u32_f32_e32 v1, v1
	v_mul_lo_u32 v3, s18, v1
	s_delay_alu instid0(VALU_DEP_1) | instskip(NEXT) | instid1(VALU_DEP_1)
	v_mul_hi_u32 v3, v1, v3
	v_add_nc_u32_e32 v1, v1, v3
	s_delay_alu instid0(VALU_DEP_1) | instskip(NEXT) | instid1(VALU_DEP_1)
	v_mul_hi_u32 v1, v10, v1
	v_mul_lo_u32 v3, v1, s12
	s_delay_alu instid0(VALU_DEP_1) | instskip(NEXT) | instid1(VALU_DEP_1)
	v_sub_nc_u32_e32 v3, v10, v3
	v_subrev_nc_u32_e32 v7, s12, v3
	v_cmp_le_u32_e32 vcc_lo, s12, v3
	s_delay_alu instid0(VALU_DEP_2) | instskip(NEXT) | instid1(VALU_DEP_1)
	v_dual_add_nc_u32 v5, 1, v1 :: v_dual_cndmask_b32 v3, v3, v7, vcc_lo
	v_cndmask_b32_e32 v1, v1, v5, vcc_lo
	s_delay_alu instid0(VALU_DEP_2) | instskip(NEXT) | instid1(VALU_DEP_2)
	v_cmp_le_u32_e32 vcc_lo, s12, v3
	v_add_nc_u32_e32 v5, 1, v1
	s_delay_alu instid0(VALU_DEP_1)
	v_cndmask_b32_e32 v12, v1, v5, vcc_lo
	s_branch .LBB112_155
.LBB112_160:
	s_mov_b32 s4, s41
	s_mov_b32 s1, exec_lo
	v_cmpx_gt_i32_e64 v4, v2
	s_cbranch_execz .LBB112_166
; %bb.161:
	s_delay_alu instid0(VALU_DEP_2) | instskip(SKIP_3) | instid1(VALU_DEP_1)
	v_lshlrev_b64_e32 v[6:7], 2, v[8:9]
	v_dual_ashrrev_i32 v3, 31, v2 :: v_dual_ashrrev_i32 v5, 31, v4
	s_mov_b32 s4, 0
	s_xor_b32 s6, s36, -1
                                        ; implicit-def: $sgpr5
                                        ; implicit-def: $sgpr8
                                        ; implicit-def: $sgpr7
	v_lshl_add_u64 v[2:3], v[2:3], 2, v[6:7]
	v_add_nc_u64_e32 v[6:7], s[14:15], v[6:7]
	s_delay_alu instid0(VALU_DEP_2) | instskip(NEXT) | instid1(VALU_DEP_2)
	v_add_nc_u64_e32 v[2:3], s[14:15], v[2:3]
	v_lshl_add_u64 v[4:5], v[4:5], 2, v[6:7]
	s_delay_alu instid0(VALU_DEP_2)
	v_add_nc_u64_e32 v[2:3], 4, v[2:3]
	s_branch .LBB112_163
.LBB112_162:                            ;   in Loop: Header=BB112_163 Depth=1
	s_or_b32 exec_lo, exec_lo, s10
	s_xor_b32 s10, s7, -1
	s_and_b32 s11, exec_lo, s8
	s_delay_alu instid0(SALU_CYCLE_1) | instskip(SKIP_2) | instid1(SALU_CYCLE_1)
	s_or_b32 s4, s11, s4
	s_and_not1_b32 s5, s5, exec_lo
	s_and_b32 s10, s10, exec_lo
	s_or_b32 s5, s5, s10
	s_and_not1_b32 exec_lo, exec_lo, s4
	s_cbranch_execz .LBB112_165
.LBB112_163:                            ; =>This Inner Loop Header: Depth=1
	s_or_b32 s7, s7, exec_lo
	s_or_b32 s8, s8, exec_lo
	s_mov_b32 s10, exec_lo
	s_delay_alu instid0(VALU_DEP_1)
	v_cmpx_lt_u64_e64 v[2:3], v[4:5]
	s_cbranch_execz .LBB112_162
; %bb.164:                              ;   in Loop: Header=BB112_163 Depth=1
	global_load_b64 v[6:7], v[2:3], off offset:-4
	s_wait_xcnt 0x0
	v_add_nc_u64_e32 v[2:3], 4, v[2:3]
	s_and_not1_b32 s8, s8, exec_lo
	s_and_not1_b32 s7, s7, exec_lo
	s_wait_loadcnt 0x0
	v_cmp_ge_i32_e32 vcc_lo, v6, v7
	s_or_b32 s11, s6, vcc_lo
	s_delay_alu instid0(SALU_CYCLE_1) | instskip(NEXT) | instid1(SALU_CYCLE_1)
	s_and_b32 s11, s11, exec_lo
	s_or_b32 s8, s8, s11
	s_branch .LBB112_162
.LBB112_165:
	s_or_b32 exec_lo, exec_lo, s4
	s_delay_alu instid0(SALU_CYCLE_1) | instskip(SKIP_1) | instid1(SALU_CYCLE_1)
	s_and_not1_b32 s4, s41, exec_lo
	s_and_b32 s5, s5, exec_lo
	s_or_b32 s4, s4, s5
.LBB112_166:
	s_or_b32 exec_lo, exec_lo, s1
	s_delay_alu instid0(SALU_CYCLE_1)
	s_and_not1_b32 s1, s41, exec_lo
	s_and_b32 s4, s4, exec_lo
	s_or_b32 s9, s9, exec_lo
	s_or_b32 s41, s1, s4
	s_or_b32 exec_lo, exec_lo, s25
	s_and_saveexec_b32 s1, s41
	s_cbranch_execz .LBB112_150
.LBB112_167:
	s_and_not1_b32 s9, s9, exec_lo
	s_or_b32 s3, s3, exec_lo
	s_trap 2
	s_or_b32 exec_lo, exec_lo, s1
	s_and_saveexec_b32 s1, s3
	s_cbranch_execnz .LBB112_98
	s_branch .LBB112_99
.LBB112_168:
	s_mov_b32 s21, -1
	s_mov_b32 s19, 0
	s_mov_b32 s1, exec_lo
	v_cmpx_gt_i32_e64 v14, v16
	s_cbranch_execz .LBB112_177
; %bb.169:
	s_wait_loadcnt 0x0
	s_delay_alu instid0(VALU_DEP_2) | instskip(SKIP_2) | instid1(VALU_DEP_1)
	v_lshlrev_b64_e32 v[18:19], 2, v[20:21]
	v_dual_ashrrev_i32 v17, 31, v16 :: v_dual_ashrrev_i32 v15, 31, v14
	s_xor_b32 s21, s36, -1
                                        ; implicit-def: $sgpr20
                                        ; implicit-def: $sgpr23
                                        ; implicit-def: $sgpr22
	v_lshl_add_u64 v[16:17], v[16:17], 2, v[18:19]
	v_add_nc_u64_e32 v[18:19], s[14:15], v[18:19]
	s_delay_alu instid0(VALU_DEP_2) | instskip(NEXT) | instid1(VALU_DEP_2)
	v_add_nc_u64_e32 v[16:17], s[14:15], v[16:17]
	v_lshl_add_u64 v[14:15], v[14:15], 2, v[18:19]
	s_delay_alu instid0(VALU_DEP_2)
	v_add_nc_u64_e32 v[16:17], 4, v[16:17]
	s_branch .LBB112_171
.LBB112_170:                            ;   in Loop: Header=BB112_171 Depth=1
	s_or_b32 exec_lo, exec_lo, s24
	s_delay_alu instid0(SALU_CYCLE_1) | instskip(NEXT) | instid1(SALU_CYCLE_1)
	s_and_b32 s24, exec_lo, s23
	s_or_b32 s19, s24, s19
	s_and_not1_b32 s20, s20, exec_lo
	s_and_b32 s24, s22, exec_lo
	s_delay_alu instid0(SALU_CYCLE_1)
	s_or_b32 s20, s20, s24
	s_and_not1_b32 exec_lo, exec_lo, s19
	s_cbranch_execz .LBB112_176
.LBB112_171:                            ; =>This Inner Loop Header: Depth=1
	s_or_b32 s22, s22, exec_lo
	s_or_b32 s23, s23, exec_lo
	s_mov_b32 s24, exec_lo
	s_delay_alu instid0(VALU_DEP_1)
	v_cmpx_lt_u64_e64 v[16:17], v[14:15]
	s_cbranch_execz .LBB112_170
; %bb.172:                              ;   in Loop: Header=BB112_171 Depth=1
	global_load_b64 v[18:19], v[16:17], off offset:-4
	s_wait_xcnt 0x0
	v_add_nc_u64_e32 v[16:17], 4, v[16:17]
	s_and_not1_b32 s23, s23, exec_lo
	s_and_not1_b32 s22, s22, exec_lo
	s_wait_loadcnt 0x0
	v_cmp_ge_i32_e32 vcc_lo, v18, v19
	s_or_b32 s25, s21, vcc_lo
	s_delay_alu instid0(SALU_CYCLE_1) | instskip(NEXT) | instid1(SALU_CYCLE_1)
	s_and_b32 s25, s25, exec_lo
	s_or_b32 s23, s23, s25
	s_branch .LBB112_170
.LBB112_173:
	s_or_b32 exec_lo, exec_lo, s34
	s_delay_alu instid0(SALU_CYCLE_1) | instskip(SKIP_1) | instid1(SALU_CYCLE_1)
	s_and_not1_b32 s34, s52, exec_lo
	s_and_b32 s35, s35, exec_lo
	s_or_b32 s34, s34, s35
.LBB112_174:
	s_or_b32 exec_lo, exec_lo, s0
	s_delay_alu instid0(SALU_CYCLE_1)
	s_and_not1_b32 s35, s52, exec_lo
	s_and_b32 s34, s34, exec_lo
	s_mov_b32 s0, exec_lo
	s_or_b32 s52, s35, s34
	s_or_b32 exec_lo, exec_lo, s51
	s_and_saveexec_b32 s34, s52
	s_cbranch_execz .LBB112_71
.LBB112_175:
	s_or_b32 s3, s3, exec_lo
	s_and_not1_b32 s0, s0, exec_lo
	s_trap 2
	s_or_b32 exec_lo, exec_lo, s34
	s_and_saveexec_b32 s34, s0
	s_delay_alu instid0(SALU_CYCLE_1)
	s_xor_b32 s0, exec_lo, s34
	s_cbranch_execnz .LBB112_72
	s_branch .LBB112_73
.LBB112_176:
	s_or_b32 exec_lo, exec_lo, s19
	s_delay_alu instid0(SALU_CYCLE_1)
	s_mov_b32 s19, exec_lo
	s_or_not1_b32 s21, s20, exec_lo
.LBB112_177:
	s_or_b32 exec_lo, exec_lo, s1
	s_delay_alu instid0(SALU_CYCLE_1)
	s_and_b32 s20, s19, exec_lo
	s_xor_b32 s19, exec_lo, -1
	s_and_b32 s1, s21, exec_lo
.LBB112_178:
	s_or_b32 exec_lo, exec_lo, s49
	s_delay_alu instid0(SALU_CYCLE_1)
	s_and_not1_b32 s21, s43, exec_lo
	s_and_b32 s19, s19, exec_lo
	s_and_b32 s20, s20, exec_lo
	s_or_b32 s21, s21, s19
	s_xor_b32 s19, exec_lo, -1
	s_and_b32 s1, s1, exec_lo
.LBB112_179:
	s_or_b32 exec_lo, exec_lo, s48
	s_delay_alu instid0(SALU_CYCLE_1)
	s_and_not1_b32 s22, s43, exec_lo
	s_and_b32 s21, s21, exec_lo
	s_and_not1_b32 s23, s44, exec_lo
	s_and_b32 s19, s19, exec_lo
	s_and_b32 s20, s20, exec_lo
	s_or_b32 s22, s22, s21
	s_or_b32 s21, s23, s19
	s_xor_b32 s19, exec_lo, -1
	s_and_b32 s1, s1, exec_lo
.LBB112_180:
	s_or_b32 exec_lo, exec_lo, s9
	s_delay_alu instid0(SALU_CYCLE_1)
	s_and_not1_b32 s23, s43, exec_lo
	s_and_b32 s22, s22, exec_lo
	s_and_b32 s9, s20, exec_lo
	s_or_b32 s49, s23, s22
	s_and_not1_b32 s20, s44, exec_lo
	s_and_b32 s21, s21, exec_lo
	s_and_not1_b32 s22, s46, exec_lo
	s_and_b32 s19, s19, exec_lo
	s_or_b32 s50, s20, s21
	s_or_b32 s48, s22, s19
	s_or_not1_b32 s1, s1, exec_lo
.LBB112_181:
	s_or_b32 exec_lo, exec_lo, s45
	s_mov_b32 s21, 0
                                        ; implicit-def: $sgpr45
                                        ; implicit-def: $sgpr24
	s_and_saveexec_b32 s51, s1
	s_cbranch_execz .LBB112_208
; %bb.182:
	v_or_b32_e32 v5, 0x200, v0
	s_mov_b32 s25, -1
	s_mov_b32 s52, 0
	s_mov_b32 s1, s48
	;; [unrolled: 1-line block ×3, first 2 shown]
	v_cmp_gt_i32_e64 s45, s5, v5
	s_mov_b32 s19, s49
	s_and_saveexec_b32 s53, s45
	s_cbranch_execz .LBB112_203
; %bb.183:
	v_cmp_eq_u32_e32 vcc_lo, s33, v11
	s_mov_b32 s1, -1
	s_mov_b32 s22, 0
	s_mov_b32 s23, s50
	;; [unrolled: 1-line block ×3, first 2 shown]
	s_and_b32 s20, s42, vcc_lo
	s_mov_b32 s19, 0
	s_and_saveexec_b32 s54, s20
	s_cbranch_execz .LBB112_202
; %bb.184:
	v_cmp_eq_u32_e32 vcc_lo, s6, v9
	s_mov_b32 s20, 0
	s_mov_b32 s21, s49
	s_and_b32 s19, s39, vcc_lo
	s_delay_alu instid0(SALU_CYCLE_1)
	s_and_saveexec_b32 s55, s19
	s_cbranch_execz .LBB112_201
; %bb.185:
	v_sub_nc_u32_e32 v5, v8, v10
	s_mov_b32 s20, -1
	s_mov_b32 s19, 0
	s_delay_alu instid0(VALU_DEP_1) | instskip(SKIP_2) | instid1(SALU_CYCLE_1)
	v_cmp_le_i32_e32 vcc_lo, s33, v5
	v_cmp_ge_i32_e64 s1, s4, v5
	s_and_b32 s1, vcc_lo, s1
	s_and_b32 s21, s38, s1
	s_mov_b32 s1, 0
	s_and_saveexec_b32 s56, s21
	s_cbranch_execz .LBB112_200
; %bb.186:
	s_wait_loadcnt 0x1
	v_mov_b64_e32 v[14:15], 0
	s_and_not1_b32 vcc_lo, exec_lo, s37
	s_cbranch_vccnz .LBB112_193
; %bb.187:
	v_dual_mov_b32 v14, v13 :: v_dual_ashrrev_i32 v15, 31, v13
	s_mov_b32 s21, 0
	v_mov_b32_e32 v12, 0
	s_mov_b32 s19, s21
	s_mov_b64 s[22:23], 0xffffffff
	v_mul_u64_e32 v[16:17], s[6:7], v[14:15]
	v_mov_b64_e32 v[14:15], 0
	s_lshl_b64 s[26:27], s[18:19], 3
	s_mov_b32 s19, s8
	s_add_nc_u64 s[24:25], s[10:11], s[26:27]
	s_add_nc_u64 s[26:27], s[12:13], s[26:27]
	s_branch .LBB112_189
.LBB112_188:                            ;   in Loop: Header=BB112_189 Depth=1
	s_or_b32 exec_lo, exec_lo, s1
	s_wait_loadcnt 0x0
	s_delay_alu instid0(VALU_DEP_1)
	v_mul_u64_e32 v[20:21], s[28:29], v[18:19]
	s_load_b64 s[28:29], s[26:27], 0x0
	s_add_co_i32 s19, s19, -1
	s_add_nc_u64 s[24:25], s[24:25], -8
	s_cmp_lg_u32 s19, 0
	s_wait_xcnt 0x0
	s_add_nc_u64 s[26:27], s[26:27], -8
	s_delay_alu instid0(VALU_DEP_1) | instskip(SKIP_1) | instid1(VALU_DEP_1)
	v_sub_nc_u64_e32 v[16:17], v[16:17], v[20:21]
	s_wait_kmcnt 0x0
	v_mad_nc_u64_u32 v[14:15], v16, s28, v[14:15]
	s_delay_alu instid0(VALU_DEP_1) | instskip(NEXT) | instid1(VALU_DEP_1)
	v_mad_u32 v5, v17, s28, v15
	v_mad_u32 v15, v16, s29, v5
	v_mov_b64_e32 v[16:17], v[18:19]
	s_cbranch_scc0 .LBB112_193
.LBB112_189:                            ; =>This Inner Loop Header: Depth=1
	s_load_b64 s[28:29], s[24:25], 0x0
                                        ; implicit-def: $vgpr18_vgpr19
	s_mov_b32 s1, exec_lo
	s_wait_kmcnt 0x0
	s_delay_alu instid0(VALU_DEP_1) | instskip(NEXT) | instid1(VALU_DEP_1)
	v_or_b32_e32 v13, s29, v17
	v_cmpx_ne_u64_e32 0, v[12:13]
	s_xor_b32 s57, exec_lo, s1
	s_cbranch_execz .LBB112_191
; %bb.190:                              ;   in Loop: Header=BB112_189 Depth=1
	s_ashr_i32 s30, s29, 31
	s_wait_loadcnt 0x0
	v_dual_mov_b32 v23, v12 :: v_dual_ashrrev_i32 v18, 31, v17
	s_mov_b32 s31, s30
	s_delay_alu instid0(SALU_CYCLE_1) | instskip(NEXT) | instid1(VALU_DEP_1)
	s_add_nc_u64 s[34:35], s[28:29], s[30:31]
	v_mov_b32_e32 v19, v18
	s_xor_b64 s[34:35], s[34:35], s[30:31]
	s_delay_alu instid0(SALU_CYCLE_1)
	s_cvt_f32_u32 s1, s34
	s_cvt_f32_u32 s20, s35
	s_sub_nc_u64 s[60:61], 0, s[34:35]
	v_add_nc_u64_e32 v[20:21], v[16:17], v[18:19]
	v_mov_b32_e32 v27, v12
	s_fmamk_f32 s1, s20, 0x4f800000, s1
	s_delay_alu instid0(SALU_CYCLE_3) | instskip(NEXT) | instid1(VALU_DEP_2)
	v_s_rcp_f32 s1, s1
	v_xor_b32_e32 v22, v20, v18
	s_delay_alu instid0(VALU_DEP_3) | instskip(NEXT) | instid1(TRANS32_DEP_1)
	v_dual_mov_b32 v31, v12 :: v_dual_bitop2_b32 v26, v21, v18 bitop3:0x14
	s_mul_f32 s1, s1, 0x5f7ffffc
	s_delay_alu instid0(SALU_CYCLE_3) | instskip(NEXT) | instid1(SALU_CYCLE_3)
	s_mul_f32 s20, s1, 0x2f800000
	s_trunc_f32 s20, s20
	s_delay_alu instid0(SALU_CYCLE_3) | instskip(SKIP_1) | instid1(SALU_CYCLE_2)
	s_fmamk_f32 s1, s20, 0xcf800000, s1
	s_cvt_u32_f32 s59, s20
	s_cvt_u32_f32 s58, s1
	s_delay_alu instid0(SALU_CYCLE_3) | instskip(NEXT) | instid1(SALU_CYCLE_1)
	s_mul_u64 s[62:63], s[60:61], s[58:59]
	s_mul_hi_u32 s65, s58, s63
	s_mul_i32 s64, s58, s63
	s_mul_hi_u32 s20, s58, s62
	s_mul_i32 s31, s59, s62
	s_add_nc_u64 s[64:65], s[20:21], s[64:65]
	s_mul_hi_u32 s1, s59, s62
	s_mul_hi_u32 s66, s59, s63
	s_add_co_u32 s20, s64, s31
	s_add_co_ci_u32 s20, s65, s1
	s_mul_i32 s62, s59, s63
	s_add_co_ci_u32 s63, s66, 0
	s_delay_alu instid0(SALU_CYCLE_1) | instskip(NEXT) | instid1(SALU_CYCLE_1)
	s_add_nc_u64 s[62:63], s[20:21], s[62:63]
	s_add_co_u32 s58, s58, s62
	s_cselect_b32 s1, -1, 0
	s_delay_alu instid0(SALU_CYCLE_1) | instskip(SKIP_1) | instid1(SALU_CYCLE_1)
	s_cmp_lg_u32 s1, 0
	s_add_co_ci_u32 s59, s59, s63
	s_mul_u64 s[60:61], s[60:61], s[58:59]
	s_delay_alu instid0(SALU_CYCLE_1)
	s_mul_hi_u32 s63, s58, s61
	s_mul_i32 s62, s58, s61
	s_mul_hi_u32 s20, s58, s60
	s_mul_i32 s31, s59, s60
	s_add_nc_u64 s[62:63], s[20:21], s[62:63]
	s_mul_hi_u32 s1, s59, s60
	s_mul_hi_u32 s64, s59, s61
	s_add_co_u32 s20, s62, s31
	s_add_co_ci_u32 s20, s63, s1
	s_mul_i32 s60, s59, s61
	s_add_co_ci_u32 s61, s64, 0
	s_delay_alu instid0(SALU_CYCLE_1) | instskip(NEXT) | instid1(SALU_CYCLE_1)
	s_add_nc_u64 s[60:61], s[20:21], s[60:61]
	s_add_co_u32 s58, s58, s60
	s_cselect_b32 s1, -1, 0
	v_mul_hi_u32 v30, v22, s58
	s_cmp_lg_u32 s1, 0
	s_add_co_ci_u32 s20, s59, s61
	s_and_b64 s[60:61], s[58:59], s[22:23]
	v_mul_u64_e32 v[24:25], s[20:21], v[22:23]
	v_mul_u64_e32 v[20:21], s[60:61], v[26:27]
	;; [unrolled: 1-line block ×3, first 2 shown]
	s_delay_alu instid0(VALU_DEP_3) | instskip(NEXT) | instid1(VALU_DEP_1)
	v_add_nc_u64_e32 v[24:25], v[30:31], v[24:25]
	v_add_co_u32 v5, vcc_lo, v24, v20
	s_delay_alu instid0(VALU_DEP_2) | instskip(NEXT) | instid1(VALU_DEP_4)
	v_add_co_ci_u32_e32 v30, vcc_lo, v25, v21, vcc_lo
	v_add_co_ci_u32_e32 v29, vcc_lo, 0, v29, vcc_lo
	s_delay_alu instid0(VALU_DEP_1) | instskip(NEXT) | instid1(VALU_DEP_1)
	v_add_nc_u64_e32 v[20:21], v[30:31], v[28:29]
	v_mul_u64_e32 v[24:25], s[34:35], v[20:21]
	s_delay_alu instid0(VALU_DEP_1) | instskip(NEXT) | instid1(VALU_DEP_2)
	v_sub_nc_u32_e32 v5, v26, v25
	v_sub_co_u32 v9, vcc_lo, v22, v24
	s_delay_alu instid0(VALU_DEP_1) | instskip(NEXT) | instid1(VALU_DEP_3)
	v_sub_co_ci_u32_e64 v13, null, v26, v25, vcc_lo
	v_subrev_co_ci_u32_e64 v5, null, s35, v5, vcc_lo
	s_delay_alu instid0(VALU_DEP_3) | instskip(SKIP_1) | instid1(VALU_DEP_3)
	v_sub_co_u32 v11, s1, v9, s34
	v_add_nc_u64_e32 v[22:23], 2, v[20:21]
	v_subrev_co_ci_u32_e64 v5, null, 0, v5, s1
	s_delay_alu instid0(VALU_DEP_3) | instskip(SKIP_2) | instid1(VALU_DEP_4)
	v_cmp_le_u32_e32 vcc_lo, s34, v11
	v_add_nc_u64_e32 v[24:25], 1, v[20:21]
	v_cndmask_b32_e64 v11, 0, -1, vcc_lo
	v_cmp_le_u32_e32 vcc_lo, s35, v5
	v_cndmask_b32_e64 v19, 0, -1, vcc_lo
	v_cmp_le_u32_e32 vcc_lo, s34, v9
	;; [unrolled: 2-line block ×3, first 2 shown]
	v_cndmask_b32_e64 v26, 0, -1, vcc_lo
	v_cmp_eq_u32_e32 vcc_lo, s35, v5
	v_cndmask_b32_e32 v5, v19, v11, vcc_lo
	v_cmp_eq_u32_e32 vcc_lo, s35, v13
	s_delay_alu instid0(VALU_DEP_4) | instskip(NEXT) | instid1(VALU_DEP_3)
	v_cndmask_b32_e32 v9, v26, v9, vcc_lo
	v_cmp_ne_u32_e32 vcc_lo, 0, v5
	s_delay_alu instid0(VALU_DEP_2) | instskip(SKIP_1) | instid1(VALU_DEP_1)
	v_cmp_ne_u32_e64 s1, 0, v9
	v_dual_cndmask_b32 v5, v25, v23, vcc_lo :: v_dual_cndmask_b32 v9, v24, v22, vcc_lo
	v_dual_cndmask_b32 v5, v21, v5, s1 :: v_dual_bitop2_b32 v18, s30, v18 bitop3:0x14
	s_delay_alu instid0(VALU_DEP_1) | instskip(NEXT) | instid1(VALU_DEP_2)
	v_dual_cndmask_b32 v9, v20, v9, s1 :: v_dual_mov_b32 v19, v18
	v_xor_b32_e32 v21, v5, v18
	s_delay_alu instid0(VALU_DEP_2) | instskip(NEXT) | instid1(VALU_DEP_1)
	v_xor_b32_e32 v20, v9, v18
	v_sub_nc_u64_e32 v[18:19], v[20:21], v[18:19]
.LBB112_191:                            ;   in Loop: Header=BB112_189 Depth=1
	s_and_not1_saveexec_b32 s1, s57
	s_cbranch_execz .LBB112_188
; %bb.192:                              ;   in Loop: Header=BB112_189 Depth=1
	v_cvt_f32_u32_e32 v5, s28
	s_sub_co_i32 s20, 0, s28
	v_mov_b32_e32 v19, v12
	s_delay_alu instid0(VALU_DEP_2) | instskip(SKIP_1) | instid1(TRANS32_DEP_1)
	v_rcp_iflag_f32_e32 v5, v5
	v_nop
	v_mul_f32_e32 v5, 0x4f7ffffe, v5
	s_delay_alu instid0(VALU_DEP_1) | instskip(NEXT) | instid1(VALU_DEP_1)
	v_cvt_u32_f32_e32 v5, v5
	v_mul_lo_u32 v9, s20, v5
	s_delay_alu instid0(VALU_DEP_1) | instskip(NEXT) | instid1(VALU_DEP_1)
	v_mul_hi_u32 v9, v5, v9
	v_add_nc_u32_e32 v5, v5, v9
	s_delay_alu instid0(VALU_DEP_1) | instskip(NEXT) | instid1(VALU_DEP_1)
	v_mul_hi_u32 v5, v16, v5
	v_mul_lo_u32 v9, v5, s28
	v_add_nc_u32_e32 v11, 1, v5
	s_delay_alu instid0(VALU_DEP_2) | instskip(NEXT) | instid1(VALU_DEP_1)
	v_sub_nc_u32_e32 v9, v16, v9
	v_subrev_nc_u32_e32 v13, s28, v9
	v_cmp_le_u32_e32 vcc_lo, s28, v9
	s_delay_alu instid0(VALU_DEP_2) | instskip(SKIP_1) | instid1(VALU_DEP_2)
	v_cndmask_b32_e32 v9, v9, v13, vcc_lo
	v_cndmask_b32_e32 v5, v5, v11, vcc_lo
	v_cmp_le_u32_e32 vcc_lo, s28, v9
	s_delay_alu instid0(VALU_DEP_2) | instskip(SKIP_1) | instid1(VALU_DEP_1)
	v_add_nc_u32_e32 v11, 1, v5
	s_wait_loadcnt 0x0
	v_cndmask_b32_e32 v18, v5, v11, vcc_lo
	s_branch .LBB112_188
.LBB112_193:
	s_mov_b32 s19, -1
	s_mov_b32 s21, 0
	s_mov_b32 s1, exec_lo
	v_cmpx_gt_i32_e64 v8, v10
	s_cbranch_execz .LBB112_199
; %bb.194:
	s_delay_alu instid0(VALU_DEP_2) | instskip(SKIP_3) | instid1(VALU_DEP_1)
	v_lshlrev_b64_e32 v[12:13], 2, v[14:15]
	v_dual_ashrrev_i32 v11, 31, v10 :: v_dual_ashrrev_i32 v9, 31, v8
	s_mov_b32 s19, 0
	s_xor_b32 s21, s36, -1
                                        ; implicit-def: $sgpr20
                                        ; implicit-def: $sgpr23
                                        ; implicit-def: $sgpr22
	v_lshl_add_u64 v[10:11], v[10:11], 2, v[12:13]
	v_add_nc_u64_e32 v[12:13], s[14:15], v[12:13]
	s_delay_alu instid0(VALU_DEP_2) | instskip(NEXT) | instid1(VALU_DEP_2)
	v_add_nc_u64_e32 v[10:11], s[14:15], v[10:11]
	v_lshl_add_u64 v[8:9], v[8:9], 2, v[12:13]
	s_delay_alu instid0(VALU_DEP_2)
	v_add_nc_u64_e32 v[10:11], 4, v[10:11]
	s_branch .LBB112_196
.LBB112_195:                            ;   in Loop: Header=BB112_196 Depth=1
	s_or_b32 exec_lo, exec_lo, s24
	s_delay_alu instid0(SALU_CYCLE_1) | instskip(NEXT) | instid1(SALU_CYCLE_1)
	s_and_b32 s24, exec_lo, s23
	s_or_b32 s19, s24, s19
	s_and_not1_b32 s20, s20, exec_lo
	s_and_b32 s24, s22, exec_lo
	s_delay_alu instid0(SALU_CYCLE_1)
	s_or_b32 s20, s20, s24
	s_and_not1_b32 exec_lo, exec_lo, s19
	s_cbranch_execz .LBB112_198
.LBB112_196:                            ; =>This Inner Loop Header: Depth=1
	s_or_b32 s22, s22, exec_lo
	s_or_b32 s23, s23, exec_lo
	s_mov_b32 s24, exec_lo
	s_delay_alu instid0(VALU_DEP_1)
	v_cmpx_lt_u64_e64 v[10:11], v[8:9]
	s_cbranch_execz .LBB112_195
; %bb.197:                              ;   in Loop: Header=BB112_196 Depth=1
	global_load_b64 v[12:13], v[10:11], off offset:-4
	s_wait_xcnt 0x0
	v_add_nc_u64_e32 v[10:11], 4, v[10:11]
	s_and_not1_b32 s23, s23, exec_lo
	s_and_not1_b32 s22, s22, exec_lo
	s_wait_loadcnt 0x0
	v_cmp_ge_i32_e32 vcc_lo, v12, v13
	s_or_b32 s25, s21, vcc_lo
	s_delay_alu instid0(SALU_CYCLE_1) | instskip(NEXT) | instid1(SALU_CYCLE_1)
	s_and_b32 s25, s25, exec_lo
	s_or_b32 s23, s23, s25
	s_branch .LBB112_195
.LBB112_198:
	s_or_b32 exec_lo, exec_lo, s19
	s_delay_alu instid0(SALU_CYCLE_1)
	s_mov_b32 s21, exec_lo
	s_or_not1_b32 s19, s20, exec_lo
.LBB112_199:
	s_or_b32 exec_lo, exec_lo, s1
	s_delay_alu instid0(SALU_CYCLE_1)
	s_and_b32 s1, s21, exec_lo
	s_xor_b32 s20, exec_lo, -1
	s_and_b32 s19, s19, exec_lo
.LBB112_200:
	s_or_b32 exec_lo, exec_lo, s56
	s_delay_alu instid0(SALU_CYCLE_1)
	s_and_not1_b32 s21, s49, exec_lo
	s_and_b32 s20, s20, exec_lo
	s_and_b32 s22, s1, exec_lo
	s_or_b32 s21, s21, s20
	s_xor_b32 s1, exec_lo, -1
	s_and_b32 s20, s19, exec_lo
.LBB112_201:
	s_or_b32 exec_lo, exec_lo, s55
	s_delay_alu instid0(SALU_CYCLE_1)
	s_and_b32 s19, s22, exec_lo
	s_and_not1_b32 s22, s49, exec_lo
	s_and_b32 s21, s21, exec_lo
	s_and_not1_b32 s23, s50, exec_lo
	s_and_b32 s1, s1, exec_lo
	s_or_b32 s21, s22, s21
	s_or_b32 s23, s23, s1
	s_xor_b32 s1, exec_lo, -1
	s_and_b32 s22, s20, exec_lo
.LBB112_202:
	s_or_b32 exec_lo, exec_lo, s54
	s_delay_alu instid0(SALU_CYCLE_1)
	s_and_not1_b32 s20, s49, exec_lo
	s_and_b32 s24, s21, exec_lo
	s_and_b32 s21, s19, exec_lo
	s_or_b32 s19, s20, s24
	s_and_not1_b32 s20, s50, exec_lo
	s_and_b32 s23, s23, exec_lo
	s_and_not1_b32 s24, s48, exec_lo
	s_and_b32 s1, s1, exec_lo
	s_or_b32 s20, s20, s23
	s_or_b32 s1, s24, s1
	s_or_not1_b32 s25, s22, exec_lo
.LBB112_203:
	s_or_b32 exec_lo, exec_lo, s53
	s_mov_b32 s23, 0
                                        ; implicit-def: $sgpr24
	s_and_saveexec_b32 s22, s25
	s_cbranch_execz .LBB112_207
; %bb.204:
	v_or_b32_e32 v5, 0x300, v0
	s_mov_b32 s23, -1
	s_mov_b32 s25, s1
	s_delay_alu instid0(VALU_DEP_1) | instskip(SKIP_2) | instid1(SALU_CYCLE_1)
	v_cmp_gt_i32_e64 s24, s5, v5
	s_mov_b32 s5, 0
	s_and_saveexec_b32 s26, s24
	s_xor_b32 s26, exec_lo, s26
; %bb.205:
	v_cmp_ne_u32_e32 vcc_lo, s33, v3
	s_xor_b32 s23, s42, -1
	s_and_not1_b32 s25, s1, exec_lo
	s_mov_b32 s5, exec_lo
	s_or_b32 s23, s23, vcc_lo
	s_delay_alu instid0(SALU_CYCLE_1)
	s_and_b32 s27, s23, exec_lo
	s_xor_b32 s23, exec_lo, -1
	s_or_b32 s25, s25, s27
; %bb.206:
	s_or_b32 exec_lo, exec_lo, s26
	s_delay_alu instid0(SALU_CYCLE_1)
	s_and_not1_b32 s1, s1, exec_lo
	s_and_b32 s25, s25, exec_lo
	s_and_b32 s23, s23, exec_lo
	s_and_not1_b32 s21, s21, exec_lo
	s_and_b32 s52, s5, exec_lo
	s_or_b32 s1, s1, s25
.LBB112_207:
	s_or_b32 exec_lo, exec_lo, s22
	s_delay_alu instid0(SALU_CYCLE_1)
	s_and_not1_b32 s5, s9, exec_lo
	s_and_b32 s9, s21, exec_lo
	s_and_b32 s19, s19, exec_lo
	s_or_b32 s9, s5, s9
	s_and_not1_b32 s5, s49, exec_lo
	s_and_not1_b32 s22, s50, exec_lo
	s_and_b32 s20, s20, exec_lo
	s_or_b32 s49, s5, s19
	s_and_not1_b32 s5, s48, exec_lo
	s_and_b32 s1, s1, exec_lo
	s_and_b32 s21, s23, exec_lo
	s_or_b32 s50, s22, s20
	s_and_b32 s52, s52, exec_lo
	s_or_b32 s48, s5, s1
.LBB112_208:
	s_or_b32 exec_lo, exec_lo, s51
	s_delay_alu instid0(SALU_CYCLE_1)
	s_and_not1_b32 s1, s41, exec_lo
	s_and_b32 s5, s9, exec_lo
	s_and_not1_b32 s19, s44, exec_lo
	s_or_b32 s41, s1, s5
	s_and_not1_b32 s1, s43, exec_lo
	s_and_b32 s5, s49, exec_lo
	s_and_b32 s20, s50, exec_lo
	s_or_b32 s43, s1, s5
	s_and_not1_b32 s1, s46, exec_lo
	s_and_b32 s5, s48, exec_lo
	s_and_b32 s9, s21, exec_lo
	s_or_b32 s44, s19, s20
	s_and_b32 s48, s52, exec_lo
	s_or_b32 s46, s1, s5
	s_or_b32 exec_lo, exec_lo, s47
	s_and_saveexec_b32 s1, s46
	s_cbranch_execz .LBB112_143
.LBB112_209:
	s_or_b32 s3, s3, exec_lo
	s_and_not1_b32 s48, s48, exec_lo
	s_trap 2
	s_branch .LBB112_143
.LBB112_210:
	s_or_b32 s3, s3, exec_lo
	s_trap 2
	s_branch .LBB112_76
.LBB112_211:
	s_or_b32 s3, s3, exec_lo
	s_and_not1_b32 s1, s1, exec_lo
	s_trap 2
	s_branch .LBB112_146
.LBB112_212:
	s_mov_b32 s3, exec_lo
	s_and_not1_b32 s0, s0, exec_lo
	s_trap 2
	s_branch .LBB112_67
	.section	.rodata,"a",@progbits
	.p2align	6, 0x0
	.amdhsa_kernel _ZN2at6native29vectorized_elementwise_kernelILi16EZZZNS0_12_GLOBAL__N_142_validate_compressed_sparse_indices_kernelILNS2_8CDimNameE1ENS2_18CUDAKernelLauncherENS2_14EmptyVecKernelENS2_8DummyVecELm0EEEvRKNS_6TensorESA_lllENKUlvE1_clEvENKUlvE_clEvEUliiiiiE_St5arrayIPcLm6EEEEviT0_T1_
		.amdhsa_group_segment_fixed_size 0
		.amdhsa_private_segment_fixed_size 0
		.amdhsa_kernarg_size 112
		.amdhsa_user_sgpr_count 2
		.amdhsa_user_sgpr_dispatch_ptr 0
		.amdhsa_user_sgpr_queue_ptr 0
		.amdhsa_user_sgpr_kernarg_segment_ptr 1
		.amdhsa_user_sgpr_dispatch_id 0
		.amdhsa_user_sgpr_kernarg_preload_length 0
		.amdhsa_user_sgpr_kernarg_preload_offset 0
		.amdhsa_user_sgpr_private_segment_size 0
		.amdhsa_wavefront_size32 1
		.amdhsa_uses_dynamic_stack 0
		.amdhsa_enable_private_segment 0
		.amdhsa_system_sgpr_workgroup_id_x 1
		.amdhsa_system_sgpr_workgroup_id_y 0
		.amdhsa_system_sgpr_workgroup_id_z 0
		.amdhsa_system_sgpr_workgroup_info 0
		.amdhsa_system_vgpr_workitem_id 0
		.amdhsa_next_free_vgpr 44
		.amdhsa_next_free_sgpr 74
		.amdhsa_named_barrier_count 0
		.amdhsa_reserve_vcc 1
		.amdhsa_float_round_mode_32 0
		.amdhsa_float_round_mode_16_64 0
		.amdhsa_float_denorm_mode_32 3
		.amdhsa_float_denorm_mode_16_64 3
		.amdhsa_fp16_overflow 0
		.amdhsa_memory_ordered 1
		.amdhsa_forward_progress 1
		.amdhsa_inst_pref_size 103
		.amdhsa_round_robin_scheduling 0
		.amdhsa_exception_fp_ieee_invalid_op 0
		.amdhsa_exception_fp_denorm_src 0
		.amdhsa_exception_fp_ieee_div_zero 0
		.amdhsa_exception_fp_ieee_overflow 0
		.amdhsa_exception_fp_ieee_underflow 0
		.amdhsa_exception_fp_ieee_inexact 0
		.amdhsa_exception_int_div_zero 0
	.end_amdhsa_kernel
	.section	.text._ZN2at6native29vectorized_elementwise_kernelILi16EZZZNS0_12_GLOBAL__N_142_validate_compressed_sparse_indices_kernelILNS2_8CDimNameE1ENS2_18CUDAKernelLauncherENS2_14EmptyVecKernelENS2_8DummyVecELm0EEEvRKNS_6TensorESA_lllENKUlvE1_clEvENKUlvE_clEvEUliiiiiE_St5arrayIPcLm6EEEEviT0_T1_,"axG",@progbits,_ZN2at6native29vectorized_elementwise_kernelILi16EZZZNS0_12_GLOBAL__N_142_validate_compressed_sparse_indices_kernelILNS2_8CDimNameE1ENS2_18CUDAKernelLauncherENS2_14EmptyVecKernelENS2_8DummyVecELm0EEEvRKNS_6TensorESA_lllENKUlvE1_clEvENKUlvE_clEvEUliiiiiE_St5arrayIPcLm6EEEEviT0_T1_,comdat
.Lfunc_end112:
	.size	_ZN2at6native29vectorized_elementwise_kernelILi16EZZZNS0_12_GLOBAL__N_142_validate_compressed_sparse_indices_kernelILNS2_8CDimNameE1ENS2_18CUDAKernelLauncherENS2_14EmptyVecKernelENS2_8DummyVecELm0EEEvRKNS_6TensorESA_lllENKUlvE1_clEvENKUlvE_clEvEUliiiiiE_St5arrayIPcLm6EEEEviT0_T1_, .Lfunc_end112-_ZN2at6native29vectorized_elementwise_kernelILi16EZZZNS0_12_GLOBAL__N_142_validate_compressed_sparse_indices_kernelILNS2_8CDimNameE1ENS2_18CUDAKernelLauncherENS2_14EmptyVecKernelENS2_8DummyVecELm0EEEvRKNS_6TensorESA_lllENKUlvE1_clEvENKUlvE_clEvEUliiiiiE_St5arrayIPcLm6EEEEviT0_T1_
                                        ; -- End function
	.set _ZN2at6native29vectorized_elementwise_kernelILi16EZZZNS0_12_GLOBAL__N_142_validate_compressed_sparse_indices_kernelILNS2_8CDimNameE1ENS2_18CUDAKernelLauncherENS2_14EmptyVecKernelENS2_8DummyVecELm0EEEvRKNS_6TensorESA_lllENKUlvE1_clEvENKUlvE_clEvEUliiiiiE_St5arrayIPcLm6EEEEviT0_T1_.num_vgpr, 44
	.set _ZN2at6native29vectorized_elementwise_kernelILi16EZZZNS0_12_GLOBAL__N_142_validate_compressed_sparse_indices_kernelILNS2_8CDimNameE1ENS2_18CUDAKernelLauncherENS2_14EmptyVecKernelENS2_8DummyVecELm0EEEvRKNS_6TensorESA_lllENKUlvE1_clEvENKUlvE_clEvEUliiiiiE_St5arrayIPcLm6EEEEviT0_T1_.num_agpr, 0
	.set _ZN2at6native29vectorized_elementwise_kernelILi16EZZZNS0_12_GLOBAL__N_142_validate_compressed_sparse_indices_kernelILNS2_8CDimNameE1ENS2_18CUDAKernelLauncherENS2_14EmptyVecKernelENS2_8DummyVecELm0EEEvRKNS_6TensorESA_lllENKUlvE1_clEvENKUlvE_clEvEUliiiiiE_St5arrayIPcLm6EEEEviT0_T1_.numbered_sgpr, 74
	.set _ZN2at6native29vectorized_elementwise_kernelILi16EZZZNS0_12_GLOBAL__N_142_validate_compressed_sparse_indices_kernelILNS2_8CDimNameE1ENS2_18CUDAKernelLauncherENS2_14EmptyVecKernelENS2_8DummyVecELm0EEEvRKNS_6TensorESA_lllENKUlvE1_clEvENKUlvE_clEvEUliiiiiE_St5arrayIPcLm6EEEEviT0_T1_.num_named_barrier, 0
	.set _ZN2at6native29vectorized_elementwise_kernelILi16EZZZNS0_12_GLOBAL__N_142_validate_compressed_sparse_indices_kernelILNS2_8CDimNameE1ENS2_18CUDAKernelLauncherENS2_14EmptyVecKernelENS2_8DummyVecELm0EEEvRKNS_6TensorESA_lllENKUlvE1_clEvENKUlvE_clEvEUliiiiiE_St5arrayIPcLm6EEEEviT0_T1_.private_seg_size, 0
	.set _ZN2at6native29vectorized_elementwise_kernelILi16EZZZNS0_12_GLOBAL__N_142_validate_compressed_sparse_indices_kernelILNS2_8CDimNameE1ENS2_18CUDAKernelLauncherENS2_14EmptyVecKernelENS2_8DummyVecELm0EEEvRKNS_6TensorESA_lllENKUlvE1_clEvENKUlvE_clEvEUliiiiiE_St5arrayIPcLm6EEEEviT0_T1_.uses_vcc, 1
	.set _ZN2at6native29vectorized_elementwise_kernelILi16EZZZNS0_12_GLOBAL__N_142_validate_compressed_sparse_indices_kernelILNS2_8CDimNameE1ENS2_18CUDAKernelLauncherENS2_14EmptyVecKernelENS2_8DummyVecELm0EEEvRKNS_6TensorESA_lllENKUlvE1_clEvENKUlvE_clEvEUliiiiiE_St5arrayIPcLm6EEEEviT0_T1_.uses_flat_scratch, 0
	.set _ZN2at6native29vectorized_elementwise_kernelILi16EZZZNS0_12_GLOBAL__N_142_validate_compressed_sparse_indices_kernelILNS2_8CDimNameE1ENS2_18CUDAKernelLauncherENS2_14EmptyVecKernelENS2_8DummyVecELm0EEEvRKNS_6TensorESA_lllENKUlvE1_clEvENKUlvE_clEvEUliiiiiE_St5arrayIPcLm6EEEEviT0_T1_.has_dyn_sized_stack, 0
	.set _ZN2at6native29vectorized_elementwise_kernelILi16EZZZNS0_12_GLOBAL__N_142_validate_compressed_sparse_indices_kernelILNS2_8CDimNameE1ENS2_18CUDAKernelLauncherENS2_14EmptyVecKernelENS2_8DummyVecELm0EEEvRKNS_6TensorESA_lllENKUlvE1_clEvENKUlvE_clEvEUliiiiiE_St5arrayIPcLm6EEEEviT0_T1_.has_recursion, 0
	.set _ZN2at6native29vectorized_elementwise_kernelILi16EZZZNS0_12_GLOBAL__N_142_validate_compressed_sparse_indices_kernelILNS2_8CDimNameE1ENS2_18CUDAKernelLauncherENS2_14EmptyVecKernelENS2_8DummyVecELm0EEEvRKNS_6TensorESA_lllENKUlvE1_clEvENKUlvE_clEvEUliiiiiE_St5arrayIPcLm6EEEEviT0_T1_.has_indirect_call, 0
	.section	.AMDGPU.csdata,"",@progbits
; Kernel info:
; codeLenInByte = 13060
; TotalNumSgprs: 76
; NumVgprs: 44
; ScratchSize: 0
; MemoryBound: 0
; FloatMode: 240
; IeeeMode: 1
; LDSByteSize: 0 bytes/workgroup (compile time only)
; SGPRBlocks: 0
; VGPRBlocks: 2
; NumSGPRsForWavesPerEU: 76
; NumVGPRsForWavesPerEU: 44
; NamedBarCnt: 0
; Occupancy: 16
; WaveLimiterHint : 0
; COMPUTE_PGM_RSRC2:SCRATCH_EN: 0
; COMPUTE_PGM_RSRC2:USER_SGPR: 2
; COMPUTE_PGM_RSRC2:TRAP_HANDLER: 0
; COMPUTE_PGM_RSRC2:TGID_X_EN: 1
; COMPUTE_PGM_RSRC2:TGID_Y_EN: 0
; COMPUTE_PGM_RSRC2:TGID_Z_EN: 0
; COMPUTE_PGM_RSRC2:TIDIG_COMP_CNT: 0
	.section	.text._ZN2at6native29vectorized_elementwise_kernelILi8EZZZNS0_12_GLOBAL__N_142_validate_compressed_sparse_indices_kernelILNS2_8CDimNameE1ENS2_18CUDAKernelLauncherENS2_14EmptyVecKernelENS2_8DummyVecELm0EEEvRKNS_6TensorESA_lllENKUlvE1_clEvENKUlvE_clEvEUliiiiiE_St5arrayIPcLm6EEEEviT0_T1_,"axG",@progbits,_ZN2at6native29vectorized_elementwise_kernelILi8EZZZNS0_12_GLOBAL__N_142_validate_compressed_sparse_indices_kernelILNS2_8CDimNameE1ENS2_18CUDAKernelLauncherENS2_14EmptyVecKernelENS2_8DummyVecELm0EEEvRKNS_6TensorESA_lllENKUlvE1_clEvENKUlvE_clEvEUliiiiiE_St5arrayIPcLm6EEEEviT0_T1_,comdat
	.globl	_ZN2at6native29vectorized_elementwise_kernelILi8EZZZNS0_12_GLOBAL__N_142_validate_compressed_sparse_indices_kernelILNS2_8CDimNameE1ENS2_18CUDAKernelLauncherENS2_14EmptyVecKernelENS2_8DummyVecELm0EEEvRKNS_6TensorESA_lllENKUlvE1_clEvENKUlvE_clEvEUliiiiiE_St5arrayIPcLm6EEEEviT0_T1_ ; -- Begin function _ZN2at6native29vectorized_elementwise_kernelILi8EZZZNS0_12_GLOBAL__N_142_validate_compressed_sparse_indices_kernelILNS2_8CDimNameE1ENS2_18CUDAKernelLauncherENS2_14EmptyVecKernelENS2_8DummyVecELm0EEEvRKNS_6TensorESA_lllENKUlvE1_clEvENKUlvE_clEvEUliiiiiE_St5arrayIPcLm6EEEEviT0_T1_
	.p2align	8
	.type	_ZN2at6native29vectorized_elementwise_kernelILi8EZZZNS0_12_GLOBAL__N_142_validate_compressed_sparse_indices_kernelILNS2_8CDimNameE1ENS2_18CUDAKernelLauncherENS2_14EmptyVecKernelENS2_8DummyVecELm0EEEvRKNS_6TensorESA_lllENKUlvE1_clEvENKUlvE_clEvEUliiiiiE_St5arrayIPcLm6EEEEviT0_T1_,@function
_ZN2at6native29vectorized_elementwise_kernelILi8EZZZNS0_12_GLOBAL__N_142_validate_compressed_sparse_indices_kernelILNS2_8CDimNameE1ENS2_18CUDAKernelLauncherENS2_14EmptyVecKernelENS2_8DummyVecELm0EEEvRKNS_6TensorESA_lllENKUlvE1_clEvENKUlvE_clEvEUliiiiiE_St5arrayIPcLm6EEEEviT0_T1_: ; @_ZN2at6native29vectorized_elementwise_kernelILi8EZZZNS0_12_GLOBAL__N_142_validate_compressed_sparse_indices_kernelILNS2_8CDimNameE1ENS2_18CUDAKernelLauncherENS2_14EmptyVecKernelENS2_8DummyVecELm0EEEvRKNS_6TensorESA_lllENKUlvE1_clEvENKUlvE_clEvEUliiiiiE_St5arrayIPcLm6EEEEviT0_T1_
; %bb.0:
	s_clause 0x3
	s_load_b32 s3, s[0:1], 0x0
	s_load_b32 s33, s[0:1], 0x8
	s_load_b512 s[4:19], s[0:1], 0x10
	s_load_b256 s[20:27], s[0:1], 0x50
	s_wait_xcnt 0x0
	s_bfe_u32 s0, ttmp6, 0x4000c
	s_and_b32 s1, ttmp6, 15
	s_add_co_i32 s0, s0, 1
	s_getreg_b32 s2, hwreg(HW_REG_IB_STS2, 6, 4)
	s_mul_i32 s0, ttmp9, s0
	s_wait_kmcnt 0x0
	s_mov_b32 s9, 0
	s_add_co_i32 s1, s1, s0
	s_cmp_eq_u32 s2, 0
	s_get_pc_i64 s[28:29]
	s_add_nc_u64 s[28:29], s[28:29], .str.6@rel64+4
	s_cselect_b32 s0, ttmp9, s1
	s_delay_alu instid0(SALU_CYCLE_1)
	s_lshl_b32 s2, s0, 10
	s_mov_b32 s0, -1
	s_sub_co_i32 s5, s3, s2
	s_mov_b32 s3, 0
	s_cmp_gt_i32 s5, 0x3ff
	s_cbranch_scc0 .LBB113_77
; %bb.1:
	s_cmp_eq_u64 s[28:29], 0
	s_cselect_b32 s0, -1, 0
	s_cmp_lg_u64 s[28:29], 0
	s_cbranch_scc0 .LBB113_75
; %bb.2:
	s_ashr_i32 s3, s2, 31
	v_lshlrev_b32_e32 v18, 4, v0
	s_lshl_b64 s[30:31], s[2:3], 2
	s_mov_b32 s0, -1
	s_add_nc_u64 s[36:37], s[18:19], s[30:31]
	s_mov_b32 s3, 0
	global_load_b32 v1, v18, s[36:37]
	s_mov_b32 s48, exec_lo
	s_wait_loadcnt 0x0
	v_cmpx_eq_u32_e64 s33, v1
	s_cbranch_execz .LBB113_74
; %bb.3:
	s_add_nc_u64 s[0:1], s[20:21], s[30:31]
	s_get_pc_i64 s[34:35]
	s_add_nc_u64 s[34:35], s[34:35], .str.7@rel64+4
	global_load_b128 v[14:17], v0, s[0:1] scale_offset
	s_cmp_lg_u64 s[34:35], 0
	v_mov_b32_e32 v19, 0
	s_wait_xcnt 0x0
	s_cselect_b32 s1, -1, 0
	s_mov_b32 s38, -1
	s_mov_b32 s0, 0
	s_mov_b32 s35, 0
	;; [unrolled: 1-line block ×3, first 2 shown]
                                        ; implicit-def: $sgpr49
                                        ; implicit-def: $sgpr50
                                        ; implicit-def: $sgpr34
                                        ; implicit-def: $sgpr53
                                        ; implicit-def: $vgpr10_vgpr11_vgpr12_vgpr13
                                        ; implicit-def: $vgpr2_vgpr3_vgpr4_vgpr5
                                        ; implicit-def: $vgpr6_vgpr7_vgpr8_vgpr9
	s_wait_loadcnt 0x0
	v_cmp_eq_u32_e32 vcc_lo, s6, v14
	s_and_b32 s39, s1, vcc_lo
	s_mov_b32 s1, 0
	s_and_saveexec_b32 s51, s39
	s_cbranch_execz .LBB113_66
; %bb.4:
	s_add_nc_u64 s[0:1], s[22:23], s[30:31]
	s_add_nc_u64 s[34:35], s[24:25], s[30:31]
	s_clause 0x1
	global_load_b128 v[6:9], v0, s[0:1] scale_offset
	global_load_b128 v[2:5], v0, s[34:35] scale_offset
	s_get_pc_i64 s[40:41]
	s_add_nc_u64 s[40:41], s[40:41], .str.8@rel64+4
	s_wait_xcnt 0x0
	s_mov_b32 s35, -1
	s_cmp_lg_u64 s[40:41], 0
	s_mov_b32 s38, 0
	s_cselect_b32 s1, -1, 0
	s_mov_b32 s39, 0
	s_mov_b32 s40, 0
                                        ; implicit-def: $sgpr49
                                        ; implicit-def: $sgpr50
                                        ; implicit-def: $sgpr34
                                        ; implicit-def: $vgpr10_vgpr11_vgpr12_vgpr13
	s_wait_loadcnt 0x0
	v_sub_nc_u32_e32 v1, v2, v6
	s_delay_alu instid0(VALU_DEP_1) | instskip(SKIP_2) | instid1(SALU_CYCLE_1)
	v_cmp_le_i32_e32 vcc_lo, s33, v1
	v_cmp_ge_i32_e64 s0, s4, v1
	s_and_b32 s0, vcc_lo, s0
	s_and_b32 s0, s1, s0
	s_mov_b32 s1, 0
	s_and_saveexec_b32 s52, s0
	s_cbranch_execz .LBB113_65
; %bb.5:
	v_add_nc_u64_e32 v[22:23], s[36:37], v[18:19]
	s_add_nc_u64 s[0:1], s[26:27], s[30:31]
	s_add_co_i32 s34, s8, -1
	global_load_b96 v[18:20], v[22:23], off offset:4
	global_load_b128 v[10:13], v0, s[0:1] scale_offset
	s_wait_xcnt 0x0
	v_cmp_gt_i64_e64 s0, s[6:7], 0
	s_cmp_gt_i32 s34, -1
	v_mov_b64_e32 v[22:23], 0
	s_cselect_b32 s1, -1, 0
	s_delay_alu instid0(SALU_CYCLE_1) | instskip(NEXT) | instid1(SALU_CYCLE_1)
	s_and_b32 s50, s0, s1
	s_and_not1_b32 vcc_lo, exec_lo, s50
	s_cbranch_vccnz .LBB113_12
; %bb.6:
	s_wait_loadcnt 0x0
	v_dual_mov_b32 v22, v10 :: v_dual_ashrrev_i32 v23, 31, v10
	s_mov_b32 s1, 0
	v_mov_b32_e32 v24, 0
	s_mov_b32 s35, s1
	s_mov_b64 s[36:37], 0xffffffff
	v_mul_u64_e32 v[26:27], s[6:7], v[22:23]
	v_mov_b64_e32 v[22:23], 0
	s_lshl_b64 s[40:41], s[34:35], 3
	s_mov_b32 s35, s8
	s_add_nc_u64 s[38:39], s[10:11], s[40:41]
	s_add_nc_u64 s[40:41], s[12:13], s[40:41]
	s_branch .LBB113_8
.LBB113_7:                              ;   in Loop: Header=BB113_8 Depth=1
	s_or_b32 exec_lo, exec_lo, s0
	s_delay_alu instid0(VALU_DEP_1)
	v_mul_u64_e32 v[30:31], s[42:43], v[28:29]
	s_load_b64 s[42:43], s[40:41], 0x0
	s_add_co_i32 s35, s35, -1
	s_add_nc_u64 s[38:39], s[38:39], -8
	s_cmp_eq_u32 s35, 0
	s_wait_xcnt 0x0
	s_add_nc_u64 s[40:41], s[40:41], -8
	s_delay_alu instid0(VALU_DEP_1) | instskip(SKIP_1) | instid1(VALU_DEP_1)
	v_sub_nc_u64_e32 v[26:27], v[26:27], v[30:31]
	s_wait_kmcnt 0x0
	v_mad_nc_u64_u32 v[22:23], v26, s42, v[22:23]
	s_delay_alu instid0(VALU_DEP_1) | instskip(NEXT) | instid1(VALU_DEP_1)
	v_mad_u32 v1, v27, s42, v23
	v_mad_u32 v23, v26, s43, v1
	v_mov_b64_e32 v[26:27], v[28:29]
	s_cbranch_scc1 .LBB113_12
.LBB113_8:                              ; =>This Inner Loop Header: Depth=1
	s_load_b64 s[42:43], s[38:39], 0x0
                                        ; implicit-def: $vgpr28_vgpr29
	s_mov_b32 s0, exec_lo
	s_wait_kmcnt 0x0
	s_delay_alu instid0(VALU_DEP_1) | instskip(NEXT) | instid1(VALU_DEP_1)
	v_or_b32_e32 v25, s43, v27
	v_cmpx_ne_u64_e32 0, v[24:25]
	s_xor_b32 s49, exec_lo, s0
	s_cbranch_execz .LBB113_10
; %bb.9:                                ;   in Loop: Header=BB113_8 Depth=1
	s_ashr_i32 s44, s43, 31
	v_dual_mov_b32 v33, v24 :: v_dual_ashrrev_i32 v28, 31, v27
	s_mov_b32 s45, s44
	v_mov_b32_e32 v41, v24
	s_add_nc_u64 s[46:47], s[42:43], s[44:45]
	s_delay_alu instid0(VALU_DEP_2) | instskip(SKIP_1) | instid1(SALU_CYCLE_1)
	v_mov_b32_e32 v29, v28
	s_xor_b64 s[46:47], s[46:47], s[44:45]
	s_cvt_f32_u32 s0, s46
	s_cvt_f32_u32 s45, s47
	s_sub_nc_u64 s[56:57], 0, s[46:47]
	v_add_nc_u64_e32 v[30:31], v[26:27], v[28:29]
	v_mov_b32_e32 v37, v24
	s_fmamk_f32 s0, s45, 0x4f800000, s0
	s_delay_alu instid0(SALU_CYCLE_3) | instskip(NEXT) | instid1(VALU_DEP_2)
	v_s_rcp_f32 s0, s0
	v_xor_b32_e32 v32, v30, v28
	s_delay_alu instid0(VALU_DEP_3) | instskip(NEXT) | instid1(TRANS32_DEP_1)
	v_xor_b32_e32 v36, v31, v28
	s_mul_f32 s0, s0, 0x5f7ffffc
	s_delay_alu instid0(SALU_CYCLE_3) | instskip(NEXT) | instid1(SALU_CYCLE_3)
	s_mul_f32 s45, s0, 0x2f800000
	s_trunc_f32 s45, s45
	s_delay_alu instid0(SALU_CYCLE_3) | instskip(SKIP_1) | instid1(SALU_CYCLE_2)
	s_fmamk_f32 s0, s45, 0xcf800000, s0
	s_cvt_u32_f32 s55, s45
	s_cvt_u32_f32 s54, s0
	s_delay_alu instid0(SALU_CYCLE_3) | instskip(NEXT) | instid1(SALU_CYCLE_1)
	s_mul_u64 s[58:59], s[56:57], s[54:55]
	s_mul_hi_u32 s61, s54, s59
	s_mul_i32 s60, s54, s59
	s_mul_hi_u32 s0, s54, s58
	s_mul_i32 s53, s55, s58
	s_add_nc_u64 s[60:61], s[0:1], s[60:61]
	s_mul_hi_u32 s45, s55, s58
	s_mul_hi_u32 s62, s55, s59
	s_add_co_u32 s0, s60, s53
	s_add_co_ci_u32 s0, s61, s45
	s_mul_i32 s58, s55, s59
	s_add_co_ci_u32 s59, s62, 0
	s_delay_alu instid0(SALU_CYCLE_1) | instskip(NEXT) | instid1(SALU_CYCLE_1)
	s_add_nc_u64 s[58:59], s[0:1], s[58:59]
	s_add_co_u32 s54, s54, s58
	s_cselect_b32 s0, -1, 0
	s_delay_alu instid0(SALU_CYCLE_1) | instskip(SKIP_1) | instid1(SALU_CYCLE_1)
	s_cmp_lg_u32 s0, 0
	s_add_co_ci_u32 s55, s55, s59
	s_mul_u64 s[56:57], s[56:57], s[54:55]
	s_delay_alu instid0(SALU_CYCLE_1)
	s_mul_hi_u32 s59, s54, s57
	s_mul_i32 s58, s54, s57
	s_mul_hi_u32 s0, s54, s56
	s_mul_i32 s53, s55, s56
	s_add_nc_u64 s[58:59], s[0:1], s[58:59]
	s_mul_hi_u32 s45, s55, s56
	s_mul_hi_u32 s60, s55, s57
	s_add_co_u32 s0, s58, s53
	s_add_co_ci_u32 s0, s59, s45
	s_mul_i32 s56, s55, s57
	s_add_co_ci_u32 s57, s60, 0
	s_delay_alu instid0(SALU_CYCLE_1) | instskip(NEXT) | instid1(SALU_CYCLE_1)
	s_add_nc_u64 s[56:57], s[0:1], s[56:57]
	s_add_co_u32 s54, s54, s56
	s_cselect_b32 s0, -1, 0
	v_mul_hi_u32 v40, v32, s54
	s_cmp_lg_u32 s0, 0
	s_add_co_ci_u32 s0, s55, s57
	s_and_b64 s[56:57], s[54:55], s[36:37]
	v_mul_u64_e32 v[34:35], s[0:1], v[32:33]
	v_mul_u64_e32 v[30:31], s[56:57], v[36:37]
	;; [unrolled: 1-line block ×3, first 2 shown]
	s_delay_alu instid0(VALU_DEP_3) | instskip(NEXT) | instid1(VALU_DEP_1)
	v_add_nc_u64_e32 v[34:35], v[40:41], v[34:35]
	v_add_co_u32 v1, vcc_lo, v34, v30
	s_delay_alu instid0(VALU_DEP_2) | instskip(NEXT) | instid1(VALU_DEP_4)
	v_add_co_ci_u32_e32 v40, vcc_lo, v35, v31, vcc_lo
	v_add_co_ci_u32_e32 v39, vcc_lo, 0, v39, vcc_lo
	s_delay_alu instid0(VALU_DEP_1) | instskip(NEXT) | instid1(VALU_DEP_1)
	v_add_nc_u64_e32 v[30:31], v[40:41], v[38:39]
	v_mul_u64_e32 v[34:35], s[46:47], v[30:31]
	s_delay_alu instid0(VALU_DEP_1) | instskip(NEXT) | instid1(VALU_DEP_2)
	v_sub_nc_u32_e32 v1, v36, v35
	v_sub_co_u32 v10, vcc_lo, v32, v34
	s_delay_alu instid0(VALU_DEP_1) | instskip(NEXT) | instid1(VALU_DEP_3)
	v_sub_co_ci_u32_e64 v25, null, v36, v35, vcc_lo
	v_subrev_co_ci_u32_e64 v1, null, s47, v1, vcc_lo
	s_delay_alu instid0(VALU_DEP_3) | instskip(SKIP_1) | instid1(VALU_DEP_3)
	v_sub_co_u32 v21, s0, v10, s46
	v_add_nc_u64_e32 v[32:33], 2, v[30:31]
	v_subrev_co_ci_u32_e64 v1, null, 0, v1, s0
	s_delay_alu instid0(VALU_DEP_3) | instskip(SKIP_2) | instid1(VALU_DEP_4)
	v_cmp_le_u32_e32 vcc_lo, s46, v21
	v_add_nc_u64_e32 v[34:35], 1, v[30:31]
	v_cndmask_b32_e64 v21, 0, -1, vcc_lo
	v_cmp_le_u32_e32 vcc_lo, s47, v1
	v_cndmask_b32_e64 v29, 0, -1, vcc_lo
	v_cmp_le_u32_e32 vcc_lo, s46, v10
	v_cndmask_b32_e64 v10, 0, -1, vcc_lo
	v_cmp_le_u32_e32 vcc_lo, s47, v25
	v_cndmask_b32_e64 v36, 0, -1, vcc_lo
	v_cmp_eq_u32_e32 vcc_lo, s47, v1
	v_cndmask_b32_e32 v1, v29, v21, vcc_lo
	v_cmp_eq_u32_e32 vcc_lo, s47, v25
	s_delay_alu instid0(VALU_DEP_4) | instskip(NEXT) | instid1(VALU_DEP_3)
	v_cndmask_b32_e32 v10, v36, v10, vcc_lo
	v_cmp_ne_u32_e32 vcc_lo, 0, v1
	s_delay_alu instid0(VALU_DEP_2) | instskip(SKIP_1) | instid1(VALU_DEP_1)
	v_cmp_ne_u32_e64 s0, 0, v10
	v_dual_cndmask_b32 v1, v35, v33 :: v_dual_cndmask_b32 v10, v34, v32
	v_dual_cndmask_b32 v1, v31, v1, s0 :: v_dual_bitop2_b32 v28, s44, v28 bitop3:0x14
	s_delay_alu instid0(VALU_DEP_1) | instskip(NEXT) | instid1(VALU_DEP_2)
	v_dual_cndmask_b32 v10, v30, v10, s0 :: v_dual_mov_b32 v29, v28
	v_xor_b32_e32 v31, v1, v28
	s_delay_alu instid0(VALU_DEP_2) | instskip(NEXT) | instid1(VALU_DEP_1)
	v_xor_b32_e32 v30, v10, v28
	v_sub_nc_u64_e32 v[28:29], v[30:31], v[28:29]
.LBB113_10:                             ;   in Loop: Header=BB113_8 Depth=1
	s_and_not1_saveexec_b32 s0, s49
	s_cbranch_execz .LBB113_7
; %bb.11:                               ;   in Loop: Header=BB113_8 Depth=1
	v_cvt_f32_u32_e32 v1, s42
	s_sub_co_i32 s44, 0, s42
	v_mov_b32_e32 v29, v24
	s_delay_alu instid0(VALU_DEP_2) | instskip(SKIP_1) | instid1(TRANS32_DEP_1)
	v_rcp_iflag_f32_e32 v1, v1
	v_nop
	v_mul_f32_e32 v1, 0x4f7ffffe, v1
	s_delay_alu instid0(VALU_DEP_1) | instskip(NEXT) | instid1(VALU_DEP_1)
	v_cvt_u32_f32_e32 v1, v1
	v_mul_lo_u32 v10, s44, v1
	s_delay_alu instid0(VALU_DEP_1) | instskip(NEXT) | instid1(VALU_DEP_1)
	v_mul_hi_u32 v10, v1, v10
	v_add_nc_u32_e32 v1, v1, v10
	s_delay_alu instid0(VALU_DEP_1) | instskip(NEXT) | instid1(VALU_DEP_1)
	v_mul_hi_u32 v1, v26, v1
	v_mul_lo_u32 v10, v1, s42
	s_delay_alu instid0(VALU_DEP_1) | instskip(NEXT) | instid1(VALU_DEP_1)
	v_dual_add_nc_u32 v21, 1, v1 :: v_dual_sub_nc_u32 v10, v26, v10
	v_subrev_nc_u32_e32 v25, s42, v10
	v_cmp_le_u32_e32 vcc_lo, s42, v10
	s_delay_alu instid0(VALU_DEP_2) | instskip(NEXT) | instid1(VALU_DEP_4)
	v_cndmask_b32_e32 v10, v10, v25, vcc_lo
	v_cndmask_b32_e32 v1, v1, v21, vcc_lo
	s_delay_alu instid0(VALU_DEP_2) | instskip(NEXT) | instid1(VALU_DEP_2)
	v_cmp_le_u32_e32 vcc_lo, s42, v10
	v_add_nc_u32_e32 v21, 1, v1
	s_delay_alu instid0(VALU_DEP_1)
	v_cndmask_b32_e32 v28, v1, v21, vcc_lo
	s_branch .LBB113_7
.LBB113_12:
	s_get_pc_i64 s[0:1]
	s_add_nc_u64 s[0:1], s[0:1], .str.9@rel64+4
	s_mov_b32 s35, -1
	s_cmp_lg_u64 s[0:1], 0
	s_mov_b32 s0, 0
	s_cselect_b32 s49, -1, 0
	s_mov_b32 s53, 0
	s_mov_b32 s1, exec_lo
	v_cmpx_gt_i32_e64 v2, v6
	s_cbranch_execz .LBB113_18
; %bb.13:
	v_lshlrev_b64_e32 v[22:23], 2, v[22:23]
	v_dual_mov_b32 v24, v6 :: v_dual_ashrrev_i32 v25, 31, v6
	v_dual_mov_b32 v28, v2 :: v_dual_ashrrev_i32 v29, 31, v2
	s_mov_b32 s35, 0
	s_xor_b32 s37, s49, -1
	s_delay_alu instid0(VALU_DEP_2) | instskip(SKIP_1) | instid1(VALU_DEP_2)
	v_lshl_add_u64 v[24:25], v[24:25], 2, v[22:23]
	v_add_nc_u64_e32 v[26:27], s[14:15], v[22:23]
                                        ; implicit-def: $sgpr36
                                        ; implicit-def: $sgpr39
                                        ; implicit-def: $sgpr38
	v_add_nc_u64_e32 v[24:25], s[14:15], v[24:25]
	s_delay_alu instid0(VALU_DEP_1) | instskip(NEXT) | instid1(VALU_DEP_3)
	v_add_nc_u64_e32 v[22:23], 4, v[24:25]
	v_lshl_add_u64 v[24:25], v[28:29], 2, v[26:27]
	s_branch .LBB113_15
.LBB113_14:                             ;   in Loop: Header=BB113_15 Depth=1
	s_or_b32 exec_lo, exec_lo, s40
	s_delay_alu instid0(SALU_CYCLE_1) | instskip(NEXT) | instid1(SALU_CYCLE_1)
	s_and_b32 s40, exec_lo, s39
	s_or_b32 s35, s40, s35
	s_and_not1_b32 s36, s36, exec_lo
	s_and_b32 s40, s38, exec_lo
	s_delay_alu instid0(SALU_CYCLE_1)
	s_or_b32 s36, s36, s40
	s_and_not1_b32 exec_lo, exec_lo, s35
	s_cbranch_execz .LBB113_17
.LBB113_15:                             ; =>This Inner Loop Header: Depth=1
	s_or_b32 s38, s38, exec_lo
	s_or_b32 s39, s39, exec_lo
	s_mov_b32 s40, exec_lo
	s_delay_alu instid0(VALU_DEP_2)
	v_cmpx_lt_u64_e64 v[22:23], v[24:25]
	s_cbranch_execz .LBB113_14
; %bb.16:                               ;   in Loop: Header=BB113_15 Depth=1
	global_load_b64 v[26:27], v[22:23], off offset:-4
	s_wait_xcnt 0x0
	v_add_nc_u64_e32 v[22:23], 4, v[22:23]
	s_and_not1_b32 s39, s39, exec_lo
	s_and_not1_b32 s38, s38, exec_lo
	s_wait_loadcnt 0x0
	v_cmp_ge_i32_e32 vcc_lo, v26, v27
	s_or_b32 s41, s37, vcc_lo
	s_delay_alu instid0(SALU_CYCLE_1) | instskip(NEXT) | instid1(SALU_CYCLE_1)
	s_and_b32 s41, s41, exec_lo
	s_or_b32 s39, s39, s41
	s_branch .LBB113_14
.LBB113_17:
	s_or_b32 exec_lo, exec_lo, s35
	s_delay_alu instid0(SALU_CYCLE_1)
	s_mov_b32 s53, exec_lo
	s_or_not1_b32 s35, s36, exec_lo
.LBB113_18:
	s_or_b32 exec_lo, exec_lo, s1
	s_mov_b32 s36, 0
	s_mov_b32 s37, 0
	;; [unrolled: 1-line block ×3, first 2 shown]
	s_and_saveexec_b32 s54, s35
	s_cbranch_execz .LBB113_64
; %bb.19:
	s_mov_b32 s0, 0
	s_mov_b32 s1, -1
	s_mov_b32 s35, 0
	s_mov_b32 s55, exec_lo
	s_wait_loadcnt 0x1
	v_cmpx_eq_u32_e64 s33, v18
	s_cbranch_execz .LBB113_63
; %bb.20:
	s_mov_b32 s0, -1
	s_mov_b32 s38, 0
	s_mov_b32 s39, 0
	s_mov_b32 s56, exec_lo
	v_cmpx_eq_u32_e64 v15, v14
	s_cbranch_execz .LBB113_62
; %bb.21:
	v_sub_nc_u32_e32 v1, v3, v7
	s_mov_b32 s35, -1
	s_mov_b32 s1, 0
	s_delay_alu instid0(VALU_DEP_1) | instskip(SKIP_2) | instid1(SALU_CYCLE_1)
	v_cmp_le_i32_e32 vcc_lo, s33, v1
	v_cmp_ge_i32_e64 s0, s4, v1
	s_and_b32 s0, vcc_lo, s0
	s_and_saveexec_b32 s57, s0
	s_cbranch_execz .LBB113_61
; %bb.22:
	v_mov_b64_e32 v[22:23], 0
	s_and_not1_b32 vcc_lo, exec_lo, s50
	s_cbranch_vccnz .LBB113_29
; %bb.23:
	s_wait_loadcnt 0x0
	v_dual_mov_b32 v22, v11 :: v_dual_ashrrev_i32 v23, 31, v11
	s_mov_b32 s35, s1
	v_mov_b32_e32 v10, 0
	s_lshl_b64 s[40:41], s[34:35], 3
	s_mov_b64 s[36:37], 0xffffffff
	v_mul_u64_e32 v[24:25], s[6:7], v[22:23]
	v_mov_b64_e32 v[22:23], 0
	s_add_nc_u64 s[38:39], s[10:11], s[40:41]
	s_add_nc_u64 s[40:41], s[12:13], s[40:41]
	s_mov_b32 s35, s8
	s_branch .LBB113_25
.LBB113_24:                             ;   in Loop: Header=BB113_25 Depth=1
	s_or_b32 exec_lo, exec_lo, s0
	s_delay_alu instid0(VALU_DEP_1)
	v_mul_u64_e32 v[28:29], s[42:43], v[26:27]
	s_load_b64 s[42:43], s[40:41], 0x0
	s_add_co_i32 s35, s35, -1
	s_add_nc_u64 s[38:39], s[38:39], -8
	s_cmp_lg_u32 s35, 0
	s_wait_xcnt 0x0
	s_add_nc_u64 s[40:41], s[40:41], -8
	s_delay_alu instid0(VALU_DEP_1) | instskip(SKIP_1) | instid1(VALU_DEP_1)
	v_sub_nc_u64_e32 v[24:25], v[24:25], v[28:29]
	s_wait_kmcnt 0x0
	v_mad_nc_u64_u32 v[22:23], v24, s42, v[22:23]
	s_delay_alu instid0(VALU_DEP_1) | instskip(NEXT) | instid1(VALU_DEP_1)
	v_mad_u32 v1, v25, s42, v23
	v_mad_u32 v23, v24, s43, v1
	v_mov_b64_e32 v[24:25], v[26:27]
	s_cbranch_scc0 .LBB113_29
.LBB113_25:                             ; =>This Inner Loop Header: Depth=1
	s_load_b64 s[42:43], s[38:39], 0x0
                                        ; implicit-def: $vgpr26_vgpr27
	s_mov_b32 s0, exec_lo
	s_wait_kmcnt 0x0
	s_delay_alu instid0(VALU_DEP_1) | instskip(NEXT) | instid1(VALU_DEP_1)
	v_or_b32_e32 v11, s43, v25
	v_cmpx_ne_u64_e32 0, v[10:11]
	s_xor_b32 s58, exec_lo, s0
	s_cbranch_execz .LBB113_27
; %bb.26:                               ;   in Loop: Header=BB113_25 Depth=1
	s_ashr_i32 s44, s43, 31
	v_dual_mov_b32 v31, v10 :: v_dual_ashrrev_i32 v26, 31, v25
	s_mov_b32 s45, s44
	v_mov_b32_e32 v39, v10
	s_add_nc_u64 s[46:47], s[42:43], s[44:45]
	s_delay_alu instid0(VALU_DEP_2) | instskip(SKIP_1) | instid1(SALU_CYCLE_1)
	v_mov_b32_e32 v27, v26
	s_xor_b64 s[46:47], s[46:47], s[44:45]
	s_cvt_f32_u32 s0, s46
	s_cvt_f32_u32 s45, s47
	s_sub_nc_u64 s[62:63], 0, s[46:47]
	v_add_nc_u64_e32 v[28:29], v[24:25], v[26:27]
	v_mov_b32_e32 v35, v10
	s_fmamk_f32 s0, s45, 0x4f800000, s0
	s_delay_alu instid0(SALU_CYCLE_3) | instskip(NEXT) | instid1(VALU_DEP_2)
	v_s_rcp_f32 s0, s0
	v_xor_b32_e32 v30, v28, v26
	s_delay_alu instid0(VALU_DEP_3) | instskip(NEXT) | instid1(TRANS32_DEP_1)
	v_xor_b32_e32 v34, v29, v26
	s_mul_f32 s0, s0, 0x5f7ffffc
	s_delay_alu instid0(SALU_CYCLE_3) | instskip(NEXT) | instid1(SALU_CYCLE_3)
	s_mul_f32 s45, s0, 0x2f800000
	s_trunc_f32 s45, s45
	s_delay_alu instid0(SALU_CYCLE_3) | instskip(SKIP_1) | instid1(SALU_CYCLE_2)
	s_fmamk_f32 s0, s45, 0xcf800000, s0
	s_cvt_u32_f32 s61, s45
	s_cvt_u32_f32 s60, s0
	s_delay_alu instid0(SALU_CYCLE_3) | instskip(NEXT) | instid1(SALU_CYCLE_1)
	s_mul_u64 s[64:65], s[62:63], s[60:61]
	s_mul_hi_u32 s67, s60, s65
	s_mul_i32 s66, s60, s65
	s_mul_hi_u32 s0, s60, s64
	s_mul_i32 s59, s61, s64
	s_add_nc_u64 s[66:67], s[0:1], s[66:67]
	s_mul_hi_u32 s45, s61, s64
	s_mul_hi_u32 s68, s61, s65
	s_add_co_u32 s0, s66, s59
	s_add_co_ci_u32 s0, s67, s45
	s_mul_i32 s64, s61, s65
	s_add_co_ci_u32 s65, s68, 0
	s_delay_alu instid0(SALU_CYCLE_1) | instskip(NEXT) | instid1(SALU_CYCLE_1)
	s_add_nc_u64 s[64:65], s[0:1], s[64:65]
	s_add_co_u32 s60, s60, s64
	s_cselect_b32 s0, -1, 0
	s_delay_alu instid0(SALU_CYCLE_1) | instskip(SKIP_1) | instid1(SALU_CYCLE_1)
	s_cmp_lg_u32 s0, 0
	s_add_co_ci_u32 s61, s61, s65
	s_mul_u64 s[62:63], s[62:63], s[60:61]
	s_delay_alu instid0(SALU_CYCLE_1)
	s_mul_hi_u32 s65, s60, s63
	s_mul_i32 s64, s60, s63
	s_mul_hi_u32 s0, s60, s62
	s_mul_i32 s59, s61, s62
	s_add_nc_u64 s[64:65], s[0:1], s[64:65]
	s_mul_hi_u32 s45, s61, s62
	s_mul_hi_u32 s66, s61, s63
	s_add_co_u32 s0, s64, s59
	s_add_co_ci_u32 s0, s65, s45
	s_mul_i32 s62, s61, s63
	s_add_co_ci_u32 s63, s66, 0
	s_delay_alu instid0(SALU_CYCLE_1) | instskip(NEXT) | instid1(SALU_CYCLE_1)
	s_add_nc_u64 s[62:63], s[0:1], s[62:63]
	s_add_co_u32 s60, s60, s62
	s_cselect_b32 s0, -1, 0
	v_mul_hi_u32 v38, v30, s60
	s_cmp_lg_u32 s0, 0
	s_add_co_ci_u32 s0, s61, s63
	s_and_b64 s[62:63], s[60:61], s[36:37]
	v_mul_u64_e32 v[32:33], s[0:1], v[30:31]
	v_mul_u64_e32 v[28:29], s[62:63], v[34:35]
	v_mul_u64_e32 v[36:37], s[0:1], v[34:35]
	s_delay_alu instid0(VALU_DEP_3) | instskip(NEXT) | instid1(VALU_DEP_1)
	v_add_nc_u64_e32 v[32:33], v[38:39], v[32:33]
	v_add_co_u32 v1, vcc_lo, v32, v28
	s_delay_alu instid0(VALU_DEP_2) | instskip(NEXT) | instid1(VALU_DEP_4)
	v_add_co_ci_u32_e32 v38, vcc_lo, v33, v29, vcc_lo
	v_add_co_ci_u32_e32 v37, vcc_lo, 0, v37, vcc_lo
	s_delay_alu instid0(VALU_DEP_1) | instskip(NEXT) | instid1(VALU_DEP_1)
	v_add_nc_u64_e32 v[28:29], v[38:39], v[36:37]
	v_mul_u64_e32 v[32:33], s[46:47], v[28:29]
	s_delay_alu instid0(VALU_DEP_1) | instskip(SKIP_1) | instid1(VALU_DEP_3)
	v_sub_co_u32 v2, vcc_lo, v30, v32
	v_add_nc_u64_e32 v[30:31], 2, v[28:29]
	v_sub_nc_u32_e32 v1, v34, v33
	v_sub_co_ci_u32_e64 v11, null, v34, v33, vcc_lo
	s_delay_alu instid0(VALU_DEP_4) | instskip(NEXT) | instid1(VALU_DEP_3)
	v_sub_co_u32 v6, s0, v2, s46
	v_subrev_co_ci_u32_e64 v1, null, s47, v1, vcc_lo
	v_add_nc_u64_e32 v[32:33], 1, v[28:29]
	s_delay_alu instid0(VALU_DEP_3) | instskip(NEXT) | instid1(VALU_DEP_3)
	v_cmp_le_u32_e32 vcc_lo, s46, v6
	v_subrev_co_ci_u32_e64 v1, null, 0, v1, s0
	v_cndmask_b32_e64 v6, 0, -1, vcc_lo
	s_delay_alu instid0(VALU_DEP_2)
	v_cmp_le_u32_e32 vcc_lo, s47, v1
	v_cndmask_b32_e64 v15, 0, -1, vcc_lo
	v_cmp_le_u32_e32 vcc_lo, s46, v2
	v_cndmask_b32_e64 v2, 0, -1, vcc_lo
	v_cmp_le_u32_e32 vcc_lo, s47, v11
	v_cndmask_b32_e64 v18, 0, -1, vcc_lo
	v_cmp_eq_u32_e32 vcc_lo, s47, v1
	v_cndmask_b32_e32 v1, v15, v6, vcc_lo
	v_cmp_eq_u32_e32 vcc_lo, s47, v11
	s_delay_alu instid0(VALU_DEP_4) | instskip(NEXT) | instid1(VALU_DEP_3)
	v_cndmask_b32_e32 v2, v18, v2, vcc_lo
	v_cmp_ne_u32_e32 vcc_lo, 0, v1
	v_cndmask_b32_e32 v1, v33, v31, vcc_lo
	s_delay_alu instid0(VALU_DEP_3) | instskip(SKIP_1) | instid1(VALU_DEP_2)
	v_cmp_ne_u32_e64 s0, 0, v2
	v_cndmask_b32_e32 v2, v32, v30, vcc_lo
	v_dual_cndmask_b32 v1, v29, v1, s0 :: v_dual_bitop2_b32 v26, s44, v26 bitop3:0x14
	s_delay_alu instid0(VALU_DEP_1) | instskip(NEXT) | instid1(VALU_DEP_2)
	v_dual_cndmask_b32 v2, v28, v2, s0 :: v_dual_mov_b32 v27, v26
	v_xor_b32_e32 v29, v1, v26
	s_delay_alu instid0(VALU_DEP_2) | instskip(NEXT) | instid1(VALU_DEP_1)
	v_xor_b32_e32 v28, v2, v26
	v_sub_nc_u64_e32 v[26:27], v[28:29], v[26:27]
.LBB113_27:                             ;   in Loop: Header=BB113_25 Depth=1
	s_and_not1_saveexec_b32 s0, s58
	s_cbranch_execz .LBB113_24
; %bb.28:                               ;   in Loop: Header=BB113_25 Depth=1
	v_cvt_f32_u32_e32 v1, s42
	s_sub_co_i32 s44, 0, s42
	v_mov_b32_e32 v27, v10
	s_delay_alu instid0(VALU_DEP_2) | instskip(SKIP_1) | instid1(TRANS32_DEP_1)
	v_rcp_iflag_f32_e32 v1, v1
	v_nop
	v_mul_f32_e32 v1, 0x4f7ffffe, v1
	s_delay_alu instid0(VALU_DEP_1) | instskip(NEXT) | instid1(VALU_DEP_1)
	v_cvt_u32_f32_e32 v1, v1
	v_mul_lo_u32 v2, s44, v1
	s_delay_alu instid0(VALU_DEP_1) | instskip(NEXT) | instid1(VALU_DEP_1)
	v_mul_hi_u32 v2, v1, v2
	v_add_nc_u32_e32 v1, v1, v2
	s_delay_alu instid0(VALU_DEP_1) | instskip(NEXT) | instid1(VALU_DEP_1)
	v_mul_hi_u32 v1, v24, v1
	v_mul_lo_u32 v2, v1, s42
	s_delay_alu instid0(VALU_DEP_1) | instskip(NEXT) | instid1(VALU_DEP_1)
	v_dual_add_nc_u32 v6, 1, v1 :: v_dual_sub_nc_u32 v2, v24, v2
	v_subrev_nc_u32_e32 v11, s42, v2
	v_cmp_le_u32_e32 vcc_lo, s42, v2
	s_delay_alu instid0(VALU_DEP_2) | instskip(NEXT) | instid1(VALU_DEP_1)
	v_dual_cndmask_b32 v2, v2, v11 :: v_dual_cndmask_b32 v1, v1, v6
	v_cmp_le_u32_e32 vcc_lo, s42, v2
	s_delay_alu instid0(VALU_DEP_2) | instskip(NEXT) | instid1(VALU_DEP_1)
	v_add_nc_u32_e32 v6, 1, v1
	v_cndmask_b32_e32 v26, v1, v6, vcc_lo
	s_branch .LBB113_24
.LBB113_29:
	s_mov_b32 s35, -1
	s_mov_b32 s0, 0
	s_mov_b32 s58, 0
	s_mov_b32 s1, exec_lo
	v_cmpx_gt_i32_e64 v3, v7
	s_cbranch_execz .LBB113_35
; %bb.30:
	s_wait_loadcnt 0x0
	s_delay_alu instid0(VALU_DEP_2) | instskip(SKIP_3) | instid1(VALU_DEP_1)
	v_lshlrev_b64_e32 v[10:11], 2, v[22:23]
	v_dual_mov_b32 v22, v7 :: v_dual_ashrrev_i32 v23, 31, v7
	s_mov_b32 s35, 0
	s_xor_b32 s37, s49, -1
                                        ; implicit-def: $sgpr36
                                        ; implicit-def: $sgpr39
                                        ; implicit-def: $sgpr38
	v_lshl_add_u64 v[6:7], v[22:23], 2, v[10:11]
	v_add_nc_u64_e32 v[10:11], s[14:15], v[10:11]
	v_dual_mov_b32 v22, v3 :: v_dual_ashrrev_i32 v23, 31, v3
	s_delay_alu instid0(VALU_DEP_3) | instskip(NEXT) | instid1(VALU_DEP_1)
	v_add_nc_u64_e32 v[6:7], s[14:15], v[6:7]
	v_add_nc_u64_e32 v[2:3], 4, v[6:7]
	s_delay_alu instid0(VALU_DEP_3)
	v_lshl_add_u64 v[6:7], v[22:23], 2, v[10:11]
	s_branch .LBB113_32
.LBB113_31:                             ;   in Loop: Header=BB113_32 Depth=1
	s_or_b32 exec_lo, exec_lo, s40
	s_delay_alu instid0(SALU_CYCLE_1) | instskip(NEXT) | instid1(SALU_CYCLE_1)
	s_and_b32 s40, exec_lo, s39
	s_or_b32 s35, s40, s35
	s_and_not1_b32 s36, s36, exec_lo
	s_and_b32 s40, s38, exec_lo
	s_delay_alu instid0(SALU_CYCLE_1)
	s_or_b32 s36, s36, s40
	s_and_not1_b32 exec_lo, exec_lo, s35
	s_cbranch_execz .LBB113_34
.LBB113_32:                             ; =>This Inner Loop Header: Depth=1
	s_or_b32 s38, s38, exec_lo
	s_or_b32 s39, s39, exec_lo
	s_mov_b32 s40, exec_lo
	s_delay_alu instid0(VALU_DEP_2)
	v_cmpx_lt_u64_e64 v[2:3], v[6:7]
	s_cbranch_execz .LBB113_31
; %bb.33:                               ;   in Loop: Header=BB113_32 Depth=1
	global_load_b64 v[10:11], v[2:3], off offset:-4
	s_and_not1_b32 s39, s39, exec_lo
	s_wait_xcnt 0x0
	v_add_nc_u64_e32 v[2:3], 4, v[2:3]
	s_and_not1_b32 s38, s38, exec_lo
	s_wait_loadcnt 0x0
	v_cmp_ge_i32_e32 vcc_lo, v10, v11
	s_or_b32 s41, s37, vcc_lo
	s_delay_alu instid0(SALU_CYCLE_1) | instskip(NEXT) | instid1(SALU_CYCLE_1)
	s_and_b32 s41, s41, exec_lo
	s_or_b32 s39, s39, s41
	s_branch .LBB113_31
.LBB113_34:
	s_or_b32 exec_lo, exec_lo, s35
	s_delay_alu instid0(SALU_CYCLE_1)
	s_mov_b32 s58, exec_lo
	s_or_not1_b32 s35, s36, exec_lo
.LBB113_35:
	s_or_b32 exec_lo, exec_lo, s1
	s_mov_b32 s1, 0
	s_mov_b32 s36, 0
	;; [unrolled: 1-line block ×3, first 2 shown]
	s_and_saveexec_b32 s59, s35
	s_cbranch_execz .LBB113_60
; %bb.36:
	s_mov_b32 s0, 0
	s_mov_b32 s1, -1
	s_mov_b32 s35, 0
	s_mov_b32 s60, exec_lo
	v_cmpx_eq_u32_e64 s33, v19
	s_cbranch_execz .LBB113_59
; %bb.37:
	s_mov_b32 s0, -1
	s_mov_b32 s38, 0
	s_mov_b32 s39, 0
	s_mov_b32 s61, exec_lo
	v_cmpx_eq_u32_e64 v16, v14
	s_cbranch_execz .LBB113_58
; %bb.38:
	v_sub_nc_u32_e32 v1, v4, v8
	s_mov_b32 s35, -1
	s_mov_b32 s1, 0
	s_delay_alu instid0(VALU_DEP_1) | instskip(SKIP_2) | instid1(SALU_CYCLE_1)
	v_cmp_le_i32_e32 vcc_lo, s33, v1
	v_cmp_ge_i32_e64 s0, s4, v1
	s_and_b32 s0, vcc_lo, s0
	s_and_saveexec_b32 s62, s0
	s_cbranch_execz .LBB113_57
; %bb.39:
	v_mov_b64_e32 v[2:3], 0
	s_and_not1_b32 vcc_lo, exec_lo, s50
	s_cbranch_vccnz .LBB113_46
; %bb.40:
	s_wait_loadcnt 0x0
	v_dual_mov_b32 v2, v12 :: v_dual_ashrrev_i32 v3, 31, v12
	s_mov_b32 s35, s1
	v_mov_b32_e32 v6, 0
	s_lshl_b64 s[40:41], s[34:35], 3
	s_mov_b64 s[36:37], 0xffffffff
	v_mul_u64_e32 v[10:11], s[6:7], v[2:3]
	v_mov_b64_e32 v[2:3], 0
	s_add_nc_u64 s[38:39], s[10:11], s[40:41]
	s_add_nc_u64 s[40:41], s[12:13], s[40:41]
	s_mov_b32 s35, s8
	s_branch .LBB113_42
.LBB113_41:                             ;   in Loop: Header=BB113_42 Depth=1
	s_or_b32 exec_lo, exec_lo, s0
	s_delay_alu instid0(VALU_DEP_1)
	v_mul_u64_e32 v[22:23], s[42:43], v[18:19]
	s_load_b64 s[42:43], s[40:41], 0x0
	s_add_co_i32 s35, s35, -1
	s_add_nc_u64 s[38:39], s[38:39], -8
	s_cmp_lg_u32 s35, 0
	s_wait_xcnt 0x0
	s_add_nc_u64 s[40:41], s[40:41], -8
	s_delay_alu instid0(VALU_DEP_1) | instskip(SKIP_1) | instid1(VALU_DEP_1)
	v_sub_nc_u64_e32 v[10:11], v[10:11], v[22:23]
	s_wait_kmcnt 0x0
	v_mad_nc_u64_u32 v[2:3], v10, s42, v[2:3]
	s_delay_alu instid0(VALU_DEP_1) | instskip(NEXT) | instid1(VALU_DEP_1)
	v_mad_u32 v1, v11, s42, v3
	v_mad_u32 v3, v10, s43, v1
	v_mov_b64_e32 v[10:11], v[18:19]
	s_cbranch_scc0 .LBB113_46
.LBB113_42:                             ; =>This Inner Loop Header: Depth=1
	s_load_b64 s[42:43], s[38:39], 0x0
                                        ; implicit-def: $vgpr18_vgpr19
	s_mov_b32 s0, exec_lo
	s_wait_kmcnt 0x0
	s_delay_alu instid0(VALU_DEP_1) | instskip(NEXT) | instid1(VALU_DEP_1)
	v_or_b32_e32 v7, s43, v11
	v_cmpx_ne_u64_e32 0, v[6:7]
	s_xor_b32 s63, exec_lo, s0
	s_cbranch_execz .LBB113_44
; %bb.43:                               ;   in Loop: Header=BB113_42 Depth=1
	s_ashr_i32 s44, s43, 31
	v_dual_mov_b32 v25, v6 :: v_dual_ashrrev_i32 v18, 31, v11
	s_mov_b32 s45, s44
	v_mov_b32_e32 v29, v6
	s_add_nc_u64 s[46:47], s[42:43], s[44:45]
	s_delay_alu instid0(VALU_DEP_2)
	v_mov_b32_e32 v19, v18
	s_xor_b64 s[46:47], s[46:47], s[44:45]
	v_mov_b32_e32 v33, v6
	s_cvt_f32_u32 s0, s46
	s_cvt_f32_u32 s45, s47
	s_sub_nc_u64 s[66:67], 0, s[46:47]
	v_add_nc_u64_e32 v[22:23], v[10:11], v[18:19]
	s_delay_alu instid0(SALU_CYCLE_1) | instskip(NEXT) | instid1(SALU_CYCLE_3)
	s_fmamk_f32 s0, s45, 0x4f800000, s0
	v_s_rcp_f32 s0, s0
	s_delay_alu instid0(VALU_DEP_1) | instskip(NEXT) | instid1(VALU_DEP_2)
	v_xor_b32_e32 v28, v23, v18
	v_xor_b32_e32 v24, v22, v18
	s_delay_alu instid0(TRANS32_DEP_1) | instskip(NEXT) | instid1(SALU_CYCLE_3)
	s_mul_f32 s0, s0, 0x5f7ffffc
	s_mul_f32 s45, s0, 0x2f800000
	s_delay_alu instid0(SALU_CYCLE_3) | instskip(NEXT) | instid1(SALU_CYCLE_3)
	s_trunc_f32 s45, s45
	s_fmamk_f32 s0, s45, 0xcf800000, s0
	s_cvt_u32_f32 s65, s45
	s_delay_alu instid0(SALU_CYCLE_2) | instskip(NEXT) | instid1(SALU_CYCLE_3)
	s_cvt_u32_f32 s64, s0
	s_mul_u64 s[68:69], s[66:67], s[64:65]
	s_delay_alu instid0(SALU_CYCLE_1)
	s_mul_hi_u32 s71, s64, s69
	s_mul_i32 s70, s64, s69
	s_mul_hi_u32 s0, s64, s68
	s_mul_i32 s72, s65, s68
	s_add_nc_u64 s[70:71], s[0:1], s[70:71]
	s_mul_hi_u32 s45, s65, s68
	s_mul_hi_u32 s73, s65, s69
	s_add_co_u32 s0, s70, s72
	s_add_co_ci_u32 s0, s71, s45
	s_mul_i32 s68, s65, s69
	s_add_co_ci_u32 s69, s73, 0
	s_delay_alu instid0(SALU_CYCLE_1) | instskip(NEXT) | instid1(SALU_CYCLE_1)
	s_add_nc_u64 s[68:69], s[0:1], s[68:69]
	s_add_co_u32 s64, s64, s68
	s_cselect_b32 s0, -1, 0
	s_delay_alu instid0(SALU_CYCLE_1) | instskip(SKIP_1) | instid1(SALU_CYCLE_1)
	s_cmp_lg_u32 s0, 0
	s_add_co_ci_u32 s65, s65, s69
	s_mul_u64 s[66:67], s[66:67], s[64:65]
	s_delay_alu instid0(SALU_CYCLE_1)
	s_mul_hi_u32 s69, s64, s67
	s_mul_i32 s68, s64, s67
	s_mul_hi_u32 s0, s64, s66
	s_mul_i32 s70, s65, s66
	s_add_nc_u64 s[68:69], s[0:1], s[68:69]
	s_mul_hi_u32 s45, s65, s66
	s_mul_hi_u32 s71, s65, s67
	s_add_co_u32 s0, s68, s70
	s_add_co_ci_u32 s0, s69, s45
	s_mul_i32 s66, s65, s67
	s_add_co_ci_u32 s67, s71, 0
	s_delay_alu instid0(SALU_CYCLE_1) | instskip(NEXT) | instid1(SALU_CYCLE_1)
	s_add_nc_u64 s[66:67], s[0:1], s[66:67]
	s_add_co_u32 s64, s64, s66
	s_cselect_b32 s0, -1, 0
	v_mul_hi_u32 v32, v24, s64
	s_cmp_lg_u32 s0, 0
	s_add_co_ci_u32 s0, s65, s67
	s_and_b64 s[66:67], s[64:65], s[36:37]
	v_mul_u64_e32 v[26:27], s[0:1], v[24:25]
	v_mul_u64_e32 v[22:23], s[66:67], v[28:29]
	;; [unrolled: 1-line block ×3, first 2 shown]
	s_delay_alu instid0(VALU_DEP_3) | instskip(NEXT) | instid1(VALU_DEP_1)
	v_add_nc_u64_e32 v[26:27], v[32:33], v[26:27]
	v_add_co_u32 v1, vcc_lo, v26, v22
	s_delay_alu instid0(VALU_DEP_2) | instskip(NEXT) | instid1(VALU_DEP_4)
	v_add_co_ci_u32_e32 v32, vcc_lo, v27, v23, vcc_lo
	v_add_co_ci_u32_e32 v31, vcc_lo, 0, v31, vcc_lo
	s_delay_alu instid0(VALU_DEP_1) | instskip(NEXT) | instid1(VALU_DEP_1)
	v_add_nc_u64_e32 v[22:23], v[32:33], v[30:31]
	v_mul_u64_e32 v[26:27], s[46:47], v[22:23]
	s_delay_alu instid0(VALU_DEP_1) | instskip(NEXT) | instid1(VALU_DEP_2)
	v_sub_nc_u32_e32 v1, v28, v27
	v_sub_co_u32 v7, vcc_lo, v24, v26
	s_delay_alu instid0(VALU_DEP_1) | instskip(NEXT) | instid1(VALU_DEP_3)
	v_sub_co_ci_u32_e64 v15, null, v28, v27, vcc_lo
	v_subrev_co_ci_u32_e64 v1, null, s47, v1, vcc_lo
	s_delay_alu instid0(VALU_DEP_3) | instskip(SKIP_1) | instid1(VALU_DEP_3)
	v_sub_co_u32 v12, s0, v7, s46
	v_add_nc_u64_e32 v[24:25], 2, v[22:23]
	v_subrev_co_ci_u32_e64 v1, null, 0, v1, s0
	s_delay_alu instid0(VALU_DEP_3) | instskip(SKIP_2) | instid1(VALU_DEP_4)
	v_cmp_le_u32_e32 vcc_lo, s46, v12
	v_add_nc_u64_e32 v[26:27], 1, v[22:23]
	v_cndmask_b32_e64 v12, 0, -1, vcc_lo
	v_cmp_le_u32_e32 vcc_lo, s47, v1
	v_cndmask_b32_e64 v16, 0, -1, vcc_lo
	v_cmp_le_u32_e32 vcc_lo, s46, v7
	;; [unrolled: 2-line block ×3, first 2 shown]
	v_cndmask_b32_e64 v19, 0, -1, vcc_lo
	v_cmp_eq_u32_e32 vcc_lo, s47, v1
	v_cndmask_b32_e32 v1, v16, v12, vcc_lo
	v_cmp_eq_u32_e32 vcc_lo, s47, v15
	s_delay_alu instid0(VALU_DEP_4) | instskip(NEXT) | instid1(VALU_DEP_3)
	v_cndmask_b32_e32 v7, v19, v7, vcc_lo
	v_cmp_ne_u32_e32 vcc_lo, 0, v1
	s_delay_alu instid0(VALU_DEP_2) | instskip(SKIP_1) | instid1(VALU_DEP_1)
	v_cmp_ne_u32_e64 s0, 0, v7
	v_dual_cndmask_b32 v1, v27, v25, vcc_lo :: v_dual_cndmask_b32 v7, v26, v24, vcc_lo
	v_dual_cndmask_b32 v1, v23, v1, s0 :: v_dual_bitop2_b32 v18, s44, v18 bitop3:0x14
	s_delay_alu instid0(VALU_DEP_1) | instskip(NEXT) | instid1(VALU_DEP_1)
	v_dual_cndmask_b32 v7, v22, v7, s0 :: v_dual_bitop2_b32 v23, v1, v18 bitop3:0x14
	v_dual_mov_b32 v19, v18 :: v_dual_bitop2_b32 v22, v7, v18 bitop3:0x14
	s_delay_alu instid0(VALU_DEP_1)
	v_sub_nc_u64_e32 v[18:19], v[22:23], v[18:19]
.LBB113_44:                             ;   in Loop: Header=BB113_42 Depth=1
	s_and_not1_saveexec_b32 s0, s63
	s_cbranch_execz .LBB113_41
; %bb.45:                               ;   in Loop: Header=BB113_42 Depth=1
	v_cvt_f32_u32_e32 v1, s42
	s_sub_co_i32 s44, 0, s42
	v_mov_b32_e32 v19, v6
	s_delay_alu instid0(VALU_DEP_2) | instskip(SKIP_1) | instid1(TRANS32_DEP_1)
	v_rcp_iflag_f32_e32 v1, v1
	v_nop
	v_mul_f32_e32 v1, 0x4f7ffffe, v1
	s_delay_alu instid0(VALU_DEP_1) | instskip(NEXT) | instid1(VALU_DEP_1)
	v_cvt_u32_f32_e32 v1, v1
	v_mul_lo_u32 v7, s44, v1
	s_delay_alu instid0(VALU_DEP_1) | instskip(NEXT) | instid1(VALU_DEP_1)
	v_mul_hi_u32 v7, v1, v7
	v_add_nc_u32_e32 v1, v1, v7
	s_delay_alu instid0(VALU_DEP_1) | instskip(NEXT) | instid1(VALU_DEP_1)
	v_mul_hi_u32 v1, v10, v1
	v_mul_lo_u32 v7, v1, s42
	s_delay_alu instid0(VALU_DEP_1) | instskip(NEXT) | instid1(VALU_DEP_1)
	v_sub_nc_u32_e32 v7, v10, v7
	v_subrev_nc_u32_e32 v15, s42, v7
	v_cmp_le_u32_e32 vcc_lo, s42, v7
	s_delay_alu instid0(VALU_DEP_2) | instskip(NEXT) | instid1(VALU_DEP_1)
	v_dual_cndmask_b32 v7, v7, v15 :: v_dual_add_nc_u32 v12, 1, v1
	v_cndmask_b32_e32 v1, v1, v12, vcc_lo
	s_delay_alu instid0(VALU_DEP_2) | instskip(NEXT) | instid1(VALU_DEP_2)
	v_cmp_le_u32_e32 vcc_lo, s42, v7
	v_add_nc_u32_e32 v12, 1, v1
	s_delay_alu instid0(VALU_DEP_1)
	v_cndmask_b32_e32 v18, v1, v12, vcc_lo
	s_branch .LBB113_41
.LBB113_46:
	s_mov_b32 s38, -1
	s_mov_b32 s0, 0
	s_mov_b32 s35, 0
	s_mov_b32 s1, exec_lo
	v_cmpx_gt_i32_e64 v4, v8
	s_cbranch_execz .LBB113_52
; %bb.47:
	s_delay_alu instid0(VALU_DEP_2) | instskip(SKIP_3) | instid1(VALU_DEP_2)
	v_lshlrev_b64_e32 v[2:3], 2, v[2:3]
	v_dual_mov_b32 v6, v8 :: v_dual_ashrrev_i32 v7, 31, v8
	v_dual_mov_b32 v18, v4 :: v_dual_ashrrev_i32 v19, 31, v4
	s_xor_b32 s37, s49, -1
                                        ; implicit-def: $sgpr36
                                        ; implicit-def: $sgpr39
                                        ; implicit-def: $sgpr38
	v_lshl_add_u64 v[6:7], v[6:7], 2, v[2:3]
	s_wait_loadcnt 0x0
	v_add_nc_u64_e32 v[10:11], s[14:15], v[2:3]
	s_delay_alu instid0(VALU_DEP_2) | instskip(NEXT) | instid1(VALU_DEP_1)
	v_add_nc_u64_e32 v[6:7], s[14:15], v[6:7]
	v_add_nc_u64_e32 v[2:3], 4, v[6:7]
	s_delay_alu instid0(VALU_DEP_3)
	v_lshl_add_u64 v[6:7], v[18:19], 2, v[10:11]
	s_branch .LBB113_49
.LBB113_48:                             ;   in Loop: Header=BB113_49 Depth=1
	s_or_b32 exec_lo, exec_lo, s40
	s_delay_alu instid0(SALU_CYCLE_1) | instskip(NEXT) | instid1(SALU_CYCLE_1)
	s_and_b32 s40, exec_lo, s39
	s_or_b32 s35, s40, s35
	s_and_not1_b32 s36, s36, exec_lo
	s_and_b32 s40, s38, exec_lo
	s_delay_alu instid0(SALU_CYCLE_1)
	s_or_b32 s36, s36, s40
	s_and_not1_b32 exec_lo, exec_lo, s35
	s_cbranch_execz .LBB113_51
.LBB113_49:                             ; =>This Inner Loop Header: Depth=1
	s_or_b32 s38, s38, exec_lo
	s_or_b32 s39, s39, exec_lo
	s_mov_b32 s40, exec_lo
	s_delay_alu instid0(VALU_DEP_2)
	v_cmpx_lt_u64_e64 v[2:3], v[6:7]
	s_cbranch_execz .LBB113_48
; %bb.50:                               ;   in Loop: Header=BB113_49 Depth=1
	global_load_b64 v[10:11], v[2:3], off offset:-4
	s_and_not1_b32 s39, s39, exec_lo
	s_wait_xcnt 0x0
	v_add_nc_u64_e32 v[2:3], 4, v[2:3]
	s_and_not1_b32 s38, s38, exec_lo
	s_wait_loadcnt 0x0
	v_cmp_ge_i32_e32 vcc_lo, v10, v11
	s_or_b32 s41, s37, vcc_lo
	s_delay_alu instid0(SALU_CYCLE_1) | instskip(NEXT) | instid1(SALU_CYCLE_1)
	s_and_b32 s41, s41, exec_lo
	s_or_b32 s39, s39, s41
	s_branch .LBB113_48
.LBB113_51:
	s_or_b32 exec_lo, exec_lo, s35
	s_delay_alu instid0(SALU_CYCLE_1)
	s_mov_b32 s35, exec_lo
	s_or_not1_b32 s38, s36, exec_lo
.LBB113_52:
	s_or_b32 exec_lo, exec_lo, s1
	s_mov_b32 s36, 0
	s_mov_b32 s37, 0
	s_and_saveexec_b32 s1, s38
	s_cbranch_execz .LBB113_56
; %bb.53:
	s_mov_b32 s0, 0
	s_mov_b32 s37, -1
	s_mov_b32 s38, exec_lo
	v_cmpx_eq_u32_e64 s33, v20
	s_xor_b32 s38, exec_lo, s38
; %bb.54:
	v_cmp_ne_u32_e32 vcc_lo, v17, v14
	s_mov_b32 s36, exec_lo
	s_xor_b32 s37, exec_lo, -1
	s_and_b32 s0, vcc_lo, exec_lo
; %bb.55:
	s_or_b32 exec_lo, exec_lo, s38
	s_delay_alu instid0(SALU_CYCLE_1)
	s_and_b32 s37, s37, exec_lo
	s_and_not1_b32 s35, s35, exec_lo
	s_and_b32 s36, s36, exec_lo
	s_and_b32 s0, s0, exec_lo
.LBB113_56:
	s_or_b32 exec_lo, exec_lo, s1
	s_delay_alu instid0(SALU_CYCLE_1)
	s_and_b32 s38, s37, exec_lo
	s_and_b32 s37, s35, exec_lo
	s_xor_b32 s35, exec_lo, -1
	s_and_b32 s36, s36, exec_lo
	s_and_b32 s1, s0, exec_lo
.LBB113_57:
	s_or_b32 exec_lo, exec_lo, s62
	s_delay_alu instid0(SALU_CYCLE_1)
	s_and_b32 s39, s38, exec_lo
	s_and_b32 s37, s37, exec_lo
	;; [unrolled: 1-line block ×4, first 2 shown]
	s_or_not1_b32 s0, s1, exec_lo
.LBB113_58:
	s_or_b32 exec_lo, exec_lo, s61
	s_delay_alu instid0(SALU_CYCLE_1)
	s_or_not1_b32 s1, s39, exec_lo
	s_and_b32 s37, s37, exec_lo
	s_and_b32 s36, s38, exec_lo
	;; [unrolled: 1-line block ×4, first 2 shown]
.LBB113_59:
	s_or_b32 exec_lo, exec_lo, s60
	s_delay_alu instid0(SALU_CYCLE_1)
	s_and_not1_b32 s38, s58, exec_lo
	s_and_b32 s39, s37, exec_lo
	s_and_b32 s37, s1, exec_lo
	s_or_b32 s58, s38, s39
	s_and_b32 s36, s36, exec_lo
	s_and_b32 s1, s35, exec_lo
	;; [unrolled: 1-line block ×3, first 2 shown]
.LBB113_60:
	s_or_b32 exec_lo, exec_lo, s59
	s_delay_alu instid0(SALU_CYCLE_1)
	s_and_b32 s38, s37, exec_lo
	s_and_b32 s37, s58, exec_lo
	s_or_not1_b32 s35, s36, exec_lo
	s_and_b32 s36, s1, exec_lo
	s_and_b32 s1, s0, exec_lo
.LBB113_61:
	s_or_b32 exec_lo, exec_lo, s57
	s_delay_alu instid0(SALU_CYCLE_1)
	s_and_b32 s39, s38, exec_lo
	s_and_b32 s37, s37, exec_lo
	;; [unrolled: 1-line block ×4, first 2 shown]
	s_or_not1_b32 s0, s1, exec_lo
.LBB113_62:
	s_or_b32 exec_lo, exec_lo, s56
	s_delay_alu instid0(SALU_CYCLE_1)
	s_or_not1_b32 s1, s39, exec_lo
	s_and_b32 s37, s37, exec_lo
	s_and_b32 s36, s38, exec_lo
	;; [unrolled: 1-line block ×4, first 2 shown]
.LBB113_63:
	s_or_b32 exec_lo, exec_lo, s55
	s_delay_alu instid0(SALU_CYCLE_1)
	s_and_not1_b32 s38, s53, exec_lo
	s_and_b32 s37, s37, exec_lo
	s_and_b32 s1, s1, exec_lo
	s_or_b32 s53, s38, s37
	s_and_b32 s37, s36, exec_lo
	s_and_b32 s36, s35, exec_lo
	;; [unrolled: 1-line block ×3, first 2 shown]
.LBB113_64:
	s_or_b32 exec_lo, exec_lo, s54
	s_delay_alu instid0(SALU_CYCLE_1)
	s_and_b32 s1, s1, exec_lo
	s_and_b32 s40, s53, exec_lo
	s_or_not1_b32 s35, s37, exec_lo
	s_and_b32 s39, s36, exec_lo
	s_and_b32 s38, s0, exec_lo
.LBB113_65:
	s_or_b32 exec_lo, exec_lo, s52
	s_delay_alu instid0(SALU_CYCLE_1)
	s_and_b32 s1, s1, exec_lo
	s_and_b32 s52, s40, exec_lo
	;; [unrolled: 1-line block ×4, first 2 shown]
	s_or_not1_b32 s38, s38, exec_lo
	s_mov_b32 s53, s8
.LBB113_66:
	s_or_b32 exec_lo, exec_lo, s51
	s_and_saveexec_b32 s36, s38
	s_cbranch_execnz .LBB113_212
.LBB113_67:
	s_or_b32 exec_lo, exec_lo, s36
	s_mov_b32 s36, 0
	s_and_saveexec_b32 s37, s0
	s_delay_alu instid0(SALU_CYCLE_1)
	s_xor_b32 s37, exec_lo, s37
	s_cbranch_execz .LBB113_106
; %bb.68:
	v_sub_nc_u32_e32 v1, v5, v9
	s_and_not1_b32 s35, s35, exec_lo
	s_mov_b32 s36, exec_lo
	s_delay_alu instid0(VALU_DEP_1) | instskip(SKIP_2) | instid1(SALU_CYCLE_1)
	v_cmp_gt_i32_e32 vcc_lo, s33, v1
	v_cmp_lt_i32_e64 s0, s4, v1
	s_or_b32 s0, vcc_lo, s0
	s_and_b32 s0, s0, exec_lo
	s_delay_alu instid0(SALU_CYCLE_1)
	s_or_b32 s35, s35, s0
	s_or_b32 exec_lo, exec_lo, s37
	s_and_saveexec_b32 s0, s35
	s_cbranch_execz .LBB113_107
.LBB113_69:
	s_or_b32 s3, s3, exec_lo
	s_and_not1_b32 s36, s36, exec_lo
	s_trap 2
	s_or_b32 exec_lo, exec_lo, s0
	s_mov_b32 s0, 0
	s_and_saveexec_b32 s51, s36
	s_cbranch_execnz .LBB113_108
.LBB113_70:
	s_or_b32 exec_lo, exec_lo, s51
	s_and_saveexec_b32 s34, s52
	s_cbranch_execnz .LBB113_175
.LBB113_71:
	s_or_b32 exec_lo, exec_lo, s34
	s_and_saveexec_b32 s34, s0
	s_delay_alu instid0(SALU_CYCLE_1)
	s_xor_b32 s0, exec_lo, s34
	s_cbranch_execz .LBB113_73
.LBB113_72:
	v_mov_b32_e32 v2, 0
	s_add_nc_u64 s[30:31], s[16:17], s[30:31]
	s_delay_alu instid0(VALU_DEP_1)
	v_dual_mov_b32 v3, v2 :: v_dual_mov_b32 v4, v2
	v_mov_b32_e32 v5, v2
	global_store_b128 v0, v[2:5], s[30:31] scale_offset
.LBB113_73:
	s_wait_xcnt 0x0
	s_or_b32 exec_lo, exec_lo, s0
	s_delay_alu instid0(SALU_CYCLE_1)
	s_and_b32 s3, s3, exec_lo
	s_or_not1_b32 s0, s1, exec_lo
.LBB113_74:
	s_or_b32 exec_lo, exec_lo, s48
.LBB113_75:
	s_and_saveexec_b32 s1, s0
	s_delay_alu instid0(SALU_CYCLE_1)
	s_xor_b32 s0, exec_lo, s1
	s_cbranch_execnz .LBB113_210
.LBB113_76:
	s_or_b32 exec_lo, exec_lo, s0
	s_mov_b32 s0, 0
.LBB113_77:
	s_delay_alu instid0(SALU_CYCLE_1)
	s_and_b32 vcc_lo, exec_lo, s0
	s_cbranch_vccz .LBB113_97
; %bb.78:
	v_mov_b64_e32 v[6:7], 0
	v_cmp_gt_i32_e64 s0, s5, v0
	v_dual_mov_b32 v3, 0 :: v_dual_mov_b32 v1, 0
	v_or_b32_e32 v15, 0x100, v0
	v_dual_mov_b32 v2, 0 :: v_dual_mov_b32 v4, 0
	s_wait_loadcnt 0x0
	v_dual_mov_b32 v11, 0 :: v_dual_mov_b32 v9, 0
	v_dual_mov_b32 v10, 0 :: v_dual_mov_b32 v8, 0
	;; [unrolled: 1-line block ×7, first 2 shown]
	v_mov_b32_e32 v24, 0
	s_and_saveexec_b32 s1, s0
	s_cbranch_execz .LBB113_86
; %bb.79:
	v_dual_mov_b32 v18, 0 :: v_dual_bitop2_b32 v1, s2, v0 bitop3:0x54
	v_mov_b64_e32 v[6:7], 0
	v_dual_mov_b32 v14, 0 :: v_dual_mov_b32 v16, 0
	s_clause 0x4
	global_load_b32 v23, v1, s[18:19] scale_offset
	global_load_b32 v21, v1, s[20:21] scale_offset
	;; [unrolled: 1-line block ×5, first 2 shown]
	v_dual_mov_b32 v17, 0 :: v_dual_mov_b32 v19, 0
	v_dual_mov_b32 v13, 0 :: v_dual_mov_b32 v8, 0
	;; [unrolled: 1-line block ×4, first 2 shown]
	s_wait_xcnt 0x0
	v_dual_mov_b32 v2, 0 :: v_dual_mov_b32 v1, 0
	v_mov_b32_e32 v3, 0
	s_mov_b32 s9, exec_lo
	v_cmpx_gt_u32_e64 s5, v15
	s_cbranch_execz .LBB113_85
; %bb.80:
	v_dual_mov_b32 v13, 0 :: v_dual_add_nc_u32 v12, s2, v0
	v_or_b32_e32 v1, 0x200, v0
	v_mov_b64_e32 v[6:7], 0
	v_dual_mov_b32 v8, 0 :: v_dual_mov_b32 v10, 0
	s_clause 0x4
	global_load_b32 v19, v12, s[18:19] offset:1024 scale_offset
	global_load_b32 v17, v12, s[20:21] offset:1024 scale_offset
	;; [unrolled: 1-line block ×5, first 2 shown]
	v_cmp_gt_u32_e32 vcc_lo, s5, v1
	v_dual_mov_b32 v9, 0 :: v_dual_mov_b32 v11, 0
	v_dual_mov_b32 v4, 0 :: v_dual_mov_b32 v2, 0
	;; [unrolled: 1-line block ×3, first 2 shown]
	s_wait_xcnt 0x0
	s_and_saveexec_b32 s30, vcc_lo
	s_cbranch_execz .LBB113_84
; %bb.81:
	v_lshlrev_b64_e32 v[2:3], 2, v[12:13]
	v_or_b32_e32 v1, 0x300, v0
	v_mov_b64_e32 v[6:7], 0
	s_delay_alu instid0(VALU_DEP_2) | instskip(NEXT) | instid1(VALU_DEP_4)
	v_cmp_gt_u32_e32 vcc_lo, s5, v1
	v_add_nc_u64_e32 v[4:5], s[18:19], v[2:3]
	v_add_nc_u64_e32 v[26:27], s[20:21], v[2:3]
	;; [unrolled: 1-line block ×5, first 2 shown]
	v_dual_mov_b32 v2, 0 :: v_dual_mov_b32 v1, 0
	global_load_b32 v11, v[4:5], off offset:2048
	global_load_b32 v9, v[26:27], off offset:2048
	;; [unrolled: 1-line block ×5, first 2 shown]
	v_mov_b32_e32 v3, 0
	s_wait_xcnt 0x0
	s_and_saveexec_b32 s18, vcc_lo
	s_cbranch_execz .LBB113_83
; %bb.82:
	global_load_b32 v6, v[28:29], off offset:3072
	global_load_b32 v3, v[4:5], off offset:3072
	;; [unrolled: 1-line block ×5, first 2 shown]
	s_wait_loadcnt 0x4
	v_ashrrev_i32_e32 v7, 31, v6
.LBB113_83:
	s_wait_xcnt 0x0
	s_or_b32 exec_lo, exec_lo, s18
	s_wait_loadcnt 0x0
	v_dual_mov_b32 v4, v13 :: v_dual_mov_b32 v13, v12
.LBB113_84:
	s_or_b32 exec_lo, exec_lo, s30
.LBB113_85:
	s_delay_alu instid0(SALU_CYCLE_1)
	s_or_b32 exec_lo, exec_lo, s9
.LBB113_86:
	s_delay_alu instid0(SALU_CYCLE_1)
	s_or_b32 exec_lo, exec_lo, s1
	s_get_pc_i64 s[18:19]
	s_add_nc_u64 s[18:19], s[18:19], .str.7@rel64+4
	s_cmp_lg_u64 s[28:29], 0
	s_get_pc_i64 s[20:21]
	s_add_nc_u64 s[20:21], s[20:21], .str.8@rel64+4
	s_cselect_b32 s42, -1, 0
	s_cmp_lg_u64 s[18:19], 0
	v_cmp_gt_i64_e64 s9, s[6:7], 0
	s_cselect_b32 s39, -1, 0
	s_cmp_lg_u64 s[20:21], 0
	s_get_pc_i64 s[20:21]
	s_add_nc_u64 s[20:21], s[20:21], .str.9@rel64+4
	s_cselect_b32 s38, -1, 0
	s_add_co_i32 s18, s8, -1
	s_mov_b32 s1, -1
	s_cmp_gt_i32 s18, -1
	s_mov_b32 s48, 0
	s_cselect_b32 s19, -1, 0
	s_mov_b32 s46, 0
	s_and_b32 s37, s9, s19
	s_cmp_lg_u64 s[20:21], 0
	s_mov_b32 s44, 0
	s_cselect_b32 s36, -1, 0
	s_mov_b32 s43, 0
	s_mov_b32 s41, 0
	s_and_saveexec_b32 s9, s0
	s_cbranch_execz .LBB113_130
; %bb.87:
	s_wait_loadcnt 0x4
	v_cmp_eq_u32_e32 vcc_lo, s33, v23
	s_mov_b32 s19, -1
	s_mov_b32 s1, 0
	s_mov_b32 s20, 0
	;; [unrolled: 1-line block ×3, first 2 shown]
	s_and_b32 s23, s42, vcc_lo
	s_mov_b32 s22, 0
	s_and_saveexec_b32 s40, s23
	s_cbranch_execz .LBB113_129
; %bb.88:
	s_wait_loadcnt 0x3
	v_cmp_eq_u32_e32 vcc_lo, s6, v21
	s_and_b32 s22, s39, vcc_lo
	s_delay_alu instid0(SALU_CYCLE_1)
	s_and_saveexec_b32 s41, s22
	s_cbranch_execz .LBB113_128
; %bb.89:
	s_wait_loadcnt 0x1
	v_sub_nc_u32_e32 v5, v20, v22
	s_delay_alu instid0(VALU_DEP_1)
	v_cmp_le_i32_e32 vcc_lo, s33, v5
	v_cmp_ge_i32_e64 s1, s4, v5
	s_and_b32 s20, vcc_lo, s1
	s_mov_b32 s1, 0
	s_and_b32 s21, s38, s20
	s_mov_b32 s20, 0
	s_and_saveexec_b32 s43, s21
	s_cbranch_execz .LBB113_127
; %bb.90:
	v_mov_b64_e32 v[26:27], 0
	s_and_not1_b32 vcc_lo, exec_lo, s37
	s_cbranch_vccnz .LBB113_115
; %bb.91:
	s_wait_loadcnt 0x0
	v_ashrrev_i32_e32 v25, 31, v24
	s_mov_b32 s21, 0
	v_mov_b64_e32 v[26:27], 0
	s_mov_b32 s19, s21
	s_mov_b64 s[22:23], 0xffffffff
	v_mul_u64_e32 v[28:29], s[6:7], v[24:25]
	v_mov_b32_e32 v24, 0
	s_lshl_b64 s[26:27], s[18:19], 3
	s_mov_b32 s19, s8
	s_add_nc_u64 s[24:25], s[10:11], s[26:27]
	s_add_nc_u64 s[26:27], s[12:13], s[26:27]
	s_branch .LBB113_93
.LBB113_92:                             ;   in Loop: Header=BB113_93 Depth=1
	s_or_b32 exec_lo, exec_lo, s1
	s_delay_alu instid0(VALU_DEP_1)
	v_mul_u64_e32 v[32:33], s[28:29], v[30:31]
	s_load_b64 s[28:29], s[26:27], 0x0
	s_add_co_i32 s19, s19, -1
	s_add_nc_u64 s[24:25], s[24:25], -8
	s_cmp_eq_u32 s19, 0
	s_wait_xcnt 0x0
	s_add_nc_u64 s[26:27], s[26:27], -8
	s_delay_alu instid0(VALU_DEP_1) | instskip(SKIP_1) | instid1(VALU_DEP_1)
	v_sub_nc_u64_e32 v[28:29], v[28:29], v[32:33]
	s_wait_kmcnt 0x0
	v_mad_nc_u64_u32 v[26:27], v28, s28, v[26:27]
	s_delay_alu instid0(VALU_DEP_1) | instskip(NEXT) | instid1(VALU_DEP_1)
	v_mad_u32 v5, v29, s28, v27
	v_mad_u32 v27, v28, s29, v5
	v_mov_b64_e32 v[28:29], v[30:31]
	s_cbranch_scc1 .LBB113_115
.LBB113_93:                             ; =>This Inner Loop Header: Depth=1
	s_load_b64 s[28:29], s[24:25], 0x0
                                        ; implicit-def: $vgpr30_vgpr31
	s_mov_b32 s1, exec_lo
	s_wait_kmcnt 0x0
	s_delay_alu instid0(VALU_DEP_1) | instskip(NEXT) | instid1(VALU_DEP_1)
	v_or_b32_e32 v25, s29, v29
	v_cmpx_ne_u64_e32 0, v[24:25]
	s_xor_b32 s44, exec_lo, s1
	s_cbranch_execz .LBB113_95
; %bb.94:                               ;   in Loop: Header=BB113_93 Depth=1
	s_ashr_i32 s30, s29, 31
	v_dual_mov_b32 v35, v24 :: v_dual_ashrrev_i32 v30, 31, v29
	s_mov_b32 s31, s30
	s_delay_alu instid0(SALU_CYCLE_1) | instskip(NEXT) | instid1(VALU_DEP_1)
	s_add_nc_u64 s[34:35], s[28:29], s[30:31]
	v_mov_b32_e32 v31, v30
	s_xor_b64 s[34:35], s[34:35], s[30:31]
	s_delay_alu instid0(SALU_CYCLE_1)
	s_cvt_f32_u32 s1, s34
	s_cvt_f32_u32 s20, s35
	s_sub_nc_u64 s[50:51], 0, s[34:35]
	v_add_nc_u64_e32 v[32:33], v[28:29], v[30:31]
	v_mov_b32_e32 v39, v24
	s_fmamk_f32 s1, s20, 0x4f800000, s1
	s_delay_alu instid0(SALU_CYCLE_3) | instskip(NEXT) | instid1(VALU_DEP_2)
	v_s_rcp_f32 s1, s1
	v_xor_b32_e32 v34, v32, v30
	s_delay_alu instid0(VALU_DEP_3) | instskip(NEXT) | instid1(TRANS32_DEP_1)
	v_dual_mov_b32 v43, v24 :: v_dual_bitop2_b32 v38, v33, v30 bitop3:0x14
	s_mul_f32 s1, s1, 0x5f7ffffc
	s_delay_alu instid0(SALU_CYCLE_3) | instskip(NEXT) | instid1(SALU_CYCLE_3)
	s_mul_f32 s20, s1, 0x2f800000
	s_trunc_f32 s20, s20
	s_delay_alu instid0(SALU_CYCLE_3) | instskip(SKIP_1) | instid1(SALU_CYCLE_2)
	s_fmamk_f32 s1, s20, 0xcf800000, s1
	s_cvt_u32_f32 s47, s20
	s_cvt_u32_f32 s46, s1
	s_delay_alu instid0(SALU_CYCLE_3) | instskip(NEXT) | instid1(SALU_CYCLE_1)
	s_mul_u64 s[52:53], s[50:51], s[46:47]
	s_mul_hi_u32 s55, s46, s53
	s_mul_i32 s54, s46, s53
	s_mul_hi_u32 s20, s46, s52
	s_mul_i32 s31, s47, s52
	s_add_nc_u64 s[54:55], s[20:21], s[54:55]
	s_mul_hi_u32 s1, s47, s52
	s_mul_hi_u32 s45, s47, s53
	s_add_co_u32 s20, s54, s31
	s_add_co_ci_u32 s20, s55, s1
	s_mul_i32 s52, s47, s53
	s_add_co_ci_u32 s53, s45, 0
	s_delay_alu instid0(SALU_CYCLE_1) | instskip(NEXT) | instid1(SALU_CYCLE_1)
	s_add_nc_u64 s[52:53], s[20:21], s[52:53]
	s_add_co_u32 s46, s46, s52
	s_cselect_b32 s1, -1, 0
	s_delay_alu instid0(SALU_CYCLE_1) | instskip(SKIP_1) | instid1(SALU_CYCLE_1)
	s_cmp_lg_u32 s1, 0
	s_add_co_ci_u32 s47, s47, s53
	s_mul_u64 s[50:51], s[50:51], s[46:47]
	s_delay_alu instid0(SALU_CYCLE_1)
	s_mul_hi_u32 s53, s46, s51
	s_mul_i32 s52, s46, s51
	s_mul_hi_u32 s20, s46, s50
	s_mul_i32 s31, s47, s50
	s_add_nc_u64 s[52:53], s[20:21], s[52:53]
	s_mul_hi_u32 s1, s47, s50
	s_mul_hi_u32 s45, s47, s51
	s_add_co_u32 s20, s52, s31
	s_add_co_ci_u32 s20, s53, s1
	s_mul_i32 s50, s47, s51
	s_add_co_ci_u32 s51, s45, 0
	s_delay_alu instid0(SALU_CYCLE_1) | instskip(NEXT) | instid1(SALU_CYCLE_1)
	s_add_nc_u64 s[50:51], s[20:21], s[50:51]
	s_add_co_u32 s46, s46, s50
	s_cselect_b32 s1, -1, 0
	v_mul_hi_u32 v42, v34, s46
	s_cmp_lg_u32 s1, 0
	s_add_co_ci_u32 s20, s47, s51
	s_and_b64 s[50:51], s[46:47], s[22:23]
	v_mul_u64_e32 v[36:37], s[20:21], v[34:35]
	v_mul_u64_e32 v[32:33], s[50:51], v[38:39]
	;; [unrolled: 1-line block ×3, first 2 shown]
	s_delay_alu instid0(VALU_DEP_3) | instskip(NEXT) | instid1(VALU_DEP_1)
	v_add_nc_u64_e32 v[36:37], v[42:43], v[36:37]
	v_add_co_u32 v5, vcc_lo, v36, v32
	s_delay_alu instid0(VALU_DEP_2) | instskip(NEXT) | instid1(VALU_DEP_4)
	v_add_co_ci_u32_e32 v42, vcc_lo, v37, v33, vcc_lo
	v_add_co_ci_u32_e32 v41, vcc_lo, 0, v41, vcc_lo
	s_delay_alu instid0(VALU_DEP_1) | instskip(NEXT) | instid1(VALU_DEP_1)
	v_add_nc_u64_e32 v[32:33], v[42:43], v[40:41]
	v_mul_u64_e32 v[36:37], s[34:35], v[32:33]
	s_delay_alu instid0(VALU_DEP_1) | instskip(NEXT) | instid1(VALU_DEP_2)
	v_sub_nc_u32_e32 v5, v38, v37
	v_sub_co_u32 v12, vcc_lo, v34, v36
	s_delay_alu instid0(VALU_DEP_1) | instskip(NEXT) | instid1(VALU_DEP_3)
	v_sub_co_ci_u32_e64 v23, null, v38, v37, vcc_lo
	v_subrev_co_ci_u32_e64 v5, null, s35, v5, vcc_lo
	s_delay_alu instid0(VALU_DEP_3) | instskip(SKIP_1) | instid1(VALU_DEP_3)
	v_sub_co_u32 v21, s1, v12, s34
	v_add_nc_u64_e32 v[34:35], 2, v[32:33]
	v_subrev_co_ci_u32_e64 v5, null, 0, v5, s1
	s_delay_alu instid0(VALU_DEP_3) | instskip(SKIP_2) | instid1(VALU_DEP_4)
	v_cmp_le_u32_e32 vcc_lo, s34, v21
	v_add_nc_u64_e32 v[36:37], 1, v[32:33]
	v_cndmask_b32_e64 v21, 0, -1, vcc_lo
	v_cmp_le_u32_e32 vcc_lo, s35, v5
	v_cndmask_b32_e64 v25, 0, -1, vcc_lo
	v_cmp_le_u32_e32 vcc_lo, s34, v12
	v_cndmask_b32_e64 v12, 0, -1, vcc_lo
	v_cmp_le_u32_e32 vcc_lo, s35, v23
	v_cndmask_b32_e64 v31, 0, -1, vcc_lo
	v_cmp_eq_u32_e32 vcc_lo, s35, v5
	v_cndmask_b32_e32 v5, v25, v21, vcc_lo
	v_cmp_eq_u32_e32 vcc_lo, s35, v23
	s_delay_alu instid0(VALU_DEP_4) | instskip(NEXT) | instid1(VALU_DEP_3)
	v_cndmask_b32_e32 v12, v31, v12, vcc_lo
	v_cmp_ne_u32_e32 vcc_lo, 0, v5
	s_delay_alu instid0(VALU_DEP_2) | instskip(SKIP_1) | instid1(VALU_DEP_1)
	v_cmp_ne_u32_e64 s1, 0, v12
	v_dual_cndmask_b32 v5, v37, v35 :: v_dual_cndmask_b32 v12, v36, v34
	v_dual_cndmask_b32 v5, v33, v5, s1 :: v_dual_bitop2_b32 v30, s30, v30 bitop3:0x14
	s_delay_alu instid0(VALU_DEP_1) | instskip(NEXT) | instid1(VALU_DEP_2)
	v_dual_cndmask_b32 v12, v32, v12, s1 :: v_dual_mov_b32 v31, v30
	v_xor_b32_e32 v33, v5, v30
	s_delay_alu instid0(VALU_DEP_2) | instskip(NEXT) | instid1(VALU_DEP_1)
	v_xor_b32_e32 v32, v12, v30
	v_sub_nc_u64_e32 v[30:31], v[32:33], v[30:31]
.LBB113_95:                             ;   in Loop: Header=BB113_93 Depth=1
	s_and_not1_saveexec_b32 s1, s44
	s_cbranch_execz .LBB113_92
; %bb.96:                               ;   in Loop: Header=BB113_93 Depth=1
	v_cvt_f32_u32_e32 v5, s28
	s_sub_co_i32 s20, 0, s28
	v_mov_b32_e32 v31, v24
	s_delay_alu instid0(VALU_DEP_2) | instskip(SKIP_1) | instid1(TRANS32_DEP_1)
	v_rcp_iflag_f32_e32 v5, v5
	v_nop
	v_mul_f32_e32 v5, 0x4f7ffffe, v5
	s_delay_alu instid0(VALU_DEP_1) | instskip(NEXT) | instid1(VALU_DEP_1)
	v_cvt_u32_f32_e32 v5, v5
	v_mul_lo_u32 v12, s20, v5
	s_delay_alu instid0(VALU_DEP_1) | instskip(NEXT) | instid1(VALU_DEP_1)
	v_mul_hi_u32 v12, v5, v12
	v_add_nc_u32_e32 v5, v5, v12
	s_delay_alu instid0(VALU_DEP_1) | instskip(NEXT) | instid1(VALU_DEP_1)
	v_mul_hi_u32 v5, v28, v5
	v_mul_lo_u32 v12, v5, s28
	s_delay_alu instid0(VALU_DEP_1) | instskip(NEXT) | instid1(VALU_DEP_1)
	v_dual_add_nc_u32 v21, 1, v5 :: v_dual_sub_nc_u32 v12, v28, v12
	v_subrev_nc_u32_e32 v23, s28, v12
	v_cmp_le_u32_e32 vcc_lo, s28, v12
	s_delay_alu instid0(VALU_DEP_2) | instskip(NEXT) | instid1(VALU_DEP_1)
	v_dual_cndmask_b32 v12, v12, v23 :: v_dual_cndmask_b32 v5, v5, v21
	v_cmp_le_u32_e32 vcc_lo, s28, v12
	s_delay_alu instid0(VALU_DEP_2) | instskip(NEXT) | instid1(VALU_DEP_1)
	v_add_nc_u32_e32 v21, 1, v5
	v_cndmask_b32_e32 v30, v5, v21, vcc_lo
	s_branch .LBB113_92
.LBB113_97:
                                        ; implicit-def: $sgpr0
                                        ; implicit-def: $sgpr40
                                        ; implicit-def: $sgpr45
                                        ; implicit-def: $sgpr24
                                        ; implicit-def: $vgpr0
	s_and_saveexec_b32 s1, s3
.LBB113_98:
	; divergent unreachable
.LBB113_99:
	s_delay_alu instid0(SALU_CYCLE_1)
	s_or_b32 exec_lo, exec_lo, s1
	s_and_saveexec_b32 s1, s9
	s_cbranch_execz .LBB113_105
; %bb.100:
	s_and_b32 exec_lo, exec_lo, s0
	s_cbranch_execz .LBB113_105
; %bb.101:
	v_dual_mov_b32 v1, 0 :: v_dual_bitop2_b32 v2, s2, v0 bitop3:0x54
	global_store_b32 v2, v1, s[16:17] scale_offset
	s_wait_xcnt 0x0
	s_and_b32 exec_lo, exec_lo, s40
	s_cbranch_execz .LBB113_105
; %bb.102:
	v_add_nc_u32_e32 v0, s2, v0
	global_store_b32 v0, v1, s[16:17] offset:1024 scale_offset
	s_wait_xcnt 0x0
	s_and_b32 exec_lo, exec_lo, s45
	s_cbranch_execz .LBB113_105
; %bb.103:
	v_lshl_add_u64 v[0:1], v[0:1], 2, s[16:17]
	v_mov_b32_e32 v2, 0
	global_store_b32 v[0:1], v2, off offset:2048
	s_wait_xcnt 0x0
	s_and_b32 exec_lo, exec_lo, s24
	s_cbranch_execz .LBB113_105
; %bb.104:
	global_store_b32 v[0:1], v2, off offset:3072
.LBB113_105:
	s_endpgm
.LBB113_106:
	s_or_b32 exec_lo, exec_lo, s37
	s_and_saveexec_b32 s0, s35
	s_cbranch_execnz .LBB113_69
.LBB113_107:
	s_or_b32 exec_lo, exec_lo, s0
	s_mov_b32 s0, 0
	s_and_saveexec_b32 s51, s36
	s_cbranch_execz .LBB113_70
.LBB113_108:
	v_mov_b64_e32 v[2:3], 0
	s_and_not1_b32 vcc_lo, exec_lo, s50
	s_cbranch_vccnz .LBB113_120
; %bb.109:
	s_wait_loadcnt 0x0
	v_dual_mov_b32 v2, v13 :: v_dual_ashrrev_i32 v3, 31, v13
	s_mov_b32 s35, 0
	v_mov_b32_e32 v6, 0
	s_lshl_b64 s[40:41], s[34:35], 3
	s_mov_b64 s[36:37], 0xffffffff
	v_mul_u64_e32 v[10:11], s[6:7], v[2:3]
	v_mov_b64_e32 v[2:3], 0
	s_add_nc_u64 s[38:39], s[10:11], s[40:41]
	s_add_nc_u64 s[40:41], s[12:13], s[40:41]
	s_branch .LBB113_111
.LBB113_110:                            ;   in Loop: Header=BB113_111 Depth=1
	s_or_b32 exec_lo, exec_lo, s0
	s_delay_alu instid0(VALU_DEP_1)
	v_mul_u64_e32 v[14:15], s[42:43], v[12:13]
	s_load_b64 s[42:43], s[40:41], 0x0
	s_add_co_i32 s53, s53, -1
	s_add_nc_u64 s[38:39], s[38:39], -8
	s_cmp_lg_u32 s53, 0
	s_wait_xcnt 0x0
	s_add_nc_u64 s[40:41], s[40:41], -8
	s_delay_alu instid0(VALU_DEP_1) | instskip(SKIP_1) | instid1(VALU_DEP_1)
	v_sub_nc_u64_e32 v[10:11], v[10:11], v[14:15]
	s_wait_kmcnt 0x0
	v_mad_nc_u64_u32 v[2:3], v10, s42, v[2:3]
	s_delay_alu instid0(VALU_DEP_1) | instskip(NEXT) | instid1(VALU_DEP_1)
	v_mad_u32 v1, v11, s42, v3
	v_mad_u32 v3, v10, s43, v1
	v_mov_b64_e32 v[10:11], v[12:13]
	s_cbranch_scc0 .LBB113_120
.LBB113_111:                            ; =>This Inner Loop Header: Depth=1
	s_load_b64 s[42:43], s[38:39], 0x0
                                        ; implicit-def: $vgpr12_vgpr13
	s_mov_b32 s0, exec_lo
	s_wait_kmcnt 0x0
	s_delay_alu instid0(VALU_DEP_1) | instskip(NEXT) | instid1(VALU_DEP_1)
	v_or_b32_e32 v7, s43, v11
	v_cmpx_ne_u64_e32 0, v[6:7]
	s_xor_b32 s50, exec_lo, s0
	s_cbranch_execz .LBB113_113
; %bb.112:                              ;   in Loop: Header=BB113_111 Depth=1
	s_ashr_i32 s44, s43, 31
	v_dual_mov_b32 v17, v6 :: v_dual_ashrrev_i32 v12, 31, v11
	s_mov_b32 s45, s44
	s_delay_alu instid0(SALU_CYCLE_1) | instskip(NEXT) | instid1(VALU_DEP_1)
	s_add_nc_u64 s[46:47], s[42:43], s[44:45]
	v_mov_b32_e32 v13, v12
	s_xor_b64 s[46:47], s[46:47], s[44:45]
	s_delay_alu instid0(SALU_CYCLE_1)
	s_cvt_f32_u32 s0, s46
	s_cvt_f32_u32 s34, s47
	s_sub_nc_u64 s[56:57], 0, s[46:47]
	v_add_nc_u64_e32 v[14:15], v[10:11], v[12:13]
	v_mov_b32_e32 v21, v6
	s_fmamk_f32 s0, s34, 0x4f800000, s0
	s_delay_alu instid0(SALU_CYCLE_3) | instskip(NEXT) | instid1(VALU_DEP_2)
	v_s_rcp_f32 s0, s0
	v_xor_b32_e32 v16, v14, v12
	s_delay_alu instid0(VALU_DEP_3) | instskip(NEXT) | instid1(TRANS32_DEP_1)
	v_dual_mov_b32 v25, v6 :: v_dual_bitop2_b32 v20, v15, v12 bitop3:0x14
	s_mul_f32 s0, s0, 0x5f7ffffc
	s_delay_alu instid0(SALU_CYCLE_3) | instskip(NEXT) | instid1(SALU_CYCLE_3)
	s_mul_f32 s34, s0, 0x2f800000
	s_trunc_f32 s34, s34
	s_delay_alu instid0(SALU_CYCLE_3) | instskip(SKIP_1) | instid1(SALU_CYCLE_2)
	s_fmamk_f32 s0, s34, 0xcf800000, s0
	s_cvt_u32_f32 s55, s34
	s_cvt_u32_f32 s54, s0
	s_delay_alu instid0(SALU_CYCLE_3) | instskip(NEXT) | instid1(SALU_CYCLE_1)
	s_mul_u64 s[58:59], s[56:57], s[54:55]
	s_mul_hi_u32 s61, s54, s59
	s_mul_i32 s60, s54, s59
	s_mul_hi_u32 s34, s54, s58
	s_mul_i32 s45, s55, s58
	s_add_nc_u64 s[60:61], s[34:35], s[60:61]
	s_mul_hi_u32 s0, s55, s58
	s_mul_hi_u32 s62, s55, s59
	s_add_co_u32 s34, s60, s45
	s_add_co_ci_u32 s34, s61, s0
	s_mul_i32 s58, s55, s59
	s_add_co_ci_u32 s59, s62, 0
	s_delay_alu instid0(SALU_CYCLE_1) | instskip(NEXT) | instid1(SALU_CYCLE_1)
	s_add_nc_u64 s[58:59], s[34:35], s[58:59]
	s_add_co_u32 s54, s54, s58
	s_cselect_b32 s0, -1, 0
	s_delay_alu instid0(SALU_CYCLE_1) | instskip(SKIP_1) | instid1(SALU_CYCLE_1)
	s_cmp_lg_u32 s0, 0
	s_add_co_ci_u32 s55, s55, s59
	s_mul_u64 s[56:57], s[56:57], s[54:55]
	s_delay_alu instid0(SALU_CYCLE_1)
	s_mul_hi_u32 s59, s54, s57
	s_mul_i32 s58, s54, s57
	s_mul_hi_u32 s34, s54, s56
	s_mul_i32 s45, s55, s56
	s_add_nc_u64 s[58:59], s[34:35], s[58:59]
	s_mul_hi_u32 s0, s55, s56
	s_mul_hi_u32 s60, s55, s57
	s_add_co_u32 s34, s58, s45
	s_add_co_ci_u32 s34, s59, s0
	s_mul_i32 s56, s55, s57
	s_add_co_ci_u32 s57, s60, 0
	s_delay_alu instid0(SALU_CYCLE_1) | instskip(NEXT) | instid1(SALU_CYCLE_1)
	s_add_nc_u64 s[56:57], s[34:35], s[56:57]
	s_add_co_u32 s0, s54, s56
	s_cselect_b32 s34, -1, 0
	v_mul_hi_u32 v24, v16, s0
	s_cmp_lg_u32 s34, 0
	s_add_co_ci_u32 s34, s55, s57
	s_and_b64 s[54:55], s[0:1], s[36:37]
	v_mul_u64_e32 v[18:19], s[34:35], v[16:17]
	v_mul_u64_e32 v[14:15], s[54:55], v[20:21]
	;; [unrolled: 1-line block ×3, first 2 shown]
	s_delay_alu instid0(VALU_DEP_3) | instskip(NEXT) | instid1(VALU_DEP_1)
	v_add_nc_u64_e32 v[18:19], v[24:25], v[18:19]
	v_add_co_u32 v1, vcc_lo, v18, v14
	s_delay_alu instid0(VALU_DEP_2) | instskip(NEXT) | instid1(VALU_DEP_4)
	v_add_co_ci_u32_e32 v24, vcc_lo, v19, v15, vcc_lo
	v_add_co_ci_u32_e32 v23, vcc_lo, 0, v23, vcc_lo
	s_delay_alu instid0(VALU_DEP_1) | instskip(NEXT) | instid1(VALU_DEP_1)
	v_add_nc_u64_e32 v[14:15], v[24:25], v[22:23]
	v_mul_u64_e32 v[18:19], s[46:47], v[14:15]
	s_delay_alu instid0(VALU_DEP_1) | instskip(NEXT) | instid1(VALU_DEP_2)
	v_sub_nc_u32_e32 v1, v20, v19
	v_sub_co_u32 v4, vcc_lo, v16, v18
	s_delay_alu instid0(VALU_DEP_1) | instskip(NEXT) | instid1(VALU_DEP_3)
	v_sub_co_ci_u32_e64 v8, null, v20, v19, vcc_lo
	v_subrev_co_ci_u32_e64 v1, null, s47, v1, vcc_lo
	s_delay_alu instid0(VALU_DEP_3) | instskip(SKIP_1) | instid1(VALU_DEP_3)
	v_sub_co_u32 v7, s0, v4, s46
	v_add_nc_u64_e32 v[16:17], 2, v[14:15]
	v_subrev_co_ci_u32_e64 v1, null, 0, v1, s0
	s_delay_alu instid0(VALU_DEP_3) | instskip(SKIP_2) | instid1(VALU_DEP_4)
	v_cmp_le_u32_e32 vcc_lo, s46, v7
	v_add_nc_u64_e32 v[18:19], 1, v[14:15]
	v_cndmask_b32_e64 v7, 0, -1, vcc_lo
	v_cmp_le_u32_e32 vcc_lo, s47, v1
	v_cndmask_b32_e64 v13, 0, -1, vcc_lo
	v_cmp_le_u32_e32 vcc_lo, s46, v4
	;; [unrolled: 2-line block ×3, first 2 shown]
	v_cndmask_b32_e64 v20, 0, -1, vcc_lo
	v_cmp_eq_u32_e32 vcc_lo, s47, v1
	v_cndmask_b32_e32 v1, v13, v7, vcc_lo
	v_cmp_eq_u32_e32 vcc_lo, s47, v8
	s_delay_alu instid0(VALU_DEP_4) | instskip(NEXT) | instid1(VALU_DEP_3)
	v_cndmask_b32_e32 v4, v20, v4, vcc_lo
	v_cmp_ne_u32_e32 vcc_lo, 0, v1
	s_delay_alu instid0(VALU_DEP_2) | instskip(SKIP_1) | instid1(VALU_DEP_1)
	v_cmp_ne_u32_e64 s0, 0, v4
	v_dual_cndmask_b32 v1, v19, v17 :: v_dual_cndmask_b32 v4, v18, v16
	v_dual_cndmask_b32 v1, v15, v1, s0 :: v_dual_bitop2_b32 v12, s44, v12 bitop3:0x14
	s_delay_alu instid0(VALU_DEP_1) | instskip(NEXT) | instid1(VALU_DEP_2)
	v_dual_cndmask_b32 v4, v14, v4, s0 :: v_dual_mov_b32 v13, v12
	v_xor_b32_e32 v15, v1, v12
	s_delay_alu instid0(VALU_DEP_2) | instskip(NEXT) | instid1(VALU_DEP_1)
	v_xor_b32_e32 v14, v4, v12
	v_sub_nc_u64_e32 v[12:13], v[14:15], v[12:13]
.LBB113_113:                            ;   in Loop: Header=BB113_111 Depth=1
	s_and_not1_saveexec_b32 s0, s50
	s_cbranch_execz .LBB113_110
; %bb.114:                              ;   in Loop: Header=BB113_111 Depth=1
	v_cvt_f32_u32_e32 v1, s42
	s_sub_co_i32 s34, 0, s42
	v_mov_b32_e32 v13, v6
	s_delay_alu instid0(VALU_DEP_2) | instskip(SKIP_1) | instid1(TRANS32_DEP_1)
	v_rcp_iflag_f32_e32 v1, v1
	v_nop
	v_mul_f32_e32 v1, 0x4f7ffffe, v1
	s_delay_alu instid0(VALU_DEP_1) | instskip(NEXT) | instid1(VALU_DEP_1)
	v_cvt_u32_f32_e32 v1, v1
	v_mul_lo_u32 v4, s34, v1
	s_delay_alu instid0(VALU_DEP_1) | instskip(NEXT) | instid1(VALU_DEP_1)
	v_mul_hi_u32 v4, v1, v4
	v_add_nc_u32_e32 v1, v1, v4
	s_delay_alu instid0(VALU_DEP_1) | instskip(NEXT) | instid1(VALU_DEP_1)
	v_mul_hi_u32 v1, v10, v1
	v_mul_lo_u32 v4, v1, s42
	s_delay_alu instid0(VALU_DEP_1) | instskip(NEXT) | instid1(VALU_DEP_1)
	v_sub_nc_u32_e32 v4, v10, v4
	v_subrev_nc_u32_e32 v8, s42, v4
	v_cmp_le_u32_e32 vcc_lo, s42, v4
	s_delay_alu instid0(VALU_DEP_2) | instskip(NEXT) | instid1(VALU_DEP_1)
	v_dual_cndmask_b32 v4, v4, v8 :: v_dual_add_nc_u32 v7, 1, v1
	v_cndmask_b32_e32 v1, v1, v7, vcc_lo
	s_delay_alu instid0(VALU_DEP_2) | instskip(NEXT) | instid1(VALU_DEP_2)
	v_cmp_le_u32_e32 vcc_lo, s42, v4
	v_add_nc_u32_e32 v7, 1, v1
	s_delay_alu instid0(VALU_DEP_1)
	v_cndmask_b32_e32 v12, v1, v7, vcc_lo
	s_branch .LBB113_110
.LBB113_115:
	s_mov_b32 s21, -1
	s_mov_b32 s19, 0
	s_mov_b32 s1, exec_lo
	v_cmpx_gt_i32_e64 v20, v22
	s_cbranch_execz .LBB113_126
; %bb.116:
	s_wait_loadcnt 0x0
	s_delay_alu instid0(VALU_DEP_2) | instskip(SKIP_2) | instid1(VALU_DEP_1)
	v_lshlrev_b64_e32 v[24:25], 2, v[26:27]
	v_dual_ashrrev_i32 v23, 31, v22 :: v_dual_ashrrev_i32 v21, 31, v20
	s_xor_b32 s21, s36, -1
                                        ; implicit-def: $sgpr20
                                        ; implicit-def: $sgpr23
                                        ; implicit-def: $sgpr22
	v_lshl_add_u64 v[22:23], v[22:23], 2, v[24:25]
	v_add_nc_u64_e32 v[24:25], s[14:15], v[24:25]
	s_delay_alu instid0(VALU_DEP_2) | instskip(NEXT) | instid1(VALU_DEP_2)
	v_add_nc_u64_e32 v[22:23], s[14:15], v[22:23]
	v_lshl_add_u64 v[20:21], v[20:21], 2, v[24:25]
	s_delay_alu instid0(VALU_DEP_2)
	v_add_nc_u64_e32 v[22:23], 4, v[22:23]
	s_branch .LBB113_118
.LBB113_117:                            ;   in Loop: Header=BB113_118 Depth=1
	s_or_b32 exec_lo, exec_lo, s24
	s_delay_alu instid0(SALU_CYCLE_1) | instskip(NEXT) | instid1(SALU_CYCLE_1)
	s_and_b32 s24, exec_lo, s23
	s_or_b32 s19, s24, s19
	s_and_not1_b32 s20, s20, exec_lo
	s_and_b32 s24, s22, exec_lo
	s_delay_alu instid0(SALU_CYCLE_1)
	s_or_b32 s20, s20, s24
	s_and_not1_b32 exec_lo, exec_lo, s19
	s_cbranch_execz .LBB113_125
.LBB113_118:                            ; =>This Inner Loop Header: Depth=1
	s_or_b32 s22, s22, exec_lo
	s_or_b32 s23, s23, exec_lo
	s_mov_b32 s24, exec_lo
	s_delay_alu instid0(VALU_DEP_1)
	v_cmpx_lt_u64_e64 v[22:23], v[20:21]
	s_cbranch_execz .LBB113_117
; %bb.119:                              ;   in Loop: Header=BB113_118 Depth=1
	global_load_b64 v[24:25], v[22:23], off offset:-4
	s_wait_xcnt 0x0
	v_add_nc_u64_e32 v[22:23], 4, v[22:23]
	s_and_not1_b32 s23, s23, exec_lo
	s_and_not1_b32 s22, s22, exec_lo
	s_wait_loadcnt 0x0
	v_cmp_ge_i32_e32 vcc_lo, v24, v25
	s_or_b32 s25, s21, vcc_lo
	s_delay_alu instid0(SALU_CYCLE_1) | instskip(NEXT) | instid1(SALU_CYCLE_1)
	s_and_b32 s25, s25, exec_lo
	s_or_b32 s23, s23, s25
	s_branch .LBB113_117
.LBB113_120:
	s_mov_b32 s34, s52
	s_mov_b32 s0, exec_lo
	v_cmpx_gt_i32_e64 v5, v9
	s_cbranch_execz .LBB113_174
; %bb.121:
	s_delay_alu instid0(VALU_DEP_2)
	v_lshlrev_b64_e32 v[2:3], 2, v[2:3]
	v_dual_mov_b32 v6, v9 :: v_dual_ashrrev_i32 v7, 31, v9
	s_wait_loadcnt 0x0
	v_dual_mov_b32 v10, v5 :: v_dual_ashrrev_i32 v11, 31, v5
	s_mov_b32 s34, 0
	s_xor_b32 s36, s49, -1
	s_delay_alu instid0(VALU_DEP_3) | instskip(SKIP_1) | instid1(VALU_DEP_2)
	v_lshl_add_u64 v[6:7], v[6:7], 2, v[2:3]
	v_add_nc_u64_e32 v[8:9], s[14:15], v[2:3]
                                        ; implicit-def: $sgpr35
                                        ; implicit-def: $sgpr38
                                        ; implicit-def: $sgpr37
	v_add_nc_u64_e32 v[6:7], s[14:15], v[6:7]
	s_delay_alu instid0(VALU_DEP_2) | instskip(NEXT) | instid1(VALU_DEP_2)
	v_lshl_add_u64 v[4:5], v[10:11], 2, v[8:9]
	v_add_nc_u64_e32 v[2:3], 4, v[6:7]
	s_branch .LBB113_123
.LBB113_122:                            ;   in Loop: Header=BB113_123 Depth=1
	s_or_b32 exec_lo, exec_lo, s39
	s_xor_b32 s39, s37, -1
	s_and_b32 s40, exec_lo, s38
	s_delay_alu instid0(SALU_CYCLE_1) | instskip(SKIP_2) | instid1(SALU_CYCLE_1)
	s_or_b32 s34, s40, s34
	s_and_not1_b32 s35, s35, exec_lo
	s_and_b32 s39, s39, exec_lo
	s_or_b32 s35, s35, s39
	s_and_not1_b32 exec_lo, exec_lo, s34
	s_cbranch_execz .LBB113_173
.LBB113_123:                            ; =>This Inner Loop Header: Depth=1
	s_or_b32 s37, s37, exec_lo
	s_or_b32 s38, s38, exec_lo
	s_mov_b32 s39, exec_lo
	s_delay_alu instid0(VALU_DEP_1)
	v_cmpx_lt_u64_e64 v[2:3], v[4:5]
	s_cbranch_execz .LBB113_122
; %bb.124:                              ;   in Loop: Header=BB113_123 Depth=1
	global_load_b64 v[6:7], v[2:3], off offset:-4
	s_wait_xcnt 0x0
	v_add_nc_u64_e32 v[2:3], 4, v[2:3]
	s_and_not1_b32 s38, s38, exec_lo
	s_and_not1_b32 s37, s37, exec_lo
	s_wait_loadcnt 0x0
	v_cmp_ge_i32_e32 vcc_lo, v6, v7
	s_or_b32 s40, s36, vcc_lo
	s_delay_alu instid0(SALU_CYCLE_1) | instskip(NEXT) | instid1(SALU_CYCLE_1)
	s_and_b32 s40, s40, exec_lo
	s_or_b32 s38, s38, s40
	s_branch .LBB113_122
.LBB113_125:
	s_or_b32 exec_lo, exec_lo, s19
	s_delay_alu instid0(SALU_CYCLE_1)
	s_mov_b32 s19, exec_lo
	s_or_not1_b32 s21, s20, exec_lo
.LBB113_126:
	s_or_b32 exec_lo, exec_lo, s1
	s_delay_alu instid0(SALU_CYCLE_1)
	s_and_b32 s20, s19, exec_lo
	s_xor_b32 s19, exec_lo, -1
	s_and_b32 s1, s21, exec_lo
.LBB113_127:
	s_or_b32 exec_lo, exec_lo, s43
	s_delay_alu instid0(SALU_CYCLE_1)
	s_and_b32 s21, s20, exec_lo
	s_and_b32 s20, s19, exec_lo
	s_xor_b32 s19, exec_lo, -1
	s_and_b32 s1, s1, exec_lo
.LBB113_128:
	s_or_b32 exec_lo, exec_lo, s41
	s_delay_alu instid0(SALU_CYCLE_1)
	s_and_b32 s22, s21, exec_lo
	s_and_b32 s21, s20, exec_lo
	;; [unrolled: 1-line block ×3, first 2 shown]
	s_xor_b32 s19, exec_lo, -1
	s_and_b32 s1, s1, exec_lo
.LBB113_129:
	s_or_b32 exec_lo, exec_lo, s40
	s_delay_alu instid0(SALU_CYCLE_1)
	s_and_b32 s41, s22, exec_lo
	s_and_b32 s43, s21, exec_lo
	;; [unrolled: 1-line block ×4, first 2 shown]
	s_or_not1_b32 s1, s1, exec_lo
.LBB113_130:
	s_or_b32 exec_lo, exec_lo, s9
	s_mov_b32 s9, 0
                                        ; implicit-def: $sgpr40
                                        ; implicit-def: $sgpr45
                                        ; implicit-def: $sgpr24
	s_and_saveexec_b32 s47, s1
	s_cbranch_execz .LBB113_142
; %bb.131:
	v_cmp_gt_i32_e64 s40, s5, v15
	s_mov_b32 s1, -1
	s_mov_b32 s52, 0
	s_mov_b32 s48, s46
	;; [unrolled: 1-line block ×4, first 2 shown]
	s_and_saveexec_b32 s45, s40
	s_cbranch_execz .LBB113_181
; %bb.132:
	s_wait_loadcnt 0x4
	v_cmp_eq_u32_e32 vcc_lo, s33, v19
	s_mov_b32 s19, -1
	s_mov_b32 s1, 0
	s_mov_b32 s21, s44
	s_mov_b32 s22, s43
	s_and_b32 s23, s42, vcc_lo
	s_mov_b32 s20, 0
	s_and_saveexec_b32 s9, s23
	s_cbranch_execz .LBB113_180
; %bb.133:
	s_wait_loadcnt 0x3
	v_cmp_eq_u32_e32 vcc_lo, s6, v17
	s_mov_b32 s21, s43
	s_and_b32 s22, s39, vcc_lo
	s_delay_alu instid0(SALU_CYCLE_1)
	s_and_saveexec_b32 s48, s22
	s_cbranch_execz .LBB113_179
; %bb.134:
	s_wait_loadcnt 0x1
	v_sub_nc_u32_e32 v5, v14, v16
	s_delay_alu instid0(VALU_DEP_1)
	v_cmp_le_i32_e32 vcc_lo, s33, v5
	v_cmp_ge_i32_e64 s1, s4, v5
	s_and_b32 s20, vcc_lo, s1
	s_mov_b32 s1, 0
	s_and_b32 s21, s38, s20
	s_mov_b32 s20, 0
	s_and_saveexec_b32 s49, s21
	s_cbranch_execz .LBB113_178
; %bb.135:
	v_mov_b64_e32 v[20:21], 0
	s_and_not1_b32 vcc_lo, exec_lo, s37
	s_cbranch_vccnz .LBB113_168
; %bb.136:
	s_wait_loadcnt 0x0
	v_ashrrev_i32_e32 v19, 31, v18
	s_mov_b32 s21, 0
	v_mov_b64_e32 v[20:21], 0
	s_mov_b32 s19, s21
	s_mov_b64 s[22:23], 0xffffffff
	v_mul_u64_e32 v[22:23], s[6:7], v[18:19]
	v_mov_b32_e32 v18, 0
	s_lshl_b64 s[26:27], s[18:19], 3
	s_mov_b32 s19, s8
	s_add_nc_u64 s[24:25], s[10:11], s[26:27]
	s_add_nc_u64 s[26:27], s[12:13], s[26:27]
	s_branch .LBB113_138
.LBB113_137:                            ;   in Loop: Header=BB113_138 Depth=1
	s_or_b32 exec_lo, exec_lo, s1
	s_delay_alu instid0(VALU_DEP_1)
	v_mul_u64_e32 v[26:27], s[28:29], v[24:25]
	s_load_b64 s[28:29], s[26:27], 0x0
	s_add_co_i32 s19, s19, -1
	s_add_nc_u64 s[24:25], s[24:25], -8
	s_cmp_lg_u32 s19, 0
	s_wait_xcnt 0x0
	s_add_nc_u64 s[26:27], s[26:27], -8
	s_delay_alu instid0(VALU_DEP_1) | instskip(SKIP_1) | instid1(VALU_DEP_1)
	v_sub_nc_u64_e32 v[22:23], v[22:23], v[26:27]
	s_wait_kmcnt 0x0
	v_mad_nc_u64_u32 v[20:21], v22, s28, v[20:21]
	s_delay_alu instid0(VALU_DEP_1) | instskip(NEXT) | instid1(VALU_DEP_1)
	v_mad_u32 v5, v23, s28, v21
	v_mad_u32 v21, v22, s29, v5
	v_mov_b64_e32 v[22:23], v[24:25]
	s_cbranch_scc0 .LBB113_168
.LBB113_138:                            ; =>This Inner Loop Header: Depth=1
	s_load_b64 s[28:29], s[24:25], 0x0
                                        ; implicit-def: $vgpr24_vgpr25
	s_mov_b32 s1, exec_lo
	s_wait_kmcnt 0x0
	s_delay_alu instid0(VALU_DEP_1) | instskip(NEXT) | instid1(VALU_DEP_1)
	v_or_b32_e32 v19, s29, v23
	v_cmpx_ne_u64_e32 0, v[18:19]
	s_xor_b32 s50, exec_lo, s1
	s_cbranch_execz .LBB113_140
; %bb.139:                              ;   in Loop: Header=BB113_138 Depth=1
	s_ashr_i32 s30, s29, 31
	v_dual_mov_b32 v29, v18 :: v_dual_ashrrev_i32 v24, 31, v23
	s_mov_b32 s31, s30
	s_delay_alu instid0(SALU_CYCLE_1) | instskip(NEXT) | instid1(VALU_DEP_1)
	s_add_nc_u64 s[34:35], s[28:29], s[30:31]
	v_mov_b32_e32 v25, v24
	s_xor_b64 s[34:35], s[34:35], s[30:31]
	s_delay_alu instid0(SALU_CYCLE_1)
	s_cvt_f32_u32 s1, s34
	s_cvt_f32_u32 s20, s35
	s_sub_nc_u64 s[56:57], 0, s[34:35]
	v_add_nc_u64_e32 v[26:27], v[22:23], v[24:25]
	v_mov_b32_e32 v33, v18
	s_fmamk_f32 s1, s20, 0x4f800000, s1
	s_delay_alu instid0(SALU_CYCLE_3) | instskip(NEXT) | instid1(VALU_DEP_2)
	v_s_rcp_f32 s1, s1
	v_xor_b32_e32 v28, v26, v24
	s_delay_alu instid0(VALU_DEP_3) | instskip(NEXT) | instid1(TRANS32_DEP_1)
	v_dual_mov_b32 v37, v18 :: v_dual_bitop2_b32 v32, v27, v24 bitop3:0x14
	s_mul_f32 s1, s1, 0x5f7ffffc
	s_delay_alu instid0(SALU_CYCLE_3) | instskip(NEXT) | instid1(SALU_CYCLE_3)
	s_mul_f32 s20, s1, 0x2f800000
	s_trunc_f32 s20, s20
	s_delay_alu instid0(SALU_CYCLE_3) | instskip(SKIP_1) | instid1(SALU_CYCLE_2)
	s_fmamk_f32 s1, s20, 0xcf800000, s1
	s_cvt_u32_f32 s55, s20
	s_cvt_u32_f32 s54, s1
	s_delay_alu instid0(SALU_CYCLE_3) | instskip(NEXT) | instid1(SALU_CYCLE_1)
	s_mul_u64 s[58:59], s[56:57], s[54:55]
	s_mul_hi_u32 s61, s54, s59
	s_mul_i32 s60, s54, s59
	s_mul_hi_u32 s20, s54, s58
	s_mul_i32 s31, s55, s58
	s_add_nc_u64 s[60:61], s[20:21], s[60:61]
	s_mul_hi_u32 s1, s55, s58
	s_mul_hi_u32 s51, s55, s59
	s_add_co_u32 s20, s60, s31
	s_add_co_ci_u32 s20, s61, s1
	s_mul_i32 s58, s55, s59
	s_add_co_ci_u32 s59, s51, 0
	s_delay_alu instid0(SALU_CYCLE_1) | instskip(NEXT) | instid1(SALU_CYCLE_1)
	s_add_nc_u64 s[58:59], s[20:21], s[58:59]
	s_add_co_u32 s54, s54, s58
	s_cselect_b32 s1, -1, 0
	s_delay_alu instid0(SALU_CYCLE_1) | instskip(SKIP_1) | instid1(SALU_CYCLE_1)
	s_cmp_lg_u32 s1, 0
	s_add_co_ci_u32 s55, s55, s59
	s_mul_u64 s[56:57], s[56:57], s[54:55]
	s_delay_alu instid0(SALU_CYCLE_1)
	s_mul_hi_u32 s59, s54, s57
	s_mul_i32 s58, s54, s57
	s_mul_hi_u32 s20, s54, s56
	s_mul_i32 s31, s55, s56
	s_add_nc_u64 s[58:59], s[20:21], s[58:59]
	s_mul_hi_u32 s1, s55, s56
	s_mul_hi_u32 s51, s55, s57
	s_add_co_u32 s20, s58, s31
	s_add_co_ci_u32 s20, s59, s1
	s_mul_i32 s56, s55, s57
	s_add_co_ci_u32 s57, s51, 0
	s_delay_alu instid0(SALU_CYCLE_1) | instskip(NEXT) | instid1(SALU_CYCLE_1)
	s_add_nc_u64 s[56:57], s[20:21], s[56:57]
	s_add_co_u32 s54, s54, s56
	s_cselect_b32 s1, -1, 0
	v_mul_hi_u32 v36, v28, s54
	s_cmp_lg_u32 s1, 0
	s_add_co_ci_u32 s20, s55, s57
	s_and_b64 s[56:57], s[54:55], s[22:23]
	v_mul_u64_e32 v[30:31], s[20:21], v[28:29]
	v_mul_u64_e32 v[26:27], s[56:57], v[32:33]
	v_mul_u64_e32 v[34:35], s[20:21], v[32:33]
	s_delay_alu instid0(VALU_DEP_3) | instskip(NEXT) | instid1(VALU_DEP_1)
	v_add_nc_u64_e32 v[30:31], v[36:37], v[30:31]
	v_add_co_u32 v5, vcc_lo, v30, v26
	s_delay_alu instid0(VALU_DEP_2) | instskip(NEXT) | instid1(VALU_DEP_4)
	v_add_co_ci_u32_e32 v36, vcc_lo, v31, v27, vcc_lo
	v_add_co_ci_u32_e32 v35, vcc_lo, 0, v35, vcc_lo
	s_delay_alu instid0(VALU_DEP_1) | instskip(NEXT) | instid1(VALU_DEP_1)
	v_add_nc_u64_e32 v[26:27], v[36:37], v[34:35]
	v_mul_u64_e32 v[30:31], s[34:35], v[26:27]
	s_delay_alu instid0(VALU_DEP_1) | instskip(NEXT) | instid1(VALU_DEP_2)
	v_sub_nc_u32_e32 v5, v32, v31
	v_sub_co_u32 v12, vcc_lo, v28, v30
	s_delay_alu instid0(VALU_DEP_1) | instskip(NEXT) | instid1(VALU_DEP_3)
	v_sub_co_ci_u32_e64 v17, null, v32, v31, vcc_lo
	v_subrev_co_ci_u32_e64 v5, null, s35, v5, vcc_lo
	s_delay_alu instid0(VALU_DEP_3) | instskip(SKIP_1) | instid1(VALU_DEP_3)
	v_sub_co_u32 v15, s1, v12, s34
	v_add_nc_u64_e32 v[28:29], 2, v[26:27]
	v_subrev_co_ci_u32_e64 v5, null, 0, v5, s1
	s_delay_alu instid0(VALU_DEP_3) | instskip(SKIP_2) | instid1(VALU_DEP_4)
	v_cmp_le_u32_e32 vcc_lo, s34, v15
	v_add_nc_u64_e32 v[30:31], 1, v[26:27]
	v_cndmask_b32_e64 v15, 0, -1, vcc_lo
	v_cmp_le_u32_e32 vcc_lo, s35, v5
	v_cndmask_b32_e64 v19, 0, -1, vcc_lo
	v_cmp_le_u32_e32 vcc_lo, s34, v12
	;; [unrolled: 2-line block ×3, first 2 shown]
	v_cndmask_b32_e64 v25, 0, -1, vcc_lo
	v_cmp_eq_u32_e32 vcc_lo, s35, v5
	v_cndmask_b32_e32 v5, v19, v15, vcc_lo
	v_cmp_eq_u32_e32 vcc_lo, s35, v17
	s_delay_alu instid0(VALU_DEP_4) | instskip(NEXT) | instid1(VALU_DEP_3)
	v_cndmask_b32_e32 v12, v25, v12, vcc_lo
	v_cmp_ne_u32_e32 vcc_lo, 0, v5
	s_delay_alu instid0(VALU_DEP_2) | instskip(SKIP_1) | instid1(VALU_DEP_1)
	v_cmp_ne_u32_e64 s1, 0, v12
	v_dual_cndmask_b32 v5, v31, v29 :: v_dual_cndmask_b32 v12, v30, v28
	v_dual_cndmask_b32 v5, v27, v5, s1 :: v_dual_bitop2_b32 v24, s30, v24 bitop3:0x14
	s_delay_alu instid0(VALU_DEP_1) | instskip(NEXT) | instid1(VALU_DEP_2)
	v_dual_cndmask_b32 v12, v26, v12, s1 :: v_dual_mov_b32 v25, v24
	v_xor_b32_e32 v27, v5, v24
	s_delay_alu instid0(VALU_DEP_2) | instskip(NEXT) | instid1(VALU_DEP_1)
	v_xor_b32_e32 v26, v12, v24
	v_sub_nc_u64_e32 v[24:25], v[26:27], v[24:25]
.LBB113_140:                            ;   in Loop: Header=BB113_138 Depth=1
	s_and_not1_saveexec_b32 s1, s50
	s_cbranch_execz .LBB113_137
; %bb.141:                              ;   in Loop: Header=BB113_138 Depth=1
	v_cvt_f32_u32_e32 v5, s28
	s_sub_co_i32 s20, 0, s28
	v_mov_b32_e32 v25, v18
	s_delay_alu instid0(VALU_DEP_2) | instskip(SKIP_1) | instid1(TRANS32_DEP_1)
	v_rcp_iflag_f32_e32 v5, v5
	v_nop
	v_mul_f32_e32 v5, 0x4f7ffffe, v5
	s_delay_alu instid0(VALU_DEP_1) | instskip(NEXT) | instid1(VALU_DEP_1)
	v_cvt_u32_f32_e32 v5, v5
	v_mul_lo_u32 v12, s20, v5
	s_delay_alu instid0(VALU_DEP_1) | instskip(NEXT) | instid1(VALU_DEP_1)
	v_mul_hi_u32 v12, v5, v12
	v_add_nc_u32_e32 v5, v5, v12
	s_delay_alu instid0(VALU_DEP_1) | instskip(NEXT) | instid1(VALU_DEP_1)
	v_mul_hi_u32 v5, v22, v5
	v_mul_lo_u32 v12, v5, s28
	s_delay_alu instid0(VALU_DEP_1) | instskip(NEXT) | instid1(VALU_DEP_1)
	v_dual_add_nc_u32 v15, 1, v5 :: v_dual_sub_nc_u32 v12, v22, v12
	v_subrev_nc_u32_e32 v17, s28, v12
	v_cmp_le_u32_e32 vcc_lo, s28, v12
	s_delay_alu instid0(VALU_DEP_2) | instskip(NEXT) | instid1(VALU_DEP_1)
	v_dual_cndmask_b32 v12, v12, v17 :: v_dual_cndmask_b32 v5, v5, v15
	v_cmp_le_u32_e32 vcc_lo, s28, v12
	s_delay_alu instid0(VALU_DEP_2) | instskip(NEXT) | instid1(VALU_DEP_1)
	v_add_nc_u32_e32 v15, 1, v5
	v_cndmask_b32_e32 v24, v5, v15, vcc_lo
	s_branch .LBB113_137
.LBB113_142:
	s_or_b32 exec_lo, exec_lo, s47
	s_and_saveexec_b32 s1, s46
	s_cbranch_execnz .LBB113_209
.LBB113_143:
	s_or_b32 exec_lo, exec_lo, s1
	s_mov_b32 s1, 0
	s_and_saveexec_b32 s5, s48
	s_delay_alu instid0(SALU_CYCLE_1)
	s_xor_b32 s5, exec_lo, s5
; %bb.144:
	v_cmp_ne_u32_e32 vcc_lo, s6, v1
	s_xor_b32 s19, s39, -1
	s_and_not1_b32 s20, s44, exec_lo
	s_mov_b32 s1, exec_lo
	s_or_b32 s19, s19, vcc_lo
	s_delay_alu instid0(SALU_CYCLE_1) | instskip(NEXT) | instid1(SALU_CYCLE_1)
	s_and_b32 s19, s19, exec_lo
	s_or_b32 s44, s20, s19
; %bb.145:
	s_or_b32 exec_lo, exec_lo, s5
	s_and_saveexec_b32 s5, s44
	s_cbranch_execnz .LBB113_211
.LBB113_146:
	s_or_b32 exec_lo, exec_lo, s5
	s_mov_b32 s5, 0
	s_and_saveexec_b32 s19, s1
	s_delay_alu instid0(SALU_CYCLE_1)
	s_xor_b32 s19, exec_lo, s19
	s_cbranch_execz .LBB113_151
; %bb.147:
	v_sub_nc_u32_e32 v1, v4, v2
	s_mov_b32 s5, exec_lo
	s_delay_alu instid0(VALU_DEP_1) | instskip(SKIP_3) | instid1(SALU_CYCLE_1)
	v_cmp_le_i32_e32 vcc_lo, s33, v1
	v_cmp_ge_i32_e64 s1, s4, v1
	s_and_not1_b32 s4, s43, exec_lo
	s_and_b32 s1, vcc_lo, s1
	s_and_b32 s1, s38, s1
	s_delay_alu instid0(SALU_CYCLE_1) | instskip(NEXT) | instid1(SALU_CYCLE_1)
	s_xor_b32 s1, s1, -1
	s_and_b32 s1, s1, exec_lo
	s_delay_alu instid0(SALU_CYCLE_1)
	s_or_b32 s43, s4, s1
	s_or_b32 exec_lo, exec_lo, s19
	s_and_saveexec_b32 s1, s43
	s_cbranch_execz .LBB113_152
.LBB113_148:
	s_or_b32 s3, s3, exec_lo
	s_and_not1_b32 s5, s5, exec_lo
	s_trap 2
	s_or_b32 exec_lo, exec_lo, s1
	s_and_saveexec_b32 s25, s5
	s_cbranch_execnz .LBB113_153
.LBB113_149:
	s_or_b32 exec_lo, exec_lo, s25
	s_and_saveexec_b32 s1, s41
	s_cbranch_execnz .LBB113_167
.LBB113_150:
	s_or_b32 exec_lo, exec_lo, s1
	s_and_saveexec_b32 s1, s3
	s_cbranch_execnz .LBB113_98
	s_branch .LBB113_99
.LBB113_151:
	s_or_b32 exec_lo, exec_lo, s19
	s_and_saveexec_b32 s1, s43
	s_cbranch_execnz .LBB113_148
.LBB113_152:
	s_or_b32 exec_lo, exec_lo, s1
	s_and_saveexec_b32 s25, s5
	s_cbranch_execz .LBB113_149
.LBB113_153:
	v_mov_b64_e32 v[8:9], 0
	s_and_not1_b32 vcc_lo, exec_lo, s37
	s_cbranch_vccnz .LBB113_160
; %bb.154:
	v_mul_u64_e32 v[10:11], s[6:7], v[6:7]
	v_mov_b64_e32 v[8:9], 0
	s_mov_b32 s19, 0
	v_mov_b32_e32 v6, 0
	s_lshl_b64 s[20:21], s[18:19], 3
	s_mov_b64 s[4:5], 0xffffffff
	s_add_nc_u64 s[6:7], s[10:11], s[20:21]
	s_add_nc_u64 s[10:11], s[12:13], s[20:21]
	s_branch .LBB113_156
.LBB113_155:                            ;   in Loop: Header=BB113_156 Depth=1
	s_or_b32 exec_lo, exec_lo, s1
	s_wait_loadcnt 0x1
	s_delay_alu instid0(VALU_DEP_1)
	v_mul_u64_e32 v[14:15], s[12:13], v[12:13]
	s_load_b64 s[12:13], s[10:11], 0x0
	s_add_co_i32 s8, s8, -1
	s_add_nc_u64 s[6:7], s[6:7], -8
	s_cmp_lg_u32 s8, 0
	s_wait_xcnt 0x0
	s_add_nc_u64 s[10:11], s[10:11], -8
	s_delay_alu instid0(VALU_DEP_1) | instskip(SKIP_1) | instid1(VALU_DEP_1)
	v_sub_nc_u64_e32 v[10:11], v[10:11], v[14:15]
	s_wait_kmcnt 0x0
	v_mad_nc_u64_u32 v[8:9], v10, s12, v[8:9]
	s_delay_alu instid0(VALU_DEP_1) | instskip(NEXT) | instid1(VALU_DEP_1)
	v_mad_u32 v1, v11, s12, v9
	v_mad_u32 v9, v10, s13, v1
	v_mov_b64_e32 v[10:11], v[12:13]
	s_cbranch_scc0 .LBB113_160
.LBB113_156:                            ; =>This Inner Loop Header: Depth=1
	s_load_b64 s[12:13], s[6:7], 0x0
                                        ; implicit-def: $vgpr12_vgpr13
	s_mov_b32 s1, exec_lo
	s_wait_kmcnt 0x0
	s_delay_alu instid0(VALU_DEP_1) | instskip(NEXT) | instid1(VALU_DEP_1)
	v_or_b32_e32 v7, s13, v11
	v_cmpx_ne_u64_e32 0, v[6:7]
	s_xor_b32 s26, exec_lo, s1
	s_cbranch_execz .LBB113_158
; %bb.157:                              ;   in Loop: Header=BB113_156 Depth=1
	s_ashr_i32 s20, s13, 31
	s_wait_loadcnt 0x3
	v_dual_mov_b32 v17, v6 :: v_dual_ashrrev_i32 v12, 31, v11
	s_mov_b32 s21, s20
	s_delay_alu instid0(SALU_CYCLE_1) | instskip(NEXT) | instid1(VALU_DEP_1)
	s_add_nc_u64 s[22:23], s[12:13], s[20:21]
	v_mov_b32_e32 v13, v12
	s_xor_b64 s[22:23], s[22:23], s[20:21]
	s_delay_alu instid0(SALU_CYCLE_1)
	s_cvt_f32_u32 s1, s22
	s_cvt_f32_u32 s18, s23
	s_sub_nc_u64 s[30:31], 0, s[22:23]
	s_wait_loadcnt 0x1
	v_add_nc_u64_e32 v[14:15], v[10:11], v[12:13]
	v_mov_b32_e32 v21, v6
	s_fmamk_f32 s1, s18, 0x4f800000, s1
	s_delay_alu instid0(SALU_CYCLE_3) | instskip(NEXT) | instid1(VALU_DEP_2)
	v_s_rcp_f32 s1, s1
	v_xor_b32_e32 v16, v14, v12
	s_delay_alu instid0(VALU_DEP_3) | instskip(NEXT) | instid1(TRANS32_DEP_1)
	v_dual_mov_b32 v25, v6 :: v_dual_bitop2_b32 v20, v15, v12 bitop3:0x14
	s_mul_f32 s1, s1, 0x5f7ffffc
	s_delay_alu instid0(SALU_CYCLE_3) | instskip(NEXT) | instid1(SALU_CYCLE_3)
	s_mul_f32 s18, s1, 0x2f800000
	s_trunc_f32 s18, s18
	s_delay_alu instid0(SALU_CYCLE_3) | instskip(SKIP_1) | instid1(SALU_CYCLE_2)
	s_fmamk_f32 s1, s18, 0xcf800000, s1
	s_cvt_u32_f32 s29, s18
	s_cvt_u32_f32 s28, s1
	s_delay_alu instid0(SALU_CYCLE_3) | instskip(NEXT) | instid1(SALU_CYCLE_1)
	s_mul_u64 s[34:35], s[30:31], s[28:29]
	s_mul_hi_u32 s39, s28, s35
	s_mul_i32 s38, s28, s35
	s_mul_hi_u32 s18, s28, s34
	s_mul_i32 s21, s29, s34
	s_add_nc_u64 s[38:39], s[18:19], s[38:39]
	s_mul_hi_u32 s1, s29, s34
	s_mul_hi_u32 s27, s29, s35
	s_add_co_u32 s18, s38, s21
	s_add_co_ci_u32 s18, s39, s1
	s_mul_i32 s34, s29, s35
	s_add_co_ci_u32 s35, s27, 0
	s_delay_alu instid0(SALU_CYCLE_1) | instskip(NEXT) | instid1(SALU_CYCLE_1)
	s_add_nc_u64 s[34:35], s[18:19], s[34:35]
	s_add_co_u32 s28, s28, s34
	s_cselect_b32 s1, -1, 0
	s_delay_alu instid0(SALU_CYCLE_1) | instskip(SKIP_1) | instid1(SALU_CYCLE_1)
	s_cmp_lg_u32 s1, 0
	s_add_co_ci_u32 s29, s29, s35
	s_mul_u64 s[30:31], s[30:31], s[28:29]
	s_delay_alu instid0(SALU_CYCLE_1)
	s_mul_hi_u32 s35, s28, s31
	s_mul_i32 s34, s28, s31
	s_mul_hi_u32 s18, s28, s30
	s_mul_i32 s21, s29, s30
	s_add_nc_u64 s[34:35], s[18:19], s[34:35]
	s_mul_hi_u32 s1, s29, s30
	s_mul_hi_u32 s27, s29, s31
	s_add_co_u32 s18, s34, s21
	s_add_co_ci_u32 s18, s35, s1
	s_mul_i32 s30, s29, s31
	s_add_co_ci_u32 s31, s27, 0
	s_delay_alu instid0(SALU_CYCLE_1) | instskip(NEXT) | instid1(SALU_CYCLE_1)
	s_add_nc_u64 s[30:31], s[18:19], s[30:31]
	s_add_co_u32 s28, s28, s30
	s_cselect_b32 s1, -1, 0
	s_wait_loadcnt 0x0
	v_mul_hi_u32 v24, v16, s28
	s_cmp_lg_u32 s1, 0
	s_add_co_ci_u32 s18, s29, s31
	s_and_b64 s[30:31], s[28:29], s[4:5]
	v_mul_u64_e32 v[18:19], s[18:19], v[16:17]
	v_mul_u64_e32 v[14:15], s[30:31], v[20:21]
	;; [unrolled: 1-line block ×3, first 2 shown]
	s_delay_alu instid0(VALU_DEP_3) | instskip(NEXT) | instid1(VALU_DEP_1)
	v_add_nc_u64_e32 v[18:19], v[24:25], v[18:19]
	v_add_co_u32 v1, vcc_lo, v18, v14
	s_delay_alu instid0(VALU_DEP_2) | instskip(NEXT) | instid1(VALU_DEP_4)
	v_add_co_ci_u32_e32 v24, vcc_lo, v19, v15, vcc_lo
	v_add_co_ci_u32_e32 v23, vcc_lo, 0, v23, vcc_lo
	s_delay_alu instid0(VALU_DEP_1) | instskip(NEXT) | instid1(VALU_DEP_1)
	v_add_nc_u64_e32 v[14:15], v[24:25], v[22:23]
	v_mul_u64_e32 v[18:19], s[22:23], v[14:15]
	s_delay_alu instid0(VALU_DEP_1) | instskip(NEXT) | instid1(VALU_DEP_2)
	v_sub_nc_u32_e32 v1, v20, v19
	v_sub_co_u32 v3, vcc_lo, v16, v18
	s_delay_alu instid0(VALU_DEP_1) | instskip(NEXT) | instid1(VALU_DEP_3)
	v_sub_co_ci_u32_e64 v7, null, v20, v19, vcc_lo
	v_subrev_co_ci_u32_e64 v1, null, s23, v1, vcc_lo
	s_delay_alu instid0(VALU_DEP_3) | instskip(SKIP_1) | instid1(VALU_DEP_3)
	v_sub_co_u32 v5, s1, v3, s22
	v_add_nc_u64_e32 v[16:17], 2, v[14:15]
	v_subrev_co_ci_u32_e64 v1, null, 0, v1, s1
	s_delay_alu instid0(VALU_DEP_3) | instskip(SKIP_2) | instid1(VALU_DEP_4)
	v_cmp_le_u32_e32 vcc_lo, s22, v5
	v_add_nc_u64_e32 v[18:19], 1, v[14:15]
	v_cndmask_b32_e64 v5, 0, -1, vcc_lo
	v_cmp_le_u32_e32 vcc_lo, s23, v1
	v_cndmask_b32_e64 v13, 0, -1, vcc_lo
	v_cmp_le_u32_e32 vcc_lo, s22, v3
	;; [unrolled: 2-line block ×3, first 2 shown]
	v_cndmask_b32_e64 v20, 0, -1, vcc_lo
	v_cmp_eq_u32_e32 vcc_lo, s23, v1
	v_cndmask_b32_e32 v1, v13, v5, vcc_lo
	v_cmp_eq_u32_e32 vcc_lo, s23, v7
	s_delay_alu instid0(VALU_DEP_4) | instskip(NEXT) | instid1(VALU_DEP_3)
	v_cndmask_b32_e32 v3, v20, v3, vcc_lo
	v_cmp_ne_u32_e32 vcc_lo, 0, v1
	s_delay_alu instid0(VALU_DEP_2) | instskip(SKIP_1) | instid1(VALU_DEP_1)
	v_cmp_ne_u32_e64 s1, 0, v3
	v_dual_cndmask_b32 v1, v19, v17, vcc_lo :: v_dual_cndmask_b32 v3, v18, v16, vcc_lo
	v_dual_cndmask_b32 v1, v15, v1, s1 :: v_dual_bitop2_b32 v12, s20, v12 bitop3:0x14
	s_delay_alu instid0(VALU_DEP_1) | instskip(NEXT) | instid1(VALU_DEP_2)
	v_dual_cndmask_b32 v3, v14, v3, s1 :: v_dual_mov_b32 v13, v12
	v_xor_b32_e32 v15, v1, v12
	s_delay_alu instid0(VALU_DEP_2) | instskip(NEXT) | instid1(VALU_DEP_1)
	v_xor_b32_e32 v14, v3, v12
	v_sub_nc_u64_e32 v[12:13], v[14:15], v[12:13]
.LBB113_158:                            ;   in Loop: Header=BB113_156 Depth=1
	s_and_not1_saveexec_b32 s1, s26
	s_cbranch_execz .LBB113_155
; %bb.159:                              ;   in Loop: Header=BB113_156 Depth=1
	v_cvt_f32_u32_e32 v1, s12
	s_sub_co_i32 s18, 0, s12
	v_mov_b32_e32 v13, v6
	s_delay_alu instid0(VALU_DEP_2) | instskip(SKIP_1) | instid1(TRANS32_DEP_1)
	v_rcp_iflag_f32_e32 v1, v1
	v_nop
	v_mul_f32_e32 v1, 0x4f7ffffe, v1
	s_delay_alu instid0(VALU_DEP_1) | instskip(NEXT) | instid1(VALU_DEP_1)
	v_cvt_u32_f32_e32 v1, v1
	v_mul_lo_u32 v3, s18, v1
	s_delay_alu instid0(VALU_DEP_1) | instskip(NEXT) | instid1(VALU_DEP_1)
	v_mul_hi_u32 v3, v1, v3
	v_add_nc_u32_e32 v1, v1, v3
	s_delay_alu instid0(VALU_DEP_1) | instskip(NEXT) | instid1(VALU_DEP_1)
	v_mul_hi_u32 v1, v10, v1
	v_mul_lo_u32 v3, v1, s12
	s_delay_alu instid0(VALU_DEP_1) | instskip(NEXT) | instid1(VALU_DEP_1)
	v_sub_nc_u32_e32 v3, v10, v3
	v_subrev_nc_u32_e32 v7, s12, v3
	v_cmp_le_u32_e32 vcc_lo, s12, v3
	s_delay_alu instid0(VALU_DEP_2) | instskip(NEXT) | instid1(VALU_DEP_1)
	v_dual_add_nc_u32 v5, 1, v1 :: v_dual_cndmask_b32 v3, v3, v7, vcc_lo
	v_cndmask_b32_e32 v1, v1, v5, vcc_lo
	s_delay_alu instid0(VALU_DEP_2) | instskip(NEXT) | instid1(VALU_DEP_2)
	v_cmp_le_u32_e32 vcc_lo, s12, v3
	v_add_nc_u32_e32 v5, 1, v1
	s_delay_alu instid0(VALU_DEP_1)
	v_cndmask_b32_e32 v12, v1, v5, vcc_lo
	s_branch .LBB113_155
.LBB113_160:
	s_mov_b32 s4, s41
	s_mov_b32 s1, exec_lo
	v_cmpx_gt_i32_e64 v4, v2
	s_cbranch_execz .LBB113_166
; %bb.161:
	s_delay_alu instid0(VALU_DEP_2) | instskip(SKIP_3) | instid1(VALU_DEP_1)
	v_lshlrev_b64_e32 v[6:7], 2, v[8:9]
	v_dual_ashrrev_i32 v3, 31, v2 :: v_dual_ashrrev_i32 v5, 31, v4
	s_mov_b32 s4, 0
	s_xor_b32 s6, s36, -1
                                        ; implicit-def: $sgpr5
                                        ; implicit-def: $sgpr8
                                        ; implicit-def: $sgpr7
	v_lshl_add_u64 v[2:3], v[2:3], 2, v[6:7]
	v_add_nc_u64_e32 v[6:7], s[14:15], v[6:7]
	s_delay_alu instid0(VALU_DEP_2) | instskip(NEXT) | instid1(VALU_DEP_2)
	v_add_nc_u64_e32 v[2:3], s[14:15], v[2:3]
	v_lshl_add_u64 v[4:5], v[4:5], 2, v[6:7]
	s_delay_alu instid0(VALU_DEP_2)
	v_add_nc_u64_e32 v[2:3], 4, v[2:3]
	s_branch .LBB113_163
.LBB113_162:                            ;   in Loop: Header=BB113_163 Depth=1
	s_or_b32 exec_lo, exec_lo, s10
	s_xor_b32 s10, s7, -1
	s_and_b32 s11, exec_lo, s8
	s_delay_alu instid0(SALU_CYCLE_1) | instskip(SKIP_2) | instid1(SALU_CYCLE_1)
	s_or_b32 s4, s11, s4
	s_and_not1_b32 s5, s5, exec_lo
	s_and_b32 s10, s10, exec_lo
	s_or_b32 s5, s5, s10
	s_and_not1_b32 exec_lo, exec_lo, s4
	s_cbranch_execz .LBB113_165
.LBB113_163:                            ; =>This Inner Loop Header: Depth=1
	s_or_b32 s7, s7, exec_lo
	s_or_b32 s8, s8, exec_lo
	s_mov_b32 s10, exec_lo
	s_delay_alu instid0(VALU_DEP_1)
	v_cmpx_lt_u64_e64 v[2:3], v[4:5]
	s_cbranch_execz .LBB113_162
; %bb.164:                              ;   in Loop: Header=BB113_163 Depth=1
	global_load_b64 v[6:7], v[2:3], off offset:-4
	s_wait_xcnt 0x0
	v_add_nc_u64_e32 v[2:3], 4, v[2:3]
	s_and_not1_b32 s8, s8, exec_lo
	s_and_not1_b32 s7, s7, exec_lo
	s_wait_loadcnt 0x0
	v_cmp_ge_i32_e32 vcc_lo, v6, v7
	s_or_b32 s11, s6, vcc_lo
	s_delay_alu instid0(SALU_CYCLE_1) | instskip(NEXT) | instid1(SALU_CYCLE_1)
	s_and_b32 s11, s11, exec_lo
	s_or_b32 s8, s8, s11
	s_branch .LBB113_162
.LBB113_165:
	s_or_b32 exec_lo, exec_lo, s4
	s_delay_alu instid0(SALU_CYCLE_1) | instskip(SKIP_1) | instid1(SALU_CYCLE_1)
	s_and_not1_b32 s4, s41, exec_lo
	s_and_b32 s5, s5, exec_lo
	s_or_b32 s4, s4, s5
.LBB113_166:
	s_or_b32 exec_lo, exec_lo, s1
	s_delay_alu instid0(SALU_CYCLE_1)
	s_and_not1_b32 s1, s41, exec_lo
	s_and_b32 s4, s4, exec_lo
	s_or_b32 s9, s9, exec_lo
	s_or_b32 s41, s1, s4
	s_or_b32 exec_lo, exec_lo, s25
	s_and_saveexec_b32 s1, s41
	s_cbranch_execz .LBB113_150
.LBB113_167:
	s_and_not1_b32 s9, s9, exec_lo
	s_or_b32 s3, s3, exec_lo
	s_trap 2
	s_or_b32 exec_lo, exec_lo, s1
	s_and_saveexec_b32 s1, s3
	s_cbranch_execnz .LBB113_98
	s_branch .LBB113_99
.LBB113_168:
	s_mov_b32 s21, -1
	s_mov_b32 s19, 0
	s_mov_b32 s1, exec_lo
	v_cmpx_gt_i32_e64 v14, v16
	s_cbranch_execz .LBB113_177
; %bb.169:
	s_wait_loadcnt 0x0
	s_delay_alu instid0(VALU_DEP_2) | instskip(SKIP_2) | instid1(VALU_DEP_1)
	v_lshlrev_b64_e32 v[18:19], 2, v[20:21]
	v_dual_ashrrev_i32 v17, 31, v16 :: v_dual_ashrrev_i32 v15, 31, v14
	s_xor_b32 s21, s36, -1
                                        ; implicit-def: $sgpr20
                                        ; implicit-def: $sgpr23
                                        ; implicit-def: $sgpr22
	v_lshl_add_u64 v[16:17], v[16:17], 2, v[18:19]
	v_add_nc_u64_e32 v[18:19], s[14:15], v[18:19]
	s_delay_alu instid0(VALU_DEP_2) | instskip(NEXT) | instid1(VALU_DEP_2)
	v_add_nc_u64_e32 v[16:17], s[14:15], v[16:17]
	v_lshl_add_u64 v[14:15], v[14:15], 2, v[18:19]
	s_delay_alu instid0(VALU_DEP_2)
	v_add_nc_u64_e32 v[16:17], 4, v[16:17]
	s_branch .LBB113_171
.LBB113_170:                            ;   in Loop: Header=BB113_171 Depth=1
	s_or_b32 exec_lo, exec_lo, s24
	s_delay_alu instid0(SALU_CYCLE_1) | instskip(NEXT) | instid1(SALU_CYCLE_1)
	s_and_b32 s24, exec_lo, s23
	s_or_b32 s19, s24, s19
	s_and_not1_b32 s20, s20, exec_lo
	s_and_b32 s24, s22, exec_lo
	s_delay_alu instid0(SALU_CYCLE_1)
	s_or_b32 s20, s20, s24
	s_and_not1_b32 exec_lo, exec_lo, s19
	s_cbranch_execz .LBB113_176
.LBB113_171:                            ; =>This Inner Loop Header: Depth=1
	s_or_b32 s22, s22, exec_lo
	s_or_b32 s23, s23, exec_lo
	s_mov_b32 s24, exec_lo
	s_delay_alu instid0(VALU_DEP_1)
	v_cmpx_lt_u64_e64 v[16:17], v[14:15]
	s_cbranch_execz .LBB113_170
; %bb.172:                              ;   in Loop: Header=BB113_171 Depth=1
	global_load_b64 v[18:19], v[16:17], off offset:-4
	s_wait_xcnt 0x0
	v_add_nc_u64_e32 v[16:17], 4, v[16:17]
	s_and_not1_b32 s23, s23, exec_lo
	s_and_not1_b32 s22, s22, exec_lo
	s_wait_loadcnt 0x0
	v_cmp_ge_i32_e32 vcc_lo, v18, v19
	s_or_b32 s25, s21, vcc_lo
	s_delay_alu instid0(SALU_CYCLE_1) | instskip(NEXT) | instid1(SALU_CYCLE_1)
	s_and_b32 s25, s25, exec_lo
	s_or_b32 s23, s23, s25
	s_branch .LBB113_170
.LBB113_173:
	s_or_b32 exec_lo, exec_lo, s34
	s_delay_alu instid0(SALU_CYCLE_1) | instskip(SKIP_1) | instid1(SALU_CYCLE_1)
	s_and_not1_b32 s34, s52, exec_lo
	s_and_b32 s35, s35, exec_lo
	s_or_b32 s34, s34, s35
.LBB113_174:
	s_or_b32 exec_lo, exec_lo, s0
	s_delay_alu instid0(SALU_CYCLE_1)
	s_and_not1_b32 s35, s52, exec_lo
	s_and_b32 s34, s34, exec_lo
	s_mov_b32 s0, exec_lo
	s_or_b32 s52, s35, s34
	s_or_b32 exec_lo, exec_lo, s51
	s_and_saveexec_b32 s34, s52
	s_cbranch_execz .LBB113_71
.LBB113_175:
	s_or_b32 s3, s3, exec_lo
	s_and_not1_b32 s0, s0, exec_lo
	s_trap 2
	s_or_b32 exec_lo, exec_lo, s34
	s_and_saveexec_b32 s34, s0
	s_delay_alu instid0(SALU_CYCLE_1)
	s_xor_b32 s0, exec_lo, s34
	s_cbranch_execnz .LBB113_72
	s_branch .LBB113_73
.LBB113_176:
	s_or_b32 exec_lo, exec_lo, s19
	s_delay_alu instid0(SALU_CYCLE_1)
	s_mov_b32 s19, exec_lo
	s_or_not1_b32 s21, s20, exec_lo
.LBB113_177:
	s_or_b32 exec_lo, exec_lo, s1
	s_delay_alu instid0(SALU_CYCLE_1)
	s_and_b32 s20, s19, exec_lo
	s_xor_b32 s19, exec_lo, -1
	s_and_b32 s1, s21, exec_lo
.LBB113_178:
	s_or_b32 exec_lo, exec_lo, s49
	s_delay_alu instid0(SALU_CYCLE_1)
	s_and_not1_b32 s21, s43, exec_lo
	s_and_b32 s19, s19, exec_lo
	s_and_b32 s20, s20, exec_lo
	s_or_b32 s21, s21, s19
	s_xor_b32 s19, exec_lo, -1
	s_and_b32 s1, s1, exec_lo
.LBB113_179:
	s_or_b32 exec_lo, exec_lo, s48
	s_delay_alu instid0(SALU_CYCLE_1)
	s_and_not1_b32 s22, s43, exec_lo
	s_and_b32 s21, s21, exec_lo
	s_and_not1_b32 s23, s44, exec_lo
	s_and_b32 s19, s19, exec_lo
	s_and_b32 s20, s20, exec_lo
	s_or_b32 s22, s22, s21
	s_or_b32 s21, s23, s19
	s_xor_b32 s19, exec_lo, -1
	s_and_b32 s1, s1, exec_lo
.LBB113_180:
	s_or_b32 exec_lo, exec_lo, s9
	s_delay_alu instid0(SALU_CYCLE_1)
	s_and_not1_b32 s23, s43, exec_lo
	s_and_b32 s22, s22, exec_lo
	s_and_b32 s9, s20, exec_lo
	s_or_b32 s49, s23, s22
	s_and_not1_b32 s20, s44, exec_lo
	s_and_b32 s21, s21, exec_lo
	s_and_not1_b32 s22, s46, exec_lo
	s_and_b32 s19, s19, exec_lo
	s_or_b32 s50, s20, s21
	s_or_b32 s48, s22, s19
	s_or_not1_b32 s1, s1, exec_lo
.LBB113_181:
	s_or_b32 exec_lo, exec_lo, s45
	s_mov_b32 s21, 0
                                        ; implicit-def: $sgpr45
                                        ; implicit-def: $sgpr24
	s_and_saveexec_b32 s51, s1
	s_cbranch_execz .LBB113_208
; %bb.182:
	v_or_b32_e32 v5, 0x200, v0
	s_mov_b32 s25, -1
	s_mov_b32 s52, 0
	s_mov_b32 s1, s48
	;; [unrolled: 1-line block ×3, first 2 shown]
	v_cmp_gt_i32_e64 s45, s5, v5
	s_mov_b32 s19, s49
	s_and_saveexec_b32 s53, s45
	s_cbranch_execz .LBB113_203
; %bb.183:
	v_cmp_eq_u32_e32 vcc_lo, s33, v11
	s_mov_b32 s1, -1
	s_mov_b32 s22, 0
	s_mov_b32 s23, s50
	;; [unrolled: 1-line block ×3, first 2 shown]
	s_and_b32 s20, s42, vcc_lo
	s_mov_b32 s19, 0
	s_and_saveexec_b32 s54, s20
	s_cbranch_execz .LBB113_202
; %bb.184:
	v_cmp_eq_u32_e32 vcc_lo, s6, v9
	s_mov_b32 s20, 0
	s_mov_b32 s21, s49
	s_and_b32 s19, s39, vcc_lo
	s_delay_alu instid0(SALU_CYCLE_1)
	s_and_saveexec_b32 s55, s19
	s_cbranch_execz .LBB113_201
; %bb.185:
	v_sub_nc_u32_e32 v5, v8, v10
	s_mov_b32 s20, -1
	s_mov_b32 s19, 0
	s_delay_alu instid0(VALU_DEP_1) | instskip(SKIP_2) | instid1(SALU_CYCLE_1)
	v_cmp_le_i32_e32 vcc_lo, s33, v5
	v_cmp_ge_i32_e64 s1, s4, v5
	s_and_b32 s1, vcc_lo, s1
	s_and_b32 s21, s38, s1
	s_mov_b32 s1, 0
	s_and_saveexec_b32 s56, s21
	s_cbranch_execz .LBB113_200
; %bb.186:
	s_wait_loadcnt 0x1
	v_mov_b64_e32 v[14:15], 0
	s_and_not1_b32 vcc_lo, exec_lo, s37
	s_cbranch_vccnz .LBB113_193
; %bb.187:
	v_dual_mov_b32 v14, v13 :: v_dual_ashrrev_i32 v15, 31, v13
	s_mov_b32 s21, 0
	v_mov_b32_e32 v12, 0
	s_mov_b32 s19, s21
	s_mov_b64 s[22:23], 0xffffffff
	v_mul_u64_e32 v[16:17], s[6:7], v[14:15]
	v_mov_b64_e32 v[14:15], 0
	s_lshl_b64 s[26:27], s[18:19], 3
	s_mov_b32 s19, s8
	s_add_nc_u64 s[24:25], s[10:11], s[26:27]
	s_add_nc_u64 s[26:27], s[12:13], s[26:27]
	s_branch .LBB113_189
.LBB113_188:                            ;   in Loop: Header=BB113_189 Depth=1
	s_or_b32 exec_lo, exec_lo, s1
	s_wait_loadcnt 0x0
	s_delay_alu instid0(VALU_DEP_1)
	v_mul_u64_e32 v[20:21], s[28:29], v[18:19]
	s_load_b64 s[28:29], s[26:27], 0x0
	s_add_co_i32 s19, s19, -1
	s_add_nc_u64 s[24:25], s[24:25], -8
	s_cmp_lg_u32 s19, 0
	s_wait_xcnt 0x0
	s_add_nc_u64 s[26:27], s[26:27], -8
	s_delay_alu instid0(VALU_DEP_1) | instskip(SKIP_1) | instid1(VALU_DEP_1)
	v_sub_nc_u64_e32 v[16:17], v[16:17], v[20:21]
	s_wait_kmcnt 0x0
	v_mad_nc_u64_u32 v[14:15], v16, s28, v[14:15]
	s_delay_alu instid0(VALU_DEP_1) | instskip(NEXT) | instid1(VALU_DEP_1)
	v_mad_u32 v5, v17, s28, v15
	v_mad_u32 v15, v16, s29, v5
	v_mov_b64_e32 v[16:17], v[18:19]
	s_cbranch_scc0 .LBB113_193
.LBB113_189:                            ; =>This Inner Loop Header: Depth=1
	s_load_b64 s[28:29], s[24:25], 0x0
                                        ; implicit-def: $vgpr18_vgpr19
	s_mov_b32 s1, exec_lo
	s_wait_kmcnt 0x0
	s_delay_alu instid0(VALU_DEP_1) | instskip(NEXT) | instid1(VALU_DEP_1)
	v_or_b32_e32 v13, s29, v17
	v_cmpx_ne_u64_e32 0, v[12:13]
	s_xor_b32 s57, exec_lo, s1
	s_cbranch_execz .LBB113_191
; %bb.190:                              ;   in Loop: Header=BB113_189 Depth=1
	s_ashr_i32 s30, s29, 31
	s_wait_loadcnt 0x0
	v_dual_mov_b32 v23, v12 :: v_dual_ashrrev_i32 v18, 31, v17
	s_mov_b32 s31, s30
	s_delay_alu instid0(SALU_CYCLE_1) | instskip(NEXT) | instid1(VALU_DEP_1)
	s_add_nc_u64 s[34:35], s[28:29], s[30:31]
	v_mov_b32_e32 v19, v18
	s_xor_b64 s[34:35], s[34:35], s[30:31]
	s_delay_alu instid0(SALU_CYCLE_1)
	s_cvt_f32_u32 s1, s34
	s_cvt_f32_u32 s20, s35
	s_sub_nc_u64 s[60:61], 0, s[34:35]
	v_add_nc_u64_e32 v[20:21], v[16:17], v[18:19]
	v_mov_b32_e32 v27, v12
	s_fmamk_f32 s1, s20, 0x4f800000, s1
	s_delay_alu instid0(SALU_CYCLE_3) | instskip(NEXT) | instid1(VALU_DEP_2)
	v_s_rcp_f32 s1, s1
	v_xor_b32_e32 v22, v20, v18
	s_delay_alu instid0(VALU_DEP_3) | instskip(NEXT) | instid1(TRANS32_DEP_1)
	v_dual_mov_b32 v31, v12 :: v_dual_bitop2_b32 v26, v21, v18 bitop3:0x14
	s_mul_f32 s1, s1, 0x5f7ffffc
	s_delay_alu instid0(SALU_CYCLE_3) | instskip(NEXT) | instid1(SALU_CYCLE_3)
	s_mul_f32 s20, s1, 0x2f800000
	s_trunc_f32 s20, s20
	s_delay_alu instid0(SALU_CYCLE_3) | instskip(SKIP_1) | instid1(SALU_CYCLE_2)
	s_fmamk_f32 s1, s20, 0xcf800000, s1
	s_cvt_u32_f32 s59, s20
	s_cvt_u32_f32 s58, s1
	s_delay_alu instid0(SALU_CYCLE_3) | instskip(NEXT) | instid1(SALU_CYCLE_1)
	s_mul_u64 s[62:63], s[60:61], s[58:59]
	s_mul_hi_u32 s65, s58, s63
	s_mul_i32 s64, s58, s63
	s_mul_hi_u32 s20, s58, s62
	s_mul_i32 s31, s59, s62
	s_add_nc_u64 s[64:65], s[20:21], s[64:65]
	s_mul_hi_u32 s1, s59, s62
	s_mul_hi_u32 s66, s59, s63
	s_add_co_u32 s20, s64, s31
	s_add_co_ci_u32 s20, s65, s1
	s_mul_i32 s62, s59, s63
	s_add_co_ci_u32 s63, s66, 0
	s_delay_alu instid0(SALU_CYCLE_1) | instskip(NEXT) | instid1(SALU_CYCLE_1)
	s_add_nc_u64 s[62:63], s[20:21], s[62:63]
	s_add_co_u32 s58, s58, s62
	s_cselect_b32 s1, -1, 0
	s_delay_alu instid0(SALU_CYCLE_1) | instskip(SKIP_1) | instid1(SALU_CYCLE_1)
	s_cmp_lg_u32 s1, 0
	s_add_co_ci_u32 s59, s59, s63
	s_mul_u64 s[60:61], s[60:61], s[58:59]
	s_delay_alu instid0(SALU_CYCLE_1)
	s_mul_hi_u32 s63, s58, s61
	s_mul_i32 s62, s58, s61
	s_mul_hi_u32 s20, s58, s60
	s_mul_i32 s31, s59, s60
	s_add_nc_u64 s[62:63], s[20:21], s[62:63]
	s_mul_hi_u32 s1, s59, s60
	s_mul_hi_u32 s64, s59, s61
	s_add_co_u32 s20, s62, s31
	s_add_co_ci_u32 s20, s63, s1
	s_mul_i32 s60, s59, s61
	s_add_co_ci_u32 s61, s64, 0
	s_delay_alu instid0(SALU_CYCLE_1) | instskip(NEXT) | instid1(SALU_CYCLE_1)
	s_add_nc_u64 s[60:61], s[20:21], s[60:61]
	s_add_co_u32 s58, s58, s60
	s_cselect_b32 s1, -1, 0
	v_mul_hi_u32 v30, v22, s58
	s_cmp_lg_u32 s1, 0
	s_add_co_ci_u32 s20, s59, s61
	s_and_b64 s[60:61], s[58:59], s[22:23]
	v_mul_u64_e32 v[24:25], s[20:21], v[22:23]
	v_mul_u64_e32 v[20:21], s[60:61], v[26:27]
	;; [unrolled: 1-line block ×3, first 2 shown]
	s_delay_alu instid0(VALU_DEP_3) | instskip(NEXT) | instid1(VALU_DEP_1)
	v_add_nc_u64_e32 v[24:25], v[30:31], v[24:25]
	v_add_co_u32 v5, vcc_lo, v24, v20
	s_delay_alu instid0(VALU_DEP_2) | instskip(NEXT) | instid1(VALU_DEP_4)
	v_add_co_ci_u32_e32 v30, vcc_lo, v25, v21, vcc_lo
	v_add_co_ci_u32_e32 v29, vcc_lo, 0, v29, vcc_lo
	s_delay_alu instid0(VALU_DEP_1) | instskip(NEXT) | instid1(VALU_DEP_1)
	v_add_nc_u64_e32 v[20:21], v[30:31], v[28:29]
	v_mul_u64_e32 v[24:25], s[34:35], v[20:21]
	s_delay_alu instid0(VALU_DEP_1) | instskip(NEXT) | instid1(VALU_DEP_2)
	v_sub_nc_u32_e32 v5, v26, v25
	v_sub_co_u32 v9, vcc_lo, v22, v24
	s_delay_alu instid0(VALU_DEP_1) | instskip(NEXT) | instid1(VALU_DEP_3)
	v_sub_co_ci_u32_e64 v13, null, v26, v25, vcc_lo
	v_subrev_co_ci_u32_e64 v5, null, s35, v5, vcc_lo
	s_delay_alu instid0(VALU_DEP_3) | instskip(SKIP_1) | instid1(VALU_DEP_3)
	v_sub_co_u32 v11, s1, v9, s34
	v_add_nc_u64_e32 v[22:23], 2, v[20:21]
	v_subrev_co_ci_u32_e64 v5, null, 0, v5, s1
	s_delay_alu instid0(VALU_DEP_3) | instskip(SKIP_2) | instid1(VALU_DEP_4)
	v_cmp_le_u32_e32 vcc_lo, s34, v11
	v_add_nc_u64_e32 v[24:25], 1, v[20:21]
	v_cndmask_b32_e64 v11, 0, -1, vcc_lo
	v_cmp_le_u32_e32 vcc_lo, s35, v5
	v_cndmask_b32_e64 v19, 0, -1, vcc_lo
	v_cmp_le_u32_e32 vcc_lo, s34, v9
	;; [unrolled: 2-line block ×3, first 2 shown]
	v_cndmask_b32_e64 v26, 0, -1, vcc_lo
	v_cmp_eq_u32_e32 vcc_lo, s35, v5
	v_cndmask_b32_e32 v5, v19, v11, vcc_lo
	v_cmp_eq_u32_e32 vcc_lo, s35, v13
	s_delay_alu instid0(VALU_DEP_4) | instskip(NEXT) | instid1(VALU_DEP_3)
	v_cndmask_b32_e32 v9, v26, v9, vcc_lo
	v_cmp_ne_u32_e32 vcc_lo, 0, v5
	s_delay_alu instid0(VALU_DEP_2) | instskip(SKIP_1) | instid1(VALU_DEP_1)
	v_cmp_ne_u32_e64 s1, 0, v9
	v_dual_cndmask_b32 v5, v25, v23, vcc_lo :: v_dual_cndmask_b32 v9, v24, v22, vcc_lo
	v_dual_cndmask_b32 v5, v21, v5, s1 :: v_dual_bitop2_b32 v18, s30, v18 bitop3:0x14
	s_delay_alu instid0(VALU_DEP_1) | instskip(NEXT) | instid1(VALU_DEP_2)
	v_dual_cndmask_b32 v9, v20, v9, s1 :: v_dual_mov_b32 v19, v18
	v_xor_b32_e32 v21, v5, v18
	s_delay_alu instid0(VALU_DEP_2) | instskip(NEXT) | instid1(VALU_DEP_1)
	v_xor_b32_e32 v20, v9, v18
	v_sub_nc_u64_e32 v[18:19], v[20:21], v[18:19]
.LBB113_191:                            ;   in Loop: Header=BB113_189 Depth=1
	s_and_not1_saveexec_b32 s1, s57
	s_cbranch_execz .LBB113_188
; %bb.192:                              ;   in Loop: Header=BB113_189 Depth=1
	v_cvt_f32_u32_e32 v5, s28
	s_sub_co_i32 s20, 0, s28
	v_mov_b32_e32 v19, v12
	s_delay_alu instid0(VALU_DEP_2) | instskip(SKIP_1) | instid1(TRANS32_DEP_1)
	v_rcp_iflag_f32_e32 v5, v5
	v_nop
	v_mul_f32_e32 v5, 0x4f7ffffe, v5
	s_delay_alu instid0(VALU_DEP_1) | instskip(NEXT) | instid1(VALU_DEP_1)
	v_cvt_u32_f32_e32 v5, v5
	v_mul_lo_u32 v9, s20, v5
	s_delay_alu instid0(VALU_DEP_1) | instskip(NEXT) | instid1(VALU_DEP_1)
	v_mul_hi_u32 v9, v5, v9
	v_add_nc_u32_e32 v5, v5, v9
	s_delay_alu instid0(VALU_DEP_1) | instskip(NEXT) | instid1(VALU_DEP_1)
	v_mul_hi_u32 v5, v16, v5
	v_mul_lo_u32 v9, v5, s28
	v_add_nc_u32_e32 v11, 1, v5
	s_delay_alu instid0(VALU_DEP_2) | instskip(NEXT) | instid1(VALU_DEP_1)
	v_sub_nc_u32_e32 v9, v16, v9
	v_subrev_nc_u32_e32 v13, s28, v9
	v_cmp_le_u32_e32 vcc_lo, s28, v9
	s_delay_alu instid0(VALU_DEP_2) | instskip(SKIP_1) | instid1(VALU_DEP_2)
	v_cndmask_b32_e32 v9, v9, v13, vcc_lo
	v_cndmask_b32_e32 v5, v5, v11, vcc_lo
	v_cmp_le_u32_e32 vcc_lo, s28, v9
	s_delay_alu instid0(VALU_DEP_2) | instskip(SKIP_1) | instid1(VALU_DEP_1)
	v_add_nc_u32_e32 v11, 1, v5
	s_wait_loadcnt 0x0
	v_cndmask_b32_e32 v18, v5, v11, vcc_lo
	s_branch .LBB113_188
.LBB113_193:
	s_mov_b32 s19, -1
	s_mov_b32 s21, 0
	s_mov_b32 s1, exec_lo
	v_cmpx_gt_i32_e64 v8, v10
	s_cbranch_execz .LBB113_199
; %bb.194:
	s_delay_alu instid0(VALU_DEP_2) | instskip(SKIP_3) | instid1(VALU_DEP_1)
	v_lshlrev_b64_e32 v[12:13], 2, v[14:15]
	v_dual_ashrrev_i32 v11, 31, v10 :: v_dual_ashrrev_i32 v9, 31, v8
	s_mov_b32 s19, 0
	s_xor_b32 s21, s36, -1
                                        ; implicit-def: $sgpr20
                                        ; implicit-def: $sgpr23
                                        ; implicit-def: $sgpr22
	v_lshl_add_u64 v[10:11], v[10:11], 2, v[12:13]
	v_add_nc_u64_e32 v[12:13], s[14:15], v[12:13]
	s_delay_alu instid0(VALU_DEP_2) | instskip(NEXT) | instid1(VALU_DEP_2)
	v_add_nc_u64_e32 v[10:11], s[14:15], v[10:11]
	v_lshl_add_u64 v[8:9], v[8:9], 2, v[12:13]
	s_delay_alu instid0(VALU_DEP_2)
	v_add_nc_u64_e32 v[10:11], 4, v[10:11]
	s_branch .LBB113_196
.LBB113_195:                            ;   in Loop: Header=BB113_196 Depth=1
	s_or_b32 exec_lo, exec_lo, s24
	s_delay_alu instid0(SALU_CYCLE_1) | instskip(NEXT) | instid1(SALU_CYCLE_1)
	s_and_b32 s24, exec_lo, s23
	s_or_b32 s19, s24, s19
	s_and_not1_b32 s20, s20, exec_lo
	s_and_b32 s24, s22, exec_lo
	s_delay_alu instid0(SALU_CYCLE_1)
	s_or_b32 s20, s20, s24
	s_and_not1_b32 exec_lo, exec_lo, s19
	s_cbranch_execz .LBB113_198
.LBB113_196:                            ; =>This Inner Loop Header: Depth=1
	s_or_b32 s22, s22, exec_lo
	s_or_b32 s23, s23, exec_lo
	s_mov_b32 s24, exec_lo
	s_delay_alu instid0(VALU_DEP_1)
	v_cmpx_lt_u64_e64 v[10:11], v[8:9]
	s_cbranch_execz .LBB113_195
; %bb.197:                              ;   in Loop: Header=BB113_196 Depth=1
	global_load_b64 v[12:13], v[10:11], off offset:-4
	s_wait_xcnt 0x0
	v_add_nc_u64_e32 v[10:11], 4, v[10:11]
	s_and_not1_b32 s23, s23, exec_lo
	s_and_not1_b32 s22, s22, exec_lo
	s_wait_loadcnt 0x0
	v_cmp_ge_i32_e32 vcc_lo, v12, v13
	s_or_b32 s25, s21, vcc_lo
	s_delay_alu instid0(SALU_CYCLE_1) | instskip(NEXT) | instid1(SALU_CYCLE_1)
	s_and_b32 s25, s25, exec_lo
	s_or_b32 s23, s23, s25
	s_branch .LBB113_195
.LBB113_198:
	s_or_b32 exec_lo, exec_lo, s19
	s_delay_alu instid0(SALU_CYCLE_1)
	s_mov_b32 s21, exec_lo
	s_or_not1_b32 s19, s20, exec_lo
.LBB113_199:
	s_or_b32 exec_lo, exec_lo, s1
	s_delay_alu instid0(SALU_CYCLE_1)
	s_and_b32 s1, s21, exec_lo
	s_xor_b32 s20, exec_lo, -1
	s_and_b32 s19, s19, exec_lo
.LBB113_200:
	s_or_b32 exec_lo, exec_lo, s56
	s_delay_alu instid0(SALU_CYCLE_1)
	s_and_not1_b32 s21, s49, exec_lo
	s_and_b32 s20, s20, exec_lo
	s_and_b32 s22, s1, exec_lo
	s_or_b32 s21, s21, s20
	s_xor_b32 s1, exec_lo, -1
	s_and_b32 s20, s19, exec_lo
.LBB113_201:
	s_or_b32 exec_lo, exec_lo, s55
	s_delay_alu instid0(SALU_CYCLE_1)
	s_and_b32 s19, s22, exec_lo
	s_and_not1_b32 s22, s49, exec_lo
	s_and_b32 s21, s21, exec_lo
	s_and_not1_b32 s23, s50, exec_lo
	s_and_b32 s1, s1, exec_lo
	s_or_b32 s21, s22, s21
	s_or_b32 s23, s23, s1
	s_xor_b32 s1, exec_lo, -1
	s_and_b32 s22, s20, exec_lo
.LBB113_202:
	s_or_b32 exec_lo, exec_lo, s54
	s_delay_alu instid0(SALU_CYCLE_1)
	s_and_not1_b32 s20, s49, exec_lo
	s_and_b32 s24, s21, exec_lo
	s_and_b32 s21, s19, exec_lo
	s_or_b32 s19, s20, s24
	s_and_not1_b32 s20, s50, exec_lo
	s_and_b32 s23, s23, exec_lo
	s_and_not1_b32 s24, s48, exec_lo
	s_and_b32 s1, s1, exec_lo
	s_or_b32 s20, s20, s23
	s_or_b32 s1, s24, s1
	s_or_not1_b32 s25, s22, exec_lo
.LBB113_203:
	s_or_b32 exec_lo, exec_lo, s53
	s_mov_b32 s23, 0
                                        ; implicit-def: $sgpr24
	s_and_saveexec_b32 s22, s25
	s_cbranch_execz .LBB113_207
; %bb.204:
	v_or_b32_e32 v5, 0x300, v0
	s_mov_b32 s23, -1
	s_mov_b32 s25, s1
	s_delay_alu instid0(VALU_DEP_1) | instskip(SKIP_2) | instid1(SALU_CYCLE_1)
	v_cmp_gt_i32_e64 s24, s5, v5
	s_mov_b32 s5, 0
	s_and_saveexec_b32 s26, s24
	s_xor_b32 s26, exec_lo, s26
; %bb.205:
	v_cmp_ne_u32_e32 vcc_lo, s33, v3
	s_xor_b32 s23, s42, -1
	s_and_not1_b32 s25, s1, exec_lo
	s_mov_b32 s5, exec_lo
	s_or_b32 s23, s23, vcc_lo
	s_delay_alu instid0(SALU_CYCLE_1)
	s_and_b32 s27, s23, exec_lo
	s_xor_b32 s23, exec_lo, -1
	s_or_b32 s25, s25, s27
; %bb.206:
	s_or_b32 exec_lo, exec_lo, s26
	s_delay_alu instid0(SALU_CYCLE_1)
	s_and_not1_b32 s1, s1, exec_lo
	s_and_b32 s25, s25, exec_lo
	s_and_b32 s23, s23, exec_lo
	s_and_not1_b32 s21, s21, exec_lo
	s_and_b32 s52, s5, exec_lo
	s_or_b32 s1, s1, s25
.LBB113_207:
	s_or_b32 exec_lo, exec_lo, s22
	s_delay_alu instid0(SALU_CYCLE_1)
	s_and_not1_b32 s5, s9, exec_lo
	s_and_b32 s9, s21, exec_lo
	s_and_b32 s19, s19, exec_lo
	s_or_b32 s9, s5, s9
	s_and_not1_b32 s5, s49, exec_lo
	s_and_not1_b32 s22, s50, exec_lo
	s_and_b32 s20, s20, exec_lo
	s_or_b32 s49, s5, s19
	s_and_not1_b32 s5, s48, exec_lo
	s_and_b32 s1, s1, exec_lo
	s_and_b32 s21, s23, exec_lo
	s_or_b32 s50, s22, s20
	s_and_b32 s52, s52, exec_lo
	s_or_b32 s48, s5, s1
.LBB113_208:
	s_or_b32 exec_lo, exec_lo, s51
	s_delay_alu instid0(SALU_CYCLE_1)
	s_and_not1_b32 s1, s41, exec_lo
	s_and_b32 s5, s9, exec_lo
	s_and_not1_b32 s19, s44, exec_lo
	s_or_b32 s41, s1, s5
	s_and_not1_b32 s1, s43, exec_lo
	s_and_b32 s5, s49, exec_lo
	s_and_b32 s20, s50, exec_lo
	s_or_b32 s43, s1, s5
	s_and_not1_b32 s1, s46, exec_lo
	s_and_b32 s5, s48, exec_lo
	s_and_b32 s9, s21, exec_lo
	s_or_b32 s44, s19, s20
	s_and_b32 s48, s52, exec_lo
	s_or_b32 s46, s1, s5
	s_or_b32 exec_lo, exec_lo, s47
	s_and_saveexec_b32 s1, s46
	s_cbranch_execz .LBB113_143
.LBB113_209:
	s_or_b32 s3, s3, exec_lo
	s_and_not1_b32 s48, s48, exec_lo
	s_trap 2
	s_branch .LBB113_143
.LBB113_210:
	s_or_b32 s3, s3, exec_lo
	s_trap 2
	s_branch .LBB113_76
.LBB113_211:
	s_or_b32 s3, s3, exec_lo
	s_and_not1_b32 s1, s1, exec_lo
	s_trap 2
	s_branch .LBB113_146
.LBB113_212:
	s_mov_b32 s3, exec_lo
	s_and_not1_b32 s0, s0, exec_lo
	s_trap 2
	s_branch .LBB113_67
	.section	.rodata,"a",@progbits
	.p2align	6, 0x0
	.amdhsa_kernel _ZN2at6native29vectorized_elementwise_kernelILi8EZZZNS0_12_GLOBAL__N_142_validate_compressed_sparse_indices_kernelILNS2_8CDimNameE1ENS2_18CUDAKernelLauncherENS2_14EmptyVecKernelENS2_8DummyVecELm0EEEvRKNS_6TensorESA_lllENKUlvE1_clEvENKUlvE_clEvEUliiiiiE_St5arrayIPcLm6EEEEviT0_T1_
		.amdhsa_group_segment_fixed_size 0
		.amdhsa_private_segment_fixed_size 0
		.amdhsa_kernarg_size 112
		.amdhsa_user_sgpr_count 2
		.amdhsa_user_sgpr_dispatch_ptr 0
		.amdhsa_user_sgpr_queue_ptr 0
		.amdhsa_user_sgpr_kernarg_segment_ptr 1
		.amdhsa_user_sgpr_dispatch_id 0
		.amdhsa_user_sgpr_kernarg_preload_length 0
		.amdhsa_user_sgpr_kernarg_preload_offset 0
		.amdhsa_user_sgpr_private_segment_size 0
		.amdhsa_wavefront_size32 1
		.amdhsa_uses_dynamic_stack 0
		.amdhsa_enable_private_segment 0
		.amdhsa_system_sgpr_workgroup_id_x 1
		.amdhsa_system_sgpr_workgroup_id_y 0
		.amdhsa_system_sgpr_workgroup_id_z 0
		.amdhsa_system_sgpr_workgroup_info 0
		.amdhsa_system_vgpr_workitem_id 0
		.amdhsa_next_free_vgpr 44
		.amdhsa_next_free_sgpr 74
		.amdhsa_named_barrier_count 0
		.amdhsa_reserve_vcc 1
		.amdhsa_float_round_mode_32 0
		.amdhsa_float_round_mode_16_64 0
		.amdhsa_float_denorm_mode_32 3
		.amdhsa_float_denorm_mode_16_64 3
		.amdhsa_fp16_overflow 0
		.amdhsa_memory_ordered 1
		.amdhsa_forward_progress 1
		.amdhsa_inst_pref_size 103
		.amdhsa_round_robin_scheduling 0
		.amdhsa_exception_fp_ieee_invalid_op 0
		.amdhsa_exception_fp_denorm_src 0
		.amdhsa_exception_fp_ieee_div_zero 0
		.amdhsa_exception_fp_ieee_overflow 0
		.amdhsa_exception_fp_ieee_underflow 0
		.amdhsa_exception_fp_ieee_inexact 0
		.amdhsa_exception_int_div_zero 0
	.end_amdhsa_kernel
	.section	.text._ZN2at6native29vectorized_elementwise_kernelILi8EZZZNS0_12_GLOBAL__N_142_validate_compressed_sparse_indices_kernelILNS2_8CDimNameE1ENS2_18CUDAKernelLauncherENS2_14EmptyVecKernelENS2_8DummyVecELm0EEEvRKNS_6TensorESA_lllENKUlvE1_clEvENKUlvE_clEvEUliiiiiE_St5arrayIPcLm6EEEEviT0_T1_,"axG",@progbits,_ZN2at6native29vectorized_elementwise_kernelILi8EZZZNS0_12_GLOBAL__N_142_validate_compressed_sparse_indices_kernelILNS2_8CDimNameE1ENS2_18CUDAKernelLauncherENS2_14EmptyVecKernelENS2_8DummyVecELm0EEEvRKNS_6TensorESA_lllENKUlvE1_clEvENKUlvE_clEvEUliiiiiE_St5arrayIPcLm6EEEEviT0_T1_,comdat
.Lfunc_end113:
	.size	_ZN2at6native29vectorized_elementwise_kernelILi8EZZZNS0_12_GLOBAL__N_142_validate_compressed_sparse_indices_kernelILNS2_8CDimNameE1ENS2_18CUDAKernelLauncherENS2_14EmptyVecKernelENS2_8DummyVecELm0EEEvRKNS_6TensorESA_lllENKUlvE1_clEvENKUlvE_clEvEUliiiiiE_St5arrayIPcLm6EEEEviT0_T1_, .Lfunc_end113-_ZN2at6native29vectorized_elementwise_kernelILi8EZZZNS0_12_GLOBAL__N_142_validate_compressed_sparse_indices_kernelILNS2_8CDimNameE1ENS2_18CUDAKernelLauncherENS2_14EmptyVecKernelENS2_8DummyVecELm0EEEvRKNS_6TensorESA_lllENKUlvE1_clEvENKUlvE_clEvEUliiiiiE_St5arrayIPcLm6EEEEviT0_T1_
                                        ; -- End function
	.set _ZN2at6native29vectorized_elementwise_kernelILi8EZZZNS0_12_GLOBAL__N_142_validate_compressed_sparse_indices_kernelILNS2_8CDimNameE1ENS2_18CUDAKernelLauncherENS2_14EmptyVecKernelENS2_8DummyVecELm0EEEvRKNS_6TensorESA_lllENKUlvE1_clEvENKUlvE_clEvEUliiiiiE_St5arrayIPcLm6EEEEviT0_T1_.num_vgpr, 44
	.set _ZN2at6native29vectorized_elementwise_kernelILi8EZZZNS0_12_GLOBAL__N_142_validate_compressed_sparse_indices_kernelILNS2_8CDimNameE1ENS2_18CUDAKernelLauncherENS2_14EmptyVecKernelENS2_8DummyVecELm0EEEvRKNS_6TensorESA_lllENKUlvE1_clEvENKUlvE_clEvEUliiiiiE_St5arrayIPcLm6EEEEviT0_T1_.num_agpr, 0
	.set _ZN2at6native29vectorized_elementwise_kernelILi8EZZZNS0_12_GLOBAL__N_142_validate_compressed_sparse_indices_kernelILNS2_8CDimNameE1ENS2_18CUDAKernelLauncherENS2_14EmptyVecKernelENS2_8DummyVecELm0EEEvRKNS_6TensorESA_lllENKUlvE1_clEvENKUlvE_clEvEUliiiiiE_St5arrayIPcLm6EEEEviT0_T1_.numbered_sgpr, 74
	.set _ZN2at6native29vectorized_elementwise_kernelILi8EZZZNS0_12_GLOBAL__N_142_validate_compressed_sparse_indices_kernelILNS2_8CDimNameE1ENS2_18CUDAKernelLauncherENS2_14EmptyVecKernelENS2_8DummyVecELm0EEEvRKNS_6TensorESA_lllENKUlvE1_clEvENKUlvE_clEvEUliiiiiE_St5arrayIPcLm6EEEEviT0_T1_.num_named_barrier, 0
	.set _ZN2at6native29vectorized_elementwise_kernelILi8EZZZNS0_12_GLOBAL__N_142_validate_compressed_sparse_indices_kernelILNS2_8CDimNameE1ENS2_18CUDAKernelLauncherENS2_14EmptyVecKernelENS2_8DummyVecELm0EEEvRKNS_6TensorESA_lllENKUlvE1_clEvENKUlvE_clEvEUliiiiiE_St5arrayIPcLm6EEEEviT0_T1_.private_seg_size, 0
	.set _ZN2at6native29vectorized_elementwise_kernelILi8EZZZNS0_12_GLOBAL__N_142_validate_compressed_sparse_indices_kernelILNS2_8CDimNameE1ENS2_18CUDAKernelLauncherENS2_14EmptyVecKernelENS2_8DummyVecELm0EEEvRKNS_6TensorESA_lllENKUlvE1_clEvENKUlvE_clEvEUliiiiiE_St5arrayIPcLm6EEEEviT0_T1_.uses_vcc, 1
	.set _ZN2at6native29vectorized_elementwise_kernelILi8EZZZNS0_12_GLOBAL__N_142_validate_compressed_sparse_indices_kernelILNS2_8CDimNameE1ENS2_18CUDAKernelLauncherENS2_14EmptyVecKernelENS2_8DummyVecELm0EEEvRKNS_6TensorESA_lllENKUlvE1_clEvENKUlvE_clEvEUliiiiiE_St5arrayIPcLm6EEEEviT0_T1_.uses_flat_scratch, 0
	.set _ZN2at6native29vectorized_elementwise_kernelILi8EZZZNS0_12_GLOBAL__N_142_validate_compressed_sparse_indices_kernelILNS2_8CDimNameE1ENS2_18CUDAKernelLauncherENS2_14EmptyVecKernelENS2_8DummyVecELm0EEEvRKNS_6TensorESA_lllENKUlvE1_clEvENKUlvE_clEvEUliiiiiE_St5arrayIPcLm6EEEEviT0_T1_.has_dyn_sized_stack, 0
	.set _ZN2at6native29vectorized_elementwise_kernelILi8EZZZNS0_12_GLOBAL__N_142_validate_compressed_sparse_indices_kernelILNS2_8CDimNameE1ENS2_18CUDAKernelLauncherENS2_14EmptyVecKernelENS2_8DummyVecELm0EEEvRKNS_6TensorESA_lllENKUlvE1_clEvENKUlvE_clEvEUliiiiiE_St5arrayIPcLm6EEEEviT0_T1_.has_recursion, 0
	.set _ZN2at6native29vectorized_elementwise_kernelILi8EZZZNS0_12_GLOBAL__N_142_validate_compressed_sparse_indices_kernelILNS2_8CDimNameE1ENS2_18CUDAKernelLauncherENS2_14EmptyVecKernelENS2_8DummyVecELm0EEEvRKNS_6TensorESA_lllENKUlvE1_clEvENKUlvE_clEvEUliiiiiE_St5arrayIPcLm6EEEEviT0_T1_.has_indirect_call, 0
	.section	.AMDGPU.csdata,"",@progbits
; Kernel info:
; codeLenInByte = 13060
; TotalNumSgprs: 76
; NumVgprs: 44
; ScratchSize: 0
; MemoryBound: 0
; FloatMode: 240
; IeeeMode: 1
; LDSByteSize: 0 bytes/workgroup (compile time only)
; SGPRBlocks: 0
; VGPRBlocks: 2
; NumSGPRsForWavesPerEU: 76
; NumVGPRsForWavesPerEU: 44
; NamedBarCnt: 0
; Occupancy: 16
; WaveLimiterHint : 0
; COMPUTE_PGM_RSRC2:SCRATCH_EN: 0
; COMPUTE_PGM_RSRC2:USER_SGPR: 2
; COMPUTE_PGM_RSRC2:TRAP_HANDLER: 0
; COMPUTE_PGM_RSRC2:TGID_X_EN: 1
; COMPUTE_PGM_RSRC2:TGID_Y_EN: 0
; COMPUTE_PGM_RSRC2:TGID_Z_EN: 0
; COMPUTE_PGM_RSRC2:TIDIG_COMP_CNT: 0
	.section	.text._ZN2at6native29vectorized_elementwise_kernelILi4EZZZNS0_12_GLOBAL__N_142_validate_compressed_sparse_indices_kernelILNS2_8CDimNameE1ENS2_18CUDAKernelLauncherENS2_14EmptyVecKernelENS2_8DummyVecELm0EEEvRKNS_6TensorESA_lllENKUlvE1_clEvENKUlvE_clEvEUliiiiiE_St5arrayIPcLm6EEEEviT0_T1_,"axG",@progbits,_ZN2at6native29vectorized_elementwise_kernelILi4EZZZNS0_12_GLOBAL__N_142_validate_compressed_sparse_indices_kernelILNS2_8CDimNameE1ENS2_18CUDAKernelLauncherENS2_14EmptyVecKernelENS2_8DummyVecELm0EEEvRKNS_6TensorESA_lllENKUlvE1_clEvENKUlvE_clEvEUliiiiiE_St5arrayIPcLm6EEEEviT0_T1_,comdat
	.globl	_ZN2at6native29vectorized_elementwise_kernelILi4EZZZNS0_12_GLOBAL__N_142_validate_compressed_sparse_indices_kernelILNS2_8CDimNameE1ENS2_18CUDAKernelLauncherENS2_14EmptyVecKernelENS2_8DummyVecELm0EEEvRKNS_6TensorESA_lllENKUlvE1_clEvENKUlvE_clEvEUliiiiiE_St5arrayIPcLm6EEEEviT0_T1_ ; -- Begin function _ZN2at6native29vectorized_elementwise_kernelILi4EZZZNS0_12_GLOBAL__N_142_validate_compressed_sparse_indices_kernelILNS2_8CDimNameE1ENS2_18CUDAKernelLauncherENS2_14EmptyVecKernelENS2_8DummyVecELm0EEEvRKNS_6TensorESA_lllENKUlvE1_clEvENKUlvE_clEvEUliiiiiE_St5arrayIPcLm6EEEEviT0_T1_
	.p2align	8
	.type	_ZN2at6native29vectorized_elementwise_kernelILi4EZZZNS0_12_GLOBAL__N_142_validate_compressed_sparse_indices_kernelILNS2_8CDimNameE1ENS2_18CUDAKernelLauncherENS2_14EmptyVecKernelENS2_8DummyVecELm0EEEvRKNS_6TensorESA_lllENKUlvE1_clEvENKUlvE_clEvEUliiiiiE_St5arrayIPcLm6EEEEviT0_T1_,@function
_ZN2at6native29vectorized_elementwise_kernelILi4EZZZNS0_12_GLOBAL__N_142_validate_compressed_sparse_indices_kernelILNS2_8CDimNameE1ENS2_18CUDAKernelLauncherENS2_14EmptyVecKernelENS2_8DummyVecELm0EEEvRKNS_6TensorESA_lllENKUlvE1_clEvENKUlvE_clEvEUliiiiiE_St5arrayIPcLm6EEEEviT0_T1_: ; @_ZN2at6native29vectorized_elementwise_kernelILi4EZZZNS0_12_GLOBAL__N_142_validate_compressed_sparse_indices_kernelILNS2_8CDimNameE1ENS2_18CUDAKernelLauncherENS2_14EmptyVecKernelENS2_8DummyVecELm0EEEvRKNS_6TensorESA_lllENKUlvE1_clEvENKUlvE_clEvEUliiiiiE_St5arrayIPcLm6EEEEviT0_T1_
; %bb.0:
	s_clause 0x3
	s_load_b32 s3, s[0:1], 0x0
	s_load_b32 s33, s[0:1], 0x8
	s_load_b512 s[4:19], s[0:1], 0x10
	s_load_b256 s[20:27], s[0:1], 0x50
	s_wait_xcnt 0x0
	s_bfe_u32 s0, ttmp6, 0x4000c
	s_and_b32 s1, ttmp6, 15
	s_add_co_i32 s0, s0, 1
	s_getreg_b32 s2, hwreg(HW_REG_IB_STS2, 6, 4)
	s_mul_i32 s0, ttmp9, s0
	s_wait_kmcnt 0x0
	s_mov_b32 s9, 0
	s_add_co_i32 s1, s1, s0
	s_cmp_eq_u32 s2, 0
	s_get_pc_i64 s[28:29]
	s_add_nc_u64 s[28:29], s[28:29], .str.6@rel64+4
	s_cselect_b32 s0, ttmp9, s1
	s_delay_alu instid0(SALU_CYCLE_1)
	s_lshl_b32 s2, s0, 10
	s_mov_b32 s0, -1
	s_sub_co_i32 s5, s3, s2
	s_mov_b32 s3, 0
	s_cmp_gt_i32 s5, 0x3ff
	s_cbranch_scc0 .LBB114_77
; %bb.1:
	s_cmp_eq_u64 s[28:29], 0
	s_cselect_b32 s0, -1, 0
	s_cmp_lg_u64 s[28:29], 0
	s_cbranch_scc0 .LBB114_75
; %bb.2:
	s_ashr_i32 s3, s2, 31
	v_lshlrev_b32_e32 v18, 4, v0
	s_lshl_b64 s[30:31], s[2:3], 2
	s_mov_b32 s0, -1
	s_add_nc_u64 s[36:37], s[18:19], s[30:31]
	s_mov_b32 s3, 0
	global_load_b32 v1, v18, s[36:37]
	s_mov_b32 s48, exec_lo
	s_wait_loadcnt 0x0
	v_cmpx_eq_u32_e64 s33, v1
	s_cbranch_execz .LBB114_74
; %bb.3:
	s_add_nc_u64 s[0:1], s[20:21], s[30:31]
	s_get_pc_i64 s[34:35]
	s_add_nc_u64 s[34:35], s[34:35], .str.7@rel64+4
	global_load_b128 v[14:17], v0, s[0:1] scale_offset
	s_cmp_lg_u64 s[34:35], 0
	v_mov_b32_e32 v19, 0
	s_wait_xcnt 0x0
	s_cselect_b32 s1, -1, 0
	s_mov_b32 s38, -1
	s_mov_b32 s0, 0
	s_mov_b32 s35, 0
	;; [unrolled: 1-line block ×3, first 2 shown]
                                        ; implicit-def: $sgpr49
                                        ; implicit-def: $sgpr50
                                        ; implicit-def: $sgpr34
                                        ; implicit-def: $sgpr53
                                        ; implicit-def: $vgpr10_vgpr11_vgpr12_vgpr13
                                        ; implicit-def: $vgpr2_vgpr3_vgpr4_vgpr5
                                        ; implicit-def: $vgpr6_vgpr7_vgpr8_vgpr9
	s_wait_loadcnt 0x0
	v_cmp_eq_u32_e32 vcc_lo, s6, v14
	s_and_b32 s39, s1, vcc_lo
	s_mov_b32 s1, 0
	s_and_saveexec_b32 s51, s39
	s_cbranch_execz .LBB114_66
; %bb.4:
	s_add_nc_u64 s[0:1], s[22:23], s[30:31]
	s_add_nc_u64 s[34:35], s[24:25], s[30:31]
	s_clause 0x1
	global_load_b128 v[6:9], v0, s[0:1] scale_offset
	global_load_b128 v[2:5], v0, s[34:35] scale_offset
	s_get_pc_i64 s[40:41]
	s_add_nc_u64 s[40:41], s[40:41], .str.8@rel64+4
	s_wait_xcnt 0x0
	s_mov_b32 s35, -1
	s_cmp_lg_u64 s[40:41], 0
	s_mov_b32 s38, 0
	s_cselect_b32 s1, -1, 0
	s_mov_b32 s39, 0
	s_mov_b32 s40, 0
                                        ; implicit-def: $sgpr49
                                        ; implicit-def: $sgpr50
                                        ; implicit-def: $sgpr34
                                        ; implicit-def: $vgpr10_vgpr11_vgpr12_vgpr13
	s_wait_loadcnt 0x0
	v_sub_nc_u32_e32 v1, v2, v6
	s_delay_alu instid0(VALU_DEP_1) | instskip(SKIP_2) | instid1(SALU_CYCLE_1)
	v_cmp_le_i32_e32 vcc_lo, s33, v1
	v_cmp_ge_i32_e64 s0, s4, v1
	s_and_b32 s0, vcc_lo, s0
	s_and_b32 s0, s1, s0
	s_mov_b32 s1, 0
	s_and_saveexec_b32 s52, s0
	s_cbranch_execz .LBB114_65
; %bb.5:
	v_add_nc_u64_e32 v[22:23], s[36:37], v[18:19]
	s_add_nc_u64 s[0:1], s[26:27], s[30:31]
	s_add_co_i32 s34, s8, -1
	global_load_b96 v[18:20], v[22:23], off offset:4
	global_load_b128 v[10:13], v0, s[0:1] scale_offset
	s_wait_xcnt 0x0
	v_cmp_gt_i64_e64 s0, s[6:7], 0
	s_cmp_gt_i32 s34, -1
	v_mov_b64_e32 v[22:23], 0
	s_cselect_b32 s1, -1, 0
	s_delay_alu instid0(SALU_CYCLE_1) | instskip(NEXT) | instid1(SALU_CYCLE_1)
	s_and_b32 s50, s0, s1
	s_and_not1_b32 vcc_lo, exec_lo, s50
	s_cbranch_vccnz .LBB114_12
; %bb.6:
	s_wait_loadcnt 0x0
	v_dual_mov_b32 v22, v10 :: v_dual_ashrrev_i32 v23, 31, v10
	s_mov_b32 s1, 0
	v_mov_b32_e32 v24, 0
	s_mov_b32 s35, s1
	s_mov_b64 s[36:37], 0xffffffff
	v_mul_u64_e32 v[26:27], s[6:7], v[22:23]
	v_mov_b64_e32 v[22:23], 0
	s_lshl_b64 s[40:41], s[34:35], 3
	s_mov_b32 s35, s8
	s_add_nc_u64 s[38:39], s[10:11], s[40:41]
	s_add_nc_u64 s[40:41], s[12:13], s[40:41]
	s_branch .LBB114_8
.LBB114_7:                              ;   in Loop: Header=BB114_8 Depth=1
	s_or_b32 exec_lo, exec_lo, s0
	s_delay_alu instid0(VALU_DEP_1)
	v_mul_u64_e32 v[30:31], s[42:43], v[28:29]
	s_load_b64 s[42:43], s[40:41], 0x0
	s_add_co_i32 s35, s35, -1
	s_add_nc_u64 s[38:39], s[38:39], -8
	s_cmp_eq_u32 s35, 0
	s_wait_xcnt 0x0
	s_add_nc_u64 s[40:41], s[40:41], -8
	s_delay_alu instid0(VALU_DEP_1) | instskip(SKIP_1) | instid1(VALU_DEP_1)
	v_sub_nc_u64_e32 v[26:27], v[26:27], v[30:31]
	s_wait_kmcnt 0x0
	v_mad_nc_u64_u32 v[22:23], v26, s42, v[22:23]
	s_delay_alu instid0(VALU_DEP_1) | instskip(NEXT) | instid1(VALU_DEP_1)
	v_mad_u32 v1, v27, s42, v23
	v_mad_u32 v23, v26, s43, v1
	v_mov_b64_e32 v[26:27], v[28:29]
	s_cbranch_scc1 .LBB114_12
.LBB114_8:                              ; =>This Inner Loop Header: Depth=1
	s_load_b64 s[42:43], s[38:39], 0x0
                                        ; implicit-def: $vgpr28_vgpr29
	s_mov_b32 s0, exec_lo
	s_wait_kmcnt 0x0
	s_delay_alu instid0(VALU_DEP_1) | instskip(NEXT) | instid1(VALU_DEP_1)
	v_or_b32_e32 v25, s43, v27
	v_cmpx_ne_u64_e32 0, v[24:25]
	s_xor_b32 s49, exec_lo, s0
	s_cbranch_execz .LBB114_10
; %bb.9:                                ;   in Loop: Header=BB114_8 Depth=1
	s_ashr_i32 s44, s43, 31
	v_dual_mov_b32 v33, v24 :: v_dual_ashrrev_i32 v28, 31, v27
	s_mov_b32 s45, s44
	v_mov_b32_e32 v41, v24
	s_add_nc_u64 s[46:47], s[42:43], s[44:45]
	s_delay_alu instid0(VALU_DEP_2) | instskip(SKIP_1) | instid1(SALU_CYCLE_1)
	v_mov_b32_e32 v29, v28
	s_xor_b64 s[46:47], s[46:47], s[44:45]
	s_cvt_f32_u32 s0, s46
	s_cvt_f32_u32 s45, s47
	s_sub_nc_u64 s[56:57], 0, s[46:47]
	v_add_nc_u64_e32 v[30:31], v[26:27], v[28:29]
	v_mov_b32_e32 v37, v24
	s_fmamk_f32 s0, s45, 0x4f800000, s0
	s_delay_alu instid0(SALU_CYCLE_3) | instskip(NEXT) | instid1(VALU_DEP_2)
	v_s_rcp_f32 s0, s0
	v_xor_b32_e32 v32, v30, v28
	s_delay_alu instid0(VALU_DEP_3) | instskip(NEXT) | instid1(TRANS32_DEP_1)
	v_xor_b32_e32 v36, v31, v28
	s_mul_f32 s0, s0, 0x5f7ffffc
	s_delay_alu instid0(SALU_CYCLE_3) | instskip(NEXT) | instid1(SALU_CYCLE_3)
	s_mul_f32 s45, s0, 0x2f800000
	s_trunc_f32 s45, s45
	s_delay_alu instid0(SALU_CYCLE_3) | instskip(SKIP_1) | instid1(SALU_CYCLE_2)
	s_fmamk_f32 s0, s45, 0xcf800000, s0
	s_cvt_u32_f32 s55, s45
	s_cvt_u32_f32 s54, s0
	s_delay_alu instid0(SALU_CYCLE_3) | instskip(NEXT) | instid1(SALU_CYCLE_1)
	s_mul_u64 s[58:59], s[56:57], s[54:55]
	s_mul_hi_u32 s61, s54, s59
	s_mul_i32 s60, s54, s59
	s_mul_hi_u32 s0, s54, s58
	s_mul_i32 s53, s55, s58
	s_add_nc_u64 s[60:61], s[0:1], s[60:61]
	s_mul_hi_u32 s45, s55, s58
	s_mul_hi_u32 s62, s55, s59
	s_add_co_u32 s0, s60, s53
	s_add_co_ci_u32 s0, s61, s45
	s_mul_i32 s58, s55, s59
	s_add_co_ci_u32 s59, s62, 0
	s_delay_alu instid0(SALU_CYCLE_1) | instskip(NEXT) | instid1(SALU_CYCLE_1)
	s_add_nc_u64 s[58:59], s[0:1], s[58:59]
	s_add_co_u32 s54, s54, s58
	s_cselect_b32 s0, -1, 0
	s_delay_alu instid0(SALU_CYCLE_1) | instskip(SKIP_1) | instid1(SALU_CYCLE_1)
	s_cmp_lg_u32 s0, 0
	s_add_co_ci_u32 s55, s55, s59
	s_mul_u64 s[56:57], s[56:57], s[54:55]
	s_delay_alu instid0(SALU_CYCLE_1)
	s_mul_hi_u32 s59, s54, s57
	s_mul_i32 s58, s54, s57
	s_mul_hi_u32 s0, s54, s56
	s_mul_i32 s53, s55, s56
	s_add_nc_u64 s[58:59], s[0:1], s[58:59]
	s_mul_hi_u32 s45, s55, s56
	s_mul_hi_u32 s60, s55, s57
	s_add_co_u32 s0, s58, s53
	s_add_co_ci_u32 s0, s59, s45
	s_mul_i32 s56, s55, s57
	s_add_co_ci_u32 s57, s60, 0
	s_delay_alu instid0(SALU_CYCLE_1) | instskip(NEXT) | instid1(SALU_CYCLE_1)
	s_add_nc_u64 s[56:57], s[0:1], s[56:57]
	s_add_co_u32 s54, s54, s56
	s_cselect_b32 s0, -1, 0
	v_mul_hi_u32 v40, v32, s54
	s_cmp_lg_u32 s0, 0
	s_add_co_ci_u32 s0, s55, s57
	s_and_b64 s[56:57], s[54:55], s[36:37]
	v_mul_u64_e32 v[34:35], s[0:1], v[32:33]
	v_mul_u64_e32 v[30:31], s[56:57], v[36:37]
	;; [unrolled: 1-line block ×3, first 2 shown]
	s_delay_alu instid0(VALU_DEP_3) | instskip(NEXT) | instid1(VALU_DEP_1)
	v_add_nc_u64_e32 v[34:35], v[40:41], v[34:35]
	v_add_co_u32 v1, vcc_lo, v34, v30
	s_delay_alu instid0(VALU_DEP_2) | instskip(NEXT) | instid1(VALU_DEP_4)
	v_add_co_ci_u32_e32 v40, vcc_lo, v35, v31, vcc_lo
	v_add_co_ci_u32_e32 v39, vcc_lo, 0, v39, vcc_lo
	s_delay_alu instid0(VALU_DEP_1) | instskip(NEXT) | instid1(VALU_DEP_1)
	v_add_nc_u64_e32 v[30:31], v[40:41], v[38:39]
	v_mul_u64_e32 v[34:35], s[46:47], v[30:31]
	s_delay_alu instid0(VALU_DEP_1) | instskip(NEXT) | instid1(VALU_DEP_2)
	v_sub_nc_u32_e32 v1, v36, v35
	v_sub_co_u32 v10, vcc_lo, v32, v34
	s_delay_alu instid0(VALU_DEP_1) | instskip(NEXT) | instid1(VALU_DEP_3)
	v_sub_co_ci_u32_e64 v25, null, v36, v35, vcc_lo
	v_subrev_co_ci_u32_e64 v1, null, s47, v1, vcc_lo
	s_delay_alu instid0(VALU_DEP_3) | instskip(SKIP_1) | instid1(VALU_DEP_3)
	v_sub_co_u32 v21, s0, v10, s46
	v_add_nc_u64_e32 v[32:33], 2, v[30:31]
	v_subrev_co_ci_u32_e64 v1, null, 0, v1, s0
	s_delay_alu instid0(VALU_DEP_3) | instskip(SKIP_2) | instid1(VALU_DEP_4)
	v_cmp_le_u32_e32 vcc_lo, s46, v21
	v_add_nc_u64_e32 v[34:35], 1, v[30:31]
	v_cndmask_b32_e64 v21, 0, -1, vcc_lo
	v_cmp_le_u32_e32 vcc_lo, s47, v1
	v_cndmask_b32_e64 v29, 0, -1, vcc_lo
	v_cmp_le_u32_e32 vcc_lo, s46, v10
	;; [unrolled: 2-line block ×3, first 2 shown]
	v_cndmask_b32_e64 v36, 0, -1, vcc_lo
	v_cmp_eq_u32_e32 vcc_lo, s47, v1
	v_cndmask_b32_e32 v1, v29, v21, vcc_lo
	v_cmp_eq_u32_e32 vcc_lo, s47, v25
	s_delay_alu instid0(VALU_DEP_4) | instskip(NEXT) | instid1(VALU_DEP_3)
	v_cndmask_b32_e32 v10, v36, v10, vcc_lo
	v_cmp_ne_u32_e32 vcc_lo, 0, v1
	s_delay_alu instid0(VALU_DEP_2) | instskip(SKIP_1) | instid1(VALU_DEP_1)
	v_cmp_ne_u32_e64 s0, 0, v10
	v_dual_cndmask_b32 v1, v35, v33 :: v_dual_cndmask_b32 v10, v34, v32
	v_dual_cndmask_b32 v1, v31, v1, s0 :: v_dual_bitop2_b32 v28, s44, v28 bitop3:0x14
	s_delay_alu instid0(VALU_DEP_1) | instskip(NEXT) | instid1(VALU_DEP_2)
	v_dual_cndmask_b32 v10, v30, v10, s0 :: v_dual_mov_b32 v29, v28
	v_xor_b32_e32 v31, v1, v28
	s_delay_alu instid0(VALU_DEP_2) | instskip(NEXT) | instid1(VALU_DEP_1)
	v_xor_b32_e32 v30, v10, v28
	v_sub_nc_u64_e32 v[28:29], v[30:31], v[28:29]
.LBB114_10:                             ;   in Loop: Header=BB114_8 Depth=1
	s_and_not1_saveexec_b32 s0, s49
	s_cbranch_execz .LBB114_7
; %bb.11:                               ;   in Loop: Header=BB114_8 Depth=1
	v_cvt_f32_u32_e32 v1, s42
	s_sub_co_i32 s44, 0, s42
	v_mov_b32_e32 v29, v24
	s_delay_alu instid0(VALU_DEP_2) | instskip(SKIP_1) | instid1(TRANS32_DEP_1)
	v_rcp_iflag_f32_e32 v1, v1
	v_nop
	v_mul_f32_e32 v1, 0x4f7ffffe, v1
	s_delay_alu instid0(VALU_DEP_1) | instskip(NEXT) | instid1(VALU_DEP_1)
	v_cvt_u32_f32_e32 v1, v1
	v_mul_lo_u32 v10, s44, v1
	s_delay_alu instid0(VALU_DEP_1) | instskip(NEXT) | instid1(VALU_DEP_1)
	v_mul_hi_u32 v10, v1, v10
	v_add_nc_u32_e32 v1, v1, v10
	s_delay_alu instid0(VALU_DEP_1) | instskip(NEXT) | instid1(VALU_DEP_1)
	v_mul_hi_u32 v1, v26, v1
	v_mul_lo_u32 v10, v1, s42
	s_delay_alu instid0(VALU_DEP_1) | instskip(NEXT) | instid1(VALU_DEP_1)
	v_dual_add_nc_u32 v21, 1, v1 :: v_dual_sub_nc_u32 v10, v26, v10
	v_subrev_nc_u32_e32 v25, s42, v10
	v_cmp_le_u32_e32 vcc_lo, s42, v10
	s_delay_alu instid0(VALU_DEP_2) | instskip(NEXT) | instid1(VALU_DEP_4)
	v_cndmask_b32_e32 v10, v10, v25, vcc_lo
	v_cndmask_b32_e32 v1, v1, v21, vcc_lo
	s_delay_alu instid0(VALU_DEP_2) | instskip(NEXT) | instid1(VALU_DEP_2)
	v_cmp_le_u32_e32 vcc_lo, s42, v10
	v_add_nc_u32_e32 v21, 1, v1
	s_delay_alu instid0(VALU_DEP_1)
	v_cndmask_b32_e32 v28, v1, v21, vcc_lo
	s_branch .LBB114_7
.LBB114_12:
	s_get_pc_i64 s[0:1]
	s_add_nc_u64 s[0:1], s[0:1], .str.9@rel64+4
	s_mov_b32 s35, -1
	s_cmp_lg_u64 s[0:1], 0
	s_mov_b32 s0, 0
	s_cselect_b32 s49, -1, 0
	s_mov_b32 s53, 0
	s_mov_b32 s1, exec_lo
	v_cmpx_gt_i32_e64 v2, v6
	s_cbranch_execz .LBB114_18
; %bb.13:
	v_lshlrev_b64_e32 v[22:23], 2, v[22:23]
	v_dual_mov_b32 v24, v6 :: v_dual_ashrrev_i32 v25, 31, v6
	v_dual_mov_b32 v28, v2 :: v_dual_ashrrev_i32 v29, 31, v2
	s_mov_b32 s35, 0
	s_xor_b32 s37, s49, -1
	s_delay_alu instid0(VALU_DEP_2) | instskip(SKIP_1) | instid1(VALU_DEP_2)
	v_lshl_add_u64 v[24:25], v[24:25], 2, v[22:23]
	v_add_nc_u64_e32 v[26:27], s[14:15], v[22:23]
                                        ; implicit-def: $sgpr36
                                        ; implicit-def: $sgpr39
                                        ; implicit-def: $sgpr38
	v_add_nc_u64_e32 v[24:25], s[14:15], v[24:25]
	s_delay_alu instid0(VALU_DEP_1) | instskip(NEXT) | instid1(VALU_DEP_3)
	v_add_nc_u64_e32 v[22:23], 4, v[24:25]
	v_lshl_add_u64 v[24:25], v[28:29], 2, v[26:27]
	s_branch .LBB114_15
.LBB114_14:                             ;   in Loop: Header=BB114_15 Depth=1
	s_or_b32 exec_lo, exec_lo, s40
	s_delay_alu instid0(SALU_CYCLE_1) | instskip(NEXT) | instid1(SALU_CYCLE_1)
	s_and_b32 s40, exec_lo, s39
	s_or_b32 s35, s40, s35
	s_and_not1_b32 s36, s36, exec_lo
	s_and_b32 s40, s38, exec_lo
	s_delay_alu instid0(SALU_CYCLE_1)
	s_or_b32 s36, s36, s40
	s_and_not1_b32 exec_lo, exec_lo, s35
	s_cbranch_execz .LBB114_17
.LBB114_15:                             ; =>This Inner Loop Header: Depth=1
	s_or_b32 s38, s38, exec_lo
	s_or_b32 s39, s39, exec_lo
	s_mov_b32 s40, exec_lo
	s_delay_alu instid0(VALU_DEP_2)
	v_cmpx_lt_u64_e64 v[22:23], v[24:25]
	s_cbranch_execz .LBB114_14
; %bb.16:                               ;   in Loop: Header=BB114_15 Depth=1
	global_load_b64 v[26:27], v[22:23], off offset:-4
	s_wait_xcnt 0x0
	v_add_nc_u64_e32 v[22:23], 4, v[22:23]
	s_and_not1_b32 s39, s39, exec_lo
	s_and_not1_b32 s38, s38, exec_lo
	s_wait_loadcnt 0x0
	v_cmp_ge_i32_e32 vcc_lo, v26, v27
	s_or_b32 s41, s37, vcc_lo
	s_delay_alu instid0(SALU_CYCLE_1) | instskip(NEXT) | instid1(SALU_CYCLE_1)
	s_and_b32 s41, s41, exec_lo
	s_or_b32 s39, s39, s41
	s_branch .LBB114_14
.LBB114_17:
	s_or_b32 exec_lo, exec_lo, s35
	s_delay_alu instid0(SALU_CYCLE_1)
	s_mov_b32 s53, exec_lo
	s_or_not1_b32 s35, s36, exec_lo
.LBB114_18:
	s_or_b32 exec_lo, exec_lo, s1
	s_mov_b32 s36, 0
	s_mov_b32 s37, 0
	s_mov_b32 s1, 0
	s_and_saveexec_b32 s54, s35
	s_cbranch_execz .LBB114_64
; %bb.19:
	s_mov_b32 s0, 0
	s_mov_b32 s1, -1
	s_mov_b32 s35, 0
	s_mov_b32 s55, exec_lo
	s_wait_loadcnt 0x1
	v_cmpx_eq_u32_e64 s33, v18
	s_cbranch_execz .LBB114_63
; %bb.20:
	s_mov_b32 s0, -1
	s_mov_b32 s38, 0
	s_mov_b32 s39, 0
	s_mov_b32 s56, exec_lo
	v_cmpx_eq_u32_e64 v15, v14
	s_cbranch_execz .LBB114_62
; %bb.21:
	v_sub_nc_u32_e32 v1, v3, v7
	s_mov_b32 s35, -1
	s_mov_b32 s1, 0
	s_delay_alu instid0(VALU_DEP_1) | instskip(SKIP_2) | instid1(SALU_CYCLE_1)
	v_cmp_le_i32_e32 vcc_lo, s33, v1
	v_cmp_ge_i32_e64 s0, s4, v1
	s_and_b32 s0, vcc_lo, s0
	s_and_saveexec_b32 s57, s0
	s_cbranch_execz .LBB114_61
; %bb.22:
	v_mov_b64_e32 v[22:23], 0
	s_and_not1_b32 vcc_lo, exec_lo, s50
	s_cbranch_vccnz .LBB114_29
; %bb.23:
	s_wait_loadcnt 0x0
	v_dual_mov_b32 v22, v11 :: v_dual_ashrrev_i32 v23, 31, v11
	s_mov_b32 s35, s1
	v_mov_b32_e32 v10, 0
	s_lshl_b64 s[40:41], s[34:35], 3
	s_mov_b64 s[36:37], 0xffffffff
	v_mul_u64_e32 v[24:25], s[6:7], v[22:23]
	v_mov_b64_e32 v[22:23], 0
	s_add_nc_u64 s[38:39], s[10:11], s[40:41]
	s_add_nc_u64 s[40:41], s[12:13], s[40:41]
	s_mov_b32 s35, s8
	s_branch .LBB114_25
.LBB114_24:                             ;   in Loop: Header=BB114_25 Depth=1
	s_or_b32 exec_lo, exec_lo, s0
	s_delay_alu instid0(VALU_DEP_1)
	v_mul_u64_e32 v[28:29], s[42:43], v[26:27]
	s_load_b64 s[42:43], s[40:41], 0x0
	s_add_co_i32 s35, s35, -1
	s_add_nc_u64 s[38:39], s[38:39], -8
	s_cmp_lg_u32 s35, 0
	s_wait_xcnt 0x0
	s_add_nc_u64 s[40:41], s[40:41], -8
	s_delay_alu instid0(VALU_DEP_1) | instskip(SKIP_1) | instid1(VALU_DEP_1)
	v_sub_nc_u64_e32 v[24:25], v[24:25], v[28:29]
	s_wait_kmcnt 0x0
	v_mad_nc_u64_u32 v[22:23], v24, s42, v[22:23]
	s_delay_alu instid0(VALU_DEP_1) | instskip(NEXT) | instid1(VALU_DEP_1)
	v_mad_u32 v1, v25, s42, v23
	v_mad_u32 v23, v24, s43, v1
	v_mov_b64_e32 v[24:25], v[26:27]
	s_cbranch_scc0 .LBB114_29
.LBB114_25:                             ; =>This Inner Loop Header: Depth=1
	s_load_b64 s[42:43], s[38:39], 0x0
                                        ; implicit-def: $vgpr26_vgpr27
	s_mov_b32 s0, exec_lo
	s_wait_kmcnt 0x0
	s_delay_alu instid0(VALU_DEP_1) | instskip(NEXT) | instid1(VALU_DEP_1)
	v_or_b32_e32 v11, s43, v25
	v_cmpx_ne_u64_e32 0, v[10:11]
	s_xor_b32 s58, exec_lo, s0
	s_cbranch_execz .LBB114_27
; %bb.26:                               ;   in Loop: Header=BB114_25 Depth=1
	s_ashr_i32 s44, s43, 31
	v_dual_mov_b32 v31, v10 :: v_dual_ashrrev_i32 v26, 31, v25
	s_mov_b32 s45, s44
	v_mov_b32_e32 v39, v10
	s_add_nc_u64 s[46:47], s[42:43], s[44:45]
	s_delay_alu instid0(VALU_DEP_2) | instskip(SKIP_1) | instid1(SALU_CYCLE_1)
	v_mov_b32_e32 v27, v26
	s_xor_b64 s[46:47], s[46:47], s[44:45]
	s_cvt_f32_u32 s0, s46
	s_cvt_f32_u32 s45, s47
	s_sub_nc_u64 s[62:63], 0, s[46:47]
	v_add_nc_u64_e32 v[28:29], v[24:25], v[26:27]
	v_mov_b32_e32 v35, v10
	s_fmamk_f32 s0, s45, 0x4f800000, s0
	s_delay_alu instid0(SALU_CYCLE_3) | instskip(NEXT) | instid1(VALU_DEP_2)
	v_s_rcp_f32 s0, s0
	v_xor_b32_e32 v30, v28, v26
	s_delay_alu instid0(VALU_DEP_3) | instskip(NEXT) | instid1(TRANS32_DEP_1)
	v_xor_b32_e32 v34, v29, v26
	s_mul_f32 s0, s0, 0x5f7ffffc
	s_delay_alu instid0(SALU_CYCLE_3) | instskip(NEXT) | instid1(SALU_CYCLE_3)
	s_mul_f32 s45, s0, 0x2f800000
	s_trunc_f32 s45, s45
	s_delay_alu instid0(SALU_CYCLE_3) | instskip(SKIP_1) | instid1(SALU_CYCLE_2)
	s_fmamk_f32 s0, s45, 0xcf800000, s0
	s_cvt_u32_f32 s61, s45
	s_cvt_u32_f32 s60, s0
	s_delay_alu instid0(SALU_CYCLE_3) | instskip(NEXT) | instid1(SALU_CYCLE_1)
	s_mul_u64 s[64:65], s[62:63], s[60:61]
	s_mul_hi_u32 s67, s60, s65
	s_mul_i32 s66, s60, s65
	s_mul_hi_u32 s0, s60, s64
	s_mul_i32 s59, s61, s64
	s_add_nc_u64 s[66:67], s[0:1], s[66:67]
	s_mul_hi_u32 s45, s61, s64
	s_mul_hi_u32 s68, s61, s65
	s_add_co_u32 s0, s66, s59
	s_add_co_ci_u32 s0, s67, s45
	s_mul_i32 s64, s61, s65
	s_add_co_ci_u32 s65, s68, 0
	s_delay_alu instid0(SALU_CYCLE_1) | instskip(NEXT) | instid1(SALU_CYCLE_1)
	s_add_nc_u64 s[64:65], s[0:1], s[64:65]
	s_add_co_u32 s60, s60, s64
	s_cselect_b32 s0, -1, 0
	s_delay_alu instid0(SALU_CYCLE_1) | instskip(SKIP_1) | instid1(SALU_CYCLE_1)
	s_cmp_lg_u32 s0, 0
	s_add_co_ci_u32 s61, s61, s65
	s_mul_u64 s[62:63], s[62:63], s[60:61]
	s_delay_alu instid0(SALU_CYCLE_1)
	s_mul_hi_u32 s65, s60, s63
	s_mul_i32 s64, s60, s63
	s_mul_hi_u32 s0, s60, s62
	s_mul_i32 s59, s61, s62
	s_add_nc_u64 s[64:65], s[0:1], s[64:65]
	s_mul_hi_u32 s45, s61, s62
	s_mul_hi_u32 s66, s61, s63
	s_add_co_u32 s0, s64, s59
	s_add_co_ci_u32 s0, s65, s45
	s_mul_i32 s62, s61, s63
	s_add_co_ci_u32 s63, s66, 0
	s_delay_alu instid0(SALU_CYCLE_1) | instskip(NEXT) | instid1(SALU_CYCLE_1)
	s_add_nc_u64 s[62:63], s[0:1], s[62:63]
	s_add_co_u32 s60, s60, s62
	s_cselect_b32 s0, -1, 0
	v_mul_hi_u32 v38, v30, s60
	s_cmp_lg_u32 s0, 0
	s_add_co_ci_u32 s0, s61, s63
	s_and_b64 s[62:63], s[60:61], s[36:37]
	v_mul_u64_e32 v[32:33], s[0:1], v[30:31]
	v_mul_u64_e32 v[28:29], s[62:63], v[34:35]
	;; [unrolled: 1-line block ×3, first 2 shown]
	s_delay_alu instid0(VALU_DEP_3) | instskip(NEXT) | instid1(VALU_DEP_1)
	v_add_nc_u64_e32 v[32:33], v[38:39], v[32:33]
	v_add_co_u32 v1, vcc_lo, v32, v28
	s_delay_alu instid0(VALU_DEP_2) | instskip(NEXT) | instid1(VALU_DEP_4)
	v_add_co_ci_u32_e32 v38, vcc_lo, v33, v29, vcc_lo
	v_add_co_ci_u32_e32 v37, vcc_lo, 0, v37, vcc_lo
	s_delay_alu instid0(VALU_DEP_1) | instskip(NEXT) | instid1(VALU_DEP_1)
	v_add_nc_u64_e32 v[28:29], v[38:39], v[36:37]
	v_mul_u64_e32 v[32:33], s[46:47], v[28:29]
	s_delay_alu instid0(VALU_DEP_1) | instskip(SKIP_1) | instid1(VALU_DEP_3)
	v_sub_co_u32 v2, vcc_lo, v30, v32
	v_add_nc_u64_e32 v[30:31], 2, v[28:29]
	v_sub_nc_u32_e32 v1, v34, v33
	v_sub_co_ci_u32_e64 v11, null, v34, v33, vcc_lo
	s_delay_alu instid0(VALU_DEP_4) | instskip(NEXT) | instid1(VALU_DEP_3)
	v_sub_co_u32 v6, s0, v2, s46
	v_subrev_co_ci_u32_e64 v1, null, s47, v1, vcc_lo
	v_add_nc_u64_e32 v[32:33], 1, v[28:29]
	s_delay_alu instid0(VALU_DEP_3) | instskip(NEXT) | instid1(VALU_DEP_3)
	v_cmp_le_u32_e32 vcc_lo, s46, v6
	v_subrev_co_ci_u32_e64 v1, null, 0, v1, s0
	v_cndmask_b32_e64 v6, 0, -1, vcc_lo
	s_delay_alu instid0(VALU_DEP_2)
	v_cmp_le_u32_e32 vcc_lo, s47, v1
	v_cndmask_b32_e64 v15, 0, -1, vcc_lo
	v_cmp_le_u32_e32 vcc_lo, s46, v2
	v_cndmask_b32_e64 v2, 0, -1, vcc_lo
	v_cmp_le_u32_e32 vcc_lo, s47, v11
	v_cndmask_b32_e64 v18, 0, -1, vcc_lo
	v_cmp_eq_u32_e32 vcc_lo, s47, v1
	v_cndmask_b32_e32 v1, v15, v6, vcc_lo
	v_cmp_eq_u32_e32 vcc_lo, s47, v11
	s_delay_alu instid0(VALU_DEP_4) | instskip(NEXT) | instid1(VALU_DEP_3)
	v_cndmask_b32_e32 v2, v18, v2, vcc_lo
	v_cmp_ne_u32_e32 vcc_lo, 0, v1
	v_cndmask_b32_e32 v1, v33, v31, vcc_lo
	s_delay_alu instid0(VALU_DEP_3) | instskip(SKIP_1) | instid1(VALU_DEP_2)
	v_cmp_ne_u32_e64 s0, 0, v2
	v_cndmask_b32_e32 v2, v32, v30, vcc_lo
	v_dual_cndmask_b32 v1, v29, v1, s0 :: v_dual_bitop2_b32 v26, s44, v26 bitop3:0x14
	s_delay_alu instid0(VALU_DEP_1) | instskip(NEXT) | instid1(VALU_DEP_2)
	v_dual_cndmask_b32 v2, v28, v2, s0 :: v_dual_mov_b32 v27, v26
	v_xor_b32_e32 v29, v1, v26
	s_delay_alu instid0(VALU_DEP_2) | instskip(NEXT) | instid1(VALU_DEP_1)
	v_xor_b32_e32 v28, v2, v26
	v_sub_nc_u64_e32 v[26:27], v[28:29], v[26:27]
.LBB114_27:                             ;   in Loop: Header=BB114_25 Depth=1
	s_and_not1_saveexec_b32 s0, s58
	s_cbranch_execz .LBB114_24
; %bb.28:                               ;   in Loop: Header=BB114_25 Depth=1
	v_cvt_f32_u32_e32 v1, s42
	s_sub_co_i32 s44, 0, s42
	v_mov_b32_e32 v27, v10
	s_delay_alu instid0(VALU_DEP_2) | instskip(SKIP_1) | instid1(TRANS32_DEP_1)
	v_rcp_iflag_f32_e32 v1, v1
	v_nop
	v_mul_f32_e32 v1, 0x4f7ffffe, v1
	s_delay_alu instid0(VALU_DEP_1) | instskip(NEXT) | instid1(VALU_DEP_1)
	v_cvt_u32_f32_e32 v1, v1
	v_mul_lo_u32 v2, s44, v1
	s_delay_alu instid0(VALU_DEP_1) | instskip(NEXT) | instid1(VALU_DEP_1)
	v_mul_hi_u32 v2, v1, v2
	v_add_nc_u32_e32 v1, v1, v2
	s_delay_alu instid0(VALU_DEP_1) | instskip(NEXT) | instid1(VALU_DEP_1)
	v_mul_hi_u32 v1, v24, v1
	v_mul_lo_u32 v2, v1, s42
	s_delay_alu instid0(VALU_DEP_1) | instskip(NEXT) | instid1(VALU_DEP_1)
	v_dual_add_nc_u32 v6, 1, v1 :: v_dual_sub_nc_u32 v2, v24, v2
	v_subrev_nc_u32_e32 v11, s42, v2
	v_cmp_le_u32_e32 vcc_lo, s42, v2
	s_delay_alu instid0(VALU_DEP_2) | instskip(NEXT) | instid1(VALU_DEP_1)
	v_dual_cndmask_b32 v2, v2, v11 :: v_dual_cndmask_b32 v1, v1, v6
	v_cmp_le_u32_e32 vcc_lo, s42, v2
	s_delay_alu instid0(VALU_DEP_2) | instskip(NEXT) | instid1(VALU_DEP_1)
	v_add_nc_u32_e32 v6, 1, v1
	v_cndmask_b32_e32 v26, v1, v6, vcc_lo
	s_branch .LBB114_24
.LBB114_29:
	s_mov_b32 s35, -1
	s_mov_b32 s0, 0
	s_mov_b32 s58, 0
	s_mov_b32 s1, exec_lo
	v_cmpx_gt_i32_e64 v3, v7
	s_cbranch_execz .LBB114_35
; %bb.30:
	s_wait_loadcnt 0x0
	s_delay_alu instid0(VALU_DEP_2) | instskip(SKIP_3) | instid1(VALU_DEP_1)
	v_lshlrev_b64_e32 v[10:11], 2, v[22:23]
	v_dual_mov_b32 v22, v7 :: v_dual_ashrrev_i32 v23, 31, v7
	s_mov_b32 s35, 0
	s_xor_b32 s37, s49, -1
                                        ; implicit-def: $sgpr36
                                        ; implicit-def: $sgpr39
                                        ; implicit-def: $sgpr38
	v_lshl_add_u64 v[6:7], v[22:23], 2, v[10:11]
	v_add_nc_u64_e32 v[10:11], s[14:15], v[10:11]
	v_dual_mov_b32 v22, v3 :: v_dual_ashrrev_i32 v23, 31, v3
	s_delay_alu instid0(VALU_DEP_3) | instskip(NEXT) | instid1(VALU_DEP_1)
	v_add_nc_u64_e32 v[6:7], s[14:15], v[6:7]
	v_add_nc_u64_e32 v[2:3], 4, v[6:7]
	s_delay_alu instid0(VALU_DEP_3)
	v_lshl_add_u64 v[6:7], v[22:23], 2, v[10:11]
	s_branch .LBB114_32
.LBB114_31:                             ;   in Loop: Header=BB114_32 Depth=1
	s_or_b32 exec_lo, exec_lo, s40
	s_delay_alu instid0(SALU_CYCLE_1) | instskip(NEXT) | instid1(SALU_CYCLE_1)
	s_and_b32 s40, exec_lo, s39
	s_or_b32 s35, s40, s35
	s_and_not1_b32 s36, s36, exec_lo
	s_and_b32 s40, s38, exec_lo
	s_delay_alu instid0(SALU_CYCLE_1)
	s_or_b32 s36, s36, s40
	s_and_not1_b32 exec_lo, exec_lo, s35
	s_cbranch_execz .LBB114_34
.LBB114_32:                             ; =>This Inner Loop Header: Depth=1
	s_or_b32 s38, s38, exec_lo
	s_or_b32 s39, s39, exec_lo
	s_mov_b32 s40, exec_lo
	s_delay_alu instid0(VALU_DEP_2)
	v_cmpx_lt_u64_e64 v[2:3], v[6:7]
	s_cbranch_execz .LBB114_31
; %bb.33:                               ;   in Loop: Header=BB114_32 Depth=1
	global_load_b64 v[10:11], v[2:3], off offset:-4
	s_and_not1_b32 s39, s39, exec_lo
	s_wait_xcnt 0x0
	v_add_nc_u64_e32 v[2:3], 4, v[2:3]
	s_and_not1_b32 s38, s38, exec_lo
	s_wait_loadcnt 0x0
	v_cmp_ge_i32_e32 vcc_lo, v10, v11
	s_or_b32 s41, s37, vcc_lo
	s_delay_alu instid0(SALU_CYCLE_1) | instskip(NEXT) | instid1(SALU_CYCLE_1)
	s_and_b32 s41, s41, exec_lo
	s_or_b32 s39, s39, s41
	s_branch .LBB114_31
.LBB114_34:
	s_or_b32 exec_lo, exec_lo, s35
	s_delay_alu instid0(SALU_CYCLE_1)
	s_mov_b32 s58, exec_lo
	s_or_not1_b32 s35, s36, exec_lo
.LBB114_35:
	s_or_b32 exec_lo, exec_lo, s1
	s_mov_b32 s1, 0
	s_mov_b32 s36, 0
	;; [unrolled: 1-line block ×3, first 2 shown]
	s_and_saveexec_b32 s59, s35
	s_cbranch_execz .LBB114_60
; %bb.36:
	s_mov_b32 s0, 0
	s_mov_b32 s1, -1
	s_mov_b32 s35, 0
	s_mov_b32 s60, exec_lo
	v_cmpx_eq_u32_e64 s33, v19
	s_cbranch_execz .LBB114_59
; %bb.37:
	s_mov_b32 s0, -1
	s_mov_b32 s38, 0
	s_mov_b32 s39, 0
	s_mov_b32 s61, exec_lo
	v_cmpx_eq_u32_e64 v16, v14
	s_cbranch_execz .LBB114_58
; %bb.38:
	v_sub_nc_u32_e32 v1, v4, v8
	s_mov_b32 s35, -1
	s_mov_b32 s1, 0
	s_delay_alu instid0(VALU_DEP_1) | instskip(SKIP_2) | instid1(SALU_CYCLE_1)
	v_cmp_le_i32_e32 vcc_lo, s33, v1
	v_cmp_ge_i32_e64 s0, s4, v1
	s_and_b32 s0, vcc_lo, s0
	s_and_saveexec_b32 s62, s0
	s_cbranch_execz .LBB114_57
; %bb.39:
	v_mov_b64_e32 v[2:3], 0
	s_and_not1_b32 vcc_lo, exec_lo, s50
	s_cbranch_vccnz .LBB114_46
; %bb.40:
	s_wait_loadcnt 0x0
	v_dual_mov_b32 v2, v12 :: v_dual_ashrrev_i32 v3, 31, v12
	s_mov_b32 s35, s1
	v_mov_b32_e32 v6, 0
	s_lshl_b64 s[40:41], s[34:35], 3
	s_mov_b64 s[36:37], 0xffffffff
	v_mul_u64_e32 v[10:11], s[6:7], v[2:3]
	v_mov_b64_e32 v[2:3], 0
	s_add_nc_u64 s[38:39], s[10:11], s[40:41]
	s_add_nc_u64 s[40:41], s[12:13], s[40:41]
	s_mov_b32 s35, s8
	s_branch .LBB114_42
.LBB114_41:                             ;   in Loop: Header=BB114_42 Depth=1
	s_or_b32 exec_lo, exec_lo, s0
	s_delay_alu instid0(VALU_DEP_1)
	v_mul_u64_e32 v[22:23], s[42:43], v[18:19]
	s_load_b64 s[42:43], s[40:41], 0x0
	s_add_co_i32 s35, s35, -1
	s_add_nc_u64 s[38:39], s[38:39], -8
	s_cmp_lg_u32 s35, 0
	s_wait_xcnt 0x0
	s_add_nc_u64 s[40:41], s[40:41], -8
	s_delay_alu instid0(VALU_DEP_1) | instskip(SKIP_1) | instid1(VALU_DEP_1)
	v_sub_nc_u64_e32 v[10:11], v[10:11], v[22:23]
	s_wait_kmcnt 0x0
	v_mad_nc_u64_u32 v[2:3], v10, s42, v[2:3]
	s_delay_alu instid0(VALU_DEP_1) | instskip(NEXT) | instid1(VALU_DEP_1)
	v_mad_u32 v1, v11, s42, v3
	v_mad_u32 v3, v10, s43, v1
	v_mov_b64_e32 v[10:11], v[18:19]
	s_cbranch_scc0 .LBB114_46
.LBB114_42:                             ; =>This Inner Loop Header: Depth=1
	s_load_b64 s[42:43], s[38:39], 0x0
                                        ; implicit-def: $vgpr18_vgpr19
	s_mov_b32 s0, exec_lo
	s_wait_kmcnt 0x0
	s_delay_alu instid0(VALU_DEP_1) | instskip(NEXT) | instid1(VALU_DEP_1)
	v_or_b32_e32 v7, s43, v11
	v_cmpx_ne_u64_e32 0, v[6:7]
	s_xor_b32 s63, exec_lo, s0
	s_cbranch_execz .LBB114_44
; %bb.43:                               ;   in Loop: Header=BB114_42 Depth=1
	s_ashr_i32 s44, s43, 31
	v_dual_mov_b32 v25, v6 :: v_dual_ashrrev_i32 v18, 31, v11
	s_mov_b32 s45, s44
	v_mov_b32_e32 v29, v6
	s_add_nc_u64 s[46:47], s[42:43], s[44:45]
	s_delay_alu instid0(VALU_DEP_2)
	v_mov_b32_e32 v19, v18
	s_xor_b64 s[46:47], s[46:47], s[44:45]
	v_mov_b32_e32 v33, v6
	s_cvt_f32_u32 s0, s46
	s_cvt_f32_u32 s45, s47
	s_sub_nc_u64 s[66:67], 0, s[46:47]
	v_add_nc_u64_e32 v[22:23], v[10:11], v[18:19]
	s_delay_alu instid0(SALU_CYCLE_1) | instskip(NEXT) | instid1(SALU_CYCLE_3)
	s_fmamk_f32 s0, s45, 0x4f800000, s0
	v_s_rcp_f32 s0, s0
	s_delay_alu instid0(VALU_DEP_1) | instskip(NEXT) | instid1(VALU_DEP_2)
	v_xor_b32_e32 v28, v23, v18
	v_xor_b32_e32 v24, v22, v18
	s_delay_alu instid0(TRANS32_DEP_1) | instskip(NEXT) | instid1(SALU_CYCLE_3)
	s_mul_f32 s0, s0, 0x5f7ffffc
	s_mul_f32 s45, s0, 0x2f800000
	s_delay_alu instid0(SALU_CYCLE_3) | instskip(NEXT) | instid1(SALU_CYCLE_3)
	s_trunc_f32 s45, s45
	s_fmamk_f32 s0, s45, 0xcf800000, s0
	s_cvt_u32_f32 s65, s45
	s_delay_alu instid0(SALU_CYCLE_2) | instskip(NEXT) | instid1(SALU_CYCLE_3)
	s_cvt_u32_f32 s64, s0
	s_mul_u64 s[68:69], s[66:67], s[64:65]
	s_delay_alu instid0(SALU_CYCLE_1)
	s_mul_hi_u32 s71, s64, s69
	s_mul_i32 s70, s64, s69
	s_mul_hi_u32 s0, s64, s68
	s_mul_i32 s72, s65, s68
	s_add_nc_u64 s[70:71], s[0:1], s[70:71]
	s_mul_hi_u32 s45, s65, s68
	s_mul_hi_u32 s73, s65, s69
	s_add_co_u32 s0, s70, s72
	s_add_co_ci_u32 s0, s71, s45
	s_mul_i32 s68, s65, s69
	s_add_co_ci_u32 s69, s73, 0
	s_delay_alu instid0(SALU_CYCLE_1) | instskip(NEXT) | instid1(SALU_CYCLE_1)
	s_add_nc_u64 s[68:69], s[0:1], s[68:69]
	s_add_co_u32 s64, s64, s68
	s_cselect_b32 s0, -1, 0
	s_delay_alu instid0(SALU_CYCLE_1) | instskip(SKIP_1) | instid1(SALU_CYCLE_1)
	s_cmp_lg_u32 s0, 0
	s_add_co_ci_u32 s65, s65, s69
	s_mul_u64 s[66:67], s[66:67], s[64:65]
	s_delay_alu instid0(SALU_CYCLE_1)
	s_mul_hi_u32 s69, s64, s67
	s_mul_i32 s68, s64, s67
	s_mul_hi_u32 s0, s64, s66
	s_mul_i32 s70, s65, s66
	s_add_nc_u64 s[68:69], s[0:1], s[68:69]
	s_mul_hi_u32 s45, s65, s66
	s_mul_hi_u32 s71, s65, s67
	s_add_co_u32 s0, s68, s70
	s_add_co_ci_u32 s0, s69, s45
	s_mul_i32 s66, s65, s67
	s_add_co_ci_u32 s67, s71, 0
	s_delay_alu instid0(SALU_CYCLE_1) | instskip(NEXT) | instid1(SALU_CYCLE_1)
	s_add_nc_u64 s[66:67], s[0:1], s[66:67]
	s_add_co_u32 s64, s64, s66
	s_cselect_b32 s0, -1, 0
	v_mul_hi_u32 v32, v24, s64
	s_cmp_lg_u32 s0, 0
	s_add_co_ci_u32 s0, s65, s67
	s_and_b64 s[66:67], s[64:65], s[36:37]
	v_mul_u64_e32 v[26:27], s[0:1], v[24:25]
	v_mul_u64_e32 v[22:23], s[66:67], v[28:29]
	;; [unrolled: 1-line block ×3, first 2 shown]
	s_delay_alu instid0(VALU_DEP_3) | instskip(NEXT) | instid1(VALU_DEP_1)
	v_add_nc_u64_e32 v[26:27], v[32:33], v[26:27]
	v_add_co_u32 v1, vcc_lo, v26, v22
	s_delay_alu instid0(VALU_DEP_2) | instskip(NEXT) | instid1(VALU_DEP_4)
	v_add_co_ci_u32_e32 v32, vcc_lo, v27, v23, vcc_lo
	v_add_co_ci_u32_e32 v31, vcc_lo, 0, v31, vcc_lo
	s_delay_alu instid0(VALU_DEP_1) | instskip(NEXT) | instid1(VALU_DEP_1)
	v_add_nc_u64_e32 v[22:23], v[32:33], v[30:31]
	v_mul_u64_e32 v[26:27], s[46:47], v[22:23]
	s_delay_alu instid0(VALU_DEP_1) | instskip(NEXT) | instid1(VALU_DEP_2)
	v_sub_nc_u32_e32 v1, v28, v27
	v_sub_co_u32 v7, vcc_lo, v24, v26
	s_delay_alu instid0(VALU_DEP_1) | instskip(NEXT) | instid1(VALU_DEP_3)
	v_sub_co_ci_u32_e64 v15, null, v28, v27, vcc_lo
	v_subrev_co_ci_u32_e64 v1, null, s47, v1, vcc_lo
	s_delay_alu instid0(VALU_DEP_3) | instskip(SKIP_1) | instid1(VALU_DEP_3)
	v_sub_co_u32 v12, s0, v7, s46
	v_add_nc_u64_e32 v[24:25], 2, v[22:23]
	v_subrev_co_ci_u32_e64 v1, null, 0, v1, s0
	s_delay_alu instid0(VALU_DEP_3) | instskip(SKIP_2) | instid1(VALU_DEP_4)
	v_cmp_le_u32_e32 vcc_lo, s46, v12
	v_add_nc_u64_e32 v[26:27], 1, v[22:23]
	v_cndmask_b32_e64 v12, 0, -1, vcc_lo
	v_cmp_le_u32_e32 vcc_lo, s47, v1
	v_cndmask_b32_e64 v16, 0, -1, vcc_lo
	v_cmp_le_u32_e32 vcc_lo, s46, v7
	;; [unrolled: 2-line block ×3, first 2 shown]
	v_cndmask_b32_e64 v19, 0, -1, vcc_lo
	v_cmp_eq_u32_e32 vcc_lo, s47, v1
	v_cndmask_b32_e32 v1, v16, v12, vcc_lo
	v_cmp_eq_u32_e32 vcc_lo, s47, v15
	s_delay_alu instid0(VALU_DEP_4) | instskip(NEXT) | instid1(VALU_DEP_3)
	v_cndmask_b32_e32 v7, v19, v7, vcc_lo
	v_cmp_ne_u32_e32 vcc_lo, 0, v1
	s_delay_alu instid0(VALU_DEP_2) | instskip(SKIP_1) | instid1(VALU_DEP_1)
	v_cmp_ne_u32_e64 s0, 0, v7
	v_dual_cndmask_b32 v1, v27, v25, vcc_lo :: v_dual_cndmask_b32 v7, v26, v24, vcc_lo
	v_dual_cndmask_b32 v1, v23, v1, s0 :: v_dual_bitop2_b32 v18, s44, v18 bitop3:0x14
	s_delay_alu instid0(VALU_DEP_1) | instskip(NEXT) | instid1(VALU_DEP_1)
	v_dual_cndmask_b32 v7, v22, v7, s0 :: v_dual_bitop2_b32 v23, v1, v18 bitop3:0x14
	v_dual_mov_b32 v19, v18 :: v_dual_bitop2_b32 v22, v7, v18 bitop3:0x14
	s_delay_alu instid0(VALU_DEP_1)
	v_sub_nc_u64_e32 v[18:19], v[22:23], v[18:19]
.LBB114_44:                             ;   in Loop: Header=BB114_42 Depth=1
	s_and_not1_saveexec_b32 s0, s63
	s_cbranch_execz .LBB114_41
; %bb.45:                               ;   in Loop: Header=BB114_42 Depth=1
	v_cvt_f32_u32_e32 v1, s42
	s_sub_co_i32 s44, 0, s42
	v_mov_b32_e32 v19, v6
	s_delay_alu instid0(VALU_DEP_2) | instskip(SKIP_1) | instid1(TRANS32_DEP_1)
	v_rcp_iflag_f32_e32 v1, v1
	v_nop
	v_mul_f32_e32 v1, 0x4f7ffffe, v1
	s_delay_alu instid0(VALU_DEP_1) | instskip(NEXT) | instid1(VALU_DEP_1)
	v_cvt_u32_f32_e32 v1, v1
	v_mul_lo_u32 v7, s44, v1
	s_delay_alu instid0(VALU_DEP_1) | instskip(NEXT) | instid1(VALU_DEP_1)
	v_mul_hi_u32 v7, v1, v7
	v_add_nc_u32_e32 v1, v1, v7
	s_delay_alu instid0(VALU_DEP_1) | instskip(NEXT) | instid1(VALU_DEP_1)
	v_mul_hi_u32 v1, v10, v1
	v_mul_lo_u32 v7, v1, s42
	s_delay_alu instid0(VALU_DEP_1) | instskip(NEXT) | instid1(VALU_DEP_1)
	v_sub_nc_u32_e32 v7, v10, v7
	v_subrev_nc_u32_e32 v15, s42, v7
	v_cmp_le_u32_e32 vcc_lo, s42, v7
	s_delay_alu instid0(VALU_DEP_2) | instskip(NEXT) | instid1(VALU_DEP_1)
	v_dual_cndmask_b32 v7, v7, v15 :: v_dual_add_nc_u32 v12, 1, v1
	v_cndmask_b32_e32 v1, v1, v12, vcc_lo
	s_delay_alu instid0(VALU_DEP_2) | instskip(NEXT) | instid1(VALU_DEP_2)
	v_cmp_le_u32_e32 vcc_lo, s42, v7
	v_add_nc_u32_e32 v12, 1, v1
	s_delay_alu instid0(VALU_DEP_1)
	v_cndmask_b32_e32 v18, v1, v12, vcc_lo
	s_branch .LBB114_41
.LBB114_46:
	s_mov_b32 s38, -1
	s_mov_b32 s0, 0
	s_mov_b32 s35, 0
	s_mov_b32 s1, exec_lo
	v_cmpx_gt_i32_e64 v4, v8
	s_cbranch_execz .LBB114_52
; %bb.47:
	s_delay_alu instid0(VALU_DEP_2) | instskip(SKIP_3) | instid1(VALU_DEP_2)
	v_lshlrev_b64_e32 v[2:3], 2, v[2:3]
	v_dual_mov_b32 v6, v8 :: v_dual_ashrrev_i32 v7, 31, v8
	v_dual_mov_b32 v18, v4 :: v_dual_ashrrev_i32 v19, 31, v4
	s_xor_b32 s37, s49, -1
                                        ; implicit-def: $sgpr36
                                        ; implicit-def: $sgpr39
                                        ; implicit-def: $sgpr38
	v_lshl_add_u64 v[6:7], v[6:7], 2, v[2:3]
	s_wait_loadcnt 0x0
	v_add_nc_u64_e32 v[10:11], s[14:15], v[2:3]
	s_delay_alu instid0(VALU_DEP_2) | instskip(NEXT) | instid1(VALU_DEP_1)
	v_add_nc_u64_e32 v[6:7], s[14:15], v[6:7]
	v_add_nc_u64_e32 v[2:3], 4, v[6:7]
	s_delay_alu instid0(VALU_DEP_3)
	v_lshl_add_u64 v[6:7], v[18:19], 2, v[10:11]
	s_branch .LBB114_49
.LBB114_48:                             ;   in Loop: Header=BB114_49 Depth=1
	s_or_b32 exec_lo, exec_lo, s40
	s_delay_alu instid0(SALU_CYCLE_1) | instskip(NEXT) | instid1(SALU_CYCLE_1)
	s_and_b32 s40, exec_lo, s39
	s_or_b32 s35, s40, s35
	s_and_not1_b32 s36, s36, exec_lo
	s_and_b32 s40, s38, exec_lo
	s_delay_alu instid0(SALU_CYCLE_1)
	s_or_b32 s36, s36, s40
	s_and_not1_b32 exec_lo, exec_lo, s35
	s_cbranch_execz .LBB114_51
.LBB114_49:                             ; =>This Inner Loop Header: Depth=1
	s_or_b32 s38, s38, exec_lo
	s_or_b32 s39, s39, exec_lo
	s_mov_b32 s40, exec_lo
	s_delay_alu instid0(VALU_DEP_2)
	v_cmpx_lt_u64_e64 v[2:3], v[6:7]
	s_cbranch_execz .LBB114_48
; %bb.50:                               ;   in Loop: Header=BB114_49 Depth=1
	global_load_b64 v[10:11], v[2:3], off offset:-4
	s_and_not1_b32 s39, s39, exec_lo
	s_wait_xcnt 0x0
	v_add_nc_u64_e32 v[2:3], 4, v[2:3]
	s_and_not1_b32 s38, s38, exec_lo
	s_wait_loadcnt 0x0
	v_cmp_ge_i32_e32 vcc_lo, v10, v11
	s_or_b32 s41, s37, vcc_lo
	s_delay_alu instid0(SALU_CYCLE_1) | instskip(NEXT) | instid1(SALU_CYCLE_1)
	s_and_b32 s41, s41, exec_lo
	s_or_b32 s39, s39, s41
	s_branch .LBB114_48
.LBB114_51:
	s_or_b32 exec_lo, exec_lo, s35
	s_delay_alu instid0(SALU_CYCLE_1)
	s_mov_b32 s35, exec_lo
	s_or_not1_b32 s38, s36, exec_lo
.LBB114_52:
	s_or_b32 exec_lo, exec_lo, s1
	s_mov_b32 s36, 0
	s_mov_b32 s37, 0
	s_and_saveexec_b32 s1, s38
	s_cbranch_execz .LBB114_56
; %bb.53:
	s_mov_b32 s0, 0
	s_mov_b32 s37, -1
	s_mov_b32 s38, exec_lo
	v_cmpx_eq_u32_e64 s33, v20
	s_xor_b32 s38, exec_lo, s38
; %bb.54:
	v_cmp_ne_u32_e32 vcc_lo, v17, v14
	s_mov_b32 s36, exec_lo
	s_xor_b32 s37, exec_lo, -1
	s_and_b32 s0, vcc_lo, exec_lo
; %bb.55:
	s_or_b32 exec_lo, exec_lo, s38
	s_delay_alu instid0(SALU_CYCLE_1)
	s_and_b32 s37, s37, exec_lo
	s_and_not1_b32 s35, s35, exec_lo
	s_and_b32 s36, s36, exec_lo
	s_and_b32 s0, s0, exec_lo
.LBB114_56:
	s_or_b32 exec_lo, exec_lo, s1
	s_delay_alu instid0(SALU_CYCLE_1)
	s_and_b32 s38, s37, exec_lo
	s_and_b32 s37, s35, exec_lo
	s_xor_b32 s35, exec_lo, -1
	s_and_b32 s36, s36, exec_lo
	s_and_b32 s1, s0, exec_lo
.LBB114_57:
	s_or_b32 exec_lo, exec_lo, s62
	s_delay_alu instid0(SALU_CYCLE_1)
	s_and_b32 s39, s38, exec_lo
	s_and_b32 s37, s37, exec_lo
	s_and_b32 s38, s35, exec_lo
	s_and_b32 s35, s36, exec_lo
	s_or_not1_b32 s0, s1, exec_lo
.LBB114_58:
	s_or_b32 exec_lo, exec_lo, s61
	s_delay_alu instid0(SALU_CYCLE_1)
	s_or_not1_b32 s1, s39, exec_lo
	s_and_b32 s37, s37, exec_lo
	s_and_b32 s36, s38, exec_lo
	;; [unrolled: 1-line block ×4, first 2 shown]
.LBB114_59:
	s_or_b32 exec_lo, exec_lo, s60
	s_delay_alu instid0(SALU_CYCLE_1)
	s_and_not1_b32 s38, s58, exec_lo
	s_and_b32 s39, s37, exec_lo
	s_and_b32 s37, s1, exec_lo
	s_or_b32 s58, s38, s39
	s_and_b32 s36, s36, exec_lo
	s_and_b32 s1, s35, exec_lo
	s_and_b32 s0, s0, exec_lo
.LBB114_60:
	s_or_b32 exec_lo, exec_lo, s59
	s_delay_alu instid0(SALU_CYCLE_1)
	s_and_b32 s38, s37, exec_lo
	s_and_b32 s37, s58, exec_lo
	s_or_not1_b32 s35, s36, exec_lo
	s_and_b32 s36, s1, exec_lo
	s_and_b32 s1, s0, exec_lo
.LBB114_61:
	s_or_b32 exec_lo, exec_lo, s57
	s_delay_alu instid0(SALU_CYCLE_1)
	s_and_b32 s39, s38, exec_lo
	s_and_b32 s37, s37, exec_lo
	;; [unrolled: 1-line block ×4, first 2 shown]
	s_or_not1_b32 s0, s1, exec_lo
.LBB114_62:
	s_or_b32 exec_lo, exec_lo, s56
	s_delay_alu instid0(SALU_CYCLE_1)
	s_or_not1_b32 s1, s39, exec_lo
	s_and_b32 s37, s37, exec_lo
	s_and_b32 s36, s38, exec_lo
	;; [unrolled: 1-line block ×4, first 2 shown]
.LBB114_63:
	s_or_b32 exec_lo, exec_lo, s55
	s_delay_alu instid0(SALU_CYCLE_1)
	s_and_not1_b32 s38, s53, exec_lo
	s_and_b32 s37, s37, exec_lo
	s_and_b32 s1, s1, exec_lo
	s_or_b32 s53, s38, s37
	s_and_b32 s37, s36, exec_lo
	s_and_b32 s36, s35, exec_lo
	;; [unrolled: 1-line block ×3, first 2 shown]
.LBB114_64:
	s_or_b32 exec_lo, exec_lo, s54
	s_delay_alu instid0(SALU_CYCLE_1)
	s_and_b32 s1, s1, exec_lo
	s_and_b32 s40, s53, exec_lo
	s_or_not1_b32 s35, s37, exec_lo
	s_and_b32 s39, s36, exec_lo
	s_and_b32 s38, s0, exec_lo
.LBB114_65:
	s_or_b32 exec_lo, exec_lo, s52
	s_delay_alu instid0(SALU_CYCLE_1)
	s_and_b32 s1, s1, exec_lo
	s_and_b32 s52, s40, exec_lo
	;; [unrolled: 1-line block ×4, first 2 shown]
	s_or_not1_b32 s38, s38, exec_lo
	s_mov_b32 s53, s8
.LBB114_66:
	s_or_b32 exec_lo, exec_lo, s51
	s_and_saveexec_b32 s36, s38
	s_cbranch_execnz .LBB114_212
.LBB114_67:
	s_or_b32 exec_lo, exec_lo, s36
	s_mov_b32 s36, 0
	s_and_saveexec_b32 s37, s0
	s_delay_alu instid0(SALU_CYCLE_1)
	s_xor_b32 s37, exec_lo, s37
	s_cbranch_execz .LBB114_106
; %bb.68:
	v_sub_nc_u32_e32 v1, v5, v9
	s_and_not1_b32 s35, s35, exec_lo
	s_mov_b32 s36, exec_lo
	s_delay_alu instid0(VALU_DEP_1) | instskip(SKIP_2) | instid1(SALU_CYCLE_1)
	v_cmp_gt_i32_e32 vcc_lo, s33, v1
	v_cmp_lt_i32_e64 s0, s4, v1
	s_or_b32 s0, vcc_lo, s0
	s_and_b32 s0, s0, exec_lo
	s_delay_alu instid0(SALU_CYCLE_1)
	s_or_b32 s35, s35, s0
	s_or_b32 exec_lo, exec_lo, s37
	s_and_saveexec_b32 s0, s35
	s_cbranch_execz .LBB114_107
.LBB114_69:
	s_or_b32 s3, s3, exec_lo
	s_and_not1_b32 s36, s36, exec_lo
	s_trap 2
	s_or_b32 exec_lo, exec_lo, s0
	s_mov_b32 s0, 0
	s_and_saveexec_b32 s51, s36
	s_cbranch_execnz .LBB114_108
.LBB114_70:
	s_or_b32 exec_lo, exec_lo, s51
	s_and_saveexec_b32 s34, s52
	s_cbranch_execnz .LBB114_175
.LBB114_71:
	s_or_b32 exec_lo, exec_lo, s34
	s_and_saveexec_b32 s34, s0
	s_delay_alu instid0(SALU_CYCLE_1)
	s_xor_b32 s0, exec_lo, s34
	s_cbranch_execz .LBB114_73
.LBB114_72:
	v_mov_b32_e32 v2, 0
	s_add_nc_u64 s[30:31], s[16:17], s[30:31]
	s_delay_alu instid0(VALU_DEP_1)
	v_dual_mov_b32 v3, v2 :: v_dual_mov_b32 v4, v2
	v_mov_b32_e32 v5, v2
	global_store_b128 v0, v[2:5], s[30:31] scale_offset
.LBB114_73:
	s_wait_xcnt 0x0
	s_or_b32 exec_lo, exec_lo, s0
	s_delay_alu instid0(SALU_CYCLE_1)
	s_and_b32 s3, s3, exec_lo
	s_or_not1_b32 s0, s1, exec_lo
.LBB114_74:
	s_or_b32 exec_lo, exec_lo, s48
.LBB114_75:
	s_and_saveexec_b32 s1, s0
	s_delay_alu instid0(SALU_CYCLE_1)
	s_xor_b32 s0, exec_lo, s1
	s_cbranch_execnz .LBB114_210
.LBB114_76:
	s_or_b32 exec_lo, exec_lo, s0
	s_mov_b32 s0, 0
.LBB114_77:
	s_delay_alu instid0(SALU_CYCLE_1)
	s_and_b32 vcc_lo, exec_lo, s0
	s_cbranch_vccz .LBB114_97
; %bb.78:
	v_mov_b64_e32 v[6:7], 0
	v_cmp_gt_i32_e64 s0, s5, v0
	v_dual_mov_b32 v3, 0 :: v_dual_mov_b32 v1, 0
	v_or_b32_e32 v15, 0x100, v0
	v_dual_mov_b32 v2, 0 :: v_dual_mov_b32 v4, 0
	s_wait_loadcnt 0x0
	v_dual_mov_b32 v11, 0 :: v_dual_mov_b32 v9, 0
	v_dual_mov_b32 v10, 0 :: v_dual_mov_b32 v8, 0
	v_dual_mov_b32 v13, 0 :: v_dual_mov_b32 v19, 0
	v_dual_mov_b32 v17, 0 :: v_dual_mov_b32 v16, 0
	v_dual_mov_b32 v14, 0 :: v_dual_mov_b32 v18, 0
	v_dual_mov_b32 v23, 0 :: v_dual_mov_b32 v21, 0
	v_dual_mov_b32 v22, 0 :: v_dual_mov_b32 v20, 0
	v_mov_b32_e32 v24, 0
	s_and_saveexec_b32 s1, s0
	s_cbranch_execz .LBB114_86
; %bb.79:
	v_dual_mov_b32 v18, 0 :: v_dual_bitop2_b32 v1, s2, v0 bitop3:0x54
	v_mov_b64_e32 v[6:7], 0
	v_dual_mov_b32 v14, 0 :: v_dual_mov_b32 v16, 0
	s_clause 0x4
	global_load_b32 v23, v1, s[18:19] scale_offset
	global_load_b32 v21, v1, s[20:21] scale_offset
	;; [unrolled: 1-line block ×5, first 2 shown]
	v_dual_mov_b32 v17, 0 :: v_dual_mov_b32 v19, 0
	v_dual_mov_b32 v13, 0 :: v_dual_mov_b32 v8, 0
	;; [unrolled: 1-line block ×4, first 2 shown]
	s_wait_xcnt 0x0
	v_dual_mov_b32 v2, 0 :: v_dual_mov_b32 v1, 0
	v_mov_b32_e32 v3, 0
	s_mov_b32 s9, exec_lo
	v_cmpx_gt_u32_e64 s5, v15
	s_cbranch_execz .LBB114_85
; %bb.80:
	v_dual_mov_b32 v13, 0 :: v_dual_add_nc_u32 v12, s2, v0
	v_or_b32_e32 v1, 0x200, v0
	v_mov_b64_e32 v[6:7], 0
	v_dual_mov_b32 v8, 0 :: v_dual_mov_b32 v10, 0
	s_clause 0x4
	global_load_b32 v19, v12, s[18:19] offset:1024 scale_offset
	global_load_b32 v17, v12, s[20:21] offset:1024 scale_offset
	;; [unrolled: 1-line block ×5, first 2 shown]
	v_cmp_gt_u32_e32 vcc_lo, s5, v1
	v_dual_mov_b32 v9, 0 :: v_dual_mov_b32 v11, 0
	v_dual_mov_b32 v4, 0 :: v_dual_mov_b32 v2, 0
	;; [unrolled: 1-line block ×3, first 2 shown]
	s_wait_xcnt 0x0
	s_and_saveexec_b32 s30, vcc_lo
	s_cbranch_execz .LBB114_84
; %bb.81:
	v_lshlrev_b64_e32 v[2:3], 2, v[12:13]
	v_or_b32_e32 v1, 0x300, v0
	v_mov_b64_e32 v[6:7], 0
	s_delay_alu instid0(VALU_DEP_2) | instskip(NEXT) | instid1(VALU_DEP_4)
	v_cmp_gt_u32_e32 vcc_lo, s5, v1
	v_add_nc_u64_e32 v[4:5], s[18:19], v[2:3]
	v_add_nc_u64_e32 v[26:27], s[20:21], v[2:3]
	;; [unrolled: 1-line block ×5, first 2 shown]
	v_dual_mov_b32 v2, 0 :: v_dual_mov_b32 v1, 0
	global_load_b32 v11, v[4:5], off offset:2048
	global_load_b32 v9, v[26:27], off offset:2048
	;; [unrolled: 1-line block ×5, first 2 shown]
	v_mov_b32_e32 v3, 0
	s_wait_xcnt 0x0
	s_and_saveexec_b32 s18, vcc_lo
	s_cbranch_execz .LBB114_83
; %bb.82:
	global_load_b32 v6, v[28:29], off offset:3072
	global_load_b32 v3, v[4:5], off offset:3072
	;; [unrolled: 1-line block ×5, first 2 shown]
	s_wait_loadcnt 0x4
	v_ashrrev_i32_e32 v7, 31, v6
.LBB114_83:
	s_wait_xcnt 0x0
	s_or_b32 exec_lo, exec_lo, s18
	s_wait_loadcnt 0x0
	v_dual_mov_b32 v4, v13 :: v_dual_mov_b32 v13, v12
.LBB114_84:
	s_or_b32 exec_lo, exec_lo, s30
.LBB114_85:
	s_delay_alu instid0(SALU_CYCLE_1)
	s_or_b32 exec_lo, exec_lo, s9
.LBB114_86:
	s_delay_alu instid0(SALU_CYCLE_1)
	s_or_b32 exec_lo, exec_lo, s1
	s_get_pc_i64 s[18:19]
	s_add_nc_u64 s[18:19], s[18:19], .str.7@rel64+4
	s_cmp_lg_u64 s[28:29], 0
	s_get_pc_i64 s[20:21]
	s_add_nc_u64 s[20:21], s[20:21], .str.8@rel64+4
	s_cselect_b32 s42, -1, 0
	s_cmp_lg_u64 s[18:19], 0
	v_cmp_gt_i64_e64 s9, s[6:7], 0
	s_cselect_b32 s39, -1, 0
	s_cmp_lg_u64 s[20:21], 0
	s_get_pc_i64 s[20:21]
	s_add_nc_u64 s[20:21], s[20:21], .str.9@rel64+4
	s_cselect_b32 s38, -1, 0
	s_add_co_i32 s18, s8, -1
	s_mov_b32 s1, -1
	s_cmp_gt_i32 s18, -1
	s_mov_b32 s48, 0
	s_cselect_b32 s19, -1, 0
	s_mov_b32 s46, 0
	s_and_b32 s37, s9, s19
	s_cmp_lg_u64 s[20:21], 0
	s_mov_b32 s44, 0
	s_cselect_b32 s36, -1, 0
	s_mov_b32 s43, 0
	s_mov_b32 s41, 0
	s_and_saveexec_b32 s9, s0
	s_cbranch_execz .LBB114_130
; %bb.87:
	s_wait_loadcnt 0x4
	v_cmp_eq_u32_e32 vcc_lo, s33, v23
	s_mov_b32 s19, -1
	s_mov_b32 s1, 0
	s_mov_b32 s20, 0
	;; [unrolled: 1-line block ×3, first 2 shown]
	s_and_b32 s23, s42, vcc_lo
	s_mov_b32 s22, 0
	s_and_saveexec_b32 s40, s23
	s_cbranch_execz .LBB114_129
; %bb.88:
	s_wait_loadcnt 0x3
	v_cmp_eq_u32_e32 vcc_lo, s6, v21
	s_and_b32 s22, s39, vcc_lo
	s_delay_alu instid0(SALU_CYCLE_1)
	s_and_saveexec_b32 s41, s22
	s_cbranch_execz .LBB114_128
; %bb.89:
	s_wait_loadcnt 0x1
	v_sub_nc_u32_e32 v5, v20, v22
	s_delay_alu instid0(VALU_DEP_1)
	v_cmp_le_i32_e32 vcc_lo, s33, v5
	v_cmp_ge_i32_e64 s1, s4, v5
	s_and_b32 s20, vcc_lo, s1
	s_mov_b32 s1, 0
	s_and_b32 s21, s38, s20
	s_mov_b32 s20, 0
	s_and_saveexec_b32 s43, s21
	s_cbranch_execz .LBB114_127
; %bb.90:
	v_mov_b64_e32 v[26:27], 0
	s_and_not1_b32 vcc_lo, exec_lo, s37
	s_cbranch_vccnz .LBB114_115
; %bb.91:
	s_wait_loadcnt 0x0
	v_ashrrev_i32_e32 v25, 31, v24
	s_mov_b32 s21, 0
	v_mov_b64_e32 v[26:27], 0
	s_mov_b32 s19, s21
	s_mov_b64 s[22:23], 0xffffffff
	v_mul_u64_e32 v[28:29], s[6:7], v[24:25]
	v_mov_b32_e32 v24, 0
	s_lshl_b64 s[26:27], s[18:19], 3
	s_mov_b32 s19, s8
	s_add_nc_u64 s[24:25], s[10:11], s[26:27]
	s_add_nc_u64 s[26:27], s[12:13], s[26:27]
	s_branch .LBB114_93
.LBB114_92:                             ;   in Loop: Header=BB114_93 Depth=1
	s_or_b32 exec_lo, exec_lo, s1
	s_delay_alu instid0(VALU_DEP_1)
	v_mul_u64_e32 v[32:33], s[28:29], v[30:31]
	s_load_b64 s[28:29], s[26:27], 0x0
	s_add_co_i32 s19, s19, -1
	s_add_nc_u64 s[24:25], s[24:25], -8
	s_cmp_eq_u32 s19, 0
	s_wait_xcnt 0x0
	s_add_nc_u64 s[26:27], s[26:27], -8
	s_delay_alu instid0(VALU_DEP_1) | instskip(SKIP_1) | instid1(VALU_DEP_1)
	v_sub_nc_u64_e32 v[28:29], v[28:29], v[32:33]
	s_wait_kmcnt 0x0
	v_mad_nc_u64_u32 v[26:27], v28, s28, v[26:27]
	s_delay_alu instid0(VALU_DEP_1) | instskip(NEXT) | instid1(VALU_DEP_1)
	v_mad_u32 v5, v29, s28, v27
	v_mad_u32 v27, v28, s29, v5
	v_mov_b64_e32 v[28:29], v[30:31]
	s_cbranch_scc1 .LBB114_115
.LBB114_93:                             ; =>This Inner Loop Header: Depth=1
	s_load_b64 s[28:29], s[24:25], 0x0
                                        ; implicit-def: $vgpr30_vgpr31
	s_mov_b32 s1, exec_lo
	s_wait_kmcnt 0x0
	s_delay_alu instid0(VALU_DEP_1) | instskip(NEXT) | instid1(VALU_DEP_1)
	v_or_b32_e32 v25, s29, v29
	v_cmpx_ne_u64_e32 0, v[24:25]
	s_xor_b32 s44, exec_lo, s1
	s_cbranch_execz .LBB114_95
; %bb.94:                               ;   in Loop: Header=BB114_93 Depth=1
	s_ashr_i32 s30, s29, 31
	v_dual_mov_b32 v35, v24 :: v_dual_ashrrev_i32 v30, 31, v29
	s_mov_b32 s31, s30
	s_delay_alu instid0(SALU_CYCLE_1) | instskip(NEXT) | instid1(VALU_DEP_1)
	s_add_nc_u64 s[34:35], s[28:29], s[30:31]
	v_mov_b32_e32 v31, v30
	s_xor_b64 s[34:35], s[34:35], s[30:31]
	s_delay_alu instid0(SALU_CYCLE_1)
	s_cvt_f32_u32 s1, s34
	s_cvt_f32_u32 s20, s35
	s_sub_nc_u64 s[50:51], 0, s[34:35]
	v_add_nc_u64_e32 v[32:33], v[28:29], v[30:31]
	v_mov_b32_e32 v39, v24
	s_fmamk_f32 s1, s20, 0x4f800000, s1
	s_delay_alu instid0(SALU_CYCLE_3) | instskip(NEXT) | instid1(VALU_DEP_2)
	v_s_rcp_f32 s1, s1
	v_xor_b32_e32 v34, v32, v30
	s_delay_alu instid0(VALU_DEP_3) | instskip(NEXT) | instid1(TRANS32_DEP_1)
	v_dual_mov_b32 v43, v24 :: v_dual_bitop2_b32 v38, v33, v30 bitop3:0x14
	s_mul_f32 s1, s1, 0x5f7ffffc
	s_delay_alu instid0(SALU_CYCLE_3) | instskip(NEXT) | instid1(SALU_CYCLE_3)
	s_mul_f32 s20, s1, 0x2f800000
	s_trunc_f32 s20, s20
	s_delay_alu instid0(SALU_CYCLE_3) | instskip(SKIP_1) | instid1(SALU_CYCLE_2)
	s_fmamk_f32 s1, s20, 0xcf800000, s1
	s_cvt_u32_f32 s47, s20
	s_cvt_u32_f32 s46, s1
	s_delay_alu instid0(SALU_CYCLE_3) | instskip(NEXT) | instid1(SALU_CYCLE_1)
	s_mul_u64 s[52:53], s[50:51], s[46:47]
	s_mul_hi_u32 s55, s46, s53
	s_mul_i32 s54, s46, s53
	s_mul_hi_u32 s20, s46, s52
	s_mul_i32 s31, s47, s52
	s_add_nc_u64 s[54:55], s[20:21], s[54:55]
	s_mul_hi_u32 s1, s47, s52
	s_mul_hi_u32 s45, s47, s53
	s_add_co_u32 s20, s54, s31
	s_add_co_ci_u32 s20, s55, s1
	s_mul_i32 s52, s47, s53
	s_add_co_ci_u32 s53, s45, 0
	s_delay_alu instid0(SALU_CYCLE_1) | instskip(NEXT) | instid1(SALU_CYCLE_1)
	s_add_nc_u64 s[52:53], s[20:21], s[52:53]
	s_add_co_u32 s46, s46, s52
	s_cselect_b32 s1, -1, 0
	s_delay_alu instid0(SALU_CYCLE_1) | instskip(SKIP_1) | instid1(SALU_CYCLE_1)
	s_cmp_lg_u32 s1, 0
	s_add_co_ci_u32 s47, s47, s53
	s_mul_u64 s[50:51], s[50:51], s[46:47]
	s_delay_alu instid0(SALU_CYCLE_1)
	s_mul_hi_u32 s53, s46, s51
	s_mul_i32 s52, s46, s51
	s_mul_hi_u32 s20, s46, s50
	s_mul_i32 s31, s47, s50
	s_add_nc_u64 s[52:53], s[20:21], s[52:53]
	s_mul_hi_u32 s1, s47, s50
	s_mul_hi_u32 s45, s47, s51
	s_add_co_u32 s20, s52, s31
	s_add_co_ci_u32 s20, s53, s1
	s_mul_i32 s50, s47, s51
	s_add_co_ci_u32 s51, s45, 0
	s_delay_alu instid0(SALU_CYCLE_1) | instskip(NEXT) | instid1(SALU_CYCLE_1)
	s_add_nc_u64 s[50:51], s[20:21], s[50:51]
	s_add_co_u32 s46, s46, s50
	s_cselect_b32 s1, -1, 0
	v_mul_hi_u32 v42, v34, s46
	s_cmp_lg_u32 s1, 0
	s_add_co_ci_u32 s20, s47, s51
	s_and_b64 s[50:51], s[46:47], s[22:23]
	v_mul_u64_e32 v[36:37], s[20:21], v[34:35]
	v_mul_u64_e32 v[32:33], s[50:51], v[38:39]
	;; [unrolled: 1-line block ×3, first 2 shown]
	s_delay_alu instid0(VALU_DEP_3) | instskip(NEXT) | instid1(VALU_DEP_1)
	v_add_nc_u64_e32 v[36:37], v[42:43], v[36:37]
	v_add_co_u32 v5, vcc_lo, v36, v32
	s_delay_alu instid0(VALU_DEP_2) | instskip(NEXT) | instid1(VALU_DEP_4)
	v_add_co_ci_u32_e32 v42, vcc_lo, v37, v33, vcc_lo
	v_add_co_ci_u32_e32 v41, vcc_lo, 0, v41, vcc_lo
	s_delay_alu instid0(VALU_DEP_1) | instskip(NEXT) | instid1(VALU_DEP_1)
	v_add_nc_u64_e32 v[32:33], v[42:43], v[40:41]
	v_mul_u64_e32 v[36:37], s[34:35], v[32:33]
	s_delay_alu instid0(VALU_DEP_1) | instskip(NEXT) | instid1(VALU_DEP_2)
	v_sub_nc_u32_e32 v5, v38, v37
	v_sub_co_u32 v12, vcc_lo, v34, v36
	s_delay_alu instid0(VALU_DEP_1) | instskip(NEXT) | instid1(VALU_DEP_3)
	v_sub_co_ci_u32_e64 v23, null, v38, v37, vcc_lo
	v_subrev_co_ci_u32_e64 v5, null, s35, v5, vcc_lo
	s_delay_alu instid0(VALU_DEP_3) | instskip(SKIP_1) | instid1(VALU_DEP_3)
	v_sub_co_u32 v21, s1, v12, s34
	v_add_nc_u64_e32 v[34:35], 2, v[32:33]
	v_subrev_co_ci_u32_e64 v5, null, 0, v5, s1
	s_delay_alu instid0(VALU_DEP_3) | instskip(SKIP_2) | instid1(VALU_DEP_4)
	v_cmp_le_u32_e32 vcc_lo, s34, v21
	v_add_nc_u64_e32 v[36:37], 1, v[32:33]
	v_cndmask_b32_e64 v21, 0, -1, vcc_lo
	v_cmp_le_u32_e32 vcc_lo, s35, v5
	v_cndmask_b32_e64 v25, 0, -1, vcc_lo
	v_cmp_le_u32_e32 vcc_lo, s34, v12
	;; [unrolled: 2-line block ×3, first 2 shown]
	v_cndmask_b32_e64 v31, 0, -1, vcc_lo
	v_cmp_eq_u32_e32 vcc_lo, s35, v5
	v_cndmask_b32_e32 v5, v25, v21, vcc_lo
	v_cmp_eq_u32_e32 vcc_lo, s35, v23
	s_delay_alu instid0(VALU_DEP_4) | instskip(NEXT) | instid1(VALU_DEP_3)
	v_cndmask_b32_e32 v12, v31, v12, vcc_lo
	v_cmp_ne_u32_e32 vcc_lo, 0, v5
	s_delay_alu instid0(VALU_DEP_2) | instskip(SKIP_1) | instid1(VALU_DEP_1)
	v_cmp_ne_u32_e64 s1, 0, v12
	v_dual_cndmask_b32 v5, v37, v35 :: v_dual_cndmask_b32 v12, v36, v34
	v_dual_cndmask_b32 v5, v33, v5, s1 :: v_dual_bitop2_b32 v30, s30, v30 bitop3:0x14
	s_delay_alu instid0(VALU_DEP_1) | instskip(NEXT) | instid1(VALU_DEP_2)
	v_dual_cndmask_b32 v12, v32, v12, s1 :: v_dual_mov_b32 v31, v30
	v_xor_b32_e32 v33, v5, v30
	s_delay_alu instid0(VALU_DEP_2) | instskip(NEXT) | instid1(VALU_DEP_1)
	v_xor_b32_e32 v32, v12, v30
	v_sub_nc_u64_e32 v[30:31], v[32:33], v[30:31]
.LBB114_95:                             ;   in Loop: Header=BB114_93 Depth=1
	s_and_not1_saveexec_b32 s1, s44
	s_cbranch_execz .LBB114_92
; %bb.96:                               ;   in Loop: Header=BB114_93 Depth=1
	v_cvt_f32_u32_e32 v5, s28
	s_sub_co_i32 s20, 0, s28
	v_mov_b32_e32 v31, v24
	s_delay_alu instid0(VALU_DEP_2) | instskip(SKIP_1) | instid1(TRANS32_DEP_1)
	v_rcp_iflag_f32_e32 v5, v5
	v_nop
	v_mul_f32_e32 v5, 0x4f7ffffe, v5
	s_delay_alu instid0(VALU_DEP_1) | instskip(NEXT) | instid1(VALU_DEP_1)
	v_cvt_u32_f32_e32 v5, v5
	v_mul_lo_u32 v12, s20, v5
	s_delay_alu instid0(VALU_DEP_1) | instskip(NEXT) | instid1(VALU_DEP_1)
	v_mul_hi_u32 v12, v5, v12
	v_add_nc_u32_e32 v5, v5, v12
	s_delay_alu instid0(VALU_DEP_1) | instskip(NEXT) | instid1(VALU_DEP_1)
	v_mul_hi_u32 v5, v28, v5
	v_mul_lo_u32 v12, v5, s28
	s_delay_alu instid0(VALU_DEP_1) | instskip(NEXT) | instid1(VALU_DEP_1)
	v_dual_add_nc_u32 v21, 1, v5 :: v_dual_sub_nc_u32 v12, v28, v12
	v_subrev_nc_u32_e32 v23, s28, v12
	v_cmp_le_u32_e32 vcc_lo, s28, v12
	s_delay_alu instid0(VALU_DEP_2) | instskip(NEXT) | instid1(VALU_DEP_1)
	v_dual_cndmask_b32 v12, v12, v23 :: v_dual_cndmask_b32 v5, v5, v21
	v_cmp_le_u32_e32 vcc_lo, s28, v12
	s_delay_alu instid0(VALU_DEP_2) | instskip(NEXT) | instid1(VALU_DEP_1)
	v_add_nc_u32_e32 v21, 1, v5
	v_cndmask_b32_e32 v30, v5, v21, vcc_lo
	s_branch .LBB114_92
.LBB114_97:
                                        ; implicit-def: $sgpr0
                                        ; implicit-def: $sgpr40
                                        ; implicit-def: $sgpr45
                                        ; implicit-def: $sgpr24
                                        ; implicit-def: $vgpr0
	s_and_saveexec_b32 s1, s3
.LBB114_98:
	; divergent unreachable
.LBB114_99:
	s_delay_alu instid0(SALU_CYCLE_1)
	s_or_b32 exec_lo, exec_lo, s1
	s_and_saveexec_b32 s1, s9
	s_cbranch_execz .LBB114_105
; %bb.100:
	s_and_b32 exec_lo, exec_lo, s0
	s_cbranch_execz .LBB114_105
; %bb.101:
	v_dual_mov_b32 v1, 0 :: v_dual_bitop2_b32 v2, s2, v0 bitop3:0x54
	global_store_b32 v2, v1, s[16:17] scale_offset
	s_wait_xcnt 0x0
	s_and_b32 exec_lo, exec_lo, s40
	s_cbranch_execz .LBB114_105
; %bb.102:
	v_add_nc_u32_e32 v0, s2, v0
	global_store_b32 v0, v1, s[16:17] offset:1024 scale_offset
	s_wait_xcnt 0x0
	s_and_b32 exec_lo, exec_lo, s45
	s_cbranch_execz .LBB114_105
; %bb.103:
	v_lshl_add_u64 v[0:1], v[0:1], 2, s[16:17]
	v_mov_b32_e32 v2, 0
	global_store_b32 v[0:1], v2, off offset:2048
	s_wait_xcnt 0x0
	s_and_b32 exec_lo, exec_lo, s24
	s_cbranch_execz .LBB114_105
; %bb.104:
	global_store_b32 v[0:1], v2, off offset:3072
.LBB114_105:
	s_endpgm
.LBB114_106:
	s_or_b32 exec_lo, exec_lo, s37
	s_and_saveexec_b32 s0, s35
	s_cbranch_execnz .LBB114_69
.LBB114_107:
	s_or_b32 exec_lo, exec_lo, s0
	s_mov_b32 s0, 0
	s_and_saveexec_b32 s51, s36
	s_cbranch_execz .LBB114_70
.LBB114_108:
	v_mov_b64_e32 v[2:3], 0
	s_and_not1_b32 vcc_lo, exec_lo, s50
	s_cbranch_vccnz .LBB114_120
; %bb.109:
	s_wait_loadcnt 0x0
	v_dual_mov_b32 v2, v13 :: v_dual_ashrrev_i32 v3, 31, v13
	s_mov_b32 s35, 0
	v_mov_b32_e32 v6, 0
	s_lshl_b64 s[40:41], s[34:35], 3
	s_mov_b64 s[36:37], 0xffffffff
	v_mul_u64_e32 v[10:11], s[6:7], v[2:3]
	v_mov_b64_e32 v[2:3], 0
	s_add_nc_u64 s[38:39], s[10:11], s[40:41]
	s_add_nc_u64 s[40:41], s[12:13], s[40:41]
	s_branch .LBB114_111
.LBB114_110:                            ;   in Loop: Header=BB114_111 Depth=1
	s_or_b32 exec_lo, exec_lo, s0
	s_delay_alu instid0(VALU_DEP_1)
	v_mul_u64_e32 v[14:15], s[42:43], v[12:13]
	s_load_b64 s[42:43], s[40:41], 0x0
	s_add_co_i32 s53, s53, -1
	s_add_nc_u64 s[38:39], s[38:39], -8
	s_cmp_lg_u32 s53, 0
	s_wait_xcnt 0x0
	s_add_nc_u64 s[40:41], s[40:41], -8
	s_delay_alu instid0(VALU_DEP_1) | instskip(SKIP_1) | instid1(VALU_DEP_1)
	v_sub_nc_u64_e32 v[10:11], v[10:11], v[14:15]
	s_wait_kmcnt 0x0
	v_mad_nc_u64_u32 v[2:3], v10, s42, v[2:3]
	s_delay_alu instid0(VALU_DEP_1) | instskip(NEXT) | instid1(VALU_DEP_1)
	v_mad_u32 v1, v11, s42, v3
	v_mad_u32 v3, v10, s43, v1
	v_mov_b64_e32 v[10:11], v[12:13]
	s_cbranch_scc0 .LBB114_120
.LBB114_111:                            ; =>This Inner Loop Header: Depth=1
	s_load_b64 s[42:43], s[38:39], 0x0
                                        ; implicit-def: $vgpr12_vgpr13
	s_mov_b32 s0, exec_lo
	s_wait_kmcnt 0x0
	s_delay_alu instid0(VALU_DEP_1) | instskip(NEXT) | instid1(VALU_DEP_1)
	v_or_b32_e32 v7, s43, v11
	v_cmpx_ne_u64_e32 0, v[6:7]
	s_xor_b32 s50, exec_lo, s0
	s_cbranch_execz .LBB114_113
; %bb.112:                              ;   in Loop: Header=BB114_111 Depth=1
	s_ashr_i32 s44, s43, 31
	v_dual_mov_b32 v17, v6 :: v_dual_ashrrev_i32 v12, 31, v11
	s_mov_b32 s45, s44
	s_delay_alu instid0(SALU_CYCLE_1) | instskip(NEXT) | instid1(VALU_DEP_1)
	s_add_nc_u64 s[46:47], s[42:43], s[44:45]
	v_mov_b32_e32 v13, v12
	s_xor_b64 s[46:47], s[46:47], s[44:45]
	s_delay_alu instid0(SALU_CYCLE_1)
	s_cvt_f32_u32 s0, s46
	s_cvt_f32_u32 s34, s47
	s_sub_nc_u64 s[56:57], 0, s[46:47]
	v_add_nc_u64_e32 v[14:15], v[10:11], v[12:13]
	v_mov_b32_e32 v21, v6
	s_fmamk_f32 s0, s34, 0x4f800000, s0
	s_delay_alu instid0(SALU_CYCLE_3) | instskip(NEXT) | instid1(VALU_DEP_2)
	v_s_rcp_f32 s0, s0
	v_xor_b32_e32 v16, v14, v12
	s_delay_alu instid0(VALU_DEP_3) | instskip(NEXT) | instid1(TRANS32_DEP_1)
	v_dual_mov_b32 v25, v6 :: v_dual_bitop2_b32 v20, v15, v12 bitop3:0x14
	s_mul_f32 s0, s0, 0x5f7ffffc
	s_delay_alu instid0(SALU_CYCLE_3) | instskip(NEXT) | instid1(SALU_CYCLE_3)
	s_mul_f32 s34, s0, 0x2f800000
	s_trunc_f32 s34, s34
	s_delay_alu instid0(SALU_CYCLE_3) | instskip(SKIP_1) | instid1(SALU_CYCLE_2)
	s_fmamk_f32 s0, s34, 0xcf800000, s0
	s_cvt_u32_f32 s55, s34
	s_cvt_u32_f32 s54, s0
	s_delay_alu instid0(SALU_CYCLE_3) | instskip(NEXT) | instid1(SALU_CYCLE_1)
	s_mul_u64 s[58:59], s[56:57], s[54:55]
	s_mul_hi_u32 s61, s54, s59
	s_mul_i32 s60, s54, s59
	s_mul_hi_u32 s34, s54, s58
	s_mul_i32 s45, s55, s58
	s_add_nc_u64 s[60:61], s[34:35], s[60:61]
	s_mul_hi_u32 s0, s55, s58
	s_mul_hi_u32 s62, s55, s59
	s_add_co_u32 s34, s60, s45
	s_add_co_ci_u32 s34, s61, s0
	s_mul_i32 s58, s55, s59
	s_add_co_ci_u32 s59, s62, 0
	s_delay_alu instid0(SALU_CYCLE_1) | instskip(NEXT) | instid1(SALU_CYCLE_1)
	s_add_nc_u64 s[58:59], s[34:35], s[58:59]
	s_add_co_u32 s54, s54, s58
	s_cselect_b32 s0, -1, 0
	s_delay_alu instid0(SALU_CYCLE_1) | instskip(SKIP_1) | instid1(SALU_CYCLE_1)
	s_cmp_lg_u32 s0, 0
	s_add_co_ci_u32 s55, s55, s59
	s_mul_u64 s[56:57], s[56:57], s[54:55]
	s_delay_alu instid0(SALU_CYCLE_1)
	s_mul_hi_u32 s59, s54, s57
	s_mul_i32 s58, s54, s57
	s_mul_hi_u32 s34, s54, s56
	s_mul_i32 s45, s55, s56
	s_add_nc_u64 s[58:59], s[34:35], s[58:59]
	s_mul_hi_u32 s0, s55, s56
	s_mul_hi_u32 s60, s55, s57
	s_add_co_u32 s34, s58, s45
	s_add_co_ci_u32 s34, s59, s0
	s_mul_i32 s56, s55, s57
	s_add_co_ci_u32 s57, s60, 0
	s_delay_alu instid0(SALU_CYCLE_1) | instskip(NEXT) | instid1(SALU_CYCLE_1)
	s_add_nc_u64 s[56:57], s[34:35], s[56:57]
	s_add_co_u32 s0, s54, s56
	s_cselect_b32 s34, -1, 0
	v_mul_hi_u32 v24, v16, s0
	s_cmp_lg_u32 s34, 0
	s_add_co_ci_u32 s34, s55, s57
	s_and_b64 s[54:55], s[0:1], s[36:37]
	v_mul_u64_e32 v[18:19], s[34:35], v[16:17]
	v_mul_u64_e32 v[14:15], s[54:55], v[20:21]
	;; [unrolled: 1-line block ×3, first 2 shown]
	s_delay_alu instid0(VALU_DEP_3) | instskip(NEXT) | instid1(VALU_DEP_1)
	v_add_nc_u64_e32 v[18:19], v[24:25], v[18:19]
	v_add_co_u32 v1, vcc_lo, v18, v14
	s_delay_alu instid0(VALU_DEP_2) | instskip(NEXT) | instid1(VALU_DEP_4)
	v_add_co_ci_u32_e32 v24, vcc_lo, v19, v15, vcc_lo
	v_add_co_ci_u32_e32 v23, vcc_lo, 0, v23, vcc_lo
	s_delay_alu instid0(VALU_DEP_1) | instskip(NEXT) | instid1(VALU_DEP_1)
	v_add_nc_u64_e32 v[14:15], v[24:25], v[22:23]
	v_mul_u64_e32 v[18:19], s[46:47], v[14:15]
	s_delay_alu instid0(VALU_DEP_1) | instskip(NEXT) | instid1(VALU_DEP_2)
	v_sub_nc_u32_e32 v1, v20, v19
	v_sub_co_u32 v4, vcc_lo, v16, v18
	s_delay_alu instid0(VALU_DEP_1) | instskip(NEXT) | instid1(VALU_DEP_3)
	v_sub_co_ci_u32_e64 v8, null, v20, v19, vcc_lo
	v_subrev_co_ci_u32_e64 v1, null, s47, v1, vcc_lo
	s_delay_alu instid0(VALU_DEP_3) | instskip(SKIP_1) | instid1(VALU_DEP_3)
	v_sub_co_u32 v7, s0, v4, s46
	v_add_nc_u64_e32 v[16:17], 2, v[14:15]
	v_subrev_co_ci_u32_e64 v1, null, 0, v1, s0
	s_delay_alu instid0(VALU_DEP_3) | instskip(SKIP_2) | instid1(VALU_DEP_4)
	v_cmp_le_u32_e32 vcc_lo, s46, v7
	v_add_nc_u64_e32 v[18:19], 1, v[14:15]
	v_cndmask_b32_e64 v7, 0, -1, vcc_lo
	v_cmp_le_u32_e32 vcc_lo, s47, v1
	v_cndmask_b32_e64 v13, 0, -1, vcc_lo
	v_cmp_le_u32_e32 vcc_lo, s46, v4
	;; [unrolled: 2-line block ×3, first 2 shown]
	v_cndmask_b32_e64 v20, 0, -1, vcc_lo
	v_cmp_eq_u32_e32 vcc_lo, s47, v1
	v_cndmask_b32_e32 v1, v13, v7, vcc_lo
	v_cmp_eq_u32_e32 vcc_lo, s47, v8
	s_delay_alu instid0(VALU_DEP_4) | instskip(NEXT) | instid1(VALU_DEP_3)
	v_cndmask_b32_e32 v4, v20, v4, vcc_lo
	v_cmp_ne_u32_e32 vcc_lo, 0, v1
	s_delay_alu instid0(VALU_DEP_2) | instskip(SKIP_1) | instid1(VALU_DEP_1)
	v_cmp_ne_u32_e64 s0, 0, v4
	v_dual_cndmask_b32 v1, v19, v17 :: v_dual_cndmask_b32 v4, v18, v16
	v_dual_cndmask_b32 v1, v15, v1, s0 :: v_dual_bitop2_b32 v12, s44, v12 bitop3:0x14
	s_delay_alu instid0(VALU_DEP_1) | instskip(NEXT) | instid1(VALU_DEP_2)
	v_dual_cndmask_b32 v4, v14, v4, s0 :: v_dual_mov_b32 v13, v12
	v_xor_b32_e32 v15, v1, v12
	s_delay_alu instid0(VALU_DEP_2) | instskip(NEXT) | instid1(VALU_DEP_1)
	v_xor_b32_e32 v14, v4, v12
	v_sub_nc_u64_e32 v[12:13], v[14:15], v[12:13]
.LBB114_113:                            ;   in Loop: Header=BB114_111 Depth=1
	s_and_not1_saveexec_b32 s0, s50
	s_cbranch_execz .LBB114_110
; %bb.114:                              ;   in Loop: Header=BB114_111 Depth=1
	v_cvt_f32_u32_e32 v1, s42
	s_sub_co_i32 s34, 0, s42
	v_mov_b32_e32 v13, v6
	s_delay_alu instid0(VALU_DEP_2) | instskip(SKIP_1) | instid1(TRANS32_DEP_1)
	v_rcp_iflag_f32_e32 v1, v1
	v_nop
	v_mul_f32_e32 v1, 0x4f7ffffe, v1
	s_delay_alu instid0(VALU_DEP_1) | instskip(NEXT) | instid1(VALU_DEP_1)
	v_cvt_u32_f32_e32 v1, v1
	v_mul_lo_u32 v4, s34, v1
	s_delay_alu instid0(VALU_DEP_1) | instskip(NEXT) | instid1(VALU_DEP_1)
	v_mul_hi_u32 v4, v1, v4
	v_add_nc_u32_e32 v1, v1, v4
	s_delay_alu instid0(VALU_DEP_1) | instskip(NEXT) | instid1(VALU_DEP_1)
	v_mul_hi_u32 v1, v10, v1
	v_mul_lo_u32 v4, v1, s42
	s_delay_alu instid0(VALU_DEP_1) | instskip(NEXT) | instid1(VALU_DEP_1)
	v_sub_nc_u32_e32 v4, v10, v4
	v_subrev_nc_u32_e32 v8, s42, v4
	v_cmp_le_u32_e32 vcc_lo, s42, v4
	s_delay_alu instid0(VALU_DEP_2) | instskip(NEXT) | instid1(VALU_DEP_1)
	v_dual_cndmask_b32 v4, v4, v8 :: v_dual_add_nc_u32 v7, 1, v1
	v_cndmask_b32_e32 v1, v1, v7, vcc_lo
	s_delay_alu instid0(VALU_DEP_2) | instskip(NEXT) | instid1(VALU_DEP_2)
	v_cmp_le_u32_e32 vcc_lo, s42, v4
	v_add_nc_u32_e32 v7, 1, v1
	s_delay_alu instid0(VALU_DEP_1)
	v_cndmask_b32_e32 v12, v1, v7, vcc_lo
	s_branch .LBB114_110
.LBB114_115:
	s_mov_b32 s21, -1
	s_mov_b32 s19, 0
	s_mov_b32 s1, exec_lo
	v_cmpx_gt_i32_e64 v20, v22
	s_cbranch_execz .LBB114_126
; %bb.116:
	s_wait_loadcnt 0x0
	s_delay_alu instid0(VALU_DEP_2) | instskip(SKIP_2) | instid1(VALU_DEP_1)
	v_lshlrev_b64_e32 v[24:25], 2, v[26:27]
	v_dual_ashrrev_i32 v23, 31, v22 :: v_dual_ashrrev_i32 v21, 31, v20
	s_xor_b32 s21, s36, -1
                                        ; implicit-def: $sgpr20
                                        ; implicit-def: $sgpr23
                                        ; implicit-def: $sgpr22
	v_lshl_add_u64 v[22:23], v[22:23], 2, v[24:25]
	v_add_nc_u64_e32 v[24:25], s[14:15], v[24:25]
	s_delay_alu instid0(VALU_DEP_2) | instskip(NEXT) | instid1(VALU_DEP_2)
	v_add_nc_u64_e32 v[22:23], s[14:15], v[22:23]
	v_lshl_add_u64 v[20:21], v[20:21], 2, v[24:25]
	s_delay_alu instid0(VALU_DEP_2)
	v_add_nc_u64_e32 v[22:23], 4, v[22:23]
	s_branch .LBB114_118
.LBB114_117:                            ;   in Loop: Header=BB114_118 Depth=1
	s_or_b32 exec_lo, exec_lo, s24
	s_delay_alu instid0(SALU_CYCLE_1) | instskip(NEXT) | instid1(SALU_CYCLE_1)
	s_and_b32 s24, exec_lo, s23
	s_or_b32 s19, s24, s19
	s_and_not1_b32 s20, s20, exec_lo
	s_and_b32 s24, s22, exec_lo
	s_delay_alu instid0(SALU_CYCLE_1)
	s_or_b32 s20, s20, s24
	s_and_not1_b32 exec_lo, exec_lo, s19
	s_cbranch_execz .LBB114_125
.LBB114_118:                            ; =>This Inner Loop Header: Depth=1
	s_or_b32 s22, s22, exec_lo
	s_or_b32 s23, s23, exec_lo
	s_mov_b32 s24, exec_lo
	s_delay_alu instid0(VALU_DEP_1)
	v_cmpx_lt_u64_e64 v[22:23], v[20:21]
	s_cbranch_execz .LBB114_117
; %bb.119:                              ;   in Loop: Header=BB114_118 Depth=1
	global_load_b64 v[24:25], v[22:23], off offset:-4
	s_wait_xcnt 0x0
	v_add_nc_u64_e32 v[22:23], 4, v[22:23]
	s_and_not1_b32 s23, s23, exec_lo
	s_and_not1_b32 s22, s22, exec_lo
	s_wait_loadcnt 0x0
	v_cmp_ge_i32_e32 vcc_lo, v24, v25
	s_or_b32 s25, s21, vcc_lo
	s_delay_alu instid0(SALU_CYCLE_1) | instskip(NEXT) | instid1(SALU_CYCLE_1)
	s_and_b32 s25, s25, exec_lo
	s_or_b32 s23, s23, s25
	s_branch .LBB114_117
.LBB114_120:
	s_mov_b32 s34, s52
	s_mov_b32 s0, exec_lo
	v_cmpx_gt_i32_e64 v5, v9
	s_cbranch_execz .LBB114_174
; %bb.121:
	s_delay_alu instid0(VALU_DEP_2)
	v_lshlrev_b64_e32 v[2:3], 2, v[2:3]
	v_dual_mov_b32 v6, v9 :: v_dual_ashrrev_i32 v7, 31, v9
	s_wait_loadcnt 0x0
	v_dual_mov_b32 v10, v5 :: v_dual_ashrrev_i32 v11, 31, v5
	s_mov_b32 s34, 0
	s_xor_b32 s36, s49, -1
	s_delay_alu instid0(VALU_DEP_3) | instskip(SKIP_1) | instid1(VALU_DEP_2)
	v_lshl_add_u64 v[6:7], v[6:7], 2, v[2:3]
	v_add_nc_u64_e32 v[8:9], s[14:15], v[2:3]
                                        ; implicit-def: $sgpr35
                                        ; implicit-def: $sgpr38
                                        ; implicit-def: $sgpr37
	v_add_nc_u64_e32 v[6:7], s[14:15], v[6:7]
	s_delay_alu instid0(VALU_DEP_2) | instskip(NEXT) | instid1(VALU_DEP_2)
	v_lshl_add_u64 v[4:5], v[10:11], 2, v[8:9]
	v_add_nc_u64_e32 v[2:3], 4, v[6:7]
	s_branch .LBB114_123
.LBB114_122:                            ;   in Loop: Header=BB114_123 Depth=1
	s_or_b32 exec_lo, exec_lo, s39
	s_xor_b32 s39, s37, -1
	s_and_b32 s40, exec_lo, s38
	s_delay_alu instid0(SALU_CYCLE_1) | instskip(SKIP_2) | instid1(SALU_CYCLE_1)
	s_or_b32 s34, s40, s34
	s_and_not1_b32 s35, s35, exec_lo
	s_and_b32 s39, s39, exec_lo
	s_or_b32 s35, s35, s39
	s_and_not1_b32 exec_lo, exec_lo, s34
	s_cbranch_execz .LBB114_173
.LBB114_123:                            ; =>This Inner Loop Header: Depth=1
	s_or_b32 s37, s37, exec_lo
	s_or_b32 s38, s38, exec_lo
	s_mov_b32 s39, exec_lo
	s_delay_alu instid0(VALU_DEP_1)
	v_cmpx_lt_u64_e64 v[2:3], v[4:5]
	s_cbranch_execz .LBB114_122
; %bb.124:                              ;   in Loop: Header=BB114_123 Depth=1
	global_load_b64 v[6:7], v[2:3], off offset:-4
	s_wait_xcnt 0x0
	v_add_nc_u64_e32 v[2:3], 4, v[2:3]
	s_and_not1_b32 s38, s38, exec_lo
	s_and_not1_b32 s37, s37, exec_lo
	s_wait_loadcnt 0x0
	v_cmp_ge_i32_e32 vcc_lo, v6, v7
	s_or_b32 s40, s36, vcc_lo
	s_delay_alu instid0(SALU_CYCLE_1) | instskip(NEXT) | instid1(SALU_CYCLE_1)
	s_and_b32 s40, s40, exec_lo
	s_or_b32 s38, s38, s40
	s_branch .LBB114_122
.LBB114_125:
	s_or_b32 exec_lo, exec_lo, s19
	s_delay_alu instid0(SALU_CYCLE_1)
	s_mov_b32 s19, exec_lo
	s_or_not1_b32 s21, s20, exec_lo
.LBB114_126:
	s_or_b32 exec_lo, exec_lo, s1
	s_delay_alu instid0(SALU_CYCLE_1)
	s_and_b32 s20, s19, exec_lo
	s_xor_b32 s19, exec_lo, -1
	s_and_b32 s1, s21, exec_lo
.LBB114_127:
	s_or_b32 exec_lo, exec_lo, s43
	s_delay_alu instid0(SALU_CYCLE_1)
	s_and_b32 s21, s20, exec_lo
	s_and_b32 s20, s19, exec_lo
	s_xor_b32 s19, exec_lo, -1
	s_and_b32 s1, s1, exec_lo
.LBB114_128:
	s_or_b32 exec_lo, exec_lo, s41
	s_delay_alu instid0(SALU_CYCLE_1)
	s_and_b32 s22, s21, exec_lo
	s_and_b32 s21, s20, exec_lo
	;; [unrolled: 1-line block ×3, first 2 shown]
	s_xor_b32 s19, exec_lo, -1
	s_and_b32 s1, s1, exec_lo
.LBB114_129:
	s_or_b32 exec_lo, exec_lo, s40
	s_delay_alu instid0(SALU_CYCLE_1)
	s_and_b32 s41, s22, exec_lo
	s_and_b32 s43, s21, exec_lo
	s_and_b32 s44, s20, exec_lo
	s_and_b32 s46, s19, exec_lo
	s_or_not1_b32 s1, s1, exec_lo
.LBB114_130:
	s_or_b32 exec_lo, exec_lo, s9
	s_mov_b32 s9, 0
                                        ; implicit-def: $sgpr40
                                        ; implicit-def: $sgpr45
                                        ; implicit-def: $sgpr24
	s_and_saveexec_b32 s47, s1
	s_cbranch_execz .LBB114_142
; %bb.131:
	v_cmp_gt_i32_e64 s40, s5, v15
	s_mov_b32 s1, -1
	s_mov_b32 s52, 0
	s_mov_b32 s48, s46
	;; [unrolled: 1-line block ×4, first 2 shown]
	s_and_saveexec_b32 s45, s40
	s_cbranch_execz .LBB114_181
; %bb.132:
	s_wait_loadcnt 0x4
	v_cmp_eq_u32_e32 vcc_lo, s33, v19
	s_mov_b32 s19, -1
	s_mov_b32 s1, 0
	s_mov_b32 s21, s44
	;; [unrolled: 1-line block ×3, first 2 shown]
	s_and_b32 s23, s42, vcc_lo
	s_mov_b32 s20, 0
	s_and_saveexec_b32 s9, s23
	s_cbranch_execz .LBB114_180
; %bb.133:
	s_wait_loadcnt 0x3
	v_cmp_eq_u32_e32 vcc_lo, s6, v17
	s_mov_b32 s21, s43
	s_and_b32 s22, s39, vcc_lo
	s_delay_alu instid0(SALU_CYCLE_1)
	s_and_saveexec_b32 s48, s22
	s_cbranch_execz .LBB114_179
; %bb.134:
	s_wait_loadcnt 0x1
	v_sub_nc_u32_e32 v5, v14, v16
	s_delay_alu instid0(VALU_DEP_1)
	v_cmp_le_i32_e32 vcc_lo, s33, v5
	v_cmp_ge_i32_e64 s1, s4, v5
	s_and_b32 s20, vcc_lo, s1
	s_mov_b32 s1, 0
	s_and_b32 s21, s38, s20
	s_mov_b32 s20, 0
	s_and_saveexec_b32 s49, s21
	s_cbranch_execz .LBB114_178
; %bb.135:
	v_mov_b64_e32 v[20:21], 0
	s_and_not1_b32 vcc_lo, exec_lo, s37
	s_cbranch_vccnz .LBB114_168
; %bb.136:
	s_wait_loadcnt 0x0
	v_ashrrev_i32_e32 v19, 31, v18
	s_mov_b32 s21, 0
	v_mov_b64_e32 v[20:21], 0
	s_mov_b32 s19, s21
	s_mov_b64 s[22:23], 0xffffffff
	v_mul_u64_e32 v[22:23], s[6:7], v[18:19]
	v_mov_b32_e32 v18, 0
	s_lshl_b64 s[26:27], s[18:19], 3
	s_mov_b32 s19, s8
	s_add_nc_u64 s[24:25], s[10:11], s[26:27]
	s_add_nc_u64 s[26:27], s[12:13], s[26:27]
	s_branch .LBB114_138
.LBB114_137:                            ;   in Loop: Header=BB114_138 Depth=1
	s_or_b32 exec_lo, exec_lo, s1
	s_delay_alu instid0(VALU_DEP_1)
	v_mul_u64_e32 v[26:27], s[28:29], v[24:25]
	s_load_b64 s[28:29], s[26:27], 0x0
	s_add_co_i32 s19, s19, -1
	s_add_nc_u64 s[24:25], s[24:25], -8
	s_cmp_lg_u32 s19, 0
	s_wait_xcnt 0x0
	s_add_nc_u64 s[26:27], s[26:27], -8
	s_delay_alu instid0(VALU_DEP_1) | instskip(SKIP_1) | instid1(VALU_DEP_1)
	v_sub_nc_u64_e32 v[22:23], v[22:23], v[26:27]
	s_wait_kmcnt 0x0
	v_mad_nc_u64_u32 v[20:21], v22, s28, v[20:21]
	s_delay_alu instid0(VALU_DEP_1) | instskip(NEXT) | instid1(VALU_DEP_1)
	v_mad_u32 v5, v23, s28, v21
	v_mad_u32 v21, v22, s29, v5
	v_mov_b64_e32 v[22:23], v[24:25]
	s_cbranch_scc0 .LBB114_168
.LBB114_138:                            ; =>This Inner Loop Header: Depth=1
	s_load_b64 s[28:29], s[24:25], 0x0
                                        ; implicit-def: $vgpr24_vgpr25
	s_mov_b32 s1, exec_lo
	s_wait_kmcnt 0x0
	s_delay_alu instid0(VALU_DEP_1) | instskip(NEXT) | instid1(VALU_DEP_1)
	v_or_b32_e32 v19, s29, v23
	v_cmpx_ne_u64_e32 0, v[18:19]
	s_xor_b32 s50, exec_lo, s1
	s_cbranch_execz .LBB114_140
; %bb.139:                              ;   in Loop: Header=BB114_138 Depth=1
	s_ashr_i32 s30, s29, 31
	v_dual_mov_b32 v29, v18 :: v_dual_ashrrev_i32 v24, 31, v23
	s_mov_b32 s31, s30
	s_delay_alu instid0(SALU_CYCLE_1) | instskip(NEXT) | instid1(VALU_DEP_1)
	s_add_nc_u64 s[34:35], s[28:29], s[30:31]
	v_mov_b32_e32 v25, v24
	s_xor_b64 s[34:35], s[34:35], s[30:31]
	s_delay_alu instid0(SALU_CYCLE_1)
	s_cvt_f32_u32 s1, s34
	s_cvt_f32_u32 s20, s35
	s_sub_nc_u64 s[56:57], 0, s[34:35]
	v_add_nc_u64_e32 v[26:27], v[22:23], v[24:25]
	v_mov_b32_e32 v33, v18
	s_fmamk_f32 s1, s20, 0x4f800000, s1
	s_delay_alu instid0(SALU_CYCLE_3) | instskip(NEXT) | instid1(VALU_DEP_2)
	v_s_rcp_f32 s1, s1
	v_xor_b32_e32 v28, v26, v24
	s_delay_alu instid0(VALU_DEP_3) | instskip(NEXT) | instid1(TRANS32_DEP_1)
	v_dual_mov_b32 v37, v18 :: v_dual_bitop2_b32 v32, v27, v24 bitop3:0x14
	s_mul_f32 s1, s1, 0x5f7ffffc
	s_delay_alu instid0(SALU_CYCLE_3) | instskip(NEXT) | instid1(SALU_CYCLE_3)
	s_mul_f32 s20, s1, 0x2f800000
	s_trunc_f32 s20, s20
	s_delay_alu instid0(SALU_CYCLE_3) | instskip(SKIP_1) | instid1(SALU_CYCLE_2)
	s_fmamk_f32 s1, s20, 0xcf800000, s1
	s_cvt_u32_f32 s55, s20
	s_cvt_u32_f32 s54, s1
	s_delay_alu instid0(SALU_CYCLE_3) | instskip(NEXT) | instid1(SALU_CYCLE_1)
	s_mul_u64 s[58:59], s[56:57], s[54:55]
	s_mul_hi_u32 s61, s54, s59
	s_mul_i32 s60, s54, s59
	s_mul_hi_u32 s20, s54, s58
	s_mul_i32 s31, s55, s58
	s_add_nc_u64 s[60:61], s[20:21], s[60:61]
	s_mul_hi_u32 s1, s55, s58
	s_mul_hi_u32 s51, s55, s59
	s_add_co_u32 s20, s60, s31
	s_add_co_ci_u32 s20, s61, s1
	s_mul_i32 s58, s55, s59
	s_add_co_ci_u32 s59, s51, 0
	s_delay_alu instid0(SALU_CYCLE_1) | instskip(NEXT) | instid1(SALU_CYCLE_1)
	s_add_nc_u64 s[58:59], s[20:21], s[58:59]
	s_add_co_u32 s54, s54, s58
	s_cselect_b32 s1, -1, 0
	s_delay_alu instid0(SALU_CYCLE_1) | instskip(SKIP_1) | instid1(SALU_CYCLE_1)
	s_cmp_lg_u32 s1, 0
	s_add_co_ci_u32 s55, s55, s59
	s_mul_u64 s[56:57], s[56:57], s[54:55]
	s_delay_alu instid0(SALU_CYCLE_1)
	s_mul_hi_u32 s59, s54, s57
	s_mul_i32 s58, s54, s57
	s_mul_hi_u32 s20, s54, s56
	s_mul_i32 s31, s55, s56
	s_add_nc_u64 s[58:59], s[20:21], s[58:59]
	s_mul_hi_u32 s1, s55, s56
	s_mul_hi_u32 s51, s55, s57
	s_add_co_u32 s20, s58, s31
	s_add_co_ci_u32 s20, s59, s1
	s_mul_i32 s56, s55, s57
	s_add_co_ci_u32 s57, s51, 0
	s_delay_alu instid0(SALU_CYCLE_1) | instskip(NEXT) | instid1(SALU_CYCLE_1)
	s_add_nc_u64 s[56:57], s[20:21], s[56:57]
	s_add_co_u32 s54, s54, s56
	s_cselect_b32 s1, -1, 0
	v_mul_hi_u32 v36, v28, s54
	s_cmp_lg_u32 s1, 0
	s_add_co_ci_u32 s20, s55, s57
	s_and_b64 s[56:57], s[54:55], s[22:23]
	v_mul_u64_e32 v[30:31], s[20:21], v[28:29]
	v_mul_u64_e32 v[26:27], s[56:57], v[32:33]
	;; [unrolled: 1-line block ×3, first 2 shown]
	s_delay_alu instid0(VALU_DEP_3) | instskip(NEXT) | instid1(VALU_DEP_1)
	v_add_nc_u64_e32 v[30:31], v[36:37], v[30:31]
	v_add_co_u32 v5, vcc_lo, v30, v26
	s_delay_alu instid0(VALU_DEP_2) | instskip(NEXT) | instid1(VALU_DEP_4)
	v_add_co_ci_u32_e32 v36, vcc_lo, v31, v27, vcc_lo
	v_add_co_ci_u32_e32 v35, vcc_lo, 0, v35, vcc_lo
	s_delay_alu instid0(VALU_DEP_1) | instskip(NEXT) | instid1(VALU_DEP_1)
	v_add_nc_u64_e32 v[26:27], v[36:37], v[34:35]
	v_mul_u64_e32 v[30:31], s[34:35], v[26:27]
	s_delay_alu instid0(VALU_DEP_1) | instskip(NEXT) | instid1(VALU_DEP_2)
	v_sub_nc_u32_e32 v5, v32, v31
	v_sub_co_u32 v12, vcc_lo, v28, v30
	s_delay_alu instid0(VALU_DEP_1) | instskip(NEXT) | instid1(VALU_DEP_3)
	v_sub_co_ci_u32_e64 v17, null, v32, v31, vcc_lo
	v_subrev_co_ci_u32_e64 v5, null, s35, v5, vcc_lo
	s_delay_alu instid0(VALU_DEP_3) | instskip(SKIP_1) | instid1(VALU_DEP_3)
	v_sub_co_u32 v15, s1, v12, s34
	v_add_nc_u64_e32 v[28:29], 2, v[26:27]
	v_subrev_co_ci_u32_e64 v5, null, 0, v5, s1
	s_delay_alu instid0(VALU_DEP_3) | instskip(SKIP_2) | instid1(VALU_DEP_4)
	v_cmp_le_u32_e32 vcc_lo, s34, v15
	v_add_nc_u64_e32 v[30:31], 1, v[26:27]
	v_cndmask_b32_e64 v15, 0, -1, vcc_lo
	v_cmp_le_u32_e32 vcc_lo, s35, v5
	v_cndmask_b32_e64 v19, 0, -1, vcc_lo
	v_cmp_le_u32_e32 vcc_lo, s34, v12
	;; [unrolled: 2-line block ×3, first 2 shown]
	v_cndmask_b32_e64 v25, 0, -1, vcc_lo
	v_cmp_eq_u32_e32 vcc_lo, s35, v5
	v_cndmask_b32_e32 v5, v19, v15, vcc_lo
	v_cmp_eq_u32_e32 vcc_lo, s35, v17
	s_delay_alu instid0(VALU_DEP_4) | instskip(NEXT) | instid1(VALU_DEP_3)
	v_cndmask_b32_e32 v12, v25, v12, vcc_lo
	v_cmp_ne_u32_e32 vcc_lo, 0, v5
	s_delay_alu instid0(VALU_DEP_2) | instskip(SKIP_1) | instid1(VALU_DEP_1)
	v_cmp_ne_u32_e64 s1, 0, v12
	v_dual_cndmask_b32 v5, v31, v29 :: v_dual_cndmask_b32 v12, v30, v28
	v_dual_cndmask_b32 v5, v27, v5, s1 :: v_dual_bitop2_b32 v24, s30, v24 bitop3:0x14
	s_delay_alu instid0(VALU_DEP_1) | instskip(NEXT) | instid1(VALU_DEP_2)
	v_dual_cndmask_b32 v12, v26, v12, s1 :: v_dual_mov_b32 v25, v24
	v_xor_b32_e32 v27, v5, v24
	s_delay_alu instid0(VALU_DEP_2) | instskip(NEXT) | instid1(VALU_DEP_1)
	v_xor_b32_e32 v26, v12, v24
	v_sub_nc_u64_e32 v[24:25], v[26:27], v[24:25]
.LBB114_140:                            ;   in Loop: Header=BB114_138 Depth=1
	s_and_not1_saveexec_b32 s1, s50
	s_cbranch_execz .LBB114_137
; %bb.141:                              ;   in Loop: Header=BB114_138 Depth=1
	v_cvt_f32_u32_e32 v5, s28
	s_sub_co_i32 s20, 0, s28
	v_mov_b32_e32 v25, v18
	s_delay_alu instid0(VALU_DEP_2) | instskip(SKIP_1) | instid1(TRANS32_DEP_1)
	v_rcp_iflag_f32_e32 v5, v5
	v_nop
	v_mul_f32_e32 v5, 0x4f7ffffe, v5
	s_delay_alu instid0(VALU_DEP_1) | instskip(NEXT) | instid1(VALU_DEP_1)
	v_cvt_u32_f32_e32 v5, v5
	v_mul_lo_u32 v12, s20, v5
	s_delay_alu instid0(VALU_DEP_1) | instskip(NEXT) | instid1(VALU_DEP_1)
	v_mul_hi_u32 v12, v5, v12
	v_add_nc_u32_e32 v5, v5, v12
	s_delay_alu instid0(VALU_DEP_1) | instskip(NEXT) | instid1(VALU_DEP_1)
	v_mul_hi_u32 v5, v22, v5
	v_mul_lo_u32 v12, v5, s28
	s_delay_alu instid0(VALU_DEP_1) | instskip(NEXT) | instid1(VALU_DEP_1)
	v_dual_add_nc_u32 v15, 1, v5 :: v_dual_sub_nc_u32 v12, v22, v12
	v_subrev_nc_u32_e32 v17, s28, v12
	v_cmp_le_u32_e32 vcc_lo, s28, v12
	s_delay_alu instid0(VALU_DEP_2) | instskip(NEXT) | instid1(VALU_DEP_1)
	v_dual_cndmask_b32 v12, v12, v17 :: v_dual_cndmask_b32 v5, v5, v15
	v_cmp_le_u32_e32 vcc_lo, s28, v12
	s_delay_alu instid0(VALU_DEP_2) | instskip(NEXT) | instid1(VALU_DEP_1)
	v_add_nc_u32_e32 v15, 1, v5
	v_cndmask_b32_e32 v24, v5, v15, vcc_lo
	s_branch .LBB114_137
.LBB114_142:
	s_or_b32 exec_lo, exec_lo, s47
	s_and_saveexec_b32 s1, s46
	s_cbranch_execnz .LBB114_209
.LBB114_143:
	s_or_b32 exec_lo, exec_lo, s1
	s_mov_b32 s1, 0
	s_and_saveexec_b32 s5, s48
	s_delay_alu instid0(SALU_CYCLE_1)
	s_xor_b32 s5, exec_lo, s5
; %bb.144:
	v_cmp_ne_u32_e32 vcc_lo, s6, v1
	s_xor_b32 s19, s39, -1
	s_and_not1_b32 s20, s44, exec_lo
	s_mov_b32 s1, exec_lo
	s_or_b32 s19, s19, vcc_lo
	s_delay_alu instid0(SALU_CYCLE_1) | instskip(NEXT) | instid1(SALU_CYCLE_1)
	s_and_b32 s19, s19, exec_lo
	s_or_b32 s44, s20, s19
; %bb.145:
	s_or_b32 exec_lo, exec_lo, s5
	s_and_saveexec_b32 s5, s44
	s_cbranch_execnz .LBB114_211
.LBB114_146:
	s_or_b32 exec_lo, exec_lo, s5
	s_mov_b32 s5, 0
	s_and_saveexec_b32 s19, s1
	s_delay_alu instid0(SALU_CYCLE_1)
	s_xor_b32 s19, exec_lo, s19
	s_cbranch_execz .LBB114_151
; %bb.147:
	v_sub_nc_u32_e32 v1, v4, v2
	s_mov_b32 s5, exec_lo
	s_delay_alu instid0(VALU_DEP_1) | instskip(SKIP_3) | instid1(SALU_CYCLE_1)
	v_cmp_le_i32_e32 vcc_lo, s33, v1
	v_cmp_ge_i32_e64 s1, s4, v1
	s_and_not1_b32 s4, s43, exec_lo
	s_and_b32 s1, vcc_lo, s1
	s_and_b32 s1, s38, s1
	s_delay_alu instid0(SALU_CYCLE_1) | instskip(NEXT) | instid1(SALU_CYCLE_1)
	s_xor_b32 s1, s1, -1
	s_and_b32 s1, s1, exec_lo
	s_delay_alu instid0(SALU_CYCLE_1)
	s_or_b32 s43, s4, s1
	s_or_b32 exec_lo, exec_lo, s19
	s_and_saveexec_b32 s1, s43
	s_cbranch_execz .LBB114_152
.LBB114_148:
	s_or_b32 s3, s3, exec_lo
	s_and_not1_b32 s5, s5, exec_lo
	s_trap 2
	s_or_b32 exec_lo, exec_lo, s1
	s_and_saveexec_b32 s25, s5
	s_cbranch_execnz .LBB114_153
.LBB114_149:
	s_or_b32 exec_lo, exec_lo, s25
	s_and_saveexec_b32 s1, s41
	s_cbranch_execnz .LBB114_167
.LBB114_150:
	s_or_b32 exec_lo, exec_lo, s1
	s_and_saveexec_b32 s1, s3
	s_cbranch_execnz .LBB114_98
	s_branch .LBB114_99
.LBB114_151:
	s_or_b32 exec_lo, exec_lo, s19
	s_and_saveexec_b32 s1, s43
	s_cbranch_execnz .LBB114_148
.LBB114_152:
	s_or_b32 exec_lo, exec_lo, s1
	s_and_saveexec_b32 s25, s5
	s_cbranch_execz .LBB114_149
.LBB114_153:
	v_mov_b64_e32 v[8:9], 0
	s_and_not1_b32 vcc_lo, exec_lo, s37
	s_cbranch_vccnz .LBB114_160
; %bb.154:
	v_mul_u64_e32 v[10:11], s[6:7], v[6:7]
	v_mov_b64_e32 v[8:9], 0
	s_mov_b32 s19, 0
	v_mov_b32_e32 v6, 0
	s_lshl_b64 s[20:21], s[18:19], 3
	s_mov_b64 s[4:5], 0xffffffff
	s_add_nc_u64 s[6:7], s[10:11], s[20:21]
	s_add_nc_u64 s[10:11], s[12:13], s[20:21]
	s_branch .LBB114_156
.LBB114_155:                            ;   in Loop: Header=BB114_156 Depth=1
	s_or_b32 exec_lo, exec_lo, s1
	s_wait_loadcnt 0x1
	s_delay_alu instid0(VALU_DEP_1)
	v_mul_u64_e32 v[14:15], s[12:13], v[12:13]
	s_load_b64 s[12:13], s[10:11], 0x0
	s_add_co_i32 s8, s8, -1
	s_add_nc_u64 s[6:7], s[6:7], -8
	s_cmp_lg_u32 s8, 0
	s_wait_xcnt 0x0
	s_add_nc_u64 s[10:11], s[10:11], -8
	s_delay_alu instid0(VALU_DEP_1) | instskip(SKIP_1) | instid1(VALU_DEP_1)
	v_sub_nc_u64_e32 v[10:11], v[10:11], v[14:15]
	s_wait_kmcnt 0x0
	v_mad_nc_u64_u32 v[8:9], v10, s12, v[8:9]
	s_delay_alu instid0(VALU_DEP_1) | instskip(NEXT) | instid1(VALU_DEP_1)
	v_mad_u32 v1, v11, s12, v9
	v_mad_u32 v9, v10, s13, v1
	v_mov_b64_e32 v[10:11], v[12:13]
	s_cbranch_scc0 .LBB114_160
.LBB114_156:                            ; =>This Inner Loop Header: Depth=1
	s_load_b64 s[12:13], s[6:7], 0x0
                                        ; implicit-def: $vgpr12_vgpr13
	s_mov_b32 s1, exec_lo
	s_wait_kmcnt 0x0
	s_delay_alu instid0(VALU_DEP_1) | instskip(NEXT) | instid1(VALU_DEP_1)
	v_or_b32_e32 v7, s13, v11
	v_cmpx_ne_u64_e32 0, v[6:7]
	s_xor_b32 s26, exec_lo, s1
	s_cbranch_execz .LBB114_158
; %bb.157:                              ;   in Loop: Header=BB114_156 Depth=1
	s_ashr_i32 s20, s13, 31
	s_wait_loadcnt 0x3
	v_dual_mov_b32 v17, v6 :: v_dual_ashrrev_i32 v12, 31, v11
	s_mov_b32 s21, s20
	s_delay_alu instid0(SALU_CYCLE_1) | instskip(NEXT) | instid1(VALU_DEP_1)
	s_add_nc_u64 s[22:23], s[12:13], s[20:21]
	v_mov_b32_e32 v13, v12
	s_xor_b64 s[22:23], s[22:23], s[20:21]
	s_delay_alu instid0(SALU_CYCLE_1)
	s_cvt_f32_u32 s1, s22
	s_cvt_f32_u32 s18, s23
	s_sub_nc_u64 s[30:31], 0, s[22:23]
	s_wait_loadcnt 0x1
	v_add_nc_u64_e32 v[14:15], v[10:11], v[12:13]
	v_mov_b32_e32 v21, v6
	s_fmamk_f32 s1, s18, 0x4f800000, s1
	s_delay_alu instid0(SALU_CYCLE_3) | instskip(NEXT) | instid1(VALU_DEP_2)
	v_s_rcp_f32 s1, s1
	v_xor_b32_e32 v16, v14, v12
	s_delay_alu instid0(VALU_DEP_3) | instskip(NEXT) | instid1(TRANS32_DEP_1)
	v_dual_mov_b32 v25, v6 :: v_dual_bitop2_b32 v20, v15, v12 bitop3:0x14
	s_mul_f32 s1, s1, 0x5f7ffffc
	s_delay_alu instid0(SALU_CYCLE_3) | instskip(NEXT) | instid1(SALU_CYCLE_3)
	s_mul_f32 s18, s1, 0x2f800000
	s_trunc_f32 s18, s18
	s_delay_alu instid0(SALU_CYCLE_3) | instskip(SKIP_1) | instid1(SALU_CYCLE_2)
	s_fmamk_f32 s1, s18, 0xcf800000, s1
	s_cvt_u32_f32 s29, s18
	s_cvt_u32_f32 s28, s1
	s_delay_alu instid0(SALU_CYCLE_3) | instskip(NEXT) | instid1(SALU_CYCLE_1)
	s_mul_u64 s[34:35], s[30:31], s[28:29]
	s_mul_hi_u32 s39, s28, s35
	s_mul_i32 s38, s28, s35
	s_mul_hi_u32 s18, s28, s34
	s_mul_i32 s21, s29, s34
	s_add_nc_u64 s[38:39], s[18:19], s[38:39]
	s_mul_hi_u32 s1, s29, s34
	s_mul_hi_u32 s27, s29, s35
	s_add_co_u32 s18, s38, s21
	s_add_co_ci_u32 s18, s39, s1
	s_mul_i32 s34, s29, s35
	s_add_co_ci_u32 s35, s27, 0
	s_delay_alu instid0(SALU_CYCLE_1) | instskip(NEXT) | instid1(SALU_CYCLE_1)
	s_add_nc_u64 s[34:35], s[18:19], s[34:35]
	s_add_co_u32 s28, s28, s34
	s_cselect_b32 s1, -1, 0
	s_delay_alu instid0(SALU_CYCLE_1) | instskip(SKIP_1) | instid1(SALU_CYCLE_1)
	s_cmp_lg_u32 s1, 0
	s_add_co_ci_u32 s29, s29, s35
	s_mul_u64 s[30:31], s[30:31], s[28:29]
	s_delay_alu instid0(SALU_CYCLE_1)
	s_mul_hi_u32 s35, s28, s31
	s_mul_i32 s34, s28, s31
	s_mul_hi_u32 s18, s28, s30
	s_mul_i32 s21, s29, s30
	s_add_nc_u64 s[34:35], s[18:19], s[34:35]
	s_mul_hi_u32 s1, s29, s30
	s_mul_hi_u32 s27, s29, s31
	s_add_co_u32 s18, s34, s21
	s_add_co_ci_u32 s18, s35, s1
	s_mul_i32 s30, s29, s31
	s_add_co_ci_u32 s31, s27, 0
	s_delay_alu instid0(SALU_CYCLE_1) | instskip(NEXT) | instid1(SALU_CYCLE_1)
	s_add_nc_u64 s[30:31], s[18:19], s[30:31]
	s_add_co_u32 s28, s28, s30
	s_cselect_b32 s1, -1, 0
	s_wait_loadcnt 0x0
	v_mul_hi_u32 v24, v16, s28
	s_cmp_lg_u32 s1, 0
	s_add_co_ci_u32 s18, s29, s31
	s_and_b64 s[30:31], s[28:29], s[4:5]
	v_mul_u64_e32 v[18:19], s[18:19], v[16:17]
	v_mul_u64_e32 v[14:15], s[30:31], v[20:21]
	;; [unrolled: 1-line block ×3, first 2 shown]
	s_delay_alu instid0(VALU_DEP_3) | instskip(NEXT) | instid1(VALU_DEP_1)
	v_add_nc_u64_e32 v[18:19], v[24:25], v[18:19]
	v_add_co_u32 v1, vcc_lo, v18, v14
	s_delay_alu instid0(VALU_DEP_2) | instskip(NEXT) | instid1(VALU_DEP_4)
	v_add_co_ci_u32_e32 v24, vcc_lo, v19, v15, vcc_lo
	v_add_co_ci_u32_e32 v23, vcc_lo, 0, v23, vcc_lo
	s_delay_alu instid0(VALU_DEP_1) | instskip(NEXT) | instid1(VALU_DEP_1)
	v_add_nc_u64_e32 v[14:15], v[24:25], v[22:23]
	v_mul_u64_e32 v[18:19], s[22:23], v[14:15]
	s_delay_alu instid0(VALU_DEP_1) | instskip(NEXT) | instid1(VALU_DEP_2)
	v_sub_nc_u32_e32 v1, v20, v19
	v_sub_co_u32 v3, vcc_lo, v16, v18
	s_delay_alu instid0(VALU_DEP_1) | instskip(NEXT) | instid1(VALU_DEP_3)
	v_sub_co_ci_u32_e64 v7, null, v20, v19, vcc_lo
	v_subrev_co_ci_u32_e64 v1, null, s23, v1, vcc_lo
	s_delay_alu instid0(VALU_DEP_3) | instskip(SKIP_1) | instid1(VALU_DEP_3)
	v_sub_co_u32 v5, s1, v3, s22
	v_add_nc_u64_e32 v[16:17], 2, v[14:15]
	v_subrev_co_ci_u32_e64 v1, null, 0, v1, s1
	s_delay_alu instid0(VALU_DEP_3) | instskip(SKIP_2) | instid1(VALU_DEP_4)
	v_cmp_le_u32_e32 vcc_lo, s22, v5
	v_add_nc_u64_e32 v[18:19], 1, v[14:15]
	v_cndmask_b32_e64 v5, 0, -1, vcc_lo
	v_cmp_le_u32_e32 vcc_lo, s23, v1
	v_cndmask_b32_e64 v13, 0, -1, vcc_lo
	v_cmp_le_u32_e32 vcc_lo, s22, v3
	;; [unrolled: 2-line block ×3, first 2 shown]
	v_cndmask_b32_e64 v20, 0, -1, vcc_lo
	v_cmp_eq_u32_e32 vcc_lo, s23, v1
	v_cndmask_b32_e32 v1, v13, v5, vcc_lo
	v_cmp_eq_u32_e32 vcc_lo, s23, v7
	s_delay_alu instid0(VALU_DEP_4) | instskip(NEXT) | instid1(VALU_DEP_3)
	v_cndmask_b32_e32 v3, v20, v3, vcc_lo
	v_cmp_ne_u32_e32 vcc_lo, 0, v1
	s_delay_alu instid0(VALU_DEP_2) | instskip(SKIP_1) | instid1(VALU_DEP_1)
	v_cmp_ne_u32_e64 s1, 0, v3
	v_dual_cndmask_b32 v1, v19, v17, vcc_lo :: v_dual_cndmask_b32 v3, v18, v16, vcc_lo
	v_dual_cndmask_b32 v1, v15, v1, s1 :: v_dual_bitop2_b32 v12, s20, v12 bitop3:0x14
	s_delay_alu instid0(VALU_DEP_1) | instskip(NEXT) | instid1(VALU_DEP_2)
	v_dual_cndmask_b32 v3, v14, v3, s1 :: v_dual_mov_b32 v13, v12
	v_xor_b32_e32 v15, v1, v12
	s_delay_alu instid0(VALU_DEP_2) | instskip(NEXT) | instid1(VALU_DEP_1)
	v_xor_b32_e32 v14, v3, v12
	v_sub_nc_u64_e32 v[12:13], v[14:15], v[12:13]
.LBB114_158:                            ;   in Loop: Header=BB114_156 Depth=1
	s_and_not1_saveexec_b32 s1, s26
	s_cbranch_execz .LBB114_155
; %bb.159:                              ;   in Loop: Header=BB114_156 Depth=1
	v_cvt_f32_u32_e32 v1, s12
	s_sub_co_i32 s18, 0, s12
	v_mov_b32_e32 v13, v6
	s_delay_alu instid0(VALU_DEP_2) | instskip(SKIP_1) | instid1(TRANS32_DEP_1)
	v_rcp_iflag_f32_e32 v1, v1
	v_nop
	v_mul_f32_e32 v1, 0x4f7ffffe, v1
	s_delay_alu instid0(VALU_DEP_1) | instskip(NEXT) | instid1(VALU_DEP_1)
	v_cvt_u32_f32_e32 v1, v1
	v_mul_lo_u32 v3, s18, v1
	s_delay_alu instid0(VALU_DEP_1) | instskip(NEXT) | instid1(VALU_DEP_1)
	v_mul_hi_u32 v3, v1, v3
	v_add_nc_u32_e32 v1, v1, v3
	s_delay_alu instid0(VALU_DEP_1) | instskip(NEXT) | instid1(VALU_DEP_1)
	v_mul_hi_u32 v1, v10, v1
	v_mul_lo_u32 v3, v1, s12
	s_delay_alu instid0(VALU_DEP_1) | instskip(NEXT) | instid1(VALU_DEP_1)
	v_sub_nc_u32_e32 v3, v10, v3
	v_subrev_nc_u32_e32 v7, s12, v3
	v_cmp_le_u32_e32 vcc_lo, s12, v3
	s_delay_alu instid0(VALU_DEP_2) | instskip(NEXT) | instid1(VALU_DEP_1)
	v_dual_add_nc_u32 v5, 1, v1 :: v_dual_cndmask_b32 v3, v3, v7, vcc_lo
	v_cndmask_b32_e32 v1, v1, v5, vcc_lo
	s_delay_alu instid0(VALU_DEP_2) | instskip(NEXT) | instid1(VALU_DEP_2)
	v_cmp_le_u32_e32 vcc_lo, s12, v3
	v_add_nc_u32_e32 v5, 1, v1
	s_delay_alu instid0(VALU_DEP_1)
	v_cndmask_b32_e32 v12, v1, v5, vcc_lo
	s_branch .LBB114_155
.LBB114_160:
	s_mov_b32 s4, s41
	s_mov_b32 s1, exec_lo
	v_cmpx_gt_i32_e64 v4, v2
	s_cbranch_execz .LBB114_166
; %bb.161:
	s_delay_alu instid0(VALU_DEP_2) | instskip(SKIP_3) | instid1(VALU_DEP_1)
	v_lshlrev_b64_e32 v[6:7], 2, v[8:9]
	v_dual_ashrrev_i32 v3, 31, v2 :: v_dual_ashrrev_i32 v5, 31, v4
	s_mov_b32 s4, 0
	s_xor_b32 s6, s36, -1
                                        ; implicit-def: $sgpr5
                                        ; implicit-def: $sgpr8
                                        ; implicit-def: $sgpr7
	v_lshl_add_u64 v[2:3], v[2:3], 2, v[6:7]
	v_add_nc_u64_e32 v[6:7], s[14:15], v[6:7]
	s_delay_alu instid0(VALU_DEP_2) | instskip(NEXT) | instid1(VALU_DEP_2)
	v_add_nc_u64_e32 v[2:3], s[14:15], v[2:3]
	v_lshl_add_u64 v[4:5], v[4:5], 2, v[6:7]
	s_delay_alu instid0(VALU_DEP_2)
	v_add_nc_u64_e32 v[2:3], 4, v[2:3]
	s_branch .LBB114_163
.LBB114_162:                            ;   in Loop: Header=BB114_163 Depth=1
	s_or_b32 exec_lo, exec_lo, s10
	s_xor_b32 s10, s7, -1
	s_and_b32 s11, exec_lo, s8
	s_delay_alu instid0(SALU_CYCLE_1) | instskip(SKIP_2) | instid1(SALU_CYCLE_1)
	s_or_b32 s4, s11, s4
	s_and_not1_b32 s5, s5, exec_lo
	s_and_b32 s10, s10, exec_lo
	s_or_b32 s5, s5, s10
	s_and_not1_b32 exec_lo, exec_lo, s4
	s_cbranch_execz .LBB114_165
.LBB114_163:                            ; =>This Inner Loop Header: Depth=1
	s_or_b32 s7, s7, exec_lo
	s_or_b32 s8, s8, exec_lo
	s_mov_b32 s10, exec_lo
	s_delay_alu instid0(VALU_DEP_1)
	v_cmpx_lt_u64_e64 v[2:3], v[4:5]
	s_cbranch_execz .LBB114_162
; %bb.164:                              ;   in Loop: Header=BB114_163 Depth=1
	global_load_b64 v[6:7], v[2:3], off offset:-4
	s_wait_xcnt 0x0
	v_add_nc_u64_e32 v[2:3], 4, v[2:3]
	s_and_not1_b32 s8, s8, exec_lo
	s_and_not1_b32 s7, s7, exec_lo
	s_wait_loadcnt 0x0
	v_cmp_ge_i32_e32 vcc_lo, v6, v7
	s_or_b32 s11, s6, vcc_lo
	s_delay_alu instid0(SALU_CYCLE_1) | instskip(NEXT) | instid1(SALU_CYCLE_1)
	s_and_b32 s11, s11, exec_lo
	s_or_b32 s8, s8, s11
	s_branch .LBB114_162
.LBB114_165:
	s_or_b32 exec_lo, exec_lo, s4
	s_delay_alu instid0(SALU_CYCLE_1) | instskip(SKIP_1) | instid1(SALU_CYCLE_1)
	s_and_not1_b32 s4, s41, exec_lo
	s_and_b32 s5, s5, exec_lo
	s_or_b32 s4, s4, s5
.LBB114_166:
	s_or_b32 exec_lo, exec_lo, s1
	s_delay_alu instid0(SALU_CYCLE_1)
	s_and_not1_b32 s1, s41, exec_lo
	s_and_b32 s4, s4, exec_lo
	s_or_b32 s9, s9, exec_lo
	s_or_b32 s41, s1, s4
	s_or_b32 exec_lo, exec_lo, s25
	s_and_saveexec_b32 s1, s41
	s_cbranch_execz .LBB114_150
.LBB114_167:
	s_and_not1_b32 s9, s9, exec_lo
	s_or_b32 s3, s3, exec_lo
	s_trap 2
	s_or_b32 exec_lo, exec_lo, s1
	s_and_saveexec_b32 s1, s3
	s_cbranch_execnz .LBB114_98
	s_branch .LBB114_99
.LBB114_168:
	s_mov_b32 s21, -1
	s_mov_b32 s19, 0
	s_mov_b32 s1, exec_lo
	v_cmpx_gt_i32_e64 v14, v16
	s_cbranch_execz .LBB114_177
; %bb.169:
	s_wait_loadcnt 0x0
	s_delay_alu instid0(VALU_DEP_2) | instskip(SKIP_2) | instid1(VALU_DEP_1)
	v_lshlrev_b64_e32 v[18:19], 2, v[20:21]
	v_dual_ashrrev_i32 v17, 31, v16 :: v_dual_ashrrev_i32 v15, 31, v14
	s_xor_b32 s21, s36, -1
                                        ; implicit-def: $sgpr20
                                        ; implicit-def: $sgpr23
                                        ; implicit-def: $sgpr22
	v_lshl_add_u64 v[16:17], v[16:17], 2, v[18:19]
	v_add_nc_u64_e32 v[18:19], s[14:15], v[18:19]
	s_delay_alu instid0(VALU_DEP_2) | instskip(NEXT) | instid1(VALU_DEP_2)
	v_add_nc_u64_e32 v[16:17], s[14:15], v[16:17]
	v_lshl_add_u64 v[14:15], v[14:15], 2, v[18:19]
	s_delay_alu instid0(VALU_DEP_2)
	v_add_nc_u64_e32 v[16:17], 4, v[16:17]
	s_branch .LBB114_171
.LBB114_170:                            ;   in Loop: Header=BB114_171 Depth=1
	s_or_b32 exec_lo, exec_lo, s24
	s_delay_alu instid0(SALU_CYCLE_1) | instskip(NEXT) | instid1(SALU_CYCLE_1)
	s_and_b32 s24, exec_lo, s23
	s_or_b32 s19, s24, s19
	s_and_not1_b32 s20, s20, exec_lo
	s_and_b32 s24, s22, exec_lo
	s_delay_alu instid0(SALU_CYCLE_1)
	s_or_b32 s20, s20, s24
	s_and_not1_b32 exec_lo, exec_lo, s19
	s_cbranch_execz .LBB114_176
.LBB114_171:                            ; =>This Inner Loop Header: Depth=1
	s_or_b32 s22, s22, exec_lo
	s_or_b32 s23, s23, exec_lo
	s_mov_b32 s24, exec_lo
	s_delay_alu instid0(VALU_DEP_1)
	v_cmpx_lt_u64_e64 v[16:17], v[14:15]
	s_cbranch_execz .LBB114_170
; %bb.172:                              ;   in Loop: Header=BB114_171 Depth=1
	global_load_b64 v[18:19], v[16:17], off offset:-4
	s_wait_xcnt 0x0
	v_add_nc_u64_e32 v[16:17], 4, v[16:17]
	s_and_not1_b32 s23, s23, exec_lo
	s_and_not1_b32 s22, s22, exec_lo
	s_wait_loadcnt 0x0
	v_cmp_ge_i32_e32 vcc_lo, v18, v19
	s_or_b32 s25, s21, vcc_lo
	s_delay_alu instid0(SALU_CYCLE_1) | instskip(NEXT) | instid1(SALU_CYCLE_1)
	s_and_b32 s25, s25, exec_lo
	s_or_b32 s23, s23, s25
	s_branch .LBB114_170
.LBB114_173:
	s_or_b32 exec_lo, exec_lo, s34
	s_delay_alu instid0(SALU_CYCLE_1) | instskip(SKIP_1) | instid1(SALU_CYCLE_1)
	s_and_not1_b32 s34, s52, exec_lo
	s_and_b32 s35, s35, exec_lo
	s_or_b32 s34, s34, s35
.LBB114_174:
	s_or_b32 exec_lo, exec_lo, s0
	s_delay_alu instid0(SALU_CYCLE_1)
	s_and_not1_b32 s35, s52, exec_lo
	s_and_b32 s34, s34, exec_lo
	s_mov_b32 s0, exec_lo
	s_or_b32 s52, s35, s34
	s_or_b32 exec_lo, exec_lo, s51
	s_and_saveexec_b32 s34, s52
	s_cbranch_execz .LBB114_71
.LBB114_175:
	s_or_b32 s3, s3, exec_lo
	s_and_not1_b32 s0, s0, exec_lo
	s_trap 2
	s_or_b32 exec_lo, exec_lo, s34
	s_and_saveexec_b32 s34, s0
	s_delay_alu instid0(SALU_CYCLE_1)
	s_xor_b32 s0, exec_lo, s34
	s_cbranch_execnz .LBB114_72
	s_branch .LBB114_73
.LBB114_176:
	s_or_b32 exec_lo, exec_lo, s19
	s_delay_alu instid0(SALU_CYCLE_1)
	s_mov_b32 s19, exec_lo
	s_or_not1_b32 s21, s20, exec_lo
.LBB114_177:
	s_or_b32 exec_lo, exec_lo, s1
	s_delay_alu instid0(SALU_CYCLE_1)
	s_and_b32 s20, s19, exec_lo
	s_xor_b32 s19, exec_lo, -1
	s_and_b32 s1, s21, exec_lo
.LBB114_178:
	s_or_b32 exec_lo, exec_lo, s49
	s_delay_alu instid0(SALU_CYCLE_1)
	s_and_not1_b32 s21, s43, exec_lo
	s_and_b32 s19, s19, exec_lo
	s_and_b32 s20, s20, exec_lo
	s_or_b32 s21, s21, s19
	s_xor_b32 s19, exec_lo, -1
	s_and_b32 s1, s1, exec_lo
.LBB114_179:
	s_or_b32 exec_lo, exec_lo, s48
	s_delay_alu instid0(SALU_CYCLE_1)
	s_and_not1_b32 s22, s43, exec_lo
	s_and_b32 s21, s21, exec_lo
	s_and_not1_b32 s23, s44, exec_lo
	s_and_b32 s19, s19, exec_lo
	s_and_b32 s20, s20, exec_lo
	s_or_b32 s22, s22, s21
	s_or_b32 s21, s23, s19
	s_xor_b32 s19, exec_lo, -1
	s_and_b32 s1, s1, exec_lo
.LBB114_180:
	s_or_b32 exec_lo, exec_lo, s9
	s_delay_alu instid0(SALU_CYCLE_1)
	s_and_not1_b32 s23, s43, exec_lo
	s_and_b32 s22, s22, exec_lo
	s_and_b32 s9, s20, exec_lo
	s_or_b32 s49, s23, s22
	s_and_not1_b32 s20, s44, exec_lo
	s_and_b32 s21, s21, exec_lo
	s_and_not1_b32 s22, s46, exec_lo
	s_and_b32 s19, s19, exec_lo
	s_or_b32 s50, s20, s21
	s_or_b32 s48, s22, s19
	s_or_not1_b32 s1, s1, exec_lo
.LBB114_181:
	s_or_b32 exec_lo, exec_lo, s45
	s_mov_b32 s21, 0
                                        ; implicit-def: $sgpr45
                                        ; implicit-def: $sgpr24
	s_and_saveexec_b32 s51, s1
	s_cbranch_execz .LBB114_208
; %bb.182:
	v_or_b32_e32 v5, 0x200, v0
	s_mov_b32 s25, -1
	s_mov_b32 s52, 0
	s_mov_b32 s1, s48
	;; [unrolled: 1-line block ×3, first 2 shown]
	v_cmp_gt_i32_e64 s45, s5, v5
	s_mov_b32 s19, s49
	s_and_saveexec_b32 s53, s45
	s_cbranch_execz .LBB114_203
; %bb.183:
	v_cmp_eq_u32_e32 vcc_lo, s33, v11
	s_mov_b32 s1, -1
	s_mov_b32 s22, 0
	s_mov_b32 s23, s50
	;; [unrolled: 1-line block ×3, first 2 shown]
	s_and_b32 s20, s42, vcc_lo
	s_mov_b32 s19, 0
	s_and_saveexec_b32 s54, s20
	s_cbranch_execz .LBB114_202
; %bb.184:
	v_cmp_eq_u32_e32 vcc_lo, s6, v9
	s_mov_b32 s20, 0
	s_mov_b32 s21, s49
	s_and_b32 s19, s39, vcc_lo
	s_delay_alu instid0(SALU_CYCLE_1)
	s_and_saveexec_b32 s55, s19
	s_cbranch_execz .LBB114_201
; %bb.185:
	v_sub_nc_u32_e32 v5, v8, v10
	s_mov_b32 s20, -1
	s_mov_b32 s19, 0
	s_delay_alu instid0(VALU_DEP_1) | instskip(SKIP_2) | instid1(SALU_CYCLE_1)
	v_cmp_le_i32_e32 vcc_lo, s33, v5
	v_cmp_ge_i32_e64 s1, s4, v5
	s_and_b32 s1, vcc_lo, s1
	s_and_b32 s21, s38, s1
	s_mov_b32 s1, 0
	s_and_saveexec_b32 s56, s21
	s_cbranch_execz .LBB114_200
; %bb.186:
	s_wait_loadcnt 0x1
	v_mov_b64_e32 v[14:15], 0
	s_and_not1_b32 vcc_lo, exec_lo, s37
	s_cbranch_vccnz .LBB114_193
; %bb.187:
	v_dual_mov_b32 v14, v13 :: v_dual_ashrrev_i32 v15, 31, v13
	s_mov_b32 s21, 0
	v_mov_b32_e32 v12, 0
	s_mov_b32 s19, s21
	s_mov_b64 s[22:23], 0xffffffff
	v_mul_u64_e32 v[16:17], s[6:7], v[14:15]
	v_mov_b64_e32 v[14:15], 0
	s_lshl_b64 s[26:27], s[18:19], 3
	s_mov_b32 s19, s8
	s_add_nc_u64 s[24:25], s[10:11], s[26:27]
	s_add_nc_u64 s[26:27], s[12:13], s[26:27]
	s_branch .LBB114_189
.LBB114_188:                            ;   in Loop: Header=BB114_189 Depth=1
	s_or_b32 exec_lo, exec_lo, s1
	s_wait_loadcnt 0x0
	s_delay_alu instid0(VALU_DEP_1)
	v_mul_u64_e32 v[20:21], s[28:29], v[18:19]
	s_load_b64 s[28:29], s[26:27], 0x0
	s_add_co_i32 s19, s19, -1
	s_add_nc_u64 s[24:25], s[24:25], -8
	s_cmp_lg_u32 s19, 0
	s_wait_xcnt 0x0
	s_add_nc_u64 s[26:27], s[26:27], -8
	s_delay_alu instid0(VALU_DEP_1) | instskip(SKIP_1) | instid1(VALU_DEP_1)
	v_sub_nc_u64_e32 v[16:17], v[16:17], v[20:21]
	s_wait_kmcnt 0x0
	v_mad_nc_u64_u32 v[14:15], v16, s28, v[14:15]
	s_delay_alu instid0(VALU_DEP_1) | instskip(NEXT) | instid1(VALU_DEP_1)
	v_mad_u32 v5, v17, s28, v15
	v_mad_u32 v15, v16, s29, v5
	v_mov_b64_e32 v[16:17], v[18:19]
	s_cbranch_scc0 .LBB114_193
.LBB114_189:                            ; =>This Inner Loop Header: Depth=1
	s_load_b64 s[28:29], s[24:25], 0x0
                                        ; implicit-def: $vgpr18_vgpr19
	s_mov_b32 s1, exec_lo
	s_wait_kmcnt 0x0
	s_delay_alu instid0(VALU_DEP_1) | instskip(NEXT) | instid1(VALU_DEP_1)
	v_or_b32_e32 v13, s29, v17
	v_cmpx_ne_u64_e32 0, v[12:13]
	s_xor_b32 s57, exec_lo, s1
	s_cbranch_execz .LBB114_191
; %bb.190:                              ;   in Loop: Header=BB114_189 Depth=1
	s_ashr_i32 s30, s29, 31
	s_wait_loadcnt 0x0
	v_dual_mov_b32 v23, v12 :: v_dual_ashrrev_i32 v18, 31, v17
	s_mov_b32 s31, s30
	s_delay_alu instid0(SALU_CYCLE_1) | instskip(NEXT) | instid1(VALU_DEP_1)
	s_add_nc_u64 s[34:35], s[28:29], s[30:31]
	v_mov_b32_e32 v19, v18
	s_xor_b64 s[34:35], s[34:35], s[30:31]
	s_delay_alu instid0(SALU_CYCLE_1)
	s_cvt_f32_u32 s1, s34
	s_cvt_f32_u32 s20, s35
	s_sub_nc_u64 s[60:61], 0, s[34:35]
	v_add_nc_u64_e32 v[20:21], v[16:17], v[18:19]
	v_mov_b32_e32 v27, v12
	s_fmamk_f32 s1, s20, 0x4f800000, s1
	s_delay_alu instid0(SALU_CYCLE_3) | instskip(NEXT) | instid1(VALU_DEP_2)
	v_s_rcp_f32 s1, s1
	v_xor_b32_e32 v22, v20, v18
	s_delay_alu instid0(VALU_DEP_3) | instskip(NEXT) | instid1(TRANS32_DEP_1)
	v_dual_mov_b32 v31, v12 :: v_dual_bitop2_b32 v26, v21, v18 bitop3:0x14
	s_mul_f32 s1, s1, 0x5f7ffffc
	s_delay_alu instid0(SALU_CYCLE_3) | instskip(NEXT) | instid1(SALU_CYCLE_3)
	s_mul_f32 s20, s1, 0x2f800000
	s_trunc_f32 s20, s20
	s_delay_alu instid0(SALU_CYCLE_3) | instskip(SKIP_1) | instid1(SALU_CYCLE_2)
	s_fmamk_f32 s1, s20, 0xcf800000, s1
	s_cvt_u32_f32 s59, s20
	s_cvt_u32_f32 s58, s1
	s_delay_alu instid0(SALU_CYCLE_3) | instskip(NEXT) | instid1(SALU_CYCLE_1)
	s_mul_u64 s[62:63], s[60:61], s[58:59]
	s_mul_hi_u32 s65, s58, s63
	s_mul_i32 s64, s58, s63
	s_mul_hi_u32 s20, s58, s62
	s_mul_i32 s31, s59, s62
	s_add_nc_u64 s[64:65], s[20:21], s[64:65]
	s_mul_hi_u32 s1, s59, s62
	s_mul_hi_u32 s66, s59, s63
	s_add_co_u32 s20, s64, s31
	s_add_co_ci_u32 s20, s65, s1
	s_mul_i32 s62, s59, s63
	s_add_co_ci_u32 s63, s66, 0
	s_delay_alu instid0(SALU_CYCLE_1) | instskip(NEXT) | instid1(SALU_CYCLE_1)
	s_add_nc_u64 s[62:63], s[20:21], s[62:63]
	s_add_co_u32 s58, s58, s62
	s_cselect_b32 s1, -1, 0
	s_delay_alu instid0(SALU_CYCLE_1) | instskip(SKIP_1) | instid1(SALU_CYCLE_1)
	s_cmp_lg_u32 s1, 0
	s_add_co_ci_u32 s59, s59, s63
	s_mul_u64 s[60:61], s[60:61], s[58:59]
	s_delay_alu instid0(SALU_CYCLE_1)
	s_mul_hi_u32 s63, s58, s61
	s_mul_i32 s62, s58, s61
	s_mul_hi_u32 s20, s58, s60
	s_mul_i32 s31, s59, s60
	s_add_nc_u64 s[62:63], s[20:21], s[62:63]
	s_mul_hi_u32 s1, s59, s60
	s_mul_hi_u32 s64, s59, s61
	s_add_co_u32 s20, s62, s31
	s_add_co_ci_u32 s20, s63, s1
	s_mul_i32 s60, s59, s61
	s_add_co_ci_u32 s61, s64, 0
	s_delay_alu instid0(SALU_CYCLE_1) | instskip(NEXT) | instid1(SALU_CYCLE_1)
	s_add_nc_u64 s[60:61], s[20:21], s[60:61]
	s_add_co_u32 s58, s58, s60
	s_cselect_b32 s1, -1, 0
	v_mul_hi_u32 v30, v22, s58
	s_cmp_lg_u32 s1, 0
	s_add_co_ci_u32 s20, s59, s61
	s_and_b64 s[60:61], s[58:59], s[22:23]
	v_mul_u64_e32 v[24:25], s[20:21], v[22:23]
	v_mul_u64_e32 v[20:21], s[60:61], v[26:27]
	;; [unrolled: 1-line block ×3, first 2 shown]
	s_delay_alu instid0(VALU_DEP_3) | instskip(NEXT) | instid1(VALU_DEP_1)
	v_add_nc_u64_e32 v[24:25], v[30:31], v[24:25]
	v_add_co_u32 v5, vcc_lo, v24, v20
	s_delay_alu instid0(VALU_DEP_2) | instskip(NEXT) | instid1(VALU_DEP_4)
	v_add_co_ci_u32_e32 v30, vcc_lo, v25, v21, vcc_lo
	v_add_co_ci_u32_e32 v29, vcc_lo, 0, v29, vcc_lo
	s_delay_alu instid0(VALU_DEP_1) | instskip(NEXT) | instid1(VALU_DEP_1)
	v_add_nc_u64_e32 v[20:21], v[30:31], v[28:29]
	v_mul_u64_e32 v[24:25], s[34:35], v[20:21]
	s_delay_alu instid0(VALU_DEP_1) | instskip(NEXT) | instid1(VALU_DEP_2)
	v_sub_nc_u32_e32 v5, v26, v25
	v_sub_co_u32 v9, vcc_lo, v22, v24
	s_delay_alu instid0(VALU_DEP_1) | instskip(NEXT) | instid1(VALU_DEP_3)
	v_sub_co_ci_u32_e64 v13, null, v26, v25, vcc_lo
	v_subrev_co_ci_u32_e64 v5, null, s35, v5, vcc_lo
	s_delay_alu instid0(VALU_DEP_3) | instskip(SKIP_1) | instid1(VALU_DEP_3)
	v_sub_co_u32 v11, s1, v9, s34
	v_add_nc_u64_e32 v[22:23], 2, v[20:21]
	v_subrev_co_ci_u32_e64 v5, null, 0, v5, s1
	s_delay_alu instid0(VALU_DEP_3) | instskip(SKIP_2) | instid1(VALU_DEP_4)
	v_cmp_le_u32_e32 vcc_lo, s34, v11
	v_add_nc_u64_e32 v[24:25], 1, v[20:21]
	v_cndmask_b32_e64 v11, 0, -1, vcc_lo
	v_cmp_le_u32_e32 vcc_lo, s35, v5
	v_cndmask_b32_e64 v19, 0, -1, vcc_lo
	v_cmp_le_u32_e32 vcc_lo, s34, v9
	;; [unrolled: 2-line block ×3, first 2 shown]
	v_cndmask_b32_e64 v26, 0, -1, vcc_lo
	v_cmp_eq_u32_e32 vcc_lo, s35, v5
	v_cndmask_b32_e32 v5, v19, v11, vcc_lo
	v_cmp_eq_u32_e32 vcc_lo, s35, v13
	s_delay_alu instid0(VALU_DEP_4) | instskip(NEXT) | instid1(VALU_DEP_3)
	v_cndmask_b32_e32 v9, v26, v9, vcc_lo
	v_cmp_ne_u32_e32 vcc_lo, 0, v5
	s_delay_alu instid0(VALU_DEP_2) | instskip(SKIP_1) | instid1(VALU_DEP_1)
	v_cmp_ne_u32_e64 s1, 0, v9
	v_dual_cndmask_b32 v5, v25, v23, vcc_lo :: v_dual_cndmask_b32 v9, v24, v22, vcc_lo
	v_dual_cndmask_b32 v5, v21, v5, s1 :: v_dual_bitop2_b32 v18, s30, v18 bitop3:0x14
	s_delay_alu instid0(VALU_DEP_1) | instskip(NEXT) | instid1(VALU_DEP_2)
	v_dual_cndmask_b32 v9, v20, v9, s1 :: v_dual_mov_b32 v19, v18
	v_xor_b32_e32 v21, v5, v18
	s_delay_alu instid0(VALU_DEP_2) | instskip(NEXT) | instid1(VALU_DEP_1)
	v_xor_b32_e32 v20, v9, v18
	v_sub_nc_u64_e32 v[18:19], v[20:21], v[18:19]
.LBB114_191:                            ;   in Loop: Header=BB114_189 Depth=1
	s_and_not1_saveexec_b32 s1, s57
	s_cbranch_execz .LBB114_188
; %bb.192:                              ;   in Loop: Header=BB114_189 Depth=1
	v_cvt_f32_u32_e32 v5, s28
	s_sub_co_i32 s20, 0, s28
	v_mov_b32_e32 v19, v12
	s_delay_alu instid0(VALU_DEP_2) | instskip(SKIP_1) | instid1(TRANS32_DEP_1)
	v_rcp_iflag_f32_e32 v5, v5
	v_nop
	v_mul_f32_e32 v5, 0x4f7ffffe, v5
	s_delay_alu instid0(VALU_DEP_1) | instskip(NEXT) | instid1(VALU_DEP_1)
	v_cvt_u32_f32_e32 v5, v5
	v_mul_lo_u32 v9, s20, v5
	s_delay_alu instid0(VALU_DEP_1) | instskip(NEXT) | instid1(VALU_DEP_1)
	v_mul_hi_u32 v9, v5, v9
	v_add_nc_u32_e32 v5, v5, v9
	s_delay_alu instid0(VALU_DEP_1) | instskip(NEXT) | instid1(VALU_DEP_1)
	v_mul_hi_u32 v5, v16, v5
	v_mul_lo_u32 v9, v5, s28
	v_add_nc_u32_e32 v11, 1, v5
	s_delay_alu instid0(VALU_DEP_2) | instskip(NEXT) | instid1(VALU_DEP_1)
	v_sub_nc_u32_e32 v9, v16, v9
	v_subrev_nc_u32_e32 v13, s28, v9
	v_cmp_le_u32_e32 vcc_lo, s28, v9
	s_delay_alu instid0(VALU_DEP_2) | instskip(SKIP_1) | instid1(VALU_DEP_2)
	v_cndmask_b32_e32 v9, v9, v13, vcc_lo
	v_cndmask_b32_e32 v5, v5, v11, vcc_lo
	v_cmp_le_u32_e32 vcc_lo, s28, v9
	s_delay_alu instid0(VALU_DEP_2) | instskip(SKIP_1) | instid1(VALU_DEP_1)
	v_add_nc_u32_e32 v11, 1, v5
	s_wait_loadcnt 0x0
	v_cndmask_b32_e32 v18, v5, v11, vcc_lo
	s_branch .LBB114_188
.LBB114_193:
	s_mov_b32 s19, -1
	s_mov_b32 s21, 0
	s_mov_b32 s1, exec_lo
	v_cmpx_gt_i32_e64 v8, v10
	s_cbranch_execz .LBB114_199
; %bb.194:
	s_delay_alu instid0(VALU_DEP_2) | instskip(SKIP_3) | instid1(VALU_DEP_1)
	v_lshlrev_b64_e32 v[12:13], 2, v[14:15]
	v_dual_ashrrev_i32 v11, 31, v10 :: v_dual_ashrrev_i32 v9, 31, v8
	s_mov_b32 s19, 0
	s_xor_b32 s21, s36, -1
                                        ; implicit-def: $sgpr20
                                        ; implicit-def: $sgpr23
                                        ; implicit-def: $sgpr22
	v_lshl_add_u64 v[10:11], v[10:11], 2, v[12:13]
	v_add_nc_u64_e32 v[12:13], s[14:15], v[12:13]
	s_delay_alu instid0(VALU_DEP_2) | instskip(NEXT) | instid1(VALU_DEP_2)
	v_add_nc_u64_e32 v[10:11], s[14:15], v[10:11]
	v_lshl_add_u64 v[8:9], v[8:9], 2, v[12:13]
	s_delay_alu instid0(VALU_DEP_2)
	v_add_nc_u64_e32 v[10:11], 4, v[10:11]
	s_branch .LBB114_196
.LBB114_195:                            ;   in Loop: Header=BB114_196 Depth=1
	s_or_b32 exec_lo, exec_lo, s24
	s_delay_alu instid0(SALU_CYCLE_1) | instskip(NEXT) | instid1(SALU_CYCLE_1)
	s_and_b32 s24, exec_lo, s23
	s_or_b32 s19, s24, s19
	s_and_not1_b32 s20, s20, exec_lo
	s_and_b32 s24, s22, exec_lo
	s_delay_alu instid0(SALU_CYCLE_1)
	s_or_b32 s20, s20, s24
	s_and_not1_b32 exec_lo, exec_lo, s19
	s_cbranch_execz .LBB114_198
.LBB114_196:                            ; =>This Inner Loop Header: Depth=1
	s_or_b32 s22, s22, exec_lo
	s_or_b32 s23, s23, exec_lo
	s_mov_b32 s24, exec_lo
	s_delay_alu instid0(VALU_DEP_1)
	v_cmpx_lt_u64_e64 v[10:11], v[8:9]
	s_cbranch_execz .LBB114_195
; %bb.197:                              ;   in Loop: Header=BB114_196 Depth=1
	global_load_b64 v[12:13], v[10:11], off offset:-4
	s_wait_xcnt 0x0
	v_add_nc_u64_e32 v[10:11], 4, v[10:11]
	s_and_not1_b32 s23, s23, exec_lo
	s_and_not1_b32 s22, s22, exec_lo
	s_wait_loadcnt 0x0
	v_cmp_ge_i32_e32 vcc_lo, v12, v13
	s_or_b32 s25, s21, vcc_lo
	s_delay_alu instid0(SALU_CYCLE_1) | instskip(NEXT) | instid1(SALU_CYCLE_1)
	s_and_b32 s25, s25, exec_lo
	s_or_b32 s23, s23, s25
	s_branch .LBB114_195
.LBB114_198:
	s_or_b32 exec_lo, exec_lo, s19
	s_delay_alu instid0(SALU_CYCLE_1)
	s_mov_b32 s21, exec_lo
	s_or_not1_b32 s19, s20, exec_lo
.LBB114_199:
	s_or_b32 exec_lo, exec_lo, s1
	s_delay_alu instid0(SALU_CYCLE_1)
	s_and_b32 s1, s21, exec_lo
	s_xor_b32 s20, exec_lo, -1
	s_and_b32 s19, s19, exec_lo
.LBB114_200:
	s_or_b32 exec_lo, exec_lo, s56
	s_delay_alu instid0(SALU_CYCLE_1)
	s_and_not1_b32 s21, s49, exec_lo
	s_and_b32 s20, s20, exec_lo
	s_and_b32 s22, s1, exec_lo
	s_or_b32 s21, s21, s20
	s_xor_b32 s1, exec_lo, -1
	s_and_b32 s20, s19, exec_lo
.LBB114_201:
	s_or_b32 exec_lo, exec_lo, s55
	s_delay_alu instid0(SALU_CYCLE_1)
	s_and_b32 s19, s22, exec_lo
	s_and_not1_b32 s22, s49, exec_lo
	s_and_b32 s21, s21, exec_lo
	s_and_not1_b32 s23, s50, exec_lo
	s_and_b32 s1, s1, exec_lo
	s_or_b32 s21, s22, s21
	s_or_b32 s23, s23, s1
	s_xor_b32 s1, exec_lo, -1
	s_and_b32 s22, s20, exec_lo
.LBB114_202:
	s_or_b32 exec_lo, exec_lo, s54
	s_delay_alu instid0(SALU_CYCLE_1)
	s_and_not1_b32 s20, s49, exec_lo
	s_and_b32 s24, s21, exec_lo
	s_and_b32 s21, s19, exec_lo
	s_or_b32 s19, s20, s24
	s_and_not1_b32 s20, s50, exec_lo
	s_and_b32 s23, s23, exec_lo
	s_and_not1_b32 s24, s48, exec_lo
	s_and_b32 s1, s1, exec_lo
	s_or_b32 s20, s20, s23
	s_or_b32 s1, s24, s1
	s_or_not1_b32 s25, s22, exec_lo
.LBB114_203:
	s_or_b32 exec_lo, exec_lo, s53
	s_mov_b32 s23, 0
                                        ; implicit-def: $sgpr24
	s_and_saveexec_b32 s22, s25
	s_cbranch_execz .LBB114_207
; %bb.204:
	v_or_b32_e32 v5, 0x300, v0
	s_mov_b32 s23, -1
	s_mov_b32 s25, s1
	s_delay_alu instid0(VALU_DEP_1) | instskip(SKIP_2) | instid1(SALU_CYCLE_1)
	v_cmp_gt_i32_e64 s24, s5, v5
	s_mov_b32 s5, 0
	s_and_saveexec_b32 s26, s24
	s_xor_b32 s26, exec_lo, s26
; %bb.205:
	v_cmp_ne_u32_e32 vcc_lo, s33, v3
	s_xor_b32 s23, s42, -1
	s_and_not1_b32 s25, s1, exec_lo
	s_mov_b32 s5, exec_lo
	s_or_b32 s23, s23, vcc_lo
	s_delay_alu instid0(SALU_CYCLE_1)
	s_and_b32 s27, s23, exec_lo
	s_xor_b32 s23, exec_lo, -1
	s_or_b32 s25, s25, s27
; %bb.206:
	s_or_b32 exec_lo, exec_lo, s26
	s_delay_alu instid0(SALU_CYCLE_1)
	s_and_not1_b32 s1, s1, exec_lo
	s_and_b32 s25, s25, exec_lo
	s_and_b32 s23, s23, exec_lo
	s_and_not1_b32 s21, s21, exec_lo
	s_and_b32 s52, s5, exec_lo
	s_or_b32 s1, s1, s25
.LBB114_207:
	s_or_b32 exec_lo, exec_lo, s22
	s_delay_alu instid0(SALU_CYCLE_1)
	s_and_not1_b32 s5, s9, exec_lo
	s_and_b32 s9, s21, exec_lo
	s_and_b32 s19, s19, exec_lo
	s_or_b32 s9, s5, s9
	s_and_not1_b32 s5, s49, exec_lo
	s_and_not1_b32 s22, s50, exec_lo
	s_and_b32 s20, s20, exec_lo
	s_or_b32 s49, s5, s19
	s_and_not1_b32 s5, s48, exec_lo
	s_and_b32 s1, s1, exec_lo
	s_and_b32 s21, s23, exec_lo
	s_or_b32 s50, s22, s20
	s_and_b32 s52, s52, exec_lo
	s_or_b32 s48, s5, s1
.LBB114_208:
	s_or_b32 exec_lo, exec_lo, s51
	s_delay_alu instid0(SALU_CYCLE_1)
	s_and_not1_b32 s1, s41, exec_lo
	s_and_b32 s5, s9, exec_lo
	s_and_not1_b32 s19, s44, exec_lo
	s_or_b32 s41, s1, s5
	s_and_not1_b32 s1, s43, exec_lo
	s_and_b32 s5, s49, exec_lo
	s_and_b32 s20, s50, exec_lo
	s_or_b32 s43, s1, s5
	s_and_not1_b32 s1, s46, exec_lo
	s_and_b32 s5, s48, exec_lo
	s_and_b32 s9, s21, exec_lo
	s_or_b32 s44, s19, s20
	s_and_b32 s48, s52, exec_lo
	s_or_b32 s46, s1, s5
	s_or_b32 exec_lo, exec_lo, s47
	s_and_saveexec_b32 s1, s46
	s_cbranch_execz .LBB114_143
.LBB114_209:
	s_or_b32 s3, s3, exec_lo
	s_and_not1_b32 s48, s48, exec_lo
	s_trap 2
	s_branch .LBB114_143
.LBB114_210:
	s_or_b32 s3, s3, exec_lo
	s_trap 2
	s_branch .LBB114_76
.LBB114_211:
	s_or_b32 s3, s3, exec_lo
	s_and_not1_b32 s1, s1, exec_lo
	s_trap 2
	s_branch .LBB114_146
.LBB114_212:
	s_mov_b32 s3, exec_lo
	s_and_not1_b32 s0, s0, exec_lo
	s_trap 2
	s_branch .LBB114_67
	.section	.rodata,"a",@progbits
	.p2align	6, 0x0
	.amdhsa_kernel _ZN2at6native29vectorized_elementwise_kernelILi4EZZZNS0_12_GLOBAL__N_142_validate_compressed_sparse_indices_kernelILNS2_8CDimNameE1ENS2_18CUDAKernelLauncherENS2_14EmptyVecKernelENS2_8DummyVecELm0EEEvRKNS_6TensorESA_lllENKUlvE1_clEvENKUlvE_clEvEUliiiiiE_St5arrayIPcLm6EEEEviT0_T1_
		.amdhsa_group_segment_fixed_size 0
		.amdhsa_private_segment_fixed_size 0
		.amdhsa_kernarg_size 112
		.amdhsa_user_sgpr_count 2
		.amdhsa_user_sgpr_dispatch_ptr 0
		.amdhsa_user_sgpr_queue_ptr 0
		.amdhsa_user_sgpr_kernarg_segment_ptr 1
		.amdhsa_user_sgpr_dispatch_id 0
		.amdhsa_user_sgpr_kernarg_preload_length 0
		.amdhsa_user_sgpr_kernarg_preload_offset 0
		.amdhsa_user_sgpr_private_segment_size 0
		.amdhsa_wavefront_size32 1
		.amdhsa_uses_dynamic_stack 0
		.amdhsa_enable_private_segment 0
		.amdhsa_system_sgpr_workgroup_id_x 1
		.amdhsa_system_sgpr_workgroup_id_y 0
		.amdhsa_system_sgpr_workgroup_id_z 0
		.amdhsa_system_sgpr_workgroup_info 0
		.amdhsa_system_vgpr_workitem_id 0
		.amdhsa_next_free_vgpr 44
		.amdhsa_next_free_sgpr 74
		.amdhsa_named_barrier_count 0
		.amdhsa_reserve_vcc 1
		.amdhsa_float_round_mode_32 0
		.amdhsa_float_round_mode_16_64 0
		.amdhsa_float_denorm_mode_32 3
		.amdhsa_float_denorm_mode_16_64 3
		.amdhsa_fp16_overflow 0
		.amdhsa_memory_ordered 1
		.amdhsa_forward_progress 1
		.amdhsa_inst_pref_size 103
		.amdhsa_round_robin_scheduling 0
		.amdhsa_exception_fp_ieee_invalid_op 0
		.amdhsa_exception_fp_denorm_src 0
		.amdhsa_exception_fp_ieee_div_zero 0
		.amdhsa_exception_fp_ieee_overflow 0
		.amdhsa_exception_fp_ieee_underflow 0
		.amdhsa_exception_fp_ieee_inexact 0
		.amdhsa_exception_int_div_zero 0
	.end_amdhsa_kernel
	.section	.text._ZN2at6native29vectorized_elementwise_kernelILi4EZZZNS0_12_GLOBAL__N_142_validate_compressed_sparse_indices_kernelILNS2_8CDimNameE1ENS2_18CUDAKernelLauncherENS2_14EmptyVecKernelENS2_8DummyVecELm0EEEvRKNS_6TensorESA_lllENKUlvE1_clEvENKUlvE_clEvEUliiiiiE_St5arrayIPcLm6EEEEviT0_T1_,"axG",@progbits,_ZN2at6native29vectorized_elementwise_kernelILi4EZZZNS0_12_GLOBAL__N_142_validate_compressed_sparse_indices_kernelILNS2_8CDimNameE1ENS2_18CUDAKernelLauncherENS2_14EmptyVecKernelENS2_8DummyVecELm0EEEvRKNS_6TensorESA_lllENKUlvE1_clEvENKUlvE_clEvEUliiiiiE_St5arrayIPcLm6EEEEviT0_T1_,comdat
.Lfunc_end114:
	.size	_ZN2at6native29vectorized_elementwise_kernelILi4EZZZNS0_12_GLOBAL__N_142_validate_compressed_sparse_indices_kernelILNS2_8CDimNameE1ENS2_18CUDAKernelLauncherENS2_14EmptyVecKernelENS2_8DummyVecELm0EEEvRKNS_6TensorESA_lllENKUlvE1_clEvENKUlvE_clEvEUliiiiiE_St5arrayIPcLm6EEEEviT0_T1_, .Lfunc_end114-_ZN2at6native29vectorized_elementwise_kernelILi4EZZZNS0_12_GLOBAL__N_142_validate_compressed_sparse_indices_kernelILNS2_8CDimNameE1ENS2_18CUDAKernelLauncherENS2_14EmptyVecKernelENS2_8DummyVecELm0EEEvRKNS_6TensorESA_lllENKUlvE1_clEvENKUlvE_clEvEUliiiiiE_St5arrayIPcLm6EEEEviT0_T1_
                                        ; -- End function
	.set _ZN2at6native29vectorized_elementwise_kernelILi4EZZZNS0_12_GLOBAL__N_142_validate_compressed_sparse_indices_kernelILNS2_8CDimNameE1ENS2_18CUDAKernelLauncherENS2_14EmptyVecKernelENS2_8DummyVecELm0EEEvRKNS_6TensorESA_lllENKUlvE1_clEvENKUlvE_clEvEUliiiiiE_St5arrayIPcLm6EEEEviT0_T1_.num_vgpr, 44
	.set _ZN2at6native29vectorized_elementwise_kernelILi4EZZZNS0_12_GLOBAL__N_142_validate_compressed_sparse_indices_kernelILNS2_8CDimNameE1ENS2_18CUDAKernelLauncherENS2_14EmptyVecKernelENS2_8DummyVecELm0EEEvRKNS_6TensorESA_lllENKUlvE1_clEvENKUlvE_clEvEUliiiiiE_St5arrayIPcLm6EEEEviT0_T1_.num_agpr, 0
	.set _ZN2at6native29vectorized_elementwise_kernelILi4EZZZNS0_12_GLOBAL__N_142_validate_compressed_sparse_indices_kernelILNS2_8CDimNameE1ENS2_18CUDAKernelLauncherENS2_14EmptyVecKernelENS2_8DummyVecELm0EEEvRKNS_6TensorESA_lllENKUlvE1_clEvENKUlvE_clEvEUliiiiiE_St5arrayIPcLm6EEEEviT0_T1_.numbered_sgpr, 74
	.set _ZN2at6native29vectorized_elementwise_kernelILi4EZZZNS0_12_GLOBAL__N_142_validate_compressed_sparse_indices_kernelILNS2_8CDimNameE1ENS2_18CUDAKernelLauncherENS2_14EmptyVecKernelENS2_8DummyVecELm0EEEvRKNS_6TensorESA_lllENKUlvE1_clEvENKUlvE_clEvEUliiiiiE_St5arrayIPcLm6EEEEviT0_T1_.num_named_barrier, 0
	.set _ZN2at6native29vectorized_elementwise_kernelILi4EZZZNS0_12_GLOBAL__N_142_validate_compressed_sparse_indices_kernelILNS2_8CDimNameE1ENS2_18CUDAKernelLauncherENS2_14EmptyVecKernelENS2_8DummyVecELm0EEEvRKNS_6TensorESA_lllENKUlvE1_clEvENKUlvE_clEvEUliiiiiE_St5arrayIPcLm6EEEEviT0_T1_.private_seg_size, 0
	.set _ZN2at6native29vectorized_elementwise_kernelILi4EZZZNS0_12_GLOBAL__N_142_validate_compressed_sparse_indices_kernelILNS2_8CDimNameE1ENS2_18CUDAKernelLauncherENS2_14EmptyVecKernelENS2_8DummyVecELm0EEEvRKNS_6TensorESA_lllENKUlvE1_clEvENKUlvE_clEvEUliiiiiE_St5arrayIPcLm6EEEEviT0_T1_.uses_vcc, 1
	.set _ZN2at6native29vectorized_elementwise_kernelILi4EZZZNS0_12_GLOBAL__N_142_validate_compressed_sparse_indices_kernelILNS2_8CDimNameE1ENS2_18CUDAKernelLauncherENS2_14EmptyVecKernelENS2_8DummyVecELm0EEEvRKNS_6TensorESA_lllENKUlvE1_clEvENKUlvE_clEvEUliiiiiE_St5arrayIPcLm6EEEEviT0_T1_.uses_flat_scratch, 0
	.set _ZN2at6native29vectorized_elementwise_kernelILi4EZZZNS0_12_GLOBAL__N_142_validate_compressed_sparse_indices_kernelILNS2_8CDimNameE1ENS2_18CUDAKernelLauncherENS2_14EmptyVecKernelENS2_8DummyVecELm0EEEvRKNS_6TensorESA_lllENKUlvE1_clEvENKUlvE_clEvEUliiiiiE_St5arrayIPcLm6EEEEviT0_T1_.has_dyn_sized_stack, 0
	.set _ZN2at6native29vectorized_elementwise_kernelILi4EZZZNS0_12_GLOBAL__N_142_validate_compressed_sparse_indices_kernelILNS2_8CDimNameE1ENS2_18CUDAKernelLauncherENS2_14EmptyVecKernelENS2_8DummyVecELm0EEEvRKNS_6TensorESA_lllENKUlvE1_clEvENKUlvE_clEvEUliiiiiE_St5arrayIPcLm6EEEEviT0_T1_.has_recursion, 0
	.set _ZN2at6native29vectorized_elementwise_kernelILi4EZZZNS0_12_GLOBAL__N_142_validate_compressed_sparse_indices_kernelILNS2_8CDimNameE1ENS2_18CUDAKernelLauncherENS2_14EmptyVecKernelENS2_8DummyVecELm0EEEvRKNS_6TensorESA_lllENKUlvE1_clEvENKUlvE_clEvEUliiiiiE_St5arrayIPcLm6EEEEviT0_T1_.has_indirect_call, 0
	.section	.AMDGPU.csdata,"",@progbits
; Kernel info:
; codeLenInByte = 13060
; TotalNumSgprs: 76
; NumVgprs: 44
; ScratchSize: 0
; MemoryBound: 0
; FloatMode: 240
; IeeeMode: 1
; LDSByteSize: 0 bytes/workgroup (compile time only)
; SGPRBlocks: 0
; VGPRBlocks: 2
; NumSGPRsForWavesPerEU: 76
; NumVGPRsForWavesPerEU: 44
; NamedBarCnt: 0
; Occupancy: 16
; WaveLimiterHint : 0
; COMPUTE_PGM_RSRC2:SCRATCH_EN: 0
; COMPUTE_PGM_RSRC2:USER_SGPR: 2
; COMPUTE_PGM_RSRC2:TRAP_HANDLER: 0
; COMPUTE_PGM_RSRC2:TGID_X_EN: 1
; COMPUTE_PGM_RSRC2:TGID_Y_EN: 0
; COMPUTE_PGM_RSRC2:TGID_Z_EN: 0
; COMPUTE_PGM_RSRC2:TIDIG_COMP_CNT: 0
	.section	.text._ZN2at6native29vectorized_elementwise_kernelILi2EZZZNS0_12_GLOBAL__N_142_validate_compressed_sparse_indices_kernelILNS2_8CDimNameE1ENS2_18CUDAKernelLauncherENS2_14EmptyVecKernelENS2_8DummyVecELm0EEEvRKNS_6TensorESA_lllENKUlvE1_clEvENKUlvE_clEvEUliiiiiE_St5arrayIPcLm6EEEEviT0_T1_,"axG",@progbits,_ZN2at6native29vectorized_elementwise_kernelILi2EZZZNS0_12_GLOBAL__N_142_validate_compressed_sparse_indices_kernelILNS2_8CDimNameE1ENS2_18CUDAKernelLauncherENS2_14EmptyVecKernelENS2_8DummyVecELm0EEEvRKNS_6TensorESA_lllENKUlvE1_clEvENKUlvE_clEvEUliiiiiE_St5arrayIPcLm6EEEEviT0_T1_,comdat
	.globl	_ZN2at6native29vectorized_elementwise_kernelILi2EZZZNS0_12_GLOBAL__N_142_validate_compressed_sparse_indices_kernelILNS2_8CDimNameE1ENS2_18CUDAKernelLauncherENS2_14EmptyVecKernelENS2_8DummyVecELm0EEEvRKNS_6TensorESA_lllENKUlvE1_clEvENKUlvE_clEvEUliiiiiE_St5arrayIPcLm6EEEEviT0_T1_ ; -- Begin function _ZN2at6native29vectorized_elementwise_kernelILi2EZZZNS0_12_GLOBAL__N_142_validate_compressed_sparse_indices_kernelILNS2_8CDimNameE1ENS2_18CUDAKernelLauncherENS2_14EmptyVecKernelENS2_8DummyVecELm0EEEvRKNS_6TensorESA_lllENKUlvE1_clEvENKUlvE_clEvEUliiiiiE_St5arrayIPcLm6EEEEviT0_T1_
	.p2align	8
	.type	_ZN2at6native29vectorized_elementwise_kernelILi2EZZZNS0_12_GLOBAL__N_142_validate_compressed_sparse_indices_kernelILNS2_8CDimNameE1ENS2_18CUDAKernelLauncherENS2_14EmptyVecKernelENS2_8DummyVecELm0EEEvRKNS_6TensorESA_lllENKUlvE1_clEvENKUlvE_clEvEUliiiiiE_St5arrayIPcLm6EEEEviT0_T1_,@function
_ZN2at6native29vectorized_elementwise_kernelILi2EZZZNS0_12_GLOBAL__N_142_validate_compressed_sparse_indices_kernelILNS2_8CDimNameE1ENS2_18CUDAKernelLauncherENS2_14EmptyVecKernelENS2_8DummyVecELm0EEEvRKNS_6TensorESA_lllENKUlvE1_clEvENKUlvE_clEvEUliiiiiE_St5arrayIPcLm6EEEEviT0_T1_: ; @_ZN2at6native29vectorized_elementwise_kernelILi2EZZZNS0_12_GLOBAL__N_142_validate_compressed_sparse_indices_kernelILNS2_8CDimNameE1ENS2_18CUDAKernelLauncherENS2_14EmptyVecKernelENS2_8DummyVecELm0EEEvRKNS_6TensorESA_lllENKUlvE1_clEvENKUlvE_clEvEUliiiiiE_St5arrayIPcLm6EEEEviT0_T1_
; %bb.0:
	s_clause 0x3
	s_load_b32 s3, s[0:1], 0x0
	s_load_b32 s33, s[0:1], 0x8
	s_load_b512 s[4:19], s[0:1], 0x10
	s_load_b256 s[20:27], s[0:1], 0x50
	s_wait_xcnt 0x0
	s_bfe_u32 s0, ttmp6, 0x4000c
	s_and_b32 s1, ttmp6, 15
	s_add_co_i32 s0, s0, 1
	s_getreg_b32 s2, hwreg(HW_REG_IB_STS2, 6, 4)
	s_mul_i32 s0, ttmp9, s0
	s_wait_kmcnt 0x0
	s_mov_b32 s9, 0
	s_add_co_i32 s1, s1, s0
	s_cmp_eq_u32 s2, 0
	s_get_pc_i64 s[28:29]
	s_add_nc_u64 s[28:29], s[28:29], .str.6@rel64+4
	s_cselect_b32 s0, ttmp9, s1
	s_delay_alu instid0(SALU_CYCLE_1)
	s_lshl_b32 s2, s0, 10
	s_mov_b32 s0, -1
	s_sub_co_i32 s5, s3, s2
	s_mov_b32 s3, 0
	s_cmp_gt_i32 s5, 0x3ff
	s_cbranch_scc0 .LBB115_77
; %bb.1:
	s_cmp_eq_u64 s[28:29], 0
	s_cselect_b32 s0, -1, 0
	s_cmp_lg_u64 s[28:29], 0
	s_cbranch_scc0 .LBB115_75
; %bb.2:
	s_ashr_i32 s3, s2, 31
	v_lshlrev_b32_e32 v10, 3, v0
	s_lshl_b64 s[30:31], s[2:3], 2
	s_mov_b32 s0, -1
	s_add_nc_u64 s[36:37], s[18:19], s[30:31]
	s_mov_b32 s3, 0
	global_load_b32 v1, v10, s[36:37]
	s_mov_b32 s48, exec_lo
	s_wait_loadcnt 0x0
	v_cmpx_eq_u32_e64 s33, v1
	s_cbranch_execz .LBB115_74
; %bb.3:
	s_add_nc_u64 s[38:39], s[20:21], s[30:31]
	s_get_pc_i64 s[34:35]
	s_add_nc_u64 s[34:35], s[34:35], .str.7@rel64+4
	global_load_b64 v[8:9], v0, s[38:39] scale_offset
	s_cmp_lg_u64 s[34:35], 0
	v_mov_b32_e32 v11, 0
	s_cselect_b32 s1, -1, 0
	s_mov_b32 s40, -1
	s_mov_b32 s0, 0
	s_mov_b32 s35, 0
	;; [unrolled: 1-line block ×3, first 2 shown]
                                        ; implicit-def: $sgpr49
                                        ; implicit-def: $sgpr50
                                        ; implicit-def: $sgpr34
                                        ; implicit-def: $sgpr53
                                        ; implicit-def: $vgpr6_vgpr7
                                        ; implicit-def: $vgpr2_vgpr3
                                        ; implicit-def: $vgpr4_vgpr5
	s_wait_loadcnt 0x0
	v_cmp_eq_u32_e32 vcc_lo, s6, v8
	s_and_b32 s41, s1, vcc_lo
	s_mov_b32 s1, 0
	s_and_saveexec_b32 s51, s41
	s_cbranch_execz .LBB115_66
; %bb.4:
	s_add_nc_u64 s[40:41], s[22:23], s[30:31]
	s_add_nc_u64 s[42:43], s[24:25], s[30:31]
	s_clause 0x1
	global_load_b64 v[16:17], v0, s[40:41] scale_offset
	global_load_b64 v[14:15], v0, s[42:43] scale_offset
	s_get_pc_i64 s[46:47]
	s_add_nc_u64 s[46:47], s[46:47], .str.8@rel64+4
	s_mov_b32 s35, -1
	s_cmp_lg_u64 s[46:47], 0
	s_mov_b32 s44, 0
	s_cselect_b32 s1, -1, 0
	s_mov_b32 s45, 0
	s_mov_b32 s46, 0
                                        ; implicit-def: $sgpr49
                                        ; implicit-def: $sgpr50
                                        ; implicit-def: $sgpr34
                                        ; implicit-def: $vgpr6_vgpr7
                                        ; implicit-def: $vgpr2_vgpr3
                                        ; implicit-def: $vgpr4_vgpr5
	s_wait_loadcnt 0x0
	v_sub_nc_u32_e32 v1, v14, v16
	s_delay_alu instid0(VALU_DEP_1) | instskip(SKIP_2) | instid1(SALU_CYCLE_1)
	v_cmp_le_i32_e32 vcc_lo, s33, v1
	v_cmp_ge_i32_e64 s0, s4, v1
	s_and_b32 s0, vcc_lo, s0
	s_and_b32 s0, s1, s0
	s_mov_b32 s1, 0
	s_and_saveexec_b32 s52, s0
	s_cbranch_execz .LBB115_65
; %bb.5:
	v_mov_b32_e32 v20, 0
	v_add_nc_u64_e32 v[22:23], s[36:37], v[10:11]
	v_add_nc_u64_e32 v[24:25], s[38:39], v[10:11]
	s_add_nc_u64 s[0:1], s[26:27], s[30:31]
	s_add_co_i32 s34, s8, -1
	v_mov_b32_e32 v11, v20
	s_cmp_gt_i32 s34, -1
	s_delay_alu instid0(VALU_DEP_1)
	v_add_nc_u64_e32 v[26:27], s[40:41], v[10:11]
	v_add_nc_u64_e32 v[28:29], s[42:43], v[10:11]
	s_clause 0x1
	global_load_b32 v1, v[22:23], off offset:4
	global_load_b64 v[12:13], v[22:23], off offset:2048
	global_load_b64 v[10:11], v[24:25], off offset:2048
	;; [unrolled: 1-line block ×4, first 2 shown]
	s_clause 0x1
	global_load_b64 v[18:19], v0, s[0:1] scale_offset
	global_load_b64 v[6:7], v0, s[0:1] offset:2048 scale_offset
	s_wait_xcnt 0x0
	v_cmp_gt_i64_e64 s0, s[6:7], 0
	v_mov_b64_e32 v[22:23], 0
	s_cselect_b32 s1, -1, 0
	s_delay_alu instid0(SALU_CYCLE_1) | instskip(NEXT) | instid1(SALU_CYCLE_1)
	s_and_b32 s50, s0, s1
	s_and_not1_b32 vcc_lo, exec_lo, s50
	s_cbranch_vccnz .LBB115_12
; %bb.6:
	s_wait_loadcnt 0x1
	v_dual_mov_b32 v22, v18 :: v_dual_ashrrev_i32 v23, 31, v18
	s_mov_b32 s1, 0
	s_mov_b64 s[36:37], 0xffffffff
	s_mov_b32 s35, s1
	s_delay_alu instid0(VALU_DEP_1)
	v_mul_u64_e32 v[24:25], s[6:7], v[22:23]
	v_mov_b64_e32 v[22:23], 0
	s_lshl_b64 s[40:41], s[34:35], 3
	s_mov_b32 s35, s8
	s_add_nc_u64 s[38:39], s[10:11], s[40:41]
	s_add_nc_u64 s[40:41], s[12:13], s[40:41]
	s_branch .LBB115_8
.LBB115_7:                              ;   in Loop: Header=BB115_8 Depth=1
	s_or_b32 exec_lo, exec_lo, s0
	s_delay_alu instid0(VALU_DEP_1)
	v_mul_u64_e32 v[28:29], s[42:43], v[26:27]
	s_load_b64 s[42:43], s[40:41], 0x0
	s_add_co_i32 s35, s35, -1
	s_add_nc_u64 s[38:39], s[38:39], -8
	s_cmp_eq_u32 s35, 0
	s_wait_xcnt 0x0
	s_add_nc_u64 s[40:41], s[40:41], -8
	s_delay_alu instid0(VALU_DEP_1) | instskip(SKIP_1) | instid1(VALU_DEP_1)
	v_sub_nc_u64_e32 v[24:25], v[24:25], v[28:29]
	s_wait_kmcnt 0x0
	v_mad_nc_u64_u32 v[22:23], v24, s42, v[22:23]
	s_delay_alu instid0(VALU_DEP_1) | instskip(NEXT) | instid1(VALU_DEP_1)
	v_mad_u32 v18, v25, s42, v23
	v_mad_u32 v23, v24, s43, v18
	v_mov_b64_e32 v[24:25], v[26:27]
	s_cbranch_scc1 .LBB115_12
.LBB115_8:                              ; =>This Inner Loop Header: Depth=1
	s_load_b64 s[42:43], s[38:39], 0x0
                                        ; implicit-def: $vgpr26_vgpr27
	s_mov_b32 s0, exec_lo
	s_wait_kmcnt 0x0
	s_delay_alu instid0(VALU_DEP_1) | instskip(NEXT) | instid1(VALU_DEP_1)
	v_or_b32_e32 v21, s43, v25
	v_cmpx_ne_u64_e32 0, v[20:21]
	s_xor_b32 s49, exec_lo, s0
	s_cbranch_execz .LBB115_10
; %bb.9:                                ;   in Loop: Header=BB115_8 Depth=1
	s_ashr_i32 s44, s43, 31
	v_dual_mov_b32 v31, v20 :: v_dual_ashrrev_i32 v26, 31, v25
	s_mov_b32 s45, s44
	s_delay_alu instid0(SALU_CYCLE_1) | instskip(NEXT) | instid1(VALU_DEP_1)
	s_add_nc_u64 s[46:47], s[42:43], s[44:45]
	v_mov_b32_e32 v27, v26
	s_xor_b64 s[46:47], s[46:47], s[44:45]
	s_delay_alu instid0(SALU_CYCLE_1)
	s_cvt_f32_u32 s0, s46
	s_cvt_f32_u32 s45, s47
	s_sub_nc_u64 s[56:57], 0, s[46:47]
	v_add_nc_u64_e32 v[28:29], v[24:25], v[26:27]
	v_mov_b32_e32 v35, v20
	s_fmamk_f32 s0, s45, 0x4f800000, s0
	s_delay_alu instid0(SALU_CYCLE_3) | instskip(NEXT) | instid1(VALU_DEP_2)
	v_s_rcp_f32 s0, s0
	v_xor_b32_e32 v30, v28, v26
	s_delay_alu instid0(VALU_DEP_3) | instskip(NEXT) | instid1(TRANS32_DEP_1)
	v_dual_mov_b32 v39, v20 :: v_dual_bitop2_b32 v34, v29, v26 bitop3:0x14
	s_mul_f32 s0, s0, 0x5f7ffffc
	s_delay_alu instid0(SALU_CYCLE_3) | instskip(NEXT) | instid1(SALU_CYCLE_3)
	s_mul_f32 s45, s0, 0x2f800000
	s_trunc_f32 s45, s45
	s_delay_alu instid0(SALU_CYCLE_3) | instskip(SKIP_1) | instid1(SALU_CYCLE_2)
	s_fmamk_f32 s0, s45, 0xcf800000, s0
	s_cvt_u32_f32 s55, s45
	s_cvt_u32_f32 s54, s0
	s_delay_alu instid0(SALU_CYCLE_3) | instskip(NEXT) | instid1(SALU_CYCLE_1)
	s_mul_u64 s[58:59], s[56:57], s[54:55]
	s_mul_hi_u32 s61, s54, s59
	s_mul_i32 s60, s54, s59
	s_mul_hi_u32 s0, s54, s58
	s_mul_i32 s53, s55, s58
	s_add_nc_u64 s[60:61], s[0:1], s[60:61]
	s_mul_hi_u32 s45, s55, s58
	s_mul_hi_u32 s62, s55, s59
	s_add_co_u32 s0, s60, s53
	s_add_co_ci_u32 s0, s61, s45
	s_mul_i32 s58, s55, s59
	s_add_co_ci_u32 s59, s62, 0
	s_delay_alu instid0(SALU_CYCLE_1) | instskip(NEXT) | instid1(SALU_CYCLE_1)
	s_add_nc_u64 s[58:59], s[0:1], s[58:59]
	s_add_co_u32 s54, s54, s58
	s_cselect_b32 s0, -1, 0
	s_delay_alu instid0(SALU_CYCLE_1) | instskip(SKIP_1) | instid1(SALU_CYCLE_1)
	s_cmp_lg_u32 s0, 0
	s_add_co_ci_u32 s55, s55, s59
	s_mul_u64 s[56:57], s[56:57], s[54:55]
	s_delay_alu instid0(SALU_CYCLE_1)
	s_mul_hi_u32 s59, s54, s57
	s_mul_i32 s58, s54, s57
	s_mul_hi_u32 s0, s54, s56
	s_mul_i32 s53, s55, s56
	s_add_nc_u64 s[58:59], s[0:1], s[58:59]
	s_mul_hi_u32 s45, s55, s56
	s_mul_hi_u32 s60, s55, s57
	s_add_co_u32 s0, s58, s53
	s_add_co_ci_u32 s0, s59, s45
	s_mul_i32 s56, s55, s57
	s_add_co_ci_u32 s57, s60, 0
	s_delay_alu instid0(SALU_CYCLE_1) | instskip(NEXT) | instid1(SALU_CYCLE_1)
	s_add_nc_u64 s[56:57], s[0:1], s[56:57]
	s_add_co_u32 s54, s54, s56
	s_cselect_b32 s0, -1, 0
	v_mul_hi_u32 v38, v30, s54
	s_cmp_lg_u32 s0, 0
	s_add_co_ci_u32 s0, s55, s57
	s_and_b64 s[56:57], s[54:55], s[36:37]
	v_mul_u64_e32 v[32:33], s[0:1], v[30:31]
	v_mul_u64_e32 v[28:29], s[56:57], v[34:35]
	;; [unrolled: 1-line block ×3, first 2 shown]
	s_delay_alu instid0(VALU_DEP_3) | instskip(NEXT) | instid1(VALU_DEP_1)
	v_add_nc_u64_e32 v[32:33], v[38:39], v[32:33]
	v_add_co_u32 v18, vcc_lo, v32, v28
	s_delay_alu instid0(VALU_DEP_2) | instskip(NEXT) | instid1(VALU_DEP_4)
	v_add_co_ci_u32_e32 v38, vcc_lo, v33, v29, vcc_lo
	v_add_co_ci_u32_e32 v37, vcc_lo, 0, v37, vcc_lo
	s_delay_alu instid0(VALU_DEP_1) | instskip(NEXT) | instid1(VALU_DEP_1)
	v_add_nc_u64_e32 v[28:29], v[38:39], v[36:37]
	v_mul_u64_e32 v[32:33], s[46:47], v[28:29]
	s_delay_alu instid0(VALU_DEP_1) | instskip(NEXT) | instid1(VALU_DEP_2)
	v_sub_nc_u32_e32 v18, v34, v33
	v_sub_co_u32 v21, vcc_lo, v30, v32
	s_delay_alu instid0(VALU_DEP_1) | instskip(NEXT) | instid1(VALU_DEP_3)
	v_sub_co_ci_u32_e64 v34, null, v34, v33, vcc_lo
	v_subrev_co_ci_u32_e64 v18, null, s47, v18, vcc_lo
	s_delay_alu instid0(VALU_DEP_3) | instskip(SKIP_1) | instid1(VALU_DEP_3)
	v_sub_co_u32 v27, s0, v21, s46
	v_add_nc_u64_e32 v[32:33], 1, v[28:29]
	v_subrev_co_ci_u32_e64 v18, null, 0, v18, s0
	s_delay_alu instid0(VALU_DEP_3) | instskip(SKIP_1) | instid1(VALU_DEP_3)
	v_cmp_le_u32_e32 vcc_lo, s46, v27
	v_cndmask_b32_e64 v27, 0, -1, vcc_lo
	v_cmp_le_u32_e32 vcc_lo, s47, v18
	v_cndmask_b32_e64 v30, 0, -1, vcc_lo
	v_cmp_le_u32_e32 vcc_lo, s46, v21
	v_cndmask_b32_e64 v21, 0, -1, vcc_lo
	v_cmp_le_u32_e32 vcc_lo, s47, v34
	v_cndmask_b32_e64 v35, 0, -1, vcc_lo
	v_cmp_eq_u32_e32 vcc_lo, s47, v18
	v_cndmask_b32_e32 v18, v30, v27, vcc_lo
	v_cmp_eq_u32_e32 vcc_lo, s47, v34
	v_add_nc_u64_e32 v[30:31], 2, v[28:29]
	v_cndmask_b32_e32 v21, v35, v21, vcc_lo
	s_delay_alu instid0(VALU_DEP_4) | instskip(NEXT) | instid1(VALU_DEP_2)
	v_cmp_ne_u32_e32 vcc_lo, 0, v18
	v_cmp_ne_u32_e64 s0, 0, v21
	s_delay_alu instid0(VALU_DEP_4) | instskip(NEXT) | instid1(VALU_DEP_1)
	v_dual_cndmask_b32 v18, v33, v31 :: v_dual_cndmask_b32 v21, v32, v30
	v_dual_cndmask_b32 v21, v28, v21, s0 :: v_dual_bitop2_b32 v26, s44, v26 bitop3:0x14
	s_delay_alu instid0(VALU_DEP_1) | instskip(NEXT) | instid1(VALU_DEP_2)
	v_dual_cndmask_b32 v18, v29, v18, s0 :: v_dual_mov_b32 v27, v26
	v_xor_b32_e32 v28, v21, v26
	s_delay_alu instid0(VALU_DEP_2) | instskip(NEXT) | instid1(VALU_DEP_1)
	v_xor_b32_e32 v29, v18, v26
	v_sub_nc_u64_e32 v[26:27], v[28:29], v[26:27]
.LBB115_10:                             ;   in Loop: Header=BB115_8 Depth=1
	s_and_not1_saveexec_b32 s0, s49
	s_cbranch_execz .LBB115_7
; %bb.11:                               ;   in Loop: Header=BB115_8 Depth=1
	v_cvt_f32_u32_e32 v18, s42
	s_sub_co_i32 s44, 0, s42
	s_delay_alu instid0(VALU_DEP_1) | instskip(SKIP_1) | instid1(TRANS32_DEP_1)
	v_rcp_iflag_f32_e32 v18, v18
	v_nop
	v_mul_f32_e32 v18, 0x4f7ffffe, v18
	s_delay_alu instid0(VALU_DEP_1) | instskip(NEXT) | instid1(VALU_DEP_1)
	v_cvt_u32_f32_e32 v18, v18
	v_mul_lo_u32 v21, s44, v18
	s_delay_alu instid0(VALU_DEP_1) | instskip(NEXT) | instid1(VALU_DEP_1)
	v_mul_hi_u32 v21, v18, v21
	v_add_nc_u32_e32 v18, v18, v21
	s_delay_alu instid0(VALU_DEP_1) | instskip(NEXT) | instid1(VALU_DEP_1)
	v_mul_hi_u32 v18, v24, v18
	v_mul_lo_u32 v21, v18, s42
	s_delay_alu instid0(VALU_DEP_1) | instskip(NEXT) | instid1(VALU_DEP_1)
	v_dual_add_nc_u32 v26, 1, v18 :: v_dual_sub_nc_u32 v21, v24, v21
	v_subrev_nc_u32_e32 v27, s42, v21
	v_cmp_le_u32_e32 vcc_lo, s42, v21
	s_delay_alu instid0(VALU_DEP_2) | instskip(NEXT) | instid1(VALU_DEP_4)
	v_dual_cndmask_b32 v21, v21, v27, vcc_lo :: v_dual_mov_b32 v27, v20
	v_cndmask_b32_e32 v18, v18, v26, vcc_lo
	s_delay_alu instid0(VALU_DEP_2) | instskip(NEXT) | instid1(VALU_DEP_2)
	v_cmp_le_u32_e32 vcc_lo, s42, v21
	v_add_nc_u32_e32 v26, 1, v18
	s_delay_alu instid0(VALU_DEP_1)
	v_cndmask_b32_e32 v26, v18, v26, vcc_lo
	s_branch .LBB115_7
.LBB115_12:
	s_get_pc_i64 s[0:1]
	s_add_nc_u64 s[0:1], s[0:1], .str.9@rel64+4
	s_mov_b32 s35, -1
	s_cmp_lg_u64 s[0:1], 0
	s_mov_b32 s0, 0
	s_cselect_b32 s49, -1, 0
	s_mov_b32 s53, 0
	s_mov_b32 s1, exec_lo
	v_cmpx_gt_i32_e64 v14, v16
	s_cbranch_execz .LBB115_18
; %bb.13:
	v_lshlrev_b64_e32 v[20:21], 2, v[22:23]
	v_dual_mov_b32 v22, v16 :: v_dual_ashrrev_i32 v23, 31, v16
	v_dual_mov_b32 v26, v14 :: v_dual_ashrrev_i32 v27, 31, v14
	s_mov_b32 s35, 0
	s_xor_b32 s37, s49, -1
	s_delay_alu instid0(VALU_DEP_2) | instskip(SKIP_1) | instid1(VALU_DEP_2)
	v_lshl_add_u64 v[22:23], v[22:23], 2, v[20:21]
	v_add_nc_u64_e32 v[24:25], s[14:15], v[20:21]
                                        ; implicit-def: $sgpr36
                                        ; implicit-def: $sgpr39
                                        ; implicit-def: $sgpr38
	v_add_nc_u64_e32 v[22:23], s[14:15], v[22:23]
	s_delay_alu instid0(VALU_DEP_1) | instskip(NEXT) | instid1(VALU_DEP_3)
	v_add_nc_u64_e32 v[20:21], 4, v[22:23]
	v_lshl_add_u64 v[22:23], v[26:27], 2, v[24:25]
	s_branch .LBB115_15
.LBB115_14:                             ;   in Loop: Header=BB115_15 Depth=1
	s_or_b32 exec_lo, exec_lo, s40
	s_delay_alu instid0(SALU_CYCLE_1) | instskip(NEXT) | instid1(SALU_CYCLE_1)
	s_and_b32 s40, exec_lo, s39
	s_or_b32 s35, s40, s35
	s_and_not1_b32 s36, s36, exec_lo
	s_and_b32 s40, s38, exec_lo
	s_delay_alu instid0(SALU_CYCLE_1)
	s_or_b32 s36, s36, s40
	s_and_not1_b32 exec_lo, exec_lo, s35
	s_cbranch_execz .LBB115_17
.LBB115_15:                             ; =>This Inner Loop Header: Depth=1
	s_or_b32 s38, s38, exec_lo
	s_or_b32 s39, s39, exec_lo
	s_mov_b32 s40, exec_lo
	s_delay_alu instid0(VALU_DEP_2)
	v_cmpx_lt_u64_e64 v[20:21], v[22:23]
	s_cbranch_execz .LBB115_14
; %bb.16:                               ;   in Loop: Header=BB115_15 Depth=1
	global_load_b64 v[24:25], v[20:21], off offset:-4
	s_wait_xcnt 0x0
	v_add_nc_u64_e32 v[20:21], 4, v[20:21]
	s_and_not1_b32 s39, s39, exec_lo
	s_and_not1_b32 s38, s38, exec_lo
	s_wait_loadcnt 0x0
	v_cmp_ge_i32_e32 vcc_lo, v24, v25
	s_or_b32 s41, s37, vcc_lo
	s_delay_alu instid0(SALU_CYCLE_1) | instskip(NEXT) | instid1(SALU_CYCLE_1)
	s_and_b32 s41, s41, exec_lo
	s_or_b32 s39, s39, s41
	s_branch .LBB115_14
.LBB115_17:
	s_or_b32 exec_lo, exec_lo, s35
	s_delay_alu instid0(SALU_CYCLE_1)
	s_mov_b32 s53, exec_lo
	s_or_not1_b32 s35, s36, exec_lo
.LBB115_18:
	s_or_b32 exec_lo, exec_lo, s1
	s_mov_b32 s36, 0
	s_mov_b32 s37, 0
	;; [unrolled: 1-line block ×3, first 2 shown]
	s_and_saveexec_b32 s54, s35
	s_cbranch_execz .LBB115_64
; %bb.19:
	s_mov_b32 s0, 0
	s_mov_b32 s1, -1
	s_mov_b32 s35, 0
	s_mov_b32 s55, exec_lo
	s_wait_loadcnt 0x6
	v_cmpx_eq_u32_e64 s33, v1
	s_cbranch_execz .LBB115_63
; %bb.20:
	s_mov_b32 s0, -1
	s_mov_b32 s38, 0
	s_mov_b32 s39, 0
	s_mov_b32 s56, exec_lo
	v_cmpx_eq_u32_e64 v9, v8
	s_cbranch_execz .LBB115_62
; %bb.21:
	v_sub_nc_u32_e32 v1, v15, v17
	s_mov_b32 s35, -1
	s_mov_b32 s1, 0
	s_delay_alu instid0(VALU_DEP_1) | instskip(SKIP_2) | instid1(SALU_CYCLE_1)
	v_cmp_le_i32_e32 vcc_lo, s33, v1
	v_cmp_ge_i32_e64 s0, s4, v1
	s_and_b32 s0, vcc_lo, s0
	s_and_saveexec_b32 s57, s0
	s_cbranch_execz .LBB115_61
; %bb.22:
	v_mov_b64_e32 v[20:21], 0
	s_and_not1_b32 vcc_lo, exec_lo, s50
	s_cbranch_vccnz .LBB115_29
; %bb.23:
	s_wait_loadcnt 0x1
	v_dual_mov_b32 v20, v19 :: v_dual_ashrrev_i32 v21, 31, v19
	s_mov_b32 s35, s1
	v_mov_b32_e32 v18, 0
	s_lshl_b64 s[40:41], s[34:35], 3
	s_mov_b64 s[36:37], 0xffffffff
	v_mul_u64_e32 v[22:23], s[6:7], v[20:21]
	v_mov_b64_e32 v[20:21], 0
	s_add_nc_u64 s[38:39], s[10:11], s[40:41]
	s_add_nc_u64 s[40:41], s[12:13], s[40:41]
	s_mov_b32 s35, s8
	s_branch .LBB115_25
.LBB115_24:                             ;   in Loop: Header=BB115_25 Depth=1
	s_or_b32 exec_lo, exec_lo, s0
	s_delay_alu instid0(VALU_DEP_1)
	v_mul_u64_e32 v[26:27], s[42:43], v[24:25]
	s_load_b64 s[42:43], s[40:41], 0x0
	s_add_co_i32 s35, s35, -1
	s_add_nc_u64 s[38:39], s[38:39], -8
	s_cmp_lg_u32 s35, 0
	s_wait_xcnt 0x0
	s_add_nc_u64 s[40:41], s[40:41], -8
	s_delay_alu instid0(VALU_DEP_1) | instskip(SKIP_1) | instid1(VALU_DEP_1)
	v_sub_nc_u64_e32 v[22:23], v[22:23], v[26:27]
	s_wait_kmcnt 0x0
	v_mad_nc_u64_u32 v[20:21], v22, s42, v[20:21]
	s_delay_alu instid0(VALU_DEP_1) | instskip(NEXT) | instid1(VALU_DEP_1)
	v_mad_u32 v1, v23, s42, v21
	v_mad_u32 v21, v22, s43, v1
	v_mov_b64_e32 v[22:23], v[24:25]
	s_cbranch_scc0 .LBB115_29
.LBB115_25:                             ; =>This Inner Loop Header: Depth=1
	s_load_b64 s[42:43], s[38:39], 0x0
                                        ; implicit-def: $vgpr24_vgpr25
	s_mov_b32 s0, exec_lo
	s_wait_kmcnt 0x0
	s_delay_alu instid0(VALU_DEP_1) | instskip(NEXT) | instid1(VALU_DEP_1)
	v_or_b32_e32 v19, s43, v23
	v_cmpx_ne_u64_e32 0, v[18:19]
	s_xor_b32 s58, exec_lo, s0
	s_cbranch_execz .LBB115_27
; %bb.26:                               ;   in Loop: Header=BB115_25 Depth=1
	s_ashr_i32 s44, s43, 31
	v_dual_mov_b32 v29, v18 :: v_dual_ashrrev_i32 v24, 31, v23
	s_mov_b32 s45, s44
	s_delay_alu instid0(SALU_CYCLE_1) | instskip(NEXT) | instid1(VALU_DEP_1)
	s_add_nc_u64 s[46:47], s[42:43], s[44:45]
	v_mov_b32_e32 v25, v24
	s_xor_b64 s[46:47], s[46:47], s[44:45]
	s_delay_alu instid0(SALU_CYCLE_1)
	s_cvt_f32_u32 s0, s46
	s_cvt_f32_u32 s45, s47
	s_sub_nc_u64 s[62:63], 0, s[46:47]
	v_add_nc_u64_e32 v[26:27], v[22:23], v[24:25]
	v_mov_b32_e32 v33, v18
	s_fmamk_f32 s0, s45, 0x4f800000, s0
	s_delay_alu instid0(SALU_CYCLE_3) | instskip(NEXT) | instid1(VALU_DEP_2)
	v_s_rcp_f32 s0, s0
	v_xor_b32_e32 v28, v26, v24
	s_delay_alu instid0(VALU_DEP_3) | instskip(NEXT) | instid1(TRANS32_DEP_1)
	v_dual_mov_b32 v37, v18 :: v_dual_bitop2_b32 v32, v27, v24 bitop3:0x14
	s_mul_f32 s0, s0, 0x5f7ffffc
	s_delay_alu instid0(SALU_CYCLE_3) | instskip(NEXT) | instid1(SALU_CYCLE_3)
	s_mul_f32 s45, s0, 0x2f800000
	s_trunc_f32 s45, s45
	s_delay_alu instid0(SALU_CYCLE_3) | instskip(SKIP_1) | instid1(SALU_CYCLE_2)
	s_fmamk_f32 s0, s45, 0xcf800000, s0
	s_cvt_u32_f32 s61, s45
	s_cvt_u32_f32 s60, s0
	s_delay_alu instid0(SALU_CYCLE_3) | instskip(NEXT) | instid1(SALU_CYCLE_1)
	s_mul_u64 s[64:65], s[62:63], s[60:61]
	s_mul_hi_u32 s67, s60, s65
	s_mul_i32 s66, s60, s65
	s_mul_hi_u32 s0, s60, s64
	s_mul_i32 s59, s61, s64
	s_add_nc_u64 s[66:67], s[0:1], s[66:67]
	s_mul_hi_u32 s45, s61, s64
	s_mul_hi_u32 s68, s61, s65
	s_add_co_u32 s0, s66, s59
	s_add_co_ci_u32 s0, s67, s45
	s_mul_i32 s64, s61, s65
	s_add_co_ci_u32 s65, s68, 0
	s_delay_alu instid0(SALU_CYCLE_1) | instskip(NEXT) | instid1(SALU_CYCLE_1)
	s_add_nc_u64 s[64:65], s[0:1], s[64:65]
	s_add_co_u32 s60, s60, s64
	s_cselect_b32 s0, -1, 0
	s_delay_alu instid0(SALU_CYCLE_1) | instskip(SKIP_1) | instid1(SALU_CYCLE_1)
	s_cmp_lg_u32 s0, 0
	s_add_co_ci_u32 s61, s61, s65
	s_mul_u64 s[62:63], s[62:63], s[60:61]
	s_delay_alu instid0(SALU_CYCLE_1)
	s_mul_hi_u32 s65, s60, s63
	s_mul_i32 s64, s60, s63
	s_mul_hi_u32 s0, s60, s62
	s_mul_i32 s59, s61, s62
	s_add_nc_u64 s[64:65], s[0:1], s[64:65]
	s_mul_hi_u32 s45, s61, s62
	s_mul_hi_u32 s66, s61, s63
	s_add_co_u32 s0, s64, s59
	s_add_co_ci_u32 s0, s65, s45
	s_mul_i32 s62, s61, s63
	s_add_co_ci_u32 s63, s66, 0
	s_delay_alu instid0(SALU_CYCLE_1) | instskip(NEXT) | instid1(SALU_CYCLE_1)
	s_add_nc_u64 s[62:63], s[0:1], s[62:63]
	s_add_co_u32 s60, s60, s62
	s_cselect_b32 s0, -1, 0
	v_mul_hi_u32 v36, v28, s60
	s_cmp_lg_u32 s0, 0
	s_add_co_ci_u32 s0, s61, s63
	s_and_b64 s[62:63], s[60:61], s[36:37]
	v_mul_u64_e32 v[30:31], s[0:1], v[28:29]
	v_mul_u64_e32 v[26:27], s[62:63], v[32:33]
	;; [unrolled: 1-line block ×3, first 2 shown]
	s_delay_alu instid0(VALU_DEP_3) | instskip(NEXT) | instid1(VALU_DEP_1)
	v_add_nc_u64_e32 v[30:31], v[36:37], v[30:31]
	v_add_co_u32 v1, vcc_lo, v30, v26
	s_delay_alu instid0(VALU_DEP_2) | instskip(NEXT) | instid1(VALU_DEP_4)
	v_add_co_ci_u32_e32 v36, vcc_lo, v31, v27, vcc_lo
	v_add_co_ci_u32_e32 v35, vcc_lo, 0, v35, vcc_lo
	s_delay_alu instid0(VALU_DEP_1) | instskip(NEXT) | instid1(VALU_DEP_1)
	v_add_nc_u64_e32 v[26:27], v[36:37], v[34:35]
	v_mul_u64_e32 v[30:31], s[46:47], v[26:27]
	s_delay_alu instid0(VALU_DEP_1) | instskip(NEXT) | instid1(VALU_DEP_2)
	v_sub_nc_u32_e32 v1, v32, v31
	v_sub_co_u32 v9, vcc_lo, v28, v30
	s_delay_alu instid0(VALU_DEP_1) | instskip(NEXT) | instid1(VALU_DEP_3)
	v_sub_co_ci_u32_e64 v16, null, v32, v31, vcc_lo
	v_subrev_co_ci_u32_e64 v1, null, s47, v1, vcc_lo
	s_delay_alu instid0(VALU_DEP_3) | instskip(SKIP_1) | instid1(VALU_DEP_3)
	v_sub_co_u32 v14, s0, v9, s46
	v_add_nc_u64_e32 v[28:29], 2, v[26:27]
	v_subrev_co_ci_u32_e64 v1, null, 0, v1, s0
	s_delay_alu instid0(VALU_DEP_3) | instskip(SKIP_2) | instid1(VALU_DEP_4)
	v_cmp_le_u32_e32 vcc_lo, s46, v14
	v_add_nc_u64_e32 v[30:31], 1, v[26:27]
	v_cndmask_b32_e64 v14, 0, -1, vcc_lo
	v_cmp_le_u32_e32 vcc_lo, s47, v1
	v_cndmask_b32_e64 v19, 0, -1, vcc_lo
	v_cmp_le_u32_e32 vcc_lo, s46, v9
	;; [unrolled: 2-line block ×3, first 2 shown]
	v_cndmask_b32_e64 v25, 0, -1, vcc_lo
	v_cmp_eq_u32_e32 vcc_lo, s47, v1
	v_cndmask_b32_e32 v1, v19, v14, vcc_lo
	v_cmp_eq_u32_e32 vcc_lo, s47, v16
	s_delay_alu instid0(VALU_DEP_4) | instskip(NEXT) | instid1(VALU_DEP_3)
	v_cndmask_b32_e32 v9, v25, v9, vcc_lo
	v_cmp_ne_u32_e32 vcc_lo, 0, v1
	s_delay_alu instid0(VALU_DEP_2) | instskip(SKIP_1) | instid1(VALU_DEP_1)
	v_cmp_ne_u32_e64 s0, 0, v9
	v_dual_cndmask_b32 v1, v31, v29, vcc_lo :: v_dual_cndmask_b32 v9, v30, v28, vcc_lo
	v_dual_cndmask_b32 v1, v27, v1, s0 :: v_dual_bitop2_b32 v24, s44, v24 bitop3:0x14
	s_delay_alu instid0(VALU_DEP_1) | instskip(NEXT) | instid1(VALU_DEP_2)
	v_dual_cndmask_b32 v9, v26, v9, s0 :: v_dual_mov_b32 v25, v24
	v_xor_b32_e32 v27, v1, v24
	s_delay_alu instid0(VALU_DEP_2) | instskip(NEXT) | instid1(VALU_DEP_1)
	v_xor_b32_e32 v26, v9, v24
	v_sub_nc_u64_e32 v[24:25], v[26:27], v[24:25]
.LBB115_27:                             ;   in Loop: Header=BB115_25 Depth=1
	s_and_not1_saveexec_b32 s0, s58
	s_cbranch_execz .LBB115_24
; %bb.28:                               ;   in Loop: Header=BB115_25 Depth=1
	v_cvt_f32_u32_e32 v1, s42
	s_sub_co_i32 s44, 0, s42
	v_mov_b32_e32 v25, v18
	s_delay_alu instid0(VALU_DEP_2) | instskip(SKIP_1) | instid1(TRANS32_DEP_1)
	v_rcp_iflag_f32_e32 v1, v1
	v_nop
	v_mul_f32_e32 v1, 0x4f7ffffe, v1
	s_delay_alu instid0(VALU_DEP_1) | instskip(NEXT) | instid1(VALU_DEP_1)
	v_cvt_u32_f32_e32 v1, v1
	v_mul_lo_u32 v9, s44, v1
	s_delay_alu instid0(VALU_DEP_1) | instskip(NEXT) | instid1(VALU_DEP_1)
	v_mul_hi_u32 v9, v1, v9
	v_add_nc_u32_e32 v1, v1, v9
	s_delay_alu instid0(VALU_DEP_1) | instskip(NEXT) | instid1(VALU_DEP_1)
	v_mul_hi_u32 v1, v22, v1
	v_mul_lo_u32 v9, v1, s42
	s_delay_alu instid0(VALU_DEP_1) | instskip(NEXT) | instid1(VALU_DEP_1)
	v_sub_nc_u32_e32 v9, v22, v9
	v_subrev_nc_u32_e32 v16, s42, v9
	v_cmp_le_u32_e32 vcc_lo, s42, v9
	s_delay_alu instid0(VALU_DEP_2) | instskip(NEXT) | instid1(VALU_DEP_1)
	v_dual_cndmask_b32 v9, v9, v16 :: v_dual_add_nc_u32 v14, 1, v1
	v_cndmask_b32_e32 v1, v1, v14, vcc_lo
	s_delay_alu instid0(VALU_DEP_2) | instskip(NEXT) | instid1(VALU_DEP_2)
	v_cmp_le_u32_e32 vcc_lo, s42, v9
	v_add_nc_u32_e32 v14, 1, v1
	s_delay_alu instid0(VALU_DEP_1)
	v_cndmask_b32_e32 v24, v1, v14, vcc_lo
	s_branch .LBB115_24
.LBB115_29:
	s_mov_b32 s35, -1
	s_mov_b32 s0, 0
	s_mov_b32 s58, 0
	s_mov_b32 s1, exec_lo
	v_cmpx_gt_i32_e64 v15, v17
	s_cbranch_execz .LBB115_35
; %bb.30:
	s_wait_loadcnt 0x1
	s_delay_alu instid0(VALU_DEP_2) | instskip(SKIP_3) | instid1(VALU_DEP_1)
	v_lshlrev_b64_e32 v[18:19], 2, v[20:21]
	v_dual_mov_b32 v20, v17 :: v_dual_ashrrev_i32 v21, 31, v17
	s_mov_b32 s35, 0
	s_xor_b32 s37, s49, -1
                                        ; implicit-def: $sgpr36
                                        ; implicit-def: $sgpr39
                                        ; implicit-def: $sgpr38
	v_lshl_add_u64 v[16:17], v[20:21], 2, v[18:19]
	v_add_nc_u64_e32 v[18:19], s[14:15], v[18:19]
	v_dual_mov_b32 v20, v15 :: v_dual_ashrrev_i32 v21, 31, v15
	s_delay_alu instid0(VALU_DEP_3) | instskip(NEXT) | instid1(VALU_DEP_1)
	v_add_nc_u64_e32 v[16:17], s[14:15], v[16:17]
	v_add_nc_u64_e32 v[14:15], 4, v[16:17]
	s_delay_alu instid0(VALU_DEP_3)
	v_lshl_add_u64 v[16:17], v[20:21], 2, v[18:19]
	s_branch .LBB115_32
.LBB115_31:                             ;   in Loop: Header=BB115_32 Depth=1
	s_or_b32 exec_lo, exec_lo, s40
	s_delay_alu instid0(SALU_CYCLE_1) | instskip(NEXT) | instid1(SALU_CYCLE_1)
	s_and_b32 s40, exec_lo, s39
	s_or_b32 s35, s40, s35
	s_and_not1_b32 s36, s36, exec_lo
	s_and_b32 s40, s38, exec_lo
	s_delay_alu instid0(SALU_CYCLE_1)
	s_or_b32 s36, s36, s40
	s_and_not1_b32 exec_lo, exec_lo, s35
	s_cbranch_execz .LBB115_34
.LBB115_32:                             ; =>This Inner Loop Header: Depth=1
	s_or_b32 s38, s38, exec_lo
	s_or_b32 s39, s39, exec_lo
	s_mov_b32 s40, exec_lo
	s_delay_alu instid0(VALU_DEP_2)
	v_cmpx_lt_u64_e64 v[14:15], v[16:17]
	s_cbranch_execz .LBB115_31
; %bb.33:                               ;   in Loop: Header=BB115_32 Depth=1
	global_load_b64 v[18:19], v[14:15], off offset:-4
	s_and_not1_b32 s39, s39, exec_lo
	s_wait_xcnt 0x0
	v_add_nc_u64_e32 v[14:15], 4, v[14:15]
	s_and_not1_b32 s38, s38, exec_lo
	s_wait_loadcnt 0x0
	v_cmp_ge_i32_e32 vcc_lo, v18, v19
	s_or_b32 s41, s37, vcc_lo
	s_delay_alu instid0(SALU_CYCLE_1) | instskip(NEXT) | instid1(SALU_CYCLE_1)
	s_and_b32 s41, s41, exec_lo
	s_or_b32 s39, s39, s41
	s_branch .LBB115_31
.LBB115_34:
	s_or_b32 exec_lo, exec_lo, s35
	s_delay_alu instid0(SALU_CYCLE_1)
	s_mov_b32 s58, exec_lo
	s_or_not1_b32 s35, s36, exec_lo
.LBB115_35:
	s_or_b32 exec_lo, exec_lo, s1
	s_mov_b32 s1, 0
	s_mov_b32 s36, 0
	;; [unrolled: 1-line block ×3, first 2 shown]
	s_and_saveexec_b32 s59, s35
	s_cbranch_execz .LBB115_60
; %bb.36:
	s_mov_b32 s0, 0
	s_mov_b32 s1, -1
	s_mov_b32 s35, 0
	s_mov_b32 s60, exec_lo
	s_wait_loadcnt 0x5
	v_cmpx_eq_u32_e64 s33, v12
	s_cbranch_execz .LBB115_59
; %bb.37:
	s_mov_b32 s0, -1
	s_mov_b32 s38, 0
	s_mov_b32 s39, 0
	s_mov_b32 s61, exec_lo
	s_wait_loadcnt 0x4
	v_cmpx_eq_u32_e64 v10, v8
	s_cbranch_execz .LBB115_58
; %bb.38:
	s_wait_loadcnt 0x2
	v_sub_nc_u32_e32 v1, v2, v4
	s_mov_b32 s35, -1
	s_mov_b32 s1, 0
	s_delay_alu instid0(VALU_DEP_1) | instskip(SKIP_2) | instid1(SALU_CYCLE_1)
	v_cmp_le_i32_e32 vcc_lo, s33, v1
	v_cmp_ge_i32_e64 s0, s4, v1
	s_and_b32 s0, vcc_lo, s0
	s_and_saveexec_b32 s62, s0
	s_cbranch_execz .LBB115_57
; %bb.39:
	v_mov_b64_e32 v[14:15], 0
	s_and_not1_b32 vcc_lo, exec_lo, s50
	s_cbranch_vccnz .LBB115_46
; %bb.40:
	s_wait_loadcnt 0x0
	v_dual_mov_b32 v14, v6 :: v_dual_ashrrev_i32 v15, 31, v6
	s_mov_b32 s35, s1
	v_mov_b32_e32 v16, 0
	s_lshl_b64 s[40:41], s[34:35], 3
	s_mov_b64 s[36:37], 0xffffffff
	v_mul_u64_e32 v[18:19], s[6:7], v[14:15]
	v_mov_b64_e32 v[14:15], 0
	s_add_nc_u64 s[38:39], s[10:11], s[40:41]
	s_add_nc_u64 s[40:41], s[12:13], s[40:41]
	s_mov_b32 s35, s8
	s_branch .LBB115_42
.LBB115_41:                             ;   in Loop: Header=BB115_42 Depth=1
	s_or_b32 exec_lo, exec_lo, s0
	s_delay_alu instid0(VALU_DEP_1)
	v_mul_u64_e32 v[22:23], s[42:43], v[20:21]
	s_load_b64 s[42:43], s[40:41], 0x0
	s_add_co_i32 s35, s35, -1
	s_add_nc_u64 s[38:39], s[38:39], -8
	s_cmp_lg_u32 s35, 0
	s_wait_xcnt 0x0
	s_add_nc_u64 s[40:41], s[40:41], -8
	s_delay_alu instid0(VALU_DEP_1) | instskip(SKIP_1) | instid1(VALU_DEP_1)
	v_sub_nc_u64_e32 v[18:19], v[18:19], v[22:23]
	s_wait_kmcnt 0x0
	v_mad_nc_u64_u32 v[14:15], v18, s42, v[14:15]
	s_delay_alu instid0(VALU_DEP_1) | instskip(NEXT) | instid1(VALU_DEP_1)
	v_mad_u32 v1, v19, s42, v15
	v_mad_u32 v15, v18, s43, v1
	v_mov_b64_e32 v[18:19], v[20:21]
	s_cbranch_scc0 .LBB115_46
.LBB115_42:                             ; =>This Inner Loop Header: Depth=1
	s_load_b64 s[42:43], s[38:39], 0x0
                                        ; implicit-def: $vgpr20_vgpr21
	s_mov_b32 s0, exec_lo
	s_wait_kmcnt 0x0
	s_delay_alu instid0(VALU_DEP_1) | instskip(NEXT) | instid1(VALU_DEP_1)
	v_or_b32_e32 v17, s43, v19
	v_cmpx_ne_u64_e32 0, v[16:17]
	s_xor_b32 s63, exec_lo, s0
	s_cbranch_execz .LBB115_44
; %bb.43:                               ;   in Loop: Header=BB115_42 Depth=1
	s_ashr_i32 s44, s43, 31
	v_dual_mov_b32 v25, v16 :: v_dual_ashrrev_i32 v20, 31, v19
	s_mov_b32 s45, s44
	v_mov_b32_e32 v33, v16
	s_add_nc_u64 s[46:47], s[42:43], s[44:45]
	s_delay_alu instid0(VALU_DEP_2) | instskip(SKIP_1) | instid1(SALU_CYCLE_1)
	v_mov_b32_e32 v21, v20
	s_xor_b64 s[46:47], s[46:47], s[44:45]
	s_cvt_f32_u32 s0, s46
	s_cvt_f32_u32 s45, s47
	s_sub_nc_u64 s[66:67], 0, s[46:47]
	v_add_nc_u64_e32 v[22:23], v[18:19], v[20:21]
	v_mov_b32_e32 v29, v16
	s_fmamk_f32 s0, s45, 0x4f800000, s0
	s_delay_alu instid0(SALU_CYCLE_3) | instskip(NEXT) | instid1(VALU_DEP_2)
	v_s_rcp_f32 s0, s0
	v_xor_b32_e32 v24, v22, v20
	s_delay_alu instid0(VALU_DEP_3) | instskip(SKIP_1) | instid1(TRANS32_DEP_1)
	v_xor_b32_e32 v28, v23, v20
	v_xor_b32_e32 v20, s44, v20
	s_mul_f32 s0, s0, 0x5f7ffffc
	s_delay_alu instid0(VALU_DEP_1) | instskip(NEXT) | instid1(SALU_CYCLE_2)
	v_mov_b32_e32 v21, v20
	s_mul_f32 s45, s0, 0x2f800000
	s_delay_alu instid0(SALU_CYCLE_3) | instskip(NEXT) | instid1(SALU_CYCLE_3)
	s_trunc_f32 s45, s45
	s_fmamk_f32 s0, s45, 0xcf800000, s0
	s_cvt_u32_f32 s65, s45
	s_delay_alu instid0(SALU_CYCLE_2) | instskip(NEXT) | instid1(SALU_CYCLE_3)
	s_cvt_u32_f32 s64, s0
	s_mul_u64 s[68:69], s[66:67], s[64:65]
	s_delay_alu instid0(SALU_CYCLE_1)
	s_mul_hi_u32 s71, s64, s69
	s_mul_i32 s70, s64, s69
	s_mul_hi_u32 s0, s64, s68
	s_mul_i32 s72, s65, s68
	s_add_nc_u64 s[70:71], s[0:1], s[70:71]
	s_mul_hi_u32 s45, s65, s68
	s_mul_hi_u32 s73, s65, s69
	s_add_co_u32 s0, s70, s72
	s_add_co_ci_u32 s0, s71, s45
	s_mul_i32 s68, s65, s69
	s_add_co_ci_u32 s69, s73, 0
	s_delay_alu instid0(SALU_CYCLE_1) | instskip(NEXT) | instid1(SALU_CYCLE_1)
	s_add_nc_u64 s[68:69], s[0:1], s[68:69]
	s_add_co_u32 s64, s64, s68
	s_cselect_b32 s0, -1, 0
	s_delay_alu instid0(SALU_CYCLE_1) | instskip(SKIP_1) | instid1(SALU_CYCLE_1)
	s_cmp_lg_u32 s0, 0
	s_add_co_ci_u32 s65, s65, s69
	s_mul_u64 s[66:67], s[66:67], s[64:65]
	s_delay_alu instid0(SALU_CYCLE_1)
	s_mul_hi_u32 s69, s64, s67
	s_mul_i32 s68, s64, s67
	s_mul_hi_u32 s0, s64, s66
	s_mul_i32 s70, s65, s66
	s_add_nc_u64 s[68:69], s[0:1], s[68:69]
	s_mul_hi_u32 s45, s65, s66
	s_mul_hi_u32 s71, s65, s67
	s_add_co_u32 s0, s68, s70
	s_add_co_ci_u32 s0, s69, s45
	s_mul_i32 s66, s65, s67
	s_add_co_ci_u32 s67, s71, 0
	s_delay_alu instid0(SALU_CYCLE_1) | instskip(NEXT) | instid1(SALU_CYCLE_1)
	s_add_nc_u64 s[66:67], s[0:1], s[66:67]
	s_add_co_u32 s64, s64, s66
	s_cselect_b32 s0, -1, 0
	v_mul_hi_u32 v32, v24, s64
	s_cmp_lg_u32 s0, 0
	s_add_co_ci_u32 s0, s65, s67
	s_and_b64 s[66:67], s[64:65], s[36:37]
	v_mul_u64_e32 v[26:27], s[0:1], v[24:25]
	v_mul_u64_e32 v[22:23], s[66:67], v[28:29]
	;; [unrolled: 1-line block ×3, first 2 shown]
	s_delay_alu instid0(VALU_DEP_3) | instskip(NEXT) | instid1(VALU_DEP_1)
	v_add_nc_u64_e32 v[26:27], v[32:33], v[26:27]
	v_add_co_u32 v1, vcc_lo, v26, v22
	s_delay_alu instid0(VALU_DEP_2) | instskip(NEXT) | instid1(VALU_DEP_4)
	v_add_co_ci_u32_e32 v32, vcc_lo, v27, v23, vcc_lo
	v_add_co_ci_u32_e32 v31, vcc_lo, 0, v31, vcc_lo
	s_delay_alu instid0(VALU_DEP_1) | instskip(NEXT) | instid1(VALU_DEP_1)
	v_add_nc_u64_e32 v[22:23], v[32:33], v[30:31]
	v_mul_u64_e32 v[26:27], s[46:47], v[22:23]
	s_delay_alu instid0(VALU_DEP_1) | instskip(SKIP_1) | instid1(VALU_DEP_3)
	v_sub_co_u32 v6, vcc_lo, v24, v26
	v_add_nc_u64_e32 v[24:25], 2, v[22:23]
	v_sub_nc_u32_e32 v1, v28, v27
	v_sub_co_ci_u32_e64 v10, null, v28, v27, vcc_lo
	s_delay_alu instid0(VALU_DEP_4) | instskip(NEXT) | instid1(VALU_DEP_3)
	v_sub_co_u32 v9, s0, v6, s46
	v_subrev_co_ci_u32_e64 v1, null, s47, v1, vcc_lo
	v_add_nc_u64_e32 v[26:27], 1, v[22:23]
	s_delay_alu instid0(VALU_DEP_3) | instskip(NEXT) | instid1(VALU_DEP_3)
	v_cmp_le_u32_e32 vcc_lo, s46, v9
	v_subrev_co_ci_u32_e64 v1, null, 0, v1, s0
	v_cndmask_b32_e64 v9, 0, -1, vcc_lo
	s_delay_alu instid0(VALU_DEP_2)
	v_cmp_le_u32_e32 vcc_lo, s47, v1
	v_cndmask_b32_e64 v12, 0, -1, vcc_lo
	v_cmp_le_u32_e32 vcc_lo, s46, v6
	v_cndmask_b32_e64 v6, 0, -1, vcc_lo
	;; [unrolled: 2-line block ×3, first 2 shown]
	v_cmp_eq_u32_e32 vcc_lo, s47, v1
	v_cndmask_b32_e32 v1, v12, v9, vcc_lo
	v_cmp_eq_u32_e32 vcc_lo, s47, v10
	s_delay_alu instid0(VALU_DEP_4) | instskip(NEXT) | instid1(VALU_DEP_3)
	v_cndmask_b32_e32 v6, v17, v6, vcc_lo
	v_cmp_ne_u32_e32 vcc_lo, 0, v1
	s_delay_alu instid0(VALU_DEP_2) | instskip(SKIP_1) | instid1(VALU_DEP_1)
	v_cmp_ne_u32_e64 s0, 0, v6
	v_dual_cndmask_b32 v6, v26, v24 :: v_dual_cndmask_b32 v1, v27, v25
	v_dual_cndmask_b32 v6, v22, v6, s0 :: v_dual_cndmask_b32 v1, v23, v1, s0
	s_delay_alu instid0(VALU_DEP_1) | instskip(NEXT) | instid1(VALU_DEP_2)
	v_xor_b32_e32 v22, v6, v20
	v_xor_b32_e32 v23, v1, v20
	s_delay_alu instid0(VALU_DEP_1)
	v_sub_nc_u64_e32 v[20:21], v[22:23], v[20:21]
.LBB115_44:                             ;   in Loop: Header=BB115_42 Depth=1
	s_and_not1_saveexec_b32 s0, s63
	s_cbranch_execz .LBB115_41
; %bb.45:                               ;   in Loop: Header=BB115_42 Depth=1
	v_cvt_f32_u32_e32 v1, s42
	s_sub_co_i32 s44, 0, s42
	v_mov_b32_e32 v21, v16
	s_delay_alu instid0(VALU_DEP_2) | instskip(SKIP_1) | instid1(TRANS32_DEP_1)
	v_rcp_iflag_f32_e32 v1, v1
	v_nop
	v_mul_f32_e32 v1, 0x4f7ffffe, v1
	s_delay_alu instid0(VALU_DEP_1) | instskip(NEXT) | instid1(VALU_DEP_1)
	v_cvt_u32_f32_e32 v1, v1
	v_mul_lo_u32 v6, s44, v1
	s_delay_alu instid0(VALU_DEP_1) | instskip(NEXT) | instid1(VALU_DEP_1)
	v_mul_hi_u32 v6, v1, v6
	v_add_nc_u32_e32 v1, v1, v6
	s_delay_alu instid0(VALU_DEP_1) | instskip(NEXT) | instid1(VALU_DEP_1)
	v_mul_hi_u32 v1, v18, v1
	v_mul_lo_u32 v6, v1, s42
	s_delay_alu instid0(VALU_DEP_1) | instskip(NEXT) | instid1(VALU_DEP_1)
	v_sub_nc_u32_e32 v6, v18, v6
	v_subrev_nc_u32_e32 v10, s42, v6
	v_cmp_le_u32_e32 vcc_lo, s42, v6
	s_delay_alu instid0(VALU_DEP_2) | instskip(NEXT) | instid1(VALU_DEP_1)
	v_dual_cndmask_b32 v6, v6, v10 :: v_dual_add_nc_u32 v9, 1, v1
	v_cndmask_b32_e32 v1, v1, v9, vcc_lo
	s_delay_alu instid0(VALU_DEP_2) | instskip(NEXT) | instid1(VALU_DEP_2)
	v_cmp_le_u32_e32 vcc_lo, s42, v6
	v_add_nc_u32_e32 v9, 1, v1
	s_delay_alu instid0(VALU_DEP_1)
	v_cndmask_b32_e32 v20, v1, v9, vcc_lo
	s_branch .LBB115_41
.LBB115_46:
	s_mov_b32 s38, -1
	s_mov_b32 s0, 0
	s_mov_b32 s35, 0
	s_mov_b32 s1, exec_lo
	v_cmpx_gt_i32_e64 v2, v4
	s_cbranch_execz .LBB115_52
; %bb.47:
	s_delay_alu instid0(VALU_DEP_2) | instskip(SKIP_3) | instid1(VALU_DEP_2)
	v_lshlrev_b64_e32 v[14:15], 2, v[14:15]
	v_dual_mov_b32 v16, v4 :: v_dual_ashrrev_i32 v17, 31, v4
	v_dual_mov_b32 v20, v2 :: v_dual_ashrrev_i32 v21, 31, v2
	s_xor_b32 s37, s49, -1
                                        ; implicit-def: $sgpr36
                                        ; implicit-def: $sgpr39
                                        ; implicit-def: $sgpr38
	v_lshl_add_u64 v[16:17], v[16:17], 2, v[14:15]
	s_wait_loadcnt 0x1
	v_add_nc_u64_e32 v[18:19], s[14:15], v[14:15]
	s_delay_alu instid0(VALU_DEP_2) | instskip(NEXT) | instid1(VALU_DEP_1)
	v_add_nc_u64_e32 v[16:17], s[14:15], v[16:17]
	v_add_nc_u64_e32 v[14:15], 4, v[16:17]
	s_delay_alu instid0(VALU_DEP_3)
	v_lshl_add_u64 v[16:17], v[20:21], 2, v[18:19]
	s_branch .LBB115_49
.LBB115_48:                             ;   in Loop: Header=BB115_49 Depth=1
	s_or_b32 exec_lo, exec_lo, s40
	s_delay_alu instid0(SALU_CYCLE_1) | instskip(NEXT) | instid1(SALU_CYCLE_1)
	s_and_b32 s40, exec_lo, s39
	s_or_b32 s35, s40, s35
	s_and_not1_b32 s36, s36, exec_lo
	s_and_b32 s40, s38, exec_lo
	s_delay_alu instid0(SALU_CYCLE_1)
	s_or_b32 s36, s36, s40
	s_and_not1_b32 exec_lo, exec_lo, s35
	s_cbranch_execz .LBB115_51
.LBB115_49:                             ; =>This Inner Loop Header: Depth=1
	s_or_b32 s38, s38, exec_lo
	s_or_b32 s39, s39, exec_lo
	s_mov_b32 s40, exec_lo
	s_delay_alu instid0(VALU_DEP_2)
	v_cmpx_lt_u64_e64 v[14:15], v[16:17]
	s_cbranch_execz .LBB115_48
; %bb.50:                               ;   in Loop: Header=BB115_49 Depth=1
	global_load_b64 v[18:19], v[14:15], off offset:-4
	s_and_not1_b32 s39, s39, exec_lo
	s_wait_xcnt 0x0
	v_add_nc_u64_e32 v[14:15], 4, v[14:15]
	s_and_not1_b32 s38, s38, exec_lo
	s_wait_loadcnt 0x0
	v_cmp_ge_i32_e32 vcc_lo, v18, v19
	s_or_b32 s41, s37, vcc_lo
	s_delay_alu instid0(SALU_CYCLE_1) | instskip(NEXT) | instid1(SALU_CYCLE_1)
	s_and_b32 s41, s41, exec_lo
	s_or_b32 s39, s39, s41
	s_branch .LBB115_48
.LBB115_51:
	s_or_b32 exec_lo, exec_lo, s35
	s_delay_alu instid0(SALU_CYCLE_1)
	s_mov_b32 s35, exec_lo
	s_or_not1_b32 s38, s36, exec_lo
.LBB115_52:
	s_or_b32 exec_lo, exec_lo, s1
	s_mov_b32 s36, 0
	s_mov_b32 s37, 0
	s_and_saveexec_b32 s1, s38
	s_cbranch_execz .LBB115_56
; %bb.53:
	s_mov_b32 s0, 0
	s_mov_b32 s37, -1
	s_mov_b32 s38, exec_lo
	v_cmpx_eq_u32_e64 s33, v13
	s_xor_b32 s38, exec_lo, s38
; %bb.54:
	v_cmp_ne_u32_e32 vcc_lo, v11, v8
	s_mov_b32 s36, exec_lo
	s_xor_b32 s37, exec_lo, -1
	s_and_b32 s0, vcc_lo, exec_lo
; %bb.55:
	s_or_b32 exec_lo, exec_lo, s38
	s_delay_alu instid0(SALU_CYCLE_1)
	s_and_b32 s37, s37, exec_lo
	s_and_not1_b32 s35, s35, exec_lo
	s_and_b32 s36, s36, exec_lo
	s_and_b32 s0, s0, exec_lo
.LBB115_56:
	s_or_b32 exec_lo, exec_lo, s1
	s_delay_alu instid0(SALU_CYCLE_1)
	s_and_b32 s38, s37, exec_lo
	s_and_b32 s37, s35, exec_lo
	s_xor_b32 s35, exec_lo, -1
	s_and_b32 s36, s36, exec_lo
	s_and_b32 s1, s0, exec_lo
.LBB115_57:
	s_or_b32 exec_lo, exec_lo, s62
	s_delay_alu instid0(SALU_CYCLE_1)
	s_and_b32 s39, s38, exec_lo
	s_and_b32 s37, s37, exec_lo
	s_and_b32 s38, s35, exec_lo
	s_and_b32 s35, s36, exec_lo
	s_or_not1_b32 s0, s1, exec_lo
.LBB115_58:
	s_or_b32 exec_lo, exec_lo, s61
	s_delay_alu instid0(SALU_CYCLE_1)
	s_or_not1_b32 s1, s39, exec_lo
	s_and_b32 s37, s37, exec_lo
	s_and_b32 s36, s38, exec_lo
	;; [unrolled: 1-line block ×4, first 2 shown]
.LBB115_59:
	s_or_b32 exec_lo, exec_lo, s60
	s_delay_alu instid0(SALU_CYCLE_1)
	s_and_not1_b32 s38, s58, exec_lo
	s_and_b32 s39, s37, exec_lo
	s_and_b32 s37, s1, exec_lo
	s_or_b32 s58, s38, s39
	s_and_b32 s36, s36, exec_lo
	s_and_b32 s1, s35, exec_lo
	;; [unrolled: 1-line block ×3, first 2 shown]
.LBB115_60:
	s_or_b32 exec_lo, exec_lo, s59
	s_delay_alu instid0(SALU_CYCLE_1)
	s_and_b32 s38, s37, exec_lo
	s_and_b32 s37, s58, exec_lo
	s_or_not1_b32 s35, s36, exec_lo
	s_and_b32 s36, s1, exec_lo
	s_and_b32 s1, s0, exec_lo
.LBB115_61:
	s_or_b32 exec_lo, exec_lo, s57
	s_delay_alu instid0(SALU_CYCLE_1)
	s_and_b32 s39, s38, exec_lo
	s_and_b32 s37, s37, exec_lo
	;; [unrolled: 1-line block ×4, first 2 shown]
	s_or_not1_b32 s0, s1, exec_lo
.LBB115_62:
	s_or_b32 exec_lo, exec_lo, s56
	s_delay_alu instid0(SALU_CYCLE_1)
	s_or_not1_b32 s1, s39, exec_lo
	s_and_b32 s37, s37, exec_lo
	s_and_b32 s36, s38, exec_lo
	;; [unrolled: 1-line block ×4, first 2 shown]
.LBB115_63:
	s_or_b32 exec_lo, exec_lo, s55
	s_delay_alu instid0(SALU_CYCLE_1)
	s_and_not1_b32 s38, s53, exec_lo
	s_and_b32 s37, s37, exec_lo
	s_and_b32 s1, s1, exec_lo
	s_or_b32 s53, s38, s37
	s_and_b32 s37, s36, exec_lo
	s_and_b32 s36, s35, exec_lo
	;; [unrolled: 1-line block ×3, first 2 shown]
.LBB115_64:
	s_or_b32 exec_lo, exec_lo, s54
	s_delay_alu instid0(SALU_CYCLE_1)
	s_and_b32 s1, s1, exec_lo
	s_and_b32 s46, s53, exec_lo
	s_or_not1_b32 s35, s37, exec_lo
	s_and_b32 s45, s36, exec_lo
	s_and_b32 s44, s0, exec_lo
.LBB115_65:
	s_or_b32 exec_lo, exec_lo, s52
	s_delay_alu instid0(SALU_CYCLE_1)
	s_and_b32 s1, s1, exec_lo
	s_and_b32 s52, s46, exec_lo
	;; [unrolled: 1-line block ×4, first 2 shown]
	s_or_not1_b32 s40, s44, exec_lo
	s_mov_b32 s53, s8
.LBB115_66:
	s_or_b32 exec_lo, exec_lo, s51
	s_and_saveexec_b32 s36, s40
	s_cbranch_execnz .LBB115_212
.LBB115_67:
	s_or_b32 exec_lo, exec_lo, s36
	s_mov_b32 s36, 0
	s_and_saveexec_b32 s37, s0
	s_delay_alu instid0(SALU_CYCLE_1)
	s_xor_b32 s37, exec_lo, s37
	s_cbranch_execz .LBB115_106
; %bb.68:
	s_wait_loadcnt 0x2
	v_sub_nc_u32_e32 v1, v3, v5
	s_and_not1_b32 s35, s35, exec_lo
	s_mov_b32 s36, exec_lo
	s_delay_alu instid0(VALU_DEP_1) | instskip(SKIP_2) | instid1(SALU_CYCLE_1)
	v_cmp_gt_i32_e32 vcc_lo, s33, v1
	v_cmp_lt_i32_e64 s0, s4, v1
	s_or_b32 s0, vcc_lo, s0
	s_and_b32 s0, s0, exec_lo
	s_delay_alu instid0(SALU_CYCLE_1)
	s_or_b32 s35, s35, s0
	s_or_b32 exec_lo, exec_lo, s37
	s_and_saveexec_b32 s0, s35
	s_cbranch_execz .LBB115_107
.LBB115_69:
	s_or_b32 s3, s3, exec_lo
	s_and_not1_b32 s36, s36, exec_lo
	s_trap 2
	s_or_b32 exec_lo, exec_lo, s0
	s_mov_b32 s0, 0
	s_and_saveexec_b32 s51, s36
	s_cbranch_execnz .LBB115_108
.LBB115_70:
	s_or_b32 exec_lo, exec_lo, s51
	s_and_saveexec_b32 s34, s52
	s_cbranch_execnz .LBB115_175
.LBB115_71:
	s_or_b32 exec_lo, exec_lo, s34
	s_and_saveexec_b32 s34, s0
	s_delay_alu instid0(SALU_CYCLE_1)
	s_xor_b32 s0, exec_lo, s34
	s_cbranch_execz .LBB115_73
.LBB115_72:
	s_wait_loadcnt 0x2
	v_mov_b64_e32 v[2:3], 0
	s_add_nc_u64 s[30:31], s[16:17], s[30:31]
	s_clause 0x1
	global_store_b64 v0, v[2:3], s[30:31] scale_offset
	global_store_b64 v0, v[2:3], s[30:31] offset:2048 scale_offset
.LBB115_73:
	s_wait_xcnt 0x0
	s_or_b32 exec_lo, exec_lo, s0
	s_delay_alu instid0(SALU_CYCLE_1)
	s_and_b32 s3, s3, exec_lo
	s_or_not1_b32 s0, s1, exec_lo
.LBB115_74:
	s_or_b32 exec_lo, exec_lo, s48
.LBB115_75:
	s_and_saveexec_b32 s1, s0
	s_delay_alu instid0(SALU_CYCLE_1)
	s_xor_b32 s0, exec_lo, s1
	s_cbranch_execnz .LBB115_210
.LBB115_76:
	s_or_b32 exec_lo, exec_lo, s0
	s_mov_b32 s0, 0
.LBB115_77:
	s_delay_alu instid0(SALU_CYCLE_1)
	s_and_b32 vcc_lo, exec_lo, s0
	s_cbranch_vccz .LBB115_97
; %bb.78:
	s_wait_loadcnt 0x0
	v_mov_b64_e32 v[6:7], 0
	v_cmp_gt_i32_e64 s0, s5, v0
	v_dual_mov_b32 v3, 0 :: v_dual_mov_b32 v1, 0
	v_or_b32_e32 v15, 0x100, v0
	v_dual_mov_b32 v2, 0 :: v_dual_mov_b32 v4, 0
	v_dual_mov_b32 v11, 0 :: v_dual_mov_b32 v9, 0
	;; [unrolled: 1-line block ×8, first 2 shown]
	v_mov_b32_e32 v24, 0
	s_and_saveexec_b32 s1, s0
	s_cbranch_execz .LBB115_86
; %bb.79:
	v_dual_mov_b32 v18, 0 :: v_dual_bitop2_b32 v1, s2, v0 bitop3:0x54
	v_mov_b64_e32 v[6:7], 0
	v_dual_mov_b32 v14, 0 :: v_dual_mov_b32 v16, 0
	s_clause 0x4
	global_load_b32 v23, v1, s[18:19] scale_offset
	global_load_b32 v21, v1, s[20:21] scale_offset
	;; [unrolled: 1-line block ×5, first 2 shown]
	v_dual_mov_b32 v17, 0 :: v_dual_mov_b32 v19, 0
	v_dual_mov_b32 v13, 0 :: v_dual_mov_b32 v8, 0
	;; [unrolled: 1-line block ×4, first 2 shown]
	s_wait_xcnt 0x0
	v_dual_mov_b32 v2, 0 :: v_dual_mov_b32 v1, 0
	v_mov_b32_e32 v3, 0
	s_mov_b32 s9, exec_lo
	v_cmpx_gt_u32_e64 s5, v15
	s_cbranch_execz .LBB115_85
; %bb.80:
	v_dual_mov_b32 v13, 0 :: v_dual_add_nc_u32 v12, s2, v0
	v_or_b32_e32 v1, 0x200, v0
	v_mov_b64_e32 v[6:7], 0
	v_dual_mov_b32 v8, 0 :: v_dual_mov_b32 v10, 0
	s_clause 0x4
	global_load_b32 v19, v12, s[18:19] offset:1024 scale_offset
	global_load_b32 v17, v12, s[20:21] offset:1024 scale_offset
	;; [unrolled: 1-line block ×5, first 2 shown]
	v_cmp_gt_u32_e32 vcc_lo, s5, v1
	v_dual_mov_b32 v9, 0 :: v_dual_mov_b32 v11, 0
	v_dual_mov_b32 v4, 0 :: v_dual_mov_b32 v2, 0
	;; [unrolled: 1-line block ×3, first 2 shown]
	s_wait_xcnt 0x0
	s_and_saveexec_b32 s30, vcc_lo
	s_cbranch_execz .LBB115_84
; %bb.81:
	v_lshlrev_b64_e32 v[2:3], 2, v[12:13]
	v_or_b32_e32 v1, 0x300, v0
	v_mov_b64_e32 v[6:7], 0
	s_delay_alu instid0(VALU_DEP_2) | instskip(NEXT) | instid1(VALU_DEP_4)
	v_cmp_gt_u32_e32 vcc_lo, s5, v1
	v_add_nc_u64_e32 v[4:5], s[18:19], v[2:3]
	v_add_nc_u64_e32 v[26:27], s[20:21], v[2:3]
	;; [unrolled: 1-line block ×5, first 2 shown]
	v_dual_mov_b32 v2, 0 :: v_dual_mov_b32 v1, 0
	global_load_b32 v11, v[4:5], off offset:2048
	global_load_b32 v9, v[26:27], off offset:2048
	;; [unrolled: 1-line block ×5, first 2 shown]
	v_mov_b32_e32 v3, 0
	s_wait_xcnt 0x0
	s_and_saveexec_b32 s18, vcc_lo
	s_cbranch_execz .LBB115_83
; %bb.82:
	global_load_b32 v6, v[28:29], off offset:3072
	global_load_b32 v3, v[4:5], off offset:3072
	;; [unrolled: 1-line block ×5, first 2 shown]
	s_wait_loadcnt 0x4
	v_ashrrev_i32_e32 v7, 31, v6
.LBB115_83:
	s_wait_xcnt 0x0
	s_or_b32 exec_lo, exec_lo, s18
	s_wait_loadcnt 0x0
	v_dual_mov_b32 v4, v13 :: v_dual_mov_b32 v13, v12
.LBB115_84:
	s_or_b32 exec_lo, exec_lo, s30
.LBB115_85:
	s_delay_alu instid0(SALU_CYCLE_1)
	s_or_b32 exec_lo, exec_lo, s9
.LBB115_86:
	s_delay_alu instid0(SALU_CYCLE_1)
	s_or_b32 exec_lo, exec_lo, s1
	s_get_pc_i64 s[18:19]
	s_add_nc_u64 s[18:19], s[18:19], .str.7@rel64+4
	s_cmp_lg_u64 s[28:29], 0
	s_get_pc_i64 s[20:21]
	s_add_nc_u64 s[20:21], s[20:21], .str.8@rel64+4
	s_cselect_b32 s42, -1, 0
	s_cmp_lg_u64 s[18:19], 0
	v_cmp_gt_i64_e64 s9, s[6:7], 0
	s_cselect_b32 s39, -1, 0
	s_cmp_lg_u64 s[20:21], 0
	s_get_pc_i64 s[20:21]
	s_add_nc_u64 s[20:21], s[20:21], .str.9@rel64+4
	s_cselect_b32 s38, -1, 0
	s_add_co_i32 s18, s8, -1
	s_mov_b32 s1, -1
	s_cmp_gt_i32 s18, -1
	s_mov_b32 s48, 0
	s_cselect_b32 s19, -1, 0
	s_mov_b32 s46, 0
	s_and_b32 s37, s9, s19
	s_cmp_lg_u64 s[20:21], 0
	s_mov_b32 s44, 0
	s_cselect_b32 s36, -1, 0
	s_mov_b32 s43, 0
	s_mov_b32 s41, 0
	s_and_saveexec_b32 s9, s0
	s_cbranch_execz .LBB115_130
; %bb.87:
	s_wait_loadcnt 0x4
	v_cmp_eq_u32_e32 vcc_lo, s33, v23
	s_mov_b32 s19, -1
	s_mov_b32 s1, 0
	s_mov_b32 s20, 0
	;; [unrolled: 1-line block ×3, first 2 shown]
	s_and_b32 s23, s42, vcc_lo
	s_mov_b32 s22, 0
	s_and_saveexec_b32 s40, s23
	s_cbranch_execz .LBB115_129
; %bb.88:
	s_wait_loadcnt 0x3
	v_cmp_eq_u32_e32 vcc_lo, s6, v21
	s_and_b32 s22, s39, vcc_lo
	s_delay_alu instid0(SALU_CYCLE_1)
	s_and_saveexec_b32 s41, s22
	s_cbranch_execz .LBB115_128
; %bb.89:
	s_wait_loadcnt 0x1
	v_sub_nc_u32_e32 v5, v20, v22
	s_delay_alu instid0(VALU_DEP_1)
	v_cmp_le_i32_e32 vcc_lo, s33, v5
	v_cmp_ge_i32_e64 s1, s4, v5
	s_and_b32 s20, vcc_lo, s1
	s_mov_b32 s1, 0
	s_and_b32 s21, s38, s20
	s_mov_b32 s20, 0
	s_and_saveexec_b32 s43, s21
	s_cbranch_execz .LBB115_127
; %bb.90:
	v_mov_b64_e32 v[26:27], 0
	s_and_not1_b32 vcc_lo, exec_lo, s37
	s_cbranch_vccnz .LBB115_115
; %bb.91:
	s_wait_loadcnt 0x0
	v_ashrrev_i32_e32 v25, 31, v24
	s_mov_b32 s21, 0
	v_mov_b64_e32 v[26:27], 0
	s_mov_b32 s19, s21
	s_mov_b64 s[22:23], 0xffffffff
	v_mul_u64_e32 v[28:29], s[6:7], v[24:25]
	v_mov_b32_e32 v24, 0
	s_lshl_b64 s[26:27], s[18:19], 3
	s_mov_b32 s19, s8
	s_add_nc_u64 s[24:25], s[10:11], s[26:27]
	s_add_nc_u64 s[26:27], s[12:13], s[26:27]
	s_branch .LBB115_93
.LBB115_92:                             ;   in Loop: Header=BB115_93 Depth=1
	s_or_b32 exec_lo, exec_lo, s1
	s_delay_alu instid0(VALU_DEP_1)
	v_mul_u64_e32 v[32:33], s[28:29], v[30:31]
	s_load_b64 s[28:29], s[26:27], 0x0
	s_add_co_i32 s19, s19, -1
	s_add_nc_u64 s[24:25], s[24:25], -8
	s_cmp_eq_u32 s19, 0
	s_wait_xcnt 0x0
	s_add_nc_u64 s[26:27], s[26:27], -8
	s_delay_alu instid0(VALU_DEP_1) | instskip(SKIP_1) | instid1(VALU_DEP_1)
	v_sub_nc_u64_e32 v[28:29], v[28:29], v[32:33]
	s_wait_kmcnt 0x0
	v_mad_nc_u64_u32 v[26:27], v28, s28, v[26:27]
	s_delay_alu instid0(VALU_DEP_1) | instskip(NEXT) | instid1(VALU_DEP_1)
	v_mad_u32 v5, v29, s28, v27
	v_mad_u32 v27, v28, s29, v5
	v_mov_b64_e32 v[28:29], v[30:31]
	s_cbranch_scc1 .LBB115_115
.LBB115_93:                             ; =>This Inner Loop Header: Depth=1
	s_load_b64 s[28:29], s[24:25], 0x0
                                        ; implicit-def: $vgpr30_vgpr31
	s_mov_b32 s1, exec_lo
	s_wait_kmcnt 0x0
	s_delay_alu instid0(VALU_DEP_1) | instskip(NEXT) | instid1(VALU_DEP_1)
	v_or_b32_e32 v25, s29, v29
	v_cmpx_ne_u64_e32 0, v[24:25]
	s_xor_b32 s44, exec_lo, s1
	s_cbranch_execz .LBB115_95
; %bb.94:                               ;   in Loop: Header=BB115_93 Depth=1
	s_ashr_i32 s30, s29, 31
	v_dual_mov_b32 v35, v24 :: v_dual_ashrrev_i32 v30, 31, v29
	s_mov_b32 s31, s30
	s_delay_alu instid0(SALU_CYCLE_1) | instskip(NEXT) | instid1(VALU_DEP_1)
	s_add_nc_u64 s[34:35], s[28:29], s[30:31]
	v_mov_b32_e32 v31, v30
	s_xor_b64 s[34:35], s[34:35], s[30:31]
	s_delay_alu instid0(SALU_CYCLE_1)
	s_cvt_f32_u32 s1, s34
	s_cvt_f32_u32 s20, s35
	s_sub_nc_u64 s[50:51], 0, s[34:35]
	v_add_nc_u64_e32 v[32:33], v[28:29], v[30:31]
	v_mov_b32_e32 v39, v24
	s_fmamk_f32 s1, s20, 0x4f800000, s1
	s_delay_alu instid0(SALU_CYCLE_3) | instskip(NEXT) | instid1(VALU_DEP_2)
	v_s_rcp_f32 s1, s1
	v_xor_b32_e32 v34, v32, v30
	s_delay_alu instid0(VALU_DEP_3) | instskip(NEXT) | instid1(TRANS32_DEP_1)
	v_dual_mov_b32 v43, v24 :: v_dual_bitop2_b32 v38, v33, v30 bitop3:0x14
	s_mul_f32 s1, s1, 0x5f7ffffc
	s_delay_alu instid0(SALU_CYCLE_3) | instskip(NEXT) | instid1(SALU_CYCLE_3)
	s_mul_f32 s20, s1, 0x2f800000
	s_trunc_f32 s20, s20
	s_delay_alu instid0(SALU_CYCLE_3) | instskip(SKIP_1) | instid1(SALU_CYCLE_2)
	s_fmamk_f32 s1, s20, 0xcf800000, s1
	s_cvt_u32_f32 s47, s20
	s_cvt_u32_f32 s46, s1
	s_delay_alu instid0(SALU_CYCLE_3) | instskip(NEXT) | instid1(SALU_CYCLE_1)
	s_mul_u64 s[52:53], s[50:51], s[46:47]
	s_mul_hi_u32 s55, s46, s53
	s_mul_i32 s54, s46, s53
	s_mul_hi_u32 s20, s46, s52
	s_mul_i32 s31, s47, s52
	s_add_nc_u64 s[54:55], s[20:21], s[54:55]
	s_mul_hi_u32 s1, s47, s52
	s_mul_hi_u32 s45, s47, s53
	s_add_co_u32 s20, s54, s31
	s_add_co_ci_u32 s20, s55, s1
	s_mul_i32 s52, s47, s53
	s_add_co_ci_u32 s53, s45, 0
	s_delay_alu instid0(SALU_CYCLE_1) | instskip(NEXT) | instid1(SALU_CYCLE_1)
	s_add_nc_u64 s[52:53], s[20:21], s[52:53]
	s_add_co_u32 s46, s46, s52
	s_cselect_b32 s1, -1, 0
	s_delay_alu instid0(SALU_CYCLE_1) | instskip(SKIP_1) | instid1(SALU_CYCLE_1)
	s_cmp_lg_u32 s1, 0
	s_add_co_ci_u32 s47, s47, s53
	s_mul_u64 s[50:51], s[50:51], s[46:47]
	s_delay_alu instid0(SALU_CYCLE_1)
	s_mul_hi_u32 s53, s46, s51
	s_mul_i32 s52, s46, s51
	s_mul_hi_u32 s20, s46, s50
	s_mul_i32 s31, s47, s50
	s_add_nc_u64 s[52:53], s[20:21], s[52:53]
	s_mul_hi_u32 s1, s47, s50
	s_mul_hi_u32 s45, s47, s51
	s_add_co_u32 s20, s52, s31
	s_add_co_ci_u32 s20, s53, s1
	s_mul_i32 s50, s47, s51
	s_add_co_ci_u32 s51, s45, 0
	s_delay_alu instid0(SALU_CYCLE_1) | instskip(NEXT) | instid1(SALU_CYCLE_1)
	s_add_nc_u64 s[50:51], s[20:21], s[50:51]
	s_add_co_u32 s46, s46, s50
	s_cselect_b32 s1, -1, 0
	v_mul_hi_u32 v42, v34, s46
	s_cmp_lg_u32 s1, 0
	s_add_co_ci_u32 s20, s47, s51
	s_and_b64 s[50:51], s[46:47], s[22:23]
	v_mul_u64_e32 v[36:37], s[20:21], v[34:35]
	v_mul_u64_e32 v[32:33], s[50:51], v[38:39]
	;; [unrolled: 1-line block ×3, first 2 shown]
	s_delay_alu instid0(VALU_DEP_3) | instskip(NEXT) | instid1(VALU_DEP_1)
	v_add_nc_u64_e32 v[36:37], v[42:43], v[36:37]
	v_add_co_u32 v5, vcc_lo, v36, v32
	s_delay_alu instid0(VALU_DEP_2) | instskip(NEXT) | instid1(VALU_DEP_4)
	v_add_co_ci_u32_e32 v42, vcc_lo, v37, v33, vcc_lo
	v_add_co_ci_u32_e32 v41, vcc_lo, 0, v41, vcc_lo
	s_delay_alu instid0(VALU_DEP_1) | instskip(NEXT) | instid1(VALU_DEP_1)
	v_add_nc_u64_e32 v[32:33], v[42:43], v[40:41]
	v_mul_u64_e32 v[36:37], s[34:35], v[32:33]
	s_delay_alu instid0(VALU_DEP_1) | instskip(NEXT) | instid1(VALU_DEP_2)
	v_sub_nc_u32_e32 v5, v38, v37
	v_sub_co_u32 v12, vcc_lo, v34, v36
	s_delay_alu instid0(VALU_DEP_1) | instskip(NEXT) | instid1(VALU_DEP_3)
	v_sub_co_ci_u32_e64 v23, null, v38, v37, vcc_lo
	v_subrev_co_ci_u32_e64 v5, null, s35, v5, vcc_lo
	s_delay_alu instid0(VALU_DEP_3) | instskip(SKIP_1) | instid1(VALU_DEP_3)
	v_sub_co_u32 v21, s1, v12, s34
	v_add_nc_u64_e32 v[34:35], 2, v[32:33]
	v_subrev_co_ci_u32_e64 v5, null, 0, v5, s1
	s_delay_alu instid0(VALU_DEP_3) | instskip(SKIP_2) | instid1(VALU_DEP_4)
	v_cmp_le_u32_e32 vcc_lo, s34, v21
	v_add_nc_u64_e32 v[36:37], 1, v[32:33]
	v_cndmask_b32_e64 v21, 0, -1, vcc_lo
	v_cmp_le_u32_e32 vcc_lo, s35, v5
	v_cndmask_b32_e64 v25, 0, -1, vcc_lo
	v_cmp_le_u32_e32 vcc_lo, s34, v12
	v_cndmask_b32_e64 v12, 0, -1, vcc_lo
	v_cmp_le_u32_e32 vcc_lo, s35, v23
	v_cndmask_b32_e64 v31, 0, -1, vcc_lo
	v_cmp_eq_u32_e32 vcc_lo, s35, v5
	v_cndmask_b32_e32 v5, v25, v21, vcc_lo
	v_cmp_eq_u32_e32 vcc_lo, s35, v23
	s_delay_alu instid0(VALU_DEP_4) | instskip(NEXT) | instid1(VALU_DEP_3)
	v_cndmask_b32_e32 v12, v31, v12, vcc_lo
	v_cmp_ne_u32_e32 vcc_lo, 0, v5
	s_delay_alu instid0(VALU_DEP_2) | instskip(SKIP_1) | instid1(VALU_DEP_1)
	v_cmp_ne_u32_e64 s1, 0, v12
	v_dual_cndmask_b32 v5, v37, v35 :: v_dual_cndmask_b32 v12, v36, v34
	v_dual_cndmask_b32 v5, v33, v5, s1 :: v_dual_bitop2_b32 v30, s30, v30 bitop3:0x14
	s_delay_alu instid0(VALU_DEP_1) | instskip(NEXT) | instid1(VALU_DEP_2)
	v_dual_cndmask_b32 v12, v32, v12, s1 :: v_dual_mov_b32 v31, v30
	v_xor_b32_e32 v33, v5, v30
	s_delay_alu instid0(VALU_DEP_2) | instskip(NEXT) | instid1(VALU_DEP_1)
	v_xor_b32_e32 v32, v12, v30
	v_sub_nc_u64_e32 v[30:31], v[32:33], v[30:31]
.LBB115_95:                             ;   in Loop: Header=BB115_93 Depth=1
	s_and_not1_saveexec_b32 s1, s44
	s_cbranch_execz .LBB115_92
; %bb.96:                               ;   in Loop: Header=BB115_93 Depth=1
	v_cvt_f32_u32_e32 v5, s28
	s_sub_co_i32 s20, 0, s28
	v_mov_b32_e32 v31, v24
	s_delay_alu instid0(VALU_DEP_2) | instskip(SKIP_1) | instid1(TRANS32_DEP_1)
	v_rcp_iflag_f32_e32 v5, v5
	v_nop
	v_mul_f32_e32 v5, 0x4f7ffffe, v5
	s_delay_alu instid0(VALU_DEP_1) | instskip(NEXT) | instid1(VALU_DEP_1)
	v_cvt_u32_f32_e32 v5, v5
	v_mul_lo_u32 v12, s20, v5
	s_delay_alu instid0(VALU_DEP_1) | instskip(NEXT) | instid1(VALU_DEP_1)
	v_mul_hi_u32 v12, v5, v12
	v_add_nc_u32_e32 v5, v5, v12
	s_delay_alu instid0(VALU_DEP_1) | instskip(NEXT) | instid1(VALU_DEP_1)
	v_mul_hi_u32 v5, v28, v5
	v_mul_lo_u32 v12, v5, s28
	s_delay_alu instid0(VALU_DEP_1) | instskip(NEXT) | instid1(VALU_DEP_1)
	v_dual_add_nc_u32 v21, 1, v5 :: v_dual_sub_nc_u32 v12, v28, v12
	v_subrev_nc_u32_e32 v23, s28, v12
	v_cmp_le_u32_e32 vcc_lo, s28, v12
	s_delay_alu instid0(VALU_DEP_2) | instskip(NEXT) | instid1(VALU_DEP_1)
	v_dual_cndmask_b32 v12, v12, v23 :: v_dual_cndmask_b32 v5, v5, v21
	v_cmp_le_u32_e32 vcc_lo, s28, v12
	s_delay_alu instid0(VALU_DEP_2) | instskip(NEXT) | instid1(VALU_DEP_1)
	v_add_nc_u32_e32 v21, 1, v5
	v_cndmask_b32_e32 v30, v5, v21, vcc_lo
	s_branch .LBB115_92
.LBB115_97:
                                        ; implicit-def: $sgpr0
                                        ; implicit-def: $sgpr40
                                        ; implicit-def: $sgpr45
                                        ; implicit-def: $sgpr24
                                        ; implicit-def: $vgpr0
	s_and_saveexec_b32 s1, s3
.LBB115_98:
	; divergent unreachable
.LBB115_99:
	s_delay_alu instid0(SALU_CYCLE_1)
	s_or_b32 exec_lo, exec_lo, s1
	s_and_saveexec_b32 s1, s9
	s_cbranch_execz .LBB115_105
; %bb.100:
	s_and_b32 exec_lo, exec_lo, s0
	s_cbranch_execz .LBB115_105
; %bb.101:
	s_wait_loadcnt 0x2
	v_dual_mov_b32 v1, 0 :: v_dual_bitop2_b32 v2, s2, v0 bitop3:0x54
	global_store_b32 v2, v1, s[16:17] scale_offset
	s_wait_xcnt 0x0
	s_and_b32 exec_lo, exec_lo, s40
	s_cbranch_execz .LBB115_105
; %bb.102:
	v_add_nc_u32_e32 v0, s2, v0
	global_store_b32 v0, v1, s[16:17] offset:1024 scale_offset
	s_wait_xcnt 0x0
	s_and_b32 exec_lo, exec_lo, s45
	s_cbranch_execz .LBB115_105
; %bb.103:
	v_lshl_add_u64 v[0:1], v[0:1], 2, s[16:17]
	v_mov_b32_e32 v2, 0
	global_store_b32 v[0:1], v2, off offset:2048
	s_wait_xcnt 0x0
	s_and_b32 exec_lo, exec_lo, s24
	s_cbranch_execz .LBB115_105
; %bb.104:
	global_store_b32 v[0:1], v2, off offset:3072
.LBB115_105:
	s_endpgm
.LBB115_106:
	s_or_b32 exec_lo, exec_lo, s37
	s_and_saveexec_b32 s0, s35
	s_cbranch_execnz .LBB115_69
.LBB115_107:
	s_or_b32 exec_lo, exec_lo, s0
	s_mov_b32 s0, 0
	s_and_saveexec_b32 s51, s36
	s_cbranch_execz .LBB115_70
.LBB115_108:
	v_mov_b64_e32 v[8:9], 0
	s_and_not1_b32 vcc_lo, exec_lo, s50
	s_cbranch_vccnz .LBB115_120
; %bb.109:
	s_wait_loadcnt 0x0
	v_dual_mov_b32 v8, v7 :: v_dual_ashrrev_i32 v9, 31, v7
	s_mov_b32 s35, 0
	v_mov_b32_e32 v6, 0
	s_lshl_b64 s[40:41], s[34:35], 3
	s_mov_b64 s[36:37], 0xffffffff
	v_mul_u64_e32 v[10:11], s[6:7], v[8:9]
	v_mov_b64_e32 v[8:9], 0
	s_add_nc_u64 s[38:39], s[10:11], s[40:41]
	s_add_nc_u64 s[40:41], s[12:13], s[40:41]
	s_branch .LBB115_111
.LBB115_110:                            ;   in Loop: Header=BB115_111 Depth=1
	s_or_b32 exec_lo, exec_lo, s0
	s_delay_alu instid0(VALU_DEP_1)
	v_mul_u64_e32 v[14:15], s[42:43], v[12:13]
	s_load_b64 s[42:43], s[40:41], 0x0
	s_add_co_i32 s53, s53, -1
	s_add_nc_u64 s[38:39], s[38:39], -8
	s_cmp_lg_u32 s53, 0
	s_wait_xcnt 0x0
	s_add_nc_u64 s[40:41], s[40:41], -8
	s_delay_alu instid0(VALU_DEP_1) | instskip(SKIP_1) | instid1(VALU_DEP_1)
	v_sub_nc_u64_e32 v[10:11], v[10:11], v[14:15]
	s_wait_kmcnt 0x0
	v_mad_nc_u64_u32 v[8:9], v10, s42, v[8:9]
	s_delay_alu instid0(VALU_DEP_1) | instskip(NEXT) | instid1(VALU_DEP_1)
	v_mad_u32 v1, v11, s42, v9
	v_mad_u32 v9, v10, s43, v1
	v_mov_b64_e32 v[10:11], v[12:13]
	s_cbranch_scc0 .LBB115_120
.LBB115_111:                            ; =>This Inner Loop Header: Depth=1
	s_load_b64 s[42:43], s[38:39], 0x0
                                        ; implicit-def: $vgpr12_vgpr13
	s_mov_b32 s0, exec_lo
	s_wait_kmcnt 0x0
	s_delay_alu instid0(VALU_DEP_1) | instskip(NEXT) | instid1(VALU_DEP_1)
	v_or_b32_e32 v7, s43, v11
	v_cmpx_ne_u64_e32 0, v[6:7]
	s_xor_b32 s50, exec_lo, s0
	s_cbranch_execz .LBB115_113
; %bb.112:                              ;   in Loop: Header=BB115_111 Depth=1
	s_ashr_i32 s44, s43, 31
	v_dual_mov_b32 v17, v6 :: v_dual_ashrrev_i32 v12, 31, v11
	s_mov_b32 s45, s44
	s_delay_alu instid0(SALU_CYCLE_1) | instskip(NEXT) | instid1(VALU_DEP_1)
	s_add_nc_u64 s[46:47], s[42:43], s[44:45]
	v_mov_b32_e32 v13, v12
	s_xor_b64 s[46:47], s[46:47], s[44:45]
	s_delay_alu instid0(SALU_CYCLE_1)
	s_cvt_f32_u32 s0, s46
	s_cvt_f32_u32 s34, s47
	s_sub_nc_u64 s[56:57], 0, s[46:47]
	v_add_nc_u64_e32 v[14:15], v[10:11], v[12:13]
	v_mov_b32_e32 v21, v6
	s_fmamk_f32 s0, s34, 0x4f800000, s0
	s_delay_alu instid0(SALU_CYCLE_3) | instskip(NEXT) | instid1(VALU_DEP_2)
	v_s_rcp_f32 s0, s0
	v_xor_b32_e32 v16, v14, v12
	s_delay_alu instid0(VALU_DEP_3) | instskip(NEXT) | instid1(TRANS32_DEP_1)
	v_dual_mov_b32 v25, v6 :: v_dual_bitop2_b32 v20, v15, v12 bitop3:0x14
	s_mul_f32 s0, s0, 0x5f7ffffc
	s_delay_alu instid0(SALU_CYCLE_3) | instskip(NEXT) | instid1(SALU_CYCLE_3)
	s_mul_f32 s34, s0, 0x2f800000
	s_trunc_f32 s34, s34
	s_delay_alu instid0(SALU_CYCLE_3) | instskip(SKIP_1) | instid1(SALU_CYCLE_2)
	s_fmamk_f32 s0, s34, 0xcf800000, s0
	s_cvt_u32_f32 s55, s34
	s_cvt_u32_f32 s54, s0
	s_delay_alu instid0(SALU_CYCLE_3) | instskip(NEXT) | instid1(SALU_CYCLE_1)
	s_mul_u64 s[58:59], s[56:57], s[54:55]
	s_mul_hi_u32 s61, s54, s59
	s_mul_i32 s60, s54, s59
	s_mul_hi_u32 s34, s54, s58
	s_mul_i32 s45, s55, s58
	s_add_nc_u64 s[60:61], s[34:35], s[60:61]
	s_mul_hi_u32 s0, s55, s58
	s_mul_hi_u32 s62, s55, s59
	s_add_co_u32 s34, s60, s45
	s_add_co_ci_u32 s34, s61, s0
	s_mul_i32 s58, s55, s59
	s_add_co_ci_u32 s59, s62, 0
	s_delay_alu instid0(SALU_CYCLE_1) | instskip(NEXT) | instid1(SALU_CYCLE_1)
	s_add_nc_u64 s[58:59], s[34:35], s[58:59]
	s_add_co_u32 s54, s54, s58
	s_cselect_b32 s0, -1, 0
	s_delay_alu instid0(SALU_CYCLE_1) | instskip(SKIP_1) | instid1(SALU_CYCLE_1)
	s_cmp_lg_u32 s0, 0
	s_add_co_ci_u32 s55, s55, s59
	s_mul_u64 s[56:57], s[56:57], s[54:55]
	s_delay_alu instid0(SALU_CYCLE_1)
	s_mul_hi_u32 s59, s54, s57
	s_mul_i32 s58, s54, s57
	s_mul_hi_u32 s34, s54, s56
	s_mul_i32 s45, s55, s56
	s_add_nc_u64 s[58:59], s[34:35], s[58:59]
	s_mul_hi_u32 s0, s55, s56
	s_mul_hi_u32 s60, s55, s57
	s_add_co_u32 s34, s58, s45
	s_add_co_ci_u32 s34, s59, s0
	s_mul_i32 s56, s55, s57
	s_add_co_ci_u32 s57, s60, 0
	s_delay_alu instid0(SALU_CYCLE_1) | instskip(NEXT) | instid1(SALU_CYCLE_1)
	s_add_nc_u64 s[56:57], s[34:35], s[56:57]
	s_add_co_u32 s0, s54, s56
	s_cselect_b32 s34, -1, 0
	v_mul_hi_u32 v24, v16, s0
	s_cmp_lg_u32 s34, 0
	s_add_co_ci_u32 s34, s55, s57
	s_and_b64 s[54:55], s[0:1], s[36:37]
	v_mul_u64_e32 v[18:19], s[34:35], v[16:17]
	v_mul_u64_e32 v[14:15], s[54:55], v[20:21]
	;; [unrolled: 1-line block ×3, first 2 shown]
	s_delay_alu instid0(VALU_DEP_3) | instskip(NEXT) | instid1(VALU_DEP_1)
	v_add_nc_u64_e32 v[18:19], v[24:25], v[18:19]
	v_add_co_u32 v1, vcc_lo, v18, v14
	s_delay_alu instid0(VALU_DEP_2) | instskip(NEXT) | instid1(VALU_DEP_4)
	v_add_co_ci_u32_e32 v24, vcc_lo, v19, v15, vcc_lo
	v_add_co_ci_u32_e32 v23, vcc_lo, 0, v23, vcc_lo
	s_delay_alu instid0(VALU_DEP_1) | instskip(NEXT) | instid1(VALU_DEP_1)
	v_add_nc_u64_e32 v[14:15], v[24:25], v[22:23]
	v_mul_u64_e32 v[18:19], s[46:47], v[14:15]
	s_delay_alu instid0(VALU_DEP_1) | instskip(NEXT) | instid1(VALU_DEP_2)
	v_sub_nc_u32_e32 v1, v20, v19
	v_sub_co_u32 v2, vcc_lo, v16, v18
	s_delay_alu instid0(VALU_DEP_1) | instskip(NEXT) | instid1(VALU_DEP_3)
	v_sub_co_ci_u32_e64 v7, null, v20, v19, vcc_lo
	v_subrev_co_ci_u32_e64 v1, null, s47, v1, vcc_lo
	s_delay_alu instid0(VALU_DEP_3) | instskip(SKIP_1) | instid1(VALU_DEP_3)
	v_sub_co_u32 v4, s0, v2, s46
	v_add_nc_u64_e32 v[16:17], 2, v[14:15]
	v_subrev_co_ci_u32_e64 v1, null, 0, v1, s0
	s_delay_alu instid0(VALU_DEP_3) | instskip(SKIP_2) | instid1(VALU_DEP_4)
	v_cmp_le_u32_e32 vcc_lo, s46, v4
	v_add_nc_u64_e32 v[18:19], 1, v[14:15]
	v_cndmask_b32_e64 v4, 0, -1, vcc_lo
	v_cmp_le_u32_e32 vcc_lo, s47, v1
	v_cndmask_b32_e64 v13, 0, -1, vcc_lo
	v_cmp_le_u32_e32 vcc_lo, s46, v2
	;; [unrolled: 2-line block ×3, first 2 shown]
	v_cndmask_b32_e64 v20, 0, -1, vcc_lo
	v_cmp_eq_u32_e32 vcc_lo, s47, v1
	v_cndmask_b32_e32 v1, v13, v4, vcc_lo
	v_cmp_eq_u32_e32 vcc_lo, s47, v7
	s_delay_alu instid0(VALU_DEP_4) | instskip(NEXT) | instid1(VALU_DEP_3)
	v_cndmask_b32_e32 v2, v20, v2, vcc_lo
	v_cmp_ne_u32_e32 vcc_lo, 0, v1
	s_delay_alu instid0(VALU_DEP_2) | instskip(SKIP_1) | instid1(VALU_DEP_1)
	v_cmp_ne_u32_e64 s0, 0, v2
	v_dual_cndmask_b32 v1, v19, v17 :: v_dual_cndmask_b32 v2, v18, v16
	v_dual_cndmask_b32 v1, v15, v1, s0 :: v_dual_bitop2_b32 v12, s44, v12 bitop3:0x14
	s_delay_alu instid0(VALU_DEP_1) | instskip(NEXT) | instid1(VALU_DEP_2)
	v_dual_cndmask_b32 v2, v14, v2, s0 :: v_dual_mov_b32 v13, v12
	v_xor_b32_e32 v15, v1, v12
	s_delay_alu instid0(VALU_DEP_2) | instskip(NEXT) | instid1(VALU_DEP_1)
	v_xor_b32_e32 v14, v2, v12
	v_sub_nc_u64_e32 v[12:13], v[14:15], v[12:13]
.LBB115_113:                            ;   in Loop: Header=BB115_111 Depth=1
	s_and_not1_saveexec_b32 s0, s50
	s_cbranch_execz .LBB115_110
; %bb.114:                              ;   in Loop: Header=BB115_111 Depth=1
	v_cvt_f32_u32_e32 v1, s42
	s_sub_co_i32 s34, 0, s42
	v_mov_b32_e32 v13, v6
	s_delay_alu instid0(VALU_DEP_2) | instskip(SKIP_1) | instid1(TRANS32_DEP_1)
	v_rcp_iflag_f32_e32 v1, v1
	v_nop
	v_mul_f32_e32 v1, 0x4f7ffffe, v1
	s_delay_alu instid0(VALU_DEP_1) | instskip(NEXT) | instid1(VALU_DEP_1)
	v_cvt_u32_f32_e32 v1, v1
	v_mul_lo_u32 v2, s34, v1
	s_delay_alu instid0(VALU_DEP_1) | instskip(NEXT) | instid1(VALU_DEP_1)
	v_mul_hi_u32 v2, v1, v2
	v_add_nc_u32_e32 v1, v1, v2
	s_delay_alu instid0(VALU_DEP_1) | instskip(NEXT) | instid1(VALU_DEP_1)
	v_mul_hi_u32 v1, v10, v1
	v_mul_lo_u32 v2, v1, s42
	s_delay_alu instid0(VALU_DEP_1) | instskip(NEXT) | instid1(VALU_DEP_1)
	v_dual_add_nc_u32 v4, 1, v1 :: v_dual_sub_nc_u32 v2, v10, v2
	v_subrev_nc_u32_e32 v7, s42, v2
	v_cmp_le_u32_e32 vcc_lo, s42, v2
	s_delay_alu instid0(VALU_DEP_2) | instskip(NEXT) | instid1(VALU_DEP_1)
	v_dual_cndmask_b32 v2, v2, v7 :: v_dual_cndmask_b32 v1, v1, v4
	v_cmp_le_u32_e32 vcc_lo, s42, v2
	s_delay_alu instid0(VALU_DEP_2) | instskip(NEXT) | instid1(VALU_DEP_1)
	v_add_nc_u32_e32 v4, 1, v1
	v_cndmask_b32_e32 v12, v1, v4, vcc_lo
	s_branch .LBB115_110
.LBB115_115:
	s_mov_b32 s21, -1
	s_mov_b32 s19, 0
	s_mov_b32 s1, exec_lo
	v_cmpx_gt_i32_e64 v20, v22
	s_cbranch_execz .LBB115_126
; %bb.116:
	s_wait_loadcnt 0x0
	s_delay_alu instid0(VALU_DEP_2) | instskip(SKIP_2) | instid1(VALU_DEP_1)
	v_lshlrev_b64_e32 v[24:25], 2, v[26:27]
	v_dual_ashrrev_i32 v23, 31, v22 :: v_dual_ashrrev_i32 v21, 31, v20
	s_xor_b32 s21, s36, -1
                                        ; implicit-def: $sgpr20
                                        ; implicit-def: $sgpr23
                                        ; implicit-def: $sgpr22
	v_lshl_add_u64 v[22:23], v[22:23], 2, v[24:25]
	v_add_nc_u64_e32 v[24:25], s[14:15], v[24:25]
	s_delay_alu instid0(VALU_DEP_2) | instskip(NEXT) | instid1(VALU_DEP_2)
	v_add_nc_u64_e32 v[22:23], s[14:15], v[22:23]
	v_lshl_add_u64 v[20:21], v[20:21], 2, v[24:25]
	s_delay_alu instid0(VALU_DEP_2)
	v_add_nc_u64_e32 v[22:23], 4, v[22:23]
	s_branch .LBB115_118
.LBB115_117:                            ;   in Loop: Header=BB115_118 Depth=1
	s_or_b32 exec_lo, exec_lo, s24
	s_delay_alu instid0(SALU_CYCLE_1) | instskip(NEXT) | instid1(SALU_CYCLE_1)
	s_and_b32 s24, exec_lo, s23
	s_or_b32 s19, s24, s19
	s_and_not1_b32 s20, s20, exec_lo
	s_and_b32 s24, s22, exec_lo
	s_delay_alu instid0(SALU_CYCLE_1)
	s_or_b32 s20, s20, s24
	s_and_not1_b32 exec_lo, exec_lo, s19
	s_cbranch_execz .LBB115_125
.LBB115_118:                            ; =>This Inner Loop Header: Depth=1
	s_or_b32 s22, s22, exec_lo
	s_or_b32 s23, s23, exec_lo
	s_mov_b32 s24, exec_lo
	s_delay_alu instid0(VALU_DEP_1)
	v_cmpx_lt_u64_e64 v[22:23], v[20:21]
	s_cbranch_execz .LBB115_117
; %bb.119:                              ;   in Loop: Header=BB115_118 Depth=1
	global_load_b64 v[24:25], v[22:23], off offset:-4
	s_wait_xcnt 0x0
	v_add_nc_u64_e32 v[22:23], 4, v[22:23]
	s_and_not1_b32 s23, s23, exec_lo
	s_and_not1_b32 s22, s22, exec_lo
	s_wait_loadcnt 0x0
	v_cmp_ge_i32_e32 vcc_lo, v24, v25
	s_or_b32 s25, s21, vcc_lo
	s_delay_alu instid0(SALU_CYCLE_1) | instskip(NEXT) | instid1(SALU_CYCLE_1)
	s_and_b32 s25, s25, exec_lo
	s_or_b32 s23, s23, s25
	s_branch .LBB115_117
.LBB115_120:
	s_mov_b32 s34, s52
	s_mov_b32 s0, exec_lo
	s_wait_loadcnt 0x2
	v_cmpx_gt_i32_e64 v3, v5
	s_cbranch_execz .LBB115_174
; %bb.121:
	s_wait_loadcnt 0x0
	s_delay_alu instid0(VALU_DEP_2) | instskip(SKIP_3) | instid1(VALU_DEP_1)
	v_lshlrev_b64_e32 v[6:7], 2, v[8:9]
	v_dual_mov_b32 v8, v5 :: v_dual_ashrrev_i32 v9, 31, v5
	s_mov_b32 s34, 0
	s_xor_b32 s36, s49, -1
                                        ; implicit-def: $sgpr35
                                        ; implicit-def: $sgpr38
                                        ; implicit-def: $sgpr37
	v_lshl_add_u64 v[4:5], v[8:9], 2, v[6:7]
	v_add_nc_u64_e32 v[6:7], s[14:15], v[6:7]
	v_dual_mov_b32 v8, v3 :: v_dual_ashrrev_i32 v9, 31, v3
	s_delay_alu instid0(VALU_DEP_3) | instskip(NEXT) | instid1(VALU_DEP_1)
	v_add_nc_u64_e32 v[4:5], s[14:15], v[4:5]
	v_add_nc_u64_e32 v[2:3], 4, v[4:5]
	s_delay_alu instid0(VALU_DEP_3)
	v_lshl_add_u64 v[4:5], v[8:9], 2, v[6:7]
	s_branch .LBB115_123
.LBB115_122:                            ;   in Loop: Header=BB115_123 Depth=1
	s_or_b32 exec_lo, exec_lo, s39
	s_xor_b32 s39, s37, -1
	s_and_b32 s40, exec_lo, s38
	s_delay_alu instid0(SALU_CYCLE_1) | instskip(SKIP_2) | instid1(SALU_CYCLE_1)
	s_or_b32 s34, s40, s34
	s_and_not1_b32 s35, s35, exec_lo
	s_and_b32 s39, s39, exec_lo
	s_or_b32 s35, s35, s39
	s_and_not1_b32 exec_lo, exec_lo, s34
	s_cbranch_execz .LBB115_173
.LBB115_123:                            ; =>This Inner Loop Header: Depth=1
	s_or_b32 s37, s37, exec_lo
	s_or_b32 s38, s38, exec_lo
	s_mov_b32 s39, exec_lo
	s_delay_alu instid0(VALU_DEP_2)
	v_cmpx_lt_u64_e64 v[2:3], v[4:5]
	s_cbranch_execz .LBB115_122
; %bb.124:                              ;   in Loop: Header=BB115_123 Depth=1
	global_load_b64 v[6:7], v[2:3], off offset:-4
	s_wait_xcnt 0x0
	v_add_nc_u64_e32 v[2:3], 4, v[2:3]
	s_and_not1_b32 s38, s38, exec_lo
	s_and_not1_b32 s37, s37, exec_lo
	s_wait_loadcnt 0x0
	v_cmp_ge_i32_e32 vcc_lo, v6, v7
	s_or_b32 s40, s36, vcc_lo
	s_delay_alu instid0(SALU_CYCLE_1) | instskip(NEXT) | instid1(SALU_CYCLE_1)
	s_and_b32 s40, s40, exec_lo
	s_or_b32 s38, s38, s40
	s_branch .LBB115_122
.LBB115_125:
	s_or_b32 exec_lo, exec_lo, s19
	s_delay_alu instid0(SALU_CYCLE_1)
	s_mov_b32 s19, exec_lo
	s_or_not1_b32 s21, s20, exec_lo
.LBB115_126:
	s_or_b32 exec_lo, exec_lo, s1
	s_delay_alu instid0(SALU_CYCLE_1)
	s_and_b32 s20, s19, exec_lo
	s_xor_b32 s19, exec_lo, -1
	s_and_b32 s1, s21, exec_lo
.LBB115_127:
	s_or_b32 exec_lo, exec_lo, s43
	s_delay_alu instid0(SALU_CYCLE_1)
	s_and_b32 s21, s20, exec_lo
	s_and_b32 s20, s19, exec_lo
	s_xor_b32 s19, exec_lo, -1
	s_and_b32 s1, s1, exec_lo
.LBB115_128:
	s_or_b32 exec_lo, exec_lo, s41
	s_delay_alu instid0(SALU_CYCLE_1)
	s_and_b32 s22, s21, exec_lo
	s_and_b32 s21, s20, exec_lo
	s_and_b32 s20, s19, exec_lo
	s_xor_b32 s19, exec_lo, -1
	s_and_b32 s1, s1, exec_lo
.LBB115_129:
	s_or_b32 exec_lo, exec_lo, s40
	s_delay_alu instid0(SALU_CYCLE_1)
	s_and_b32 s41, s22, exec_lo
	s_and_b32 s43, s21, exec_lo
	;; [unrolled: 1-line block ×4, first 2 shown]
	s_or_not1_b32 s1, s1, exec_lo
.LBB115_130:
	s_or_b32 exec_lo, exec_lo, s9
	s_mov_b32 s9, 0
                                        ; implicit-def: $sgpr40
                                        ; implicit-def: $sgpr45
                                        ; implicit-def: $sgpr24
	s_and_saveexec_b32 s47, s1
	s_cbranch_execz .LBB115_142
; %bb.131:
	v_cmp_gt_i32_e64 s40, s5, v15
	s_mov_b32 s1, -1
	s_mov_b32 s52, 0
	s_mov_b32 s48, s46
	;; [unrolled: 1-line block ×4, first 2 shown]
	s_and_saveexec_b32 s45, s40
	s_cbranch_execz .LBB115_181
; %bb.132:
	s_wait_loadcnt 0x4
	v_cmp_eq_u32_e32 vcc_lo, s33, v19
	s_mov_b32 s19, -1
	s_mov_b32 s1, 0
	s_mov_b32 s21, s44
	;; [unrolled: 1-line block ×3, first 2 shown]
	s_and_b32 s23, s42, vcc_lo
	s_mov_b32 s20, 0
	s_and_saveexec_b32 s9, s23
	s_cbranch_execz .LBB115_180
; %bb.133:
	s_wait_loadcnt 0x3
	v_cmp_eq_u32_e32 vcc_lo, s6, v17
	s_mov_b32 s21, s43
	s_and_b32 s22, s39, vcc_lo
	s_delay_alu instid0(SALU_CYCLE_1)
	s_and_saveexec_b32 s48, s22
	s_cbranch_execz .LBB115_179
; %bb.134:
	s_wait_loadcnt 0x1
	v_sub_nc_u32_e32 v5, v14, v16
	s_delay_alu instid0(VALU_DEP_1)
	v_cmp_le_i32_e32 vcc_lo, s33, v5
	v_cmp_ge_i32_e64 s1, s4, v5
	s_and_b32 s20, vcc_lo, s1
	s_mov_b32 s1, 0
	s_and_b32 s21, s38, s20
	s_mov_b32 s20, 0
	s_and_saveexec_b32 s49, s21
	s_cbranch_execz .LBB115_178
; %bb.135:
	v_mov_b64_e32 v[20:21], 0
	s_and_not1_b32 vcc_lo, exec_lo, s37
	s_cbranch_vccnz .LBB115_168
; %bb.136:
	s_wait_loadcnt 0x0
	v_ashrrev_i32_e32 v19, 31, v18
	s_mov_b32 s21, 0
	v_mov_b64_e32 v[20:21], 0
	s_mov_b32 s19, s21
	s_mov_b64 s[22:23], 0xffffffff
	v_mul_u64_e32 v[22:23], s[6:7], v[18:19]
	v_mov_b32_e32 v18, 0
	s_lshl_b64 s[26:27], s[18:19], 3
	s_mov_b32 s19, s8
	s_add_nc_u64 s[24:25], s[10:11], s[26:27]
	s_add_nc_u64 s[26:27], s[12:13], s[26:27]
	s_branch .LBB115_138
.LBB115_137:                            ;   in Loop: Header=BB115_138 Depth=1
	s_or_b32 exec_lo, exec_lo, s1
	s_delay_alu instid0(VALU_DEP_1)
	v_mul_u64_e32 v[26:27], s[28:29], v[24:25]
	s_load_b64 s[28:29], s[26:27], 0x0
	s_add_co_i32 s19, s19, -1
	s_add_nc_u64 s[24:25], s[24:25], -8
	s_cmp_lg_u32 s19, 0
	s_wait_xcnt 0x0
	s_add_nc_u64 s[26:27], s[26:27], -8
	s_delay_alu instid0(VALU_DEP_1) | instskip(SKIP_1) | instid1(VALU_DEP_1)
	v_sub_nc_u64_e32 v[22:23], v[22:23], v[26:27]
	s_wait_kmcnt 0x0
	v_mad_nc_u64_u32 v[20:21], v22, s28, v[20:21]
	s_delay_alu instid0(VALU_DEP_1) | instskip(NEXT) | instid1(VALU_DEP_1)
	v_mad_u32 v5, v23, s28, v21
	v_mad_u32 v21, v22, s29, v5
	v_mov_b64_e32 v[22:23], v[24:25]
	s_cbranch_scc0 .LBB115_168
.LBB115_138:                            ; =>This Inner Loop Header: Depth=1
	s_load_b64 s[28:29], s[24:25], 0x0
                                        ; implicit-def: $vgpr24_vgpr25
	s_mov_b32 s1, exec_lo
	s_wait_kmcnt 0x0
	s_delay_alu instid0(VALU_DEP_1) | instskip(NEXT) | instid1(VALU_DEP_1)
	v_or_b32_e32 v19, s29, v23
	v_cmpx_ne_u64_e32 0, v[18:19]
	s_xor_b32 s50, exec_lo, s1
	s_cbranch_execz .LBB115_140
; %bb.139:                              ;   in Loop: Header=BB115_138 Depth=1
	s_ashr_i32 s30, s29, 31
	v_dual_mov_b32 v29, v18 :: v_dual_ashrrev_i32 v24, 31, v23
	s_mov_b32 s31, s30
	s_delay_alu instid0(SALU_CYCLE_1) | instskip(NEXT) | instid1(VALU_DEP_1)
	s_add_nc_u64 s[34:35], s[28:29], s[30:31]
	v_mov_b32_e32 v25, v24
	s_xor_b64 s[34:35], s[34:35], s[30:31]
	s_delay_alu instid0(SALU_CYCLE_1)
	s_cvt_f32_u32 s1, s34
	s_cvt_f32_u32 s20, s35
	s_sub_nc_u64 s[56:57], 0, s[34:35]
	v_add_nc_u64_e32 v[26:27], v[22:23], v[24:25]
	v_mov_b32_e32 v33, v18
	s_fmamk_f32 s1, s20, 0x4f800000, s1
	s_delay_alu instid0(SALU_CYCLE_3) | instskip(NEXT) | instid1(VALU_DEP_2)
	v_s_rcp_f32 s1, s1
	v_xor_b32_e32 v28, v26, v24
	s_delay_alu instid0(VALU_DEP_3) | instskip(NEXT) | instid1(TRANS32_DEP_1)
	v_dual_mov_b32 v37, v18 :: v_dual_bitop2_b32 v32, v27, v24 bitop3:0x14
	s_mul_f32 s1, s1, 0x5f7ffffc
	s_delay_alu instid0(SALU_CYCLE_3) | instskip(NEXT) | instid1(SALU_CYCLE_3)
	s_mul_f32 s20, s1, 0x2f800000
	s_trunc_f32 s20, s20
	s_delay_alu instid0(SALU_CYCLE_3) | instskip(SKIP_1) | instid1(SALU_CYCLE_2)
	s_fmamk_f32 s1, s20, 0xcf800000, s1
	s_cvt_u32_f32 s55, s20
	s_cvt_u32_f32 s54, s1
	s_delay_alu instid0(SALU_CYCLE_3) | instskip(NEXT) | instid1(SALU_CYCLE_1)
	s_mul_u64 s[58:59], s[56:57], s[54:55]
	s_mul_hi_u32 s61, s54, s59
	s_mul_i32 s60, s54, s59
	s_mul_hi_u32 s20, s54, s58
	s_mul_i32 s31, s55, s58
	s_add_nc_u64 s[60:61], s[20:21], s[60:61]
	s_mul_hi_u32 s1, s55, s58
	s_mul_hi_u32 s51, s55, s59
	s_add_co_u32 s20, s60, s31
	s_add_co_ci_u32 s20, s61, s1
	s_mul_i32 s58, s55, s59
	s_add_co_ci_u32 s59, s51, 0
	s_delay_alu instid0(SALU_CYCLE_1) | instskip(NEXT) | instid1(SALU_CYCLE_1)
	s_add_nc_u64 s[58:59], s[20:21], s[58:59]
	s_add_co_u32 s54, s54, s58
	s_cselect_b32 s1, -1, 0
	s_delay_alu instid0(SALU_CYCLE_1) | instskip(SKIP_1) | instid1(SALU_CYCLE_1)
	s_cmp_lg_u32 s1, 0
	s_add_co_ci_u32 s55, s55, s59
	s_mul_u64 s[56:57], s[56:57], s[54:55]
	s_delay_alu instid0(SALU_CYCLE_1)
	s_mul_hi_u32 s59, s54, s57
	s_mul_i32 s58, s54, s57
	s_mul_hi_u32 s20, s54, s56
	s_mul_i32 s31, s55, s56
	s_add_nc_u64 s[58:59], s[20:21], s[58:59]
	s_mul_hi_u32 s1, s55, s56
	s_mul_hi_u32 s51, s55, s57
	s_add_co_u32 s20, s58, s31
	s_add_co_ci_u32 s20, s59, s1
	s_mul_i32 s56, s55, s57
	s_add_co_ci_u32 s57, s51, 0
	s_delay_alu instid0(SALU_CYCLE_1) | instskip(NEXT) | instid1(SALU_CYCLE_1)
	s_add_nc_u64 s[56:57], s[20:21], s[56:57]
	s_add_co_u32 s54, s54, s56
	s_cselect_b32 s1, -1, 0
	v_mul_hi_u32 v36, v28, s54
	s_cmp_lg_u32 s1, 0
	s_add_co_ci_u32 s20, s55, s57
	s_and_b64 s[56:57], s[54:55], s[22:23]
	v_mul_u64_e32 v[30:31], s[20:21], v[28:29]
	v_mul_u64_e32 v[26:27], s[56:57], v[32:33]
	;; [unrolled: 1-line block ×3, first 2 shown]
	s_delay_alu instid0(VALU_DEP_3) | instskip(NEXT) | instid1(VALU_DEP_1)
	v_add_nc_u64_e32 v[30:31], v[36:37], v[30:31]
	v_add_co_u32 v5, vcc_lo, v30, v26
	s_delay_alu instid0(VALU_DEP_2) | instskip(NEXT) | instid1(VALU_DEP_4)
	v_add_co_ci_u32_e32 v36, vcc_lo, v31, v27, vcc_lo
	v_add_co_ci_u32_e32 v35, vcc_lo, 0, v35, vcc_lo
	s_delay_alu instid0(VALU_DEP_1) | instskip(NEXT) | instid1(VALU_DEP_1)
	v_add_nc_u64_e32 v[26:27], v[36:37], v[34:35]
	v_mul_u64_e32 v[30:31], s[34:35], v[26:27]
	s_delay_alu instid0(VALU_DEP_1) | instskip(NEXT) | instid1(VALU_DEP_2)
	v_sub_nc_u32_e32 v5, v32, v31
	v_sub_co_u32 v12, vcc_lo, v28, v30
	s_delay_alu instid0(VALU_DEP_1) | instskip(NEXT) | instid1(VALU_DEP_3)
	v_sub_co_ci_u32_e64 v17, null, v32, v31, vcc_lo
	v_subrev_co_ci_u32_e64 v5, null, s35, v5, vcc_lo
	s_delay_alu instid0(VALU_DEP_3) | instskip(SKIP_1) | instid1(VALU_DEP_3)
	v_sub_co_u32 v15, s1, v12, s34
	v_add_nc_u64_e32 v[28:29], 2, v[26:27]
	v_subrev_co_ci_u32_e64 v5, null, 0, v5, s1
	s_delay_alu instid0(VALU_DEP_3) | instskip(SKIP_2) | instid1(VALU_DEP_4)
	v_cmp_le_u32_e32 vcc_lo, s34, v15
	v_add_nc_u64_e32 v[30:31], 1, v[26:27]
	v_cndmask_b32_e64 v15, 0, -1, vcc_lo
	v_cmp_le_u32_e32 vcc_lo, s35, v5
	v_cndmask_b32_e64 v19, 0, -1, vcc_lo
	v_cmp_le_u32_e32 vcc_lo, s34, v12
	;; [unrolled: 2-line block ×3, first 2 shown]
	v_cndmask_b32_e64 v25, 0, -1, vcc_lo
	v_cmp_eq_u32_e32 vcc_lo, s35, v5
	v_cndmask_b32_e32 v5, v19, v15, vcc_lo
	v_cmp_eq_u32_e32 vcc_lo, s35, v17
	s_delay_alu instid0(VALU_DEP_4) | instskip(NEXT) | instid1(VALU_DEP_3)
	v_cndmask_b32_e32 v12, v25, v12, vcc_lo
	v_cmp_ne_u32_e32 vcc_lo, 0, v5
	s_delay_alu instid0(VALU_DEP_2) | instskip(SKIP_1) | instid1(VALU_DEP_1)
	v_cmp_ne_u32_e64 s1, 0, v12
	v_dual_cndmask_b32 v5, v31, v29 :: v_dual_cndmask_b32 v12, v30, v28
	v_dual_cndmask_b32 v5, v27, v5, s1 :: v_dual_bitop2_b32 v24, s30, v24 bitop3:0x14
	s_delay_alu instid0(VALU_DEP_1) | instskip(NEXT) | instid1(VALU_DEP_2)
	v_dual_cndmask_b32 v12, v26, v12, s1 :: v_dual_mov_b32 v25, v24
	v_xor_b32_e32 v27, v5, v24
	s_delay_alu instid0(VALU_DEP_2) | instskip(NEXT) | instid1(VALU_DEP_1)
	v_xor_b32_e32 v26, v12, v24
	v_sub_nc_u64_e32 v[24:25], v[26:27], v[24:25]
.LBB115_140:                            ;   in Loop: Header=BB115_138 Depth=1
	s_and_not1_saveexec_b32 s1, s50
	s_cbranch_execz .LBB115_137
; %bb.141:                              ;   in Loop: Header=BB115_138 Depth=1
	v_cvt_f32_u32_e32 v5, s28
	s_sub_co_i32 s20, 0, s28
	v_mov_b32_e32 v25, v18
	s_delay_alu instid0(VALU_DEP_2) | instskip(SKIP_1) | instid1(TRANS32_DEP_1)
	v_rcp_iflag_f32_e32 v5, v5
	v_nop
	v_mul_f32_e32 v5, 0x4f7ffffe, v5
	s_delay_alu instid0(VALU_DEP_1) | instskip(NEXT) | instid1(VALU_DEP_1)
	v_cvt_u32_f32_e32 v5, v5
	v_mul_lo_u32 v12, s20, v5
	s_delay_alu instid0(VALU_DEP_1) | instskip(NEXT) | instid1(VALU_DEP_1)
	v_mul_hi_u32 v12, v5, v12
	v_add_nc_u32_e32 v5, v5, v12
	s_delay_alu instid0(VALU_DEP_1) | instskip(NEXT) | instid1(VALU_DEP_1)
	v_mul_hi_u32 v5, v22, v5
	v_mul_lo_u32 v12, v5, s28
	s_delay_alu instid0(VALU_DEP_1) | instskip(NEXT) | instid1(VALU_DEP_1)
	v_dual_add_nc_u32 v15, 1, v5 :: v_dual_sub_nc_u32 v12, v22, v12
	v_subrev_nc_u32_e32 v17, s28, v12
	v_cmp_le_u32_e32 vcc_lo, s28, v12
	s_delay_alu instid0(VALU_DEP_2) | instskip(NEXT) | instid1(VALU_DEP_1)
	v_dual_cndmask_b32 v12, v12, v17 :: v_dual_cndmask_b32 v5, v5, v15
	v_cmp_le_u32_e32 vcc_lo, s28, v12
	s_delay_alu instid0(VALU_DEP_2) | instskip(NEXT) | instid1(VALU_DEP_1)
	v_add_nc_u32_e32 v15, 1, v5
	v_cndmask_b32_e32 v24, v5, v15, vcc_lo
	s_branch .LBB115_137
.LBB115_142:
	s_or_b32 exec_lo, exec_lo, s47
	s_and_saveexec_b32 s1, s46
	s_cbranch_execnz .LBB115_209
.LBB115_143:
	s_or_b32 exec_lo, exec_lo, s1
	s_mov_b32 s1, 0
	s_and_saveexec_b32 s5, s48
	s_delay_alu instid0(SALU_CYCLE_1)
	s_xor_b32 s5, exec_lo, s5
; %bb.144:
	v_cmp_ne_u32_e32 vcc_lo, s6, v1
	s_xor_b32 s19, s39, -1
	s_and_not1_b32 s20, s44, exec_lo
	s_mov_b32 s1, exec_lo
	s_or_b32 s19, s19, vcc_lo
	s_delay_alu instid0(SALU_CYCLE_1) | instskip(NEXT) | instid1(SALU_CYCLE_1)
	s_and_b32 s19, s19, exec_lo
	s_or_b32 s44, s20, s19
; %bb.145:
	s_or_b32 exec_lo, exec_lo, s5
	s_and_saveexec_b32 s5, s44
	s_cbranch_execnz .LBB115_211
.LBB115_146:
	s_or_b32 exec_lo, exec_lo, s5
	s_mov_b32 s5, 0
	s_and_saveexec_b32 s19, s1
	s_delay_alu instid0(SALU_CYCLE_1)
	s_xor_b32 s19, exec_lo, s19
	s_cbranch_execz .LBB115_151
; %bb.147:
	v_sub_nc_u32_e32 v1, v4, v2
	s_mov_b32 s5, exec_lo
	s_delay_alu instid0(VALU_DEP_1) | instskip(SKIP_3) | instid1(SALU_CYCLE_1)
	v_cmp_le_i32_e32 vcc_lo, s33, v1
	v_cmp_ge_i32_e64 s1, s4, v1
	s_and_not1_b32 s4, s43, exec_lo
	s_and_b32 s1, vcc_lo, s1
	s_and_b32 s1, s38, s1
	s_delay_alu instid0(SALU_CYCLE_1) | instskip(NEXT) | instid1(SALU_CYCLE_1)
	s_xor_b32 s1, s1, -1
	s_and_b32 s1, s1, exec_lo
	s_delay_alu instid0(SALU_CYCLE_1)
	s_or_b32 s43, s4, s1
	s_or_b32 exec_lo, exec_lo, s19
	s_and_saveexec_b32 s1, s43
	s_cbranch_execz .LBB115_152
.LBB115_148:
	s_or_b32 s3, s3, exec_lo
	s_and_not1_b32 s5, s5, exec_lo
	s_trap 2
	s_or_b32 exec_lo, exec_lo, s1
	s_and_saveexec_b32 s25, s5
	s_cbranch_execnz .LBB115_153
.LBB115_149:
	s_or_b32 exec_lo, exec_lo, s25
	s_and_saveexec_b32 s1, s41
	s_cbranch_execnz .LBB115_167
.LBB115_150:
	s_or_b32 exec_lo, exec_lo, s1
	s_and_saveexec_b32 s1, s3
	s_cbranch_execnz .LBB115_98
	s_branch .LBB115_99
.LBB115_151:
	s_or_b32 exec_lo, exec_lo, s19
	s_and_saveexec_b32 s1, s43
	s_cbranch_execnz .LBB115_148
.LBB115_152:
	s_or_b32 exec_lo, exec_lo, s1
	s_and_saveexec_b32 s25, s5
	s_cbranch_execz .LBB115_149
.LBB115_153:
	v_mov_b64_e32 v[8:9], 0
	s_and_not1_b32 vcc_lo, exec_lo, s37
	s_cbranch_vccnz .LBB115_160
; %bb.154:
	v_mul_u64_e32 v[10:11], s[6:7], v[6:7]
	v_mov_b64_e32 v[8:9], 0
	s_mov_b32 s19, 0
	v_mov_b32_e32 v6, 0
	s_lshl_b64 s[20:21], s[18:19], 3
	s_mov_b64 s[4:5], 0xffffffff
	s_add_nc_u64 s[6:7], s[10:11], s[20:21]
	s_add_nc_u64 s[10:11], s[12:13], s[20:21]
	s_branch .LBB115_156
.LBB115_155:                            ;   in Loop: Header=BB115_156 Depth=1
	s_or_b32 exec_lo, exec_lo, s1
	s_wait_loadcnt 0x1
	s_delay_alu instid0(VALU_DEP_1)
	v_mul_u64_e32 v[14:15], s[12:13], v[12:13]
	s_load_b64 s[12:13], s[10:11], 0x0
	s_add_co_i32 s8, s8, -1
	s_add_nc_u64 s[6:7], s[6:7], -8
	s_cmp_lg_u32 s8, 0
	s_wait_xcnt 0x0
	s_add_nc_u64 s[10:11], s[10:11], -8
	s_delay_alu instid0(VALU_DEP_1) | instskip(SKIP_1) | instid1(VALU_DEP_1)
	v_sub_nc_u64_e32 v[10:11], v[10:11], v[14:15]
	s_wait_kmcnt 0x0
	v_mad_nc_u64_u32 v[8:9], v10, s12, v[8:9]
	s_delay_alu instid0(VALU_DEP_1) | instskip(NEXT) | instid1(VALU_DEP_1)
	v_mad_u32 v1, v11, s12, v9
	v_mad_u32 v9, v10, s13, v1
	v_mov_b64_e32 v[10:11], v[12:13]
	s_cbranch_scc0 .LBB115_160
.LBB115_156:                            ; =>This Inner Loop Header: Depth=1
	s_load_b64 s[12:13], s[6:7], 0x0
                                        ; implicit-def: $vgpr12_vgpr13
	s_mov_b32 s1, exec_lo
	s_wait_kmcnt 0x0
	s_delay_alu instid0(VALU_DEP_1) | instskip(NEXT) | instid1(VALU_DEP_1)
	v_or_b32_e32 v7, s13, v11
	v_cmpx_ne_u64_e32 0, v[6:7]
	s_xor_b32 s26, exec_lo, s1
	s_cbranch_execz .LBB115_158
; %bb.157:                              ;   in Loop: Header=BB115_156 Depth=1
	s_ashr_i32 s20, s13, 31
	s_wait_loadcnt 0x3
	v_dual_mov_b32 v17, v6 :: v_dual_ashrrev_i32 v12, 31, v11
	s_mov_b32 s21, s20
	s_delay_alu instid0(SALU_CYCLE_1) | instskip(NEXT) | instid1(VALU_DEP_1)
	s_add_nc_u64 s[22:23], s[12:13], s[20:21]
	v_mov_b32_e32 v13, v12
	s_xor_b64 s[22:23], s[22:23], s[20:21]
	s_delay_alu instid0(SALU_CYCLE_1)
	s_cvt_f32_u32 s1, s22
	s_cvt_f32_u32 s18, s23
	s_sub_nc_u64 s[30:31], 0, s[22:23]
	s_wait_loadcnt 0x1
	v_add_nc_u64_e32 v[14:15], v[10:11], v[12:13]
	v_mov_b32_e32 v21, v6
	s_fmamk_f32 s1, s18, 0x4f800000, s1
	s_delay_alu instid0(SALU_CYCLE_3) | instskip(NEXT) | instid1(VALU_DEP_2)
	v_s_rcp_f32 s1, s1
	v_xor_b32_e32 v16, v14, v12
	s_delay_alu instid0(VALU_DEP_3) | instskip(NEXT) | instid1(TRANS32_DEP_1)
	v_dual_mov_b32 v25, v6 :: v_dual_bitop2_b32 v20, v15, v12 bitop3:0x14
	s_mul_f32 s1, s1, 0x5f7ffffc
	s_delay_alu instid0(SALU_CYCLE_3) | instskip(NEXT) | instid1(SALU_CYCLE_3)
	s_mul_f32 s18, s1, 0x2f800000
	s_trunc_f32 s18, s18
	s_delay_alu instid0(SALU_CYCLE_3) | instskip(SKIP_1) | instid1(SALU_CYCLE_2)
	s_fmamk_f32 s1, s18, 0xcf800000, s1
	s_cvt_u32_f32 s29, s18
	s_cvt_u32_f32 s28, s1
	s_delay_alu instid0(SALU_CYCLE_3) | instskip(NEXT) | instid1(SALU_CYCLE_1)
	s_mul_u64 s[34:35], s[30:31], s[28:29]
	s_mul_hi_u32 s39, s28, s35
	s_mul_i32 s38, s28, s35
	s_mul_hi_u32 s18, s28, s34
	s_mul_i32 s21, s29, s34
	s_add_nc_u64 s[38:39], s[18:19], s[38:39]
	s_mul_hi_u32 s1, s29, s34
	s_mul_hi_u32 s27, s29, s35
	s_add_co_u32 s18, s38, s21
	s_add_co_ci_u32 s18, s39, s1
	s_mul_i32 s34, s29, s35
	s_add_co_ci_u32 s35, s27, 0
	s_delay_alu instid0(SALU_CYCLE_1) | instskip(NEXT) | instid1(SALU_CYCLE_1)
	s_add_nc_u64 s[34:35], s[18:19], s[34:35]
	s_add_co_u32 s28, s28, s34
	s_cselect_b32 s1, -1, 0
	s_delay_alu instid0(SALU_CYCLE_1) | instskip(SKIP_1) | instid1(SALU_CYCLE_1)
	s_cmp_lg_u32 s1, 0
	s_add_co_ci_u32 s29, s29, s35
	s_mul_u64 s[30:31], s[30:31], s[28:29]
	s_delay_alu instid0(SALU_CYCLE_1)
	s_mul_hi_u32 s35, s28, s31
	s_mul_i32 s34, s28, s31
	s_mul_hi_u32 s18, s28, s30
	s_mul_i32 s21, s29, s30
	s_add_nc_u64 s[34:35], s[18:19], s[34:35]
	s_mul_hi_u32 s1, s29, s30
	s_mul_hi_u32 s27, s29, s31
	s_add_co_u32 s18, s34, s21
	s_add_co_ci_u32 s18, s35, s1
	s_mul_i32 s30, s29, s31
	s_add_co_ci_u32 s31, s27, 0
	s_delay_alu instid0(SALU_CYCLE_1) | instskip(NEXT) | instid1(SALU_CYCLE_1)
	s_add_nc_u64 s[30:31], s[18:19], s[30:31]
	s_add_co_u32 s28, s28, s30
	s_cselect_b32 s1, -1, 0
	s_wait_loadcnt 0x0
	v_mul_hi_u32 v24, v16, s28
	s_cmp_lg_u32 s1, 0
	s_add_co_ci_u32 s18, s29, s31
	s_and_b64 s[30:31], s[28:29], s[4:5]
	v_mul_u64_e32 v[18:19], s[18:19], v[16:17]
	v_mul_u64_e32 v[14:15], s[30:31], v[20:21]
	v_mul_u64_e32 v[22:23], s[18:19], v[20:21]
	s_delay_alu instid0(VALU_DEP_3) | instskip(NEXT) | instid1(VALU_DEP_1)
	v_add_nc_u64_e32 v[18:19], v[24:25], v[18:19]
	v_add_co_u32 v1, vcc_lo, v18, v14
	s_delay_alu instid0(VALU_DEP_2) | instskip(NEXT) | instid1(VALU_DEP_4)
	v_add_co_ci_u32_e32 v24, vcc_lo, v19, v15, vcc_lo
	v_add_co_ci_u32_e32 v23, vcc_lo, 0, v23, vcc_lo
	s_delay_alu instid0(VALU_DEP_1) | instskip(NEXT) | instid1(VALU_DEP_1)
	v_add_nc_u64_e32 v[14:15], v[24:25], v[22:23]
	v_mul_u64_e32 v[18:19], s[22:23], v[14:15]
	s_delay_alu instid0(VALU_DEP_1) | instskip(NEXT) | instid1(VALU_DEP_2)
	v_sub_nc_u32_e32 v1, v20, v19
	v_sub_co_u32 v3, vcc_lo, v16, v18
	s_delay_alu instid0(VALU_DEP_1) | instskip(NEXT) | instid1(VALU_DEP_3)
	v_sub_co_ci_u32_e64 v7, null, v20, v19, vcc_lo
	v_subrev_co_ci_u32_e64 v1, null, s23, v1, vcc_lo
	s_delay_alu instid0(VALU_DEP_3) | instskip(SKIP_1) | instid1(VALU_DEP_3)
	v_sub_co_u32 v5, s1, v3, s22
	v_add_nc_u64_e32 v[16:17], 2, v[14:15]
	v_subrev_co_ci_u32_e64 v1, null, 0, v1, s1
	s_delay_alu instid0(VALU_DEP_3) | instskip(SKIP_2) | instid1(VALU_DEP_4)
	v_cmp_le_u32_e32 vcc_lo, s22, v5
	v_add_nc_u64_e32 v[18:19], 1, v[14:15]
	v_cndmask_b32_e64 v5, 0, -1, vcc_lo
	v_cmp_le_u32_e32 vcc_lo, s23, v1
	v_cndmask_b32_e64 v13, 0, -1, vcc_lo
	v_cmp_le_u32_e32 vcc_lo, s22, v3
	;; [unrolled: 2-line block ×3, first 2 shown]
	v_cndmask_b32_e64 v20, 0, -1, vcc_lo
	v_cmp_eq_u32_e32 vcc_lo, s23, v1
	v_cndmask_b32_e32 v1, v13, v5, vcc_lo
	v_cmp_eq_u32_e32 vcc_lo, s23, v7
	s_delay_alu instid0(VALU_DEP_4) | instskip(NEXT) | instid1(VALU_DEP_3)
	v_cndmask_b32_e32 v3, v20, v3, vcc_lo
	v_cmp_ne_u32_e32 vcc_lo, 0, v1
	s_delay_alu instid0(VALU_DEP_2) | instskip(SKIP_1) | instid1(VALU_DEP_1)
	v_cmp_ne_u32_e64 s1, 0, v3
	v_dual_cndmask_b32 v1, v19, v17, vcc_lo :: v_dual_cndmask_b32 v3, v18, v16, vcc_lo
	v_dual_cndmask_b32 v1, v15, v1, s1 :: v_dual_bitop2_b32 v12, s20, v12 bitop3:0x14
	s_delay_alu instid0(VALU_DEP_1) | instskip(NEXT) | instid1(VALU_DEP_2)
	v_dual_cndmask_b32 v3, v14, v3, s1 :: v_dual_mov_b32 v13, v12
	v_xor_b32_e32 v15, v1, v12
	s_delay_alu instid0(VALU_DEP_2) | instskip(NEXT) | instid1(VALU_DEP_1)
	v_xor_b32_e32 v14, v3, v12
	v_sub_nc_u64_e32 v[12:13], v[14:15], v[12:13]
.LBB115_158:                            ;   in Loop: Header=BB115_156 Depth=1
	s_and_not1_saveexec_b32 s1, s26
	s_cbranch_execz .LBB115_155
; %bb.159:                              ;   in Loop: Header=BB115_156 Depth=1
	v_cvt_f32_u32_e32 v1, s12
	s_sub_co_i32 s18, 0, s12
	v_mov_b32_e32 v13, v6
	s_delay_alu instid0(VALU_DEP_2) | instskip(SKIP_1) | instid1(TRANS32_DEP_1)
	v_rcp_iflag_f32_e32 v1, v1
	v_nop
	v_mul_f32_e32 v1, 0x4f7ffffe, v1
	s_delay_alu instid0(VALU_DEP_1) | instskip(NEXT) | instid1(VALU_DEP_1)
	v_cvt_u32_f32_e32 v1, v1
	v_mul_lo_u32 v3, s18, v1
	s_delay_alu instid0(VALU_DEP_1) | instskip(NEXT) | instid1(VALU_DEP_1)
	v_mul_hi_u32 v3, v1, v3
	v_add_nc_u32_e32 v1, v1, v3
	s_delay_alu instid0(VALU_DEP_1) | instskip(NEXT) | instid1(VALU_DEP_1)
	v_mul_hi_u32 v1, v10, v1
	v_mul_lo_u32 v3, v1, s12
	s_delay_alu instid0(VALU_DEP_1) | instskip(NEXT) | instid1(VALU_DEP_1)
	v_sub_nc_u32_e32 v3, v10, v3
	v_subrev_nc_u32_e32 v7, s12, v3
	v_cmp_le_u32_e32 vcc_lo, s12, v3
	s_delay_alu instid0(VALU_DEP_2) | instskip(NEXT) | instid1(VALU_DEP_1)
	v_dual_add_nc_u32 v5, 1, v1 :: v_dual_cndmask_b32 v3, v3, v7, vcc_lo
	v_cndmask_b32_e32 v1, v1, v5, vcc_lo
	s_delay_alu instid0(VALU_DEP_2) | instskip(NEXT) | instid1(VALU_DEP_2)
	v_cmp_le_u32_e32 vcc_lo, s12, v3
	v_add_nc_u32_e32 v5, 1, v1
	s_delay_alu instid0(VALU_DEP_1)
	v_cndmask_b32_e32 v12, v1, v5, vcc_lo
	s_branch .LBB115_155
.LBB115_160:
	s_mov_b32 s4, s41
	s_mov_b32 s1, exec_lo
	v_cmpx_gt_i32_e64 v4, v2
	s_cbranch_execz .LBB115_166
; %bb.161:
	s_delay_alu instid0(VALU_DEP_2) | instskip(SKIP_3) | instid1(VALU_DEP_1)
	v_lshlrev_b64_e32 v[6:7], 2, v[8:9]
	v_dual_ashrrev_i32 v3, 31, v2 :: v_dual_ashrrev_i32 v5, 31, v4
	s_mov_b32 s4, 0
	s_xor_b32 s6, s36, -1
                                        ; implicit-def: $sgpr5
                                        ; implicit-def: $sgpr8
                                        ; implicit-def: $sgpr7
	v_lshl_add_u64 v[2:3], v[2:3], 2, v[6:7]
	v_add_nc_u64_e32 v[6:7], s[14:15], v[6:7]
	s_delay_alu instid0(VALU_DEP_2) | instskip(NEXT) | instid1(VALU_DEP_2)
	v_add_nc_u64_e32 v[2:3], s[14:15], v[2:3]
	v_lshl_add_u64 v[4:5], v[4:5], 2, v[6:7]
	s_delay_alu instid0(VALU_DEP_2)
	v_add_nc_u64_e32 v[2:3], 4, v[2:3]
	s_branch .LBB115_163
.LBB115_162:                            ;   in Loop: Header=BB115_163 Depth=1
	s_or_b32 exec_lo, exec_lo, s10
	s_xor_b32 s10, s7, -1
	s_and_b32 s11, exec_lo, s8
	s_delay_alu instid0(SALU_CYCLE_1) | instskip(SKIP_2) | instid1(SALU_CYCLE_1)
	s_or_b32 s4, s11, s4
	s_and_not1_b32 s5, s5, exec_lo
	s_and_b32 s10, s10, exec_lo
	s_or_b32 s5, s5, s10
	s_and_not1_b32 exec_lo, exec_lo, s4
	s_cbranch_execz .LBB115_165
.LBB115_163:                            ; =>This Inner Loop Header: Depth=1
	s_or_b32 s7, s7, exec_lo
	s_or_b32 s8, s8, exec_lo
	s_mov_b32 s10, exec_lo
	s_delay_alu instid0(VALU_DEP_1)
	v_cmpx_lt_u64_e64 v[2:3], v[4:5]
	s_cbranch_execz .LBB115_162
; %bb.164:                              ;   in Loop: Header=BB115_163 Depth=1
	global_load_b64 v[6:7], v[2:3], off offset:-4
	s_wait_xcnt 0x0
	v_add_nc_u64_e32 v[2:3], 4, v[2:3]
	s_and_not1_b32 s8, s8, exec_lo
	s_and_not1_b32 s7, s7, exec_lo
	s_wait_loadcnt 0x0
	v_cmp_ge_i32_e32 vcc_lo, v6, v7
	s_or_b32 s11, s6, vcc_lo
	s_delay_alu instid0(SALU_CYCLE_1) | instskip(NEXT) | instid1(SALU_CYCLE_1)
	s_and_b32 s11, s11, exec_lo
	s_or_b32 s8, s8, s11
	s_branch .LBB115_162
.LBB115_165:
	s_or_b32 exec_lo, exec_lo, s4
	s_delay_alu instid0(SALU_CYCLE_1) | instskip(SKIP_1) | instid1(SALU_CYCLE_1)
	s_and_not1_b32 s4, s41, exec_lo
	s_and_b32 s5, s5, exec_lo
	s_or_b32 s4, s4, s5
.LBB115_166:
	s_or_b32 exec_lo, exec_lo, s1
	s_delay_alu instid0(SALU_CYCLE_1)
	s_and_not1_b32 s1, s41, exec_lo
	s_and_b32 s4, s4, exec_lo
	s_or_b32 s9, s9, exec_lo
	s_or_b32 s41, s1, s4
	s_or_b32 exec_lo, exec_lo, s25
	s_and_saveexec_b32 s1, s41
	s_cbranch_execz .LBB115_150
.LBB115_167:
	s_and_not1_b32 s9, s9, exec_lo
	s_or_b32 s3, s3, exec_lo
	s_trap 2
	s_or_b32 exec_lo, exec_lo, s1
	s_and_saveexec_b32 s1, s3
	s_cbranch_execnz .LBB115_98
	s_branch .LBB115_99
.LBB115_168:
	s_mov_b32 s21, -1
	s_mov_b32 s19, 0
	s_mov_b32 s1, exec_lo
	v_cmpx_gt_i32_e64 v14, v16
	s_cbranch_execz .LBB115_177
; %bb.169:
	s_wait_loadcnt 0x0
	s_delay_alu instid0(VALU_DEP_2) | instskip(SKIP_2) | instid1(VALU_DEP_1)
	v_lshlrev_b64_e32 v[18:19], 2, v[20:21]
	v_dual_ashrrev_i32 v17, 31, v16 :: v_dual_ashrrev_i32 v15, 31, v14
	s_xor_b32 s21, s36, -1
                                        ; implicit-def: $sgpr20
                                        ; implicit-def: $sgpr23
                                        ; implicit-def: $sgpr22
	v_lshl_add_u64 v[16:17], v[16:17], 2, v[18:19]
	v_add_nc_u64_e32 v[18:19], s[14:15], v[18:19]
	s_delay_alu instid0(VALU_DEP_2) | instskip(NEXT) | instid1(VALU_DEP_2)
	v_add_nc_u64_e32 v[16:17], s[14:15], v[16:17]
	v_lshl_add_u64 v[14:15], v[14:15], 2, v[18:19]
	s_delay_alu instid0(VALU_DEP_2)
	v_add_nc_u64_e32 v[16:17], 4, v[16:17]
	s_branch .LBB115_171
.LBB115_170:                            ;   in Loop: Header=BB115_171 Depth=1
	s_or_b32 exec_lo, exec_lo, s24
	s_delay_alu instid0(SALU_CYCLE_1) | instskip(NEXT) | instid1(SALU_CYCLE_1)
	s_and_b32 s24, exec_lo, s23
	s_or_b32 s19, s24, s19
	s_and_not1_b32 s20, s20, exec_lo
	s_and_b32 s24, s22, exec_lo
	s_delay_alu instid0(SALU_CYCLE_1)
	s_or_b32 s20, s20, s24
	s_and_not1_b32 exec_lo, exec_lo, s19
	s_cbranch_execz .LBB115_176
.LBB115_171:                            ; =>This Inner Loop Header: Depth=1
	s_or_b32 s22, s22, exec_lo
	s_or_b32 s23, s23, exec_lo
	s_mov_b32 s24, exec_lo
	s_delay_alu instid0(VALU_DEP_1)
	v_cmpx_lt_u64_e64 v[16:17], v[14:15]
	s_cbranch_execz .LBB115_170
; %bb.172:                              ;   in Loop: Header=BB115_171 Depth=1
	global_load_b64 v[18:19], v[16:17], off offset:-4
	s_wait_xcnt 0x0
	v_add_nc_u64_e32 v[16:17], 4, v[16:17]
	s_and_not1_b32 s23, s23, exec_lo
	s_and_not1_b32 s22, s22, exec_lo
	s_wait_loadcnt 0x0
	v_cmp_ge_i32_e32 vcc_lo, v18, v19
	s_or_b32 s25, s21, vcc_lo
	s_delay_alu instid0(SALU_CYCLE_1) | instskip(NEXT) | instid1(SALU_CYCLE_1)
	s_and_b32 s25, s25, exec_lo
	s_or_b32 s23, s23, s25
	s_branch .LBB115_170
.LBB115_173:
	s_or_b32 exec_lo, exec_lo, s34
	s_delay_alu instid0(SALU_CYCLE_1) | instskip(SKIP_1) | instid1(SALU_CYCLE_1)
	s_and_not1_b32 s34, s52, exec_lo
	s_and_b32 s35, s35, exec_lo
	s_or_b32 s34, s34, s35
.LBB115_174:
	s_or_b32 exec_lo, exec_lo, s0
	s_delay_alu instid0(SALU_CYCLE_1)
	s_and_not1_b32 s35, s52, exec_lo
	s_and_b32 s34, s34, exec_lo
	s_mov_b32 s0, exec_lo
	s_or_b32 s52, s35, s34
	s_or_b32 exec_lo, exec_lo, s51
	s_and_saveexec_b32 s34, s52
	s_cbranch_execz .LBB115_71
.LBB115_175:
	s_or_b32 s3, s3, exec_lo
	s_and_not1_b32 s0, s0, exec_lo
	s_trap 2
	s_or_b32 exec_lo, exec_lo, s34
	s_and_saveexec_b32 s34, s0
	s_delay_alu instid0(SALU_CYCLE_1)
	s_xor_b32 s0, exec_lo, s34
	s_cbranch_execnz .LBB115_72
	s_branch .LBB115_73
.LBB115_176:
	s_or_b32 exec_lo, exec_lo, s19
	s_delay_alu instid0(SALU_CYCLE_1)
	s_mov_b32 s19, exec_lo
	s_or_not1_b32 s21, s20, exec_lo
.LBB115_177:
	s_or_b32 exec_lo, exec_lo, s1
	s_delay_alu instid0(SALU_CYCLE_1)
	s_and_b32 s20, s19, exec_lo
	s_xor_b32 s19, exec_lo, -1
	s_and_b32 s1, s21, exec_lo
.LBB115_178:
	s_or_b32 exec_lo, exec_lo, s49
	s_delay_alu instid0(SALU_CYCLE_1)
	s_and_not1_b32 s21, s43, exec_lo
	s_and_b32 s19, s19, exec_lo
	s_and_b32 s20, s20, exec_lo
	s_or_b32 s21, s21, s19
	s_xor_b32 s19, exec_lo, -1
	s_and_b32 s1, s1, exec_lo
.LBB115_179:
	s_or_b32 exec_lo, exec_lo, s48
	s_delay_alu instid0(SALU_CYCLE_1)
	s_and_not1_b32 s22, s43, exec_lo
	s_and_b32 s21, s21, exec_lo
	s_and_not1_b32 s23, s44, exec_lo
	s_and_b32 s19, s19, exec_lo
	s_and_b32 s20, s20, exec_lo
	s_or_b32 s22, s22, s21
	s_or_b32 s21, s23, s19
	s_xor_b32 s19, exec_lo, -1
	s_and_b32 s1, s1, exec_lo
.LBB115_180:
	s_or_b32 exec_lo, exec_lo, s9
	s_delay_alu instid0(SALU_CYCLE_1)
	s_and_not1_b32 s23, s43, exec_lo
	s_and_b32 s22, s22, exec_lo
	s_and_b32 s9, s20, exec_lo
	s_or_b32 s49, s23, s22
	s_and_not1_b32 s20, s44, exec_lo
	s_and_b32 s21, s21, exec_lo
	s_and_not1_b32 s22, s46, exec_lo
	s_and_b32 s19, s19, exec_lo
	s_or_b32 s50, s20, s21
	s_or_b32 s48, s22, s19
	s_or_not1_b32 s1, s1, exec_lo
.LBB115_181:
	s_or_b32 exec_lo, exec_lo, s45
	s_mov_b32 s21, 0
                                        ; implicit-def: $sgpr45
                                        ; implicit-def: $sgpr24
	s_and_saveexec_b32 s51, s1
	s_cbranch_execz .LBB115_208
; %bb.182:
	v_or_b32_e32 v5, 0x200, v0
	s_mov_b32 s25, -1
	s_mov_b32 s52, 0
	s_mov_b32 s1, s48
	s_mov_b32 s20, s50
	v_cmp_gt_i32_e64 s45, s5, v5
	s_mov_b32 s19, s49
	s_and_saveexec_b32 s53, s45
	s_cbranch_execz .LBB115_203
; %bb.183:
	v_cmp_eq_u32_e32 vcc_lo, s33, v11
	s_mov_b32 s1, -1
	s_mov_b32 s22, 0
	s_mov_b32 s23, s50
	;; [unrolled: 1-line block ×3, first 2 shown]
	s_and_b32 s20, s42, vcc_lo
	s_mov_b32 s19, 0
	s_and_saveexec_b32 s54, s20
	s_cbranch_execz .LBB115_202
; %bb.184:
	v_cmp_eq_u32_e32 vcc_lo, s6, v9
	s_mov_b32 s20, 0
	s_mov_b32 s21, s49
	s_and_b32 s19, s39, vcc_lo
	s_delay_alu instid0(SALU_CYCLE_1)
	s_and_saveexec_b32 s55, s19
	s_cbranch_execz .LBB115_201
; %bb.185:
	v_sub_nc_u32_e32 v5, v8, v10
	s_mov_b32 s20, -1
	s_mov_b32 s19, 0
	s_delay_alu instid0(VALU_DEP_1) | instskip(SKIP_2) | instid1(SALU_CYCLE_1)
	v_cmp_le_i32_e32 vcc_lo, s33, v5
	v_cmp_ge_i32_e64 s1, s4, v5
	s_and_b32 s1, vcc_lo, s1
	s_and_b32 s21, s38, s1
	s_mov_b32 s1, 0
	s_and_saveexec_b32 s56, s21
	s_cbranch_execz .LBB115_200
; %bb.186:
	s_wait_loadcnt 0x1
	v_mov_b64_e32 v[14:15], 0
	s_and_not1_b32 vcc_lo, exec_lo, s37
	s_cbranch_vccnz .LBB115_193
; %bb.187:
	v_dual_mov_b32 v14, v13 :: v_dual_ashrrev_i32 v15, 31, v13
	s_mov_b32 s21, 0
	v_mov_b32_e32 v12, 0
	s_mov_b32 s19, s21
	s_mov_b64 s[22:23], 0xffffffff
	v_mul_u64_e32 v[16:17], s[6:7], v[14:15]
	v_mov_b64_e32 v[14:15], 0
	s_lshl_b64 s[26:27], s[18:19], 3
	s_mov_b32 s19, s8
	s_add_nc_u64 s[24:25], s[10:11], s[26:27]
	s_add_nc_u64 s[26:27], s[12:13], s[26:27]
	s_branch .LBB115_189
.LBB115_188:                            ;   in Loop: Header=BB115_189 Depth=1
	s_or_b32 exec_lo, exec_lo, s1
	s_wait_loadcnt 0x0
	s_delay_alu instid0(VALU_DEP_1)
	v_mul_u64_e32 v[20:21], s[28:29], v[18:19]
	s_load_b64 s[28:29], s[26:27], 0x0
	s_add_co_i32 s19, s19, -1
	s_add_nc_u64 s[24:25], s[24:25], -8
	s_cmp_lg_u32 s19, 0
	s_wait_xcnt 0x0
	s_add_nc_u64 s[26:27], s[26:27], -8
	s_delay_alu instid0(VALU_DEP_1) | instskip(SKIP_1) | instid1(VALU_DEP_1)
	v_sub_nc_u64_e32 v[16:17], v[16:17], v[20:21]
	s_wait_kmcnt 0x0
	v_mad_nc_u64_u32 v[14:15], v16, s28, v[14:15]
	s_delay_alu instid0(VALU_DEP_1) | instskip(NEXT) | instid1(VALU_DEP_1)
	v_mad_u32 v5, v17, s28, v15
	v_mad_u32 v15, v16, s29, v5
	v_mov_b64_e32 v[16:17], v[18:19]
	s_cbranch_scc0 .LBB115_193
.LBB115_189:                            ; =>This Inner Loop Header: Depth=1
	s_load_b64 s[28:29], s[24:25], 0x0
                                        ; implicit-def: $vgpr18_vgpr19
	s_mov_b32 s1, exec_lo
	s_wait_kmcnt 0x0
	s_delay_alu instid0(VALU_DEP_1) | instskip(NEXT) | instid1(VALU_DEP_1)
	v_or_b32_e32 v13, s29, v17
	v_cmpx_ne_u64_e32 0, v[12:13]
	s_xor_b32 s57, exec_lo, s1
	s_cbranch_execz .LBB115_191
; %bb.190:                              ;   in Loop: Header=BB115_189 Depth=1
	s_ashr_i32 s30, s29, 31
	s_wait_loadcnt 0x0
	v_dual_mov_b32 v23, v12 :: v_dual_ashrrev_i32 v18, 31, v17
	s_mov_b32 s31, s30
	s_delay_alu instid0(SALU_CYCLE_1) | instskip(NEXT) | instid1(VALU_DEP_1)
	s_add_nc_u64 s[34:35], s[28:29], s[30:31]
	v_mov_b32_e32 v19, v18
	s_xor_b64 s[34:35], s[34:35], s[30:31]
	s_delay_alu instid0(SALU_CYCLE_1)
	s_cvt_f32_u32 s1, s34
	s_cvt_f32_u32 s20, s35
	s_sub_nc_u64 s[60:61], 0, s[34:35]
	v_add_nc_u64_e32 v[20:21], v[16:17], v[18:19]
	v_mov_b32_e32 v27, v12
	s_fmamk_f32 s1, s20, 0x4f800000, s1
	s_delay_alu instid0(SALU_CYCLE_3) | instskip(NEXT) | instid1(VALU_DEP_2)
	v_s_rcp_f32 s1, s1
	v_xor_b32_e32 v22, v20, v18
	s_delay_alu instid0(VALU_DEP_3) | instskip(NEXT) | instid1(TRANS32_DEP_1)
	v_dual_mov_b32 v31, v12 :: v_dual_bitop2_b32 v26, v21, v18 bitop3:0x14
	s_mul_f32 s1, s1, 0x5f7ffffc
	s_delay_alu instid0(SALU_CYCLE_3) | instskip(NEXT) | instid1(SALU_CYCLE_3)
	s_mul_f32 s20, s1, 0x2f800000
	s_trunc_f32 s20, s20
	s_delay_alu instid0(SALU_CYCLE_3) | instskip(SKIP_1) | instid1(SALU_CYCLE_2)
	s_fmamk_f32 s1, s20, 0xcf800000, s1
	s_cvt_u32_f32 s59, s20
	s_cvt_u32_f32 s58, s1
	s_delay_alu instid0(SALU_CYCLE_3) | instskip(NEXT) | instid1(SALU_CYCLE_1)
	s_mul_u64 s[62:63], s[60:61], s[58:59]
	s_mul_hi_u32 s65, s58, s63
	s_mul_i32 s64, s58, s63
	s_mul_hi_u32 s20, s58, s62
	s_mul_i32 s31, s59, s62
	s_add_nc_u64 s[64:65], s[20:21], s[64:65]
	s_mul_hi_u32 s1, s59, s62
	s_mul_hi_u32 s66, s59, s63
	s_add_co_u32 s20, s64, s31
	s_add_co_ci_u32 s20, s65, s1
	s_mul_i32 s62, s59, s63
	s_add_co_ci_u32 s63, s66, 0
	s_delay_alu instid0(SALU_CYCLE_1) | instskip(NEXT) | instid1(SALU_CYCLE_1)
	s_add_nc_u64 s[62:63], s[20:21], s[62:63]
	s_add_co_u32 s58, s58, s62
	s_cselect_b32 s1, -1, 0
	s_delay_alu instid0(SALU_CYCLE_1) | instskip(SKIP_1) | instid1(SALU_CYCLE_1)
	s_cmp_lg_u32 s1, 0
	s_add_co_ci_u32 s59, s59, s63
	s_mul_u64 s[60:61], s[60:61], s[58:59]
	s_delay_alu instid0(SALU_CYCLE_1)
	s_mul_hi_u32 s63, s58, s61
	s_mul_i32 s62, s58, s61
	s_mul_hi_u32 s20, s58, s60
	s_mul_i32 s31, s59, s60
	s_add_nc_u64 s[62:63], s[20:21], s[62:63]
	s_mul_hi_u32 s1, s59, s60
	s_mul_hi_u32 s64, s59, s61
	s_add_co_u32 s20, s62, s31
	s_add_co_ci_u32 s20, s63, s1
	s_mul_i32 s60, s59, s61
	s_add_co_ci_u32 s61, s64, 0
	s_delay_alu instid0(SALU_CYCLE_1) | instskip(NEXT) | instid1(SALU_CYCLE_1)
	s_add_nc_u64 s[60:61], s[20:21], s[60:61]
	s_add_co_u32 s58, s58, s60
	s_cselect_b32 s1, -1, 0
	v_mul_hi_u32 v30, v22, s58
	s_cmp_lg_u32 s1, 0
	s_add_co_ci_u32 s20, s59, s61
	s_and_b64 s[60:61], s[58:59], s[22:23]
	v_mul_u64_e32 v[24:25], s[20:21], v[22:23]
	v_mul_u64_e32 v[20:21], s[60:61], v[26:27]
	;; [unrolled: 1-line block ×3, first 2 shown]
	s_delay_alu instid0(VALU_DEP_3) | instskip(NEXT) | instid1(VALU_DEP_1)
	v_add_nc_u64_e32 v[24:25], v[30:31], v[24:25]
	v_add_co_u32 v5, vcc_lo, v24, v20
	s_delay_alu instid0(VALU_DEP_2) | instskip(NEXT) | instid1(VALU_DEP_4)
	v_add_co_ci_u32_e32 v30, vcc_lo, v25, v21, vcc_lo
	v_add_co_ci_u32_e32 v29, vcc_lo, 0, v29, vcc_lo
	s_delay_alu instid0(VALU_DEP_1) | instskip(NEXT) | instid1(VALU_DEP_1)
	v_add_nc_u64_e32 v[20:21], v[30:31], v[28:29]
	v_mul_u64_e32 v[24:25], s[34:35], v[20:21]
	s_delay_alu instid0(VALU_DEP_1) | instskip(NEXT) | instid1(VALU_DEP_2)
	v_sub_nc_u32_e32 v5, v26, v25
	v_sub_co_u32 v9, vcc_lo, v22, v24
	s_delay_alu instid0(VALU_DEP_1) | instskip(NEXT) | instid1(VALU_DEP_3)
	v_sub_co_ci_u32_e64 v13, null, v26, v25, vcc_lo
	v_subrev_co_ci_u32_e64 v5, null, s35, v5, vcc_lo
	s_delay_alu instid0(VALU_DEP_3) | instskip(SKIP_1) | instid1(VALU_DEP_3)
	v_sub_co_u32 v11, s1, v9, s34
	v_add_nc_u64_e32 v[22:23], 2, v[20:21]
	v_subrev_co_ci_u32_e64 v5, null, 0, v5, s1
	s_delay_alu instid0(VALU_DEP_3) | instskip(SKIP_2) | instid1(VALU_DEP_4)
	v_cmp_le_u32_e32 vcc_lo, s34, v11
	v_add_nc_u64_e32 v[24:25], 1, v[20:21]
	v_cndmask_b32_e64 v11, 0, -1, vcc_lo
	v_cmp_le_u32_e32 vcc_lo, s35, v5
	v_cndmask_b32_e64 v19, 0, -1, vcc_lo
	v_cmp_le_u32_e32 vcc_lo, s34, v9
	;; [unrolled: 2-line block ×3, first 2 shown]
	v_cndmask_b32_e64 v26, 0, -1, vcc_lo
	v_cmp_eq_u32_e32 vcc_lo, s35, v5
	v_cndmask_b32_e32 v5, v19, v11, vcc_lo
	v_cmp_eq_u32_e32 vcc_lo, s35, v13
	s_delay_alu instid0(VALU_DEP_4) | instskip(NEXT) | instid1(VALU_DEP_3)
	v_cndmask_b32_e32 v9, v26, v9, vcc_lo
	v_cmp_ne_u32_e32 vcc_lo, 0, v5
	s_delay_alu instid0(VALU_DEP_2) | instskip(SKIP_1) | instid1(VALU_DEP_1)
	v_cmp_ne_u32_e64 s1, 0, v9
	v_dual_cndmask_b32 v5, v25, v23, vcc_lo :: v_dual_cndmask_b32 v9, v24, v22, vcc_lo
	v_dual_cndmask_b32 v5, v21, v5, s1 :: v_dual_bitop2_b32 v18, s30, v18 bitop3:0x14
	s_delay_alu instid0(VALU_DEP_1) | instskip(NEXT) | instid1(VALU_DEP_2)
	v_dual_cndmask_b32 v9, v20, v9, s1 :: v_dual_mov_b32 v19, v18
	v_xor_b32_e32 v21, v5, v18
	s_delay_alu instid0(VALU_DEP_2) | instskip(NEXT) | instid1(VALU_DEP_1)
	v_xor_b32_e32 v20, v9, v18
	v_sub_nc_u64_e32 v[18:19], v[20:21], v[18:19]
.LBB115_191:                            ;   in Loop: Header=BB115_189 Depth=1
	s_and_not1_saveexec_b32 s1, s57
	s_cbranch_execz .LBB115_188
; %bb.192:                              ;   in Loop: Header=BB115_189 Depth=1
	v_cvt_f32_u32_e32 v5, s28
	s_sub_co_i32 s20, 0, s28
	v_mov_b32_e32 v19, v12
	s_delay_alu instid0(VALU_DEP_2) | instskip(SKIP_1) | instid1(TRANS32_DEP_1)
	v_rcp_iflag_f32_e32 v5, v5
	v_nop
	v_mul_f32_e32 v5, 0x4f7ffffe, v5
	s_delay_alu instid0(VALU_DEP_1) | instskip(NEXT) | instid1(VALU_DEP_1)
	v_cvt_u32_f32_e32 v5, v5
	v_mul_lo_u32 v9, s20, v5
	s_delay_alu instid0(VALU_DEP_1) | instskip(NEXT) | instid1(VALU_DEP_1)
	v_mul_hi_u32 v9, v5, v9
	v_add_nc_u32_e32 v5, v5, v9
	s_delay_alu instid0(VALU_DEP_1) | instskip(NEXT) | instid1(VALU_DEP_1)
	v_mul_hi_u32 v5, v16, v5
	v_mul_lo_u32 v9, v5, s28
	v_add_nc_u32_e32 v11, 1, v5
	s_delay_alu instid0(VALU_DEP_2) | instskip(NEXT) | instid1(VALU_DEP_1)
	v_sub_nc_u32_e32 v9, v16, v9
	v_subrev_nc_u32_e32 v13, s28, v9
	v_cmp_le_u32_e32 vcc_lo, s28, v9
	s_delay_alu instid0(VALU_DEP_2) | instskip(SKIP_1) | instid1(VALU_DEP_2)
	v_cndmask_b32_e32 v9, v9, v13, vcc_lo
	v_cndmask_b32_e32 v5, v5, v11, vcc_lo
	v_cmp_le_u32_e32 vcc_lo, s28, v9
	s_delay_alu instid0(VALU_DEP_2) | instskip(SKIP_1) | instid1(VALU_DEP_1)
	v_add_nc_u32_e32 v11, 1, v5
	s_wait_loadcnt 0x0
	v_cndmask_b32_e32 v18, v5, v11, vcc_lo
	s_branch .LBB115_188
.LBB115_193:
	s_mov_b32 s19, -1
	s_mov_b32 s21, 0
	s_mov_b32 s1, exec_lo
	v_cmpx_gt_i32_e64 v8, v10
	s_cbranch_execz .LBB115_199
; %bb.194:
	s_delay_alu instid0(VALU_DEP_2) | instskip(SKIP_3) | instid1(VALU_DEP_1)
	v_lshlrev_b64_e32 v[12:13], 2, v[14:15]
	v_dual_ashrrev_i32 v11, 31, v10 :: v_dual_ashrrev_i32 v9, 31, v8
	s_mov_b32 s19, 0
	s_xor_b32 s21, s36, -1
                                        ; implicit-def: $sgpr20
                                        ; implicit-def: $sgpr23
                                        ; implicit-def: $sgpr22
	v_lshl_add_u64 v[10:11], v[10:11], 2, v[12:13]
	v_add_nc_u64_e32 v[12:13], s[14:15], v[12:13]
	s_delay_alu instid0(VALU_DEP_2) | instskip(NEXT) | instid1(VALU_DEP_2)
	v_add_nc_u64_e32 v[10:11], s[14:15], v[10:11]
	v_lshl_add_u64 v[8:9], v[8:9], 2, v[12:13]
	s_delay_alu instid0(VALU_DEP_2)
	v_add_nc_u64_e32 v[10:11], 4, v[10:11]
	s_branch .LBB115_196
.LBB115_195:                            ;   in Loop: Header=BB115_196 Depth=1
	s_or_b32 exec_lo, exec_lo, s24
	s_delay_alu instid0(SALU_CYCLE_1) | instskip(NEXT) | instid1(SALU_CYCLE_1)
	s_and_b32 s24, exec_lo, s23
	s_or_b32 s19, s24, s19
	s_and_not1_b32 s20, s20, exec_lo
	s_and_b32 s24, s22, exec_lo
	s_delay_alu instid0(SALU_CYCLE_1)
	s_or_b32 s20, s20, s24
	s_and_not1_b32 exec_lo, exec_lo, s19
	s_cbranch_execz .LBB115_198
.LBB115_196:                            ; =>This Inner Loop Header: Depth=1
	s_or_b32 s22, s22, exec_lo
	s_or_b32 s23, s23, exec_lo
	s_mov_b32 s24, exec_lo
	s_delay_alu instid0(VALU_DEP_1)
	v_cmpx_lt_u64_e64 v[10:11], v[8:9]
	s_cbranch_execz .LBB115_195
; %bb.197:                              ;   in Loop: Header=BB115_196 Depth=1
	global_load_b64 v[12:13], v[10:11], off offset:-4
	s_wait_xcnt 0x0
	v_add_nc_u64_e32 v[10:11], 4, v[10:11]
	s_and_not1_b32 s23, s23, exec_lo
	s_and_not1_b32 s22, s22, exec_lo
	s_wait_loadcnt 0x0
	v_cmp_ge_i32_e32 vcc_lo, v12, v13
	s_or_b32 s25, s21, vcc_lo
	s_delay_alu instid0(SALU_CYCLE_1) | instskip(NEXT) | instid1(SALU_CYCLE_1)
	s_and_b32 s25, s25, exec_lo
	s_or_b32 s23, s23, s25
	s_branch .LBB115_195
.LBB115_198:
	s_or_b32 exec_lo, exec_lo, s19
	s_delay_alu instid0(SALU_CYCLE_1)
	s_mov_b32 s21, exec_lo
	s_or_not1_b32 s19, s20, exec_lo
.LBB115_199:
	s_or_b32 exec_lo, exec_lo, s1
	s_delay_alu instid0(SALU_CYCLE_1)
	s_and_b32 s1, s21, exec_lo
	s_xor_b32 s20, exec_lo, -1
	s_and_b32 s19, s19, exec_lo
.LBB115_200:
	s_or_b32 exec_lo, exec_lo, s56
	s_delay_alu instid0(SALU_CYCLE_1)
	s_and_not1_b32 s21, s49, exec_lo
	s_and_b32 s20, s20, exec_lo
	s_and_b32 s22, s1, exec_lo
	s_or_b32 s21, s21, s20
	s_xor_b32 s1, exec_lo, -1
	s_and_b32 s20, s19, exec_lo
.LBB115_201:
	s_or_b32 exec_lo, exec_lo, s55
	s_delay_alu instid0(SALU_CYCLE_1)
	s_and_b32 s19, s22, exec_lo
	s_and_not1_b32 s22, s49, exec_lo
	s_and_b32 s21, s21, exec_lo
	s_and_not1_b32 s23, s50, exec_lo
	s_and_b32 s1, s1, exec_lo
	s_or_b32 s21, s22, s21
	s_or_b32 s23, s23, s1
	s_xor_b32 s1, exec_lo, -1
	s_and_b32 s22, s20, exec_lo
.LBB115_202:
	s_or_b32 exec_lo, exec_lo, s54
	s_delay_alu instid0(SALU_CYCLE_1)
	s_and_not1_b32 s20, s49, exec_lo
	s_and_b32 s24, s21, exec_lo
	s_and_b32 s21, s19, exec_lo
	s_or_b32 s19, s20, s24
	s_and_not1_b32 s20, s50, exec_lo
	s_and_b32 s23, s23, exec_lo
	s_and_not1_b32 s24, s48, exec_lo
	s_and_b32 s1, s1, exec_lo
	s_or_b32 s20, s20, s23
	s_or_b32 s1, s24, s1
	s_or_not1_b32 s25, s22, exec_lo
.LBB115_203:
	s_or_b32 exec_lo, exec_lo, s53
	s_mov_b32 s23, 0
                                        ; implicit-def: $sgpr24
	s_and_saveexec_b32 s22, s25
	s_cbranch_execz .LBB115_207
; %bb.204:
	v_or_b32_e32 v5, 0x300, v0
	s_mov_b32 s23, -1
	s_mov_b32 s25, s1
	s_delay_alu instid0(VALU_DEP_1) | instskip(SKIP_2) | instid1(SALU_CYCLE_1)
	v_cmp_gt_i32_e64 s24, s5, v5
	s_mov_b32 s5, 0
	s_and_saveexec_b32 s26, s24
	s_xor_b32 s26, exec_lo, s26
; %bb.205:
	v_cmp_ne_u32_e32 vcc_lo, s33, v3
	s_xor_b32 s23, s42, -1
	s_and_not1_b32 s25, s1, exec_lo
	s_mov_b32 s5, exec_lo
	s_or_b32 s23, s23, vcc_lo
	s_delay_alu instid0(SALU_CYCLE_1)
	s_and_b32 s27, s23, exec_lo
	s_xor_b32 s23, exec_lo, -1
	s_or_b32 s25, s25, s27
; %bb.206:
	s_or_b32 exec_lo, exec_lo, s26
	s_delay_alu instid0(SALU_CYCLE_1)
	s_and_not1_b32 s1, s1, exec_lo
	s_and_b32 s25, s25, exec_lo
	s_and_b32 s23, s23, exec_lo
	s_and_not1_b32 s21, s21, exec_lo
	s_and_b32 s52, s5, exec_lo
	s_or_b32 s1, s1, s25
.LBB115_207:
	s_or_b32 exec_lo, exec_lo, s22
	s_delay_alu instid0(SALU_CYCLE_1)
	s_and_not1_b32 s5, s9, exec_lo
	s_and_b32 s9, s21, exec_lo
	s_and_b32 s19, s19, exec_lo
	s_or_b32 s9, s5, s9
	s_and_not1_b32 s5, s49, exec_lo
	s_and_not1_b32 s22, s50, exec_lo
	s_and_b32 s20, s20, exec_lo
	s_or_b32 s49, s5, s19
	s_and_not1_b32 s5, s48, exec_lo
	s_and_b32 s1, s1, exec_lo
	s_and_b32 s21, s23, exec_lo
	s_or_b32 s50, s22, s20
	s_and_b32 s52, s52, exec_lo
	s_or_b32 s48, s5, s1
.LBB115_208:
	s_or_b32 exec_lo, exec_lo, s51
	s_delay_alu instid0(SALU_CYCLE_1)
	s_and_not1_b32 s1, s41, exec_lo
	s_and_b32 s5, s9, exec_lo
	s_and_not1_b32 s19, s44, exec_lo
	s_or_b32 s41, s1, s5
	s_and_not1_b32 s1, s43, exec_lo
	s_and_b32 s5, s49, exec_lo
	s_and_b32 s20, s50, exec_lo
	s_or_b32 s43, s1, s5
	s_and_not1_b32 s1, s46, exec_lo
	s_and_b32 s5, s48, exec_lo
	s_and_b32 s9, s21, exec_lo
	s_or_b32 s44, s19, s20
	s_and_b32 s48, s52, exec_lo
	s_or_b32 s46, s1, s5
	s_or_b32 exec_lo, exec_lo, s47
	s_and_saveexec_b32 s1, s46
	s_cbranch_execz .LBB115_143
.LBB115_209:
	s_or_b32 s3, s3, exec_lo
	s_and_not1_b32 s48, s48, exec_lo
	s_trap 2
	s_branch .LBB115_143
.LBB115_210:
	s_or_b32 s3, s3, exec_lo
	s_trap 2
	s_branch .LBB115_76
.LBB115_211:
	s_or_b32 s3, s3, exec_lo
	s_and_not1_b32 s1, s1, exec_lo
	s_trap 2
	s_branch .LBB115_146
.LBB115_212:
	s_mov_b32 s3, exec_lo
	s_and_not1_b32 s0, s0, exec_lo
	s_trap 2
	s_branch .LBB115_67
	.section	.rodata,"a",@progbits
	.p2align	6, 0x0
	.amdhsa_kernel _ZN2at6native29vectorized_elementwise_kernelILi2EZZZNS0_12_GLOBAL__N_142_validate_compressed_sparse_indices_kernelILNS2_8CDimNameE1ENS2_18CUDAKernelLauncherENS2_14EmptyVecKernelENS2_8DummyVecELm0EEEvRKNS_6TensorESA_lllENKUlvE1_clEvENKUlvE_clEvEUliiiiiE_St5arrayIPcLm6EEEEviT0_T1_
		.amdhsa_group_segment_fixed_size 0
		.amdhsa_private_segment_fixed_size 0
		.amdhsa_kernarg_size 112
		.amdhsa_user_sgpr_count 2
		.amdhsa_user_sgpr_dispatch_ptr 0
		.amdhsa_user_sgpr_queue_ptr 0
		.amdhsa_user_sgpr_kernarg_segment_ptr 1
		.amdhsa_user_sgpr_dispatch_id 0
		.amdhsa_user_sgpr_kernarg_preload_length 0
		.amdhsa_user_sgpr_kernarg_preload_offset 0
		.amdhsa_user_sgpr_private_segment_size 0
		.amdhsa_wavefront_size32 1
		.amdhsa_uses_dynamic_stack 0
		.amdhsa_enable_private_segment 0
		.amdhsa_system_sgpr_workgroup_id_x 1
		.amdhsa_system_sgpr_workgroup_id_y 0
		.amdhsa_system_sgpr_workgroup_id_z 0
		.amdhsa_system_sgpr_workgroup_info 0
		.amdhsa_system_vgpr_workitem_id 0
		.amdhsa_next_free_vgpr 44
		.amdhsa_next_free_sgpr 74
		.amdhsa_named_barrier_count 0
		.amdhsa_reserve_vcc 1
		.amdhsa_float_round_mode_32 0
		.amdhsa_float_round_mode_16_64 0
		.amdhsa_float_denorm_mode_32 3
		.amdhsa_float_denorm_mode_16_64 3
		.amdhsa_fp16_overflow 0
		.amdhsa_memory_ordered 1
		.amdhsa_forward_progress 1
		.amdhsa_inst_pref_size 103
		.amdhsa_round_robin_scheduling 0
		.amdhsa_exception_fp_ieee_invalid_op 0
		.amdhsa_exception_fp_denorm_src 0
		.amdhsa_exception_fp_ieee_div_zero 0
		.amdhsa_exception_fp_ieee_overflow 0
		.amdhsa_exception_fp_ieee_underflow 0
		.amdhsa_exception_fp_ieee_inexact 0
		.amdhsa_exception_int_div_zero 0
	.end_amdhsa_kernel
	.section	.text._ZN2at6native29vectorized_elementwise_kernelILi2EZZZNS0_12_GLOBAL__N_142_validate_compressed_sparse_indices_kernelILNS2_8CDimNameE1ENS2_18CUDAKernelLauncherENS2_14EmptyVecKernelENS2_8DummyVecELm0EEEvRKNS_6TensorESA_lllENKUlvE1_clEvENKUlvE_clEvEUliiiiiE_St5arrayIPcLm6EEEEviT0_T1_,"axG",@progbits,_ZN2at6native29vectorized_elementwise_kernelILi2EZZZNS0_12_GLOBAL__N_142_validate_compressed_sparse_indices_kernelILNS2_8CDimNameE1ENS2_18CUDAKernelLauncherENS2_14EmptyVecKernelENS2_8DummyVecELm0EEEvRKNS_6TensorESA_lllENKUlvE1_clEvENKUlvE_clEvEUliiiiiE_St5arrayIPcLm6EEEEviT0_T1_,comdat
.Lfunc_end115:
	.size	_ZN2at6native29vectorized_elementwise_kernelILi2EZZZNS0_12_GLOBAL__N_142_validate_compressed_sparse_indices_kernelILNS2_8CDimNameE1ENS2_18CUDAKernelLauncherENS2_14EmptyVecKernelENS2_8DummyVecELm0EEEvRKNS_6TensorESA_lllENKUlvE1_clEvENKUlvE_clEvEUliiiiiE_St5arrayIPcLm6EEEEviT0_T1_, .Lfunc_end115-_ZN2at6native29vectorized_elementwise_kernelILi2EZZZNS0_12_GLOBAL__N_142_validate_compressed_sparse_indices_kernelILNS2_8CDimNameE1ENS2_18CUDAKernelLauncherENS2_14EmptyVecKernelENS2_8DummyVecELm0EEEvRKNS_6TensorESA_lllENKUlvE1_clEvENKUlvE_clEvEUliiiiiE_St5arrayIPcLm6EEEEviT0_T1_
                                        ; -- End function
	.set _ZN2at6native29vectorized_elementwise_kernelILi2EZZZNS0_12_GLOBAL__N_142_validate_compressed_sparse_indices_kernelILNS2_8CDimNameE1ENS2_18CUDAKernelLauncherENS2_14EmptyVecKernelENS2_8DummyVecELm0EEEvRKNS_6TensorESA_lllENKUlvE1_clEvENKUlvE_clEvEUliiiiiE_St5arrayIPcLm6EEEEviT0_T1_.num_vgpr, 44
	.set _ZN2at6native29vectorized_elementwise_kernelILi2EZZZNS0_12_GLOBAL__N_142_validate_compressed_sparse_indices_kernelILNS2_8CDimNameE1ENS2_18CUDAKernelLauncherENS2_14EmptyVecKernelENS2_8DummyVecELm0EEEvRKNS_6TensorESA_lllENKUlvE1_clEvENKUlvE_clEvEUliiiiiE_St5arrayIPcLm6EEEEviT0_T1_.num_agpr, 0
	.set _ZN2at6native29vectorized_elementwise_kernelILi2EZZZNS0_12_GLOBAL__N_142_validate_compressed_sparse_indices_kernelILNS2_8CDimNameE1ENS2_18CUDAKernelLauncherENS2_14EmptyVecKernelENS2_8DummyVecELm0EEEvRKNS_6TensorESA_lllENKUlvE1_clEvENKUlvE_clEvEUliiiiiE_St5arrayIPcLm6EEEEviT0_T1_.numbered_sgpr, 74
	.set _ZN2at6native29vectorized_elementwise_kernelILi2EZZZNS0_12_GLOBAL__N_142_validate_compressed_sparse_indices_kernelILNS2_8CDimNameE1ENS2_18CUDAKernelLauncherENS2_14EmptyVecKernelENS2_8DummyVecELm0EEEvRKNS_6TensorESA_lllENKUlvE1_clEvENKUlvE_clEvEUliiiiiE_St5arrayIPcLm6EEEEviT0_T1_.num_named_barrier, 0
	.set _ZN2at6native29vectorized_elementwise_kernelILi2EZZZNS0_12_GLOBAL__N_142_validate_compressed_sparse_indices_kernelILNS2_8CDimNameE1ENS2_18CUDAKernelLauncherENS2_14EmptyVecKernelENS2_8DummyVecELm0EEEvRKNS_6TensorESA_lllENKUlvE1_clEvENKUlvE_clEvEUliiiiiE_St5arrayIPcLm6EEEEviT0_T1_.private_seg_size, 0
	.set _ZN2at6native29vectorized_elementwise_kernelILi2EZZZNS0_12_GLOBAL__N_142_validate_compressed_sparse_indices_kernelILNS2_8CDimNameE1ENS2_18CUDAKernelLauncherENS2_14EmptyVecKernelENS2_8DummyVecELm0EEEvRKNS_6TensorESA_lllENKUlvE1_clEvENKUlvE_clEvEUliiiiiE_St5arrayIPcLm6EEEEviT0_T1_.uses_vcc, 1
	.set _ZN2at6native29vectorized_elementwise_kernelILi2EZZZNS0_12_GLOBAL__N_142_validate_compressed_sparse_indices_kernelILNS2_8CDimNameE1ENS2_18CUDAKernelLauncherENS2_14EmptyVecKernelENS2_8DummyVecELm0EEEvRKNS_6TensorESA_lllENKUlvE1_clEvENKUlvE_clEvEUliiiiiE_St5arrayIPcLm6EEEEviT0_T1_.uses_flat_scratch, 0
	.set _ZN2at6native29vectorized_elementwise_kernelILi2EZZZNS0_12_GLOBAL__N_142_validate_compressed_sparse_indices_kernelILNS2_8CDimNameE1ENS2_18CUDAKernelLauncherENS2_14EmptyVecKernelENS2_8DummyVecELm0EEEvRKNS_6TensorESA_lllENKUlvE1_clEvENKUlvE_clEvEUliiiiiE_St5arrayIPcLm6EEEEviT0_T1_.has_dyn_sized_stack, 0
	.set _ZN2at6native29vectorized_elementwise_kernelILi2EZZZNS0_12_GLOBAL__N_142_validate_compressed_sparse_indices_kernelILNS2_8CDimNameE1ENS2_18CUDAKernelLauncherENS2_14EmptyVecKernelENS2_8DummyVecELm0EEEvRKNS_6TensorESA_lllENKUlvE1_clEvENKUlvE_clEvEUliiiiiE_St5arrayIPcLm6EEEEviT0_T1_.has_recursion, 0
	.set _ZN2at6native29vectorized_elementwise_kernelILi2EZZZNS0_12_GLOBAL__N_142_validate_compressed_sparse_indices_kernelILNS2_8CDimNameE1ENS2_18CUDAKernelLauncherENS2_14EmptyVecKernelENS2_8DummyVecELm0EEEvRKNS_6TensorESA_lllENKUlvE1_clEvENKUlvE_clEvEUliiiiiE_St5arrayIPcLm6EEEEviT0_T1_.has_indirect_call, 0
	.section	.AMDGPU.csdata,"",@progbits
; Kernel info:
; codeLenInByte = 13184
; TotalNumSgprs: 76
; NumVgprs: 44
; ScratchSize: 0
; MemoryBound: 0
; FloatMode: 240
; IeeeMode: 1
; LDSByteSize: 0 bytes/workgroup (compile time only)
; SGPRBlocks: 0
; VGPRBlocks: 2
; NumSGPRsForWavesPerEU: 76
; NumVGPRsForWavesPerEU: 44
; NamedBarCnt: 0
; Occupancy: 16
; WaveLimiterHint : 1
; COMPUTE_PGM_RSRC2:SCRATCH_EN: 0
; COMPUTE_PGM_RSRC2:USER_SGPR: 2
; COMPUTE_PGM_RSRC2:TRAP_HANDLER: 0
; COMPUTE_PGM_RSRC2:TGID_X_EN: 1
; COMPUTE_PGM_RSRC2:TGID_Y_EN: 0
; COMPUTE_PGM_RSRC2:TGID_Z_EN: 0
; COMPUTE_PGM_RSRC2:TIDIG_COMP_CNT: 0
	.section	.text._ZN2at6native27unrolled_elementwise_kernelIZZZNS0_12_GLOBAL__N_142_validate_compressed_sparse_indices_kernelILNS2_8CDimNameE1ENS2_18CUDAKernelLauncherENS2_14EmptyVecKernelENS2_8DummyVecELm0EEEvRKNS_6TensorESA_lllENKUlvE1_clEvENKUlvE_clEvEUliiiiiE_St5arrayIPcLm6EELi4E23TrivialOffsetCalculatorILi5EjESH_ILi1EjENS0_6memory15LoadWithoutCastENSK_16StoreWithoutCastEEEviT_T0_T2_T3_T4_T5_,"axG",@progbits,_ZN2at6native27unrolled_elementwise_kernelIZZZNS0_12_GLOBAL__N_142_validate_compressed_sparse_indices_kernelILNS2_8CDimNameE1ENS2_18CUDAKernelLauncherENS2_14EmptyVecKernelENS2_8DummyVecELm0EEEvRKNS_6TensorESA_lllENKUlvE1_clEvENKUlvE_clEvEUliiiiiE_St5arrayIPcLm6EELi4E23TrivialOffsetCalculatorILi5EjESH_ILi1EjENS0_6memory15LoadWithoutCastENSK_16StoreWithoutCastEEEviT_T0_T2_T3_T4_T5_,comdat
	.globl	_ZN2at6native27unrolled_elementwise_kernelIZZZNS0_12_GLOBAL__N_142_validate_compressed_sparse_indices_kernelILNS2_8CDimNameE1ENS2_18CUDAKernelLauncherENS2_14EmptyVecKernelENS2_8DummyVecELm0EEEvRKNS_6TensorESA_lllENKUlvE1_clEvENKUlvE_clEvEUliiiiiE_St5arrayIPcLm6EELi4E23TrivialOffsetCalculatorILi5EjESH_ILi1EjENS0_6memory15LoadWithoutCastENSK_16StoreWithoutCastEEEviT_T0_T2_T3_T4_T5_ ; -- Begin function _ZN2at6native27unrolled_elementwise_kernelIZZZNS0_12_GLOBAL__N_142_validate_compressed_sparse_indices_kernelILNS2_8CDimNameE1ENS2_18CUDAKernelLauncherENS2_14EmptyVecKernelENS2_8DummyVecELm0EEEvRKNS_6TensorESA_lllENKUlvE1_clEvENKUlvE_clEvEUliiiiiE_St5arrayIPcLm6EELi4E23TrivialOffsetCalculatorILi5EjESH_ILi1EjENS0_6memory15LoadWithoutCastENSK_16StoreWithoutCastEEEviT_T0_T2_T3_T4_T5_
	.p2align	8
	.type	_ZN2at6native27unrolled_elementwise_kernelIZZZNS0_12_GLOBAL__N_142_validate_compressed_sparse_indices_kernelILNS2_8CDimNameE1ENS2_18CUDAKernelLauncherENS2_14EmptyVecKernelENS2_8DummyVecELm0EEEvRKNS_6TensorESA_lllENKUlvE1_clEvENKUlvE_clEvEUliiiiiE_St5arrayIPcLm6EELi4E23TrivialOffsetCalculatorILi5EjESH_ILi1EjENS0_6memory15LoadWithoutCastENSK_16StoreWithoutCastEEEviT_T0_T2_T3_T4_T5_,@function
_ZN2at6native27unrolled_elementwise_kernelIZZZNS0_12_GLOBAL__N_142_validate_compressed_sparse_indices_kernelILNS2_8CDimNameE1ENS2_18CUDAKernelLauncherENS2_14EmptyVecKernelENS2_8DummyVecELm0EEEvRKNS_6TensorESA_lllENKUlvE1_clEvENKUlvE_clEvEUliiiiiE_St5arrayIPcLm6EELi4E23TrivialOffsetCalculatorILi5EjESH_ILi1EjENS0_6memory15LoadWithoutCastENSK_16StoreWithoutCastEEEviT_T0_T2_T3_T4_T5_: ; @_ZN2at6native27unrolled_elementwise_kernelIZZZNS0_12_GLOBAL__N_142_validate_compressed_sparse_indices_kernelILNS2_8CDimNameE1ENS2_18CUDAKernelLauncherENS2_14EmptyVecKernelENS2_8DummyVecELm0EEEvRKNS_6TensorESA_lllENKUlvE1_clEvENKUlvE_clEvEUliiiiiE_St5arrayIPcLm6EELi4E23TrivialOffsetCalculatorILi5EjESH_ILi1EjENS0_6memory15LoadWithoutCastENSK_16StoreWithoutCastEEEviT_T0_T2_T3_T4_T5_
; %bb.0:
	s_load_b32 s2, s[0:1], 0x0
	s_bfe_u32 s4, ttmp6, 0x4000c
	s_and_b32 s3, ttmp6, 15
	s_add_co_i32 s4, s4, 1
	s_getreg_b32 s5, hwreg(HW_REG_IB_STS2, 6, 4)
	s_mul_i32 s4, ttmp9, s4
	v_mov_b64_e32 v[6:7], 0
	s_add_co_i32 s3, s3, s4
	s_cmp_eq_u32 s5, 0
	s_load_b512 s[4:19], s[0:1], 0x10
	s_cselect_b32 s3, ttmp9, s3
	v_dual_mov_b32 v5, 0 :: v_dual_mov_b32 v3, 0
	s_lshl_b32 s3, s3, 10
	v_dual_mov_b32 v4, 0 :: v_dual_mov_b32 v2, 0
	v_dual_mov_b32 v11, 0 :: v_dual_mov_b32 v9, 0
	v_dual_mov_b32 v10, 0 :: v_dual_mov_b32 v8, 0
	s_wait_kmcnt 0x0
	s_sub_co_i32 s5, s2, s3
	v_or_b32_e32 v1, 0x100, v0
	v_cmp_gt_i32_e64 s2, s5, v0
	v_dual_mov_b32 v12, 0 :: v_dual_mov_b32 v15, 0
	v_dual_mov_b32 v13, 0 :: v_dual_mov_b32 v16, 0
	;; [unrolled: 1-line block ×5, first 2 shown]
	v_mov_b32_e32 v24, 0
	s_mov_b32 s41, 0
	s_and_saveexec_b32 s9, s2
	s_cbranch_execz .LBB116_8
; %bb.1:
	s_load_b256 s[20:27], s[0:1], 0x50
	v_dual_mov_b32 v18, 0 :: v_dual_bitop2_b32 v2, s3, v0 bitop3:0x54
	v_mov_b64_e32 v[6:7], 0
	v_or_b32_e32 v21, 0x100, v0
	v_dual_mov_b32 v14, 0 :: v_dual_mov_b32 v16, 0
	v_dual_mov_b32 v13, 0 :: v_dual_mov_b32 v15, 0
	;; [unrolled: 1-line block ×6, first 2 shown]
	s_mov_b32 s28, exec_lo
	global_load_b32 v19, v2, s[18:19] scale_offset
	s_wait_kmcnt 0x0
	s_clause 0x3
	global_load_b32 v17, v2, s[20:21] scale_offset
	global_load_b32 v22, v2, s[22:23] scale_offset
	;; [unrolled: 1-line block ×4, first 2 shown]
	s_wait_xcnt 0x0
	v_mov_b32_e32 v2, 0
	v_cmpx_gt_u32_e64 s5, v21
	s_cbranch_execz .LBB116_7
; %bb.2:
	v_dual_add_nc_u32 v2, s3, v21 :: v_dual_mov_b32 v12, 0
	v_mov_b64_e32 v[6:7], 0
	v_or_b32_e32 v21, 0x200, v0
	v_dual_mov_b32 v8, 0 :: v_dual_mov_b32 v10, 0
	s_clause 0x4
	global_load_b32 v15, v2, s[18:19] scale_offset
	global_load_b32 v13, v2, s[20:21] scale_offset
	;; [unrolled: 1-line block ×5, first 2 shown]
	v_dual_mov_b32 v9, 0 :: v_dual_mov_b32 v11, 0
	s_wait_xcnt 0x0
	v_dual_mov_b32 v2, 0 :: v_dual_mov_b32 v4, 0
	v_dual_mov_b32 v3, 0 :: v_dual_mov_b32 v5, 0
	s_mov_b32 s29, exec_lo
	v_cmpx_gt_u32_e64 s5, v21
	s_cbranch_execz .LBB116_6
; %bb.3:
	v_dual_add_nc_u32 v2, s3, v21 :: v_dual_mov_b32 v4, 0
	v_mov_b64_e32 v[6:7], 0
	v_or_b32_e32 v21, 0x300, v0
	v_mov_b32_e32 v5, 0
	s_clause 0x4
	global_load_b32 v11, v2, s[18:19] scale_offset
	global_load_b32 v9, v2, s[20:21] scale_offset
	;; [unrolled: 1-line block ×5, first 2 shown]
	s_wait_xcnt 0x0
	v_dual_mov_b32 v2, 0 :: v_dual_mov_b32 v3, 0
	s_mov_b32 s30, exec_lo
	v_cmpx_gt_u32_e64 s5, v21
	s_cbranch_execz .LBB116_5
; %bb.4:
	v_add_nc_u32_e32 v7, s3, v21
	s_clause 0x4
	global_load_b32 v6, v7, s[26:27] scale_offset
	global_load_b32 v5, v7, s[18:19] scale_offset
	;; [unrolled: 1-line block ×5, first 2 shown]
	s_wait_loadcnt 0x4
	s_wait_xcnt 0x0
	v_ashrrev_i32_e32 v7, 31, v6
.LBB116_5:
	s_or_b32 exec_lo, exec_lo, s30
.LBB116_6:
	s_delay_alu instid0(SALU_CYCLE_1)
	s_or_b32 exec_lo, exec_lo, s29
.LBB116_7:
	s_delay_alu instid0(SALU_CYCLE_1)
	s_or_b32 exec_lo, exec_lo, s28
.LBB116_8:
	s_delay_alu instid0(SALU_CYCLE_1)
	s_or_b32 exec_lo, exec_lo, s9
	s_load_b32 s34, s[0:1], 0x8
	s_get_pc_i64 s[18:19]
	s_add_nc_u64 s[18:19], s[18:19], .str.6@rel64+4
	s_get_pc_i64 s[20:21]
	s_add_nc_u64 s[20:21], s[20:21], .str.7@rel64+4
	s_cmp_lg_u64 s[18:19], 0
	s_wait_xcnt 0x0
	s_get_pc_i64 s[0:1]
	s_add_nc_u64 s[0:1], s[0:1], .str.8@rel64+4
	s_cselect_b32 s40, -1, 0
	s_cmp_lg_u64 s[20:21], 0
	v_cmp_gt_i64_e64 s9, s[6:7], 0
	s_cselect_b32 s36, -1, 0
	s_cmp_lg_u64 s[0:1], 0
	s_get_pc_i64 s[0:1]
	s_add_nc_u64 s[0:1], s[0:1], .str.9@rel64+4
	s_cselect_b32 s35, -1, 0
	s_add_co_i32 s18, s8, -1
	s_mov_b32 s19, -1
	s_cmp_gt_i32 s18, -1
	s_mov_b32 s43, 0
	s_cselect_b32 s20, -1, 0
	s_mov_b32 s42, 0
	s_and_b32 s33, s9, s20
	s_cmp_lg_u64 s[0:1], 0
	s_mov_b32 s38, 0
	s_cselect_b32 s9, -1, 0
	s_and_saveexec_b32 s37, s2
	s_cbranch_execz .LBB116_29
; %bb.9:
	s_wait_loadcnt 0x4
	s_wait_kmcnt 0x0
	v_cmp_eq_u32_e32 vcc_lo, s34, v19
	s_mov_b32 s1, -1
	s_mov_b32 s0, 0
	s_mov_b32 s19, 0
	;; [unrolled: 1-line block ×3, first 2 shown]
	s_and_b32 s22, s40, vcc_lo
	s_mov_b32 s21, 0
	s_and_saveexec_b32 s38, s22
	s_cbranch_execz .LBB116_28
; %bb.10:
	s_wait_loadcnt 0x3
	v_cmp_eq_u32_e32 vcc_lo, s6, v17
	s_and_b32 s21, s36, vcc_lo
	s_delay_alu instid0(SALU_CYCLE_1)
	s_and_saveexec_b32 s39, s21
	s_cbranch_execz .LBB116_27
; %bb.11:
	s_wait_loadcnt 0x1
	v_sub_nc_u32_e32 v17, v20, v22
	s_delay_alu instid0(VALU_DEP_1)
	v_cmp_le_i32_e32 vcc_lo, s34, v17
	v_cmp_ge_i32_e64 s0, s4, v17
	s_and_b32 s19, vcc_lo, s0
	s_mov_b32 s0, 0
	s_and_b32 s20, s35, s19
	s_mov_b32 s19, 0
	s_and_saveexec_b32 s41, s20
	s_cbranch_execz .LBB116_26
; %bb.12:
	v_mov_b64_e32 v[26:27], 0
	s_and_not1_b32 vcc_lo, exec_lo, s33
	s_cbranch_vccnz .LBB116_19
; %bb.13:
	s_wait_loadcnt 0x0
	v_ashrrev_i32_e32 v25, 31, v24
	s_mov_b32 s1, 0
	v_mov_b64_e32 v[26:27], 0
	s_mov_b32 s19, s1
	s_mov_b64 s[20:21], 0xffffffff
	v_mul_u64_e32 v[28:29], s[6:7], v[24:25]
	v_mov_b32_e32 v24, 0
	s_lshl_b64 s[24:25], s[18:19], 3
	s_mov_b32 s19, s8
	s_add_nc_u64 s[22:23], s[10:11], s[24:25]
	s_add_nc_u64 s[24:25], s[12:13], s[24:25]
	s_branch .LBB116_15
.LBB116_14:                             ;   in Loop: Header=BB116_15 Depth=1
	s_or_b32 exec_lo, exec_lo, s0
	s_delay_alu instid0(VALU_DEP_1)
	v_mul_u64_e32 v[32:33], s[26:27], v[30:31]
	s_load_b64 s[26:27], s[24:25], 0x0
	s_add_co_i32 s19, s19, -1
	s_add_nc_u64 s[22:23], s[22:23], -8
	s_cmp_eq_u32 s19, 0
	s_wait_xcnt 0x0
	s_add_nc_u64 s[24:25], s[24:25], -8
	s_delay_alu instid0(VALU_DEP_1) | instskip(SKIP_1) | instid1(VALU_DEP_1)
	v_sub_nc_u64_e32 v[28:29], v[28:29], v[32:33]
	s_wait_kmcnt 0x0
	v_mad_nc_u64_u32 v[26:27], v28, s26, v[26:27]
	s_delay_alu instid0(VALU_DEP_1) | instskip(NEXT) | instid1(VALU_DEP_1)
	v_mad_u32 v17, v29, s26, v27
	v_mad_u32 v27, v28, s27, v17
	v_mov_b64_e32 v[28:29], v[30:31]
	s_cbranch_scc1 .LBB116_19
.LBB116_15:                             ; =>This Inner Loop Header: Depth=1
	s_load_b64 s[26:27], s[22:23], 0x0
                                        ; implicit-def: $vgpr30_vgpr31
	s_mov_b32 s0, exec_lo
	s_wait_kmcnt 0x0
	s_delay_alu instid0(VALU_DEP_1) | instskip(NEXT) | instid1(VALU_DEP_1)
	v_or_b32_e32 v25, s27, v29
	v_cmpx_ne_u64_e32 0, v[24:25]
	s_xor_b32 s42, exec_lo, s0
	s_cbranch_execz .LBB116_17
; %bb.16:                               ;   in Loop: Header=BB116_15 Depth=1
	s_ashr_i32 s28, s27, 31
	v_dual_mov_b32 v35, v24 :: v_dual_ashrrev_i32 v30, 31, v29
	s_mov_b32 s29, s28
	s_delay_alu instid0(SALU_CYCLE_1) | instskip(NEXT) | instid1(VALU_DEP_1)
	s_add_nc_u64 s[30:31], s[26:27], s[28:29]
	v_mov_b32_e32 v31, v30
	s_xor_b64 s[30:31], s[30:31], s[28:29]
	s_delay_alu instid0(SALU_CYCLE_1)
	s_cvt_f32_u32 s0, s30
	s_cvt_f32_u32 s29, s31
	s_sub_nc_u64 s[46:47], 0, s[30:31]
	v_add_nc_u64_e32 v[32:33], v[28:29], v[30:31]
	v_mov_b32_e32 v39, v24
	s_fmamk_f32 s0, s29, 0x4f800000, s0
	s_delay_alu instid0(SALU_CYCLE_3) | instskip(NEXT) | instid1(VALU_DEP_2)
	v_s_rcp_f32 s0, s0
	v_xor_b32_e32 v34, v32, v30
	s_delay_alu instid0(VALU_DEP_3) | instskip(NEXT) | instid1(TRANS32_DEP_1)
	v_dual_mov_b32 v43, v24 :: v_dual_bitop2_b32 v38, v33, v30 bitop3:0x14
	s_mul_f32 s0, s0, 0x5f7ffffc
	s_delay_alu instid0(SALU_CYCLE_3) | instskip(NEXT) | instid1(SALU_CYCLE_3)
	s_mul_f32 s29, s0, 0x2f800000
	s_trunc_f32 s29, s29
	s_delay_alu instid0(SALU_CYCLE_3) | instskip(SKIP_1) | instid1(SALU_CYCLE_2)
	s_fmamk_f32 s0, s29, 0xcf800000, s0
	s_cvt_u32_f32 s45, s29
	s_cvt_u32_f32 s44, s0
	s_delay_alu instid0(SALU_CYCLE_3) | instskip(NEXT) | instid1(SALU_CYCLE_1)
	s_mul_u64 s[48:49], s[46:47], s[44:45]
	s_mul_hi_u32 s51, s44, s49
	s_mul_i32 s50, s44, s49
	s_mul_hi_u32 s0, s44, s48
	s_mul_i32 s43, s45, s48
	s_add_nc_u64 s[50:51], s[0:1], s[50:51]
	s_mul_hi_u32 s29, s45, s48
	s_mul_hi_u32 s52, s45, s49
	s_add_co_u32 s0, s50, s43
	s_add_co_ci_u32 s0, s51, s29
	s_mul_i32 s48, s45, s49
	s_add_co_ci_u32 s49, s52, 0
	s_delay_alu instid0(SALU_CYCLE_1) | instskip(NEXT) | instid1(SALU_CYCLE_1)
	s_add_nc_u64 s[48:49], s[0:1], s[48:49]
	s_add_co_u32 s44, s44, s48
	s_cselect_b32 s0, -1, 0
	s_delay_alu instid0(SALU_CYCLE_1) | instskip(SKIP_1) | instid1(SALU_CYCLE_1)
	s_cmp_lg_u32 s0, 0
	s_add_co_ci_u32 s45, s45, s49
	s_mul_u64 s[46:47], s[46:47], s[44:45]
	s_delay_alu instid0(SALU_CYCLE_1)
	s_mul_hi_u32 s49, s44, s47
	s_mul_i32 s48, s44, s47
	s_mul_hi_u32 s0, s44, s46
	s_mul_i32 s43, s45, s46
	s_add_nc_u64 s[48:49], s[0:1], s[48:49]
	s_mul_hi_u32 s29, s45, s46
	s_mul_hi_u32 s50, s45, s47
	s_add_co_u32 s0, s48, s43
	s_add_co_ci_u32 s0, s49, s29
	s_mul_i32 s46, s45, s47
	s_add_co_ci_u32 s47, s50, 0
	s_delay_alu instid0(SALU_CYCLE_1) | instskip(NEXT) | instid1(SALU_CYCLE_1)
	s_add_nc_u64 s[46:47], s[0:1], s[46:47]
	s_add_co_u32 s44, s44, s46
	s_cselect_b32 s0, -1, 0
	v_mul_hi_u32 v42, v34, s44
	s_cmp_lg_u32 s0, 0
	s_add_co_ci_u32 s0, s45, s47
	s_and_b64 s[46:47], s[44:45], s[20:21]
	v_mul_u64_e32 v[36:37], s[0:1], v[34:35]
	v_mul_u64_e32 v[32:33], s[46:47], v[38:39]
	;; [unrolled: 1-line block ×3, first 2 shown]
	s_delay_alu instid0(VALU_DEP_3) | instskip(NEXT) | instid1(VALU_DEP_1)
	v_add_nc_u64_e32 v[36:37], v[42:43], v[36:37]
	v_add_co_u32 v17, vcc_lo, v36, v32
	s_delay_alu instid0(VALU_DEP_2) | instskip(NEXT) | instid1(VALU_DEP_4)
	v_add_co_ci_u32_e32 v42, vcc_lo, v37, v33, vcc_lo
	v_add_co_ci_u32_e32 v41, vcc_lo, 0, v41, vcc_lo
	s_delay_alu instid0(VALU_DEP_1) | instskip(NEXT) | instid1(VALU_DEP_1)
	v_add_nc_u64_e32 v[32:33], v[42:43], v[40:41]
	v_mul_u64_e32 v[36:37], s[30:31], v[32:33]
	s_delay_alu instid0(VALU_DEP_1) | instskip(NEXT) | instid1(VALU_DEP_2)
	v_sub_nc_u32_e32 v17, v38, v37
	v_sub_co_u32 v19, vcc_lo, v34, v36
	s_delay_alu instid0(VALU_DEP_1) | instskip(NEXT) | instid1(VALU_DEP_3)
	v_sub_co_ci_u32_e64 v23, null, v38, v37, vcc_lo
	v_subrev_co_ci_u32_e64 v17, null, s31, v17, vcc_lo
	s_delay_alu instid0(VALU_DEP_3) | instskip(SKIP_1) | instid1(VALU_DEP_3)
	v_sub_co_u32 v21, s0, v19, s30
	v_add_nc_u64_e32 v[34:35], 2, v[32:33]
	v_subrev_co_ci_u32_e64 v17, null, 0, v17, s0
	s_delay_alu instid0(VALU_DEP_3) | instskip(SKIP_2) | instid1(VALU_DEP_4)
	v_cmp_le_u32_e32 vcc_lo, s30, v21
	v_add_nc_u64_e32 v[36:37], 1, v[32:33]
	v_cndmask_b32_e64 v21, 0, -1, vcc_lo
	v_cmp_le_u32_e32 vcc_lo, s31, v17
	v_cndmask_b32_e64 v25, 0, -1, vcc_lo
	v_cmp_le_u32_e32 vcc_lo, s30, v19
	;; [unrolled: 2-line block ×3, first 2 shown]
	v_cndmask_b32_e64 v31, 0, -1, vcc_lo
	v_cmp_eq_u32_e32 vcc_lo, s31, v17
	v_cndmask_b32_e32 v17, v25, v21, vcc_lo
	v_cmp_eq_u32_e32 vcc_lo, s31, v23
	s_delay_alu instid0(VALU_DEP_4) | instskip(NEXT) | instid1(VALU_DEP_3)
	v_cndmask_b32_e32 v19, v31, v19, vcc_lo
	v_cmp_ne_u32_e32 vcc_lo, 0, v17
	s_delay_alu instid0(VALU_DEP_2) | instskip(SKIP_1) | instid1(VALU_DEP_1)
	v_cmp_ne_u32_e64 s0, 0, v19
	v_dual_cndmask_b32 v17, v37, v35, vcc_lo :: v_dual_cndmask_b32 v19, v36, v34, vcc_lo
	v_dual_cndmask_b32 v17, v33, v17, s0 :: v_dual_bitop2_b32 v30, s28, v30 bitop3:0x14
	s_delay_alu instid0(VALU_DEP_1) | instskip(NEXT) | instid1(VALU_DEP_2)
	v_dual_cndmask_b32 v19, v32, v19, s0 :: v_dual_mov_b32 v31, v30
	v_xor_b32_e32 v33, v17, v30
	s_delay_alu instid0(VALU_DEP_2) | instskip(NEXT) | instid1(VALU_DEP_1)
	v_xor_b32_e32 v32, v19, v30
	v_sub_nc_u64_e32 v[30:31], v[32:33], v[30:31]
.LBB116_17:                             ;   in Loop: Header=BB116_15 Depth=1
	s_and_not1_saveexec_b32 s0, s42
	s_cbranch_execz .LBB116_14
; %bb.18:                               ;   in Loop: Header=BB116_15 Depth=1
	v_cvt_f32_u32_e32 v17, s26
	s_sub_co_i32 s28, 0, s26
	v_mov_b32_e32 v31, v24
	s_delay_alu instid0(VALU_DEP_2) | instskip(SKIP_1) | instid1(TRANS32_DEP_1)
	v_rcp_iflag_f32_e32 v17, v17
	v_nop
	v_mul_f32_e32 v17, 0x4f7ffffe, v17
	s_delay_alu instid0(VALU_DEP_1) | instskip(NEXT) | instid1(VALU_DEP_1)
	v_cvt_u32_f32_e32 v17, v17
	v_mul_lo_u32 v19, s28, v17
	s_delay_alu instid0(VALU_DEP_1) | instskip(NEXT) | instid1(VALU_DEP_1)
	v_mul_hi_u32 v19, v17, v19
	v_add_nc_u32_e32 v17, v17, v19
	s_delay_alu instid0(VALU_DEP_1) | instskip(NEXT) | instid1(VALU_DEP_1)
	v_mul_hi_u32 v17, v28, v17
	v_mul_lo_u32 v19, v17, s26
	s_delay_alu instid0(VALU_DEP_1) | instskip(NEXT) | instid1(VALU_DEP_1)
	v_sub_nc_u32_e32 v19, v28, v19
	v_subrev_nc_u32_e32 v23, s26, v19
	v_cmp_le_u32_e32 vcc_lo, s26, v19
	s_delay_alu instid0(VALU_DEP_2) | instskip(NEXT) | instid1(VALU_DEP_1)
	v_dual_add_nc_u32 v21, 1, v17 :: v_dual_cndmask_b32 v19, v19, v23, vcc_lo
	v_cndmask_b32_e32 v17, v17, v21, vcc_lo
	s_delay_alu instid0(VALU_DEP_2) | instskip(NEXT) | instid1(VALU_DEP_2)
	v_cmp_le_u32_e32 vcc_lo, s26, v19
	v_add_nc_u32_e32 v21, 1, v17
	s_delay_alu instid0(VALU_DEP_1)
	v_cndmask_b32_e32 v30, v17, v21, vcc_lo
	s_branch .LBB116_14
.LBB116_19:
	s_mov_b32 s20, -1
	s_mov_b32 s1, 0
	s_mov_b32 s0, exec_lo
	v_cmpx_gt_i32_e64 v20, v22
	s_cbranch_execz .LBB116_25
; %bb.20:
	s_wait_loadcnt 0x0
	s_delay_alu instid0(VALU_DEP_2) | instskip(SKIP_2) | instid1(VALU_DEP_1)
	v_lshlrev_b64_e32 v[24:25], 2, v[26:27]
	v_dual_ashrrev_i32 v23, 31, v22 :: v_dual_ashrrev_i32 v21, 31, v20
	s_xor_b32 s20, s9, -1
                                        ; implicit-def: $sgpr19
                                        ; implicit-def: $sgpr22
                                        ; implicit-def: $sgpr21
	v_lshl_add_u64 v[22:23], v[22:23], 2, v[24:25]
	v_add_nc_u64_e32 v[24:25], s[14:15], v[24:25]
	s_delay_alu instid0(VALU_DEP_2) | instskip(NEXT) | instid1(VALU_DEP_2)
	v_add_nc_u64_e32 v[22:23], s[14:15], v[22:23]
	v_lshl_add_u64 v[20:21], v[20:21], 2, v[24:25]
	s_delay_alu instid0(VALU_DEP_2)
	v_add_nc_u64_e32 v[22:23], 4, v[22:23]
	s_branch .LBB116_22
.LBB116_21:                             ;   in Loop: Header=BB116_22 Depth=1
	s_or_b32 exec_lo, exec_lo, s23
	s_delay_alu instid0(SALU_CYCLE_1) | instskip(NEXT) | instid1(SALU_CYCLE_1)
	s_and_b32 s23, exec_lo, s22
	s_or_b32 s1, s23, s1
	s_and_not1_b32 s19, s19, exec_lo
	s_and_b32 s23, s21, exec_lo
	s_delay_alu instid0(SALU_CYCLE_1)
	s_or_b32 s19, s19, s23
	s_and_not1_b32 exec_lo, exec_lo, s1
	s_cbranch_execz .LBB116_24
.LBB116_22:                             ; =>This Inner Loop Header: Depth=1
	s_or_b32 s21, s21, exec_lo
	s_or_b32 s22, s22, exec_lo
	s_mov_b32 s23, exec_lo
	s_delay_alu instid0(VALU_DEP_1)
	v_cmpx_lt_u64_e64 v[22:23], v[20:21]
	s_cbranch_execz .LBB116_21
; %bb.23:                               ;   in Loop: Header=BB116_22 Depth=1
	global_load_b64 v[24:25], v[22:23], off offset:-4
	s_wait_xcnt 0x0
	v_add_nc_u64_e32 v[22:23], 4, v[22:23]
	s_and_not1_b32 s22, s22, exec_lo
	s_and_not1_b32 s21, s21, exec_lo
	s_wait_loadcnt 0x0
	v_cmp_ge_i32_e32 vcc_lo, v24, v25
	s_or_b32 s24, s20, vcc_lo
	s_delay_alu instid0(SALU_CYCLE_1) | instskip(NEXT) | instid1(SALU_CYCLE_1)
	s_and_b32 s24, s24, exec_lo
	s_or_b32 s22, s22, s24
	s_branch .LBB116_21
.LBB116_24:
	s_or_b32 exec_lo, exec_lo, s1
	s_delay_alu instid0(SALU_CYCLE_1)
	s_mov_b32 s1, exec_lo
	s_or_not1_b32 s20, s19, exec_lo
.LBB116_25:
	s_or_b32 exec_lo, exec_lo, s0
	s_delay_alu instid0(SALU_CYCLE_1)
	s_and_b32 s19, s1, exec_lo
	s_xor_b32 s1, exec_lo, -1
	s_and_b32 s0, s20, exec_lo
.LBB116_26:
	s_or_b32 exec_lo, exec_lo, s41
	s_delay_alu instid0(SALU_CYCLE_1)
	s_and_b32 s20, s19, exec_lo
	s_and_b32 s19, s1, exec_lo
	s_xor_b32 s1, exec_lo, -1
	s_and_b32 s0, s0, exec_lo
.LBB116_27:
	s_or_b32 exec_lo, exec_lo, s39
	s_delay_alu instid0(SALU_CYCLE_1)
	s_and_b32 s21, s20, exec_lo
	s_and_b32 s20, s19, exec_lo
	s_and_b32 s19, s1, exec_lo
	s_xor_b32 s1, exec_lo, -1
	s_and_b32 s0, s0, exec_lo
.LBB116_28:
	s_or_b32 exec_lo, exec_lo, s38
	s_delay_alu instid0(SALU_CYCLE_1)
	s_and_b32 s38, s21, exec_lo
	s_and_b32 s42, s20, exec_lo
	;; [unrolled: 1-line block ×4, first 2 shown]
	s_or_not1_b32 s19, s0, exec_lo
.LBB116_29:
	s_or_b32 exec_lo, exec_lo, s37
	s_mov_b32 s39, 0
	s_mov_b32 s0, 0
	;; [unrolled: 1-line block ×3, first 2 shown]
                                        ; implicit-def: $sgpr37
                                        ; implicit-def: $sgpr44
                                        ; implicit-def: $sgpr1
                                        ; implicit-def: $vgpr17
                                        ; implicit-def: $vgpr20
	s_and_saveexec_b32 s45, s19
	s_cbranch_execz .LBB116_79
; %bb.30:
	v_cmp_gt_i32_e64 s37, s5, v1
	s_mov_b32 s0, -1
	s_mov_b32 s51, 0
	s_mov_b32 s46, s41
	s_mov_b32 s48, s43
	s_mov_b32 s47, s42
	s_mov_b32 s49, 0
	s_and_saveexec_b32 s44, s37
	s_cbranch_execz .LBB116_51
; %bb.31:
	s_wait_loadcnt 0x4
	s_wait_kmcnt 0x0
	v_cmp_eq_u32_e32 vcc_lo, s34, v15
	s_mov_b32 s1, -1
	s_mov_b32 s0, 0
	s_mov_b32 s20, s43
	;; [unrolled: 1-line block ×3, first 2 shown]
	s_and_b32 s22, s40, vcc_lo
	s_mov_b32 s19, 0
	s_and_saveexec_b32 s46, s22
	s_cbranch_execz .LBB116_50
; %bb.32:
	s_wait_loadcnt 0x3
	v_cmp_eq_u32_e32 vcc_lo, s6, v13
	s_mov_b32 s20, s42
	s_and_b32 s21, s36, vcc_lo
	s_delay_alu instid0(SALU_CYCLE_1)
	s_and_saveexec_b32 s47, s21
	s_cbranch_execz .LBB116_49
; %bb.33:
	s_wait_loadcnt 0x1
	v_sub_nc_u32_e32 v13, v14, v16
	s_delay_alu instid0(VALU_DEP_1)
	v_cmp_le_i32_e32 vcc_lo, s34, v13
	v_cmp_ge_i32_e64 s0, s4, v13
	s_and_b32 s19, vcc_lo, s0
	s_mov_b32 s0, 0
	s_and_b32 s20, s35, s19
	s_mov_b32 s19, 0
	s_and_saveexec_b32 s48, s20
	s_cbranch_execz .LBB116_48
; %bb.34:
	v_mov_b64_e32 v[20:21], 0
	s_and_not1_b32 vcc_lo, exec_lo, s33
	s_cbranch_vccnz .LBB116_41
; %bb.35:
	s_wait_loadcnt 0x0
	v_ashrrev_i32_e32 v19, 31, v18
	s_mov_b32 s1, 0
	v_mov_b64_e32 v[20:21], 0
	s_mov_b32 s19, s1
	s_mov_b64 s[20:21], 0xffffffff
	v_mul_u64_e32 v[22:23], s[6:7], v[18:19]
	v_mov_b32_e32 v18, 0
	s_lshl_b64 s[24:25], s[18:19], 3
	s_mov_b32 s19, s8
	s_add_nc_u64 s[22:23], s[10:11], s[24:25]
	s_add_nc_u64 s[24:25], s[12:13], s[24:25]
	s_branch .LBB116_37
.LBB116_36:                             ;   in Loop: Header=BB116_37 Depth=1
	s_or_b32 exec_lo, exec_lo, s0
	s_delay_alu instid0(VALU_DEP_1)
	v_mul_u64_e32 v[26:27], s[26:27], v[24:25]
	s_load_b64 s[26:27], s[24:25], 0x0
	s_add_co_i32 s19, s19, -1
	s_add_nc_u64 s[22:23], s[22:23], -8
	s_cmp_lg_u32 s19, 0
	s_wait_xcnt 0x0
	s_add_nc_u64 s[24:25], s[24:25], -8
	s_delay_alu instid0(VALU_DEP_1) | instskip(SKIP_1) | instid1(VALU_DEP_1)
	v_sub_nc_u64_e32 v[22:23], v[22:23], v[26:27]
	s_wait_kmcnt 0x0
	v_mad_nc_u64_u32 v[20:21], v22, s26, v[20:21]
	s_delay_alu instid0(VALU_DEP_1) | instskip(NEXT) | instid1(VALU_DEP_1)
	v_mad_u32 v13, v23, s26, v21
	v_mad_u32 v21, v22, s27, v13
	v_mov_b64_e32 v[22:23], v[24:25]
	s_cbranch_scc0 .LBB116_41
.LBB116_37:                             ; =>This Inner Loop Header: Depth=1
	s_load_b64 s[26:27], s[22:23], 0x0
                                        ; implicit-def: $vgpr24_vgpr25
	s_mov_b32 s0, exec_lo
	s_wait_kmcnt 0x0
	s_delay_alu instid0(VALU_DEP_1) | instskip(NEXT) | instid1(VALU_DEP_1)
	v_or_b32_e32 v19, s27, v23
	v_cmpx_ne_u64_e32 0, v[18:19]
	s_xor_b32 s49, exec_lo, s0
	s_cbranch_execz .LBB116_39
; %bb.38:                               ;   in Loop: Header=BB116_37 Depth=1
	s_ashr_i32 s28, s27, 31
	v_dual_mov_b32 v29, v18 :: v_dual_ashrrev_i32 v24, 31, v23
	s_mov_b32 s29, s28
	s_delay_alu instid0(SALU_CYCLE_1) | instskip(NEXT) | instid1(VALU_DEP_1)
	s_add_nc_u64 s[30:31], s[26:27], s[28:29]
	v_mov_b32_e32 v25, v24
	s_xor_b64 s[30:31], s[30:31], s[28:29]
	s_delay_alu instid0(SALU_CYCLE_1)
	s_cvt_f32_u32 s0, s30
	s_cvt_f32_u32 s29, s31
	s_sub_nc_u64 s[54:55], 0, s[30:31]
	v_add_nc_u64_e32 v[26:27], v[22:23], v[24:25]
	v_mov_b32_e32 v33, v18
	s_fmamk_f32 s0, s29, 0x4f800000, s0
	s_delay_alu instid0(SALU_CYCLE_3) | instskip(NEXT) | instid1(VALU_DEP_2)
	v_s_rcp_f32 s0, s0
	v_xor_b32_e32 v28, v26, v24
	s_delay_alu instid0(VALU_DEP_3) | instskip(NEXT) | instid1(TRANS32_DEP_1)
	v_dual_mov_b32 v37, v18 :: v_dual_bitop2_b32 v32, v27, v24 bitop3:0x14
	s_mul_f32 s0, s0, 0x5f7ffffc
	s_delay_alu instid0(SALU_CYCLE_3) | instskip(NEXT) | instid1(SALU_CYCLE_3)
	s_mul_f32 s29, s0, 0x2f800000
	s_trunc_f32 s29, s29
	s_delay_alu instid0(SALU_CYCLE_3) | instskip(SKIP_1) | instid1(SALU_CYCLE_2)
	s_fmamk_f32 s0, s29, 0xcf800000, s0
	s_cvt_u32_f32 s53, s29
	s_cvt_u32_f32 s52, s0
	s_delay_alu instid0(SALU_CYCLE_3) | instskip(NEXT) | instid1(SALU_CYCLE_1)
	s_mul_u64 s[56:57], s[54:55], s[52:53]
	s_mul_hi_u32 s59, s52, s57
	s_mul_i32 s58, s52, s57
	s_mul_hi_u32 s0, s52, s56
	s_mul_i32 s50, s53, s56
	s_add_nc_u64 s[58:59], s[0:1], s[58:59]
	s_mul_hi_u32 s29, s53, s56
	s_mul_hi_u32 s60, s53, s57
	s_add_co_u32 s0, s58, s50
	s_add_co_ci_u32 s0, s59, s29
	s_mul_i32 s56, s53, s57
	s_add_co_ci_u32 s57, s60, 0
	s_delay_alu instid0(SALU_CYCLE_1) | instskip(NEXT) | instid1(SALU_CYCLE_1)
	s_add_nc_u64 s[56:57], s[0:1], s[56:57]
	s_add_co_u32 s52, s52, s56
	s_cselect_b32 s0, -1, 0
	s_delay_alu instid0(SALU_CYCLE_1) | instskip(SKIP_1) | instid1(SALU_CYCLE_1)
	s_cmp_lg_u32 s0, 0
	s_add_co_ci_u32 s53, s53, s57
	s_mul_u64 s[54:55], s[54:55], s[52:53]
	s_delay_alu instid0(SALU_CYCLE_1)
	s_mul_hi_u32 s57, s52, s55
	s_mul_i32 s56, s52, s55
	s_mul_hi_u32 s0, s52, s54
	s_mul_i32 s50, s53, s54
	s_add_nc_u64 s[56:57], s[0:1], s[56:57]
	s_mul_hi_u32 s29, s53, s54
	s_mul_hi_u32 s58, s53, s55
	s_add_co_u32 s0, s56, s50
	s_add_co_ci_u32 s0, s57, s29
	s_mul_i32 s54, s53, s55
	s_add_co_ci_u32 s55, s58, 0
	s_delay_alu instid0(SALU_CYCLE_1) | instskip(NEXT) | instid1(SALU_CYCLE_1)
	s_add_nc_u64 s[54:55], s[0:1], s[54:55]
	s_add_co_u32 s50, s52, s54
	s_cselect_b32 s0, -1, 0
	v_mul_hi_u32 v36, v28, s50
	s_cmp_lg_u32 s0, 0
	s_add_co_ci_u32 s0, s53, s55
	s_and_b64 s[52:53], s[50:51], s[20:21]
	v_mul_u64_e32 v[30:31], s[0:1], v[28:29]
	v_mul_u64_e32 v[26:27], s[52:53], v[32:33]
	;; [unrolled: 1-line block ×3, first 2 shown]
	s_delay_alu instid0(VALU_DEP_3) | instskip(NEXT) | instid1(VALU_DEP_1)
	v_add_nc_u64_e32 v[30:31], v[36:37], v[30:31]
	v_add_co_u32 v13, vcc_lo, v30, v26
	s_delay_alu instid0(VALU_DEP_2) | instskip(NEXT) | instid1(VALU_DEP_4)
	v_add_co_ci_u32_e32 v36, vcc_lo, v31, v27, vcc_lo
	v_add_co_ci_u32_e32 v35, vcc_lo, 0, v35, vcc_lo
	s_delay_alu instid0(VALU_DEP_1) | instskip(NEXT) | instid1(VALU_DEP_1)
	v_add_nc_u64_e32 v[26:27], v[36:37], v[34:35]
	v_mul_u64_e32 v[30:31], s[30:31], v[26:27]
	s_delay_alu instid0(VALU_DEP_1) | instskip(NEXT) | instid1(VALU_DEP_2)
	v_sub_nc_u32_e32 v13, v32, v31
	v_sub_co_u32 v15, vcc_lo, v28, v30
	s_delay_alu instid0(VALU_DEP_1) | instskip(NEXT) | instid1(VALU_DEP_3)
	v_sub_co_ci_u32_e64 v19, null, v32, v31, vcc_lo
	v_subrev_co_ci_u32_e64 v13, null, s31, v13, vcc_lo
	s_delay_alu instid0(VALU_DEP_3) | instskip(SKIP_1) | instid1(VALU_DEP_3)
	v_sub_co_u32 v17, s0, v15, s30
	v_add_nc_u64_e32 v[28:29], 2, v[26:27]
	v_subrev_co_ci_u32_e64 v13, null, 0, v13, s0
	s_delay_alu instid0(VALU_DEP_3) | instskip(SKIP_2) | instid1(VALU_DEP_4)
	v_cmp_le_u32_e32 vcc_lo, s30, v17
	v_add_nc_u64_e32 v[30:31], 1, v[26:27]
	v_cndmask_b32_e64 v17, 0, -1, vcc_lo
	v_cmp_le_u32_e32 vcc_lo, s31, v13
	v_cndmask_b32_e64 v25, 0, -1, vcc_lo
	v_cmp_le_u32_e32 vcc_lo, s30, v15
	;; [unrolled: 2-line block ×3, first 2 shown]
	v_cndmask_b32_e64 v32, 0, -1, vcc_lo
	v_cmp_eq_u32_e32 vcc_lo, s31, v13
	v_cndmask_b32_e32 v13, v25, v17, vcc_lo
	v_cmp_eq_u32_e32 vcc_lo, s31, v19
	s_delay_alu instid0(VALU_DEP_4) | instskip(NEXT) | instid1(VALU_DEP_3)
	v_cndmask_b32_e32 v15, v32, v15, vcc_lo
	v_cmp_ne_u32_e32 vcc_lo, 0, v13
	s_delay_alu instid0(VALU_DEP_2) | instskip(SKIP_1) | instid1(VALU_DEP_1)
	v_cmp_ne_u32_e64 s0, 0, v15
	v_dual_cndmask_b32 v13, v31, v29, vcc_lo :: v_dual_cndmask_b32 v15, v30, v28, vcc_lo
	v_dual_cndmask_b32 v13, v27, v13, s0 :: v_dual_bitop2_b32 v24, s28, v24 bitop3:0x14
	s_delay_alu instid0(VALU_DEP_1) | instskip(NEXT) | instid1(VALU_DEP_2)
	v_dual_cndmask_b32 v15, v26, v15, s0 :: v_dual_mov_b32 v25, v24
	v_xor_b32_e32 v27, v13, v24
	s_delay_alu instid0(VALU_DEP_2) | instskip(NEXT) | instid1(VALU_DEP_1)
	v_xor_b32_e32 v26, v15, v24
	v_sub_nc_u64_e32 v[24:25], v[26:27], v[24:25]
.LBB116_39:                             ;   in Loop: Header=BB116_37 Depth=1
	s_and_not1_saveexec_b32 s0, s49
	s_cbranch_execz .LBB116_36
; %bb.40:                               ;   in Loop: Header=BB116_37 Depth=1
	v_cvt_f32_u32_e32 v13, s26
	s_sub_co_i32 s28, 0, s26
	v_mov_b32_e32 v25, v18
	s_delay_alu instid0(VALU_DEP_2) | instskip(SKIP_1) | instid1(TRANS32_DEP_1)
	v_rcp_iflag_f32_e32 v13, v13
	v_nop
	v_mul_f32_e32 v13, 0x4f7ffffe, v13
	s_delay_alu instid0(VALU_DEP_1) | instskip(NEXT) | instid1(VALU_DEP_1)
	v_cvt_u32_f32_e32 v13, v13
	v_mul_lo_u32 v15, s28, v13
	s_delay_alu instid0(VALU_DEP_1) | instskip(NEXT) | instid1(VALU_DEP_1)
	v_mul_hi_u32 v15, v13, v15
	v_add_nc_u32_e32 v13, v13, v15
	s_delay_alu instid0(VALU_DEP_1) | instskip(NEXT) | instid1(VALU_DEP_1)
	v_mul_hi_u32 v13, v22, v13
	v_mul_lo_u32 v15, v13, s26
	s_delay_alu instid0(VALU_DEP_1) | instskip(NEXT) | instid1(VALU_DEP_1)
	v_sub_nc_u32_e32 v15, v22, v15
	v_subrev_nc_u32_e32 v19, s26, v15
	v_cmp_le_u32_e32 vcc_lo, s26, v15
	s_delay_alu instid0(VALU_DEP_2) | instskip(NEXT) | instid1(VALU_DEP_1)
	v_dual_add_nc_u32 v17, 1, v13 :: v_dual_cndmask_b32 v15, v15, v19, vcc_lo
	v_cndmask_b32_e32 v13, v13, v17, vcc_lo
	s_delay_alu instid0(VALU_DEP_2) | instskip(NEXT) | instid1(VALU_DEP_2)
	v_cmp_le_u32_e32 vcc_lo, s26, v15
	v_add_nc_u32_e32 v17, 1, v13
	s_delay_alu instid0(VALU_DEP_1)
	v_cndmask_b32_e32 v24, v13, v17, vcc_lo
	s_branch .LBB116_36
.LBB116_41:
	s_mov_b32 s20, -1
	s_mov_b32 s1, 0
	s_mov_b32 s0, exec_lo
	v_cmpx_gt_i32_e64 v14, v16
	s_cbranch_execz .LBB116_47
; %bb.42:
	s_wait_loadcnt 0x0
	s_delay_alu instid0(VALU_DEP_2) | instskip(SKIP_2) | instid1(VALU_DEP_1)
	v_lshlrev_b64_e32 v[18:19], 2, v[20:21]
	v_dual_ashrrev_i32 v17, 31, v16 :: v_dual_ashrrev_i32 v15, 31, v14
	s_xor_b32 s20, s9, -1
                                        ; implicit-def: $sgpr19
                                        ; implicit-def: $sgpr22
                                        ; implicit-def: $sgpr21
	v_lshl_add_u64 v[16:17], v[16:17], 2, v[18:19]
	v_add_nc_u64_e32 v[18:19], s[14:15], v[18:19]
	s_delay_alu instid0(VALU_DEP_2) | instskip(NEXT) | instid1(VALU_DEP_2)
	v_add_nc_u64_e32 v[16:17], s[14:15], v[16:17]
	v_lshl_add_u64 v[14:15], v[14:15], 2, v[18:19]
	s_delay_alu instid0(VALU_DEP_2)
	v_add_nc_u64_e32 v[16:17], 4, v[16:17]
	s_branch .LBB116_44
.LBB116_43:                             ;   in Loop: Header=BB116_44 Depth=1
	s_or_b32 exec_lo, exec_lo, s23
	s_delay_alu instid0(SALU_CYCLE_1) | instskip(NEXT) | instid1(SALU_CYCLE_1)
	s_and_b32 s23, exec_lo, s22
	s_or_b32 s1, s23, s1
	s_and_not1_b32 s19, s19, exec_lo
	s_and_b32 s23, s21, exec_lo
	s_delay_alu instid0(SALU_CYCLE_1)
	s_or_b32 s19, s19, s23
	s_and_not1_b32 exec_lo, exec_lo, s1
	s_cbranch_execz .LBB116_46
.LBB116_44:                             ; =>This Inner Loop Header: Depth=1
	s_or_b32 s21, s21, exec_lo
	s_or_b32 s22, s22, exec_lo
	s_mov_b32 s23, exec_lo
	s_delay_alu instid0(VALU_DEP_1)
	v_cmpx_lt_u64_e64 v[16:17], v[14:15]
	s_cbranch_execz .LBB116_43
; %bb.45:                               ;   in Loop: Header=BB116_44 Depth=1
	global_load_b64 v[18:19], v[16:17], off offset:-4
	s_wait_xcnt 0x0
	v_add_nc_u64_e32 v[16:17], 4, v[16:17]
	s_and_not1_b32 s22, s22, exec_lo
	s_and_not1_b32 s21, s21, exec_lo
	s_wait_loadcnt 0x0
	v_cmp_ge_i32_e32 vcc_lo, v18, v19
	s_or_b32 s24, s20, vcc_lo
	s_delay_alu instid0(SALU_CYCLE_1) | instskip(NEXT) | instid1(SALU_CYCLE_1)
	s_and_b32 s24, s24, exec_lo
	s_or_b32 s22, s22, s24
	s_branch .LBB116_43
.LBB116_46:
	s_or_b32 exec_lo, exec_lo, s1
	s_delay_alu instid0(SALU_CYCLE_1)
	s_mov_b32 s1, exec_lo
	s_or_not1_b32 s20, s19, exec_lo
.LBB116_47:
	s_or_b32 exec_lo, exec_lo, s0
	s_delay_alu instid0(SALU_CYCLE_1)
	s_and_b32 s19, s1, exec_lo
	s_xor_b32 s1, exec_lo, -1
	s_and_b32 s0, s20, exec_lo
.LBB116_48:
	s_or_b32 exec_lo, exec_lo, s48
	s_delay_alu instid0(SALU_CYCLE_1)
	s_and_not1_b32 s20, s42, exec_lo
	s_and_b32 s1, s1, exec_lo
	s_and_b32 s19, s19, exec_lo
	s_or_b32 s20, s20, s1
	s_xor_b32 s1, exec_lo, -1
	s_and_b32 s0, s0, exec_lo
.LBB116_49:
	s_or_b32 exec_lo, exec_lo, s47
	s_delay_alu instid0(SALU_CYCLE_1)
	s_and_not1_b32 s21, s42, exec_lo
	s_and_b32 s20, s20, exec_lo
	s_and_not1_b32 s22, s43, exec_lo
	s_and_b32 s1, s1, exec_lo
	s_and_b32 s19, s19, exec_lo
	s_or_b32 s21, s21, s20
	s_or_b32 s20, s22, s1
	s_xor_b32 s1, exec_lo, -1
	s_and_b32 s0, s0, exec_lo
.LBB116_50:
	s_or_b32 exec_lo, exec_lo, s46
	s_delay_alu instid0(SALU_CYCLE_1)
	s_and_not1_b32 s22, s42, exec_lo
	s_and_b32 s21, s21, exec_lo
	s_and_b32 s49, s19, exec_lo
	s_or_b32 s47, s22, s21
	s_and_not1_b32 s19, s43, exec_lo
	s_and_b32 s20, s20, exec_lo
	s_and_not1_b32 s21, s41, exec_lo
	s_and_b32 s1, s1, exec_lo
	s_or_b32 s48, s19, s20
	s_or_b32 s46, s21, s1
	s_or_not1_b32 s0, s0, exec_lo
.LBB116_51:
	s_or_b32 exec_lo, exec_lo, s44
	s_mov_b32 s21, 0
                                        ; implicit-def: $sgpr44
                                        ; implicit-def: $sgpr1
                                        ; implicit-def: $vgpr17
                                        ; implicit-def: $vgpr20
	s_and_saveexec_b32 s50, s0
	s_cbranch_execz .LBB116_78
; %bb.52:
	s_wait_loadcnt 0x1
	v_or_b32_e32 v20, 0x200, v0
	s_mov_b32 s24, -1
	s_mov_b32 s51, 0
	s_mov_b32 s0, s46
	;; [unrolled: 1-line block ×3, first 2 shown]
	v_cmp_gt_i32_e64 s44, s5, v20
	s_mov_b32 s19, s47
	s_and_saveexec_b32 s52, s44
	s_cbranch_execz .LBB116_73
; %bb.53:
	s_wait_kmcnt 0x0
	v_cmp_eq_u32_e32 vcc_lo, s34, v11
	s_mov_b32 s0, -1
	s_mov_b32 s1, 0
	s_mov_b32 s20, s48
	;; [unrolled: 1-line block ×3, first 2 shown]
	s_and_b32 s22, s40, vcc_lo
	s_mov_b32 s19, 0
	s_and_saveexec_b32 s53, s22
	s_cbranch_execz .LBB116_72
; %bb.54:
	v_cmp_eq_u32_e32 vcc_lo, s6, v9
	s_mov_b32 s20, s47
	s_and_b32 s21, s36, vcc_lo
	s_delay_alu instid0(SALU_CYCLE_1)
	s_and_saveexec_b32 s54, s21
	s_cbranch_execz .LBB116_71
; %bb.55:
	v_sub_nc_u32_e32 v9, v8, v10
	s_mov_b32 s19, -1
	s_delay_alu instid0(VALU_DEP_1) | instskip(SKIP_2) | instid1(SALU_CYCLE_1)
	v_cmp_le_i32_e32 vcc_lo, s34, v9
	v_cmp_ge_i32_e64 s0, s4, v9
	s_and_b32 s0, vcc_lo, s0
	s_and_b32 s20, s35, s0
	s_mov_b32 s0, 0
	s_and_saveexec_b32 s55, s20
	s_cbranch_execz .LBB116_70
; %bb.56:
	v_mov_b64_e32 v[14:15], 0
	s_and_not1_b32 vcc_lo, exec_lo, s33
	s_cbranch_vccnz .LBB116_63
; %bb.57:
	s_wait_loadcnt 0x0
	v_ashrrev_i32_e32 v13, 31, v12
	v_mov_b64_e32 v[14:15], 0
	s_mov_b32 s19, s1
	s_mov_b64 s[20:21], 0xffffffff
	s_lshl_b64 s[24:25], s[18:19], 3
	v_mul_u64_e32 v[16:17], s[6:7], v[12:13]
	v_mov_b32_e32 v12, 0
	s_add_nc_u64 s[22:23], s[10:11], s[24:25]
	s_add_nc_u64 s[24:25], s[12:13], s[24:25]
	s_mov_b32 s19, s8
	s_branch .LBB116_59
.LBB116_58:                             ;   in Loop: Header=BB116_59 Depth=1
	s_or_b32 exec_lo, exec_lo, s0
	s_delay_alu instid0(VALU_DEP_1)
	v_mul_u64_e32 v[22:23], s[26:27], v[18:19]
	s_load_b64 s[26:27], s[24:25], 0x0
	s_add_co_i32 s19, s19, -1
	s_add_nc_u64 s[22:23], s[22:23], -8
	s_cmp_lg_u32 s19, 0
	s_wait_xcnt 0x0
	s_add_nc_u64 s[24:25], s[24:25], -8
	s_delay_alu instid0(VALU_DEP_1) | instskip(SKIP_1) | instid1(VALU_DEP_1)
	v_sub_nc_u64_e32 v[16:17], v[16:17], v[22:23]
	s_wait_kmcnt 0x0
	v_mad_nc_u64_u32 v[14:15], v16, s26, v[14:15]
	s_delay_alu instid0(VALU_DEP_1) | instskip(NEXT) | instid1(VALU_DEP_1)
	v_mad_u32 v9, v17, s26, v15
	v_mad_u32 v15, v16, s27, v9
	v_mov_b64_e32 v[16:17], v[18:19]
	s_cbranch_scc0 .LBB116_63
.LBB116_59:                             ; =>This Inner Loop Header: Depth=1
	s_load_b64 s[26:27], s[22:23], 0x0
                                        ; implicit-def: $vgpr18_vgpr19
	s_mov_b32 s0, exec_lo
	s_wait_kmcnt 0x0
	s_delay_alu instid0(VALU_DEP_1) | instskip(NEXT) | instid1(VALU_DEP_1)
	v_or_b32_e32 v13, s27, v17
	v_cmpx_ne_u64_e32 0, v[12:13]
	s_xor_b32 s56, exec_lo, s0
	s_cbranch_execz .LBB116_61
; %bb.60:                               ;   in Loop: Header=BB116_59 Depth=1
	s_ashr_i32 s28, s27, 31
	v_dual_mov_b32 v25, v12 :: v_dual_ashrrev_i32 v18, 31, v17
	s_mov_b32 s29, s28
	v_mov_b32_e32 v29, v12
	s_add_nc_u64 s[30:31], s[26:27], s[28:29]
	s_delay_alu instid0(VALU_DEP_2)
	v_mov_b32_e32 v19, v18
	s_xor_b64 s[30:31], s[30:31], s[28:29]
	v_mov_b32_e32 v33, v12
	s_cvt_f32_u32 s0, s30
	s_cvt_f32_u32 s29, s31
	s_sub_nc_u64 s[60:61], 0, s[30:31]
	v_add_nc_u64_e32 v[22:23], v[16:17], v[18:19]
	s_delay_alu instid0(SALU_CYCLE_1) | instskip(NEXT) | instid1(SALU_CYCLE_3)
	s_fmamk_f32 s0, s29, 0x4f800000, s0
	v_s_rcp_f32 s0, s0
	s_delay_alu instid0(VALU_DEP_1) | instskip(NEXT) | instid1(VALU_DEP_2)
	v_xor_b32_e32 v24, v22, v18
	v_xor_b32_e32 v28, v23, v18
	s_delay_alu instid0(TRANS32_DEP_1) | instskip(NEXT) | instid1(SALU_CYCLE_3)
	s_mul_f32 s0, s0, 0x5f7ffffc
	s_mul_f32 s29, s0, 0x2f800000
	s_delay_alu instid0(SALU_CYCLE_3) | instskip(NEXT) | instid1(SALU_CYCLE_3)
	s_trunc_f32 s29, s29
	s_fmamk_f32 s0, s29, 0xcf800000, s0
	s_cvt_u32_f32 s59, s29
	s_delay_alu instid0(SALU_CYCLE_2) | instskip(NEXT) | instid1(SALU_CYCLE_3)
	s_cvt_u32_f32 s58, s0
	s_mul_u64 s[62:63], s[60:61], s[58:59]
	s_delay_alu instid0(SALU_CYCLE_1)
	s_mul_hi_u32 s65, s58, s63
	s_mul_i32 s64, s58, s63
	s_mul_hi_u32 s0, s58, s62
	s_mul_i32 s57, s59, s62
	s_add_nc_u64 s[64:65], s[0:1], s[64:65]
	s_mul_hi_u32 s29, s59, s62
	s_mul_hi_u32 s66, s59, s63
	s_add_co_u32 s0, s64, s57
	s_add_co_ci_u32 s0, s65, s29
	s_mul_i32 s62, s59, s63
	s_add_co_ci_u32 s63, s66, 0
	s_delay_alu instid0(SALU_CYCLE_1) | instskip(NEXT) | instid1(SALU_CYCLE_1)
	s_add_nc_u64 s[62:63], s[0:1], s[62:63]
	s_add_co_u32 s58, s58, s62
	s_cselect_b32 s0, -1, 0
	s_delay_alu instid0(SALU_CYCLE_1) | instskip(SKIP_1) | instid1(SALU_CYCLE_1)
	s_cmp_lg_u32 s0, 0
	s_add_co_ci_u32 s59, s59, s63
	s_mul_u64 s[60:61], s[60:61], s[58:59]
	s_delay_alu instid0(SALU_CYCLE_1)
	s_mul_hi_u32 s63, s58, s61
	s_mul_i32 s62, s58, s61
	s_mul_hi_u32 s0, s58, s60
	s_mul_i32 s57, s59, s60
	s_add_nc_u64 s[62:63], s[0:1], s[62:63]
	s_mul_hi_u32 s29, s59, s60
	s_mul_hi_u32 s64, s59, s61
	s_add_co_u32 s0, s62, s57
	s_add_co_ci_u32 s0, s63, s29
	s_mul_i32 s60, s59, s61
	s_add_co_ci_u32 s61, s64, 0
	s_delay_alu instid0(SALU_CYCLE_1) | instskip(NEXT) | instid1(SALU_CYCLE_1)
	s_add_nc_u64 s[60:61], s[0:1], s[60:61]
	s_add_co_u32 s58, s58, s60
	s_cselect_b32 s0, -1, 0
	v_mul_hi_u32 v32, v24, s58
	s_cmp_lg_u32 s0, 0
	s_add_co_ci_u32 s0, s59, s61
	s_and_b64 s[60:61], s[58:59], s[20:21]
	v_mul_u64_e32 v[26:27], s[0:1], v[24:25]
	v_mul_u64_e32 v[22:23], s[60:61], v[28:29]
	v_mul_u64_e32 v[30:31], s[0:1], v[28:29]
	s_delay_alu instid0(VALU_DEP_3) | instskip(NEXT) | instid1(VALU_DEP_1)
	v_add_nc_u64_e32 v[26:27], v[32:33], v[26:27]
	v_add_co_u32 v9, vcc_lo, v26, v22
	s_delay_alu instid0(VALU_DEP_2) | instskip(NEXT) | instid1(VALU_DEP_4)
	v_add_co_ci_u32_e32 v32, vcc_lo, v27, v23, vcc_lo
	v_add_co_ci_u32_e32 v31, vcc_lo, 0, v31, vcc_lo
	s_delay_alu instid0(VALU_DEP_1) | instskip(NEXT) | instid1(VALU_DEP_1)
	v_add_nc_u64_e32 v[22:23], v[32:33], v[30:31]
	v_mul_u64_e32 v[26:27], s[30:31], v[22:23]
	s_delay_alu instid0(VALU_DEP_1) | instskip(SKIP_1) | instid1(VALU_DEP_3)
	v_sub_co_u32 v11, vcc_lo, v24, v26
	v_add_nc_u64_e32 v[24:25], 2, v[22:23]
	v_sub_nc_u32_e32 v9, v28, v27
	v_sub_co_ci_u32_e64 v19, null, v28, v27, vcc_lo
	s_delay_alu instid0(VALU_DEP_4) | instskip(NEXT) | instid1(VALU_DEP_3)
	v_sub_co_u32 v13, s0, v11, s30
	v_subrev_co_ci_u32_e64 v9, null, s31, v9, vcc_lo
	v_add_nc_u64_e32 v[26:27], 1, v[22:23]
	s_delay_alu instid0(VALU_DEP_3) | instskip(NEXT) | instid1(VALU_DEP_3)
	v_cmp_le_u32_e32 vcc_lo, s30, v13
	v_subrev_co_ci_u32_e64 v9, null, 0, v9, s0
	v_cndmask_b32_e64 v13, 0, -1, vcc_lo
	s_delay_alu instid0(VALU_DEP_2)
	v_cmp_le_u32_e32 vcc_lo, s31, v9
	v_cndmask_b32_e64 v21, 0, -1, vcc_lo
	v_cmp_le_u32_e32 vcc_lo, s30, v11
	v_cndmask_b32_e64 v11, 0, -1, vcc_lo
	;; [unrolled: 2-line block ×3, first 2 shown]
	v_cmp_eq_u32_e32 vcc_lo, s31, v9
	v_cndmask_b32_e32 v9, v21, v13, vcc_lo
	v_cmp_eq_u32_e32 vcc_lo, s31, v19
	s_delay_alu instid0(VALU_DEP_4) | instskip(NEXT) | instid1(VALU_DEP_3)
	v_cndmask_b32_e32 v11, v28, v11, vcc_lo
	v_cmp_ne_u32_e32 vcc_lo, 0, v9
	v_cndmask_b32_e32 v9, v27, v25, vcc_lo
	s_delay_alu instid0(VALU_DEP_3) | instskip(SKIP_1) | instid1(VALU_DEP_1)
	v_cmp_ne_u32_e64 s0, 0, v11
	v_dual_cndmask_b32 v11, v26, v24, vcc_lo :: v_dual_bitop2_b32 v18, s28, v18 bitop3:0x14
	v_dual_cndmask_b32 v9, v23, v9, s0 :: v_dual_cndmask_b32 v11, v22, v11, s0
	s_delay_alu instid0(VALU_DEP_1) | instskip(NEXT) | instid1(VALU_DEP_2)
	v_dual_mov_b32 v19, v18 :: v_dual_bitop2_b32 v23, v9, v18 bitop3:0x14
	v_xor_b32_e32 v22, v11, v18
	s_delay_alu instid0(VALU_DEP_1)
	v_sub_nc_u64_e32 v[18:19], v[22:23], v[18:19]
.LBB116_61:                             ;   in Loop: Header=BB116_59 Depth=1
	s_and_not1_saveexec_b32 s0, s56
	s_cbranch_execz .LBB116_58
; %bb.62:                               ;   in Loop: Header=BB116_59 Depth=1
	v_cvt_f32_u32_e32 v9, s26
	s_sub_co_i32 s28, 0, s26
	v_mov_b32_e32 v19, v12
	s_delay_alu instid0(VALU_DEP_2) | instskip(SKIP_1) | instid1(TRANS32_DEP_1)
	v_rcp_iflag_f32_e32 v9, v9
	v_nop
	v_mul_f32_e32 v9, 0x4f7ffffe, v9
	s_delay_alu instid0(VALU_DEP_1) | instskip(NEXT) | instid1(VALU_DEP_1)
	v_cvt_u32_f32_e32 v9, v9
	v_mul_lo_u32 v11, s28, v9
	s_delay_alu instid0(VALU_DEP_1) | instskip(NEXT) | instid1(VALU_DEP_1)
	v_mul_hi_u32 v11, v9, v11
	v_add_nc_u32_e32 v9, v9, v11
	s_delay_alu instid0(VALU_DEP_1) | instskip(NEXT) | instid1(VALU_DEP_1)
	v_mul_hi_u32 v9, v16, v9
	v_mul_lo_u32 v11, v9, s26
	s_delay_alu instid0(VALU_DEP_1) | instskip(NEXT) | instid1(VALU_DEP_1)
	v_sub_nc_u32_e32 v11, v16, v11
	v_subrev_nc_u32_e32 v18, s26, v11
	v_cmp_le_u32_e32 vcc_lo, s26, v11
	s_delay_alu instid0(VALU_DEP_2) | instskip(NEXT) | instid1(VALU_DEP_1)
	v_dual_add_nc_u32 v13, 1, v9 :: v_dual_cndmask_b32 v11, v11, v18, vcc_lo
	v_cndmask_b32_e32 v9, v9, v13, vcc_lo
	s_delay_alu instid0(VALU_DEP_2) | instskip(NEXT) | instid1(VALU_DEP_2)
	v_cmp_le_u32_e32 vcc_lo, s26, v11
	v_add_nc_u32_e32 v13, 1, v9
	s_delay_alu instid0(VALU_DEP_1)
	v_cndmask_b32_e32 v18, v9, v13, vcc_lo
	s_branch .LBB116_58
.LBB116_63:
	s_mov_b32 s1, -1
	s_mov_b32 s20, 0
	s_mov_b32 s0, exec_lo
	v_cmpx_gt_i32_e64 v8, v10
	s_cbranch_execz .LBB116_69
; %bb.64:
	s_wait_loadcnt 0x0
	s_delay_alu instid0(VALU_DEP_2) | instskip(SKIP_3) | instid1(VALU_DEP_1)
	v_lshlrev_b64_e32 v[12:13], 2, v[14:15]
	v_dual_ashrrev_i32 v11, 31, v10 :: v_dual_ashrrev_i32 v9, 31, v8
	s_mov_b32 s1, 0
	s_xor_b32 s20, s9, -1
                                        ; implicit-def: $sgpr19
                                        ; implicit-def: $sgpr22
                                        ; implicit-def: $sgpr21
	v_lshl_add_u64 v[10:11], v[10:11], 2, v[12:13]
	v_add_nc_u64_e32 v[12:13], s[14:15], v[12:13]
	s_delay_alu instid0(VALU_DEP_2) | instskip(NEXT) | instid1(VALU_DEP_2)
	v_add_nc_u64_e32 v[10:11], s[14:15], v[10:11]
	v_lshl_add_u64 v[8:9], v[8:9], 2, v[12:13]
	s_delay_alu instid0(VALU_DEP_2)
	v_add_nc_u64_e32 v[10:11], 4, v[10:11]
	s_branch .LBB116_66
.LBB116_65:                             ;   in Loop: Header=BB116_66 Depth=1
	s_or_b32 exec_lo, exec_lo, s23
	s_delay_alu instid0(SALU_CYCLE_1) | instskip(NEXT) | instid1(SALU_CYCLE_1)
	s_and_b32 s23, exec_lo, s22
	s_or_b32 s1, s23, s1
	s_and_not1_b32 s19, s19, exec_lo
	s_and_b32 s23, s21, exec_lo
	s_delay_alu instid0(SALU_CYCLE_1)
	s_or_b32 s19, s19, s23
	s_and_not1_b32 exec_lo, exec_lo, s1
	s_cbranch_execz .LBB116_68
.LBB116_66:                             ; =>This Inner Loop Header: Depth=1
	s_or_b32 s21, s21, exec_lo
	s_or_b32 s22, s22, exec_lo
	s_mov_b32 s23, exec_lo
	s_delay_alu instid0(VALU_DEP_1)
	v_cmpx_lt_u64_e64 v[10:11], v[8:9]
	s_cbranch_execz .LBB116_65
; %bb.67:                               ;   in Loop: Header=BB116_66 Depth=1
	global_load_b64 v[12:13], v[10:11], off offset:-4
	s_wait_xcnt 0x0
	v_add_nc_u64_e32 v[10:11], 4, v[10:11]
	s_and_not1_b32 s22, s22, exec_lo
	s_and_not1_b32 s21, s21, exec_lo
	s_wait_loadcnt 0x0
	v_cmp_ge_i32_e32 vcc_lo, v12, v13
	s_or_b32 s24, s20, vcc_lo
	s_delay_alu instid0(SALU_CYCLE_1) | instskip(NEXT) | instid1(SALU_CYCLE_1)
	s_and_b32 s24, s24, exec_lo
	s_or_b32 s22, s22, s24
	s_branch .LBB116_65
.LBB116_68:
	s_or_b32 exec_lo, exec_lo, s1
	s_delay_alu instid0(SALU_CYCLE_1)
	s_mov_b32 s20, exec_lo
	s_or_not1_b32 s1, s19, exec_lo
.LBB116_69:
	s_or_b32 exec_lo, exec_lo, s0
	s_delay_alu instid0(SALU_CYCLE_1)
	s_and_b32 s0, s20, exec_lo
	s_xor_b32 s19, exec_lo, -1
	s_and_b32 s1, s1, exec_lo
.LBB116_70:
	s_or_b32 exec_lo, exec_lo, s55
	s_delay_alu instid0(SALU_CYCLE_1)
	s_and_not1_b32 s20, s47, exec_lo
	s_and_b32 s21, s19, exec_lo
	s_and_b32 s19, s0, exec_lo
	s_or_b32 s20, s20, s21
	s_xor_b32 s0, exec_lo, -1
	s_and_b32 s1, s1, exec_lo
.LBB116_71:
	s_or_b32 exec_lo, exec_lo, s54
	s_delay_alu instid0(SALU_CYCLE_1)
	s_and_not1_b32 s21, s47, exec_lo
	s_and_b32 s20, s20, exec_lo
	s_and_not1_b32 s22, s48, exec_lo
	s_and_b32 s0, s0, exec_lo
	s_and_b32 s19, s19, exec_lo
	s_or_b32 s21, s21, s20
	s_or_b32 s20, s22, s0
	s_xor_b32 s0, exec_lo, -1
	s_and_b32 s1, s1, exec_lo
.LBB116_72:
	s_or_b32 exec_lo, exec_lo, s53
	s_delay_alu instid0(SALU_CYCLE_1)
	s_and_not1_b32 s22, s47, exec_lo
	s_and_b32 s23, s21, exec_lo
	s_and_b32 s21, s19, exec_lo
	s_or_b32 s19, s22, s23
	s_and_not1_b32 s22, s48, exec_lo
	s_and_b32 s20, s20, exec_lo
	s_and_not1_b32 s23, s46, exec_lo
	s_and_b32 s0, s0, exec_lo
	s_or_b32 s20, s22, s20
	s_or_b32 s0, s23, s0
	s_or_not1_b32 s24, s1, exec_lo
.LBB116_73:
	s_or_b32 exec_lo, exec_lo, s52
	s_mov_b32 s23, 0
                                        ; implicit-def: $sgpr1
                                        ; implicit-def: $vgpr17
	s_and_saveexec_b32 s22, s24
	s_cbranch_execz .LBB116_77
; %bb.74:
	v_or_b32_e32 v17, 0x300, v0
	s_mov_b32 s23, -1
	s_mov_b32 s24, s0
	s_delay_alu instid0(VALU_DEP_1) | instskip(SKIP_2) | instid1(SALU_CYCLE_1)
	v_cmp_gt_i32_e64 s1, s5, v17
	s_mov_b32 s5, 0
	s_and_saveexec_b32 s25, s1
	s_xor_b32 s25, exec_lo, s25
	s_cbranch_execz .LBB116_76
; %bb.75:
	s_wait_kmcnt 0x0
	v_cmp_ne_u32_e32 vcc_lo, s34, v5
	s_xor_b32 s23, s40, -1
	s_and_not1_b32 s24, s0, exec_lo
	s_mov_b32 s5, exec_lo
	s_or_b32 s23, s23, vcc_lo
	s_delay_alu instid0(SALU_CYCLE_1)
	s_and_b32 s26, s23, exec_lo
	s_xor_b32 s23, exec_lo, -1
	s_or_b32 s24, s24, s26
.LBB116_76:
	s_or_b32 exec_lo, exec_lo, s25
	s_delay_alu instid0(SALU_CYCLE_1)
	s_and_not1_b32 s0, s0, exec_lo
	s_and_b32 s24, s24, exec_lo
	s_and_b32 s23, s23, exec_lo
	s_and_not1_b32 s21, s21, exec_lo
	s_and_b32 s51, s5, exec_lo
	s_or_b32 s0, s0, s24
.LBB116_77:
	s_or_b32 exec_lo, exec_lo, s22
	s_delay_alu instid0(SALU_CYCLE_1)
	s_and_not1_b32 s5, s49, exec_lo
	s_and_b32 s22, s21, exec_lo
	s_and_b32 s19, s19, exec_lo
	s_or_b32 s49, s5, s22
	s_and_not1_b32 s5, s47, exec_lo
	s_and_not1_b32 s22, s48, exec_lo
	s_and_b32 s20, s20, exec_lo
	s_or_b32 s47, s5, s19
	s_and_not1_b32 s5, s46, exec_lo
	s_and_b32 s0, s0, exec_lo
	s_and_b32 s21, s23, exec_lo
	s_or_b32 s48, s22, s20
	s_and_b32 s51, s51, exec_lo
	s_or_b32 s46, s5, s0
.LBB116_78:
	s_or_b32 exec_lo, exec_lo, s50
	s_delay_alu instid0(SALU_CYCLE_1)
	s_and_not1_b32 s0, s38, exec_lo
	s_and_b32 s5, s49, exec_lo
	s_and_not1_b32 s19, s43, exec_lo
	s_or_b32 s38, s0, s5
	s_and_not1_b32 s0, s42, exec_lo
	s_and_b32 s5, s47, exec_lo
	s_and_b32 s20, s48, exec_lo
	s_or_b32 s42, s0, s5
	s_or_b32 s43, s19, s20
	s_and_not1_b32 s5, s41, exec_lo
	s_and_b32 s19, s46, exec_lo
	s_and_b32 s24, s21, exec_lo
	;; [unrolled: 1-line block ×3, first 2 shown]
	s_or_b32 s41, s5, s19
.LBB116_79:
	s_or_b32 exec_lo, exec_lo, s45
	s_and_saveexec_b32 s5, s41
	s_cbranch_execnz .LBB116_113
.LBB116_80:
	s_or_b32 exec_lo, exec_lo, s5
	s_mov_b32 s19, 0
	s_and_saveexec_b32 s5, s0
	s_delay_alu instid0(SALU_CYCLE_1)
	s_xor_b32 s0, exec_lo, s5
	s_cbranch_execz .LBB116_82
; %bb.81:
	s_wait_loadcnt 0x2
	v_cmp_ne_u32_e32 vcc_lo, s6, v3
	s_xor_b32 s5, s36, -1
	s_and_not1_b32 s20, s43, exec_lo
	s_mov_b32 s19, exec_lo
	s_or_b32 s5, s5, vcc_lo
	s_delay_alu instid0(SALU_CYCLE_1) | instskip(NEXT) | instid1(SALU_CYCLE_1)
	s_and_b32 s5, s5, exec_lo
	s_or_b32 s43, s20, s5
.LBB116_82:
	s_or_b32 exec_lo, exec_lo, s0
	s_and_saveexec_b32 s0, s43
	s_cbranch_execnz .LBB116_114
.LBB116_83:
	s_or_b32 exec_lo, exec_lo, s0
	s_mov_b32 s5, 0
	s_and_saveexec_b32 s0, s19
	s_delay_alu instid0(SALU_CYCLE_1)
	s_xor_b32 s19, exec_lo, s0
	s_cbranch_execnz .LBB116_90
; %bb.84:
	s_or_b32 exec_lo, exec_lo, s19
	s_and_saveexec_b32 s0, s42
	s_cbranch_execnz .LBB116_91
.LBB116_85:
	s_or_b32 exec_lo, exec_lo, s0
	s_and_saveexec_b32 s25, s5
	s_cbranch_execnz .LBB116_92
.LBB116_86:
	s_or_b32 exec_lo, exec_lo, s25
	s_and_saveexec_b32 s0, s38
	s_cbranch_execnz .LBB116_106
.LBB116_87:
	s_or_b32 exec_lo, exec_lo, s0
	s_and_saveexec_b32 s0, s39
	s_delay_alu instid0(SALU_CYCLE_1)
	s_xor_b32 s0, exec_lo, s0
	s_cbranch_execnz .LBB116_107
.LBB116_88:
	s_or_b32 exec_lo, exec_lo, s0
	s_and_saveexec_b32 s0, s24
	s_cbranch_execnz .LBB116_108
.LBB116_89:
	s_endpgm
.LBB116_90:
	s_wait_loadcnt 0x0
	v_sub_nc_u32_e32 v3, v2, v4
	s_mov_b32 s5, exec_lo
	s_wait_kmcnt 0x0
	s_delay_alu instid0(VALU_DEP_1) | instskip(SKIP_3) | instid1(SALU_CYCLE_1)
	v_cmp_le_i32_e32 vcc_lo, s34, v3
	v_cmp_ge_i32_e64 s0, s4, v3
	s_and_not1_b32 s4, s42, exec_lo
	s_and_b32 s0, vcc_lo, s0
	s_and_b32 s0, s35, s0
	s_delay_alu instid0(SALU_CYCLE_1) | instskip(NEXT) | instid1(SALU_CYCLE_1)
	s_xor_b32 s0, s0, -1
	s_and_b32 s0, s0, exec_lo
	s_delay_alu instid0(SALU_CYCLE_1)
	s_or_b32 s42, s4, s0
	s_or_b32 exec_lo, exec_lo, s19
	s_and_saveexec_b32 s0, s42
	s_cbranch_execz .LBB116_85
.LBB116_91:
	s_or_b32 s39, s39, exec_lo
	s_and_not1_b32 s5, s5, exec_lo
	s_trap 2
	s_or_b32 exec_lo, exec_lo, s0
	s_and_saveexec_b32 s25, s5
	s_cbranch_execz .LBB116_86
.LBB116_92:
	s_wait_loadcnt 0x1
	v_mov_b64_e32 v[8:9], 0
	s_and_not1_b32 vcc_lo, exec_lo, s33
	s_cbranch_vccnz .LBB116_99
; %bb.93:
	v_mul_u64_e32 v[10:11], s[6:7], v[6:7]
	v_mov_b64_e32 v[8:9], 0
	s_mov_b32 s19, 0
	v_mov_b32_e32 v6, 0
	s_lshl_b64 s[20:21], s[18:19], 3
	s_mov_b64 s[4:5], 0xffffffff
	s_add_nc_u64 s[6:7], s[10:11], s[20:21]
	s_add_nc_u64 s[10:11], s[12:13], s[20:21]
	s_branch .LBB116_95
.LBB116_94:                             ;   in Loop: Header=BB116_95 Depth=1
	s_or_b32 exec_lo, exec_lo, s0
	s_wait_loadcnt 0x0
	s_delay_alu instid0(VALU_DEP_1)
	v_mul_u64_e32 v[14:15], s[12:13], v[12:13]
	s_load_b64 s[12:13], s[10:11], 0x0
	s_add_co_i32 s8, s8, -1
	s_add_nc_u64 s[6:7], s[6:7], -8
	s_cmp_lg_u32 s8, 0
	s_wait_xcnt 0x0
	s_add_nc_u64 s[10:11], s[10:11], -8
	s_delay_alu instid0(VALU_DEP_1) | instskip(SKIP_1) | instid1(VALU_DEP_1)
	v_sub_nc_u64_e32 v[10:11], v[10:11], v[14:15]
	s_wait_kmcnt 0x0
	v_mad_nc_u64_u32 v[8:9], v10, s12, v[8:9]
	s_delay_alu instid0(VALU_DEP_1) | instskip(NEXT) | instid1(VALU_DEP_1)
	v_mad_u32 v3, v11, s12, v9
	v_mad_u32 v9, v10, s13, v3
	v_mov_b64_e32 v[10:11], v[12:13]
	s_cbranch_scc0 .LBB116_99
.LBB116_95:                             ; =>This Inner Loop Header: Depth=1
	s_load_b64 s[12:13], s[6:7], 0x0
                                        ; implicit-def: $vgpr12_vgpr13
	s_mov_b32 s0, exec_lo
	s_wait_kmcnt 0x0
	s_delay_alu instid0(VALU_DEP_1) | instskip(NEXT) | instid1(VALU_DEP_1)
	v_or_b32_e32 v7, s13, v11
	v_cmpx_ne_u64_e32 0, v[6:7]
	s_xor_b32 s26, exec_lo, s0
	s_cbranch_execz .LBB116_97
; %bb.96:                               ;   in Loop: Header=BB116_95 Depth=1
	s_ashr_i32 s20, s13, 31
	s_wait_loadcnt 0x0
	v_dual_mov_b32 v19, v6 :: v_dual_ashrrev_i32 v12, 31, v11
	s_mov_b32 s21, s20
	s_delay_alu instid0(SALU_CYCLE_1) | instskip(NEXT) | instid1(VALU_DEP_1)
	s_add_nc_u64 s[22:23], s[12:13], s[20:21]
	v_mov_b32_e32 v13, v12
	s_xor_b64 s[22:23], s[22:23], s[20:21]
	s_delay_alu instid0(SALU_CYCLE_1)
	s_cvt_f32_u32 s0, s22
	s_cvt_f32_u32 s18, s23
	s_sub_nc_u64 s[30:31], 0, s[22:23]
	v_add_nc_u64_e32 v[14:15], v[10:11], v[12:13]
	v_mov_b32_e32 v25, v6
	s_fmamk_f32 s0, s18, 0x4f800000, s0
	s_delay_alu instid0(SALU_CYCLE_3) | instskip(NEXT) | instid1(VALU_DEP_2)
	v_s_rcp_f32 s0, s0
	v_xor_b32_e32 v18, v14, v12
	s_delay_alu instid0(VALU_DEP_3) | instskip(NEXT) | instid1(TRANS32_DEP_1)
	v_dual_mov_b32 v29, v6 :: v_dual_bitop2_b32 v24, v15, v12 bitop3:0x14
	s_mul_f32 s0, s0, 0x5f7ffffc
	s_delay_alu instid0(SALU_CYCLE_3) | instskip(NEXT) | instid1(SALU_CYCLE_3)
	s_mul_f32 s18, s0, 0x2f800000
	s_trunc_f32 s18, s18
	s_delay_alu instid0(SALU_CYCLE_3) | instskip(SKIP_1) | instid1(SALU_CYCLE_2)
	s_fmamk_f32 s0, s18, 0xcf800000, s0
	s_cvt_u32_f32 s29, s18
	s_cvt_u32_f32 s28, s0
	s_delay_alu instid0(SALU_CYCLE_3) | instskip(NEXT) | instid1(SALU_CYCLE_1)
	s_mul_u64 s[34:35], s[30:31], s[28:29]
	s_mul_hi_u32 s41, s28, s35
	s_mul_i32 s40, s28, s35
	s_mul_hi_u32 s18, s28, s34
	s_mul_i32 s21, s29, s34
	s_add_nc_u64 s[40:41], s[18:19], s[40:41]
	s_mul_hi_u32 s0, s29, s34
	s_mul_hi_u32 s27, s29, s35
	s_add_co_u32 s18, s40, s21
	s_add_co_ci_u32 s18, s41, s0
	s_mul_i32 s34, s29, s35
	s_add_co_ci_u32 s35, s27, 0
	s_delay_alu instid0(SALU_CYCLE_1) | instskip(NEXT) | instid1(SALU_CYCLE_1)
	s_add_nc_u64 s[34:35], s[18:19], s[34:35]
	s_add_co_u32 s28, s28, s34
	s_cselect_b32 s0, -1, 0
	s_delay_alu instid0(SALU_CYCLE_1) | instskip(SKIP_1) | instid1(SALU_CYCLE_1)
	s_cmp_lg_u32 s0, 0
	s_add_co_ci_u32 s29, s29, s35
	s_mul_u64 s[30:31], s[30:31], s[28:29]
	s_delay_alu instid0(SALU_CYCLE_1)
	s_mul_hi_u32 s35, s28, s31
	s_mul_i32 s34, s28, s31
	s_mul_hi_u32 s18, s28, s30
	s_mul_i32 s21, s29, s30
	s_add_nc_u64 s[34:35], s[18:19], s[34:35]
	s_mul_hi_u32 s0, s29, s30
	s_mul_hi_u32 s27, s29, s31
	s_add_co_u32 s18, s34, s21
	s_add_co_ci_u32 s18, s35, s0
	s_mul_i32 s30, s29, s31
	s_add_co_ci_u32 s31, s27, 0
	s_delay_alu instid0(SALU_CYCLE_1) | instskip(NEXT) | instid1(SALU_CYCLE_1)
	s_add_nc_u64 s[30:31], s[18:19], s[30:31]
	s_add_co_u32 s0, s28, s30
	s_cselect_b32 s18, -1, 0
	v_mul_hi_u32 v28, v18, s0
	s_cmp_lg_u32 s18, 0
	s_add_co_ci_u32 s18, s29, s31
	s_and_b64 s[28:29], s[0:1], s[4:5]
	v_mul_u64_e32 v[22:23], s[18:19], v[18:19]
	v_mul_u64_e32 v[14:15], s[28:29], v[24:25]
	;; [unrolled: 1-line block ×3, first 2 shown]
	s_delay_alu instid0(VALU_DEP_3) | instskip(NEXT) | instid1(VALU_DEP_1)
	v_add_nc_u64_e32 v[22:23], v[28:29], v[22:23]
	v_add_co_u32 v3, vcc_lo, v22, v14
	s_delay_alu instid0(VALU_DEP_2) | instskip(NEXT) | instid1(VALU_DEP_4)
	v_add_co_ci_u32_e32 v28, vcc_lo, v23, v15, vcc_lo
	v_add_co_ci_u32_e32 v27, vcc_lo, 0, v27, vcc_lo
	s_delay_alu instid0(VALU_DEP_1) | instskip(NEXT) | instid1(VALU_DEP_1)
	v_add_nc_u64_e32 v[14:15], v[28:29], v[26:27]
	v_mul_u64_e32 v[22:23], s[22:23], v[14:15]
	s_delay_alu instid0(VALU_DEP_1) | instskip(NEXT) | instid1(VALU_DEP_2)
	v_sub_nc_u32_e32 v3, v24, v23
	v_sub_co_u32 v5, vcc_lo, v18, v22
	s_delay_alu instid0(VALU_DEP_1) | instskip(NEXT) | instid1(VALU_DEP_3)
	v_sub_co_ci_u32_e64 v13, null, v24, v23, vcc_lo
	v_subrev_co_ci_u32_e64 v3, null, s23, v3, vcc_lo
	s_delay_alu instid0(VALU_DEP_3) | instskip(SKIP_1) | instid1(VALU_DEP_3)
	v_sub_co_u32 v7, s0, v5, s22
	v_add_nc_u64_e32 v[18:19], 2, v[14:15]
	v_subrev_co_ci_u32_e64 v3, null, 0, v3, s0
	s_delay_alu instid0(VALU_DEP_3) | instskip(SKIP_2) | instid1(VALU_DEP_4)
	v_cmp_le_u32_e32 vcc_lo, s22, v7
	v_add_nc_u64_e32 v[22:23], 1, v[14:15]
	v_cndmask_b32_e64 v7, 0, -1, vcc_lo
	v_cmp_le_u32_e32 vcc_lo, s23, v3
	v_cndmask_b32_e64 v16, 0, -1, vcc_lo
	v_cmp_le_u32_e32 vcc_lo, s22, v5
	;; [unrolled: 2-line block ×3, first 2 shown]
	v_cndmask_b32_e64 v21, 0, -1, vcc_lo
	v_cmp_eq_u32_e32 vcc_lo, s23, v3
	v_cndmask_b32_e32 v3, v16, v7, vcc_lo
	v_cmp_eq_u32_e32 vcc_lo, s23, v13
	s_delay_alu instid0(VALU_DEP_4) | instskip(NEXT) | instid1(VALU_DEP_3)
	v_cndmask_b32_e32 v5, v21, v5, vcc_lo
	v_cmp_ne_u32_e32 vcc_lo, 0, v3
	s_delay_alu instid0(VALU_DEP_2) | instskip(SKIP_1) | instid1(VALU_DEP_1)
	v_cmp_ne_u32_e64 s0, 0, v5
	v_dual_cndmask_b32 v3, v23, v19, vcc_lo :: v_dual_cndmask_b32 v5, v22, v18, vcc_lo
	v_dual_cndmask_b32 v3, v15, v3, s0 :: v_dual_bitop2_b32 v12, s20, v12 bitop3:0x14
	s_delay_alu instid0(VALU_DEP_1) | instskip(NEXT) | instid1(VALU_DEP_2)
	v_dual_cndmask_b32 v5, v14, v5, s0 :: v_dual_mov_b32 v13, v12
	v_xor_b32_e32 v15, v3, v12
	s_delay_alu instid0(VALU_DEP_2) | instskip(NEXT) | instid1(VALU_DEP_1)
	v_xor_b32_e32 v14, v5, v12
	v_sub_nc_u64_e32 v[12:13], v[14:15], v[12:13]
.LBB116_97:                             ;   in Loop: Header=BB116_95 Depth=1
	s_and_not1_saveexec_b32 s0, s26
	s_cbranch_execz .LBB116_94
; %bb.98:                               ;   in Loop: Header=BB116_95 Depth=1
	v_cvt_f32_u32_e32 v3, s12
	s_sub_co_i32 s18, 0, s12
	v_mov_b32_e32 v13, v6
	s_delay_alu instid0(VALU_DEP_2) | instskip(SKIP_1) | instid1(TRANS32_DEP_1)
	v_rcp_iflag_f32_e32 v3, v3
	v_nop
	v_mul_f32_e32 v3, 0x4f7ffffe, v3
	s_delay_alu instid0(VALU_DEP_1) | instskip(NEXT) | instid1(VALU_DEP_1)
	v_cvt_u32_f32_e32 v3, v3
	v_mul_lo_u32 v5, s18, v3
	s_delay_alu instid0(VALU_DEP_1) | instskip(NEXT) | instid1(VALU_DEP_1)
	v_mul_hi_u32 v5, v3, v5
	v_add_nc_u32_e32 v3, v3, v5
	s_delay_alu instid0(VALU_DEP_1) | instskip(NEXT) | instid1(VALU_DEP_1)
	v_mul_hi_u32 v3, v10, v3
	v_mul_lo_u32 v5, v3, s12
	s_delay_alu instid0(VALU_DEP_1) | instskip(SKIP_1) | instid1(VALU_DEP_1)
	v_sub_nc_u32_e32 v5, v10, v5
	s_wait_loadcnt 0x0
	v_subrev_nc_u32_e32 v12, s12, v5
	v_cmp_le_u32_e32 vcc_lo, s12, v5
	s_delay_alu instid0(VALU_DEP_2) | instskip(NEXT) | instid1(VALU_DEP_1)
	v_dual_add_nc_u32 v7, 1, v3 :: v_dual_cndmask_b32 v5, v5, v12, vcc_lo
	v_cndmask_b32_e32 v3, v3, v7, vcc_lo
	s_delay_alu instid0(VALU_DEP_2) | instskip(NEXT) | instid1(VALU_DEP_2)
	v_cmp_le_u32_e32 vcc_lo, s12, v5
	v_add_nc_u32_e32 v7, 1, v3
	s_delay_alu instid0(VALU_DEP_1)
	v_cndmask_b32_e32 v12, v3, v7, vcc_lo
	s_branch .LBB116_94
.LBB116_99:
	s_mov_b32 s4, s38
	s_mov_b32 s0, exec_lo
	s_wait_loadcnt 0x0
	v_cmpx_gt_i32_e64 v2, v4
	s_cbranch_execz .LBB116_105
; %bb.100:
	s_delay_alu instid0(VALU_DEP_2) | instskip(SKIP_3) | instid1(VALU_DEP_1)
	v_lshlrev_b64_e32 v[6:7], 2, v[8:9]
	v_dual_ashrrev_i32 v5, 31, v4 :: v_dual_ashrrev_i32 v3, 31, v2
	s_mov_b32 s4, 0
	s_xor_b32 s6, s9, -1
                                        ; implicit-def: $sgpr5
                                        ; implicit-def: $sgpr8
                                        ; implicit-def: $sgpr7
	v_lshl_add_u64 v[4:5], v[4:5], 2, v[6:7]
	v_add_nc_u64_e32 v[6:7], s[14:15], v[6:7]
	s_delay_alu instid0(VALU_DEP_2) | instskip(NEXT) | instid1(VALU_DEP_2)
	v_add_nc_u64_e32 v[4:5], s[14:15], v[4:5]
	v_lshl_add_u64 v[2:3], v[2:3], 2, v[6:7]
	s_delay_alu instid0(VALU_DEP_2)
	v_add_nc_u64_e32 v[4:5], 4, v[4:5]
	s_branch .LBB116_102
.LBB116_101:                            ;   in Loop: Header=BB116_102 Depth=1
	s_or_b32 exec_lo, exec_lo, s9
	s_xor_b32 s9, s7, -1
	s_and_b32 s10, exec_lo, s8
	s_delay_alu instid0(SALU_CYCLE_1) | instskip(SKIP_2) | instid1(SALU_CYCLE_1)
	s_or_b32 s4, s10, s4
	s_and_not1_b32 s5, s5, exec_lo
	s_and_b32 s9, s9, exec_lo
	s_or_b32 s5, s5, s9
	s_and_not1_b32 exec_lo, exec_lo, s4
	s_cbranch_execz .LBB116_104
.LBB116_102:                            ; =>This Inner Loop Header: Depth=1
	s_or_b32 s7, s7, exec_lo
	s_or_b32 s8, s8, exec_lo
	s_mov_b32 s9, exec_lo
	s_delay_alu instid0(VALU_DEP_1)
	v_cmpx_lt_u64_e64 v[4:5], v[2:3]
	s_cbranch_execz .LBB116_101
; %bb.103:                              ;   in Loop: Header=BB116_102 Depth=1
	global_load_b64 v[6:7], v[4:5], off offset:-4
	s_wait_xcnt 0x0
	v_add_nc_u64_e32 v[4:5], 4, v[4:5]
	s_and_not1_b32 s8, s8, exec_lo
	s_and_not1_b32 s7, s7, exec_lo
	s_wait_loadcnt 0x0
	v_cmp_ge_i32_e32 vcc_lo, v6, v7
	s_or_b32 s10, s6, vcc_lo
	s_delay_alu instid0(SALU_CYCLE_1) | instskip(NEXT) | instid1(SALU_CYCLE_1)
	s_and_b32 s10, s10, exec_lo
	s_or_b32 s8, s8, s10
	s_branch .LBB116_101
.LBB116_104:
	s_or_b32 exec_lo, exec_lo, s4
	s_delay_alu instid0(SALU_CYCLE_1) | instskip(SKIP_1) | instid1(SALU_CYCLE_1)
	s_and_not1_b32 s4, s38, exec_lo
	s_and_b32 s5, s5, exec_lo
	s_or_b32 s4, s4, s5
.LBB116_105:
	s_or_b32 exec_lo, exec_lo, s0
	s_delay_alu instid0(SALU_CYCLE_1)
	s_and_not1_b32 s0, s38, exec_lo
	s_and_b32 s4, s4, exec_lo
	s_or_b32 s24, s24, exec_lo
	s_or_b32 s38, s0, s4
	s_or_b32 exec_lo, exec_lo, s25
	s_and_saveexec_b32 s0, s38
	s_cbranch_execz .LBB116_87
.LBB116_106:
	s_and_not1_b32 s24, s24, exec_lo
	s_or_b32 s39, s39, exec_lo
	s_trap 2
	s_or_b32 exec_lo, exec_lo, s0
	s_and_saveexec_b32 s0, s39
	s_delay_alu instid0(SALU_CYCLE_1)
	s_xor_b32 s0, exec_lo, s0
	s_cbranch_execz .LBB116_88
.LBB116_107:
	; divergent unreachable
	s_or_b32 exec_lo, exec_lo, s0
	s_and_saveexec_b32 s0, s24
	s_cbranch_execz .LBB116_89
.LBB116_108:
	s_and_b32 exec_lo, exec_lo, s2
	s_cbranch_execz .LBB116_89
; %bb.109:
	s_wait_loadcnt 0x0
	v_dual_mov_b32 v0, 0 :: v_dual_bitop2_b32 v2, s3, v0 bitop3:0x54
	global_store_b32 v2, v0, s[16:17] scale_offset
	s_wait_xcnt 0x0
	s_and_b32 exec_lo, exec_lo, s37
	s_cbranch_execz .LBB116_89
; %bb.110:
	v_add_nc_u32_e32 v1, s3, v1
	global_store_b32 v1, v0, s[16:17] scale_offset
	s_wait_xcnt 0x0
	s_and_b32 exec_lo, exec_lo, s44
	s_cbranch_execz .LBB116_89
; %bb.111:
	v_dual_mov_b32 v0, 0 :: v_dual_add_nc_u32 v1, s3, v20
	global_store_b32 v1, v0, s[16:17] scale_offset
	s_wait_xcnt 0x0
	s_and_b32 exec_lo, exec_lo, s1
	s_cbranch_execz .LBB116_89
; %bb.112:
	v_add_nc_u32_e32 v1, s3, v17
	global_store_b32 v1, v0, s[16:17] scale_offset
	s_endpgm
.LBB116_113:
	s_mov_b32 s39, exec_lo
	s_and_not1_b32 s0, s0, exec_lo
	s_trap 2
	s_branch .LBB116_80
.LBB116_114:
	s_or_b32 s39, s39, exec_lo
	s_and_not1_b32 s19, s19, exec_lo
	s_trap 2
	s_branch .LBB116_83
	.section	.rodata,"a",@progbits
	.p2align	6, 0x0
	.amdhsa_kernel _ZN2at6native27unrolled_elementwise_kernelIZZZNS0_12_GLOBAL__N_142_validate_compressed_sparse_indices_kernelILNS2_8CDimNameE1ENS2_18CUDAKernelLauncherENS2_14EmptyVecKernelENS2_8DummyVecELm0EEEvRKNS_6TensorESA_lllENKUlvE1_clEvENKUlvE_clEvEUliiiiiE_St5arrayIPcLm6EELi4E23TrivialOffsetCalculatorILi5EjESH_ILi1EjENS0_6memory15LoadWithoutCastENSK_16StoreWithoutCastEEEviT_T0_T2_T3_T4_T5_
		.amdhsa_group_segment_fixed_size 0
		.amdhsa_private_segment_fixed_size 0
		.amdhsa_kernarg_size 116
		.amdhsa_user_sgpr_count 2
		.amdhsa_user_sgpr_dispatch_ptr 0
		.amdhsa_user_sgpr_queue_ptr 0
		.amdhsa_user_sgpr_kernarg_segment_ptr 1
		.amdhsa_user_sgpr_dispatch_id 0
		.amdhsa_user_sgpr_kernarg_preload_length 0
		.amdhsa_user_sgpr_kernarg_preload_offset 0
		.amdhsa_user_sgpr_private_segment_size 0
		.amdhsa_wavefront_size32 1
		.amdhsa_uses_dynamic_stack 0
		.amdhsa_enable_private_segment 0
		.amdhsa_system_sgpr_workgroup_id_x 1
		.amdhsa_system_sgpr_workgroup_id_y 0
		.amdhsa_system_sgpr_workgroup_id_z 0
		.amdhsa_system_sgpr_workgroup_info 0
		.amdhsa_system_vgpr_workitem_id 0
		.amdhsa_next_free_vgpr 44
		.amdhsa_next_free_sgpr 67
		.amdhsa_named_barrier_count 0
		.amdhsa_reserve_vcc 1
		.amdhsa_float_round_mode_32 0
		.amdhsa_float_round_mode_16_64 0
		.amdhsa_float_denorm_mode_32 3
		.amdhsa_float_denorm_mode_16_64 3
		.amdhsa_fp16_overflow 0
		.amdhsa_memory_ordered 1
		.amdhsa_forward_progress 1
		.amdhsa_inst_pref_size 56
		.amdhsa_round_robin_scheduling 0
		.amdhsa_exception_fp_ieee_invalid_op 0
		.amdhsa_exception_fp_denorm_src 0
		.amdhsa_exception_fp_ieee_div_zero 0
		.amdhsa_exception_fp_ieee_overflow 0
		.amdhsa_exception_fp_ieee_underflow 0
		.amdhsa_exception_fp_ieee_inexact 0
		.amdhsa_exception_int_div_zero 0
	.end_amdhsa_kernel
	.section	.text._ZN2at6native27unrolled_elementwise_kernelIZZZNS0_12_GLOBAL__N_142_validate_compressed_sparse_indices_kernelILNS2_8CDimNameE1ENS2_18CUDAKernelLauncherENS2_14EmptyVecKernelENS2_8DummyVecELm0EEEvRKNS_6TensorESA_lllENKUlvE1_clEvENKUlvE_clEvEUliiiiiE_St5arrayIPcLm6EELi4E23TrivialOffsetCalculatorILi5EjESH_ILi1EjENS0_6memory15LoadWithoutCastENSK_16StoreWithoutCastEEEviT_T0_T2_T3_T4_T5_,"axG",@progbits,_ZN2at6native27unrolled_elementwise_kernelIZZZNS0_12_GLOBAL__N_142_validate_compressed_sparse_indices_kernelILNS2_8CDimNameE1ENS2_18CUDAKernelLauncherENS2_14EmptyVecKernelENS2_8DummyVecELm0EEEvRKNS_6TensorESA_lllENKUlvE1_clEvENKUlvE_clEvEUliiiiiE_St5arrayIPcLm6EELi4E23TrivialOffsetCalculatorILi5EjESH_ILi1EjENS0_6memory15LoadWithoutCastENSK_16StoreWithoutCastEEEviT_T0_T2_T3_T4_T5_,comdat
.Lfunc_end116:
	.size	_ZN2at6native27unrolled_elementwise_kernelIZZZNS0_12_GLOBAL__N_142_validate_compressed_sparse_indices_kernelILNS2_8CDimNameE1ENS2_18CUDAKernelLauncherENS2_14EmptyVecKernelENS2_8DummyVecELm0EEEvRKNS_6TensorESA_lllENKUlvE1_clEvENKUlvE_clEvEUliiiiiE_St5arrayIPcLm6EELi4E23TrivialOffsetCalculatorILi5EjESH_ILi1EjENS0_6memory15LoadWithoutCastENSK_16StoreWithoutCastEEEviT_T0_T2_T3_T4_T5_, .Lfunc_end116-_ZN2at6native27unrolled_elementwise_kernelIZZZNS0_12_GLOBAL__N_142_validate_compressed_sparse_indices_kernelILNS2_8CDimNameE1ENS2_18CUDAKernelLauncherENS2_14EmptyVecKernelENS2_8DummyVecELm0EEEvRKNS_6TensorESA_lllENKUlvE1_clEvENKUlvE_clEvEUliiiiiE_St5arrayIPcLm6EELi4E23TrivialOffsetCalculatorILi5EjESH_ILi1EjENS0_6memory15LoadWithoutCastENSK_16StoreWithoutCastEEEviT_T0_T2_T3_T4_T5_
                                        ; -- End function
	.set _ZN2at6native27unrolled_elementwise_kernelIZZZNS0_12_GLOBAL__N_142_validate_compressed_sparse_indices_kernelILNS2_8CDimNameE1ENS2_18CUDAKernelLauncherENS2_14EmptyVecKernelENS2_8DummyVecELm0EEEvRKNS_6TensorESA_lllENKUlvE1_clEvENKUlvE_clEvEUliiiiiE_St5arrayIPcLm6EELi4E23TrivialOffsetCalculatorILi5EjESH_ILi1EjENS0_6memory15LoadWithoutCastENSK_16StoreWithoutCastEEEviT_T0_T2_T3_T4_T5_.num_vgpr, 44
	.set _ZN2at6native27unrolled_elementwise_kernelIZZZNS0_12_GLOBAL__N_142_validate_compressed_sparse_indices_kernelILNS2_8CDimNameE1ENS2_18CUDAKernelLauncherENS2_14EmptyVecKernelENS2_8DummyVecELm0EEEvRKNS_6TensorESA_lllENKUlvE1_clEvENKUlvE_clEvEUliiiiiE_St5arrayIPcLm6EELi4E23TrivialOffsetCalculatorILi5EjESH_ILi1EjENS0_6memory15LoadWithoutCastENSK_16StoreWithoutCastEEEviT_T0_T2_T3_T4_T5_.num_agpr, 0
	.set _ZN2at6native27unrolled_elementwise_kernelIZZZNS0_12_GLOBAL__N_142_validate_compressed_sparse_indices_kernelILNS2_8CDimNameE1ENS2_18CUDAKernelLauncherENS2_14EmptyVecKernelENS2_8DummyVecELm0EEEvRKNS_6TensorESA_lllENKUlvE1_clEvENKUlvE_clEvEUliiiiiE_St5arrayIPcLm6EELi4E23TrivialOffsetCalculatorILi5EjESH_ILi1EjENS0_6memory15LoadWithoutCastENSK_16StoreWithoutCastEEEviT_T0_T2_T3_T4_T5_.numbered_sgpr, 67
	.set _ZN2at6native27unrolled_elementwise_kernelIZZZNS0_12_GLOBAL__N_142_validate_compressed_sparse_indices_kernelILNS2_8CDimNameE1ENS2_18CUDAKernelLauncherENS2_14EmptyVecKernelENS2_8DummyVecELm0EEEvRKNS_6TensorESA_lllENKUlvE1_clEvENKUlvE_clEvEUliiiiiE_St5arrayIPcLm6EELi4E23TrivialOffsetCalculatorILi5EjESH_ILi1EjENS0_6memory15LoadWithoutCastENSK_16StoreWithoutCastEEEviT_T0_T2_T3_T4_T5_.num_named_barrier, 0
	.set _ZN2at6native27unrolled_elementwise_kernelIZZZNS0_12_GLOBAL__N_142_validate_compressed_sparse_indices_kernelILNS2_8CDimNameE1ENS2_18CUDAKernelLauncherENS2_14EmptyVecKernelENS2_8DummyVecELm0EEEvRKNS_6TensorESA_lllENKUlvE1_clEvENKUlvE_clEvEUliiiiiE_St5arrayIPcLm6EELi4E23TrivialOffsetCalculatorILi5EjESH_ILi1EjENS0_6memory15LoadWithoutCastENSK_16StoreWithoutCastEEEviT_T0_T2_T3_T4_T5_.private_seg_size, 0
	.set _ZN2at6native27unrolled_elementwise_kernelIZZZNS0_12_GLOBAL__N_142_validate_compressed_sparse_indices_kernelILNS2_8CDimNameE1ENS2_18CUDAKernelLauncherENS2_14EmptyVecKernelENS2_8DummyVecELm0EEEvRKNS_6TensorESA_lllENKUlvE1_clEvENKUlvE_clEvEUliiiiiE_St5arrayIPcLm6EELi4E23TrivialOffsetCalculatorILi5EjESH_ILi1EjENS0_6memory15LoadWithoutCastENSK_16StoreWithoutCastEEEviT_T0_T2_T3_T4_T5_.uses_vcc, 1
	.set _ZN2at6native27unrolled_elementwise_kernelIZZZNS0_12_GLOBAL__N_142_validate_compressed_sparse_indices_kernelILNS2_8CDimNameE1ENS2_18CUDAKernelLauncherENS2_14EmptyVecKernelENS2_8DummyVecELm0EEEvRKNS_6TensorESA_lllENKUlvE1_clEvENKUlvE_clEvEUliiiiiE_St5arrayIPcLm6EELi4E23TrivialOffsetCalculatorILi5EjESH_ILi1EjENS0_6memory15LoadWithoutCastENSK_16StoreWithoutCastEEEviT_T0_T2_T3_T4_T5_.uses_flat_scratch, 0
	.set _ZN2at6native27unrolled_elementwise_kernelIZZZNS0_12_GLOBAL__N_142_validate_compressed_sparse_indices_kernelILNS2_8CDimNameE1ENS2_18CUDAKernelLauncherENS2_14EmptyVecKernelENS2_8DummyVecELm0EEEvRKNS_6TensorESA_lllENKUlvE1_clEvENKUlvE_clEvEUliiiiiE_St5arrayIPcLm6EELi4E23TrivialOffsetCalculatorILi5EjESH_ILi1EjENS0_6memory15LoadWithoutCastENSK_16StoreWithoutCastEEEviT_T0_T2_T3_T4_T5_.has_dyn_sized_stack, 0
	.set _ZN2at6native27unrolled_elementwise_kernelIZZZNS0_12_GLOBAL__N_142_validate_compressed_sparse_indices_kernelILNS2_8CDimNameE1ENS2_18CUDAKernelLauncherENS2_14EmptyVecKernelENS2_8DummyVecELm0EEEvRKNS_6TensorESA_lllENKUlvE1_clEvENKUlvE_clEvEUliiiiiE_St5arrayIPcLm6EELi4E23TrivialOffsetCalculatorILi5EjESH_ILi1EjENS0_6memory15LoadWithoutCastENSK_16StoreWithoutCastEEEviT_T0_T2_T3_T4_T5_.has_recursion, 0
	.set _ZN2at6native27unrolled_elementwise_kernelIZZZNS0_12_GLOBAL__N_142_validate_compressed_sparse_indices_kernelILNS2_8CDimNameE1ENS2_18CUDAKernelLauncherENS2_14EmptyVecKernelENS2_8DummyVecELm0EEEvRKNS_6TensorESA_lllENKUlvE1_clEvENKUlvE_clEvEUliiiiiE_St5arrayIPcLm6EELi4E23TrivialOffsetCalculatorILi5EjESH_ILi1EjENS0_6memory15LoadWithoutCastENSK_16StoreWithoutCastEEEviT_T0_T2_T3_T4_T5_.has_indirect_call, 0
	.section	.AMDGPU.csdata,"",@progbits
; Kernel info:
; codeLenInByte = 7152
; TotalNumSgprs: 69
; NumVgprs: 44
; ScratchSize: 0
; MemoryBound: 0
; FloatMode: 240
; IeeeMode: 1
; LDSByteSize: 0 bytes/workgroup (compile time only)
; SGPRBlocks: 0
; VGPRBlocks: 2
; NumSGPRsForWavesPerEU: 69
; NumVGPRsForWavesPerEU: 44
; NamedBarCnt: 0
; Occupancy: 16
; WaveLimiterHint : 0
; COMPUTE_PGM_RSRC2:SCRATCH_EN: 0
; COMPUTE_PGM_RSRC2:USER_SGPR: 2
; COMPUTE_PGM_RSRC2:TRAP_HANDLER: 0
; COMPUTE_PGM_RSRC2:TGID_X_EN: 1
; COMPUTE_PGM_RSRC2:TGID_Y_EN: 0
; COMPUTE_PGM_RSRC2:TGID_Z_EN: 0
; COMPUTE_PGM_RSRC2:TIDIG_COMP_CNT: 0
	.section	.text._ZN2at6native32elementwise_kernel_manual_unrollILi128ELi4EZNS0_22gpu_kernel_impl_nocastIZZZNS0_12_GLOBAL__N_142_validate_compressed_sparse_indices_kernelILNS3_8CDimNameE1ENS3_18CUDAKernelLauncherENS3_14EmptyVecKernelENS3_8DummyVecELm0EEEvRKNS_6TensorESB_lllENKUlvE1_clEvENKUlvE_clEvEUliiiiiE_EEvRNS_18TensorIteratorBaseERKT_EUlibE_EEviT1_,"axG",@progbits,_ZN2at6native32elementwise_kernel_manual_unrollILi128ELi4EZNS0_22gpu_kernel_impl_nocastIZZZNS0_12_GLOBAL__N_142_validate_compressed_sparse_indices_kernelILNS3_8CDimNameE1ENS3_18CUDAKernelLauncherENS3_14EmptyVecKernelENS3_8DummyVecELm0EEEvRKNS_6TensorESB_lllENKUlvE1_clEvENKUlvE_clEvEUliiiiiE_EEvRNS_18TensorIteratorBaseERKT_EUlibE_EEviT1_,comdat
	.globl	_ZN2at6native32elementwise_kernel_manual_unrollILi128ELi4EZNS0_22gpu_kernel_impl_nocastIZZZNS0_12_GLOBAL__N_142_validate_compressed_sparse_indices_kernelILNS3_8CDimNameE1ENS3_18CUDAKernelLauncherENS3_14EmptyVecKernelENS3_8DummyVecELm0EEEvRKNS_6TensorESB_lllENKUlvE1_clEvENKUlvE_clEvEUliiiiiE_EEvRNS_18TensorIteratorBaseERKT_EUlibE_EEviT1_ ; -- Begin function _ZN2at6native32elementwise_kernel_manual_unrollILi128ELi4EZNS0_22gpu_kernel_impl_nocastIZZZNS0_12_GLOBAL__N_142_validate_compressed_sparse_indices_kernelILNS3_8CDimNameE1ENS3_18CUDAKernelLauncherENS3_14EmptyVecKernelENS3_8DummyVecELm0EEEvRKNS_6TensorESB_lllENKUlvE1_clEvENKUlvE_clEvEUliiiiiE_EEvRNS_18TensorIteratorBaseERKT_EUlibE_EEviT1_
	.p2align	8
	.type	_ZN2at6native32elementwise_kernel_manual_unrollILi128ELi4EZNS0_22gpu_kernel_impl_nocastIZZZNS0_12_GLOBAL__N_142_validate_compressed_sparse_indices_kernelILNS3_8CDimNameE1ENS3_18CUDAKernelLauncherENS3_14EmptyVecKernelENS3_8DummyVecELm0EEEvRKNS_6TensorESB_lllENKUlvE1_clEvENKUlvE_clEvEUliiiiiE_EEvRNS_18TensorIteratorBaseERKT_EUlibE_EEviT1_,@function
_ZN2at6native32elementwise_kernel_manual_unrollILi128ELi4EZNS0_22gpu_kernel_impl_nocastIZZZNS0_12_GLOBAL__N_142_validate_compressed_sparse_indices_kernelILNS3_8CDimNameE1ENS3_18CUDAKernelLauncherENS3_14EmptyVecKernelENS3_8DummyVecELm0EEEvRKNS_6TensorESB_lllENKUlvE1_clEvENKUlvE_clEvEUliiiiiE_EEvRNS_18TensorIteratorBaseERKT_EUlibE_EEviT1_: ; @_ZN2at6native32elementwise_kernel_manual_unrollILi128ELi4EZNS0_22gpu_kernel_impl_nocastIZZZNS0_12_GLOBAL__N_142_validate_compressed_sparse_indices_kernelILNS3_8CDimNameE1ENS3_18CUDAKernelLauncherENS3_14EmptyVecKernelENS3_8DummyVecELm0EEEvRKNS_6TensorESB_lllENKUlvE1_clEvENKUlvE_clEvEUliiiiiE_EEvRNS_18TensorIteratorBaseERKT_EUlibE_EEviT1_
; %bb.0:
	s_clause 0x1
	s_load_b32 s33, s[0:1], 0x8
	s_load_b32 s78, s[0:1], 0x0
	s_bfe_u32 s2, ttmp6, 0x4000c
	s_and_b32 s3, ttmp6, 15
	s_add_co_i32 s2, s2, 1
	s_getreg_b32 s4, hwreg(HW_REG_IB_STS2, 6, 4)
	s_mul_i32 s2, ttmp9, s2
	s_mov_b32 s69, 0
	s_add_co_i32 s3, s3, s2
	s_cmp_eq_u32 s4, 0
	s_mov_b32 s49, -1
	s_cselect_b32 s2, ttmp9, s3
	s_mov_b32 s38, 0
	v_lshl_or_b32 v0, s2, 9, v0
	s_add_nc_u64 s[2:3], s[0:1], 8
	s_get_pc_i64 s[34:35]
	s_add_nc_u64 s[34:35], s[34:35], .str.6@rel64+4
	s_wait_xcnt 0x0
	s_mov_b32 s0, exec_lo
	v_or_b32_e32 v5, 0x180, v0
	s_wait_kmcnt 0x0
	s_add_co_i32 s68, s33, -1
	s_delay_alu instid0(SALU_CYCLE_1)
	s_cmp_gt_u32 s68, 1
	s_cselect_b32 s70, -1, 0
	v_cmpx_le_i32_e64 s78, v5
	s_xor_b32 s71, exec_lo, s0
	s_cbranch_execz .LBB117_137
; %bb.1:
	s_load_b256 s[12:19], s[2:3], 0x280
	s_cmp_lg_u32 s33, 0
	s_get_pc_i64 s[28:29]
	s_add_nc_u64 s[28:29], s[28:29], .str.7@rel64+4
	s_cselect_b32 s79, -1, 0
	s_min_u32 s77, s68, 15
	s_cmp_gt_u32 s33, 1
	s_clause 0x1
	s_load_b128 s[44:47], s[2:3], 0x4
	s_load_b64 s[0:1], s[2:3], 0x14
	s_cselect_b32 s76, -1, 0
	s_cmp_lg_u64 s[34:35], 0
	s_get_pc_i64 s[30:31]
	s_add_nc_u64 s[30:31], s[30:31], .str.8@rel64+4
	s_cselect_b32 s75, -1, 0
	s_cmp_lg_u64 s[28:29], 0
	s_clause 0x4
	s_load_b128 s[40:43], s[2:3], 0xe4
	s_load_b256 s[20:27], s[2:3], 0xc4
	s_load_b256 s[4:11], s[2:3], 0x248
	s_load_b128 s[36:39], s[2:3], 0x268
	s_load_b32 s72, s[2:3], 0x278
	s_cselect_b32 s74, -1, 0
	s_cmp_lg_u64 s[30:31], 0
	s_load_b128 s[28:31], s[2:3], 0x2a0
	s_cselect_b32 s73, -1, 0
	s_get_pc_i64 s[54:55]
	s_add_nc_u64 s[54:55], s[54:55], .str.9@rel64+4
	s_wait_kmcnt 0x0
	v_cmp_gt_i64_e64 s13, s[14:15], 0
	s_add_co_i32 s48, s16, -1
	s_mov_b32 s51, 0
	s_cmp_gt_i32 s48, -1
	s_mov_b32 s53, s51
	s_cselect_b32 s17, -1, 0
	s_mov_b32 s50, s45
	s_and_b32 s13, s13, s17
	s_cmp_lg_u64 s[54:55], 0
	s_mov_b32 s52, s0
	s_cselect_b32 s17, -1, 0
	s_mov_b32 s82, s51
	s_mov_b32 s81, s51
	;; [unrolled: 1-line block ×4, first 2 shown]
	s_mov_b32 s83, exec_lo
	v_cmpx_gt_i32_e64 s78, v0
	s_cbranch_execz .LBB117_35
; %bb.2:
	s_and_not1_b32 vcc_lo, exec_lo, s70
	s_cbranch_vccnz .LBB117_8
; %bb.3:
	s_and_not1_b32 vcc_lo, exec_lo, s79
	s_cbranch_vccnz .LBB117_9
; %bb.4:
	v_dual_mov_b32 v6, 0 :: v_dual_mov_b32 v1, v0
	v_dual_mov_b32 v5, 0 :: v_dual_mov_b32 v7, 0
	;; [unrolled: 1-line block ×3, first 2 shown]
	v_mov_b32_e32 v8, 0
	s_add_co_i32 s0, s77, 1
	s_mov_b64 s[54:55], 0xffffffffffffffd0
	s_and_b32 s0, s0, 30
	s_add_nc_u64 s[54:55], s[2:3], s[54:55]
	s_mov_b64 s[56:57], s[2:3]
.LBB117_5:                              ; =>This Inner Loop Header: Depth=1
	s_clause 0x1
	s_load_b128 s[84:87], s[56:57], 0x4
	s_load_b64 s[58:59], s[56:57], 0x14
	s_clause 0x1
	s_load_b256 s[60:67], s[54:55], 0xf4
	s_load_b128 s[88:91], s[54:55], 0x114
	s_add_co_i32 s0, s0, -2
	s_wait_xcnt 0x0
	s_add_nc_u64 s[56:57], s[56:57], 24
	s_cmp_lg_u32 s0, 0
	s_add_nc_u64 s[54:55], s[54:55], 48
	s_wait_kmcnt 0x0
	v_mul_hi_u32 v2, s85, v1
	s_delay_alu instid0(VALU_DEP_1) | instskip(NEXT) | instid1(VALU_DEP_1)
	v_add_nc_u32_e32 v2, v1, v2
	v_lshrrev_b32_e32 v2, s86, v2
	s_delay_alu instid0(VALU_DEP_1) | instskip(SKIP_1) | instid1(VALU_DEP_1)
	v_mul_hi_u32 v3, s58, v2
	v_mul_lo_u32 v9, v2, s84
	v_dual_add_nc_u32 v3, v2, v3 :: v_dual_sub_nc_u32 v9, v1, v9
	s_delay_alu instid0(VALU_DEP_1) | instskip(NEXT) | instid1(VALU_DEP_2)
	v_lshrrev_b32_e32 v1, s59, v3
	v_mad_u32 v3, v9, s61, v8
	v_mad_u32 v10, v9, s60, v14
	;; [unrolled: 1-line block ×4, first 2 shown]
	v_mul_lo_u32 v8, v1, s87
	v_mad_u32 v5, s65, v9, v5
	v_mad_u32 v6, s64, v9, v6
	s_delay_alu instid0(VALU_DEP_3) | instskip(NEXT) | instid1(VALU_DEP_1)
	v_sub_nc_u32_e32 v2, v2, v8
	v_mad_u32 v8, v2, s67, v3
	v_mad_u32 v14, v2, s66, v10
	;; [unrolled: 1-line block ×6, first 2 shown]
	s_cbranch_scc1 .LBB117_5
; %bb.6:
	s_bitcmp1_b32 s77, 0
	s_cselect_b32 s0, -1, 0
	s_delay_alu instid0(SALU_CYCLE_1)
	s_and_b32 vcc_lo, exec_lo, s0
	s_cbranch_vccnz .LBB117_10
; %bb.7:
	s_load_b96 s[60:62], s[56:57], 0x4
	s_wait_kmcnt 0x0
	v_mul_hi_u32 v2, s61, v1
	s_delay_alu instid0(VALU_DEP_1) | instskip(NEXT) | instid1(VALU_DEP_1)
	v_add_nc_u32_e32 v2, v1, v2
	v_lshrrev_b32_e32 v2, s62, v2
	s_clause 0x1
	s_load_b128 s[56:59], s[54:55], 0xf4
	s_load_b64 s[62:63], s[54:55], 0x104
	s_delay_alu instid0(VALU_DEP_1) | instskip(NEXT) | instid1(VALU_DEP_1)
	v_mul_lo_u32 v2, v2, s60
	v_sub_nc_u32_e32 v1, v1, v2
	s_wait_kmcnt 0x0
	s_delay_alu instid0(VALU_DEP_1)
	v_mad_u32 v14, v1, s56, v14
	v_mad_u32 v8, v1, s57, v8
	;; [unrolled: 1-line block ×6, first 2 shown]
	s_cbranch_execz .LBB117_11
	s_branch .LBB117_13
.LBB117_8:
                                        ; implicit-def: $vgpr8
                                        ; implicit-def: $vgpr14
                                        ; implicit-def: $vgpr4
                                        ; implicit-def: $vgpr7
                                        ; implicit-def: $vgpr5
                                        ; implicit-def: $vgpr6
	s_branch .LBB117_11
.LBB117_9:
	v_dual_mov_b32 v8, 0 :: v_dual_mov_b32 v14, 0
	v_dual_mov_b32 v4, 0 :: v_dual_mov_b32 v7, 0
	;; [unrolled: 1-line block ×3, first 2 shown]
.LBB117_10:
	s_cbranch_execnz .LBB117_13
.LBB117_11:
	v_mov_b32_e32 v1, 0
	s_and_not1_b32 vcc_lo, exec_lo, s76
	s_delay_alu instid0(VALU_DEP_1) | instskip(NEXT) | instid1(VALU_DEP_1)
	v_mul_u64_e32 v[2:3], s[50:51], v[0:1]
	v_add_nc_u32_e32 v2, v0, v3
	s_delay_alu instid0(VALU_DEP_1) | instskip(NEXT) | instid1(VALU_DEP_1)
	v_lshrrev_b32_e32 v2, s46, v2
	v_mul_lo_u32 v3, v2, s44
	s_delay_alu instid0(VALU_DEP_1) | instskip(NEXT) | instid1(VALU_DEP_1)
	v_sub_nc_u32_e32 v3, v0, v3
	v_mul_lo_u32 v8, v3, s21
	v_mul_lo_u32 v14, v3, s20
	v_mul_lo_u32 v4, v3, s23
	v_mul_lo_u32 v7, v3, s22
	v_mul_lo_u32 v5, s25, v3
	v_mul_lo_u32 v6, s24, v3
	s_cbranch_vccnz .LBB117_13
; %bb.12:
	v_mov_b32_e32 v3, v1
	s_delay_alu instid0(VALU_DEP_1) | instskip(NEXT) | instid1(VALU_DEP_1)
	v_mul_u64_e32 v[10:11], s[52:53], v[2:3]
	v_add_nc_u32_e32 v1, v2, v11
	s_delay_alu instid0(VALU_DEP_1) | instskip(NEXT) | instid1(VALU_DEP_1)
	v_lshrrev_b32_e32 v1, s1, v1
	v_mul_lo_u32 v1, v1, s47
	s_delay_alu instid0(VALU_DEP_1) | instskip(NEXT) | instid1(VALU_DEP_1)
	v_sub_nc_u32_e32 v1, v2, v1
	v_mad_u32 v14, v1, s26, v14
	v_mad_u32 v8, v1, s27, v8
	;; [unrolled: 1-line block ×6, first 2 shown]
.LBB117_13:
	global_load_b32 v1, v8, s[6:7]
	s_mov_b32 s49, -1
	s_mov_b32 s0, 0
	s_mov_b32 s54, 0
	;; [unrolled: 1-line block ×4, first 2 shown]
	s_wait_loadcnt 0x0
	v_cmp_eq_u32_e32 vcc_lo, s72, v1
	s_and_b32 s57, s75, vcc_lo
	s_delay_alu instid0(SALU_CYCLE_1)
	s_and_saveexec_b32 s45, s57
	s_cbranch_execz .LBB117_34
; %bb.14:
	global_load_b32 v1, v7, s[8:9]
	s_wait_loadcnt 0x0
	v_cmp_eq_u32_e32 vcc_lo, s14, v1
	s_and_b32 s56, s74, vcc_lo
	s_delay_alu instid0(SALU_CYCLE_1)
	s_and_saveexec_b32 s80, s56
	s_cbranch_execz .LBB117_33
; %bb.15:
	global_load_b32 v4, v4, s[10:11]
	global_load_b32 v2, v6, s[36:37]
	s_wait_loadcnt 0x0
	v_sub_nc_u32_e32 v1, v2, v4
	s_delay_alu instid0(VALU_DEP_1)
	v_cmp_le_i32_e32 vcc_lo, s72, v1
	v_cmp_ge_i32_e64 s0, s12, v1
	s_and_b32 s54, vcc_lo, s0
	s_mov_b32 s0, 0
	s_and_b32 s55, s73, s54
	s_mov_b32 s54, 0
	s_and_saveexec_b32 s81, s55
	s_cbranch_execz .LBB117_32
; %bb.16:
	v_mov_b64_e32 v[6:7], 0
	s_and_not1_b32 vcc_lo, exec_lo, s13
	s_cbranch_vccnz .LBB117_23
; %bb.17:
	global_load_b32 v6, v5, s[38:39]
	s_mov_b32 s55, 0
	s_mov_b64 s[56:57], 0xffffffff
	s_mov_b32 s49, s55
	v_mov_b32_e32 v8, 0
	s_lshl_b64 s[60:61], s[48:49], 3
	s_mov_b32 s49, s16
	s_add_nc_u64 s[58:59], s[18:19], s[60:61]
	s_add_nc_u64 s[60:61], s[28:29], s[60:61]
	s_wait_loadcnt 0x0
	v_ashrrev_i32_e32 v7, 31, v6
	s_delay_alu instid0(VALU_DEP_1)
	v_mul_u64_e32 v[10:11], s[14:15], v[6:7]
	v_mov_b64_e32 v[6:7], 0
	s_branch .LBB117_19
.LBB117_18:                             ;   in Loop: Header=BB117_19 Depth=1
	s_or_b32 exec_lo, exec_lo, s0
	s_delay_alu instid0(VALU_DEP_1)
	v_mul_u64_e32 v[16:17], s[62:63], v[12:13]
	s_load_b64 s[62:63], s[60:61], 0x0
	s_add_co_i32 s49, s49, -1
	s_add_nc_u64 s[58:59], s[58:59], -8
	s_cmp_eq_u32 s49, 0
	s_wait_xcnt 0x0
	s_add_nc_u64 s[60:61], s[60:61], -8
	s_delay_alu instid0(VALU_DEP_1) | instskip(SKIP_1) | instid1(VALU_DEP_1)
	v_sub_nc_u64_e32 v[10:11], v[10:11], v[16:17]
	s_wait_kmcnt 0x0
	v_mad_nc_u64_u32 v[6:7], v10, s62, v[6:7]
	s_delay_alu instid0(VALU_DEP_1) | instskip(NEXT) | instid1(VALU_DEP_1)
	v_mad_u32 v1, v11, s62, v7
	v_mad_u32 v7, v10, s63, v1
	v_mov_b64_e32 v[10:11], v[12:13]
	s_cbranch_scc1 .LBB117_23
.LBB117_19:                             ; =>This Inner Loop Header: Depth=1
	s_load_b64 s[62:63], s[58:59], 0x0
                                        ; implicit-def: $vgpr12_vgpr13
	s_mov_b32 s0, exec_lo
	s_wait_kmcnt 0x0
	s_delay_alu instid0(VALU_DEP_1) | instskip(NEXT) | instid1(VALU_DEP_1)
	v_or_b32_e32 v9, s63, v11
	v_cmpx_ne_u64_e32 0, v[8:9]
	s_xor_b32 s82, exec_lo, s0
	s_cbranch_execz .LBB117_21
; %bb.20:                               ;   in Loop: Header=BB117_19 Depth=1
	s_ashr_i32 s64, s63, 31
	v_dual_mov_b32 v19, v8 :: v_dual_ashrrev_i32 v12, 31, v11
	s_mov_b32 s65, s64
	v_mov_b32_e32 v23, v8
	s_add_nc_u64 s[66:67], s[62:63], s[64:65]
	s_delay_alu instid0(VALU_DEP_2)
	v_mov_b32_e32 v13, v12
	s_xor_b64 s[66:67], s[66:67], s[64:65]
	v_mov_b32_e32 v27, v8
	s_cvt_f32_u32 s0, s66
	s_cvt_f32_u32 s54, s67
	s_sub_nc_u64 s[86:87], 0, s[66:67]
	v_add_nc_u64_e32 v[16:17], v[10:11], v[12:13]
	s_delay_alu instid0(SALU_CYCLE_1) | instskip(NEXT) | instid1(SALU_CYCLE_3)
	s_fmamk_f32 s0, s54, 0x4f800000, s0
	v_s_rcp_f32 s0, s0
	s_delay_alu instid0(VALU_DEP_1) | instskip(NEXT) | instid1(VALU_DEP_2)
	v_xor_b32_e32 v22, v17, v12
	v_xor_b32_e32 v18, v16, v12
	s_delay_alu instid0(TRANS32_DEP_1) | instskip(NEXT) | instid1(SALU_CYCLE_3)
	s_mul_f32 s0, s0, 0x5f7ffffc
	s_mul_f32 s54, s0, 0x2f800000
	s_delay_alu instid0(SALU_CYCLE_3) | instskip(NEXT) | instid1(SALU_CYCLE_3)
	s_trunc_f32 s54, s54
	s_fmamk_f32 s0, s54, 0xcf800000, s0
	s_cvt_u32_f32 s85, s54
	s_delay_alu instid0(SALU_CYCLE_2) | instskip(NEXT) | instid1(SALU_CYCLE_3)
	s_cvt_u32_f32 s84, s0
	s_mul_u64 s[88:89], s[86:87], s[84:85]
	s_delay_alu instid0(SALU_CYCLE_1)
	s_mul_hi_u32 s91, s84, s89
	s_mul_i32 s90, s84, s89
	s_mul_hi_u32 s54, s84, s88
	s_mul_i32 s65, s85, s88
	s_add_nc_u64 s[90:91], s[54:55], s[90:91]
	s_mul_hi_u32 s0, s85, s88
	s_mul_hi_u32 s92, s85, s89
	s_add_co_u32 s54, s90, s65
	s_add_co_ci_u32 s54, s91, s0
	s_mul_i32 s88, s85, s89
	s_add_co_ci_u32 s89, s92, 0
	s_delay_alu instid0(SALU_CYCLE_1) | instskip(NEXT) | instid1(SALU_CYCLE_1)
	s_add_nc_u64 s[88:89], s[54:55], s[88:89]
	s_add_co_u32 s84, s84, s88
	s_cselect_b32 s0, -1, 0
	s_delay_alu instid0(SALU_CYCLE_1) | instskip(SKIP_1) | instid1(SALU_CYCLE_1)
	s_cmp_lg_u32 s0, 0
	s_add_co_ci_u32 s85, s85, s89
	s_mul_u64 s[86:87], s[86:87], s[84:85]
	s_delay_alu instid0(SALU_CYCLE_1)
	s_mul_hi_u32 s89, s84, s87
	s_mul_i32 s88, s84, s87
	s_mul_hi_u32 s54, s84, s86
	s_mul_i32 s65, s85, s86
	s_add_nc_u64 s[88:89], s[54:55], s[88:89]
	s_mul_hi_u32 s0, s85, s86
	s_mul_hi_u32 s90, s85, s87
	s_add_co_u32 s54, s88, s65
	s_add_co_ci_u32 s54, s89, s0
	s_mul_i32 s86, s85, s87
	s_add_co_ci_u32 s87, s90, 0
	s_delay_alu instid0(SALU_CYCLE_1) | instskip(NEXT) | instid1(SALU_CYCLE_1)
	s_add_nc_u64 s[86:87], s[54:55], s[86:87]
	s_add_co_u32 s0, s84, s86
	s_cselect_b32 s54, -1, 0
	v_mul_hi_u32 v26, v18, s0
	s_cmp_lg_u32 s54, 0
	s_add_co_ci_u32 s54, s85, s87
	s_and_b64 s[84:85], s[0:1], s[56:57]
	v_mul_u64_e32 v[20:21], s[54:55], v[18:19]
	v_mul_u64_e32 v[16:17], s[84:85], v[22:23]
	;; [unrolled: 1-line block ×3, first 2 shown]
	s_delay_alu instid0(VALU_DEP_3) | instskip(NEXT) | instid1(VALU_DEP_1)
	v_add_nc_u64_e32 v[20:21], v[26:27], v[20:21]
	v_add_co_u32 v1, vcc_lo, v20, v16
	s_delay_alu instid0(VALU_DEP_2) | instskip(NEXT) | instid1(VALU_DEP_4)
	v_add_co_ci_u32_e32 v26, vcc_lo, v21, v17, vcc_lo
	v_add_co_ci_u32_e32 v25, vcc_lo, 0, v25, vcc_lo
	s_delay_alu instid0(VALU_DEP_1) | instskip(NEXT) | instid1(VALU_DEP_1)
	v_add_nc_u64_e32 v[16:17], v[26:27], v[24:25]
	v_mul_u64_e32 v[20:21], s[66:67], v[16:17]
	s_delay_alu instid0(VALU_DEP_1) | instskip(NEXT) | instid1(VALU_DEP_2)
	v_sub_nc_u32_e32 v1, v22, v21
	v_sub_co_u32 v3, vcc_lo, v18, v20
	s_delay_alu instid0(VALU_DEP_1) | instskip(NEXT) | instid1(VALU_DEP_3)
	v_sub_co_ci_u32_e64 v9, null, v22, v21, vcc_lo
	v_subrev_co_ci_u32_e64 v1, null, s67, v1, vcc_lo
	s_delay_alu instid0(VALU_DEP_3) | instskip(SKIP_1) | instid1(VALU_DEP_3)
	v_sub_co_u32 v5, s0, v3, s66
	v_add_nc_u64_e32 v[18:19], 2, v[16:17]
	v_subrev_co_ci_u32_e64 v1, null, 0, v1, s0
	s_delay_alu instid0(VALU_DEP_3) | instskip(SKIP_2) | instid1(VALU_DEP_4)
	v_cmp_le_u32_e32 vcc_lo, s66, v5
	v_add_nc_u64_e32 v[20:21], 1, v[16:17]
	v_cndmask_b32_e64 v5, 0, -1, vcc_lo
	v_cmp_le_u32_e32 vcc_lo, s67, v1
	v_cndmask_b32_e64 v13, 0, -1, vcc_lo
	v_cmp_le_u32_e32 vcc_lo, s66, v3
	;; [unrolled: 2-line block ×3, first 2 shown]
	v_cndmask_b32_e64 v15, 0, -1, vcc_lo
	v_cmp_eq_u32_e32 vcc_lo, s67, v1
	v_cndmask_b32_e32 v1, v13, v5, vcc_lo
	v_cmp_eq_u32_e32 vcc_lo, s67, v9
	s_delay_alu instid0(VALU_DEP_4) | instskip(NEXT) | instid1(VALU_DEP_3)
	v_cndmask_b32_e32 v3, v15, v3, vcc_lo
	v_cmp_ne_u32_e32 vcc_lo, 0, v1
	s_delay_alu instid0(VALU_DEP_2) | instskip(SKIP_1) | instid1(VALU_DEP_1)
	v_cmp_ne_u32_e64 s0, 0, v3
	v_dual_cndmask_b32 v1, v21, v19, vcc_lo :: v_dual_cndmask_b32 v3, v20, v18, vcc_lo
	v_dual_cndmask_b32 v1, v17, v1, s0 :: v_dual_bitop2_b32 v12, s64, v12 bitop3:0x14
	s_delay_alu instid0(VALU_DEP_1) | instskip(NEXT) | instid1(VALU_DEP_1)
	v_dual_cndmask_b32 v3, v16, v3, s0 :: v_dual_bitop2_b32 v17, v1, v12 bitop3:0x14
	v_dual_mov_b32 v13, v12 :: v_dual_bitop2_b32 v16, v3, v12 bitop3:0x14
	s_delay_alu instid0(VALU_DEP_1)
	v_sub_nc_u64_e32 v[12:13], v[16:17], v[12:13]
.LBB117_21:                             ;   in Loop: Header=BB117_19 Depth=1
	s_and_not1_saveexec_b32 s0, s82
	s_cbranch_execz .LBB117_18
; %bb.22:                               ;   in Loop: Header=BB117_19 Depth=1
	v_cvt_f32_u32_e32 v1, s62
	s_sub_co_i32 s54, 0, s62
	v_mov_b32_e32 v13, v8
	s_delay_alu instid0(VALU_DEP_2) | instskip(SKIP_1) | instid1(TRANS32_DEP_1)
	v_rcp_iflag_f32_e32 v1, v1
	v_nop
	v_mul_f32_e32 v1, 0x4f7ffffe, v1
	s_delay_alu instid0(VALU_DEP_1) | instskip(NEXT) | instid1(VALU_DEP_1)
	v_cvt_u32_f32_e32 v1, v1
	v_mul_lo_u32 v3, s54, v1
	s_delay_alu instid0(VALU_DEP_1) | instskip(NEXT) | instid1(VALU_DEP_1)
	v_mul_hi_u32 v3, v1, v3
	v_add_nc_u32_e32 v1, v1, v3
	s_delay_alu instid0(VALU_DEP_1) | instskip(NEXT) | instid1(VALU_DEP_1)
	v_mul_hi_u32 v1, v10, v1
	v_mul_lo_u32 v3, v1, s62
	s_delay_alu instid0(VALU_DEP_1) | instskip(NEXT) | instid1(VALU_DEP_1)
	v_dual_add_nc_u32 v5, 1, v1 :: v_dual_sub_nc_u32 v3, v10, v3
	v_subrev_nc_u32_e32 v9, s62, v3
	v_cmp_le_u32_e32 vcc_lo, s62, v3
	s_delay_alu instid0(VALU_DEP_2) | instskip(NEXT) | instid1(VALU_DEP_4)
	v_cndmask_b32_e32 v3, v3, v9, vcc_lo
	v_cndmask_b32_e32 v1, v1, v5, vcc_lo
	s_delay_alu instid0(VALU_DEP_2) | instskip(NEXT) | instid1(VALU_DEP_2)
	v_cmp_le_u32_e32 vcc_lo, s62, v3
	v_add_nc_u32_e32 v5, 1, v1
	s_delay_alu instid0(VALU_DEP_1)
	v_cndmask_b32_e32 v12, v1, v5, vcc_lo
	s_branch .LBB117_18
.LBB117_23:
	s_mov_b32 s55, -1
	s_mov_b32 s0, 0
	s_mov_b32 s54, 0
	s_mov_b32 s49, exec_lo
	v_cmpx_gt_i32_e64 v2, v4
	s_cbranch_execz .LBB117_29
; %bb.24:
	s_delay_alu instid0(VALU_DEP_2) | instskip(SKIP_2) | instid1(VALU_DEP_1)
	v_lshlrev_b64_e32 v[6:7], 2, v[6:7]
	v_dual_ashrrev_i32 v5, 31, v4 :: v_dual_ashrrev_i32 v3, 31, v2
	s_xor_b32 s56, s17, -1
                                        ; implicit-def: $sgpr55
                                        ; implicit-def: $sgpr58
                                        ; implicit-def: $sgpr57
	v_lshl_add_u64 v[4:5], v[4:5], 2, v[6:7]
	v_add_nc_u64_e32 v[6:7], s[30:31], v[6:7]
	s_delay_alu instid0(VALU_DEP_2) | instskip(NEXT) | instid1(VALU_DEP_2)
	v_add_nc_u64_e32 v[4:5], s[30:31], v[4:5]
	v_lshl_add_u64 v[2:3], v[2:3], 2, v[6:7]
	s_delay_alu instid0(VALU_DEP_2)
	v_add_nc_u64_e32 v[4:5], 4, v[4:5]
	s_branch .LBB117_26
.LBB117_25:                             ;   in Loop: Header=BB117_26 Depth=1
	s_or_b32 exec_lo, exec_lo, s59
	s_delay_alu instid0(SALU_CYCLE_1) | instskip(NEXT) | instid1(SALU_CYCLE_1)
	s_and_b32 s59, exec_lo, s58
	s_or_b32 s54, s59, s54
	s_and_not1_b32 s55, s55, exec_lo
	s_and_b32 s59, s57, exec_lo
	s_delay_alu instid0(SALU_CYCLE_1)
	s_or_b32 s55, s55, s59
	s_and_not1_b32 exec_lo, exec_lo, s54
	s_cbranch_execz .LBB117_28
.LBB117_26:                             ; =>This Inner Loop Header: Depth=1
	s_or_b32 s57, s57, exec_lo
	s_or_b32 s58, s58, exec_lo
	s_mov_b32 s59, exec_lo
	s_delay_alu instid0(VALU_DEP_1)
	v_cmpx_lt_u64_e64 v[4:5], v[2:3]
	s_cbranch_execz .LBB117_25
; %bb.27:                               ;   in Loop: Header=BB117_26 Depth=1
	global_load_b64 v[6:7], v[4:5], off offset:-4
	s_wait_xcnt 0x0
	v_add_nc_u64_e32 v[4:5], 4, v[4:5]
	s_and_not1_b32 s58, s58, exec_lo
	s_and_not1_b32 s57, s57, exec_lo
	s_wait_loadcnt 0x0
	v_cmp_ge_i32_e32 vcc_lo, v6, v7
	s_or_b32 s60, s56, vcc_lo
	s_delay_alu instid0(SALU_CYCLE_1) | instskip(NEXT) | instid1(SALU_CYCLE_1)
	s_and_b32 s60, s60, exec_lo
	s_or_b32 s58, s58, s60
	s_branch .LBB117_25
.LBB117_28:
	s_or_b32 exec_lo, exec_lo, s54
	s_delay_alu instid0(SALU_CYCLE_1)
	s_mov_b32 s54, exec_lo
	s_or_not1_b32 s55, s55, exec_lo
.LBB117_29:
	s_or_b32 exec_lo, exec_lo, s49
	s_and_saveexec_b32 s49, s55
	s_cbranch_execz .LBB117_31
; %bb.30:
	v_dual_mov_b32 v1, 0 :: v_dual_add_nc_u32 v0, 0x80, v0
	s_mov_b32 s0, exec_lo
	s_and_not1_b32 s54, s54, exec_lo
	global_store_b32 v14, v1, s[4:5]
.LBB117_31:
	s_wait_xcnt 0x0
	s_or_b32 exec_lo, exec_lo, s49
	s_delay_alu instid0(SALU_CYCLE_1)
	s_and_b32 s54, s54, exec_lo
	s_xor_b32 s49, exec_lo, -1
	s_and_b32 s0, s0, exec_lo
.LBB117_32:
	s_or_b32 exec_lo, exec_lo, s81
	s_delay_alu instid0(SALU_CYCLE_1)
	s_and_b32 s55, s54, exec_lo
	s_and_b32 s54, s49, exec_lo
	s_xor_b32 s49, exec_lo, -1
	s_and_b32 s0, s0, exec_lo
.LBB117_33:
	s_or_b32 exec_lo, exec_lo, s80
	s_delay_alu instid0(SALU_CYCLE_1)
	s_and_b32 s56, s55, exec_lo
	s_and_b32 s55, s54, exec_lo
	;; [unrolled: 1-line block ×3, first 2 shown]
	s_xor_b32 s49, exec_lo, -1
	s_and_b32 s0, s0, exec_lo
.LBB117_34:
	s_or_b32 exec_lo, exec_lo, s45
	s_delay_alu instid0(SALU_CYCLE_1)
	s_and_b32 s45, s56, exec_lo
	s_and_b32 s80, s55, exec_lo
	;; [unrolled: 1-line block ×4, first 2 shown]
	s_or_not1_b32 s49, s0, exec_lo
.LBB117_35:
	s_or_b32 exec_lo, exec_lo, s83
                                        ; implicit-def: $vgpr12
                                        ; implicit-def: $vgpr4
                                        ; implicit-def: $vgpr7
                                        ; implicit-def: $vgpr6
                                        ; implicit-def: $vgpr5
	s_and_saveexec_b32 s83, s49
	s_cbranch_execz .LBB117_124
; %bb.36:
	s_mov_b32 s49, -1
	s_mov_b32 s84, s82
	s_mov_b32 s87, s81
	s_mov_b32 s86, s80
	s_mov_b32 s85, s45
	s_mov_b32 s88, exec_lo
	v_cmpx_gt_i32_e64 s78, v0
	s_cbranch_execz .LBB117_70
; %bb.37:
	s_and_not1_b32 vcc_lo, exec_lo, s70
	s_cbranch_vccnz .LBB117_43
; %bb.38:
	s_and_not1_b32 vcc_lo, exec_lo, s79
	s_cbranch_vccnz .LBB117_44
; %bb.39:
	v_dual_mov_b32 v6, 0 :: v_dual_mov_b32 v1, v0
	v_dual_mov_b32 v5, 0 :: v_dual_mov_b32 v7, 0
	;; [unrolled: 1-line block ×3, first 2 shown]
	v_mov_b32_e32 v8, 0
	s_add_co_i32 s0, s77, 1
	s_mov_b64 s[54:55], 0xffffffffffffffd0
	s_and_b32 s0, s0, 30
	s_add_nc_u64 s[54:55], s[2:3], s[54:55]
	s_mov_b64 s[56:57], s[2:3]
.LBB117_40:                             ; =>This Inner Loop Header: Depth=1
	s_clause 0x1
	s_load_b128 s[84:87], s[56:57], 0x4
	s_load_b64 s[58:59], s[56:57], 0x14
	s_clause 0x1
	s_load_b256 s[60:67], s[54:55], 0xf4
	s_load_b128 s[92:95], s[54:55], 0x114
	s_add_co_i32 s0, s0, -2
	s_wait_xcnt 0x0
	s_add_nc_u64 s[56:57], s[56:57], 24
	s_cmp_eq_u32 s0, 0
	s_add_nc_u64 s[54:55], s[54:55], 48
	s_wait_kmcnt 0x0
	v_mul_hi_u32 v2, s85, v1
	s_delay_alu instid0(VALU_DEP_1) | instskip(NEXT) | instid1(VALU_DEP_1)
	v_add_nc_u32_e32 v2, v1, v2
	v_lshrrev_b32_e32 v2, s86, v2
	s_delay_alu instid0(VALU_DEP_1) | instskip(SKIP_1) | instid1(VALU_DEP_1)
	v_mul_hi_u32 v3, s58, v2
	v_mul_lo_u32 v9, v2, s84
	v_dual_add_nc_u32 v3, v2, v3 :: v_dual_sub_nc_u32 v9, v1, v9
	s_delay_alu instid0(VALU_DEP_1) | instskip(NEXT) | instid1(VALU_DEP_2)
	v_lshrrev_b32_e32 v1, s59, v3
	v_mad_u32 v3, v9, s61, v8
	v_mad_u32 v10, v9, s60, v14
	;; [unrolled: 1-line block ×4, first 2 shown]
	v_mul_lo_u32 v8, v1, s87
	v_mad_u32 v5, s65, v9, v5
	v_mad_u32 v6, s64, v9, v6
	s_delay_alu instid0(VALU_DEP_3) | instskip(NEXT) | instid1(VALU_DEP_1)
	v_sub_nc_u32_e32 v2, v2, v8
	v_mad_u32 v8, v2, s67, v3
	v_mad_u32 v14, v2, s66, v10
	;; [unrolled: 1-line block ×6, first 2 shown]
	s_cbranch_scc0 .LBB117_40
; %bb.41:
	s_bitcmp1_b32 s77, 0
	s_cselect_b32 s0, -1, 0
	s_delay_alu instid0(SALU_CYCLE_1)
	s_and_b32 vcc_lo, exec_lo, s0
	s_cbranch_vccnz .LBB117_45
; %bb.42:
	s_load_b96 s[60:62], s[56:57], 0x4
	s_wait_kmcnt 0x0
	v_mul_hi_u32 v2, s61, v1
	s_delay_alu instid0(VALU_DEP_1) | instskip(NEXT) | instid1(VALU_DEP_1)
	v_add_nc_u32_e32 v2, v1, v2
	v_lshrrev_b32_e32 v2, s62, v2
	s_clause 0x1
	s_load_b128 s[56:59], s[54:55], 0xf4
	s_load_b64 s[62:63], s[54:55], 0x104
	s_delay_alu instid0(VALU_DEP_1) | instskip(NEXT) | instid1(VALU_DEP_1)
	v_mul_lo_u32 v2, v2, s60
	v_sub_nc_u32_e32 v1, v1, v2
	s_wait_kmcnt 0x0
	s_delay_alu instid0(VALU_DEP_1)
	v_mad_u32 v14, v1, s56, v14
	v_mad_u32 v8, v1, s57, v8
	;; [unrolled: 1-line block ×6, first 2 shown]
	s_branch .LBB117_45
.LBB117_43:
                                        ; implicit-def: $vgpr8
                                        ; implicit-def: $vgpr14
                                        ; implicit-def: $vgpr4
                                        ; implicit-def: $vgpr7
                                        ; implicit-def: $vgpr5
                                        ; implicit-def: $vgpr6
	s_branch .LBB117_46
.LBB117_44:
	v_dual_mov_b32 v8, 0 :: v_dual_mov_b32 v14, 0
	v_dual_mov_b32 v4, 0 :: v_dual_mov_b32 v7, 0
	;; [unrolled: 1-line block ×3, first 2 shown]
.LBB117_45:
	s_cbranch_execnz .LBB117_48
.LBB117_46:
	v_mov_b32_e32 v1, 0
	s_and_not1_b32 vcc_lo, exec_lo, s76
	s_delay_alu instid0(VALU_DEP_1) | instskip(NEXT) | instid1(VALU_DEP_1)
	v_mul_u64_e32 v[2:3], s[50:51], v[0:1]
	v_add_nc_u32_e32 v2, v0, v3
	s_delay_alu instid0(VALU_DEP_1) | instskip(NEXT) | instid1(VALU_DEP_1)
	v_lshrrev_b32_e32 v2, s46, v2
	v_mul_lo_u32 v3, v2, s44
	s_delay_alu instid0(VALU_DEP_1) | instskip(NEXT) | instid1(VALU_DEP_1)
	v_sub_nc_u32_e32 v3, v0, v3
	v_mul_lo_u32 v8, v3, s21
	v_mul_lo_u32 v14, v3, s20
	;; [unrolled: 1-line block ×6, first 2 shown]
	s_cbranch_vccnz .LBB117_48
; %bb.47:
	v_mov_b32_e32 v3, v1
	s_delay_alu instid0(VALU_DEP_1) | instskip(NEXT) | instid1(VALU_DEP_1)
	v_mul_u64_e32 v[10:11], s[52:53], v[2:3]
	v_add_nc_u32_e32 v1, v2, v11
	s_delay_alu instid0(VALU_DEP_1) | instskip(NEXT) | instid1(VALU_DEP_1)
	v_lshrrev_b32_e32 v1, s1, v1
	v_mul_lo_u32 v1, v1, s47
	s_delay_alu instid0(VALU_DEP_1) | instskip(NEXT) | instid1(VALU_DEP_1)
	v_sub_nc_u32_e32 v1, v2, v1
	v_mad_u32 v14, v1, s26, v14
	v_mad_u32 v8, v1, s27, v8
	;; [unrolled: 1-line block ×6, first 2 shown]
.LBB117_48:
	global_load_b32 v1, v8, s[6:7]
	s_mov_b32 s0, 0
	s_mov_b32 s49, -1
	s_mov_b32 s54, s81
	s_mov_b32 s56, s80
	;; [unrolled: 1-line block ×3, first 2 shown]
	s_wait_loadcnt 0x0
	v_cmp_eq_u32_e32 vcc_lo, s72, v1
	s_and_b32 s57, s75, vcc_lo
	s_wait_xcnt 0x0
	s_and_saveexec_b32 s84, s57
	s_cbranch_execz .LBB117_69
; %bb.49:
	global_load_b32 v1, v7, s[8:9]
	s_mov_b32 s56, s80
	s_mov_b32 s55, s45
	s_wait_loadcnt 0x0
	v_cmp_eq_u32_e32 vcc_lo, s14, v1
	s_and_b32 s54, s74, vcc_lo
	s_wait_xcnt 0x0
	s_and_saveexec_b32 s85, s54
	s_cbranch_execz .LBB117_68
; %bb.50:
	global_load_b32 v4, v4, s[10:11]
	global_load_b32 v2, v6, s[36:37]
	s_mov_b32 s54, 0
	s_wait_loadcnt 0x0
	v_sub_nc_u32_e32 v1, v2, v4
	s_delay_alu instid0(VALU_DEP_1)
	v_cmp_le_i32_e32 vcc_lo, s72, v1
	v_cmp_ge_i32_e64 s0, s12, v1
	s_and_b32 s49, vcc_lo, s0
	s_mov_b32 s0, -1
	s_and_b32 s55, s73, s49
	s_mov_b32 s49, s45
	s_wait_xcnt 0x0
	s_and_saveexec_b32 s86, s55
	s_cbranch_execz .LBB117_67
; %bb.51:
	v_mov_b64_e32 v[6:7], 0
	s_and_not1_b32 vcc_lo, exec_lo, s13
	s_cbranch_vccnz .LBB117_58
; %bb.52:
	global_load_b32 v6, v5, s[38:39]
	s_mov_b32 s55, 0
	s_mov_b64 s[56:57], 0xffffffff
	s_mov_b32 s49, s55
	v_mov_b32_e32 v8, 0
	s_lshl_b64 s[60:61], s[48:49], 3
	s_mov_b32 s49, s16
	s_add_nc_u64 s[58:59], s[18:19], s[60:61]
	s_add_nc_u64 s[60:61], s[28:29], s[60:61]
	s_wait_loadcnt 0x0
	v_ashrrev_i32_e32 v7, 31, v6
	s_delay_alu instid0(VALU_DEP_1)
	v_mul_u64_e32 v[10:11], s[14:15], v[6:7]
	v_mov_b64_e32 v[6:7], 0
	s_branch .LBB117_54
.LBB117_53:                             ;   in Loop: Header=BB117_54 Depth=1
	s_or_b32 exec_lo, exec_lo, s0
	s_delay_alu instid0(VALU_DEP_1)
	v_mul_u64_e32 v[16:17], s[62:63], v[12:13]
	s_load_b64 s[62:63], s[60:61], 0x0
	s_add_co_i32 s49, s49, -1
	s_add_nc_u64 s[58:59], s[58:59], -8
	s_cmp_lg_u32 s49, 0
	s_wait_xcnt 0x0
	s_add_nc_u64 s[60:61], s[60:61], -8
	s_delay_alu instid0(VALU_DEP_1) | instskip(SKIP_1) | instid1(VALU_DEP_1)
	v_sub_nc_u64_e32 v[10:11], v[10:11], v[16:17]
	s_wait_kmcnt 0x0
	v_mad_nc_u64_u32 v[6:7], v10, s62, v[6:7]
	s_delay_alu instid0(VALU_DEP_1) | instskip(NEXT) | instid1(VALU_DEP_1)
	v_mad_u32 v1, v11, s62, v7
	v_mad_u32 v7, v10, s63, v1
	v_mov_b64_e32 v[10:11], v[12:13]
	s_cbranch_scc0 .LBB117_58
.LBB117_54:                             ; =>This Inner Loop Header: Depth=1
	s_load_b64 s[62:63], s[58:59], 0x0
                                        ; implicit-def: $vgpr12_vgpr13
	s_mov_b32 s0, exec_lo
	s_wait_kmcnt 0x0
	s_delay_alu instid0(VALU_DEP_1) | instskip(NEXT) | instid1(VALU_DEP_1)
	v_or_b32_e32 v9, s63, v11
	v_cmpx_ne_u64_e32 0, v[8:9]
	s_xor_b32 s87, exec_lo, s0
	s_cbranch_execz .LBB117_56
; %bb.55:                               ;   in Loop: Header=BB117_54 Depth=1
	s_ashr_i32 s64, s63, 31
	v_dual_mov_b32 v19, v8 :: v_dual_ashrrev_i32 v12, 31, v11
	s_mov_b32 s65, s64
	v_mov_b32_e32 v23, v8
	s_add_nc_u64 s[66:67], s[62:63], s[64:65]
	s_delay_alu instid0(VALU_DEP_2)
	v_mov_b32_e32 v13, v12
	s_xor_b64 s[66:67], s[66:67], s[64:65]
	v_mov_b32_e32 v27, v8
	s_cvt_f32_u32 s0, s66
	s_cvt_f32_u32 s54, s67
	s_sub_nc_u64 s[92:93], 0, s[66:67]
	v_add_nc_u64_e32 v[16:17], v[10:11], v[12:13]
	s_delay_alu instid0(SALU_CYCLE_1) | instskip(NEXT) | instid1(SALU_CYCLE_3)
	s_fmamk_f32 s0, s54, 0x4f800000, s0
	v_s_rcp_f32 s0, s0
	s_delay_alu instid0(VALU_DEP_1) | instskip(NEXT) | instid1(VALU_DEP_2)
	v_xor_b32_e32 v22, v17, v12
	v_xor_b32_e32 v18, v16, v12
	s_delay_alu instid0(TRANS32_DEP_1) | instskip(NEXT) | instid1(SALU_CYCLE_3)
	s_mul_f32 s0, s0, 0x5f7ffffc
	s_mul_f32 s54, s0, 0x2f800000
	s_delay_alu instid0(SALU_CYCLE_3) | instskip(NEXT) | instid1(SALU_CYCLE_3)
	s_trunc_f32 s54, s54
	s_fmamk_f32 s0, s54, 0xcf800000, s0
	s_cvt_u32_f32 s91, s54
	s_delay_alu instid0(SALU_CYCLE_2) | instskip(NEXT) | instid1(SALU_CYCLE_3)
	s_cvt_u32_f32 s90, s0
	s_mul_u64 s[94:95], s[92:93], s[90:91]
	s_delay_alu instid0(SALU_CYCLE_1)
	s_mul_hi_u32 s97, s90, s95
	s_mul_i32 s96, s90, s95
	s_mul_hi_u32 s54, s90, s94
	s_mul_i32 s65, s91, s94
	s_add_nc_u64 s[96:97], s[54:55], s[96:97]
	s_mul_hi_u32 s0, s91, s94
	s_mul_hi_u32 s89, s91, s95
	s_add_co_u32 s54, s96, s65
	s_add_co_ci_u32 s54, s97, s0
	s_mul_i32 s94, s91, s95
	s_add_co_ci_u32 s95, s89, 0
	s_delay_alu instid0(SALU_CYCLE_1) | instskip(NEXT) | instid1(SALU_CYCLE_1)
	s_add_nc_u64 s[94:95], s[54:55], s[94:95]
	s_add_co_u32 s90, s90, s94
	s_cselect_b32 s0, -1, 0
	s_delay_alu instid0(SALU_CYCLE_1) | instskip(SKIP_1) | instid1(SALU_CYCLE_1)
	s_cmp_lg_u32 s0, 0
	s_add_co_ci_u32 s91, s91, s95
	s_mul_u64 s[92:93], s[92:93], s[90:91]
	s_delay_alu instid0(SALU_CYCLE_1)
	s_mul_hi_u32 s95, s90, s93
	s_mul_i32 s94, s90, s93
	s_mul_hi_u32 s54, s90, s92
	s_mul_i32 s65, s91, s92
	s_add_nc_u64 s[94:95], s[54:55], s[94:95]
	s_mul_hi_u32 s0, s91, s92
	s_mul_hi_u32 s89, s91, s93
	s_add_co_u32 s54, s94, s65
	s_add_co_ci_u32 s54, s95, s0
	s_mul_i32 s92, s91, s93
	s_add_co_ci_u32 s93, s89, 0
	s_delay_alu instid0(SALU_CYCLE_1) | instskip(NEXT) | instid1(SALU_CYCLE_1)
	s_add_nc_u64 s[92:93], s[54:55], s[92:93]
	s_add_co_u32 s0, s90, s92
	s_cselect_b32 s54, -1, 0
	v_mul_hi_u32 v26, v18, s0
	s_cmp_lg_u32 s54, 0
	s_add_co_ci_u32 s54, s91, s93
	s_and_b64 s[90:91], s[0:1], s[56:57]
	v_mul_u64_e32 v[20:21], s[54:55], v[18:19]
	v_mul_u64_e32 v[16:17], s[90:91], v[22:23]
	;; [unrolled: 1-line block ×3, first 2 shown]
	s_delay_alu instid0(VALU_DEP_3) | instskip(NEXT) | instid1(VALU_DEP_1)
	v_add_nc_u64_e32 v[20:21], v[26:27], v[20:21]
	v_add_co_u32 v1, vcc_lo, v20, v16
	s_delay_alu instid0(VALU_DEP_2) | instskip(NEXT) | instid1(VALU_DEP_4)
	v_add_co_ci_u32_e32 v26, vcc_lo, v21, v17, vcc_lo
	v_add_co_ci_u32_e32 v25, vcc_lo, 0, v25, vcc_lo
	s_delay_alu instid0(VALU_DEP_1) | instskip(NEXT) | instid1(VALU_DEP_1)
	v_add_nc_u64_e32 v[16:17], v[26:27], v[24:25]
	v_mul_u64_e32 v[20:21], s[66:67], v[16:17]
	s_delay_alu instid0(VALU_DEP_1) | instskip(NEXT) | instid1(VALU_DEP_2)
	v_sub_nc_u32_e32 v1, v22, v21
	v_sub_co_u32 v3, vcc_lo, v18, v20
	s_delay_alu instid0(VALU_DEP_1) | instskip(NEXT) | instid1(VALU_DEP_3)
	v_sub_co_ci_u32_e64 v9, null, v22, v21, vcc_lo
	v_subrev_co_ci_u32_e64 v1, null, s67, v1, vcc_lo
	s_delay_alu instid0(VALU_DEP_3) | instskip(SKIP_1) | instid1(VALU_DEP_3)
	v_sub_co_u32 v5, s0, v3, s66
	v_add_nc_u64_e32 v[18:19], 2, v[16:17]
	v_subrev_co_ci_u32_e64 v1, null, 0, v1, s0
	s_delay_alu instid0(VALU_DEP_3) | instskip(SKIP_2) | instid1(VALU_DEP_4)
	v_cmp_le_u32_e32 vcc_lo, s66, v5
	v_add_nc_u64_e32 v[20:21], 1, v[16:17]
	v_cndmask_b32_e64 v5, 0, -1, vcc_lo
	v_cmp_le_u32_e32 vcc_lo, s67, v1
	v_cndmask_b32_e64 v13, 0, -1, vcc_lo
	v_cmp_le_u32_e32 vcc_lo, s66, v3
	;; [unrolled: 2-line block ×3, first 2 shown]
	v_cndmask_b32_e64 v15, 0, -1, vcc_lo
	v_cmp_eq_u32_e32 vcc_lo, s67, v1
	v_cndmask_b32_e32 v1, v13, v5, vcc_lo
	v_cmp_eq_u32_e32 vcc_lo, s67, v9
	s_delay_alu instid0(VALU_DEP_4) | instskip(NEXT) | instid1(VALU_DEP_3)
	v_cndmask_b32_e32 v3, v15, v3, vcc_lo
	v_cmp_ne_u32_e32 vcc_lo, 0, v1
	s_delay_alu instid0(VALU_DEP_2) | instskip(SKIP_1) | instid1(VALU_DEP_1)
	v_cmp_ne_u32_e64 s0, 0, v3
	v_dual_cndmask_b32 v1, v21, v19, vcc_lo :: v_dual_cndmask_b32 v3, v20, v18, vcc_lo
	v_dual_cndmask_b32 v1, v17, v1, s0 :: v_dual_bitop2_b32 v12, s64, v12 bitop3:0x14
	s_delay_alu instid0(VALU_DEP_1) | instskip(NEXT) | instid1(VALU_DEP_1)
	v_dual_cndmask_b32 v3, v16, v3, s0 :: v_dual_bitop2_b32 v17, v1, v12 bitop3:0x14
	v_dual_mov_b32 v13, v12 :: v_dual_bitop2_b32 v16, v3, v12 bitop3:0x14
	s_delay_alu instid0(VALU_DEP_1)
	v_sub_nc_u64_e32 v[12:13], v[16:17], v[12:13]
.LBB117_56:                             ;   in Loop: Header=BB117_54 Depth=1
	s_and_not1_saveexec_b32 s0, s87
	s_cbranch_execz .LBB117_53
; %bb.57:                               ;   in Loop: Header=BB117_54 Depth=1
	v_cvt_f32_u32_e32 v1, s62
	s_sub_co_i32 s54, 0, s62
	v_mov_b32_e32 v13, v8
	s_delay_alu instid0(VALU_DEP_2) | instskip(SKIP_1) | instid1(TRANS32_DEP_1)
	v_rcp_iflag_f32_e32 v1, v1
	v_nop
	v_mul_f32_e32 v1, 0x4f7ffffe, v1
	s_delay_alu instid0(VALU_DEP_1) | instskip(NEXT) | instid1(VALU_DEP_1)
	v_cvt_u32_f32_e32 v1, v1
	v_mul_lo_u32 v3, s54, v1
	s_delay_alu instid0(VALU_DEP_1) | instskip(NEXT) | instid1(VALU_DEP_1)
	v_mul_hi_u32 v3, v1, v3
	v_add_nc_u32_e32 v1, v1, v3
	s_delay_alu instid0(VALU_DEP_1) | instskip(NEXT) | instid1(VALU_DEP_1)
	v_mul_hi_u32 v1, v10, v1
	v_mul_lo_u32 v3, v1, s62
	s_delay_alu instid0(VALU_DEP_1) | instskip(NEXT) | instid1(VALU_DEP_1)
	v_dual_add_nc_u32 v5, 1, v1 :: v_dual_sub_nc_u32 v3, v10, v3
	v_subrev_nc_u32_e32 v9, s62, v3
	v_cmp_le_u32_e32 vcc_lo, s62, v3
	s_delay_alu instid0(VALU_DEP_2) | instskip(NEXT) | instid1(VALU_DEP_4)
	v_cndmask_b32_e32 v3, v3, v9, vcc_lo
	v_cndmask_b32_e32 v1, v1, v5, vcc_lo
	s_delay_alu instid0(VALU_DEP_2) | instskip(NEXT) | instid1(VALU_DEP_2)
	v_cmp_le_u32_e32 vcc_lo, s62, v3
	v_add_nc_u32_e32 v5, 1, v1
	s_delay_alu instid0(VALU_DEP_1)
	v_cndmask_b32_e32 v12, v1, v5, vcc_lo
	s_branch .LBB117_53
.LBB117_58:
	s_mov_b32 s55, -1
	s_mov_b32 s49, s45
	s_mov_b32 s0, exec_lo
	v_cmpx_gt_i32_e64 v2, v4
	s_cbranch_execz .LBB117_64
; %bb.59:
	s_delay_alu instid0(VALU_DEP_2) | instskip(SKIP_3) | instid1(VALU_DEP_1)
	v_lshlrev_b64_e32 v[6:7], 2, v[6:7]
	v_dual_ashrrev_i32 v5, 31, v4 :: v_dual_ashrrev_i32 v3, 31, v2
	s_mov_b32 s49, 0
	s_xor_b32 s55, s17, -1
                                        ; implicit-def: $sgpr54
                                        ; implicit-def: $sgpr57
                                        ; implicit-def: $sgpr56
	v_lshl_add_u64 v[4:5], v[4:5], 2, v[6:7]
	v_add_nc_u64_e32 v[6:7], s[30:31], v[6:7]
	s_delay_alu instid0(VALU_DEP_2) | instskip(NEXT) | instid1(VALU_DEP_2)
	v_add_nc_u64_e32 v[4:5], s[30:31], v[4:5]
	v_lshl_add_u64 v[2:3], v[2:3], 2, v[6:7]
	s_delay_alu instid0(VALU_DEP_2)
	v_add_nc_u64_e32 v[4:5], 4, v[4:5]
	s_branch .LBB117_61
.LBB117_60:                             ;   in Loop: Header=BB117_61 Depth=1
	s_or_b32 exec_lo, exec_lo, s58
	s_delay_alu instid0(SALU_CYCLE_1) | instskip(NEXT) | instid1(SALU_CYCLE_1)
	s_and_b32 s58, exec_lo, s57
	s_or_b32 s49, s58, s49
	s_and_not1_b32 s54, s54, exec_lo
	s_and_b32 s58, s56, exec_lo
	s_delay_alu instid0(SALU_CYCLE_1)
	s_or_b32 s54, s54, s58
	s_and_not1_b32 exec_lo, exec_lo, s49
	s_cbranch_execz .LBB117_63
.LBB117_61:                             ; =>This Inner Loop Header: Depth=1
	s_or_b32 s56, s56, exec_lo
	s_or_b32 s57, s57, exec_lo
	s_mov_b32 s58, exec_lo
	s_delay_alu instid0(VALU_DEP_1)
	v_cmpx_lt_u64_e64 v[4:5], v[2:3]
	s_cbranch_execz .LBB117_60
; %bb.62:                               ;   in Loop: Header=BB117_61 Depth=1
	global_load_b64 v[6:7], v[4:5], off offset:-4
	s_wait_xcnt 0x0
	v_add_nc_u64_e32 v[4:5], 4, v[4:5]
	s_and_not1_b32 s57, s57, exec_lo
	s_and_not1_b32 s56, s56, exec_lo
	s_wait_loadcnt 0x0
	v_cmp_ge_i32_e32 vcc_lo, v6, v7
	s_or_b32 s59, s55, vcc_lo
	s_delay_alu instid0(SALU_CYCLE_1) | instskip(NEXT) | instid1(SALU_CYCLE_1)
	s_and_b32 s59, s59, exec_lo
	s_or_b32 s57, s57, s59
	s_branch .LBB117_60
.LBB117_63:
	s_or_b32 exec_lo, exec_lo, s49
	s_delay_alu instid0(SALU_CYCLE_1)
	s_or_b32 s49, s45, exec_lo
	s_or_not1_b32 s55, s54, exec_lo
.LBB117_64:
	s_or_b32 exec_lo, exec_lo, s0
	s_mov_b32 s54, 0
	s_and_saveexec_b32 s0, s55
	s_cbranch_execz .LBB117_66
; %bb.65:
	v_dual_mov_b32 v1, 0 :: v_dual_add_nc_u32 v0, 0x80, v0
	s_mov_b32 s54, exec_lo
	s_and_not1_b32 s49, s49, exec_lo
	global_store_b32 v14, v1, s[4:5]
.LBB117_66:
	s_wait_xcnt 0x0
	s_or_b32 exec_lo, exec_lo, s0
	s_delay_alu instid0(SALU_CYCLE_1)
	s_and_not1_b32 s0, s45, exec_lo
	s_and_b32 s49, s49, exec_lo
	s_and_b32 s54, s54, exec_lo
	s_or_b32 s49, s0, s49
	s_xor_b32 s0, exec_lo, -1
.LBB117_67:
	s_or_b32 exec_lo, exec_lo, s86
	s_delay_alu instid0(SALU_CYCLE_1)
	s_and_not1_b32 s55, s45, exec_lo
	s_and_b32 s49, s49, exec_lo
	s_and_not1_b32 s56, s80, exec_lo
	s_and_b32 s0, s0, exec_lo
	s_or_b32 s55, s55, s49
	s_or_b32 s56, s56, s0
	s_xor_b32 s49, exec_lo, -1
	s_and_b32 s0, s54, exec_lo
.LBB117_68:
	s_or_b32 exec_lo, exec_lo, s85
	s_delay_alu instid0(SALU_CYCLE_1)
	s_and_not1_b32 s54, s45, exec_lo
	s_and_b32 s55, s55, exec_lo
	s_and_b32 s56, s56, exec_lo
	s_or_b32 s55, s54, s55
	s_and_not1_b32 s54, s80, exec_lo
	s_and_not1_b32 s57, s81, exec_lo
	s_and_b32 s49, s49, exec_lo
	s_or_b32 s56, s54, s56
	s_or_b32 s54, s57, s49
	s_xor_b32 s49, exec_lo, -1
	s_and_b32 s0, s0, exec_lo
.LBB117_69:
	s_or_b32 exec_lo, exec_lo, s84
	s_delay_alu instid0(SALU_CYCLE_1)
	s_and_not1_b32 s57, s45, exec_lo
	s_and_b32 s55, s55, exec_lo
	s_and_not1_b32 s58, s80, exec_lo
	s_and_b32 s56, s56, exec_lo
	s_or_b32 s85, s57, s55
	s_or_b32 s86, s58, s56
	s_and_not1_b32 s55, s81, exec_lo
	s_and_b32 s54, s54, exec_lo
	s_and_not1_b32 s56, s82, exec_lo
	s_and_b32 s49, s49, exec_lo
	s_or_b32 s87, s55, s54
	s_or_b32 s84, s56, s49
	s_or_not1_b32 s49, s0, exec_lo
.LBB117_70:
	s_or_b32 exec_lo, exec_lo, s88
	s_mov_b32 s0, 0
                                        ; implicit-def: $vgpr12
                                        ; implicit-def: $vgpr4
                                        ; implicit-def: $vgpr7
                                        ; implicit-def: $vgpr6
                                        ; implicit-def: $vgpr5
	s_and_saveexec_b32 s88, s49
	s_cbranch_execz .LBB117_123
; %bb.71:
	s_mov_b32 s55, -1
	s_mov_b32 s0, s84
	s_mov_b32 s58, s87
	;; [unrolled: 1-line block ×4, first 2 shown]
	s_mov_b32 s89, exec_lo
	v_cmpx_gt_i32_e64 s78, v0
	s_cbranch_execz .LBB117_106
; %bb.72:
	s_and_not1_b32 vcc_lo, exec_lo, s70
	s_cbranch_vccnz .LBB117_78
; %bb.73:
	s_and_not1_b32 vcc_lo, exec_lo, s79
	s_cbranch_vccnz .LBB117_79
; %bb.74:
	v_dual_mov_b32 v6, 0 :: v_dual_mov_b32 v1, v0
	v_dual_mov_b32 v5, 0 :: v_dual_mov_b32 v7, 0
	;; [unrolled: 1-line block ×3, first 2 shown]
	v_mov_b32_e32 v8, 0
	s_add_co_i32 s0, s77, 1
	s_mov_b64 s[54:55], 0xffffffffffffffd0
	s_and_b32 s0, s0, 30
	s_add_nc_u64 s[54:55], s[2:3], s[54:55]
	s_mov_b64 s[56:57], s[2:3]
.LBB117_75:                             ; =>This Inner Loop Header: Depth=1
	s_clause 0x1
	s_load_b128 s[92:95], s[56:57], 0x4
	s_load_b64 s[58:59], s[56:57], 0x14
	s_clause 0x1
	s_load_b256 s[60:67], s[54:55], 0xf4
	s_load_b128 s[96:99], s[54:55], 0x114
	s_add_co_i32 s0, s0, -2
	s_wait_xcnt 0x0
	s_add_nc_u64 s[56:57], s[56:57], 24
	s_cmp_eq_u32 s0, 0
	s_add_nc_u64 s[54:55], s[54:55], 48
	s_wait_kmcnt 0x0
	v_mul_hi_u32 v2, s93, v1
	s_delay_alu instid0(VALU_DEP_1) | instskip(NEXT) | instid1(VALU_DEP_1)
	v_add_nc_u32_e32 v2, v1, v2
	v_lshrrev_b32_e32 v2, s94, v2
	s_delay_alu instid0(VALU_DEP_1) | instskip(SKIP_1) | instid1(VALU_DEP_1)
	v_mul_hi_u32 v3, s58, v2
	v_mul_lo_u32 v9, v2, s92
	v_dual_add_nc_u32 v3, v2, v3 :: v_dual_sub_nc_u32 v9, v1, v9
	s_delay_alu instid0(VALU_DEP_1) | instskip(NEXT) | instid1(VALU_DEP_2)
	v_lshrrev_b32_e32 v1, s59, v3
	v_mad_u32 v3, v9, s61, v8
	v_mad_u32 v10, v9, s60, v14
	;; [unrolled: 1-line block ×4, first 2 shown]
	v_mul_lo_u32 v8, v1, s95
	v_mad_u32 v5, s65, v9, v5
	v_mad_u32 v6, s64, v9, v6
	s_delay_alu instid0(VALU_DEP_3) | instskip(NEXT) | instid1(VALU_DEP_1)
	v_sub_nc_u32_e32 v2, v2, v8
	v_mad_u32 v8, v2, s67, v3
	v_mad_u32 v14, v2, s66, v10
	;; [unrolled: 1-line block ×6, first 2 shown]
	s_cbranch_scc0 .LBB117_75
; %bb.76:
	s_bitcmp1_b32 s77, 0
	s_cselect_b32 s0, -1, 0
	s_delay_alu instid0(SALU_CYCLE_1)
	s_and_b32 vcc_lo, exec_lo, s0
	s_cbranch_vccnz .LBB117_80
; %bb.77:
	s_load_b96 s[60:62], s[56:57], 0x4
	s_wait_kmcnt 0x0
	v_mul_hi_u32 v2, s61, v1
	s_delay_alu instid0(VALU_DEP_1) | instskip(NEXT) | instid1(VALU_DEP_1)
	v_add_nc_u32_e32 v2, v1, v2
	v_lshrrev_b32_e32 v2, s62, v2
	s_clause 0x1
	s_load_b128 s[56:59], s[54:55], 0xf4
	s_load_b64 s[62:63], s[54:55], 0x104
	s_delay_alu instid0(VALU_DEP_1) | instskip(NEXT) | instid1(VALU_DEP_1)
	v_mul_lo_u32 v2, v2, s60
	v_sub_nc_u32_e32 v1, v1, v2
	s_wait_kmcnt 0x0
	s_delay_alu instid0(VALU_DEP_1)
	v_mad_u32 v14, v1, s56, v14
	v_mad_u32 v8, v1, s57, v8
	;; [unrolled: 1-line block ×6, first 2 shown]
	s_branch .LBB117_80
.LBB117_78:
	s_mov_b32 s0, -1
                                        ; implicit-def: $vgpr8
                                        ; implicit-def: $vgpr14
                                        ; implicit-def: $vgpr4
                                        ; implicit-def: $vgpr7
                                        ; implicit-def: $vgpr5
                                        ; implicit-def: $vgpr6
	s_branch .LBB117_81
.LBB117_79:
	v_dual_mov_b32 v8, 0 :: v_dual_mov_b32 v14, 0
	v_dual_mov_b32 v4, 0 :: v_dual_mov_b32 v7, 0
	;; [unrolled: 1-line block ×3, first 2 shown]
.LBB117_80:
	s_mov_b32 s0, 0
.LBB117_81:
	s_delay_alu instid0(SALU_CYCLE_1)
	s_and_not1_b32 vcc_lo, exec_lo, s0
	s_cbranch_vccnz .LBB117_84
; %bb.82:
	v_mov_b32_e32 v1, 0
	s_and_not1_b32 vcc_lo, exec_lo, s76
	s_delay_alu instid0(VALU_DEP_1) | instskip(NEXT) | instid1(VALU_DEP_1)
	v_mul_u64_e32 v[2:3], s[50:51], v[0:1]
	v_add_nc_u32_e32 v2, v0, v3
	s_delay_alu instid0(VALU_DEP_1) | instskip(NEXT) | instid1(VALU_DEP_1)
	v_lshrrev_b32_e32 v2, s46, v2
	v_mul_lo_u32 v3, v2, s44
	s_delay_alu instid0(VALU_DEP_1) | instskip(NEXT) | instid1(VALU_DEP_1)
	v_sub_nc_u32_e32 v3, v0, v3
	v_mul_lo_u32 v8, v3, s21
	v_mul_lo_u32 v14, v3, s20
	;; [unrolled: 1-line block ×6, first 2 shown]
	s_cbranch_vccnz .LBB117_84
; %bb.83:
	v_mov_b32_e32 v3, v1
	s_delay_alu instid0(VALU_DEP_1) | instskip(NEXT) | instid1(VALU_DEP_1)
	v_mul_u64_e32 v[10:11], s[52:53], v[2:3]
	v_add_nc_u32_e32 v1, v2, v11
	s_delay_alu instid0(VALU_DEP_1) | instskip(NEXT) | instid1(VALU_DEP_1)
	v_lshrrev_b32_e32 v1, s1, v1
	v_mul_lo_u32 v1, v1, s47
	s_delay_alu instid0(VALU_DEP_1) | instskip(NEXT) | instid1(VALU_DEP_1)
	v_sub_nc_u32_e32 v1, v2, v1
	v_mad_u32 v14, v1, s26, v14
	v_mad_u32 v8, v1, s27, v8
	;; [unrolled: 1-line block ×6, first 2 shown]
.LBB117_84:
	global_load_b32 v1, v8, s[6:7]
	s_mov_b32 s54, 0
	s_mov_b32 s0, -1
	s_mov_b32 s55, s87
	s_mov_b32 s57, s86
	;; [unrolled: 1-line block ×3, first 2 shown]
	s_wait_loadcnt 0x0
	v_cmp_eq_u32_e32 vcc_lo, s72, v1
	s_and_b32 s49, s75, vcc_lo
	s_wait_xcnt 0x0
	s_and_saveexec_b32 s90, s49
	s_cbranch_execz .LBB117_105
; %bb.85:
	global_load_b32 v1, v7, s[8:9]
	s_mov_b32 s49, 0
	s_mov_b32 s54, s86
	s_mov_b32 s55, s85
	s_wait_loadcnt 0x0
	v_cmp_eq_u32_e32 vcc_lo, s14, v1
	s_and_b32 s56, s74, vcc_lo
	s_wait_xcnt 0x0
	s_and_saveexec_b32 s91, s56
	s_cbranch_execz .LBB117_104
; %bb.86:
	global_load_b32 v4, v4, s[10:11]
	global_load_b32 v2, v6, s[36:37]
	s_mov_b32 s55, s85
	s_wait_loadcnt 0x0
	v_sub_nc_u32_e32 v1, v2, v4
	s_delay_alu instid0(VALU_DEP_1)
	v_cmp_le_i32_e32 vcc_lo, s72, v1
	v_cmp_ge_i32_e64 s0, s12, v1
	s_and_b32 s54, vcc_lo, s0
	s_mov_b32 s0, -1
	s_and_b32 s54, s73, s54
	s_wait_xcnt 0x0
	s_and_saveexec_b32 s92, s54
	s_cbranch_execz .LBB117_103
; %bb.87:
	v_mov_b64_e32 v[6:7], 0
	s_and_not1_b32 vcc_lo, exec_lo, s13
	s_cbranch_vccnz .LBB117_94
; %bb.88:
	global_load_b32 v6, v5, s[38:39]
	s_mov_b32 s55, 0
	s_mov_b64 s[56:57], 0xffffffff
	s_mov_b32 s49, s55
	v_mov_b32_e32 v8, 0
	s_lshl_b64 s[60:61], s[48:49], 3
	s_mov_b32 s49, s16
	s_add_nc_u64 s[58:59], s[18:19], s[60:61]
	s_add_nc_u64 s[60:61], s[28:29], s[60:61]
	s_wait_loadcnt 0x0
	v_ashrrev_i32_e32 v7, 31, v6
	s_delay_alu instid0(VALU_DEP_1)
	v_mul_u64_e32 v[10:11], s[14:15], v[6:7]
	v_mov_b64_e32 v[6:7], 0
	s_branch .LBB117_90
.LBB117_89:                             ;   in Loop: Header=BB117_90 Depth=1
	s_or_b32 exec_lo, exec_lo, s0
	s_delay_alu instid0(VALU_DEP_1)
	v_mul_u64_e32 v[16:17], s[62:63], v[12:13]
	s_load_b64 s[62:63], s[60:61], 0x0
	s_add_co_i32 s49, s49, -1
	s_add_nc_u64 s[58:59], s[58:59], -8
	s_cmp_lg_u32 s49, 0
	s_wait_xcnt 0x0
	s_add_nc_u64 s[60:61], s[60:61], -8
	s_delay_alu instid0(VALU_DEP_1) | instskip(SKIP_1) | instid1(VALU_DEP_1)
	v_sub_nc_u64_e32 v[10:11], v[10:11], v[16:17]
	s_wait_kmcnt 0x0
	v_mad_nc_u64_u32 v[6:7], v10, s62, v[6:7]
	s_delay_alu instid0(VALU_DEP_1) | instskip(NEXT) | instid1(VALU_DEP_1)
	v_mad_u32 v1, v11, s62, v7
	v_mad_u32 v7, v10, s63, v1
	v_mov_b64_e32 v[10:11], v[12:13]
	s_cbranch_scc0 .LBB117_94
.LBB117_90:                             ; =>This Inner Loop Header: Depth=1
	s_load_b64 s[62:63], s[58:59], 0x0
                                        ; implicit-def: $vgpr12_vgpr13
	s_mov_b32 s0, exec_lo
	s_wait_kmcnt 0x0
	s_delay_alu instid0(VALU_DEP_1) | instskip(NEXT) | instid1(VALU_DEP_1)
	v_or_b32_e32 v9, s63, v11
	v_cmpx_ne_u64_e32 0, v[8:9]
	s_xor_b32 s93, exec_lo, s0
	s_cbranch_execz .LBB117_92
; %bb.91:                               ;   in Loop: Header=BB117_90 Depth=1
	s_ashr_i32 s64, s63, 31
	v_dual_mov_b32 v19, v8 :: v_dual_ashrrev_i32 v12, 31, v11
	s_mov_b32 s65, s64
	v_mov_b32_e32 v23, v8
	s_add_nc_u64 s[66:67], s[62:63], s[64:65]
	s_delay_alu instid0(VALU_DEP_2)
	v_mov_b32_e32 v13, v12
	s_xor_b64 s[66:67], s[66:67], s[64:65]
	v_mov_b32_e32 v27, v8
	s_cvt_f32_u32 s0, s66
	s_cvt_f32_u32 s54, s67
	s_sub_nc_u64 s[96:97], 0, s[66:67]
	v_add_nc_u64_e32 v[16:17], v[10:11], v[12:13]
	s_delay_alu instid0(SALU_CYCLE_1) | instskip(NEXT) | instid1(SALU_CYCLE_3)
	s_fmamk_f32 s0, s54, 0x4f800000, s0
	v_s_rcp_f32 s0, s0
	s_delay_alu instid0(VALU_DEP_1) | instskip(NEXT) | instid1(VALU_DEP_2)
	v_xor_b32_e32 v22, v17, v12
	v_xor_b32_e32 v18, v16, v12
	s_delay_alu instid0(TRANS32_DEP_1) | instskip(NEXT) | instid1(SALU_CYCLE_3)
	s_mul_f32 s0, s0, 0x5f7ffffc
	s_mul_f32 s54, s0, 0x2f800000
	s_delay_alu instid0(SALU_CYCLE_3) | instskip(NEXT) | instid1(SALU_CYCLE_3)
	s_trunc_f32 s54, s54
	s_fmamk_f32 s0, s54, 0xcf800000, s0
	s_cvt_u32_f32 s95, s54
	s_delay_alu instid0(SALU_CYCLE_2) | instskip(NEXT) | instid1(SALU_CYCLE_3)
	s_cvt_u32_f32 s94, s0
	s_mul_u64 s[98:99], s[96:97], s[94:95]
	s_delay_alu instid0(SALU_CYCLE_1)
	s_mul_hi_u32 s101, s94, s99
	s_mul_i32 s100, s94, s99
	s_mul_hi_u32 s54, s94, s98
	s_mul_i32 s65, s95, s98
	s_add_nc_u64 s[100:101], s[54:55], s[100:101]
	s_mul_hi_u32 s0, s95, s98
	s_mul_hi_u32 s102, s95, s99
	s_add_co_u32 s54, s100, s65
	s_add_co_ci_u32 s54, s101, s0
	s_mul_i32 s98, s95, s99
	s_add_co_ci_u32 s99, s102, 0
	s_delay_alu instid0(SALU_CYCLE_1) | instskip(NEXT) | instid1(SALU_CYCLE_1)
	s_add_nc_u64 s[98:99], s[54:55], s[98:99]
	s_add_co_u32 s94, s94, s98
	s_cselect_b32 s0, -1, 0
	s_delay_alu instid0(SALU_CYCLE_1) | instskip(SKIP_1) | instid1(SALU_CYCLE_1)
	s_cmp_lg_u32 s0, 0
	s_add_co_ci_u32 s95, s95, s99
	s_mul_u64 s[96:97], s[96:97], s[94:95]
	s_delay_alu instid0(SALU_CYCLE_1)
	s_mul_hi_u32 s99, s94, s97
	s_mul_i32 s98, s94, s97
	s_mul_hi_u32 s54, s94, s96
	s_mul_i32 s65, s95, s96
	s_add_nc_u64 s[98:99], s[54:55], s[98:99]
	s_mul_hi_u32 s0, s95, s96
	s_mul_hi_u32 s100, s95, s97
	s_add_co_u32 s54, s98, s65
	s_add_co_ci_u32 s54, s99, s0
	s_mul_i32 s96, s95, s97
	s_add_co_ci_u32 s97, s100, 0
	s_delay_alu instid0(SALU_CYCLE_1) | instskip(NEXT) | instid1(SALU_CYCLE_1)
	s_add_nc_u64 s[96:97], s[54:55], s[96:97]
	s_add_co_u32 s0, s94, s96
	s_cselect_b32 s54, -1, 0
	v_mul_hi_u32 v26, v18, s0
	s_cmp_lg_u32 s54, 0
	s_add_co_ci_u32 s54, s95, s97
	s_and_b64 s[94:95], s[0:1], s[56:57]
	v_mul_u64_e32 v[20:21], s[54:55], v[18:19]
	v_mul_u64_e32 v[16:17], s[94:95], v[22:23]
	;; [unrolled: 1-line block ×3, first 2 shown]
	s_delay_alu instid0(VALU_DEP_3) | instskip(NEXT) | instid1(VALU_DEP_1)
	v_add_nc_u64_e32 v[20:21], v[26:27], v[20:21]
	v_add_co_u32 v1, vcc_lo, v20, v16
	s_delay_alu instid0(VALU_DEP_2) | instskip(NEXT) | instid1(VALU_DEP_4)
	v_add_co_ci_u32_e32 v26, vcc_lo, v21, v17, vcc_lo
	v_add_co_ci_u32_e32 v25, vcc_lo, 0, v25, vcc_lo
	s_delay_alu instid0(VALU_DEP_1) | instskip(NEXT) | instid1(VALU_DEP_1)
	v_add_nc_u64_e32 v[16:17], v[26:27], v[24:25]
	v_mul_u64_e32 v[20:21], s[66:67], v[16:17]
	s_delay_alu instid0(VALU_DEP_1) | instskip(NEXT) | instid1(VALU_DEP_2)
	v_sub_nc_u32_e32 v1, v22, v21
	v_sub_co_u32 v3, vcc_lo, v18, v20
	s_delay_alu instid0(VALU_DEP_1) | instskip(NEXT) | instid1(VALU_DEP_3)
	v_sub_co_ci_u32_e64 v9, null, v22, v21, vcc_lo
	v_subrev_co_ci_u32_e64 v1, null, s67, v1, vcc_lo
	s_delay_alu instid0(VALU_DEP_3) | instskip(SKIP_1) | instid1(VALU_DEP_3)
	v_sub_co_u32 v5, s0, v3, s66
	v_add_nc_u64_e32 v[18:19], 2, v[16:17]
	v_subrev_co_ci_u32_e64 v1, null, 0, v1, s0
	s_delay_alu instid0(VALU_DEP_3) | instskip(SKIP_2) | instid1(VALU_DEP_4)
	v_cmp_le_u32_e32 vcc_lo, s66, v5
	v_add_nc_u64_e32 v[20:21], 1, v[16:17]
	v_cndmask_b32_e64 v5, 0, -1, vcc_lo
	v_cmp_le_u32_e32 vcc_lo, s67, v1
	v_cndmask_b32_e64 v13, 0, -1, vcc_lo
	v_cmp_le_u32_e32 vcc_lo, s66, v3
	v_cndmask_b32_e64 v3, 0, -1, vcc_lo
	v_cmp_le_u32_e32 vcc_lo, s67, v9
	v_cndmask_b32_e64 v15, 0, -1, vcc_lo
	v_cmp_eq_u32_e32 vcc_lo, s67, v1
	v_cndmask_b32_e32 v1, v13, v5, vcc_lo
	v_cmp_eq_u32_e32 vcc_lo, s67, v9
	s_delay_alu instid0(VALU_DEP_4) | instskip(NEXT) | instid1(VALU_DEP_3)
	v_cndmask_b32_e32 v3, v15, v3, vcc_lo
	v_cmp_ne_u32_e32 vcc_lo, 0, v1
	s_delay_alu instid0(VALU_DEP_2) | instskip(SKIP_1) | instid1(VALU_DEP_1)
	v_cmp_ne_u32_e64 s0, 0, v3
	v_dual_cndmask_b32 v1, v21, v19, vcc_lo :: v_dual_cndmask_b32 v3, v20, v18, vcc_lo
	v_dual_cndmask_b32 v1, v17, v1, s0 :: v_dual_bitop2_b32 v12, s64, v12 bitop3:0x14
	s_delay_alu instid0(VALU_DEP_1) | instskip(NEXT) | instid1(VALU_DEP_1)
	v_dual_cndmask_b32 v3, v16, v3, s0 :: v_dual_bitop2_b32 v17, v1, v12 bitop3:0x14
	v_dual_mov_b32 v13, v12 :: v_dual_bitop2_b32 v16, v3, v12 bitop3:0x14
	s_delay_alu instid0(VALU_DEP_1)
	v_sub_nc_u64_e32 v[12:13], v[16:17], v[12:13]
.LBB117_92:                             ;   in Loop: Header=BB117_90 Depth=1
	s_and_not1_saveexec_b32 s0, s93
	s_cbranch_execz .LBB117_89
; %bb.93:                               ;   in Loop: Header=BB117_90 Depth=1
	v_cvt_f32_u32_e32 v1, s62
	s_sub_co_i32 s54, 0, s62
	v_mov_b32_e32 v13, v8
	s_delay_alu instid0(VALU_DEP_2) | instskip(SKIP_1) | instid1(TRANS32_DEP_1)
	v_rcp_iflag_f32_e32 v1, v1
	v_nop
	v_mul_f32_e32 v1, 0x4f7ffffe, v1
	s_delay_alu instid0(VALU_DEP_1) | instskip(NEXT) | instid1(VALU_DEP_1)
	v_cvt_u32_f32_e32 v1, v1
	v_mul_lo_u32 v3, s54, v1
	s_delay_alu instid0(VALU_DEP_1) | instskip(NEXT) | instid1(VALU_DEP_1)
	v_mul_hi_u32 v3, v1, v3
	v_add_nc_u32_e32 v1, v1, v3
	s_delay_alu instid0(VALU_DEP_1) | instskip(NEXT) | instid1(VALU_DEP_1)
	v_mul_hi_u32 v1, v10, v1
	v_mul_lo_u32 v3, v1, s62
	s_delay_alu instid0(VALU_DEP_1) | instskip(NEXT) | instid1(VALU_DEP_1)
	v_dual_add_nc_u32 v5, 1, v1 :: v_dual_sub_nc_u32 v3, v10, v3
	v_subrev_nc_u32_e32 v9, s62, v3
	v_cmp_le_u32_e32 vcc_lo, s62, v3
	s_delay_alu instid0(VALU_DEP_2) | instskip(NEXT) | instid1(VALU_DEP_4)
	v_cndmask_b32_e32 v3, v3, v9, vcc_lo
	v_cndmask_b32_e32 v1, v1, v5, vcc_lo
	s_delay_alu instid0(VALU_DEP_2) | instskip(NEXT) | instid1(VALU_DEP_2)
	v_cmp_le_u32_e32 vcc_lo, s62, v3
	v_add_nc_u32_e32 v5, 1, v1
	s_delay_alu instid0(VALU_DEP_1)
	v_cndmask_b32_e32 v12, v1, v5, vcc_lo
	s_branch .LBB117_89
.LBB117_94:
	s_mov_b32 s55, -1
	s_mov_b32 s49, s85
	s_mov_b32 s0, exec_lo
	v_cmpx_gt_i32_e64 v2, v4
	s_cbranch_execz .LBB117_100
; %bb.95:
	s_delay_alu instid0(VALU_DEP_2) | instskip(SKIP_3) | instid1(VALU_DEP_1)
	v_lshlrev_b64_e32 v[6:7], 2, v[6:7]
	v_dual_ashrrev_i32 v5, 31, v4 :: v_dual_ashrrev_i32 v3, 31, v2
	s_mov_b32 s49, 0
	s_xor_b32 s55, s17, -1
                                        ; implicit-def: $sgpr54
                                        ; implicit-def: $sgpr57
                                        ; implicit-def: $sgpr56
	v_lshl_add_u64 v[4:5], v[4:5], 2, v[6:7]
	v_add_nc_u64_e32 v[6:7], s[30:31], v[6:7]
	s_delay_alu instid0(VALU_DEP_2) | instskip(NEXT) | instid1(VALU_DEP_2)
	v_add_nc_u64_e32 v[4:5], s[30:31], v[4:5]
	v_lshl_add_u64 v[2:3], v[2:3], 2, v[6:7]
	s_delay_alu instid0(VALU_DEP_2)
	v_add_nc_u64_e32 v[4:5], 4, v[4:5]
	s_branch .LBB117_97
.LBB117_96:                             ;   in Loop: Header=BB117_97 Depth=1
	s_or_b32 exec_lo, exec_lo, s58
	s_delay_alu instid0(SALU_CYCLE_1) | instskip(NEXT) | instid1(SALU_CYCLE_1)
	s_and_b32 s58, exec_lo, s57
	s_or_b32 s49, s58, s49
	s_and_not1_b32 s54, s54, exec_lo
	s_and_b32 s58, s56, exec_lo
	s_delay_alu instid0(SALU_CYCLE_1)
	s_or_b32 s54, s54, s58
	s_and_not1_b32 exec_lo, exec_lo, s49
	s_cbranch_execz .LBB117_99
.LBB117_97:                             ; =>This Inner Loop Header: Depth=1
	s_or_b32 s56, s56, exec_lo
	s_or_b32 s57, s57, exec_lo
	s_mov_b32 s58, exec_lo
	s_delay_alu instid0(VALU_DEP_1)
	v_cmpx_lt_u64_e64 v[4:5], v[2:3]
	s_cbranch_execz .LBB117_96
; %bb.98:                               ;   in Loop: Header=BB117_97 Depth=1
	global_load_b64 v[6:7], v[4:5], off offset:-4
	s_wait_xcnt 0x0
	v_add_nc_u64_e32 v[4:5], 4, v[4:5]
	s_and_not1_b32 s57, s57, exec_lo
	s_and_not1_b32 s56, s56, exec_lo
	s_wait_loadcnt 0x0
	v_cmp_ge_i32_e32 vcc_lo, v6, v7
	s_or_b32 s59, s55, vcc_lo
	s_delay_alu instid0(SALU_CYCLE_1) | instskip(NEXT) | instid1(SALU_CYCLE_1)
	s_and_b32 s59, s59, exec_lo
	s_or_b32 s57, s57, s59
	s_branch .LBB117_96
.LBB117_99:
	s_or_b32 exec_lo, exec_lo, s49
	s_delay_alu instid0(SALU_CYCLE_1)
	s_or_b32 s49, s85, exec_lo
	s_or_not1_b32 s55, s54, exec_lo
.LBB117_100:
	s_or_b32 exec_lo, exec_lo, s0
	s_mov_b32 s54, 0
	s_and_saveexec_b32 s0, s55
	s_cbranch_execz .LBB117_102
; %bb.101:
	v_dual_mov_b32 v1, 0 :: v_dual_add_nc_u32 v0, 0x80, v0
	s_mov_b32 s54, exec_lo
	s_and_not1_b32 s49, s49, exec_lo
	global_store_b32 v14, v1, s[4:5]
.LBB117_102:
	s_wait_xcnt 0x0
	s_or_b32 exec_lo, exec_lo, s0
	s_delay_alu instid0(SALU_CYCLE_1) | instskip(SKIP_1) | instid1(SALU_CYCLE_1)
	s_and_not1_b32 s0, s85, exec_lo
	s_and_b32 s49, s49, exec_lo
	s_or_b32 s55, s0, s49
	s_xor_b32 s0, exec_lo, -1
	s_and_b32 s49, s54, exec_lo
.LBB117_103:
	s_or_b32 exec_lo, exec_lo, s92
	s_delay_alu instid0(SALU_CYCLE_1)
	s_and_not1_b32 s54, s85, exec_lo
	s_and_b32 s55, s55, exec_lo
	s_and_not1_b32 s56, s86, exec_lo
	s_and_b32 s0, s0, exec_lo
	s_or_b32 s55, s54, s55
	s_or_b32 s54, s56, s0
	s_xor_b32 s0, exec_lo, -1
	s_and_b32 s49, s49, exec_lo
.LBB117_104:
	s_or_b32 exec_lo, exec_lo, s91
	s_delay_alu instid0(SALU_CYCLE_1)
	s_and_not1_b32 s56, s85, exec_lo
	s_and_b32 s55, s55, exec_lo
	s_and_b32 s54, s54, exec_lo
	s_or_b32 s56, s56, s55
	s_and_not1_b32 s55, s86, exec_lo
	s_and_not1_b32 s58, s87, exec_lo
	s_and_b32 s0, s0, exec_lo
	s_or_b32 s57, s55, s54
	s_or_b32 s55, s58, s0
	s_xor_b32 s0, exec_lo, -1
	s_and_b32 s54, s49, exec_lo
.LBB117_105:
	s_or_b32 exec_lo, exec_lo, s90
	s_delay_alu instid0(SALU_CYCLE_1)
	s_and_not1_b32 s49, s85, exec_lo
	s_and_b32 s56, s56, exec_lo
	s_and_not1_b32 s58, s86, exec_lo
	s_and_b32 s57, s57, exec_lo
	s_or_b32 s59, s49, s56
	s_or_b32 s49, s58, s57
	s_and_not1_b32 s56, s87, exec_lo
	s_and_b32 s55, s55, exec_lo
	s_and_not1_b32 s57, s84, exec_lo
	s_and_b32 s0, s0, exec_lo
	s_or_b32 s58, s56, s55
	s_or_b32 s0, s57, s0
	s_or_not1_b32 s55, s54, exec_lo
.LBB117_106:
	s_or_b32 exec_lo, exec_lo, s89
	s_mov_b32 s54, 0
                                        ; implicit-def: $vgpr12
                                        ; implicit-def: $vgpr4
                                        ; implicit-def: $vgpr7
                                        ; implicit-def: $vgpr6
                                        ; implicit-def: $vgpr5
	s_and_saveexec_b32 s60, s55
	s_cbranch_execz .LBB117_122
; %bb.107:
	s_mov_b32 s55, s0
	s_mov_b32 s61, exec_lo
                                        ; implicit-def: $vgpr12
                                        ; implicit-def: $vgpr4
                                        ; implicit-def: $vgpr7
                                        ; implicit-def: $vgpr6
                                        ; implicit-def: $vgpr5
	v_cmpx_gt_i32_e64 s78, v0
	s_cbranch_execz .LBB117_121
; %bb.108:
	s_and_not1_b32 vcc_lo, exec_lo, s70
	s_cbranch_vccnz .LBB117_114
; %bb.109:
	s_and_not1_b32 vcc_lo, exec_lo, s79
	s_cbranch_vccnz .LBB117_115
; %bb.110:
	v_dual_mov_b32 v5, 0 :: v_dual_mov_b32 v1, v0
	v_dual_mov_b32 v6, 0 :: v_dual_mov_b32 v7, 0
	;; [unrolled: 1-line block ×3, first 2 shown]
	v_mov_b32_e32 v8, 0
	s_add_co_i32 s56, s77, 1
	s_mov_b64 s[54:55], 0xffffffffffffffd0
	s_and_b32 s62, s56, 30
	s_add_nc_u64 s[54:55], s[2:3], s[54:55]
	s_mov_b64 s[56:57], s[2:3]
.LBB117_111:                            ; =>This Inner Loop Header: Depth=1
	s_clause 0x1
	s_load_b128 s[64:67], s[56:57], 0x4
	s_load_b64 s[78:79], s[56:57], 0x14
	s_clause 0x1
	s_load_b256 s[92:99], s[54:55], 0xf4
	s_load_b128 s[100:103], s[54:55], 0x114
	s_add_co_i32 s62, s62, -2
	s_wait_xcnt 0x0
	s_add_nc_u64 s[56:57], s[56:57], 24
	s_cmp_eq_u32 s62, 0
	s_add_nc_u64 s[54:55], s[54:55], 48
	s_wait_kmcnt 0x0
	v_mul_hi_u32 v2, s65, v1
	s_delay_alu instid0(VALU_DEP_1) | instskip(NEXT) | instid1(VALU_DEP_1)
	v_add_nc_u32_e32 v2, v1, v2
	v_lshrrev_b32_e32 v2, s66, v2
	s_delay_alu instid0(VALU_DEP_1) | instskip(SKIP_1) | instid1(VALU_DEP_1)
	v_mul_hi_u32 v3, s78, v2
	v_mul_lo_u32 v9, v2, s64
	v_dual_add_nc_u32 v3, v2, v3 :: v_dual_sub_nc_u32 v9, v1, v9
	s_delay_alu instid0(VALU_DEP_1) | instskip(NEXT) | instid1(VALU_DEP_2)
	v_lshrrev_b32_e32 v1, s79, v3
	v_mad_u32 v3, v9, s93, v8
	v_mad_u32 v10, v9, s92, v12
	;; [unrolled: 1-line block ×4, first 2 shown]
	v_mul_lo_u32 v8, v1, s67
	v_mad_u32 v6, s97, v9, v6
	v_mad_u32 v5, s96, v9, v5
	s_delay_alu instid0(VALU_DEP_3) | instskip(NEXT) | instid1(VALU_DEP_1)
	v_sub_nc_u32_e32 v2, v2, v8
	v_mad_u32 v8, v2, s99, v3
	v_mad_u32 v12, v2, s98, v10
	;; [unrolled: 1-line block ×6, first 2 shown]
	s_cbranch_scc0 .LBB117_111
; %bb.112:
	s_bitcmp1_b32 s77, 0
	s_cselect_b32 s62, -1, 0
	s_delay_alu instid0(SALU_CYCLE_1)
	s_and_b32 vcc_lo, exec_lo, s62
	s_cbranch_vccnz .LBB117_116
; %bb.113:
	s_load_b96 s[92:94], s[56:57], 0x4
	s_load_b128 s[64:67], s[54:55], 0xf4
	s_wait_xcnt 0x0
	s_load_b64 s[56:57], s[54:55], 0x104
	s_wait_kmcnt 0x0
	v_mul_hi_u32 v2, s93, v1
	s_delay_alu instid0(VALU_DEP_1) | instskip(NEXT) | instid1(VALU_DEP_1)
	v_add_nc_u32_e32 v2, v1, v2
	v_lshrrev_b32_e32 v2, s94, v2
	s_delay_alu instid0(VALU_DEP_1) | instskip(NEXT) | instid1(VALU_DEP_1)
	v_mul_lo_u32 v2, v2, s92
	v_sub_nc_u32_e32 v1, v1, v2
	s_delay_alu instid0(VALU_DEP_1)
	v_mad_u32 v12, v1, s64, v12
	v_mad_u32 v8, v1, s65, v8
	;; [unrolled: 1-line block ×6, first 2 shown]
	s_branch .LBB117_116
.LBB117_114:
	s_mov_b32 s54, -1
                                        ; implicit-def: $vgpr8
                                        ; implicit-def: $vgpr12
                                        ; implicit-def: $vgpr4
                                        ; implicit-def: $vgpr7
                                        ; implicit-def: $vgpr6
                                        ; implicit-def: $vgpr5
	s_branch .LBB117_117
.LBB117_115:
	v_dual_mov_b32 v8, 0 :: v_dual_mov_b32 v12, 0
	v_dual_mov_b32 v4, 0 :: v_dual_mov_b32 v7, 0
	v_dual_mov_b32 v6, 0 :: v_dual_mov_b32 v5, 0
.LBB117_116:
	s_mov_b32 s54, 0
.LBB117_117:
	s_delay_alu instid0(SALU_CYCLE_1)
	s_and_not1_b32 vcc_lo, exec_lo, s54
	s_cbranch_vccnz .LBB117_120
; %bb.118:
	v_mov_b32_e32 v1, 0
	s_and_not1_b32 vcc_lo, exec_lo, s76
	s_delay_alu instid0(VALU_DEP_1) | instskip(NEXT) | instid1(VALU_DEP_1)
	v_mul_u64_e32 v[2:3], s[50:51], v[0:1]
	v_add_nc_u32_e32 v2, v0, v3
	s_delay_alu instid0(VALU_DEP_1) | instskip(NEXT) | instid1(VALU_DEP_1)
	v_lshrrev_b32_e32 v2, s46, v2
	v_mul_lo_u32 v3, v2, s44
	s_delay_alu instid0(VALU_DEP_1) | instskip(NEXT) | instid1(VALU_DEP_1)
	v_sub_nc_u32_e32 v0, v0, v3
	v_mul_lo_u32 v8, v0, s21
	v_mul_lo_u32 v12, v0, s20
	;; [unrolled: 1-line block ×6, first 2 shown]
	s_cbranch_vccnz .LBB117_120
; %bb.119:
	v_mov_b32_e32 v3, v1
	s_delay_alu instid0(VALU_DEP_1) | instskip(NEXT) | instid1(VALU_DEP_1)
	v_mul_u64_e32 v[0:1], s[52:53], v[2:3]
	v_add_nc_u32_e32 v0, v2, v1
	s_delay_alu instid0(VALU_DEP_1) | instskip(NEXT) | instid1(VALU_DEP_1)
	v_lshrrev_b32_e32 v0, s1, v0
	v_mul_lo_u32 v0, v0, s47
	s_delay_alu instid0(VALU_DEP_1) | instskip(NEXT) | instid1(VALU_DEP_1)
	v_sub_nc_u32_e32 v0, v2, v0
	v_mad_u32 v12, v0, s26, v12
	v_mad_u32 v8, v0, s27, v8
	;; [unrolled: 1-line block ×6, first 2 shown]
.LBB117_120:
	global_load_b32 v0, v8, s[6:7]
	s_xor_b32 s1, s75, -1
	s_wait_xcnt 0x0
	s_and_not1_b32 s6, s0, exec_lo
	s_mov_b32 s54, exec_lo
	s_wait_loadcnt 0x0
	v_cmp_ne_u32_e32 vcc_lo, s72, v0
	s_or_b32 s1, s1, vcc_lo
	s_delay_alu instid0(SALU_CYCLE_1) | instskip(NEXT) | instid1(SALU_CYCLE_1)
	s_and_b32 s1, s1, exec_lo
	s_or_b32 s55, s6, s1
.LBB117_121:
	s_or_b32 exec_lo, exec_lo, s61
	s_delay_alu instid0(SALU_CYCLE_1)
	s_and_not1_b32 s0, s0, exec_lo
	s_and_b32 s1, s55, exec_lo
	s_and_b32 s54, s54, exec_lo
	s_or_b32 s0, s0, s1
.LBB117_122:
	s_or_b32 exec_lo, exec_lo, s60
	s_delay_alu instid0(SALU_CYCLE_1)
	s_and_not1_b32 s1, s85, exec_lo
	s_and_b32 s6, s59, exec_lo
	s_and_not1_b32 s7, s87, exec_lo
	s_or_b32 s85, s1, s6
	s_and_not1_b32 s1, s86, exec_lo
	s_and_b32 s6, s49, exec_lo
	s_and_b32 s20, s58, exec_lo
	s_or_b32 s86, s1, s6
	s_and_not1_b32 s1, s84, exec_lo
	s_and_b32 s6, s0, exec_lo
	s_or_b32 s87, s7, s20
	s_and_b32 s0, s54, exec_lo
	s_or_b32 s84, s1, s6
.LBB117_123:
	s_or_b32 exec_lo, exec_lo, s88
	s_delay_alu instid0(SALU_CYCLE_1)
	s_and_not1_b32 s1, s45, exec_lo
	s_and_b32 s6, s85, exec_lo
	s_and_not1_b32 s7, s81, exec_lo
	s_or_b32 s45, s1, s6
	s_and_not1_b32 s1, s80, exec_lo
	s_and_b32 s6, s86, exec_lo
	s_and_b32 s20, s87, exec_lo
	s_or_b32 s80, s1, s6
	s_and_not1_b32 s1, s82, exec_lo
	s_and_b32 s6, s84, exec_lo
	s_or_b32 s81, s7, s20
	s_and_b32 s51, s0, exec_lo
	s_or_b32 s82, s1, s6
.LBB117_124:
	s_or_b32 exec_lo, exec_lo, s83
	s_mov_b32 s0, 0
	s_mov_b32 s1, 0
	s_and_saveexec_b32 s6, s82
	s_cbranch_execnz .LBB117_128
; %bb.125:
	s_or_b32 exec_lo, exec_lo, s6
	s_and_saveexec_b32 s6, s51
	s_delay_alu instid0(SALU_CYCLE_1)
	s_xor_b32 s6, exec_lo, s6
	s_cbranch_execz .LBB117_129
.LBB117_126:
	global_load_b32 v0, v7, s[8:9]
	s_xor_b32 s7, s74, -1
	s_wait_xcnt 0x0
	s_and_not1_b32 s8, s81, exec_lo
	s_mov_b32 s0, exec_lo
	s_wait_loadcnt 0x0
	v_cmp_ne_u32_e32 vcc_lo, s14, v0
	s_or_b32 s7, s7, vcc_lo
	s_delay_alu instid0(SALU_CYCLE_1) | instskip(NEXT) | instid1(SALU_CYCLE_1)
	s_and_b32 s7, s7, exec_lo
	s_or_b32 s81, s8, s7
	s_or_b32 exec_lo, exec_lo, s6
	s_and_saveexec_b32 s6, s81
	s_cbranch_execz .LBB117_130
.LBB117_127:
	s_or_b32 s1, s1, exec_lo
	s_and_not1_b32 s0, s0, exec_lo
	s_trap 2
	s_branch .LBB117_130
.LBB117_128:
	s_mov_b32 s1, exec_lo
	s_and_not1_b32 s51, s51, exec_lo
	s_trap 2
	s_or_b32 exec_lo, exec_lo, s6
	s_and_saveexec_b32 s6, s51
	s_delay_alu instid0(SALU_CYCLE_1)
	s_xor_b32 s6, exec_lo, s6
	s_cbranch_execnz .LBB117_126
.LBB117_129:
	s_or_b32 exec_lo, exec_lo, s6
	s_and_saveexec_b32 s6, s81
	s_cbranch_execnz .LBB117_127
.LBB117_130:
	s_or_b32 exec_lo, exec_lo, s6
	s_mov_b32 s6, 0
                                        ; implicit-def: $vgpr0
                                        ; implicit-def: $vgpr2
	s_and_saveexec_b32 s7, s0
	s_delay_alu instid0(SALU_CYCLE_1)
	s_xor_b32 s7, exec_lo, s7
	s_cbranch_execz .LBB117_147
; %bb.131:
	global_load_b32 v2, v4, s[10:11]
	global_load_b32 v0, v5, s[36:37]
	s_and_not1_b32 s8, s80, exec_lo
	s_mov_b32 s6, exec_lo
	s_wait_loadcnt 0x0
	v_sub_nc_u32_e32 v1, v0, v2
	s_delay_alu instid0(VALU_DEP_1) | instskip(SKIP_2) | instid1(SALU_CYCLE_1)
	v_cmp_le_i32_e32 vcc_lo, s72, v1
	v_cmp_ge_i32_e64 s0, s12, v1
	s_and_b32 s0, vcc_lo, s0
	s_and_b32 s0, s73, s0
	s_delay_alu instid0(SALU_CYCLE_1) | instskip(NEXT) | instid1(SALU_CYCLE_1)
	s_xor_b32 s0, s0, -1
	s_and_b32 s0, s0, exec_lo
	s_delay_alu instid0(SALU_CYCLE_1)
	s_or_b32 s80, s8, s0
	s_wait_xcnt 0x0
	s_or_b32 exec_lo, exec_lo, s7
	s_and_saveexec_b32 s0, s80
	s_cbranch_execz .LBB117_148
.LBB117_132:
	s_or_b32 s1, s1, exec_lo
	s_and_not1_b32 s6, s6, exec_lo
	s_trap 2
	s_or_b32 exec_lo, exec_lo, s0
	s_mov_b32 s0, 0
	s_and_saveexec_b32 s20, s6
	s_cbranch_execnz .LBB117_149
.LBB117_133:
	s_or_b32 exec_lo, exec_lo, s20
	s_and_saveexec_b32 s6, s45
	s_cbranch_execnz .LBB117_167
.LBB117_134:
	s_or_b32 exec_lo, exec_lo, s6
	s_and_saveexec_b32 s6, s0
	s_delay_alu instid0(SALU_CYCLE_1)
	s_xor_b32 s0, exec_lo, s6
	s_cbranch_execz .LBB117_136
.LBB117_135:
	v_mov_b32_e32 v0, 0
	global_store_b32 v12, v0, s[4:5]
.LBB117_136:
	s_wait_xcnt 0x0
	s_or_b32 exec_lo, exec_lo, s0
	s_delay_alu instid0(SALU_CYCLE_1)
	s_and_b32 s38, s1, exec_lo
                                        ; implicit-def: $vgpr5
                                        ; implicit-def: $vgpr0
.LBB117_137:
	s_or_saveexec_b32 s39, s71
                                        ; implicit-def: $sgpr4_sgpr5_sgpr6_sgpr7
                                        ; implicit-def: $vgpr15
                                        ; implicit-def: $vgpr14
                                        ; implicit-def: $vgpr13
                                        ; implicit-def: $vgpr12
	s_delay_alu instid0(SALU_CYCLE_1)
	s_xor_b32 exec_lo, exec_lo, s39
	s_cbranch_execz .LBB117_144
; %bb.138:
	v_cndmask_b32_e64 v7, 0, 1, s70
	s_and_not1_b32 vcc_lo, exec_lo, s70
	s_cbranch_vccnz .LBB117_156
; %bb.139:
	s_cmp_lg_u32 s33, 0
	s_mov_b32 s6, 0
	s_cbranch_scc0 .LBB117_168
; %bb.140:
	s_min_u32 s7, s68, 15
	v_dual_mov_b32 v3, 0 :: v_dual_mov_b32 v8, v0
	v_dual_mov_b32 v1, 0 :: v_dual_mov_b32 v2, 0
	;; [unrolled: 1-line block ×3, first 2 shown]
	v_mov_b32_e32 v6, 0
	s_add_co_i32 s4, s7, 1
	s_mov_b64 s[0:1], 0xffffffffffffffd0
	s_and_b32 s8, s4, 30
	s_add_nc_u64 s[0:1], s[2:3], s[0:1]
	s_mov_b64 s[4:5], s[2:3]
.LBB117_141:                            ; =>This Inner Loop Header: Depth=1
	s_clause 0x1
	s_load_b128 s[20:23], s[4:5], 0x4
	s_load_b64 s[10:11], s[4:5], 0x14
	s_clause 0x1
	s_load_b256 s[12:19], s[0:1], 0xf4
	s_load_b128 s[24:27], s[0:1], 0x114
	s_add_co_i32 s8, s8, -2
	s_wait_xcnt 0x0
	s_add_nc_u64 s[4:5], s[4:5], 24
	s_cmp_lg_u32 s8, 0
	s_add_nc_u64 s[0:1], s[0:1], 48
	s_wait_kmcnt 0x0
	v_mul_hi_u32 v9, s21, v8
	s_delay_alu instid0(VALU_DEP_1) | instskip(NEXT) | instid1(VALU_DEP_1)
	v_add_nc_u32_e32 v9, v8, v9
	v_lshrrev_b32_e32 v9, s22, v9
	s_delay_alu instid0(VALU_DEP_1) | instskip(SKIP_1) | instid1(VALU_DEP_1)
	v_mul_hi_u32 v10, s10, v9
	v_mul_lo_u32 v11, v9, s20
	v_dual_add_nc_u32 v10, v9, v10 :: v_dual_sub_nc_u32 v11, v8, v11
	s_delay_alu instid0(VALU_DEP_1) | instskip(NEXT) | instid1(VALU_DEP_2)
	v_lshrrev_b32_e32 v8, s11, v10
	v_mad_u32 v6, v11, s13, v6
	v_mad_u32 v12, v11, s12, v12
	v_mad_u32 v4, v11, s15, v4
	v_mad_u32 v2, v11, s14, v2
	v_mul_lo_u32 v10, v8, s23
	v_mad_u32 v1, s17, v11, v1
	v_mad_u32 v3, s16, v11, v3
	s_delay_alu instid0(VALU_DEP_3) | instskip(NEXT) | instid1(VALU_DEP_1)
	v_sub_nc_u32_e32 v9, v9, v10
	v_mad_u32 v6, v9, s19, v6
	v_mad_u32 v12, v9, s18, v12
	;; [unrolled: 1-line block ×6, first 2 shown]
	s_cbranch_scc1 .LBB117_141
; %bb.142:
	s_bitcmp1_b32 s7, 0
	s_cselect_b32 s7, -1, 0
	s_delay_alu instid0(SALU_CYCLE_1)
	s_and_b32 vcc_lo, exec_lo, s7
	s_cbranch_vccnz .LBB117_157
; %bb.143:
	s_load_b96 s[12:14], s[4:5], 0x4
	s_load_b128 s[8:11], s[0:1], 0xf4
	s_wait_xcnt 0x0
	s_load_b64 s[4:5], s[0:1], 0x104
	s_wait_kmcnt 0x0
	v_mul_hi_u32 v9, s13, v8
	s_delay_alu instid0(VALU_DEP_1) | instskip(NEXT) | instid1(VALU_DEP_1)
	v_add_nc_u32_e32 v9, v8, v9
	v_lshrrev_b32_e32 v9, s14, v9
	s_delay_alu instid0(VALU_DEP_1) | instskip(NEXT) | instid1(VALU_DEP_1)
	v_mul_lo_u32 v9, v9, s12
	v_sub_nc_u32_e32 v8, v8, v9
	s_delay_alu instid0(VALU_DEP_1)
	v_mad_u32 v12, v8, s8, v12
	v_mad_u32 v6, v8, s9, v6
	;; [unrolled: 1-line block ×6, first 2 shown]
	s_and_not1_b32 vcc_lo, exec_lo, s6
	s_cbranch_vccz .LBB117_158
	s_branch .LBB117_169
.LBB117_144:
	s_or_b32 exec_lo, exec_lo, s39
	s_and_saveexec_b32 s0, s38
	s_cbranch_execz .LBB117_308
.LBB117_145:
	; divergent unreachable
	s_or_b32 exec_lo, exec_lo, s0
	s_and_saveexec_b32 s0, s69
	s_cbranch_execnz .LBB117_309
.LBB117_146:
	s_endpgm
.LBB117_147:
	s_or_b32 exec_lo, exec_lo, s7
	s_and_saveexec_b32 s0, s80
	s_cbranch_execnz .LBB117_132
.LBB117_148:
	s_or_b32 exec_lo, exec_lo, s0
	s_mov_b32 s0, 0
	s_and_saveexec_b32 s20, s6
	s_cbranch_execz .LBB117_133
.LBB117_149:
	v_mov_b64_e32 v[4:5], 0
	s_and_not1_b32 vcc_lo, exec_lo, s13
	s_cbranch_vccnz .LBB117_160
; %bb.150:
	global_load_b32 v4, v6, s[38:39]
	s_mov_b32 s49, 0
	s_mov_b64 s[6:7], 0xffffffff
	s_lshl_b64 s[10:11], s[48:49], 3
	s_wait_xcnt 0x0
	v_mov_b32_e32 v6, 0
	s_add_nc_u64 s[8:9], s[18:19], s[10:11]
	s_add_nc_u64 s[10:11], s[28:29], s[10:11]
	s_wait_loadcnt 0x0
	v_ashrrev_i32_e32 v5, 31, v4
	s_delay_alu instid0(VALU_DEP_1)
	v_mul_u64_e32 v[8:9], s[14:15], v[4:5]
	v_mov_b64_e32 v[4:5], 0
	s_branch .LBB117_152
.LBB117_151:                            ;   in Loop: Header=BB117_152 Depth=1
	s_or_b32 exec_lo, exec_lo, s0
	s_delay_alu instid0(VALU_DEP_1)
	v_mul_u64_e32 v[14:15], s[12:13], v[10:11]
	s_load_b64 s[12:13], s[10:11], 0x0
	s_add_co_i32 s16, s16, -1
	s_add_nc_u64 s[8:9], s[8:9], -8
	s_cmp_lg_u32 s16, 0
	s_wait_xcnt 0x0
	s_add_nc_u64 s[10:11], s[10:11], -8
	s_delay_alu instid0(VALU_DEP_1) | instskip(SKIP_1) | instid1(VALU_DEP_1)
	v_sub_nc_u64_e32 v[8:9], v[8:9], v[14:15]
	s_wait_kmcnt 0x0
	v_mad_nc_u64_u32 v[4:5], v8, s12, v[4:5]
	s_delay_alu instid0(VALU_DEP_1) | instskip(NEXT) | instid1(VALU_DEP_1)
	v_mad_u32 v1, v9, s12, v5
	v_mad_u32 v5, v8, s13, v1
	v_mov_b64_e32 v[8:9], v[10:11]
	s_cbranch_scc0 .LBB117_160
.LBB117_152:                            ; =>This Inner Loop Header: Depth=1
	s_load_b64 s[12:13], s[8:9], 0x0
                                        ; implicit-def: $vgpr10_vgpr11
	s_mov_b32 s0, exec_lo
	s_wait_kmcnt 0x0
	s_delay_alu instid0(VALU_DEP_1) | instskip(NEXT) | instid1(VALU_DEP_1)
	v_or_b32_e32 v7, s13, v9
	v_cmpx_ne_u64_e32 0, v[6:7]
	s_xor_b32 s21, exec_lo, s0
	s_cbranch_execz .LBB117_154
; %bb.153:                              ;   in Loop: Header=BB117_152 Depth=1
	s_ashr_i32 s14, s13, 31
	v_dual_mov_b32 v17, v6 :: v_dual_ashrrev_i32 v10, 31, v9
	s_mov_b32 s15, s14
	v_mov_b32_e32 v21, v6
	s_add_nc_u64 s[18:19], s[12:13], s[14:15]
	s_delay_alu instid0(VALU_DEP_2)
	v_mov_b32_e32 v11, v10
	s_xor_b64 s[18:19], s[18:19], s[14:15]
	v_mov_b32_e32 v25, v6
	s_cvt_f32_u32 s0, s18
	s_cvt_f32_u32 s15, s19
	s_sub_nc_u64 s[24:25], 0, s[18:19]
	v_add_nc_u64_e32 v[14:15], v[8:9], v[10:11]
	s_delay_alu instid0(SALU_CYCLE_1) | instskip(NEXT) | instid1(SALU_CYCLE_3)
	s_fmamk_f32 s0, s15, 0x4f800000, s0
	v_s_rcp_f32 s0, s0
	s_delay_alu instid0(VALU_DEP_1) | instskip(NEXT) | instid1(VALU_DEP_2)
	v_xor_b32_e32 v20, v15, v10
	v_xor_b32_e32 v16, v14, v10
	s_delay_alu instid0(TRANS32_DEP_1) | instskip(NEXT) | instid1(SALU_CYCLE_3)
	s_mul_f32 s0, s0, 0x5f7ffffc
	s_mul_f32 s15, s0, 0x2f800000
	s_delay_alu instid0(SALU_CYCLE_3) | instskip(NEXT) | instid1(SALU_CYCLE_3)
	s_trunc_f32 s15, s15
	s_fmamk_f32 s0, s15, 0xcf800000, s0
	s_cvt_u32_f32 s23, s15
	s_delay_alu instid0(SALU_CYCLE_2) | instskip(NEXT) | instid1(SALU_CYCLE_3)
	s_cvt_u32_f32 s22, s0
	s_mul_u64 s[26:27], s[24:25], s[22:23]
	s_delay_alu instid0(SALU_CYCLE_1)
	s_mul_hi_u32 s29, s22, s27
	s_mul_i32 s28, s22, s27
	s_mul_hi_u32 s48, s22, s26
	s_mul_i32 s15, s23, s26
	s_add_nc_u64 s[28:29], s[48:49], s[28:29]
	s_mul_hi_u32 s0, s23, s26
	s_mul_hi_u32 s36, s23, s27
	s_add_co_u32 s15, s28, s15
	s_add_co_ci_u32 s48, s29, s0
	s_mul_i32 s26, s23, s27
	s_add_co_ci_u32 s27, s36, 0
	s_delay_alu instid0(SALU_CYCLE_1) | instskip(NEXT) | instid1(SALU_CYCLE_1)
	s_add_nc_u64 s[26:27], s[48:49], s[26:27]
	s_add_co_u32 s22, s22, s26
	s_cselect_b32 s0, -1, 0
	s_delay_alu instid0(SALU_CYCLE_1) | instskip(SKIP_1) | instid1(SALU_CYCLE_1)
	s_cmp_lg_u32 s0, 0
	s_add_co_ci_u32 s23, s23, s27
	s_mul_u64 s[24:25], s[24:25], s[22:23]
	s_delay_alu instid0(SALU_CYCLE_1)
	s_mul_hi_u32 s27, s22, s25
	s_mul_i32 s26, s22, s25
	s_mul_hi_u32 s48, s22, s24
	s_mul_i32 s15, s23, s24
	s_add_nc_u64 s[26:27], s[48:49], s[26:27]
	s_mul_hi_u32 s0, s23, s24
	s_mul_hi_u32 s28, s23, s25
	s_add_co_u32 s15, s26, s15
	s_add_co_ci_u32 s48, s27, s0
	s_mul_i32 s24, s23, s25
	s_add_co_ci_u32 s25, s28, 0
	s_delay_alu instid0(SALU_CYCLE_1) | instskip(NEXT) | instid1(SALU_CYCLE_1)
	s_add_nc_u64 s[24:25], s[48:49], s[24:25]
	s_add_co_u32 s0, s22, s24
	s_cselect_b32 s15, -1, 0
	v_mul_hi_u32 v24, v16, s0
	s_cmp_lg_u32 s15, 0
	s_add_co_ci_u32 s48, s23, s25
	s_and_b64 s[22:23], s[0:1], s[6:7]
	v_mul_u64_e32 v[18:19], s[48:49], v[16:17]
	v_mul_u64_e32 v[14:15], s[22:23], v[20:21]
	;; [unrolled: 1-line block ×3, first 2 shown]
	s_delay_alu instid0(VALU_DEP_3) | instskip(NEXT) | instid1(VALU_DEP_1)
	v_add_nc_u64_e32 v[18:19], v[24:25], v[18:19]
	v_add_co_u32 v1, vcc_lo, v18, v14
	s_delay_alu instid0(VALU_DEP_2) | instskip(NEXT) | instid1(VALU_DEP_4)
	v_add_co_ci_u32_e32 v24, vcc_lo, v19, v15, vcc_lo
	v_add_co_ci_u32_e32 v23, vcc_lo, 0, v23, vcc_lo
	s_delay_alu instid0(VALU_DEP_1) | instskip(NEXT) | instid1(VALU_DEP_1)
	v_add_nc_u64_e32 v[14:15], v[24:25], v[22:23]
	v_mul_u64_e32 v[18:19], s[18:19], v[14:15]
	s_delay_alu instid0(VALU_DEP_1) | instskip(NEXT) | instid1(VALU_DEP_2)
	v_sub_nc_u32_e32 v1, v20, v19
	v_sub_co_u32 v3, vcc_lo, v16, v18
	s_delay_alu instid0(VALU_DEP_1) | instskip(NEXT) | instid1(VALU_DEP_3)
	v_sub_co_ci_u32_e64 v11, null, v20, v19, vcc_lo
	v_subrev_co_ci_u32_e64 v1, null, s19, v1, vcc_lo
	s_delay_alu instid0(VALU_DEP_3) | instskip(SKIP_1) | instid1(VALU_DEP_3)
	v_sub_co_u32 v7, s0, v3, s18
	v_add_nc_u64_e32 v[16:17], 2, v[14:15]
	v_subrev_co_ci_u32_e64 v1, null, 0, v1, s0
	s_delay_alu instid0(VALU_DEP_3) | instskip(SKIP_2) | instid1(VALU_DEP_4)
	v_cmp_le_u32_e32 vcc_lo, s18, v7
	v_add_nc_u64_e32 v[18:19], 1, v[14:15]
	v_cndmask_b32_e64 v7, 0, -1, vcc_lo
	v_cmp_le_u32_e32 vcc_lo, s19, v1
	v_cndmask_b32_e64 v13, 0, -1, vcc_lo
	v_cmp_le_u32_e32 vcc_lo, s18, v3
	v_cndmask_b32_e64 v3, 0, -1, vcc_lo
	v_cmp_le_u32_e32 vcc_lo, s19, v11
	v_cndmask_b32_e64 v20, 0, -1, vcc_lo
	v_cmp_eq_u32_e32 vcc_lo, s19, v1
	v_cndmask_b32_e32 v1, v13, v7, vcc_lo
	v_cmp_eq_u32_e32 vcc_lo, s19, v11
	s_delay_alu instid0(VALU_DEP_4) | instskip(NEXT) | instid1(VALU_DEP_3)
	v_cndmask_b32_e32 v3, v20, v3, vcc_lo
	v_cmp_ne_u32_e32 vcc_lo, 0, v1
	v_cndmask_b32_e32 v1, v19, v17, vcc_lo
	s_delay_alu instid0(VALU_DEP_3) | instskip(SKIP_1) | instid1(VALU_DEP_1)
	v_cmp_ne_u32_e64 s0, 0, v3
	v_dual_cndmask_b32 v3, v18, v16, vcc_lo :: v_dual_bitop2_b32 v10, s14, v10 bitop3:0x14
	v_dual_cndmask_b32 v1, v15, v1, s0 :: v_dual_cndmask_b32 v3, v14, v3, s0
	s_delay_alu instid0(VALU_DEP_1) | instskip(NEXT) | instid1(VALU_DEP_2)
	v_dual_mov_b32 v11, v10 :: v_dual_bitop2_b32 v15, v1, v10 bitop3:0x14
	v_xor_b32_e32 v14, v3, v10
	s_delay_alu instid0(VALU_DEP_1)
	v_sub_nc_u64_e32 v[10:11], v[14:15], v[10:11]
.LBB117_154:                            ;   in Loop: Header=BB117_152 Depth=1
	s_and_not1_saveexec_b32 s0, s21
	s_cbranch_execz .LBB117_151
; %bb.155:                              ;   in Loop: Header=BB117_152 Depth=1
	v_cvt_f32_u32_e32 v1, s12
	s_sub_co_i32 s14, 0, s12
	v_mov_b32_e32 v11, v6
	s_delay_alu instid0(VALU_DEP_2) | instskip(SKIP_1) | instid1(TRANS32_DEP_1)
	v_rcp_iflag_f32_e32 v1, v1
	v_nop
	v_mul_f32_e32 v1, 0x4f7ffffe, v1
	s_delay_alu instid0(VALU_DEP_1) | instskip(NEXT) | instid1(VALU_DEP_1)
	v_cvt_u32_f32_e32 v1, v1
	v_mul_lo_u32 v3, s14, v1
	s_delay_alu instid0(VALU_DEP_1) | instskip(NEXT) | instid1(VALU_DEP_1)
	v_mul_hi_u32 v3, v1, v3
	v_add_nc_u32_e32 v1, v1, v3
	s_delay_alu instid0(VALU_DEP_1) | instskip(NEXT) | instid1(VALU_DEP_1)
	v_mul_hi_u32 v1, v8, v1
	v_mul_lo_u32 v3, v1, s12
	s_delay_alu instid0(VALU_DEP_1) | instskip(NEXT) | instid1(VALU_DEP_1)
	v_sub_nc_u32_e32 v3, v8, v3
	v_subrev_nc_u32_e32 v10, s12, v3
	v_cmp_le_u32_e32 vcc_lo, s12, v3
	s_delay_alu instid0(VALU_DEP_2) | instskip(NEXT) | instid1(VALU_DEP_1)
	v_dual_add_nc_u32 v7, 1, v1 :: v_dual_cndmask_b32 v3, v3, v10, vcc_lo
	v_cndmask_b32_e32 v1, v1, v7, vcc_lo
	s_delay_alu instid0(VALU_DEP_2) | instskip(NEXT) | instid1(VALU_DEP_2)
	v_cmp_le_u32_e32 vcc_lo, s12, v3
	v_add_nc_u32_e32 v7, 1, v1
	s_delay_alu instid0(VALU_DEP_1)
	v_cndmask_b32_e32 v10, v1, v7, vcc_lo
	s_branch .LBB117_151
.LBB117_156:
	s_mov_b32 s6, -1
                                        ; implicit-def: $vgpr6
                                        ; implicit-def: $vgpr12
                                        ; implicit-def: $vgpr4
                                        ; implicit-def: $vgpr2
                                        ; implicit-def: $vgpr1
                                        ; implicit-def: $vgpr3
.LBB117_157:
	s_delay_alu instid0(SALU_CYCLE_1)
	s_and_not1_b32 vcc_lo, exec_lo, s6
	s_cbranch_vccnz .LBB117_169
.LBB117_158:
	s_clause 0x2
	s_load_b96 s[8:10], s[2:3], 0x4
	s_load_b128 s[4:7], s[2:3], 0xc4
	s_load_b64 s[0:1], s[2:3], 0xd4
	s_cmp_lt_u32 s33, 2
	s_wait_kmcnt 0x0
	v_mul_hi_u32 v1, s9, v0
	s_delay_alu instid0(VALU_DEP_1) | instskip(NEXT) | instid1(VALU_DEP_1)
	v_add_nc_u32_e32 v1, v0, v1
	v_lshrrev_b32_e32 v8, s10, v1
	s_delay_alu instid0(VALU_DEP_1) | instskip(NEXT) | instid1(VALU_DEP_1)
	v_mul_lo_u32 v1, v8, s8
	v_sub_nc_u32_e32 v3, v0, v1
	s_delay_alu instid0(VALU_DEP_1)
	v_mul_lo_u32 v6, v3, s5
	v_mul_lo_u32 v12, v3, s4
	;; [unrolled: 1-line block ×6, first 2 shown]
	s_cbranch_scc1 .LBB117_169
; %bb.159:
	s_clause 0x2
	s_load_b96 s[8:10], s[2:3], 0x10
	s_load_b128 s[4:7], s[2:3], 0xdc
	s_load_b64 s[0:1], s[2:3], 0xec
	s_wait_kmcnt 0x0
	v_mul_hi_u32 v9, s9, v8
	s_delay_alu instid0(VALU_DEP_1) | instskip(NEXT) | instid1(VALU_DEP_1)
	v_add_nc_u32_e32 v9, v8, v9
	v_lshrrev_b32_e32 v9, s10, v9
	s_delay_alu instid0(VALU_DEP_1) | instskip(NEXT) | instid1(VALU_DEP_1)
	v_mul_lo_u32 v9, v9, s8
	v_sub_nc_u32_e32 v8, v8, v9
	s_delay_alu instid0(VALU_DEP_1)
	v_mad_u32 v12, v8, s4, v12
	v_mad_u32 v6, v8, s5, v6
	;; [unrolled: 1-line block ×6, first 2 shown]
	s_branch .LBB117_169
.LBB117_160:
	s_mov_b32 s6, s45
	s_mov_b32 s0, exec_lo
	v_cmpx_gt_i32_e64 v0, v2
	s_cbranch_execz .LBB117_166
; %bb.161:
	s_delay_alu instid0(VALU_DEP_2) | instskip(SKIP_3) | instid1(VALU_DEP_1)
	v_lshlrev_b64_e32 v[4:5], 2, v[4:5]
	v_dual_ashrrev_i32 v3, 31, v2 :: v_dual_ashrrev_i32 v1, 31, v0
	s_mov_b32 s6, 0
	s_xor_b32 s8, s17, -1
                                        ; implicit-def: $sgpr7
                                        ; implicit-def: $sgpr10
                                        ; implicit-def: $sgpr9
	v_lshl_add_u64 v[2:3], v[2:3], 2, v[4:5]
	v_add_nc_u64_e32 v[4:5], s[30:31], v[4:5]
	s_delay_alu instid0(VALU_DEP_2) | instskip(NEXT) | instid1(VALU_DEP_2)
	v_add_nc_u64_e32 v[2:3], s[30:31], v[2:3]
	v_lshl_add_u64 v[0:1], v[0:1], 2, v[4:5]
	s_delay_alu instid0(VALU_DEP_2)
	v_add_nc_u64_e32 v[2:3], 4, v[2:3]
	s_branch .LBB117_163
.LBB117_162:                            ;   in Loop: Header=BB117_163 Depth=1
	s_or_b32 exec_lo, exec_lo, s11
	s_xor_b32 s11, s9, -1
	s_and_b32 s12, exec_lo, s10
	s_delay_alu instid0(SALU_CYCLE_1) | instskip(SKIP_2) | instid1(SALU_CYCLE_1)
	s_or_b32 s6, s12, s6
	s_and_not1_b32 s7, s7, exec_lo
	s_and_b32 s11, s11, exec_lo
	s_or_b32 s7, s7, s11
	s_and_not1_b32 exec_lo, exec_lo, s6
	s_cbranch_execz .LBB117_165
.LBB117_163:                            ; =>This Inner Loop Header: Depth=1
	s_or_b32 s9, s9, exec_lo
	s_or_b32 s10, s10, exec_lo
	s_mov_b32 s11, exec_lo
	s_delay_alu instid0(VALU_DEP_1)
	v_cmpx_lt_u64_e64 v[2:3], v[0:1]
	s_cbranch_execz .LBB117_162
; %bb.164:                              ;   in Loop: Header=BB117_163 Depth=1
	global_load_b64 v[4:5], v[2:3], off offset:-4
	s_wait_xcnt 0x0
	v_add_nc_u64_e32 v[2:3], 4, v[2:3]
	s_and_not1_b32 s10, s10, exec_lo
	s_and_not1_b32 s9, s9, exec_lo
	s_wait_loadcnt 0x0
	v_cmp_ge_i32_e32 vcc_lo, v4, v5
	s_or_b32 s12, s8, vcc_lo
	s_delay_alu instid0(SALU_CYCLE_1) | instskip(NEXT) | instid1(SALU_CYCLE_1)
	s_and_b32 s12, s12, exec_lo
	s_or_b32 s10, s10, s12
	s_branch .LBB117_162
.LBB117_165:
	s_or_b32 exec_lo, exec_lo, s6
	s_delay_alu instid0(SALU_CYCLE_1) | instskip(SKIP_1) | instid1(SALU_CYCLE_1)
	s_and_not1_b32 s6, s45, exec_lo
	s_and_b32 s7, s7, exec_lo
	s_or_b32 s6, s6, s7
.LBB117_166:
	s_or_b32 exec_lo, exec_lo, s0
	s_delay_alu instid0(SALU_CYCLE_1)
	s_and_not1_b32 s7, s45, exec_lo
	s_and_b32 s6, s6, exec_lo
	s_mov_b32 s0, exec_lo
	s_or_b32 s45, s7, s6
	s_or_b32 exec_lo, exec_lo, s20
	s_and_saveexec_b32 s6, s45
	s_cbranch_execz .LBB117_134
.LBB117_167:
	s_or_b32 s1, s1, exec_lo
	s_and_not1_b32 s0, s0, exec_lo
	s_trap 2
	s_or_b32 exec_lo, exec_lo, s6
	s_and_saveexec_b32 s6, s0
	s_delay_alu instid0(SALU_CYCLE_1)
	s_xor_b32 s0, exec_lo, s6
	s_cbranch_execnz .LBB117_135
	s_branch .LBB117_136
.LBB117_168:
	v_dual_mov_b32 v6, 0 :: v_dual_mov_b32 v12, 0
	v_dual_mov_b32 v4, 0 :: v_dual_mov_b32 v2, 0
	;; [unrolled: 1-line block ×3, first 2 shown]
	s_and_not1_b32 vcc_lo, exec_lo, s6
	s_cbranch_vccz .LBB117_158
.LBB117_169:
	v_cmp_ne_u32_e32 vcc_lo, 1, v7
	v_add_nc_u32_e32 v8, 0x80, v0
	s_cbranch_vccnz .LBB117_175
; %bb.170:
	s_cmp_lg_u32 s33, 0
	s_mov_b32 s6, 0
	s_cbranch_scc0 .LBB117_179
; %bb.171:
	s_min_u32 s7, s68, 15
	v_dual_mov_b32 v30, 0 :: v_dual_mov_b32 v9, v8
	v_dual_mov_b32 v29, 0 :: v_dual_mov_b32 v32, 0
	;; [unrolled: 1-line block ×3, first 2 shown]
	v_mov_b32_e32 v33, 0
	s_add_co_i32 s4, s7, 1
	s_mov_b64 s[0:1], 0xffffffffffffffd0
	s_and_b32 s8, s4, 30
	s_add_nc_u64 s[0:1], s[2:3], s[0:1]
	s_mov_b64 s[4:5], s[2:3]
.LBB117_172:                            ; =>This Inner Loop Header: Depth=1
	s_clause 0x1
	s_load_b128 s[20:23], s[4:5], 0x4
	s_load_b64 s[10:11], s[4:5], 0x14
	s_clause 0x1
	s_load_b256 s[12:19], s[0:1], 0xf4
	s_load_b128 s[24:27], s[0:1], 0x114
	s_add_co_i32 s8, s8, -2
	s_wait_xcnt 0x0
	s_add_nc_u64 s[4:5], s[4:5], 24
	s_cmp_lg_u32 s8, 0
	s_add_nc_u64 s[0:1], s[0:1], 48
	s_wait_kmcnt 0x0
	v_mul_hi_u32 v10, s21, v9
	s_delay_alu instid0(VALU_DEP_1) | instskip(NEXT) | instid1(VALU_DEP_1)
	v_add_nc_u32_e32 v10, v9, v10
	v_lshrrev_b32_e32 v10, s22, v10
	s_delay_alu instid0(VALU_DEP_1) | instskip(SKIP_1) | instid1(VALU_DEP_1)
	v_mul_hi_u32 v11, s10, v10
	v_mul_lo_u32 v14, v10, s20
	v_dual_add_nc_u32 v11, v10, v11 :: v_dual_sub_nc_u32 v14, v9, v14
	s_delay_alu instid0(VALU_DEP_1) | instskip(NEXT) | instid1(VALU_DEP_2)
	v_lshrrev_b32_e32 v9, s11, v11
	v_mad_u32 v11, v14, s13, v33
	v_mad_u32 v13, v14, s12, v13
	;; [unrolled: 1-line block ×4, first 2 shown]
	v_mul_lo_u32 v15, v9, s23
	v_mad_u32 v18, s17, v14, v29
	v_mad_u32 v14, s16, v14, v30
	s_delay_alu instid0(VALU_DEP_3) | instskip(NEXT) | instid1(VALU_DEP_1)
	v_sub_nc_u32_e32 v10, v10, v15
	v_mad_u32 v33, v10, s19, v11
	v_mad_u32 v13, v10, s18, v13
	;; [unrolled: 1-line block ×6, first 2 shown]
	s_cbranch_scc1 .LBB117_172
; %bb.173:
	s_bitcmp1_b32 s7, 0
	s_cselect_b32 s7, -1, 0
	s_delay_alu instid0(SALU_CYCLE_1)
	s_and_b32 vcc_lo, exec_lo, s7
	s_cbranch_vccnz .LBB117_176
; %bb.174:
	s_load_b96 s[12:14], s[4:5], 0x4
	s_load_b128 s[8:11], s[0:1], 0xf4
	s_wait_xcnt 0x0
	s_load_b64 s[4:5], s[0:1], 0x104
	s_wait_kmcnt 0x0
	v_mul_hi_u32 v10, s13, v9
	s_delay_alu instid0(VALU_DEP_1) | instskip(NEXT) | instid1(VALU_DEP_1)
	v_add_nc_u32_e32 v10, v9, v10
	v_lshrrev_b32_e32 v10, s14, v10
	s_delay_alu instid0(VALU_DEP_1) | instskip(NEXT) | instid1(VALU_DEP_1)
	v_mul_lo_u32 v10, v10, s12
	v_sub_nc_u32_e32 v9, v9, v10
	s_delay_alu instid0(VALU_DEP_1)
	v_mad_u32 v13, v9, s8, v13
	v_mad_u32 v33, v9, s9, v33
	;; [unrolled: 1-line block ×6, first 2 shown]
	s_and_not1_b32 vcc_lo, exec_lo, s6
	s_cbranch_vccz .LBB117_177
	s_branch .LBB117_180
.LBB117_175:
	s_mov_b32 s6, -1
                                        ; implicit-def: $vgpr33
                                        ; implicit-def: $vgpr13
                                        ; implicit-def: $vgpr31
                                        ; implicit-def: $vgpr32
                                        ; implicit-def: $vgpr29
                                        ; implicit-def: $vgpr30
.LBB117_176:
	s_delay_alu instid0(SALU_CYCLE_1)
	s_and_not1_b32 vcc_lo, exec_lo, s6
	s_cbranch_vccnz .LBB117_180
.LBB117_177:
	s_clause 0x2
	s_load_b96 s[8:10], s[2:3], 0x4
	s_load_b128 s[4:7], s[2:3], 0xc4
	s_load_b64 s[0:1], s[2:3], 0xd4
	s_cmp_lt_u32 s33, 2
	s_wait_kmcnt 0x0
	v_mul_hi_u32 v9, s9, v8
	s_delay_alu instid0(VALU_DEP_1) | instskip(NEXT) | instid1(VALU_DEP_1)
	v_add_nc_u32_e32 v9, v8, v9
	v_lshrrev_b32_e32 v9, s10, v9
	s_delay_alu instid0(VALU_DEP_1) | instskip(NEXT) | instid1(VALU_DEP_1)
	v_mul_lo_u32 v10, v9, s8
	v_sub_nc_u32_e32 v8, v8, v10
	s_delay_alu instid0(VALU_DEP_1)
	v_mul_lo_u32 v33, v8, s5
	v_mul_lo_u32 v13, v8, s4
	;; [unrolled: 1-line block ×6, first 2 shown]
	s_cbranch_scc1 .LBB117_180
; %bb.178:
	s_clause 0x2
	s_load_b96 s[8:10], s[2:3], 0x10
	s_load_b128 s[4:7], s[2:3], 0xdc
	s_load_b64 s[0:1], s[2:3], 0xec
	s_wait_kmcnt 0x0
	v_mul_hi_u32 v8, s9, v9
	s_delay_alu instid0(VALU_DEP_1) | instskip(NEXT) | instid1(VALU_DEP_1)
	v_add_nc_u32_e32 v8, v9, v8
	v_lshrrev_b32_e32 v8, s10, v8
	s_delay_alu instid0(VALU_DEP_1) | instskip(NEXT) | instid1(VALU_DEP_1)
	v_mul_lo_u32 v8, v8, s8
	v_sub_nc_u32_e32 v8, v9, v8
	s_delay_alu instid0(VALU_DEP_1)
	v_mad_u32 v13, v8, s4, v13
	v_mad_u32 v33, v8, s5, v33
	;; [unrolled: 1-line block ×6, first 2 shown]
	s_branch .LBB117_180
.LBB117_179:
	v_dual_mov_b32 v33, 0 :: v_dual_mov_b32 v13, 0
	v_dual_mov_b32 v31, 0 :: v_dual_mov_b32 v32, 0
	;; [unrolled: 1-line block ×3, first 2 shown]
	s_and_not1_b32 vcc_lo, exec_lo, s6
	s_cbranch_vccz .LBB117_177
.LBB117_180:
	v_cmp_ne_u32_e32 vcc_lo, 1, v7
	v_add_nc_u32_e32 v0, 0x100, v0
	s_cbranch_vccnz .LBB117_186
; %bb.181:
	s_cmp_lg_u32 s33, 0
	s_mov_b32 s6, 0
	s_cbranch_scc0 .LBB117_190
; %bb.182:
	s_min_u32 s7, s68, 15
	v_dual_mov_b32 v22, 0 :: v_dual_mov_b32 v8, v0
	v_dual_mov_b32 v21, 0 :: v_dual_mov_b32 v26, 0
	;; [unrolled: 1-line block ×3, first 2 shown]
	v_mov_b32_e32 v27, 0
	s_add_co_i32 s4, s7, 1
	s_mov_b64 s[0:1], 0xffffffffffffffd0
	s_and_b32 s8, s4, 30
	s_add_nc_u64 s[0:1], s[2:3], s[0:1]
	s_mov_b64 s[4:5], s[2:3]
.LBB117_183:                            ; =>This Inner Loop Header: Depth=1
	s_clause 0x1
	s_load_b128 s[20:23], s[4:5], 0x4
	s_load_b64 s[10:11], s[4:5], 0x14
	s_clause 0x1
	s_load_b256 s[12:19], s[0:1], 0xf4
	s_load_b128 s[24:27], s[0:1], 0x114
	s_add_co_i32 s8, s8, -2
	s_wait_xcnt 0x0
	s_add_nc_u64 s[4:5], s[4:5], 24
	s_cmp_lg_u32 s8, 0
	s_add_nc_u64 s[0:1], s[0:1], 48
	s_wait_kmcnt 0x0
	v_mul_hi_u32 v9, s21, v8
	s_delay_alu instid0(VALU_DEP_1) | instskip(NEXT) | instid1(VALU_DEP_1)
	v_add_nc_u32_e32 v9, v8, v9
	v_lshrrev_b32_e32 v9, s22, v9
	s_delay_alu instid0(VALU_DEP_1) | instskip(SKIP_1) | instid1(VALU_DEP_1)
	v_mul_hi_u32 v10, s10, v9
	v_mul_lo_u32 v11, v9, s20
	v_dual_add_nc_u32 v10, v9, v10 :: v_dual_sub_nc_u32 v11, v8, v11
	s_delay_alu instid0(VALU_DEP_1) | instskip(NEXT) | instid1(VALU_DEP_2)
	v_lshrrev_b32_e32 v8, s11, v10
	v_mad_u32 v10, v11, s13, v27
	v_mad_u32 v14, v11, s12, v14
	;; [unrolled: 1-line block ×4, first 2 shown]
	v_mul_lo_u32 v15, v8, s23
	v_mad_u32 v18, s17, v11, v21
	v_mad_u32 v11, s16, v11, v22
	s_delay_alu instid0(VALU_DEP_3) | instskip(NEXT) | instid1(VALU_DEP_1)
	v_sub_nc_u32_e32 v9, v9, v15
	v_mad_u32 v27, v9, s19, v10
	v_mad_u32 v14, v9, s18, v14
	;; [unrolled: 1-line block ×6, first 2 shown]
	s_cbranch_scc1 .LBB117_183
; %bb.184:
	s_bitcmp1_b32 s7, 0
	s_cselect_b32 s7, -1, 0
	s_delay_alu instid0(SALU_CYCLE_1)
	s_and_b32 vcc_lo, exec_lo, s7
	s_cbranch_vccnz .LBB117_187
; %bb.185:
	s_load_b96 s[12:14], s[4:5], 0x4
	s_load_b128 s[8:11], s[0:1], 0xf4
	s_wait_xcnt 0x0
	s_load_b64 s[4:5], s[0:1], 0x104
	s_wait_kmcnt 0x0
	v_mul_hi_u32 v9, s13, v8
	s_delay_alu instid0(VALU_DEP_1) | instskip(NEXT) | instid1(VALU_DEP_1)
	v_add_nc_u32_e32 v9, v8, v9
	v_lshrrev_b32_e32 v9, s14, v9
	s_delay_alu instid0(VALU_DEP_1) | instskip(NEXT) | instid1(VALU_DEP_1)
	v_mul_lo_u32 v9, v9, s12
	v_sub_nc_u32_e32 v8, v8, v9
	s_delay_alu instid0(VALU_DEP_1)
	v_mad_u32 v14, v8, s8, v14
	v_mad_u32 v27, v8, s9, v27
	;; [unrolled: 1-line block ×6, first 2 shown]
	s_and_not1_b32 vcc_lo, exec_lo, s6
	s_cbranch_vccz .LBB117_188
	s_branch .LBB117_191
.LBB117_186:
	s_mov_b32 s6, -1
                                        ; implicit-def: $vgpr27
                                        ; implicit-def: $vgpr14
                                        ; implicit-def: $vgpr25
                                        ; implicit-def: $vgpr26
                                        ; implicit-def: $vgpr21
                                        ; implicit-def: $vgpr22
.LBB117_187:
	s_delay_alu instid0(SALU_CYCLE_1)
	s_and_not1_b32 vcc_lo, exec_lo, s6
	s_cbranch_vccnz .LBB117_191
.LBB117_188:
	s_clause 0x2
	s_load_b96 s[8:10], s[2:3], 0x4
	s_load_b128 s[4:7], s[2:3], 0xc4
	s_load_b64 s[0:1], s[2:3], 0xd4
	s_cmp_lt_u32 s33, 2
	s_wait_kmcnt 0x0
	v_mul_hi_u32 v8, s9, v0
	s_delay_alu instid0(VALU_DEP_1) | instskip(NEXT) | instid1(VALU_DEP_1)
	v_add_nc_u32_e32 v8, v0, v8
	v_lshrrev_b32_e32 v8, s10, v8
	s_delay_alu instid0(VALU_DEP_1) | instskip(NEXT) | instid1(VALU_DEP_1)
	v_mul_lo_u32 v9, v8, s8
	v_sub_nc_u32_e32 v0, v0, v9
	s_delay_alu instid0(VALU_DEP_1)
	v_mul_lo_u32 v27, v0, s5
	v_mul_lo_u32 v14, v0, s4
	;; [unrolled: 1-line block ×6, first 2 shown]
	s_cbranch_scc1 .LBB117_191
; %bb.189:
	s_clause 0x2
	s_load_b96 s[8:10], s[2:3], 0x10
	s_load_b128 s[4:7], s[2:3], 0xdc
	s_load_b64 s[0:1], s[2:3], 0xec
	s_wait_kmcnt 0x0
	v_mul_hi_u32 v0, s9, v8
	s_delay_alu instid0(VALU_DEP_1) | instskip(NEXT) | instid1(VALU_DEP_1)
	v_add_nc_u32_e32 v0, v8, v0
	v_lshrrev_b32_e32 v0, s10, v0
	s_delay_alu instid0(VALU_DEP_1) | instskip(NEXT) | instid1(VALU_DEP_1)
	v_mul_lo_u32 v0, v0, s8
	v_sub_nc_u32_e32 v0, v8, v0
	s_delay_alu instid0(VALU_DEP_1)
	v_mad_u32 v14, v0, s4, v14
	v_mad_u32 v27, v0, s5, v27
	;; [unrolled: 1-line block ×6, first 2 shown]
	s_branch .LBB117_191
.LBB117_190:
	v_dual_mov_b32 v27, 0 :: v_dual_mov_b32 v14, 0
	v_dual_mov_b32 v25, 0 :: v_dual_mov_b32 v26, 0
	;; [unrolled: 1-line block ×3, first 2 shown]
	s_and_not1_b32 vcc_lo, exec_lo, s6
	s_cbranch_vccz .LBB117_188
.LBB117_191:
	v_cmp_ne_u32_e32 vcc_lo, 1, v7
	s_cbranch_vccnz .LBB117_197
; %bb.192:
	s_cmp_lg_u32 s33, 0
	s_mov_b32 s6, 0
	s_cbranch_scc0 .LBB117_201
; %bb.193:
	s_min_u32 s7, s68, 15
	v_dual_mov_b32 v17, 0 :: v_dual_mov_b32 v0, v5
	v_dual_mov_b32 v16, 0 :: v_dual_mov_b32 v19, 0
	v_dual_mov_b32 v18, 0 :: v_dual_mov_b32 v15, 0
	v_mov_b32_e32 v20, 0
	s_add_co_i32 s4, s7, 1
	s_mov_b64 s[0:1], 0xffffffffffffffd0
	s_and_b32 s8, s4, 30
	s_add_nc_u64 s[0:1], s[2:3], s[0:1]
	s_mov_b64 s[4:5], s[2:3]
.LBB117_194:                            ; =>This Inner Loop Header: Depth=1
	s_clause 0x1
	s_load_b128 s[20:23], s[4:5], 0x4
	s_load_b64 s[10:11], s[4:5], 0x14
	s_clause 0x1
	s_load_b256 s[12:19], s[0:1], 0xf4
	s_load_b128 s[24:27], s[0:1], 0x114
	s_add_co_i32 s8, s8, -2
	s_wait_xcnt 0x0
	s_add_nc_u64 s[4:5], s[4:5], 24
	s_cmp_lg_u32 s8, 0
	s_add_nc_u64 s[0:1], s[0:1], 48
	s_wait_kmcnt 0x0
	v_mul_hi_u32 v7, s21, v0
	s_delay_alu instid0(VALU_DEP_1) | instskip(NEXT) | instid1(VALU_DEP_1)
	v_add_nc_u32_e32 v7, v0, v7
	v_lshrrev_b32_e32 v7, s22, v7
	s_delay_alu instid0(VALU_DEP_1) | instskip(SKIP_1) | instid1(VALU_DEP_1)
	v_mul_hi_u32 v8, s10, v7
	v_mul_lo_u32 v9, v7, s20
	v_dual_add_nc_u32 v8, v7, v8 :: v_dual_sub_nc_u32 v9, v0, v9
	s_delay_alu instid0(VALU_DEP_1) | instskip(NEXT) | instid1(VALU_DEP_2)
	v_lshrrev_b32_e32 v0, s11, v8
	v_mad_u32 v8, v9, s13, v20
	v_mad_u32 v11, v9, s12, v15
	;; [unrolled: 1-line block ×4, first 2 shown]
	v_mul_lo_u32 v10, v0, s23
	v_mad_u32 v16, s17, v9, v16
	v_mad_u32 v9, s16, v9, v17
	s_delay_alu instid0(VALU_DEP_3) | instskip(NEXT) | instid1(VALU_DEP_1)
	v_sub_nc_u32_e32 v7, v7, v10
	v_mad_u32 v20, v7, s19, v8
	v_mad_u32 v15, v7, s18, v11
	;; [unrolled: 1-line block ×6, first 2 shown]
	s_cbranch_scc1 .LBB117_194
; %bb.195:
	s_bitcmp1_b32 s7, 0
	s_cselect_b32 s7, -1, 0
	s_delay_alu instid0(SALU_CYCLE_1)
	s_and_b32 vcc_lo, exec_lo, s7
	s_cbranch_vccnz .LBB117_198
; %bb.196:
	s_load_b96 s[12:14], s[4:5], 0x4
	s_load_b128 s[8:11], s[0:1], 0xf4
	s_wait_xcnt 0x0
	s_load_b64 s[4:5], s[0:1], 0x104
	s_wait_kmcnt 0x0
	v_mul_hi_u32 v7, s13, v0
	s_delay_alu instid0(VALU_DEP_1) | instskip(NEXT) | instid1(VALU_DEP_1)
	v_add_nc_u32_e32 v7, v0, v7
	v_lshrrev_b32_e32 v7, s14, v7
	s_delay_alu instid0(VALU_DEP_1) | instskip(NEXT) | instid1(VALU_DEP_1)
	v_mul_lo_u32 v7, v7, s12
	v_sub_nc_u32_e32 v0, v0, v7
	s_delay_alu instid0(VALU_DEP_1)
	v_mad_u32 v15, v0, s8, v15
	v_mad_u32 v20, v0, s9, v20
	;; [unrolled: 1-line block ×6, first 2 shown]
	s_and_not1_b32 vcc_lo, exec_lo, s6
	s_cbranch_vccz .LBB117_199
	s_branch .LBB117_202
.LBB117_197:
	s_mov_b32 s6, -1
                                        ; implicit-def: $vgpr20
                                        ; implicit-def: $vgpr15
                                        ; implicit-def: $vgpr18
                                        ; implicit-def: $vgpr19
                                        ; implicit-def: $vgpr16
                                        ; implicit-def: $vgpr17
.LBB117_198:
	s_delay_alu instid0(SALU_CYCLE_1)
	s_and_not1_b32 vcc_lo, exec_lo, s6
	s_cbranch_vccnz .LBB117_202
.LBB117_199:
	s_clause 0x2
	s_load_b96 s[8:10], s[2:3], 0x4
	s_load_b128 s[4:7], s[2:3], 0xc4
	s_load_b64 s[0:1], s[2:3], 0xd4
	s_cmp_lt_u32 s33, 2
	s_wait_kmcnt 0x0
	v_mul_hi_u32 v0, s9, v5
	s_delay_alu instid0(VALU_DEP_1) | instskip(NEXT) | instid1(VALU_DEP_1)
	v_add_nc_u32_e32 v0, v5, v0
	v_lshrrev_b32_e32 v0, s10, v0
	s_delay_alu instid0(VALU_DEP_1) | instskip(NEXT) | instid1(VALU_DEP_1)
	v_mul_lo_u32 v7, v0, s8
	v_sub_nc_u32_e32 v5, v5, v7
	s_delay_alu instid0(VALU_DEP_1)
	v_mul_lo_u32 v20, v5, s5
	v_mul_lo_u32 v15, v5, s4
	;; [unrolled: 1-line block ×6, first 2 shown]
	s_cbranch_scc1 .LBB117_202
; %bb.200:
	s_clause 0x2
	s_load_b96 s[8:10], s[2:3], 0x10
	s_load_b128 s[4:7], s[2:3], 0xdc
	s_load_b64 s[0:1], s[2:3], 0xec
	s_wait_kmcnt 0x0
	v_mul_hi_u32 v5, s9, v0
	s_delay_alu instid0(VALU_DEP_1) | instskip(NEXT) | instid1(VALU_DEP_1)
	v_add_nc_u32_e32 v5, v0, v5
	v_lshrrev_b32_e32 v5, s10, v5
	s_delay_alu instid0(VALU_DEP_1) | instskip(NEXT) | instid1(VALU_DEP_1)
	v_mul_lo_u32 v5, v5, s8
	v_sub_nc_u32_e32 v0, v0, v5
	s_delay_alu instid0(VALU_DEP_1)
	v_mad_u32 v15, v0, s4, v15
	v_mad_u32 v20, v0, s5, v20
	;; [unrolled: 1-line block ×6, first 2 shown]
	s_branch .LBB117_202
.LBB117_201:
	v_dual_mov_b32 v20, 0 :: v_dual_mov_b32 v15, 0
	v_dual_mov_b32 v18, 0 :: v_dual_mov_b32 v19, 0
	;; [unrolled: 1-line block ×3, first 2 shown]
	s_and_not1_b32 vcc_lo, exec_lo, s6
	s_cbranch_vccz .LBB117_199
.LBB117_202:
	s_clause 0x1
	s_load_b128 s[4:7], s[2:3], 0x248
	s_load_b32 s0, s[2:3], 0x278
	s_cmp_eq_u64 s[34:35], 0
	s_mov_b32 s33, s38
	s_wait_kmcnt 0x0
	global_load_b32 v24, v6, s[6:7]
	s_wait_loadcnt 0x0
	v_cmp_ne_u32_e32 vcc_lo, s0, v24
	s_cselect_b32 s0, -1, 0
	s_delay_alu instid0(SALU_CYCLE_1) | instskip(SKIP_2) | instid1(SALU_CYCLE_1)
	s_or_b32 s0, s0, vcc_lo
	s_wait_xcnt 0x0
	s_and_saveexec_b32 s1, s0
	s_xor_b32 s0, exec_lo, s1
	s_cbranch_execnz .LBB117_258
; %bb.203:
	s_or_saveexec_b32 s40, s0
	s_mov_b32 s0, 0
	s_xor_b32 exec_lo, exec_lo, s40
	s_cbranch_execz .LBB117_307
.LBB117_204:
	s_clause 0x1
	s_load_b64 s[16:17], s[2:3], 0x258
	s_load_b64 s[14:15], s[2:3], 0x288
	s_get_pc_i64 s[0:1]
	s_add_nc_u64 s[0:1], s[0:1], .str.7@rel64+4
	s_mov_b32 s41, s33
	s_cmp_eq_u64 s[0:1], 0
	s_cselect_b32 s0, -1, 0
	s_wait_kmcnt 0x0
	global_load_b32 v23, v2, s[16:17]
	s_wait_loadcnt 0x0
	v_cmp_ne_u32_e32 vcc_lo, s14, v23
	s_or_b32 s0, s0, vcc_lo
	s_wait_xcnt 0x0
	s_and_saveexec_b32 s1, s0
	s_delay_alu instid0(SALU_CYCLE_1)
	s_xor_b32 s0, exec_lo, s1
	s_cbranch_execnz .LBB117_264
; %bb.205:
	s_or_saveexec_b32 s42, s0
	s_mov_b32 s0, 0
	s_xor_b32 exec_lo, exec_lo, s42
	s_cbranch_execz .LBB117_306
.LBB117_206:
	s_clause 0x1
	s_load_b128 s[8:11], s[2:3], 0x260
	s_load_b64 s[18:19], s[2:3], 0x280
	s_get_pc_i64 s[12:13]
	s_add_nc_u64 s[12:13], s[12:13], .str.8@rel64+4
	s_wait_kmcnt 0x0
	s_mov_b32 s19, s41
	global_load_b32 v2, v4, s[8:9]
	global_load_b32 v0, v3, s[10:11]
	s_wait_loadcnt 0x0
	v_sub_nc_u32_e32 v3, v0, v2
	s_delay_alu instid0(VALU_DEP_1) | instskip(SKIP_4) | instid1(SALU_CYCLE_1)
	v_cmp_gt_i32_e32 vcc_lo, v24, v3
	v_cmp_lt_i32_e64 s0, s18, v3
	s_or_b32 s0, vcc_lo, s0
	s_cmp_eq_u64 s[12:13], 0
	s_cselect_b32 s1, -1, 0
	s_or_b32 s0, s1, s0
	s_delay_alu instid0(SALU_CYCLE_1) | instskip(NEXT) | instid1(SALU_CYCLE_1)
	s_and_saveexec_b32 s1, s0
	s_xor_b32 s0, exec_lo, s1
	s_cbranch_execnz .LBB117_282
; %bb.207:
	s_or_saveexec_b32 s43, s0
	s_mov_b32 s0, 0
	s_xor_b32 exec_lo, exec_lo, s43
	s_cbranch_execz .LBB117_305
.LBB117_208:
	s_clause 0x1
	s_load_b32 s44, s[2:3], 0x290
	s_load_b64 s[22:23], s[2:3], 0x270
	v_cmp_gt_i64_e64 s0, s[14:15], 0
	v_mov_b64_e32 v[4:5], 0
	s_wait_kmcnt 0x0
	s_add_co_i32 s12, s44, -1
	s_delay_alu instid0(SALU_CYCLE_1) | instskip(SKIP_1) | instid1(SALU_CYCLE_1)
	s_cmp_gt_i32 s12, -1
	s_cselect_b32 s1, -1, 0
	s_and_b32 s0, s0, s1
	s_delay_alu instid0(SALU_CYCLE_1) | instskip(NEXT) | instid1(VALU_DEP_1)
	v_cndmask_b32_e64 v28, 0, 1, s0
	v_cmp_ne_u32_e32 vcc_lo, 1, v28
	s_cbranch_vccnz .LBB117_215
; %bb.209:
	global_load_b32 v4, v1, s[22:23]
	s_load_b128 s[24:27], s[2:3], 0x298
	s_mov_b32 s1, 0
	s_mov_b64 s[20:21], 0xffffffff
	s_mov_b32 s13, s1
	v_mov_b32_e32 v8, 0
	s_lshl_b64 s[28:29], s[12:13], 3
	s_mov_b32 s13, s44
	s_wait_kmcnt 0x0
	s_add_nc_u64 s[24:25], s[24:25], s[28:29]
	s_add_nc_u64 s[26:27], s[26:27], s[28:29]
	s_wait_loadcnt 0x0
	v_ashrrev_i32_e32 v5, 31, v4
	s_delay_alu instid0(VALU_DEP_1)
	v_mul_u64_e32 v[6:7], s[14:15], v[4:5]
	v_mov_b64_e32 v[4:5], 0
	s_branch .LBB117_211
.LBB117_210:                            ;   in Loop: Header=BB117_211 Depth=1
	s_or_b32 exec_lo, exec_lo, s0
	s_delay_alu instid0(VALU_DEP_1)
	v_mul_u64_e32 v[34:35], s[28:29], v[10:11]
	s_load_b64 s[28:29], s[26:27], 0x0
	s_add_co_i32 s13, s13, -1
	s_add_nc_u64 s[24:25], s[24:25], -8
	s_cmp_eq_u32 s13, 0
	s_wait_xcnt 0x0
	s_add_nc_u64 s[26:27], s[26:27], -8
	s_delay_alu instid0(VALU_DEP_1) | instskip(SKIP_1) | instid1(VALU_DEP_1)
	v_sub_nc_u64_e32 v[6:7], v[6:7], v[34:35]
	s_wait_kmcnt 0x0
	v_mad_nc_u64_u32 v[4:5], v6, s28, v[4:5]
	s_delay_alu instid0(VALU_DEP_1) | instskip(NEXT) | instid1(VALU_DEP_1)
	v_mad_u32 v1, v7, s28, v5
	v_mad_u32 v5, v6, s29, v1
	v_mov_b64_e32 v[6:7], v[10:11]
	s_cbranch_scc1 .LBB117_215
.LBB117_211:                            ; =>This Inner Loop Header: Depth=1
	s_load_b64 s[28:29], s[24:25], 0x0
                                        ; implicit-def: $vgpr10_vgpr11
	s_mov_b32 s0, exec_lo
	s_wait_kmcnt 0x0
	s_delay_alu instid0(VALU_DEP_1) | instskip(NEXT) | instid1(VALU_DEP_1)
	v_or_b32_e32 v9, s29, v7
	v_cmpx_ne_u64_e32 0, v[8:9]
	s_xor_b32 s36, exec_lo, s0
	s_cbranch_execz .LBB117_213
; %bb.212:                              ;   in Loop: Header=BB117_211 Depth=1
	s_ashr_i32 s30, s29, 31
	v_dual_mov_b32 v37, v8 :: v_dual_ashrrev_i32 v10, 31, v7
	s_mov_b32 s31, s30
	v_mov_b32_e32 v41, v8
	s_add_nc_u64 s[34:35], s[28:29], s[30:31]
	s_delay_alu instid0(VALU_DEP_2)
	v_mov_b32_e32 v11, v10
	s_xor_b64 s[34:35], s[34:35], s[30:31]
	v_mov_b32_e32 v45, v8
	s_cvt_f32_u32 s0, s34
	s_cvt_f32_u32 s31, s35
	s_sub_nc_u64 s[48:49], 0, s[34:35]
	v_add_nc_u64_e32 v[34:35], v[6:7], v[10:11]
	s_delay_alu instid0(SALU_CYCLE_1) | instskip(NEXT) | instid1(SALU_CYCLE_3)
	s_fmamk_f32 s0, s31, 0x4f800000, s0
	v_s_rcp_f32 s0, s0
	s_delay_alu instid0(VALU_DEP_1) | instskip(NEXT) | instid1(VALU_DEP_2)
	v_xor_b32_e32 v36, v34, v10
	v_xor_b32_e32 v40, v35, v10
	s_delay_alu instid0(TRANS32_DEP_1) | instskip(NEXT) | instid1(SALU_CYCLE_3)
	s_mul_f32 s0, s0, 0x5f7ffffc
	s_mul_f32 s31, s0, 0x2f800000
	s_delay_alu instid0(SALU_CYCLE_3) | instskip(NEXT) | instid1(SALU_CYCLE_3)
	s_trunc_f32 s31, s31
	s_fmamk_f32 s0, s31, 0xcf800000, s0
	s_cvt_u32_f32 s47, s31
	s_delay_alu instid0(SALU_CYCLE_2) | instskip(NEXT) | instid1(SALU_CYCLE_3)
	s_cvt_u32_f32 s46, s0
	s_mul_u64 s[50:51], s[48:49], s[46:47]
	s_delay_alu instid0(SALU_CYCLE_1)
	s_mul_hi_u32 s53, s46, s51
	s_mul_i32 s52, s46, s51
	s_mul_hi_u32 s0, s46, s50
	s_mul_i32 s37, s47, s50
	s_add_nc_u64 s[52:53], s[0:1], s[52:53]
	s_mul_hi_u32 s31, s47, s50
	s_mul_hi_u32 s45, s47, s51
	s_add_co_u32 s0, s52, s37
	s_add_co_ci_u32 s0, s53, s31
	s_mul_i32 s50, s47, s51
	s_add_co_ci_u32 s51, s45, 0
	s_delay_alu instid0(SALU_CYCLE_1) | instskip(NEXT) | instid1(SALU_CYCLE_1)
	s_add_nc_u64 s[50:51], s[0:1], s[50:51]
	s_add_co_u32 s46, s46, s50
	s_cselect_b32 s0, -1, 0
	s_delay_alu instid0(SALU_CYCLE_1) | instskip(SKIP_1) | instid1(SALU_CYCLE_1)
	s_cmp_lg_u32 s0, 0
	s_add_co_ci_u32 s47, s47, s51
	s_mul_u64 s[48:49], s[48:49], s[46:47]
	s_delay_alu instid0(SALU_CYCLE_1)
	s_mul_hi_u32 s51, s46, s49
	s_mul_i32 s50, s46, s49
	s_mul_hi_u32 s0, s46, s48
	s_mul_i32 s37, s47, s48
	s_add_nc_u64 s[50:51], s[0:1], s[50:51]
	s_mul_hi_u32 s31, s47, s48
	s_mul_hi_u32 s45, s47, s49
	s_add_co_u32 s0, s50, s37
	s_add_co_ci_u32 s0, s51, s31
	s_mul_i32 s48, s47, s49
	s_add_co_ci_u32 s49, s45, 0
	s_delay_alu instid0(SALU_CYCLE_1) | instskip(NEXT) | instid1(SALU_CYCLE_1)
	s_add_nc_u64 s[48:49], s[0:1], s[48:49]
	s_add_co_u32 s46, s46, s48
	s_cselect_b32 s0, -1, 0
	v_mul_hi_u32 v44, v36, s46
	s_cmp_lg_u32 s0, 0
	s_add_co_ci_u32 s0, s47, s49
	s_and_b64 s[48:49], s[46:47], s[20:21]
	v_mul_u64_e32 v[38:39], s[0:1], v[36:37]
	v_mul_u64_e32 v[34:35], s[48:49], v[40:41]
	;; [unrolled: 1-line block ×3, first 2 shown]
	s_delay_alu instid0(VALU_DEP_3) | instskip(NEXT) | instid1(VALU_DEP_1)
	v_add_nc_u64_e32 v[38:39], v[44:45], v[38:39]
	v_add_co_u32 v1, vcc_lo, v38, v34
	s_delay_alu instid0(VALU_DEP_2) | instskip(NEXT) | instid1(VALU_DEP_4)
	v_add_co_ci_u32_e32 v44, vcc_lo, v39, v35, vcc_lo
	v_add_co_ci_u32_e32 v43, vcc_lo, 0, v43, vcc_lo
	s_delay_alu instid0(VALU_DEP_1) | instskip(NEXT) | instid1(VALU_DEP_1)
	v_add_nc_u64_e32 v[34:35], v[44:45], v[42:43]
	v_mul_u64_e32 v[38:39], s[34:35], v[34:35]
	s_delay_alu instid0(VALU_DEP_1) | instskip(NEXT) | instid1(VALU_DEP_2)
	v_sub_nc_u32_e32 v1, v40, v39
	v_sub_co_u32 v3, vcc_lo, v36, v38
	s_delay_alu instid0(VALU_DEP_1) | instskip(NEXT) | instid1(VALU_DEP_3)
	v_sub_co_ci_u32_e64 v11, null, v40, v39, vcc_lo
	v_subrev_co_ci_u32_e64 v1, null, s35, v1, vcc_lo
	s_delay_alu instid0(VALU_DEP_3) | instskip(SKIP_1) | instid1(VALU_DEP_3)
	v_sub_co_u32 v9, s0, v3, s34
	v_add_nc_u64_e32 v[38:39], 1, v[34:35]
	v_subrev_co_ci_u32_e64 v1, null, 0, v1, s0
	s_delay_alu instid0(VALU_DEP_3) | instskip(SKIP_1) | instid1(VALU_DEP_3)
	v_cmp_le_u32_e32 vcc_lo, s34, v9
	v_cndmask_b32_e64 v9, 0, -1, vcc_lo
	v_cmp_le_u32_e32 vcc_lo, s35, v1
	v_cndmask_b32_e64 v36, 0, -1, vcc_lo
	v_cmp_le_u32_e32 vcc_lo, s34, v3
	v_cndmask_b32_e64 v3, 0, -1, vcc_lo
	v_cmp_le_u32_e32 vcc_lo, s35, v11
	v_cndmask_b32_e64 v40, 0, -1, vcc_lo
	v_cmp_eq_u32_e32 vcc_lo, s35, v1
	v_cndmask_b32_e32 v1, v36, v9, vcc_lo
	v_cmp_eq_u32_e32 vcc_lo, s35, v11
	v_add_nc_u64_e32 v[36:37], 2, v[34:35]
	v_cndmask_b32_e32 v3, v40, v3, vcc_lo
	s_delay_alu instid0(VALU_DEP_4) | instskip(NEXT) | instid1(VALU_DEP_3)
	v_cmp_ne_u32_e32 vcc_lo, 0, v1
	v_cndmask_b32_e32 v1, v39, v37, vcc_lo
	s_delay_alu instid0(VALU_DEP_3) | instskip(SKIP_1) | instid1(VALU_DEP_1)
	v_cmp_ne_u32_e64 s0, 0, v3
	v_dual_cndmask_b32 v3, v38, v36, vcc_lo :: v_dual_bitop2_b32 v10, s30, v10 bitop3:0x14
	v_dual_cndmask_b32 v1, v35, v1, s0 :: v_dual_cndmask_b32 v3, v34, v3, s0
	s_delay_alu instid0(VALU_DEP_1) | instskip(NEXT) | instid1(VALU_DEP_2)
	v_dual_mov_b32 v11, v10 :: v_dual_bitop2_b32 v35, v1, v10 bitop3:0x14
	v_xor_b32_e32 v34, v3, v10
	s_delay_alu instid0(VALU_DEP_1)
	v_sub_nc_u64_e32 v[10:11], v[34:35], v[10:11]
.LBB117_213:                            ;   in Loop: Header=BB117_211 Depth=1
	s_and_not1_saveexec_b32 s0, s36
	s_cbranch_execz .LBB117_210
; %bb.214:                              ;   in Loop: Header=BB117_211 Depth=1
	v_cvt_f32_u32_e32 v1, s28
	s_sub_co_i32 s30, 0, s28
	v_mov_b32_e32 v11, v8
	s_delay_alu instid0(VALU_DEP_2) | instskip(SKIP_1) | instid1(TRANS32_DEP_1)
	v_rcp_iflag_f32_e32 v1, v1
	v_nop
	v_mul_f32_e32 v1, 0x4f7ffffe, v1
	s_delay_alu instid0(VALU_DEP_1) | instskip(NEXT) | instid1(VALU_DEP_1)
	v_cvt_u32_f32_e32 v1, v1
	v_mul_lo_u32 v3, s30, v1
	s_delay_alu instid0(VALU_DEP_1) | instskip(NEXT) | instid1(VALU_DEP_1)
	v_mul_hi_u32 v3, v1, v3
	v_add_nc_u32_e32 v1, v1, v3
	s_delay_alu instid0(VALU_DEP_1) | instskip(NEXT) | instid1(VALU_DEP_1)
	v_mul_hi_u32 v1, v6, v1
	v_mul_lo_u32 v3, v1, s28
	s_delay_alu instid0(VALU_DEP_1) | instskip(NEXT) | instid1(VALU_DEP_1)
	v_sub_nc_u32_e32 v3, v6, v3
	v_subrev_nc_u32_e32 v10, s28, v3
	v_cmp_le_u32_e32 vcc_lo, s28, v3
	s_delay_alu instid0(VALU_DEP_2) | instskip(NEXT) | instid1(VALU_DEP_1)
	v_dual_add_nc_u32 v9, 1, v1 :: v_dual_cndmask_b32 v3, v3, v10, vcc_lo
	v_cndmask_b32_e32 v1, v1, v9, vcc_lo
	s_delay_alu instid0(VALU_DEP_2) | instskip(NEXT) | instid1(VALU_DEP_2)
	v_cmp_le_u32_e32 vcc_lo, s28, v3
	v_add_nc_u32_e32 v9, 1, v1
	s_delay_alu instid0(VALU_DEP_1)
	v_cndmask_b32_e32 v10, v1, v9, vcc_lo
	s_branch .LBB117_210
.LBB117_215:
	s_load_b64 s[20:21], s[2:3], 0x2a8
	s_get_pc_i64 s[0:1]
	s_add_nc_u64 s[0:1], s[0:1], .str.9@rel64+4
	s_mov_b32 s45, s19
	s_cmp_lg_u64 s[0:1], 0
	s_mov_b32 s1, -1
	s_cselect_b32 s50, -1, 0
	s_mov_b32 s0, exec_lo
	v_cmpx_gt_i32_e64 v0, v2
	s_cbranch_execz .LBB117_222
; %bb.216:
	v_lshlrev_b64_e32 v[4:5], 2, v[4:5]
	v_dual_ashrrev_i32 v3, 31, v2 :: v_dual_ashrrev_i32 v1, 31, v0
	s_mov_b32 s13, 0
	s_xor_b32 s24, s50, -1
                                        ; implicit-def: $sgpr1
                                        ; implicit-def: $sgpr26
                                        ; implicit-def: $sgpr25
	s_delay_alu instid0(VALU_DEP_1) | instskip(SKIP_2) | instid1(VALU_DEP_2)
	v_lshl_add_u64 v[2:3], v[2:3], 2, v[4:5]
	s_wait_kmcnt 0x0
	v_add_nc_u64_e32 v[4:5], s[20:21], v[4:5]
	v_add_nc_u64_e32 v[2:3], s[20:21], v[2:3]
	s_delay_alu instid0(VALU_DEP_2) | instskip(NEXT) | instid1(VALU_DEP_2)
	v_lshl_add_u64 v[0:1], v[0:1], 2, v[4:5]
	v_add_nc_u64_e32 v[2:3], 4, v[2:3]
	s_branch .LBB117_218
.LBB117_217:                            ;   in Loop: Header=BB117_218 Depth=1
	s_or_b32 exec_lo, exec_lo, s27
	s_xor_b32 s27, s25, -1
	s_and_b32 s28, exec_lo, s26
	s_delay_alu instid0(SALU_CYCLE_1) | instskip(SKIP_2) | instid1(SALU_CYCLE_1)
	s_or_b32 s13, s28, s13
	s_and_not1_b32 s1, s1, exec_lo
	s_and_b32 s27, s27, exec_lo
	s_or_b32 s1, s1, s27
	s_and_not1_b32 exec_lo, exec_lo, s13
	s_cbranch_execz .LBB117_220
.LBB117_218:                            ; =>This Inner Loop Header: Depth=1
	s_or_b32 s25, s25, exec_lo
	s_or_b32 s26, s26, exec_lo
	s_mov_b32 s27, exec_lo
	s_delay_alu instid0(VALU_DEP_1)
	v_cmpx_lt_u64_e64 v[2:3], v[0:1]
	s_cbranch_execz .LBB117_217
; %bb.219:                              ;   in Loop: Header=BB117_218 Depth=1
	global_load_b64 v[4:5], v[2:3], off offset:-4
	s_wait_xcnt 0x0
	v_add_nc_u64_e32 v[2:3], 4, v[2:3]
	s_and_not1_b32 s26, s26, exec_lo
	s_and_not1_b32 s25, s25, exec_lo
	s_wait_loadcnt 0x0
	v_cmp_ge_i32_e32 vcc_lo, v4, v5
	s_or_b32 s28, s24, vcc_lo
	s_delay_alu instid0(SALU_CYCLE_1) | instskip(NEXT) | instid1(SALU_CYCLE_1)
	s_and_b32 s28, s28, exec_lo
	s_or_b32 s26, s26, s28
	s_branch .LBB117_217
.LBB117_220:
	s_or_b32 exec_lo, exec_lo, s13
	s_mov_b32 s13, -1
	s_mov_b32 s24, s19
	s_and_saveexec_b32 s25, s1
	s_delay_alu instid0(SALU_CYCLE_1)
	s_xor_b32 s1, exec_lo, s25
	s_cbranch_execnz .LBB117_257
.LBB117_221:
	s_or_b32 exec_lo, exec_lo, s1
	s_delay_alu instid0(SALU_CYCLE_1) | instskip(SKIP_1) | instid1(SALU_CYCLE_1)
	s_and_not1_b32 s1, s19, exec_lo
	s_and_b32 s24, s24, exec_lo
	s_or_b32 s45, s1, s24
	s_or_not1_b32 s1, s13, exec_lo
.LBB117_222:
	s_or_b32 exec_lo, exec_lo, s0
	s_mov_b32 s0, 0
	s_and_saveexec_b32 s46, s1
	s_cbranch_execz .LBB117_304
; %bb.223:
	global_load_b32 v0, v33, s[6:7]
	s_mov_b32 s47, s45
	s_mov_b32 s0, exec_lo
	s_wait_loadcnt 0x0
	v_cmpx_ne_u32_e64 v0, v24
	s_xor_b32 s0, exec_lo, s0
	s_cbranch_execnz .LBB117_283
; %bb.224:
	s_or_saveexec_b32 s48, s0
	s_mov_b32 s0, 0
	s_xor_b32 exec_lo, exec_lo, s48
	s_cbranch_execz .LBB117_303
.LBB117_225:
	global_load_b32 v0, v32, s[16:17]
	s_mov_b32 s49, s47
	s_mov_b32 s0, exec_lo
	s_wait_loadcnt 0x0
	v_cmpx_ne_u32_e64 v0, v23
	s_xor_b32 s0, exec_lo, s0
	s_cbranch_execnz .LBB117_289
; %bb.226:
	s_or_saveexec_b32 s51, s0
	s_mov_b32 s0, 0
	s_xor_b32 exec_lo, exec_lo, s51
	s_cbranch_execz .LBB117_302
.LBB117_227:
	global_load_b32 v2, v31, s[8:9]
	global_load_b32 v0, v30, s[10:11]
	s_mov_b32 s52, s49
	s_wait_loadcnt 0x0
	v_sub_nc_u32_e32 v1, v0, v2
	s_delay_alu instid0(VALU_DEP_1) | instskip(SKIP_4) | instid1(SALU_CYCLE_1)
	v_cmp_gt_i32_e32 vcc_lo, v24, v1
	v_cmp_lt_i32_e64 s0, s18, v1
	s_or_b32 s0, vcc_lo, s0
	s_wait_xcnt 0x0
	s_and_saveexec_b32 s1, s0
	s_xor_b32 s0, exec_lo, s1
	s_cbranch_execnz .LBB117_311
; %bb.228:
	s_or_saveexec_b32 s53, s0
	s_mov_b32 s0, 0
	s_xor_b32 exec_lo, exec_lo, s53
	s_cbranch_execz .LBB117_301
.LBB117_229:
	v_cmp_ne_u32_e32 vcc_lo, 1, v28
	v_mov_b64_e32 v[4:5], 0
	s_cbranch_vccnz .LBB117_236
; %bb.230:
	global_load_b32 v4, v29, s[22:23]
	s_load_b128 s[28:31], s[2:3], 0x298
	s_mov_b32 s1, 0
	s_mov_b64 s[24:25], 0xffffffff
	s_mov_b32 s13, s1
	v_mov_b32_e32 v8, 0
	s_lshl_b64 s[34:35], s[12:13], 3
	s_mov_b32 s13, s44
	s_wait_kmcnt 0x0
	s_add_nc_u64 s[26:27], s[28:29], s[34:35]
	s_add_nc_u64 s[28:29], s[30:31], s[34:35]
	s_wait_loadcnt 0x0
	v_ashrrev_i32_e32 v5, 31, v4
	s_delay_alu instid0(VALU_DEP_1)
	v_mul_u64_e32 v[6:7], s[14:15], v[4:5]
	v_mov_b64_e32 v[4:5], 0
	s_branch .LBB117_232
.LBB117_231:                            ;   in Loop: Header=BB117_232 Depth=1
	s_or_b32 exec_lo, exec_lo, s0
	s_delay_alu instid0(VALU_DEP_1)
	v_mul_u64_e32 v[30:31], s[30:31], v[10:11]
	s_load_b64 s[30:31], s[28:29], 0x0
	s_add_co_i32 s13, s13, -1
	s_add_nc_u64 s[26:27], s[26:27], -8
	s_cmp_eq_u32 s13, 0
	s_wait_xcnt 0x0
	s_add_nc_u64 s[28:29], s[28:29], -8
	s_delay_alu instid0(VALU_DEP_1) | instskip(SKIP_1) | instid1(VALU_DEP_1)
	v_sub_nc_u64_e32 v[6:7], v[6:7], v[30:31]
	s_wait_kmcnt 0x0
	v_mad_nc_u64_u32 v[4:5], v6, s30, v[4:5]
	s_delay_alu instid0(VALU_DEP_1) | instskip(NEXT) | instid1(VALU_DEP_1)
	v_mad_u32 v1, v7, s30, v5
	v_mad_u32 v5, v6, s31, v1
	v_mov_b64_e32 v[6:7], v[10:11]
	s_cbranch_scc1 .LBB117_236
.LBB117_232:                            ; =>This Inner Loop Header: Depth=1
	s_load_b64 s[30:31], s[26:27], 0x0
                                        ; implicit-def: $vgpr10_vgpr11
	s_mov_b32 s0, exec_lo
	s_wait_kmcnt 0x0
	s_delay_alu instid0(VALU_DEP_1) | instskip(NEXT) | instid1(VALU_DEP_1)
	v_or_b32_e32 v9, s31, v7
	v_cmpx_ne_u64_e32 0, v[8:9]
	s_xor_b32 s54, exec_lo, s0
	s_cbranch_execz .LBB117_234
; %bb.233:                              ;   in Loop: Header=BB117_232 Depth=1
	s_ashr_i32 s34, s31, 31
	v_dual_mov_b32 v33, v8 :: v_dual_ashrrev_i32 v10, 31, v7
	s_mov_b32 s35, s34
	v_mov_b32_e32 v37, v8
	s_add_nc_u64 s[36:37], s[30:31], s[34:35]
	s_delay_alu instid0(VALU_DEP_2)
	v_mov_b32_e32 v11, v10
	s_xor_b64 s[36:37], s[36:37], s[34:35]
	v_mov_b32_e32 v41, v8
	s_cvt_f32_u32 s0, s36
	s_cvt_f32_u32 s35, s37
	s_sub_nc_u64 s[58:59], 0, s[36:37]
	v_add_nc_u64_e32 v[30:31], v[6:7], v[10:11]
	s_delay_alu instid0(SALU_CYCLE_1) | instskip(NEXT) | instid1(SALU_CYCLE_3)
	s_fmamk_f32 s0, s35, 0x4f800000, s0
	v_s_rcp_f32 s0, s0
	s_delay_alu instid0(VALU_DEP_1) | instskip(NEXT) | instid1(VALU_DEP_2)
	v_xor_b32_e32 v32, v30, v10
	v_xor_b32_e32 v36, v31, v10
	s_delay_alu instid0(TRANS32_DEP_1) | instskip(NEXT) | instid1(SALU_CYCLE_3)
	s_mul_f32 s0, s0, 0x5f7ffffc
	s_mul_f32 s35, s0, 0x2f800000
	s_delay_alu instid0(SALU_CYCLE_3) | instskip(NEXT) | instid1(SALU_CYCLE_3)
	s_trunc_f32 s35, s35
	s_fmamk_f32 s0, s35, 0xcf800000, s0
	s_cvt_u32_f32 s57, s35
	s_delay_alu instid0(SALU_CYCLE_2) | instskip(NEXT) | instid1(SALU_CYCLE_3)
	s_cvt_u32_f32 s56, s0
	s_mul_u64 s[60:61], s[58:59], s[56:57]
	s_delay_alu instid0(SALU_CYCLE_1)
	s_mul_hi_u32 s63, s56, s61
	s_mul_i32 s62, s56, s61
	s_mul_hi_u32 s0, s56, s60
	s_mul_i32 s55, s57, s60
	s_add_nc_u64 s[62:63], s[0:1], s[62:63]
	s_mul_hi_u32 s35, s57, s60
	s_mul_hi_u32 s64, s57, s61
	s_add_co_u32 s0, s62, s55
	s_add_co_ci_u32 s0, s63, s35
	s_mul_i32 s60, s57, s61
	s_add_co_ci_u32 s61, s64, 0
	s_delay_alu instid0(SALU_CYCLE_1) | instskip(NEXT) | instid1(SALU_CYCLE_1)
	s_add_nc_u64 s[60:61], s[0:1], s[60:61]
	s_add_co_u32 s56, s56, s60
	s_cselect_b32 s0, -1, 0
	s_delay_alu instid0(SALU_CYCLE_1) | instskip(SKIP_1) | instid1(SALU_CYCLE_1)
	s_cmp_lg_u32 s0, 0
	s_add_co_ci_u32 s57, s57, s61
	s_mul_u64 s[58:59], s[58:59], s[56:57]
	s_delay_alu instid0(SALU_CYCLE_1)
	s_mul_hi_u32 s61, s56, s59
	s_mul_i32 s60, s56, s59
	s_mul_hi_u32 s0, s56, s58
	s_mul_i32 s55, s57, s58
	s_add_nc_u64 s[60:61], s[0:1], s[60:61]
	s_mul_hi_u32 s35, s57, s58
	s_mul_hi_u32 s62, s57, s59
	s_add_co_u32 s0, s60, s55
	s_add_co_ci_u32 s0, s61, s35
	s_mul_i32 s58, s57, s59
	s_add_co_ci_u32 s59, s62, 0
	s_delay_alu instid0(SALU_CYCLE_1) | instskip(NEXT) | instid1(SALU_CYCLE_1)
	s_add_nc_u64 s[58:59], s[0:1], s[58:59]
	s_add_co_u32 s56, s56, s58
	s_cselect_b32 s0, -1, 0
	v_mul_hi_u32 v40, v32, s56
	s_cmp_lg_u32 s0, 0
	s_add_co_ci_u32 s0, s57, s59
	s_and_b64 s[58:59], s[56:57], s[24:25]
	v_mul_u64_e32 v[34:35], s[0:1], v[32:33]
	v_mul_u64_e32 v[30:31], s[58:59], v[36:37]
	;; [unrolled: 1-line block ×3, first 2 shown]
	s_delay_alu instid0(VALU_DEP_3) | instskip(NEXT) | instid1(VALU_DEP_1)
	v_add_nc_u64_e32 v[34:35], v[40:41], v[34:35]
	v_add_co_u32 v1, vcc_lo, v34, v30
	s_delay_alu instid0(VALU_DEP_2) | instskip(NEXT) | instid1(VALU_DEP_4)
	v_add_co_ci_u32_e32 v40, vcc_lo, v35, v31, vcc_lo
	v_add_co_ci_u32_e32 v39, vcc_lo, 0, v39, vcc_lo
	s_delay_alu instid0(VALU_DEP_1) | instskip(NEXT) | instid1(VALU_DEP_1)
	v_add_nc_u64_e32 v[30:31], v[40:41], v[38:39]
	v_mul_u64_e32 v[34:35], s[36:37], v[30:31]
	s_delay_alu instid0(VALU_DEP_1) | instskip(SKIP_1) | instid1(VALU_DEP_3)
	v_sub_co_u32 v3, vcc_lo, v32, v34
	v_add_nc_u64_e32 v[32:33], 2, v[30:31]
	v_sub_nc_u32_e32 v1, v36, v35
	v_sub_co_ci_u32_e64 v11, null, v36, v35, vcc_lo
	s_delay_alu instid0(VALU_DEP_4) | instskip(NEXT) | instid1(VALU_DEP_3)
	v_sub_co_u32 v9, s0, v3, s36
	v_subrev_co_ci_u32_e64 v1, null, s37, v1, vcc_lo
	v_add_nc_u64_e32 v[34:35], 1, v[30:31]
	s_delay_alu instid0(VALU_DEP_3) | instskip(NEXT) | instid1(VALU_DEP_3)
	v_cmp_le_u32_e32 vcc_lo, s36, v9
	v_subrev_co_ci_u32_e64 v1, null, 0, v1, s0
	v_cndmask_b32_e64 v9, 0, -1, vcc_lo
	s_delay_alu instid0(VALU_DEP_2)
	v_cmp_le_u32_e32 vcc_lo, s37, v1
	v_cndmask_b32_e64 v29, 0, -1, vcc_lo
	v_cmp_le_u32_e32 vcc_lo, s36, v3
	v_cndmask_b32_e64 v3, 0, -1, vcc_lo
	;; [unrolled: 2-line block ×3, first 2 shown]
	v_cmp_eq_u32_e32 vcc_lo, s37, v1
	v_cndmask_b32_e32 v1, v29, v9, vcc_lo
	v_cmp_eq_u32_e32 vcc_lo, s37, v11
	s_delay_alu instid0(VALU_DEP_4) | instskip(NEXT) | instid1(VALU_DEP_3)
	v_cndmask_b32_e32 v3, v36, v3, vcc_lo
	v_cmp_ne_u32_e32 vcc_lo, 0, v1
	v_cndmask_b32_e32 v1, v35, v33, vcc_lo
	s_delay_alu instid0(VALU_DEP_3) | instskip(SKIP_1) | instid1(VALU_DEP_1)
	v_cmp_ne_u32_e64 s0, 0, v3
	v_dual_cndmask_b32 v3, v34, v32, vcc_lo :: v_dual_bitop2_b32 v10, s34, v10 bitop3:0x14
	v_dual_cndmask_b32 v1, v31, v1, s0 :: v_dual_cndmask_b32 v3, v30, v3, s0
	s_delay_alu instid0(VALU_DEP_1) | instskip(NEXT) | instid1(VALU_DEP_2)
	v_dual_mov_b32 v11, v10 :: v_dual_bitop2_b32 v31, v1, v10 bitop3:0x14
	v_xor_b32_e32 v30, v3, v10
	s_delay_alu instid0(VALU_DEP_1)
	v_sub_nc_u64_e32 v[10:11], v[30:31], v[10:11]
.LBB117_234:                            ;   in Loop: Header=BB117_232 Depth=1
	s_and_not1_saveexec_b32 s0, s54
	s_cbranch_execz .LBB117_231
; %bb.235:                              ;   in Loop: Header=BB117_232 Depth=1
	v_cvt_f32_u32_e32 v1, s30
	s_sub_co_i32 s34, 0, s30
	v_mov_b32_e32 v11, v8
	s_delay_alu instid0(VALU_DEP_2) | instskip(SKIP_1) | instid1(TRANS32_DEP_1)
	v_rcp_iflag_f32_e32 v1, v1
	v_nop
	v_mul_f32_e32 v1, 0x4f7ffffe, v1
	s_delay_alu instid0(VALU_DEP_1) | instskip(NEXT) | instid1(VALU_DEP_1)
	v_cvt_u32_f32_e32 v1, v1
	v_mul_lo_u32 v3, s34, v1
	s_delay_alu instid0(VALU_DEP_1) | instskip(NEXT) | instid1(VALU_DEP_1)
	v_mul_hi_u32 v3, v1, v3
	v_add_nc_u32_e32 v1, v1, v3
	s_delay_alu instid0(VALU_DEP_1) | instskip(NEXT) | instid1(VALU_DEP_1)
	v_mul_hi_u32 v1, v6, v1
	v_mul_lo_u32 v3, v1, s30
	s_delay_alu instid0(VALU_DEP_1) | instskip(NEXT) | instid1(VALU_DEP_1)
	v_sub_nc_u32_e32 v3, v6, v3
	v_subrev_nc_u32_e32 v10, s30, v3
	v_cmp_le_u32_e32 vcc_lo, s30, v3
	s_delay_alu instid0(VALU_DEP_2) | instskip(NEXT) | instid1(VALU_DEP_1)
	v_dual_add_nc_u32 v9, 1, v1 :: v_dual_cndmask_b32 v3, v3, v10, vcc_lo
	v_cndmask_b32_e32 v1, v1, v9, vcc_lo
	s_delay_alu instid0(VALU_DEP_2) | instskip(NEXT) | instid1(VALU_DEP_2)
	v_cmp_le_u32_e32 vcc_lo, s30, v3
	v_add_nc_u32_e32 v9, 1, v1
	s_delay_alu instid0(VALU_DEP_1)
	v_cndmask_b32_e32 v10, v1, v9, vcc_lo
	s_branch .LBB117_231
.LBB117_236:
	s_mov_b32 s1, -1
	s_mov_b32 s54, s52
	s_mov_b32 s0, exec_lo
	v_cmpx_gt_i32_e64 v0, v2
	s_cbranch_execz .LBB117_243
; %bb.237:
	s_delay_alu instid0(VALU_DEP_2) | instskip(SKIP_3) | instid1(VALU_DEP_1)
	v_lshlrev_b64_e32 v[4:5], 2, v[4:5]
	v_dual_ashrrev_i32 v3, 31, v2 :: v_dual_ashrrev_i32 v1, 31, v0
	s_mov_b32 s13, 0
	s_xor_b32 s24, s50, -1
                                        ; implicit-def: $sgpr1
                                        ; implicit-def: $sgpr26
                                        ; implicit-def: $sgpr25
	v_lshl_add_u64 v[2:3], v[2:3], 2, v[4:5]
	s_wait_kmcnt 0x0
	v_add_nc_u64_e32 v[4:5], s[20:21], v[4:5]
	s_delay_alu instid0(VALU_DEP_2) | instskip(NEXT) | instid1(VALU_DEP_2)
	v_add_nc_u64_e32 v[2:3], s[20:21], v[2:3]
	v_lshl_add_u64 v[0:1], v[0:1], 2, v[4:5]
	s_delay_alu instid0(VALU_DEP_2)
	v_add_nc_u64_e32 v[2:3], 4, v[2:3]
	s_branch .LBB117_239
.LBB117_238:                            ;   in Loop: Header=BB117_239 Depth=1
	s_or_b32 exec_lo, exec_lo, s27
	s_xor_b32 s27, s25, -1
	s_and_b32 s28, exec_lo, s26
	s_delay_alu instid0(SALU_CYCLE_1) | instskip(SKIP_2) | instid1(SALU_CYCLE_1)
	s_or_b32 s13, s28, s13
	s_and_not1_b32 s1, s1, exec_lo
	s_and_b32 s27, s27, exec_lo
	s_or_b32 s1, s1, s27
	s_and_not1_b32 exec_lo, exec_lo, s13
	s_cbranch_execz .LBB117_241
.LBB117_239:                            ; =>This Inner Loop Header: Depth=1
	s_or_b32 s25, s25, exec_lo
	s_or_b32 s26, s26, exec_lo
	s_mov_b32 s27, exec_lo
	s_delay_alu instid0(VALU_DEP_1)
	v_cmpx_lt_u64_e64 v[2:3], v[0:1]
	s_cbranch_execz .LBB117_238
; %bb.240:                              ;   in Loop: Header=BB117_239 Depth=1
	global_load_b64 v[4:5], v[2:3], off offset:-4
	s_wait_xcnt 0x0
	v_add_nc_u64_e32 v[2:3], 4, v[2:3]
	s_and_not1_b32 s26, s26, exec_lo
	s_and_not1_b32 s25, s25, exec_lo
	s_wait_loadcnt 0x0
	v_cmp_ge_i32_e32 vcc_lo, v4, v5
	s_or_b32 s28, s24, vcc_lo
	s_delay_alu instid0(SALU_CYCLE_1) | instskip(NEXT) | instid1(SALU_CYCLE_1)
	s_and_b32 s28, s28, exec_lo
	s_or_b32 s26, s26, s28
	s_branch .LBB117_238
.LBB117_241:
	s_or_b32 exec_lo, exec_lo, s13
	s_mov_b32 s13, -1
	s_mov_b32 s24, s52
	s_and_saveexec_b32 s25, s1
	s_delay_alu instid0(SALU_CYCLE_1)
	s_xor_b32 s1, exec_lo, s25
	s_cbranch_execnz .LBB117_281
.LBB117_242:
	s_or_b32 exec_lo, exec_lo, s1
	s_delay_alu instid0(SALU_CYCLE_1) | instskip(SKIP_1) | instid1(SALU_CYCLE_1)
	s_and_not1_b32 s1, s52, exec_lo
	s_and_b32 s24, s24, exec_lo
	s_or_b32 s54, s1, s24
	s_or_not1_b32 s1, s13, exec_lo
.LBB117_243:
	s_or_b32 exec_lo, exec_lo, s0
	s_mov_b32 s0, 0
	s_and_saveexec_b32 s55, s1
	s_cbranch_execz .LBB117_300
; %bb.244:
	global_load_b32 v0, v27, s[6:7]
	s_mov_b32 s56, s54
	s_mov_b32 s0, exec_lo
	s_wait_loadcnt 0x0
	v_cmpx_ne_u32_e64 v0, v24
	s_xor_b32 s0, exec_lo, s0
	s_cbranch_execnz .LBB117_312
; %bb.245:
	s_or_saveexec_b32 s57, s0
	s_mov_b32 s0, 0
	s_xor_b32 exec_lo, exec_lo, s57
	s_cbranch_execz .LBB117_299
.LBB117_246:
	global_load_b32 v0, v26, s[16:17]
	s_mov_b32 s58, s56
	s_mov_b32 s0, exec_lo
	s_wait_loadcnt 0x0
	v_cmpx_ne_u32_e64 v0, v23
	s_xor_b32 s0, exec_lo, s0
	s_cbranch_execnz .LBB117_313
; %bb.247:
	s_or_saveexec_b32 s59, s0
	s_mov_b32 s0, 0
	s_xor_b32 exec_lo, exec_lo, s59
	s_cbranch_execz .LBB117_298
.LBB117_248:
	global_load_b32 v2, v25, s[8:9]
	global_load_b32 v0, v22, s[10:11]
	s_mov_b32 s60, s58
	s_wait_loadcnt 0x0
	v_sub_nc_u32_e32 v1, v0, v2
	s_delay_alu instid0(VALU_DEP_1) | instskip(SKIP_4) | instid1(SALU_CYCLE_1)
	v_cmp_gt_i32_e32 vcc_lo, v24, v1
	v_cmp_lt_i32_e64 s0, s18, v1
	s_or_b32 s0, vcc_lo, s0
	s_wait_xcnt 0x0
	s_and_saveexec_b32 s1, s0
	s_xor_b32 s0, exec_lo, s1
	s_cbranch_execnz .LBB117_315
; %bb.249:
	s_or_saveexec_b32 s61, s0
	s_mov_b32 s0, 0
	s_xor_b32 exec_lo, exec_lo, s61
	s_cbranch_execz .LBB117_297
.LBB117_250:
	v_cmp_ne_u32_e32 vcc_lo, 1, v28
	v_mov_b64_e32 v[4:5], 0
	s_cbranch_vccnz .LBB117_259
; %bb.251:
	global_load_b32 v4, v21, s[22:23]
	s_load_b128 s[28:31], s[2:3], 0x298
	s_mov_b32 s1, 0
	s_mov_b64 s[24:25], 0xffffffff
	s_mov_b32 s13, s1
	v_mov_b32_e32 v8, 0
	s_lshl_b64 s[34:35], s[12:13], 3
	s_mov_b32 s13, s44
	s_wait_kmcnt 0x0
	s_add_nc_u64 s[26:27], s[28:29], s[34:35]
	s_add_nc_u64 s[28:29], s[30:31], s[34:35]
	s_wait_loadcnt 0x0
	v_ashrrev_i32_e32 v5, 31, v4
	s_delay_alu instid0(VALU_DEP_1)
	v_mul_u64_e32 v[6:7], s[14:15], v[4:5]
	v_mov_b64_e32 v[4:5], 0
	s_branch .LBB117_253
.LBB117_252:                            ;   in Loop: Header=BB117_253 Depth=1
	s_or_b32 exec_lo, exec_lo, s0
	s_delay_alu instid0(VALU_DEP_1)
	v_mul_u64_e32 v[26:27], s[30:31], v[10:11]
	s_load_b64 s[30:31], s[28:29], 0x0
	s_add_co_i32 s13, s13, -1
	s_add_nc_u64 s[26:27], s[26:27], -8
	s_cmp_eq_u32 s13, 0
	s_wait_xcnt 0x0
	s_add_nc_u64 s[28:29], s[28:29], -8
	s_delay_alu instid0(VALU_DEP_1) | instskip(SKIP_1) | instid1(VALU_DEP_1)
	v_sub_nc_u64_e32 v[6:7], v[6:7], v[26:27]
	s_wait_kmcnt 0x0
	v_mad_nc_u64_u32 v[4:5], v6, s30, v[4:5]
	s_delay_alu instid0(VALU_DEP_1) | instskip(NEXT) | instid1(VALU_DEP_1)
	v_mad_u32 v1, v7, s30, v5
	v_mad_u32 v5, v6, s31, v1
	v_mov_b64_e32 v[6:7], v[10:11]
	s_cbranch_scc1 .LBB117_259
.LBB117_253:                            ; =>This Inner Loop Header: Depth=1
	s_load_b64 s[30:31], s[26:27], 0x0
                                        ; implicit-def: $vgpr10_vgpr11
	s_mov_b32 s0, exec_lo
	s_wait_kmcnt 0x0
	s_delay_alu instid0(VALU_DEP_1) | instskip(NEXT) | instid1(VALU_DEP_1)
	v_or_b32_e32 v9, s31, v7
	v_cmpx_ne_u64_e32 0, v[8:9]
	s_xor_b32 s62, exec_lo, s0
	s_cbranch_execz .LBB117_255
; %bb.254:                              ;   in Loop: Header=BB117_253 Depth=1
	s_ashr_i32 s34, s31, 31
	v_dual_mov_b32 v31, v8 :: v_dual_ashrrev_i32 v10, 31, v7
	s_mov_b32 s35, s34
	v_mov_b32_e32 v35, v8
	s_add_nc_u64 s[36:37], s[30:31], s[34:35]
	s_delay_alu instid0(VALU_DEP_2)
	v_mov_b32_e32 v11, v10
	s_xor_b64 s[36:37], s[36:37], s[34:35]
	v_mov_b32_e32 v39, v8
	s_cvt_f32_u32 s0, s36
	s_cvt_f32_u32 s35, s37
	s_sub_nc_u64 s[66:67], 0, s[36:37]
	v_add_nc_u64_e32 v[26:27], v[6:7], v[10:11]
	s_delay_alu instid0(SALU_CYCLE_1) | instskip(NEXT) | instid1(SALU_CYCLE_3)
	s_fmamk_f32 s0, s35, 0x4f800000, s0
	v_s_rcp_f32 s0, s0
	s_delay_alu instid0(VALU_DEP_1) | instskip(NEXT) | instid1(VALU_DEP_2)
	v_xor_b32_e32 v30, v26, v10
	v_xor_b32_e32 v34, v27, v10
	;; [unrolled: 1-line block ×3, first 2 shown]
	s_delay_alu instid0(TRANS32_DEP_1) | instskip(NEXT) | instid1(SALU_CYCLE_3)
	s_mul_f32 s0, s0, 0x5f7ffffc
	s_mul_f32 s35, s0, 0x2f800000
	s_delay_alu instid0(SALU_CYCLE_3) | instskip(NEXT) | instid1(SALU_CYCLE_3)
	s_trunc_f32 s35, s35
	s_fmamk_f32 s0, s35, 0xcf800000, s0
	s_cvt_u32_f32 s65, s35
	s_delay_alu instid0(SALU_CYCLE_2) | instskip(NEXT) | instid1(SALU_CYCLE_3)
	s_cvt_u32_f32 s64, s0
	s_mul_u64 s[68:69], s[66:67], s[64:65]
	s_delay_alu instid0(SALU_CYCLE_1)
	s_mul_hi_u32 s71, s64, s69
	s_mul_i32 s70, s64, s69
	s_mul_hi_u32 s0, s64, s68
	s_mul_i32 s63, s65, s68
	s_add_nc_u64 s[70:71], s[0:1], s[70:71]
	s_mul_hi_u32 s35, s65, s68
	s_mul_hi_u32 s72, s65, s69
	s_add_co_u32 s0, s70, s63
	s_add_co_ci_u32 s0, s71, s35
	s_mul_i32 s68, s65, s69
	s_add_co_ci_u32 s69, s72, 0
	s_delay_alu instid0(SALU_CYCLE_1) | instskip(NEXT) | instid1(SALU_CYCLE_1)
	s_add_nc_u64 s[68:69], s[0:1], s[68:69]
	s_add_co_u32 s64, s64, s68
	s_cselect_b32 s0, -1, 0
	s_delay_alu instid0(SALU_CYCLE_1) | instskip(SKIP_1) | instid1(SALU_CYCLE_1)
	s_cmp_lg_u32 s0, 0
	s_add_co_ci_u32 s65, s65, s69
	s_mul_u64 s[66:67], s[66:67], s[64:65]
	s_delay_alu instid0(SALU_CYCLE_1)
	s_mul_hi_u32 s69, s64, s67
	s_mul_i32 s68, s64, s67
	s_mul_hi_u32 s0, s64, s66
	s_mul_i32 s63, s65, s66
	s_add_nc_u64 s[68:69], s[0:1], s[68:69]
	s_mul_hi_u32 s35, s65, s66
	s_mul_hi_u32 s70, s65, s67
	s_add_co_u32 s0, s68, s63
	s_add_co_ci_u32 s0, s69, s35
	s_mul_i32 s66, s65, s67
	s_add_co_ci_u32 s67, s70, 0
	s_delay_alu instid0(SALU_CYCLE_1) | instskip(NEXT) | instid1(SALU_CYCLE_1)
	s_add_nc_u64 s[66:67], s[0:1], s[66:67]
	s_add_co_u32 s64, s64, s66
	s_cselect_b32 s0, -1, 0
	v_mul_hi_u32 v38, v30, s64
	s_cmp_lg_u32 s0, 0
	s_add_co_ci_u32 s0, s65, s67
	s_and_b64 s[66:67], s[64:65], s[24:25]
	v_mul_u64_e32 v[32:33], s[0:1], v[30:31]
	v_mul_u64_e32 v[26:27], s[66:67], v[34:35]
	;; [unrolled: 1-line block ×3, first 2 shown]
	s_delay_alu instid0(VALU_DEP_3) | instskip(NEXT) | instid1(VALU_DEP_1)
	v_add_nc_u64_e32 v[32:33], v[38:39], v[32:33]
	v_add_co_u32 v1, vcc_lo, v32, v26
	s_delay_alu instid0(VALU_DEP_2) | instskip(NEXT) | instid1(VALU_DEP_4)
	v_add_co_ci_u32_e32 v38, vcc_lo, v33, v27, vcc_lo
	v_add_co_ci_u32_e32 v37, vcc_lo, 0, v37, vcc_lo
	s_delay_alu instid0(VALU_DEP_1) | instskip(NEXT) | instid1(VALU_DEP_1)
	v_add_nc_u64_e32 v[26:27], v[38:39], v[36:37]
	v_mul_u64_e32 v[32:33], s[36:37], v[26:27]
	s_delay_alu instid0(VALU_DEP_1) | instskip(SKIP_1) | instid1(VALU_DEP_3)
	v_sub_co_u32 v3, vcc_lo, v30, v32
	v_add_nc_u64_e32 v[30:31], 2, v[26:27]
	v_sub_nc_u32_e32 v1, v34, v33
	v_sub_co_ci_u32_e64 v11, null, v34, v33, vcc_lo
	s_delay_alu instid0(VALU_DEP_4) | instskip(NEXT) | instid1(VALU_DEP_3)
	v_sub_co_u32 v9, s0, v3, s36
	v_subrev_co_ci_u32_e64 v1, null, s37, v1, vcc_lo
	v_add_nc_u64_e32 v[32:33], 1, v[26:27]
	s_delay_alu instid0(VALU_DEP_3) | instskip(NEXT) | instid1(VALU_DEP_3)
	v_cmp_le_u32_e32 vcc_lo, s36, v9
	v_subrev_co_ci_u32_e64 v1, null, 0, v1, s0
	v_cndmask_b32_e64 v9, 0, -1, vcc_lo
	s_delay_alu instid0(VALU_DEP_2)
	v_cmp_le_u32_e32 vcc_lo, s37, v1
	v_cndmask_b32_e64 v21, 0, -1, vcc_lo
	v_cmp_le_u32_e32 vcc_lo, s36, v3
	v_cndmask_b32_e64 v3, 0, -1, vcc_lo
	;; [unrolled: 2-line block ×3, first 2 shown]
	v_cmp_eq_u32_e32 vcc_lo, s37, v1
	v_cndmask_b32_e32 v1, v21, v9, vcc_lo
	v_cmp_eq_u32_e32 vcc_lo, s37, v11
	v_mov_b32_e32 v11, v10
	v_cndmask_b32_e32 v3, v22, v3, vcc_lo
	s_delay_alu instid0(VALU_DEP_4) | instskip(NEXT) | instid1(VALU_DEP_2)
	v_cmp_ne_u32_e32 vcc_lo, 0, v1
	v_cmp_ne_u32_e64 s0, 0, v3
	v_dual_cndmask_b32 v1, v33, v31, vcc_lo :: v_dual_cndmask_b32 v3, v32, v30, vcc_lo
	s_delay_alu instid0(VALU_DEP_1) | instskip(NEXT) | instid1(VALU_DEP_1)
	v_dual_cndmask_b32 v1, v27, v1, s0 :: v_dual_cndmask_b32 v3, v26, v3, s0
	v_xor_b32_e32 v27, v1, v10
	s_delay_alu instid0(VALU_DEP_2) | instskip(NEXT) | instid1(VALU_DEP_1)
	v_xor_b32_e32 v26, v3, v10
	v_sub_nc_u64_e32 v[10:11], v[26:27], v[10:11]
.LBB117_255:                            ;   in Loop: Header=BB117_253 Depth=1
	s_and_not1_saveexec_b32 s0, s62
	s_cbranch_execz .LBB117_252
; %bb.256:                              ;   in Loop: Header=BB117_253 Depth=1
	v_cvt_f32_u32_e32 v1, s30
	s_sub_co_i32 s34, 0, s30
	v_mov_b32_e32 v11, v8
	s_delay_alu instid0(VALU_DEP_2) | instskip(SKIP_1) | instid1(TRANS32_DEP_1)
	v_rcp_iflag_f32_e32 v1, v1
	v_nop
	v_mul_f32_e32 v1, 0x4f7ffffe, v1
	s_delay_alu instid0(VALU_DEP_1) | instskip(NEXT) | instid1(VALU_DEP_1)
	v_cvt_u32_f32_e32 v1, v1
	v_mul_lo_u32 v3, s34, v1
	s_delay_alu instid0(VALU_DEP_1) | instskip(NEXT) | instid1(VALU_DEP_1)
	v_mul_hi_u32 v3, v1, v3
	v_add_nc_u32_e32 v1, v1, v3
	s_delay_alu instid0(VALU_DEP_1) | instskip(NEXT) | instid1(VALU_DEP_1)
	v_mul_hi_u32 v1, v6, v1
	v_mul_lo_u32 v3, v1, s30
	s_delay_alu instid0(VALU_DEP_1) | instskip(NEXT) | instid1(VALU_DEP_1)
	v_sub_nc_u32_e32 v3, v6, v3
	v_subrev_nc_u32_e32 v10, s30, v3
	v_cmp_le_u32_e32 vcc_lo, s30, v3
	s_delay_alu instid0(VALU_DEP_2) | instskip(NEXT) | instid1(VALU_DEP_1)
	v_dual_add_nc_u32 v9, 1, v1 :: v_dual_cndmask_b32 v3, v3, v10, vcc_lo
	v_cndmask_b32_e32 v1, v1, v9, vcc_lo
	s_delay_alu instid0(VALU_DEP_2) | instskip(NEXT) | instid1(VALU_DEP_2)
	v_cmp_le_u32_e32 vcc_lo, s30, v3
	v_add_nc_u32_e32 v9, 1, v1
	s_delay_alu instid0(VALU_DEP_1)
	v_cndmask_b32_e32 v10, v1, v9, vcc_lo
	s_branch .LBB117_252
.LBB117_257:
	s_or_b32 s24, s19, exec_lo
	s_xor_b32 s13, exec_lo, -1
	s_trap 2
	s_branch .LBB117_221
.LBB117_258:
	s_or_b32 s33, s38, exec_lo
	s_trap 2
                                        ; implicit-def: $vgpr3
                                        ; implicit-def: $vgpr1
                                        ; implicit-def: $vgpr2
                                        ; implicit-def: $vgpr4
                                        ; implicit-def: $vgpr30
                                        ; implicit-def: $vgpr29
                                        ; implicit-def: $vgpr32
                                        ; implicit-def: $vgpr31
                                        ; implicit-def: $vgpr33
                                        ; implicit-def: $vgpr22
                                        ; implicit-def: $vgpr21
                                        ; implicit-def: $vgpr26
                                        ; implicit-def: $vgpr25
                                        ; implicit-def: $vgpr27
                                        ; implicit-def: $vgpr17
                                        ; implicit-def: $vgpr16
                                        ; implicit-def: $vgpr19
                                        ; implicit-def: $vgpr18
                                        ; implicit-def: $vgpr20
                                        ; implicit-def: $vgpr24
	s_or_saveexec_b32 s40, s0
	s_mov_b32 s0, 0
	s_xor_b32 exec_lo, exec_lo, s40
	s_cbranch_execnz .LBB117_204
	s_branch .LBB117_307
.LBB117_259:
	s_mov_b32 s13, -1
	s_mov_b32 s1, s60
	s_mov_b32 s0, exec_lo
	v_cmpx_gt_i32_e64 v0, v2
	s_cbranch_execz .LBB117_267
; %bb.260:
	s_delay_alu instid0(VALU_DEP_2) | instskip(SKIP_3) | instid1(VALU_DEP_1)
	v_lshlrev_b64_e32 v[4:5], 2, v[4:5]
	v_dual_ashrrev_i32 v3, 31, v2 :: v_dual_ashrrev_i32 v1, 31, v0
	s_mov_b32 s13, 0
	s_xor_b32 s24, s50, -1
                                        ; implicit-def: $sgpr1
                                        ; implicit-def: $sgpr26
                                        ; implicit-def: $sgpr25
	v_lshl_add_u64 v[2:3], v[2:3], 2, v[4:5]
	s_wait_kmcnt 0x0
	v_add_nc_u64_e32 v[4:5], s[20:21], v[4:5]
	s_delay_alu instid0(VALU_DEP_2) | instskip(NEXT) | instid1(VALU_DEP_2)
	v_add_nc_u64_e32 v[2:3], s[20:21], v[2:3]
	v_lshl_add_u64 v[0:1], v[0:1], 2, v[4:5]
	s_delay_alu instid0(VALU_DEP_2)
	v_add_nc_u64_e32 v[2:3], 4, v[2:3]
	s_branch .LBB117_262
.LBB117_261:                            ;   in Loop: Header=BB117_262 Depth=1
	s_or_b32 exec_lo, exec_lo, s27
	s_xor_b32 s27, s25, -1
	s_and_b32 s28, exec_lo, s26
	s_delay_alu instid0(SALU_CYCLE_1) | instskip(SKIP_2) | instid1(SALU_CYCLE_1)
	s_or_b32 s13, s28, s13
	s_and_not1_b32 s1, s1, exec_lo
	s_and_b32 s27, s27, exec_lo
	s_or_b32 s1, s1, s27
	s_and_not1_b32 exec_lo, exec_lo, s13
	s_cbranch_execz .LBB117_265
.LBB117_262:                            ; =>This Inner Loop Header: Depth=1
	s_or_b32 s25, s25, exec_lo
	s_or_b32 s26, s26, exec_lo
	s_mov_b32 s27, exec_lo
	s_delay_alu instid0(VALU_DEP_1)
	v_cmpx_lt_u64_e64 v[2:3], v[0:1]
	s_cbranch_execz .LBB117_261
; %bb.263:                              ;   in Loop: Header=BB117_262 Depth=1
	global_load_b64 v[4:5], v[2:3], off offset:-4
	s_wait_xcnt 0x0
	v_add_nc_u64_e32 v[2:3], 4, v[2:3]
	s_and_not1_b32 s26, s26, exec_lo
	s_and_not1_b32 s25, s25, exec_lo
	s_wait_loadcnt 0x0
	v_cmp_ge_i32_e32 vcc_lo, v4, v5
	s_or_b32 s28, s24, vcc_lo
	s_delay_alu instid0(SALU_CYCLE_1) | instskip(NEXT) | instid1(SALU_CYCLE_1)
	s_and_b32 s28, s28, exec_lo
	s_or_b32 s26, s26, s28
	s_branch .LBB117_261
.LBB117_264:
	s_or_b32 s41, s33, exec_lo
	s_trap 2
                                        ; implicit-def: $vgpr23
                                        ; implicit-def: $vgpr3
                                        ; implicit-def: $vgpr1
                                        ; implicit-def: $vgpr4
                                        ; implicit-def: $vgpr30
                                        ; implicit-def: $vgpr29
                                        ; implicit-def: $vgpr32
                                        ; implicit-def: $vgpr31
                                        ; implicit-def: $vgpr33
                                        ; implicit-def: $vgpr22
                                        ; implicit-def: $vgpr21
                                        ; implicit-def: $vgpr26
                                        ; implicit-def: $vgpr25
                                        ; implicit-def: $vgpr27
                                        ; implicit-def: $vgpr17
                                        ; implicit-def: $vgpr16
                                        ; implicit-def: $vgpr19
                                        ; implicit-def: $vgpr18
                                        ; implicit-def: $vgpr20
                                        ; implicit-def: $vgpr24
	s_or_saveexec_b32 s42, s0
	s_mov_b32 s0, 0
	s_xor_b32 exec_lo, exec_lo, s42
	s_cbranch_execnz .LBB117_206
	s_branch .LBB117_306
.LBB117_265:
	s_or_b32 exec_lo, exec_lo, s13
	s_mov_b32 s13, -1
	s_mov_b32 s24, s60
	s_and_saveexec_b32 s25, s1
	s_delay_alu instid0(SALU_CYCLE_1)
	s_xor_b32 s1, exec_lo, s25
	s_cbranch_execnz .LBB117_310
.LBB117_266:
	s_or_b32 exec_lo, exec_lo, s1
	s_delay_alu instid0(SALU_CYCLE_1)
	s_and_not1_b32 s1, s60, exec_lo
	s_and_b32 s24, s24, exec_lo
	s_or_not1_b32 s13, s13, exec_lo
	s_or_b32 s1, s1, s24
.LBB117_267:
	s_or_b32 exec_lo, exec_lo, s0
	s_mov_b32 s0, 0
	s_and_saveexec_b32 s24, s13
	s_cbranch_execz .LBB117_296
; %bb.268:
	global_load_b32 v0, v20, s[6:7]
	s_mov_b32 s25, s1
	s_mov_b32 s0, exec_lo
	s_wait_loadcnt 0x0
	v_cmpx_ne_u32_e64 v0, v24
	s_xor_b32 s0, exec_lo, s0
	s_cbranch_execnz .LBB117_316
; %bb.269:
	s_or_saveexec_b32 s26, s0
	s_mov_b32 s0, 0
	s_xor_b32 exec_lo, exec_lo, s26
	s_cbranch_execz .LBB117_295
.LBB117_270:
	global_load_b32 v0, v19, s[16:17]
	s_mov_b32 s27, s25
	s_mov_b32 s0, exec_lo
	s_wait_loadcnt 0x0
	v_cmpx_ne_u32_e64 v0, v23
	s_xor_b32 s0, exec_lo, s0
	s_cbranch_execnz .LBB117_317
; %bb.271:
	s_or_saveexec_b32 s28, s0
	s_mov_b32 s0, 0
	s_xor_b32 exec_lo, exec_lo, s28
	s_cbranch_execz .LBB117_294
.LBB117_272:
	global_load_b32 v2, v18, s[8:9]
	global_load_b32 v0, v17, s[10:11]
	s_wait_loadcnt 0x0
	v_sub_nc_u32_e32 v1, v0, v2
	s_delay_alu instid0(VALU_DEP_1)
	v_cmp_gt_i32_e32 vcc_lo, v24, v1
	v_cmp_lt_i32_e64 s0, s18, v1
	s_mov_b32 s18, s27
	s_or_b32 s0, vcc_lo, s0
	s_wait_xcnt 0x0
	s_and_saveexec_b32 s6, s0
	s_delay_alu instid0(SALU_CYCLE_1)
	s_xor_b32 s0, exec_lo, s6
	s_cbranch_execnz .LBB117_318
; %bb.273:
	s_or_saveexec_b32 s29, s0
	s_mov_b32 s0, 0
	s_xor_b32 exec_lo, exec_lo, s29
	s_cbranch_execz .LBB117_293
.LBB117_274:
	v_cmp_ne_u32_e32 vcc_lo, 1, v28
	v_mov_b64_e32 v[4:5], 0
	s_cbranch_vccnz .LBB117_284
; %bb.275:
	global_load_b32 v4, v16, s[22:23]
	s_load_b128 s[8:11], s[2:3], 0x298
	s_mov_b32 s13, 0
	s_wait_xcnt 0x0
	s_mov_b64 s[2:3], 0xffffffff
	s_wait_loadcnt 0x0
	v_dual_mov_b32 v8, 0 :: v_dual_ashrrev_i32 v5, 31, v4
	s_delay_alu instid0(VALU_DEP_1)
	v_mul_u64_e32 v[6:7], s[14:15], v[4:5]
	v_mov_b64_e32 v[4:5], 0
	s_lshl_b64 s[14:15], s[12:13], 3
	s_wait_kmcnt 0x0
	s_add_nc_u64 s[6:7], s[8:9], s[14:15]
	s_add_nc_u64 s[8:9], s[10:11], s[14:15]
	s_branch .LBB117_277
.LBB117_276:                            ;   in Loop: Header=BB117_277 Depth=1
	s_or_b32 exec_lo, exec_lo, s0
	s_delay_alu instid0(VALU_DEP_1)
	v_mul_u64_e32 v[16:17], s[10:11], v[10:11]
	s_load_b64 s[10:11], s[8:9], 0x0
	s_add_co_i32 s44, s44, -1
	s_add_nc_u64 s[6:7], s[6:7], -8
	s_cmp_eq_u32 s44, 0
	s_wait_xcnt 0x0
	s_add_nc_u64 s[8:9], s[8:9], -8
	s_delay_alu instid0(VALU_DEP_1) | instskip(SKIP_1) | instid1(VALU_DEP_1)
	v_sub_nc_u64_e32 v[6:7], v[6:7], v[16:17]
	s_wait_kmcnt 0x0
	v_mad_nc_u64_u32 v[4:5], v6, s10, v[4:5]
	s_delay_alu instid0(VALU_DEP_1) | instskip(NEXT) | instid1(VALU_DEP_1)
	v_mad_u32 v1, v7, s10, v5
	v_mad_u32 v5, v6, s11, v1
	v_mov_b64_e32 v[6:7], v[10:11]
	s_cbranch_scc1 .LBB117_284
.LBB117_277:                            ; =>This Inner Loop Header: Depth=1
	s_load_b64 s[10:11], s[6:7], 0x0
                                        ; implicit-def: $vgpr10_vgpr11
	s_mov_b32 s0, exec_lo
	s_wait_kmcnt 0x0
	s_delay_alu instid0(VALU_DEP_1) | instskip(NEXT) | instid1(VALU_DEP_1)
	v_or_b32_e32 v9, s11, v7
	v_cmpx_ne_u64_e32 0, v[8:9]
	s_xor_b32 s22, exec_lo, s0
	s_cbranch_execz .LBB117_279
; %bb.278:                              ;   in Loop: Header=BB117_277 Depth=1
	s_ashr_i32 s14, s11, 31
	v_dual_mov_b32 v19, v8 :: v_dual_ashrrev_i32 v10, 31, v7
	s_mov_b32 s15, s14
	s_delay_alu instid0(SALU_CYCLE_1) | instskip(NEXT) | instid1(VALU_DEP_1)
	s_add_nc_u64 s[16:17], s[10:11], s[14:15]
	v_mov_b32_e32 v11, v10
	s_xor_b64 s[16:17], s[16:17], s[14:15]
	s_delay_alu instid0(SALU_CYCLE_1)
	s_cvt_f32_u32 s0, s16
	s_cvt_f32_u32 s12, s17
	s_sub_nc_u64 s[34:35], 0, s[16:17]
	v_add_nc_u64_e32 v[16:17], v[6:7], v[10:11]
	v_mov_b32_e32 v23, v8
	s_fmamk_f32 s0, s12, 0x4f800000, s0
	s_delay_alu instid0(SALU_CYCLE_3) | instskip(NEXT) | instid1(VALU_DEP_2)
	v_s_rcp_f32 s0, s0
	v_xor_b32_e32 v18, v16, v10
	s_delay_alu instid0(VALU_DEP_3) | instskip(SKIP_1) | instid1(TRANS32_DEP_1)
	v_dual_mov_b32 v27, v8 :: v_dual_bitop2_b32 v22, v17, v10 bitop3:0x14
	v_xor_b32_e32 v10, s14, v10
	s_mul_f32 s0, s0, 0x5f7ffffc
	s_delay_alu instid0(SALU_CYCLE_3) | instskip(NEXT) | instid1(SALU_CYCLE_3)
	s_mul_f32 s12, s0, 0x2f800000
	s_trunc_f32 s12, s12
	s_delay_alu instid0(SALU_CYCLE_3) | instskip(SKIP_1) | instid1(SALU_CYCLE_2)
	s_fmamk_f32 s0, s12, 0xcf800000, s0
	s_cvt_u32_f32 s31, s12
	s_cvt_u32_f32 s30, s0
	s_delay_alu instid0(SALU_CYCLE_3) | instskip(NEXT) | instid1(SALU_CYCLE_1)
	s_mul_u64 s[36:37], s[34:35], s[30:31]
	s_mul_hi_u32 s63, s30, s37
	s_mul_i32 s62, s30, s37
	s_mul_hi_u32 s12, s30, s36
	s_mul_i32 s15, s31, s36
	s_add_nc_u64 s[62:63], s[12:13], s[62:63]
	s_mul_hi_u32 s0, s31, s36
	s_mul_hi_u32 s23, s31, s37
	s_add_co_u32 s12, s62, s15
	s_add_co_ci_u32 s12, s63, s0
	s_mul_i32 s36, s31, s37
	s_add_co_ci_u32 s37, s23, 0
	s_delay_alu instid0(SALU_CYCLE_1) | instskip(NEXT) | instid1(SALU_CYCLE_1)
	s_add_nc_u64 s[36:37], s[12:13], s[36:37]
	s_add_co_u32 s30, s30, s36
	s_cselect_b32 s0, -1, 0
	s_delay_alu instid0(SALU_CYCLE_1) | instskip(SKIP_1) | instid1(SALU_CYCLE_1)
	s_cmp_lg_u32 s0, 0
	s_add_co_ci_u32 s31, s31, s37
	s_mul_u64 s[34:35], s[34:35], s[30:31]
	s_delay_alu instid0(SALU_CYCLE_1)
	s_mul_hi_u32 s37, s30, s35
	s_mul_i32 s36, s30, s35
	s_mul_hi_u32 s12, s30, s34
	s_mul_i32 s15, s31, s34
	s_add_nc_u64 s[36:37], s[12:13], s[36:37]
	s_mul_hi_u32 s0, s31, s34
	s_mul_hi_u32 s23, s31, s35
	s_add_co_u32 s12, s36, s15
	s_add_co_ci_u32 s12, s37, s0
	s_mul_i32 s34, s31, s35
	s_add_co_ci_u32 s35, s23, 0
	s_delay_alu instid0(SALU_CYCLE_1) | instskip(NEXT) | instid1(SALU_CYCLE_1)
	s_add_nc_u64 s[34:35], s[12:13], s[34:35]
	s_add_co_u32 s0, s30, s34
	s_cselect_b32 s12, -1, 0
	v_mul_hi_u32 v26, v18, s0
	s_cmp_lg_u32 s12, 0
	s_add_co_ci_u32 s12, s31, s35
	s_and_b64 s[30:31], s[0:1], s[2:3]
	v_mul_u64_e32 v[20:21], s[12:13], v[18:19]
	v_mul_u64_e32 v[16:17], s[30:31], v[22:23]
	;; [unrolled: 1-line block ×3, first 2 shown]
	s_delay_alu instid0(VALU_DEP_3) | instskip(NEXT) | instid1(VALU_DEP_1)
	v_add_nc_u64_e32 v[20:21], v[26:27], v[20:21]
	v_add_co_u32 v1, vcc_lo, v20, v16
	s_delay_alu instid0(VALU_DEP_2) | instskip(NEXT) | instid1(VALU_DEP_4)
	v_add_co_ci_u32_e32 v26, vcc_lo, v21, v17, vcc_lo
	v_add_co_ci_u32_e32 v25, vcc_lo, 0, v25, vcc_lo
	s_delay_alu instid0(VALU_DEP_1) | instskip(NEXT) | instid1(VALU_DEP_1)
	v_add_nc_u64_e32 v[16:17], v[26:27], v[24:25]
	v_mul_u64_e32 v[20:21], s[16:17], v[16:17]
	s_delay_alu instid0(VALU_DEP_1) | instskip(NEXT) | instid1(VALU_DEP_2)
	v_sub_nc_u32_e32 v1, v22, v21
	v_sub_co_u32 v3, vcc_lo, v18, v20
	s_delay_alu instid0(VALU_DEP_1) | instskip(NEXT) | instid1(VALU_DEP_3)
	v_sub_co_ci_u32_e64 v11, null, v22, v21, vcc_lo
	v_subrev_co_ci_u32_e64 v1, null, s17, v1, vcc_lo
	s_delay_alu instid0(VALU_DEP_3) | instskip(SKIP_1) | instid1(VALU_DEP_3)
	v_sub_co_u32 v9, s0, v3, s16
	v_add_nc_u64_e32 v[20:21], 1, v[16:17]
	v_subrev_co_ci_u32_e64 v1, null, 0, v1, s0
	s_delay_alu instid0(VALU_DEP_3) | instskip(SKIP_1) | instid1(VALU_DEP_3)
	v_cmp_le_u32_e32 vcc_lo, s16, v9
	v_cndmask_b32_e64 v9, 0, -1, vcc_lo
	v_cmp_le_u32_e32 vcc_lo, s17, v1
	v_cndmask_b32_e64 v18, 0, -1, vcc_lo
	;; [unrolled: 2-line block ×4, first 2 shown]
	v_cmp_eq_u32_e32 vcc_lo, s17, v1
	v_cndmask_b32_e32 v1, v18, v9, vcc_lo
	v_cmp_eq_u32_e32 vcc_lo, s17, v11
	v_add_nc_u64_e32 v[18:19], 2, v[16:17]
	v_mov_b32_e32 v11, v10
	v_cndmask_b32_e32 v3, v22, v3, vcc_lo
	v_cmp_ne_u32_e32 vcc_lo, 0, v1
	s_delay_alu instid0(VALU_DEP_2) | instskip(SKIP_1) | instid1(VALU_DEP_1)
	v_cmp_ne_u32_e64 s0, 0, v3
	v_dual_cndmask_b32 v1, v21, v19, vcc_lo :: v_dual_cndmask_b32 v3, v20, v18, vcc_lo
	v_dual_cndmask_b32 v1, v17, v1, s0 :: v_dual_cndmask_b32 v3, v16, v3, s0
	s_delay_alu instid0(VALU_DEP_1) | instskip(NEXT) | instid1(VALU_DEP_2)
	v_xor_b32_e32 v17, v1, v10
	v_xor_b32_e32 v16, v3, v10
	s_delay_alu instid0(VALU_DEP_1)
	v_sub_nc_u64_e32 v[10:11], v[16:17], v[10:11]
.LBB117_279:                            ;   in Loop: Header=BB117_277 Depth=1
	s_and_not1_saveexec_b32 s0, s22
	s_cbranch_execz .LBB117_276
; %bb.280:                              ;   in Loop: Header=BB117_277 Depth=1
	v_cvt_f32_u32_e32 v1, s10
	s_sub_co_i32 s12, 0, s10
	v_mov_b32_e32 v11, v8
	s_delay_alu instid0(VALU_DEP_2) | instskip(SKIP_1) | instid1(TRANS32_DEP_1)
	v_rcp_iflag_f32_e32 v1, v1
	v_nop
	v_mul_f32_e32 v1, 0x4f7ffffe, v1
	s_delay_alu instid0(VALU_DEP_1) | instskip(NEXT) | instid1(VALU_DEP_1)
	v_cvt_u32_f32_e32 v1, v1
	v_mul_lo_u32 v3, s12, v1
	s_delay_alu instid0(VALU_DEP_1) | instskip(NEXT) | instid1(VALU_DEP_1)
	v_mul_hi_u32 v3, v1, v3
	v_add_nc_u32_e32 v1, v1, v3
	s_delay_alu instid0(VALU_DEP_1) | instskip(NEXT) | instid1(VALU_DEP_1)
	v_mul_hi_u32 v1, v6, v1
	v_mul_lo_u32 v3, v1, s10
	s_delay_alu instid0(VALU_DEP_1) | instskip(NEXT) | instid1(VALU_DEP_1)
	v_sub_nc_u32_e32 v3, v6, v3
	v_subrev_nc_u32_e32 v10, s10, v3
	v_cmp_le_u32_e32 vcc_lo, s10, v3
	s_delay_alu instid0(VALU_DEP_2) | instskip(NEXT) | instid1(VALU_DEP_1)
	v_dual_add_nc_u32 v9, 1, v1 :: v_dual_cndmask_b32 v3, v3, v10, vcc_lo
	v_cndmask_b32_e32 v1, v1, v9, vcc_lo
	s_delay_alu instid0(VALU_DEP_2) | instskip(NEXT) | instid1(VALU_DEP_2)
	v_cmp_le_u32_e32 vcc_lo, s10, v3
	v_add_nc_u32_e32 v9, 1, v1
	s_delay_alu instid0(VALU_DEP_1)
	v_cndmask_b32_e32 v10, v1, v9, vcc_lo
	s_branch .LBB117_276
.LBB117_281:
	s_or_b32 s24, s52, exec_lo
	s_xor_b32 s13, exec_lo, -1
	s_trap 2
	s_branch .LBB117_242
.LBB117_282:
	s_or_b32 s19, s41, exec_lo
	s_trap 2
                                        ; implicit-def: $vgpr2
                                        ; implicit-def: $vgpr0
                                        ; implicit-def: $vgpr23
                                        ; implicit-def: $vgpr1
                                        ; implicit-def: $vgpr30
                                        ; implicit-def: $vgpr29
                                        ; implicit-def: $vgpr32
                                        ; implicit-def: $vgpr31
                                        ; implicit-def: $vgpr33
                                        ; implicit-def: $vgpr22
                                        ; implicit-def: $vgpr21
                                        ; implicit-def: $vgpr26
                                        ; implicit-def: $vgpr25
                                        ; implicit-def: $vgpr27
                                        ; implicit-def: $vgpr17
                                        ; implicit-def: $vgpr16
                                        ; implicit-def: $vgpr19
                                        ; implicit-def: $vgpr18
                                        ; implicit-def: $vgpr20
                                        ; implicit-def: $vgpr24
	s_or_saveexec_b32 s43, s0
	s_mov_b32 s0, 0
	s_xor_b32 exec_lo, exec_lo, s43
	s_cbranch_execnz .LBB117_208
	s_branch .LBB117_305
.LBB117_283:
	s_or_b32 s47, s45, exec_lo
	s_trap 2
                                        ; implicit-def: $vgpr28
                                        ; implicit-def: $vgpr23
                                        ; implicit-def: $vgpr30
                                        ; implicit-def: $vgpr29
                                        ; implicit-def: $vgpr32
                                        ; implicit-def: $vgpr31
                                        ; implicit-def: $vgpr22
                                        ; implicit-def: $vgpr21
                                        ; implicit-def: $vgpr26
                                        ; implicit-def: $vgpr25
                                        ; implicit-def: $vgpr27
                                        ; implicit-def: $vgpr17
                                        ; implicit-def: $vgpr16
                                        ; implicit-def: $vgpr19
                                        ; implicit-def: $vgpr18
                                        ; implicit-def: $vgpr20
                                        ; implicit-def: $vgpr24
	s_or_saveexec_b32 s48, s0
	s_mov_b32 s0, 0
	s_xor_b32 exec_lo, exec_lo, s48
	s_cbranch_execnz .LBB117_225
	s_branch .LBB117_303
.LBB117_284:
	s_mov_b32 s2, -1
	s_mov_b32 s3, s18
	s_mov_b32 s0, exec_lo
	v_cmpx_gt_i32_e64 v0, v2
	s_cbranch_execz .LBB117_292
; %bb.285:
	s_delay_alu instid0(VALU_DEP_2) | instskip(SKIP_3) | instid1(VALU_DEP_1)
	v_lshlrev_b64_e32 v[4:5], 2, v[4:5]
	v_dual_ashrrev_i32 v3, 31, v2 :: v_dual_ashrrev_i32 v1, 31, v0
	s_mov_b32 s3, 0
	s_xor_b32 s6, s50, -1
                                        ; implicit-def: $sgpr2
                                        ; implicit-def: $sgpr8
                                        ; implicit-def: $sgpr7
	v_lshl_add_u64 v[2:3], v[2:3], 2, v[4:5]
	s_wait_kmcnt 0x0
	v_add_nc_u64_e32 v[4:5], s[20:21], v[4:5]
	s_delay_alu instid0(VALU_DEP_2) | instskip(NEXT) | instid1(VALU_DEP_2)
	v_add_nc_u64_e32 v[2:3], s[20:21], v[2:3]
	v_lshl_add_u64 v[0:1], v[0:1], 2, v[4:5]
	s_delay_alu instid0(VALU_DEP_2)
	v_add_nc_u64_e32 v[2:3], 4, v[2:3]
	s_branch .LBB117_287
.LBB117_286:                            ;   in Loop: Header=BB117_287 Depth=1
	s_or_b32 exec_lo, exec_lo, s9
	s_xor_b32 s9, s7, -1
	s_and_b32 s10, exec_lo, s8
	s_delay_alu instid0(SALU_CYCLE_1) | instskip(SKIP_2) | instid1(SALU_CYCLE_1)
	s_or_b32 s3, s10, s3
	s_and_not1_b32 s2, s2, exec_lo
	s_and_b32 s9, s9, exec_lo
	s_or_b32 s2, s2, s9
	s_and_not1_b32 exec_lo, exec_lo, s3
	s_cbranch_execz .LBB117_290
.LBB117_287:                            ; =>This Inner Loop Header: Depth=1
	s_or_b32 s7, s7, exec_lo
	s_or_b32 s8, s8, exec_lo
	s_mov_b32 s9, exec_lo
	s_delay_alu instid0(VALU_DEP_1)
	v_cmpx_lt_u64_e64 v[2:3], v[0:1]
	s_cbranch_execz .LBB117_286
; %bb.288:                              ;   in Loop: Header=BB117_287 Depth=1
	global_load_b64 v[4:5], v[2:3], off offset:-4
	s_wait_xcnt 0x0
	v_add_nc_u64_e32 v[2:3], 4, v[2:3]
	s_and_not1_b32 s8, s8, exec_lo
	s_and_not1_b32 s7, s7, exec_lo
	s_wait_loadcnt 0x0
	v_cmp_ge_i32_e32 vcc_lo, v4, v5
	s_or_b32 s10, s6, vcc_lo
	s_delay_alu instid0(SALU_CYCLE_1) | instskip(NEXT) | instid1(SALU_CYCLE_1)
	s_and_b32 s10, s10, exec_lo
	s_or_b32 s8, s8, s10
	s_branch .LBB117_286
.LBB117_289:
	s_or_b32 s49, s47, exec_lo
	s_trap 2
                                        ; implicit-def: $vgpr28
                                        ; implicit-def: $vgpr23
                                        ; implicit-def: $vgpr30
                                        ; implicit-def: $vgpr29
                                        ; implicit-def: $vgpr31
                                        ; implicit-def: $vgpr22
                                        ; implicit-def: $vgpr21
                                        ; implicit-def: $vgpr26
                                        ; implicit-def: $vgpr25
                                        ; implicit-def: $vgpr27
                                        ; implicit-def: $vgpr17
                                        ; implicit-def: $vgpr16
                                        ; implicit-def: $vgpr19
                                        ; implicit-def: $vgpr18
                                        ; implicit-def: $vgpr20
                                        ; implicit-def: $vgpr24
	s_or_saveexec_b32 s51, s0
	s_mov_b32 s0, 0
	s_xor_b32 exec_lo, exec_lo, s51
	s_cbranch_execnz .LBB117_227
	s_branch .LBB117_302
.LBB117_290:
	s_or_b32 exec_lo, exec_lo, s3
	s_mov_b32 s3, -1
	s_mov_b32 s6, s18
	s_and_saveexec_b32 s7, s2
	s_delay_alu instid0(SALU_CYCLE_1)
	s_xor_b32 s2, exec_lo, s7
	s_cbranch_execnz .LBB117_314
.LBB117_291:
	s_or_b32 exec_lo, exec_lo, s2
	s_delay_alu instid0(SALU_CYCLE_1)
	s_and_not1_b32 s7, s18, exec_lo
	s_and_b32 s6, s6, exec_lo
	s_or_not1_b32 s2, s3, exec_lo
	s_or_b32 s3, s7, s6
.LBB117_292:
	s_or_b32 exec_lo, exec_lo, s0
	s_delay_alu instid0(SALU_CYCLE_1)
	s_and_not1_b32 s6, s18, exec_lo
	s_and_b32 s3, s3, exec_lo
	s_and_b32 s0, s2, exec_lo
	s_or_b32 s18, s6, s3
.LBB117_293:
	s_or_b32 exec_lo, exec_lo, s29
	s_delay_alu instid0(SALU_CYCLE_1)
	s_and_not1_b32 s2, s27, exec_lo
	s_and_b32 s3, s18, exec_lo
	s_and_b32 s0, s0, exec_lo
	s_or_b32 s27, s2, s3
.LBB117_294:
	s_or_b32 exec_lo, exec_lo, s28
	s_delay_alu instid0(SALU_CYCLE_1)
	s_and_not1_b32 s2, s25, exec_lo
	s_and_b32 s3, s27, exec_lo
	s_and_b32 s0, s0, exec_lo
	s_or_b32 s25, s2, s3
.LBB117_295:
	s_or_b32 exec_lo, exec_lo, s26
	s_delay_alu instid0(SALU_CYCLE_1)
	s_and_not1_b32 s1, s1, exec_lo
	s_and_b32 s2, s25, exec_lo
	s_and_b32 s0, s0, exec_lo
	s_or_b32 s1, s1, s2
.LBB117_296:
	s_or_b32 exec_lo, exec_lo, s24
	s_delay_alu instid0(SALU_CYCLE_1)
	s_and_not1_b32 s2, s60, exec_lo
	s_and_b32 s1, s1, exec_lo
	s_and_b32 s0, s0, exec_lo
	s_or_b32 s60, s2, s1
.LBB117_297:
	s_or_b32 exec_lo, exec_lo, s61
	s_delay_alu instid0(SALU_CYCLE_1)
	s_and_not1_b32 s1, s58, exec_lo
	s_and_b32 s2, s60, exec_lo
	s_and_b32 s0, s0, exec_lo
	s_or_b32 s58, s1, s2
.LBB117_298:
	s_or_b32 exec_lo, exec_lo, s59
	s_delay_alu instid0(SALU_CYCLE_1)
	s_and_not1_b32 s1, s56, exec_lo
	s_and_b32 s2, s58, exec_lo
	s_and_b32 s0, s0, exec_lo
	s_or_b32 s56, s1, s2
.LBB117_299:
	s_or_b32 exec_lo, exec_lo, s57
	s_delay_alu instid0(SALU_CYCLE_1)
	s_and_not1_b32 s1, s54, exec_lo
	s_and_b32 s2, s56, exec_lo
	s_and_b32 s0, s0, exec_lo
	s_or_b32 s54, s1, s2
.LBB117_300:
	s_or_b32 exec_lo, exec_lo, s55
	s_delay_alu instid0(SALU_CYCLE_1)
	s_and_not1_b32 s1, s52, exec_lo
	s_and_b32 s2, s54, exec_lo
	s_and_b32 s0, s0, exec_lo
	s_or_b32 s52, s1, s2
.LBB117_301:
	s_or_b32 exec_lo, exec_lo, s53
	s_delay_alu instid0(SALU_CYCLE_1)
	s_and_not1_b32 s1, s49, exec_lo
	s_and_b32 s2, s52, exec_lo
	s_and_b32 s0, s0, exec_lo
	s_or_b32 s49, s1, s2
.LBB117_302:
	s_or_b32 exec_lo, exec_lo, s51
	s_delay_alu instid0(SALU_CYCLE_1)
	s_and_not1_b32 s1, s47, exec_lo
	s_and_b32 s2, s49, exec_lo
	s_and_b32 s0, s0, exec_lo
	s_or_b32 s47, s1, s2
.LBB117_303:
	s_or_b32 exec_lo, exec_lo, s48
	s_delay_alu instid0(SALU_CYCLE_1)
	s_and_not1_b32 s1, s45, exec_lo
	s_and_b32 s2, s47, exec_lo
	s_and_b32 s0, s0, exec_lo
	s_or_b32 s45, s1, s2
.LBB117_304:
	s_or_b32 exec_lo, exec_lo, s46
	s_delay_alu instid0(SALU_CYCLE_1)
	s_and_not1_b32 s1, s19, exec_lo
	s_wait_xcnt 0x0
	s_and_b32 s2, s45, exec_lo
	s_and_b32 s0, s0, exec_lo
	s_or_b32 s19, s1, s2
.LBB117_305:
	s_or_b32 exec_lo, exec_lo, s43
	s_delay_alu instid0(SALU_CYCLE_1)
	s_and_not1_b32 s1, s41, exec_lo
	s_and_b32 s2, s19, exec_lo
	s_and_b32 s0, s0, exec_lo
	s_or_b32 s41, s1, s2
.LBB117_306:
	s_or_b32 exec_lo, exec_lo, s42
	s_delay_alu instid0(SALU_CYCLE_1)
	s_and_not1_b32 s1, s33, exec_lo
	s_and_b32 s2, s41, exec_lo
	s_and_b32 s0, s0, exec_lo
	s_or_b32 s33, s1, s2
.LBB117_307:
	s_or_b32 exec_lo, exec_lo, s40
	s_delay_alu instid0(SALU_CYCLE_1)
	s_and_not1_b32 s1, s38, exec_lo
	s_and_b32 s2, s33, exec_lo
	s_and_b32 s69, s0, exec_lo
	s_or_b32 s38, s1, s2
	s_or_b32 exec_lo, exec_lo, s39
	s_and_saveexec_b32 s0, s38
	s_cbranch_execnz .LBB117_145
.LBB117_308:
	s_or_b32 exec_lo, exec_lo, s0
	s_and_saveexec_b32 s0, s69
	s_cbranch_execz .LBB117_146
.LBB117_309:
	v_mov_b32_e32 v0, 0
	s_clause 0x3
	global_store_b32 v12, v0, s[4:5]
	global_store_b32 v13, v0, s[4:5]
	;; [unrolled: 1-line block ×4, first 2 shown]
	s_endpgm
.LBB117_310:
	s_or_b32 s24, s60, exec_lo
	s_xor_b32 s13, exec_lo, -1
	s_trap 2
	s_branch .LBB117_266
.LBB117_311:
	s_or_b32 s52, s49, exec_lo
	s_trap 2
                                        ; implicit-def: $vgpr2
                                        ; implicit-def: $vgpr0
                                        ; implicit-def: $vgpr28
                                        ; implicit-def: $vgpr23
                                        ; implicit-def: $vgpr29
                                        ; implicit-def: $vgpr22
                                        ; implicit-def: $vgpr21
                                        ; implicit-def: $vgpr26
                                        ; implicit-def: $vgpr25
                                        ; implicit-def: $vgpr27
                                        ; implicit-def: $vgpr17
                                        ; implicit-def: $vgpr16
                                        ; implicit-def: $vgpr19
                                        ; implicit-def: $vgpr18
                                        ; implicit-def: $vgpr20
                                        ; implicit-def: $vgpr24
	s_or_saveexec_b32 s53, s0
	s_mov_b32 s0, 0
	s_xor_b32 exec_lo, exec_lo, s53
	s_cbranch_execnz .LBB117_229
	s_branch .LBB117_301
.LBB117_312:
	s_or_b32 s56, s54, exec_lo
	s_trap 2
                                        ; implicit-def: $vgpr28
                                        ; implicit-def: $vgpr23
                                        ; implicit-def: $vgpr22
                                        ; implicit-def: $vgpr21
                                        ; implicit-def: $vgpr26
                                        ; implicit-def: $vgpr25
                                        ; implicit-def: $vgpr17
                                        ; implicit-def: $vgpr16
                                        ; implicit-def: $vgpr19
                                        ; implicit-def: $vgpr18
                                        ; implicit-def: $vgpr20
                                        ; implicit-def: $vgpr24
	s_or_saveexec_b32 s57, s0
	s_mov_b32 s0, 0
	s_xor_b32 exec_lo, exec_lo, s57
	s_cbranch_execnz .LBB117_246
	s_branch .LBB117_299
.LBB117_313:
	s_or_b32 s58, s56, exec_lo
	s_trap 2
                                        ; implicit-def: $vgpr28
                                        ; implicit-def: $vgpr23
                                        ; implicit-def: $vgpr22
                                        ; implicit-def: $vgpr21
                                        ; implicit-def: $vgpr25
                                        ; implicit-def: $vgpr17
                                        ; implicit-def: $vgpr16
                                        ; implicit-def: $vgpr19
                                        ; implicit-def: $vgpr18
                                        ; implicit-def: $vgpr20
                                        ; implicit-def: $vgpr24
	s_or_saveexec_b32 s59, s0
	s_mov_b32 s0, 0
	s_xor_b32 exec_lo, exec_lo, s59
	s_cbranch_execnz .LBB117_248
	s_branch .LBB117_298
.LBB117_314:
	s_xor_b32 s3, exec_lo, -1
	s_or_b32 s6, s18, exec_lo
	s_trap 2
	s_branch .LBB117_291
.LBB117_315:
	s_or_b32 s60, s58, exec_lo
	s_trap 2
                                        ; implicit-def: $vgpr2
                                        ; implicit-def: $vgpr0
                                        ; implicit-def: $vgpr28
                                        ; implicit-def: $vgpr23
                                        ; implicit-def: $vgpr21
                                        ; implicit-def: $vgpr17
                                        ; implicit-def: $vgpr16
                                        ; implicit-def: $vgpr19
                                        ; implicit-def: $vgpr18
                                        ; implicit-def: $vgpr20
                                        ; implicit-def: $vgpr24
	s_or_saveexec_b32 s61, s0
	s_mov_b32 s0, 0
	s_xor_b32 exec_lo, exec_lo, s61
	s_cbranch_execnz .LBB117_250
	s_branch .LBB117_297
.LBB117_316:
	s_or_b32 s25, s1, exec_lo
	s_trap 2
                                        ; implicit-def: $vgpr19
                                        ; implicit-def: $vgpr23
                                        ; implicit-def: $vgpr18
                                        ; implicit-def: $vgpr17
                                        ; implicit-def: $vgpr24
                                        ; implicit-def: $vgpr28
                                        ; implicit-def: $vgpr16
	s_or_saveexec_b32 s26, s0
	s_mov_b32 s0, 0
	s_xor_b32 exec_lo, exec_lo, s26
	s_cbranch_execnz .LBB117_270
	s_branch .LBB117_295
.LBB117_317:
	s_or_b32 s27, s25, exec_lo
	s_trap 2
                                        ; implicit-def: $vgpr18
                                        ; implicit-def: $vgpr17
                                        ; implicit-def: $vgpr24
                                        ; implicit-def: $vgpr28
                                        ; implicit-def: $vgpr16
	s_or_saveexec_b32 s28, s0
	s_mov_b32 s0, 0
	s_xor_b32 exec_lo, exec_lo, s28
	s_cbranch_execnz .LBB117_272
	s_branch .LBB117_294
.LBB117_318:
	s_or_b32 s18, s27, exec_lo
	s_trap 2
                                        ; implicit-def: $vgpr0
                                        ; implicit-def: $vgpr2
                                        ; implicit-def: $vgpr28
                                        ; implicit-def: $vgpr16
	s_or_saveexec_b32 s29, s0
	s_mov_b32 s0, 0
	s_xor_b32 exec_lo, exec_lo, s29
	s_cbranch_execnz .LBB117_274
	s_branch .LBB117_293
	.section	.rodata,"a",@progbits
	.p2align	6, 0x0
	.amdhsa_kernel _ZN2at6native32elementwise_kernel_manual_unrollILi128ELi4EZNS0_22gpu_kernel_impl_nocastIZZZNS0_12_GLOBAL__N_142_validate_compressed_sparse_indices_kernelILNS3_8CDimNameE1ENS3_18CUDAKernelLauncherENS3_14EmptyVecKernelENS3_8DummyVecELm0EEEvRKNS_6TensorESB_lllENKUlvE1_clEvENKUlvE_clEvEUliiiiiE_EEvRNS_18TensorIteratorBaseERKT_EUlibE_EEviT1_
		.amdhsa_group_segment_fixed_size 0
		.amdhsa_private_segment_fixed_size 0
		.amdhsa_kernarg_size 696
		.amdhsa_user_sgpr_count 2
		.amdhsa_user_sgpr_dispatch_ptr 0
		.amdhsa_user_sgpr_queue_ptr 0
		.amdhsa_user_sgpr_kernarg_segment_ptr 1
		.amdhsa_user_sgpr_dispatch_id 0
		.amdhsa_user_sgpr_kernarg_preload_length 0
		.amdhsa_user_sgpr_kernarg_preload_offset 0
		.amdhsa_user_sgpr_private_segment_size 0
		.amdhsa_wavefront_size32 1
		.amdhsa_uses_dynamic_stack 0
		.amdhsa_enable_private_segment 0
		.amdhsa_system_sgpr_workgroup_id_x 1
		.amdhsa_system_sgpr_workgroup_id_y 0
		.amdhsa_system_sgpr_workgroup_id_z 0
		.amdhsa_system_sgpr_workgroup_info 0
		.amdhsa_system_vgpr_workitem_id 0
		.amdhsa_next_free_vgpr 46
		.amdhsa_next_free_sgpr 104
		.amdhsa_named_barrier_count 0
		.amdhsa_reserve_vcc 1
		.amdhsa_float_round_mode_32 0
		.amdhsa_float_round_mode_16_64 0
		.amdhsa_float_denorm_mode_32 3
		.amdhsa_float_denorm_mode_16_64 3
		.amdhsa_fp16_overflow 0
		.amdhsa_memory_ordered 1
		.amdhsa_forward_progress 1
		.amdhsa_inst_pref_size 154
		.amdhsa_round_robin_scheduling 0
		.amdhsa_exception_fp_ieee_invalid_op 0
		.amdhsa_exception_fp_denorm_src 0
		.amdhsa_exception_fp_ieee_div_zero 0
		.amdhsa_exception_fp_ieee_overflow 0
		.amdhsa_exception_fp_ieee_underflow 0
		.amdhsa_exception_fp_ieee_inexact 0
		.amdhsa_exception_int_div_zero 0
	.end_amdhsa_kernel
	.section	.text._ZN2at6native32elementwise_kernel_manual_unrollILi128ELi4EZNS0_22gpu_kernel_impl_nocastIZZZNS0_12_GLOBAL__N_142_validate_compressed_sparse_indices_kernelILNS3_8CDimNameE1ENS3_18CUDAKernelLauncherENS3_14EmptyVecKernelENS3_8DummyVecELm0EEEvRKNS_6TensorESB_lllENKUlvE1_clEvENKUlvE_clEvEUliiiiiE_EEvRNS_18TensorIteratorBaseERKT_EUlibE_EEviT1_,"axG",@progbits,_ZN2at6native32elementwise_kernel_manual_unrollILi128ELi4EZNS0_22gpu_kernel_impl_nocastIZZZNS0_12_GLOBAL__N_142_validate_compressed_sparse_indices_kernelILNS3_8CDimNameE1ENS3_18CUDAKernelLauncherENS3_14EmptyVecKernelENS3_8DummyVecELm0EEEvRKNS_6TensorESB_lllENKUlvE1_clEvENKUlvE_clEvEUliiiiiE_EEvRNS_18TensorIteratorBaseERKT_EUlibE_EEviT1_,comdat
.Lfunc_end117:
	.size	_ZN2at6native32elementwise_kernel_manual_unrollILi128ELi4EZNS0_22gpu_kernel_impl_nocastIZZZNS0_12_GLOBAL__N_142_validate_compressed_sparse_indices_kernelILNS3_8CDimNameE1ENS3_18CUDAKernelLauncherENS3_14EmptyVecKernelENS3_8DummyVecELm0EEEvRKNS_6TensorESB_lllENKUlvE1_clEvENKUlvE_clEvEUliiiiiE_EEvRNS_18TensorIteratorBaseERKT_EUlibE_EEviT1_, .Lfunc_end117-_ZN2at6native32elementwise_kernel_manual_unrollILi128ELi4EZNS0_22gpu_kernel_impl_nocastIZZZNS0_12_GLOBAL__N_142_validate_compressed_sparse_indices_kernelILNS3_8CDimNameE1ENS3_18CUDAKernelLauncherENS3_14EmptyVecKernelENS3_8DummyVecELm0EEEvRKNS_6TensorESB_lllENKUlvE1_clEvENKUlvE_clEvEUliiiiiE_EEvRNS_18TensorIteratorBaseERKT_EUlibE_EEviT1_
                                        ; -- End function
	.set _ZN2at6native32elementwise_kernel_manual_unrollILi128ELi4EZNS0_22gpu_kernel_impl_nocastIZZZNS0_12_GLOBAL__N_142_validate_compressed_sparse_indices_kernelILNS3_8CDimNameE1ENS3_18CUDAKernelLauncherENS3_14EmptyVecKernelENS3_8DummyVecELm0EEEvRKNS_6TensorESB_lllENKUlvE1_clEvENKUlvE_clEvEUliiiiiE_EEvRNS_18TensorIteratorBaseERKT_EUlibE_EEviT1_.num_vgpr, 46
	.set _ZN2at6native32elementwise_kernel_manual_unrollILi128ELi4EZNS0_22gpu_kernel_impl_nocastIZZZNS0_12_GLOBAL__N_142_validate_compressed_sparse_indices_kernelILNS3_8CDimNameE1ENS3_18CUDAKernelLauncherENS3_14EmptyVecKernelENS3_8DummyVecELm0EEEvRKNS_6TensorESB_lllENKUlvE1_clEvENKUlvE_clEvEUliiiiiE_EEvRNS_18TensorIteratorBaseERKT_EUlibE_EEviT1_.num_agpr, 0
	.set _ZN2at6native32elementwise_kernel_manual_unrollILi128ELi4EZNS0_22gpu_kernel_impl_nocastIZZZNS0_12_GLOBAL__N_142_validate_compressed_sparse_indices_kernelILNS3_8CDimNameE1ENS3_18CUDAKernelLauncherENS3_14EmptyVecKernelENS3_8DummyVecELm0EEEvRKNS_6TensorESB_lllENKUlvE1_clEvENKUlvE_clEvEUliiiiiE_EEvRNS_18TensorIteratorBaseERKT_EUlibE_EEviT1_.numbered_sgpr, 104
	.set _ZN2at6native32elementwise_kernel_manual_unrollILi128ELi4EZNS0_22gpu_kernel_impl_nocastIZZZNS0_12_GLOBAL__N_142_validate_compressed_sparse_indices_kernelILNS3_8CDimNameE1ENS3_18CUDAKernelLauncherENS3_14EmptyVecKernelENS3_8DummyVecELm0EEEvRKNS_6TensorESB_lllENKUlvE1_clEvENKUlvE_clEvEUliiiiiE_EEvRNS_18TensorIteratorBaseERKT_EUlibE_EEviT1_.num_named_barrier, 0
	.set _ZN2at6native32elementwise_kernel_manual_unrollILi128ELi4EZNS0_22gpu_kernel_impl_nocastIZZZNS0_12_GLOBAL__N_142_validate_compressed_sparse_indices_kernelILNS3_8CDimNameE1ENS3_18CUDAKernelLauncherENS3_14EmptyVecKernelENS3_8DummyVecELm0EEEvRKNS_6TensorESB_lllENKUlvE1_clEvENKUlvE_clEvEUliiiiiE_EEvRNS_18TensorIteratorBaseERKT_EUlibE_EEviT1_.private_seg_size, 0
	.set _ZN2at6native32elementwise_kernel_manual_unrollILi128ELi4EZNS0_22gpu_kernel_impl_nocastIZZZNS0_12_GLOBAL__N_142_validate_compressed_sparse_indices_kernelILNS3_8CDimNameE1ENS3_18CUDAKernelLauncherENS3_14EmptyVecKernelENS3_8DummyVecELm0EEEvRKNS_6TensorESB_lllENKUlvE1_clEvENKUlvE_clEvEUliiiiiE_EEvRNS_18TensorIteratorBaseERKT_EUlibE_EEviT1_.uses_vcc, 1
	.set _ZN2at6native32elementwise_kernel_manual_unrollILi128ELi4EZNS0_22gpu_kernel_impl_nocastIZZZNS0_12_GLOBAL__N_142_validate_compressed_sparse_indices_kernelILNS3_8CDimNameE1ENS3_18CUDAKernelLauncherENS3_14EmptyVecKernelENS3_8DummyVecELm0EEEvRKNS_6TensorESB_lllENKUlvE1_clEvENKUlvE_clEvEUliiiiiE_EEvRNS_18TensorIteratorBaseERKT_EUlibE_EEviT1_.uses_flat_scratch, 0
	.set _ZN2at6native32elementwise_kernel_manual_unrollILi128ELi4EZNS0_22gpu_kernel_impl_nocastIZZZNS0_12_GLOBAL__N_142_validate_compressed_sparse_indices_kernelILNS3_8CDimNameE1ENS3_18CUDAKernelLauncherENS3_14EmptyVecKernelENS3_8DummyVecELm0EEEvRKNS_6TensorESB_lllENKUlvE1_clEvENKUlvE_clEvEUliiiiiE_EEvRNS_18TensorIteratorBaseERKT_EUlibE_EEviT1_.has_dyn_sized_stack, 0
	.set _ZN2at6native32elementwise_kernel_manual_unrollILi128ELi4EZNS0_22gpu_kernel_impl_nocastIZZZNS0_12_GLOBAL__N_142_validate_compressed_sparse_indices_kernelILNS3_8CDimNameE1ENS3_18CUDAKernelLauncherENS3_14EmptyVecKernelENS3_8DummyVecELm0EEEvRKNS_6TensorESB_lllENKUlvE1_clEvENKUlvE_clEvEUliiiiiE_EEvRNS_18TensorIteratorBaseERKT_EUlibE_EEviT1_.has_recursion, 0
	.set _ZN2at6native32elementwise_kernel_manual_unrollILi128ELi4EZNS0_22gpu_kernel_impl_nocastIZZZNS0_12_GLOBAL__N_142_validate_compressed_sparse_indices_kernelILNS3_8CDimNameE1ENS3_18CUDAKernelLauncherENS3_14EmptyVecKernelENS3_8DummyVecELm0EEEvRKNS_6TensorESB_lllENKUlvE1_clEvENKUlvE_clEvEUliiiiiE_EEvRNS_18TensorIteratorBaseERKT_EUlibE_EEviT1_.has_indirect_call, 0
	.section	.AMDGPU.csdata,"",@progbits
; Kernel info:
; codeLenInByte = 19700
; TotalNumSgprs: 106
; NumVgprs: 46
; ScratchSize: 0
; MemoryBound: 0
; FloatMode: 240
; IeeeMode: 1
; LDSByteSize: 0 bytes/workgroup (compile time only)
; SGPRBlocks: 0
; VGPRBlocks: 2
; NumSGPRsForWavesPerEU: 106
; NumVGPRsForWavesPerEU: 46
; NamedBarCnt: 0
; Occupancy: 16
; WaveLimiterHint : 1
; COMPUTE_PGM_RSRC2:SCRATCH_EN: 0
; COMPUTE_PGM_RSRC2:USER_SGPR: 2
; COMPUTE_PGM_RSRC2:TRAP_HANDLER: 0
; COMPUTE_PGM_RSRC2:TGID_X_EN: 1
; COMPUTE_PGM_RSRC2:TGID_Y_EN: 0
; COMPUTE_PGM_RSRC2:TGID_Z_EN: 0
; COMPUTE_PGM_RSRC2:TIDIG_COMP_CNT: 0
	.section	.text._ZN2at6native32elementwise_kernel_manual_unrollILi128ELi4EZNS0_15gpu_kernel_implIZZZNS0_12_GLOBAL__N_142_validate_compressed_sparse_indices_kernelILNS3_8CDimNameE1ENS3_18CUDAKernelLauncherENS3_14EmptyVecKernelENS3_8DummyVecELm0EEEvRKNS_6TensorESB_lllENKUlvE1_clEvENKUlvE_clEvEUliiiiiE_EEvRNS_18TensorIteratorBaseERKT_EUlibE_EEviT1_,"axG",@progbits,_ZN2at6native32elementwise_kernel_manual_unrollILi128ELi4EZNS0_15gpu_kernel_implIZZZNS0_12_GLOBAL__N_142_validate_compressed_sparse_indices_kernelILNS3_8CDimNameE1ENS3_18CUDAKernelLauncherENS3_14EmptyVecKernelENS3_8DummyVecELm0EEEvRKNS_6TensorESB_lllENKUlvE1_clEvENKUlvE_clEvEUliiiiiE_EEvRNS_18TensorIteratorBaseERKT_EUlibE_EEviT1_,comdat
	.globl	_ZN2at6native32elementwise_kernel_manual_unrollILi128ELi4EZNS0_15gpu_kernel_implIZZZNS0_12_GLOBAL__N_142_validate_compressed_sparse_indices_kernelILNS3_8CDimNameE1ENS3_18CUDAKernelLauncherENS3_14EmptyVecKernelENS3_8DummyVecELm0EEEvRKNS_6TensorESB_lllENKUlvE1_clEvENKUlvE_clEvEUliiiiiE_EEvRNS_18TensorIteratorBaseERKT_EUlibE_EEviT1_ ; -- Begin function _ZN2at6native32elementwise_kernel_manual_unrollILi128ELi4EZNS0_15gpu_kernel_implIZZZNS0_12_GLOBAL__N_142_validate_compressed_sparse_indices_kernelILNS3_8CDimNameE1ENS3_18CUDAKernelLauncherENS3_14EmptyVecKernelENS3_8DummyVecELm0EEEvRKNS_6TensorESB_lllENKUlvE1_clEvENKUlvE_clEvEUliiiiiE_EEvRNS_18TensorIteratorBaseERKT_EUlibE_EEviT1_
	.p2align	8
	.type	_ZN2at6native32elementwise_kernel_manual_unrollILi128ELi4EZNS0_15gpu_kernel_implIZZZNS0_12_GLOBAL__N_142_validate_compressed_sparse_indices_kernelILNS3_8CDimNameE1ENS3_18CUDAKernelLauncherENS3_14EmptyVecKernelENS3_8DummyVecELm0EEEvRKNS_6TensorESB_lllENKUlvE1_clEvENKUlvE_clEvEUliiiiiE_EEvRNS_18TensorIteratorBaseERKT_EUlibE_EEviT1_,@function
_ZN2at6native32elementwise_kernel_manual_unrollILi128ELi4EZNS0_15gpu_kernel_implIZZZNS0_12_GLOBAL__N_142_validate_compressed_sparse_indices_kernelILNS3_8CDimNameE1ENS3_18CUDAKernelLauncherENS3_14EmptyVecKernelENS3_8DummyVecELm0EEEvRKNS_6TensorESB_lllENKUlvE1_clEvENKUlvE_clEvEUliiiiiE_EEvRNS_18TensorIteratorBaseERKT_EUlibE_EEviT1_: ; @_ZN2at6native32elementwise_kernel_manual_unrollILi128ELi4EZNS0_15gpu_kernel_implIZZZNS0_12_GLOBAL__N_142_validate_compressed_sparse_indices_kernelILNS3_8CDimNameE1ENS3_18CUDAKernelLauncherENS3_14EmptyVecKernelENS3_8DummyVecELm0EEEvRKNS_6TensorESB_lllENKUlvE1_clEvENKUlvE_clEvEUliiiiiE_EEvRNS_18TensorIteratorBaseERKT_EUlibE_EEviT1_
; %bb.0:
	s_clause 0x1
	s_load_b64 s[2:3], s[0:1], 0x88
	s_load_b128 s[28:31], s[0:1], 0x78
	s_bfe_u32 s20, ttmp6, 0x4000c
	s_and_b32 s33, ttmp6, 15
	s_add_co_i32 s34, s20, 1
	s_clause 0x4
	s_load_b256 s[20:27], s[0:1], 0x58
	s_load_b32 s60, s[0:1], 0x0
	s_load_b256 s[4:11], s[0:1], 0x8
	s_load_b256 s[12:19], s[0:1], 0x28
	s_load_b96 s[36:38], s[0:1], 0x48
	s_wait_xcnt 0x0
	s_mul_i32 s0, ttmp9, s34
	s_getreg_b32 s40, hwreg(HW_REG_IB_STS2, 6, 4)
	s_add_co_i32 s33, s33, s0
	s_mov_b32 s52, 0
	s_wait_kmcnt 0x0
	s_lshr_b32 s39, s2, 8
	s_lshr_b32 s25, s2, 16
	s_lshr_b64 s[34:35], s[2:3], 24
	s_lshr_b32 s21, s3, 8
	s_cmp_eq_u32 s40, 0
	s_cselect_b32 s0, ttmp9, s33
	s_mov_b32 s33, 0
	v_lshl_or_b32 v22, s0, 9, v0
	s_mov_b32 s0, exec_lo
	s_delay_alu instid0(VALU_DEP_1) | instskip(NEXT) | instid1(VALU_DEP_1)
	v_or_b32_e32 v0, 0x180, v22
	v_cmpx_le_i32_e64 s60, v0
	s_xor_b32 s35, exec_lo, s0
	s_cbranch_execz .LBB118_2803
; %bb.1:
	s_get_pc_i64 s[0:1]
	s_add_nc_u64 s[0:1], s[0:1], .str.6@rel64+4
	s_get_pc_i64 s[40:41]
	s_add_nc_u64 s[40:41], s[40:41], .str.7@rel64+4
	s_cmp_lg_u64 s[0:1], 0
	s_get_pc_i64 s[0:1]
	s_add_nc_u64 s[0:1], s[0:1], .str.8@rel64+4
	s_cselect_b32 s58, -1, 0
	s_cmp_lg_u64 s[40:41], 0
	v_cmp_gt_i64_e64 s41, s[22:23], 0
	s_cselect_b32 s57, -1, 0
	s_cmp_lg_u64 s[0:1], 0
	s_get_pc_i64 s[42:43]
	s_add_nc_u64 s[42:43], s[42:43], .str.9@rel64+4
	s_cselect_b32 s56, -1, 0
	s_add_co_i32 s40, s24, -1
	s_mov_b32 s1, -1
	s_cmp_gt_i32 s40, -1
	s_mov_b32 s71, 0
	s_cselect_b32 s0, -1, 0
	s_mov_b32 s69, 0
	s_and_b32 s55, s41, s0
	s_cmp_lg_u64 s[42:43], 0
	s_mov_b32 s68, 0
	s_cselect_b32 s54, -1, 0
	s_mov_b32 s67, 0
	s_mov_b32 s66, 0
	;; [unrolled: 1-line block ×8, first 2 shown]
	s_mov_b32 s70, exec_lo
	v_cmpx_gt_i32_e64 s60, v22
	s_cbranch_execz .LBB118_630
; %bb.2:
	v_mul_lo_u32 v0, v22, s17
	s_and_b32 s0, s39, 0xff
	s_delay_alu instid0(SALU_CYCLE_1) | instskip(NEXT) | instid1(VALU_DEP_1)
	s_cmp_lt_i32 s0, 11
	v_ashrrev_i32_e32 v1, 31, v0
	s_delay_alu instid0(VALU_DEP_1)
	v_add_nc_u64_e32 v[0:1], s[6:7], v[0:1]
	s_cbranch_scc1 .LBB118_9
; %bb.3:
	s_and_b32 s1, 0xffff, s0
	s_delay_alu instid0(SALU_CYCLE_1)
	s_cmp_gt_i32 s1, 25
	s_cbranch_scc0 .LBB118_11
; %bb.4:
	s_cmp_gt_i32 s1, 28
	s_cbranch_scc0 .LBB118_12
; %bb.5:
	;; [unrolled: 3-line block ×4, first 2 shown]
	s_cmp_eq_u32 s1, 46
	s_mov_b32 s42, 0
	s_cbranch_scc0 .LBB118_15
; %bb.8:
	global_load_b32 v2, v[0:1], off
	s_mov_b32 s41, -1
	s_wait_loadcnt 0x0
	v_lshlrev_b32_e32 v2, 16, v2
	s_delay_alu instid0(VALU_DEP_1)
	v_cvt_i32_f32_e32 v7, v2
	s_branch .LBB118_17
.LBB118_9:
	s_mov_b32 s41, 0
                                        ; implicit-def: $vgpr7
	s_and_b32 vcc_lo, exec_lo, s1
	s_cbranch_vccnz .LBB118_77
.LBB118_10:
	s_and_not1_b32 vcc_lo, exec_lo, s41
	s_cbranch_vccz .LBB118_124
	s_branch .LBB118_628
.LBB118_11:
	s_mov_b32 s41, 0
                                        ; implicit-def: $vgpr7
	s_cbranch_execnz .LBB118_44
	s_branch .LBB118_76
.LBB118_12:
	s_mov_b32 s42, -1
	s_mov_b32 s41, 0
                                        ; implicit-def: $vgpr7
	s_branch .LBB118_27
.LBB118_13:
	s_mov_b32 s42, -1
	s_mov_b32 s41, 0
                                        ; implicit-def: $vgpr7
	s_branch .LBB118_22
.LBB118_14:
	s_mov_b32 s42, -1
	s_branch .LBB118_16
.LBB118_15:
	s_mov_b32 s69, -1
.LBB118_16:
	s_mov_b32 s41, 0
                                        ; implicit-def: $vgpr7
.LBB118_17:
	s_and_b32 vcc_lo, exec_lo, s42
	s_cbranch_vccz .LBB118_21
; %bb.18:
	s_cmp_eq_u32 s1, 44
	s_cbranch_scc0 .LBB118_20
; %bb.19:
	global_load_u8 v2, v[0:1], off
	s_mov_b32 s69, 0
	s_mov_b32 s41, -1
	s_wait_loadcnt 0x0
	v_lshlrev_b32_e32 v3, 23, v2
	v_cmp_ne_u32_e32 vcc_lo, 0, v2
	s_delay_alu instid0(VALU_DEP_2) | instskip(NEXT) | instid1(VALU_DEP_1)
	v_cvt_i32_f32_e32 v3, v3
	v_cndmask_b32_e32 v7, 0, v3, vcc_lo
	s_branch .LBB118_21
.LBB118_20:
	s_mov_b32 s69, -1
                                        ; implicit-def: $vgpr7
.LBB118_21:
	s_mov_b32 s42, 0
.LBB118_22:
	s_delay_alu instid0(SALU_CYCLE_1)
	s_and_b32 vcc_lo, exec_lo, s42
	s_cbranch_vccz .LBB118_26
; %bb.23:
	s_cmp_eq_u32 s1, 29
	s_cbranch_scc0 .LBB118_25
; %bb.24:
	global_load_b32 v7, v[0:1], off
	s_mov_b32 s41, -1
	s_mov_b32 s69, 0
	s_branch .LBB118_26
.LBB118_25:
	s_mov_b32 s69, -1
                                        ; implicit-def: $vgpr7
.LBB118_26:
	s_mov_b32 s42, 0
.LBB118_27:
	s_delay_alu instid0(SALU_CYCLE_1)
	s_and_b32 vcc_lo, exec_lo, s42
	s_cbranch_vccz .LBB118_43
; %bb.28:
	s_cmp_lt_i32 s1, 27
	s_cbranch_scc1 .LBB118_31
; %bb.29:
	s_cmp_gt_i32 s1, 27
	s_cbranch_scc0 .LBB118_32
; %bb.30:
	s_wait_loadcnt 0x0
	global_load_b32 v7, v[0:1], off
	s_mov_b32 s41, 0
	s_branch .LBB118_33
.LBB118_31:
	s_mov_b32 s41, -1
                                        ; implicit-def: $vgpr7
	s_branch .LBB118_36
.LBB118_32:
	s_mov_b32 s41, -1
                                        ; implicit-def: $vgpr7
.LBB118_33:
	s_delay_alu instid0(SALU_CYCLE_1)
	s_and_not1_b32 vcc_lo, exec_lo, s41
	s_cbranch_vccnz .LBB118_35
; %bb.34:
	s_wait_loadcnt 0x0
	global_load_u16 v7, v[0:1], off
.LBB118_35:
	s_mov_b32 s41, 0
.LBB118_36:
	s_delay_alu instid0(SALU_CYCLE_1)
	s_and_not1_b32 vcc_lo, exec_lo, s41
	s_cbranch_vccnz .LBB118_42
; %bb.37:
	global_load_u8 v2, v[0:1], off
	s_mov_b32 s42, 0
	s_mov_b32 s41, exec_lo
	s_wait_loadcnt 0x0
	v_cmpx_lt_i16_e32 0x7f, v2
	s_xor_b32 s41, exec_lo, s41
	s_cbranch_execz .LBB118_53
; %bb.38:
	v_cmp_ne_u16_e32 vcc_lo, 0x80, v2
	s_and_b32 s42, vcc_lo, exec_lo
	s_and_not1_saveexec_b32 s41, s41
	s_cbranch_execnz .LBB118_54
.LBB118_39:
	s_or_b32 exec_lo, exec_lo, s41
	v_mov_b32_e32 v7, 0
	s_and_saveexec_b32 s41, s42
	s_cbranch_execz .LBB118_41
.LBB118_40:
	v_and_b32_e32 v3, 0xffff, v2
	s_delay_alu instid0(VALU_DEP_1) | instskip(SKIP_1) | instid1(VALU_DEP_2)
	v_and_b32_e32 v4, 7, v3
	v_bfe_u32 v7, v3, 3, 4
	v_clz_i32_u32_e32 v5, v4
	s_delay_alu instid0(VALU_DEP_2) | instskip(NEXT) | instid1(VALU_DEP_2)
	v_cmp_eq_u32_e32 vcc_lo, 0, v7
	v_min_u32_e32 v5, 32, v5
	s_delay_alu instid0(VALU_DEP_1) | instskip(NEXT) | instid1(VALU_DEP_1)
	v_subrev_nc_u32_e32 v6, 28, v5
	v_dual_lshlrev_b32 v3, v6, v3 :: v_dual_sub_nc_u32 v5, 29, v5
	s_delay_alu instid0(VALU_DEP_1) | instskip(NEXT) | instid1(VALU_DEP_1)
	v_dual_lshlrev_b32 v2, 24, v2 :: v_dual_bitop2_b32 v3, 7, v3 bitop3:0x40
	v_dual_cndmask_b32 v5, v7, v5, vcc_lo :: v_dual_cndmask_b32 v3, v4, v3, vcc_lo
	s_delay_alu instid0(VALU_DEP_2) | instskip(NEXT) | instid1(VALU_DEP_2)
	v_and_b32_e32 v2, 0x80000000, v2
	v_lshl_add_u32 v4, v5, 23, 0x3b800000
	s_delay_alu instid0(VALU_DEP_3) | instskip(NEXT) | instid1(VALU_DEP_1)
	v_lshlrev_b32_e32 v3, 20, v3
	v_or3_b32 v2, v2, v4, v3
	s_delay_alu instid0(VALU_DEP_1)
	v_cvt_i32_f32_e32 v7, v2
.LBB118_41:
	s_or_b32 exec_lo, exec_lo, s41
.LBB118_42:
	s_mov_b32 s41, -1
.LBB118_43:
	s_branch .LBB118_76
.LBB118_44:
	s_cmp_gt_i32 s1, 22
	s_cbranch_scc0 .LBB118_52
; %bb.45:
	s_cmp_lt_i32 s1, 24
	s_cbranch_scc1 .LBB118_55
; %bb.46:
	s_cmp_gt_i32 s1, 24
	s_cbranch_scc0 .LBB118_56
; %bb.47:
	global_load_u8 v2, v[0:1], off
	s_mov_b32 s42, 0
	s_mov_b32 s41, exec_lo
	s_wait_loadcnt 0x0
	v_cmpx_lt_i16_e32 0x7f, v2
	s_xor_b32 s41, exec_lo, s41
	s_cbranch_execz .LBB118_68
; %bb.48:
	v_cmp_ne_u16_e32 vcc_lo, 0x80, v2
	s_and_b32 s42, vcc_lo, exec_lo
	s_and_not1_saveexec_b32 s41, s41
	s_cbranch_execnz .LBB118_69
.LBB118_49:
	s_or_b32 exec_lo, exec_lo, s41
	v_mov_b32_e32 v7, 0
	s_and_saveexec_b32 s41, s42
	s_cbranch_execz .LBB118_51
.LBB118_50:
	v_and_b32_e32 v3, 0xffff, v2
	s_delay_alu instid0(VALU_DEP_1) | instskip(SKIP_1) | instid1(VALU_DEP_2)
	v_and_b32_e32 v4, 3, v3
	v_bfe_u32 v7, v3, 2, 5
	v_clz_i32_u32_e32 v5, v4
	s_delay_alu instid0(VALU_DEP_2) | instskip(NEXT) | instid1(VALU_DEP_2)
	v_cmp_eq_u32_e32 vcc_lo, 0, v7
	v_min_u32_e32 v5, 32, v5
	s_delay_alu instid0(VALU_DEP_1) | instskip(NEXT) | instid1(VALU_DEP_1)
	v_subrev_nc_u32_e32 v6, 29, v5
	v_dual_lshlrev_b32 v3, v6, v3 :: v_dual_sub_nc_u32 v5, 30, v5
	s_delay_alu instid0(VALU_DEP_1) | instskip(NEXT) | instid1(VALU_DEP_1)
	v_dual_lshlrev_b32 v2, 24, v2 :: v_dual_bitop2_b32 v3, 3, v3 bitop3:0x40
	v_dual_cndmask_b32 v5, v7, v5, vcc_lo :: v_dual_cndmask_b32 v3, v4, v3, vcc_lo
	s_delay_alu instid0(VALU_DEP_2) | instskip(NEXT) | instid1(VALU_DEP_2)
	v_and_b32_e32 v2, 0x80000000, v2
	v_lshl_add_u32 v4, v5, 23, 0x37800000
	s_delay_alu instid0(VALU_DEP_3) | instskip(NEXT) | instid1(VALU_DEP_1)
	v_lshlrev_b32_e32 v3, 21, v3
	v_or3_b32 v2, v2, v4, v3
	s_delay_alu instid0(VALU_DEP_1)
	v_cvt_i32_f32_e32 v7, v2
.LBB118_51:
	s_or_b32 exec_lo, exec_lo, s41
	s_mov_b32 s41, 0
	s_branch .LBB118_57
.LBB118_52:
	s_mov_b32 s42, -1
                                        ; implicit-def: $vgpr7
	s_branch .LBB118_63
.LBB118_53:
	s_and_not1_saveexec_b32 s41, s41
	s_cbranch_execz .LBB118_39
.LBB118_54:
	v_cmp_ne_u16_e32 vcc_lo, 0, v2
	s_and_not1_b32 s42, s42, exec_lo
	s_and_b32 s43, vcc_lo, exec_lo
	s_delay_alu instid0(SALU_CYCLE_1)
	s_or_b32 s42, s42, s43
	s_or_b32 exec_lo, exec_lo, s41
	v_mov_b32_e32 v7, 0
	s_and_saveexec_b32 s41, s42
	s_cbranch_execnz .LBB118_40
	s_branch .LBB118_41
.LBB118_55:
	s_mov_b32 s41, -1
                                        ; implicit-def: $vgpr7
	s_branch .LBB118_60
.LBB118_56:
	s_mov_b32 s41, -1
                                        ; implicit-def: $vgpr7
.LBB118_57:
	s_delay_alu instid0(SALU_CYCLE_1)
	s_and_b32 vcc_lo, exec_lo, s41
	s_cbranch_vccz .LBB118_59
; %bb.58:
	global_load_u8 v2, v[0:1], off
	s_wait_loadcnt 0x0
	v_lshlrev_b32_e32 v2, 24, v2
	s_delay_alu instid0(VALU_DEP_1) | instskip(NEXT) | instid1(VALU_DEP_1)
	v_and_b32_e32 v3, 0x7f000000, v2
	v_clz_i32_u32_e32 v4, v3
	v_cmp_ne_u32_e32 vcc_lo, 0, v3
	v_add_nc_u32_e32 v6, 0x1000000, v3
	s_delay_alu instid0(VALU_DEP_3) | instskip(NEXT) | instid1(VALU_DEP_1)
	v_min_u32_e32 v4, 32, v4
	v_sub_nc_u32_e64 v4, v4, 4 clamp
	s_delay_alu instid0(VALU_DEP_1) | instskip(NEXT) | instid1(VALU_DEP_1)
	v_dual_lshlrev_b32 v5, v4, v3 :: v_dual_lshlrev_b32 v4, 23, v4
	v_lshrrev_b32_e32 v5, 4, v5
	s_delay_alu instid0(VALU_DEP_1) | instskip(NEXT) | instid1(VALU_DEP_1)
	v_dual_sub_nc_u32 v4, v5, v4 :: v_dual_ashrrev_i32 v5, 8, v6
	v_add_nc_u32_e32 v4, 0x3c000000, v4
	s_delay_alu instid0(VALU_DEP_1) | instskip(NEXT) | instid1(VALU_DEP_1)
	v_and_or_b32 v4, 0x7f800000, v5, v4
	v_cndmask_b32_e32 v3, 0, v4, vcc_lo
	s_delay_alu instid0(VALU_DEP_1) | instskip(NEXT) | instid1(VALU_DEP_1)
	v_and_or_b32 v2, 0x80000000, v2, v3
	v_cvt_i32_f32_e32 v7, v2
.LBB118_59:
	s_mov_b32 s41, 0
.LBB118_60:
	s_delay_alu instid0(SALU_CYCLE_1)
	s_and_not1_b32 vcc_lo, exec_lo, s41
	s_cbranch_vccnz .LBB118_62
; %bb.61:
	global_load_u8 v2, v[0:1], off
	s_wait_loadcnt 0x0
	v_lshlrev_b32_e32 v3, 25, v2
	v_lshlrev_b16 v2, 8, v2
	s_delay_alu instid0(VALU_DEP_1) | instskip(SKIP_1) | instid1(VALU_DEP_2)
	v_and_or_b32 v5, 0x7f00, v2, 0.5
	v_bfe_i32 v2, v2, 0, 16
	v_dual_add_f32 v5, -0.5, v5 :: v_dual_lshrrev_b32 v4, 4, v3
	v_cmp_gt_u32_e32 vcc_lo, 0x8000000, v3
	s_delay_alu instid0(VALU_DEP_2) | instskip(NEXT) | instid1(VALU_DEP_1)
	v_or_b32_e32 v4, 0x70000000, v4
	v_mul_f32_e32 v4, 0x7800000, v4
	s_delay_alu instid0(VALU_DEP_1) | instskip(NEXT) | instid1(VALU_DEP_1)
	v_cndmask_b32_e32 v3, v4, v5, vcc_lo
	v_and_or_b32 v2, 0x80000000, v2, v3
	s_delay_alu instid0(VALU_DEP_1)
	v_cvt_i32_f32_e32 v7, v2
.LBB118_62:
	s_mov_b32 s42, 0
	s_mov_b32 s41, -1
.LBB118_63:
	s_and_not1_b32 vcc_lo, exec_lo, s42
	s_cbranch_vccnz .LBB118_76
; %bb.64:
	s_cmp_gt_i32 s1, 14
	s_cbranch_scc0 .LBB118_67
; %bb.65:
	s_cmp_eq_u32 s1, 15
	s_cbranch_scc0 .LBB118_70
; %bb.66:
	global_load_u16 v2, v[0:1], off
	s_mov_b32 s41, -1
	s_mov_b32 s69, 0
	s_wait_loadcnt 0x0
	v_lshlrev_b32_e32 v2, 16, v2
	s_delay_alu instid0(VALU_DEP_1)
	v_cvt_i32_f32_e32 v7, v2
	s_branch .LBB118_71
.LBB118_67:
	s_mov_b32 s42, -1
                                        ; implicit-def: $vgpr7
	s_branch .LBB118_72
.LBB118_68:
	s_and_not1_saveexec_b32 s41, s41
	s_cbranch_execz .LBB118_49
.LBB118_69:
	v_cmp_ne_u16_e32 vcc_lo, 0, v2
	s_and_not1_b32 s42, s42, exec_lo
	s_and_b32 s43, vcc_lo, exec_lo
	s_delay_alu instid0(SALU_CYCLE_1)
	s_or_b32 s42, s42, s43
	s_or_b32 exec_lo, exec_lo, s41
	v_mov_b32_e32 v7, 0
	s_and_saveexec_b32 s41, s42
	s_cbranch_execnz .LBB118_50
	s_branch .LBB118_51
.LBB118_70:
	s_mov_b32 s69, -1
                                        ; implicit-def: $vgpr7
.LBB118_71:
	s_mov_b32 s42, 0
.LBB118_72:
	s_delay_alu instid0(SALU_CYCLE_1)
	s_and_b32 vcc_lo, exec_lo, s42
	s_cbranch_vccz .LBB118_76
; %bb.73:
	s_cmp_eq_u32 s1, 11
	s_cbranch_scc0 .LBB118_75
; %bb.74:
	global_load_u8 v2, v[0:1], off
	s_mov_b32 s69, 0
	s_mov_b32 s41, -1
	s_wait_loadcnt 0x0
	v_cmp_ne_u16_e32 vcc_lo, 0, v2
	v_cndmask_b32_e64 v7, 0, 1, vcc_lo
	s_branch .LBB118_76
.LBB118_75:
	s_mov_b32 s69, -1
                                        ; implicit-def: $vgpr7
.LBB118_76:
	s_branch .LBB118_10
.LBB118_77:
	s_and_b32 s0, 0xffff, s0
	s_delay_alu instid0(SALU_CYCLE_1)
	s_cmp_lt_i32 s0, 5
	s_cbranch_scc1 .LBB118_82
; %bb.78:
	s_cmp_lt_i32 s0, 8
	s_cbranch_scc1 .LBB118_83
; %bb.79:
	s_cmp_lt_i32 s0, 9
	s_cbranch_scc1 .LBB118_84
; %bb.80:
	s_cmp_gt_i32 s0, 9
	s_cbranch_scc0 .LBB118_85
; %bb.81:
	global_load_b64 v[2:3], v[0:1], off
	s_mov_b32 s1, 0
	s_wait_loadcnt 0x0
	v_cvt_i32_f64_e32 v7, v[2:3]
	s_branch .LBB118_86
.LBB118_82:
                                        ; implicit-def: $vgpr7
	s_branch .LBB118_104
.LBB118_83:
	s_mov_b32 s1, -1
                                        ; implicit-def: $vgpr7
	s_branch .LBB118_92
.LBB118_84:
	s_mov_b32 s1, -1
                                        ; implicit-def: $vgpr7
	s_branch .LBB118_89
.LBB118_85:
	s_mov_b32 s1, -1
                                        ; implicit-def: $vgpr7
.LBB118_86:
	s_delay_alu instid0(SALU_CYCLE_1)
	s_and_not1_b32 vcc_lo, exec_lo, s1
	s_cbranch_vccnz .LBB118_88
; %bb.87:
	global_load_b32 v2, v[0:1], off
	s_wait_loadcnt 0x0
	v_cvt_i32_f32_e32 v7, v2
.LBB118_88:
	s_mov_b32 s1, 0
.LBB118_89:
	s_delay_alu instid0(SALU_CYCLE_1)
	s_and_not1_b32 vcc_lo, exec_lo, s1
	s_cbranch_vccnz .LBB118_91
; %bb.90:
	global_load_b32 v2, v[0:1], off
	s_wait_loadcnt 0x0
	v_cvt_f32_f16_e32 v2, v2
	s_delay_alu instid0(VALU_DEP_1)
	v_cvt_i32_f32_e32 v7, v2
.LBB118_91:
	s_mov_b32 s1, 0
.LBB118_92:
	s_delay_alu instid0(SALU_CYCLE_1)
	s_and_not1_b32 vcc_lo, exec_lo, s1
	s_cbranch_vccnz .LBB118_103
; %bb.93:
	s_cmp_lt_i32 s0, 6
	s_cbranch_scc1 .LBB118_96
; %bb.94:
	s_cmp_gt_i32 s0, 6
	s_cbranch_scc0 .LBB118_97
; %bb.95:
	global_load_b64 v[2:3], v[0:1], off
	s_mov_b32 s1, 0
	s_wait_loadcnt 0x0
	v_cvt_i32_f64_e32 v7, v[2:3]
	s_branch .LBB118_98
.LBB118_96:
	s_mov_b32 s1, -1
                                        ; implicit-def: $vgpr7
	s_branch .LBB118_101
.LBB118_97:
	s_mov_b32 s1, -1
                                        ; implicit-def: $vgpr7
.LBB118_98:
	s_delay_alu instid0(SALU_CYCLE_1)
	s_and_not1_b32 vcc_lo, exec_lo, s1
	s_cbranch_vccnz .LBB118_100
; %bb.99:
	global_load_b32 v2, v[0:1], off
	s_wait_loadcnt 0x0
	v_cvt_i32_f32_e32 v7, v2
.LBB118_100:
	s_mov_b32 s1, 0
.LBB118_101:
	s_delay_alu instid0(SALU_CYCLE_1)
	s_and_not1_b32 vcc_lo, exec_lo, s1
	s_cbranch_vccnz .LBB118_103
; %bb.102:
	global_load_u16 v2, v[0:1], off
	s_wait_loadcnt 0x0
	v_cvt_f32_f16_e32 v2, v2
	s_delay_alu instid0(VALU_DEP_1)
	v_cvt_i32_f32_e32 v7, v2
.LBB118_103:
	s_cbranch_execnz .LBB118_123
.LBB118_104:
	s_cmp_lt_i32 s0, 2
	s_cbranch_scc1 .LBB118_108
; %bb.105:
	s_cmp_lt_i32 s0, 3
	s_cbranch_scc1 .LBB118_109
; %bb.106:
	s_cmp_gt_i32 s0, 3
	s_cbranch_scc0 .LBB118_110
; %bb.107:
	s_wait_loadcnt 0x0
	global_load_b32 v7, v[0:1], off
	s_mov_b32 s1, 0
	s_branch .LBB118_111
.LBB118_108:
	s_mov_b32 s1, -1
                                        ; implicit-def: $vgpr7
	s_branch .LBB118_117
.LBB118_109:
	s_mov_b32 s1, -1
                                        ; implicit-def: $vgpr7
	s_branch .LBB118_114
.LBB118_110:
	s_mov_b32 s1, -1
                                        ; implicit-def: $vgpr7
.LBB118_111:
	s_delay_alu instid0(SALU_CYCLE_1)
	s_and_not1_b32 vcc_lo, exec_lo, s1
	s_cbranch_vccnz .LBB118_113
; %bb.112:
	s_wait_loadcnt 0x0
	global_load_b32 v7, v[0:1], off
.LBB118_113:
	s_mov_b32 s1, 0
.LBB118_114:
	s_delay_alu instid0(SALU_CYCLE_1)
	s_and_not1_b32 vcc_lo, exec_lo, s1
	s_cbranch_vccnz .LBB118_116
; %bb.115:
	s_wait_loadcnt 0x0
	global_load_i16 v7, v[0:1], off
.LBB118_116:
	s_mov_b32 s1, 0
.LBB118_117:
	s_delay_alu instid0(SALU_CYCLE_1)
	s_and_not1_b32 vcc_lo, exec_lo, s1
	s_cbranch_vccnz .LBB118_123
; %bb.118:
	s_cmp_gt_i32 s0, 0
	s_mov_b32 s0, 0
	s_cbranch_scc0 .LBB118_120
; %bb.119:
	s_wait_loadcnt 0x0
	global_load_i8 v7, v[0:1], off
	s_branch .LBB118_121
.LBB118_120:
	s_mov_b32 s0, -1
                                        ; implicit-def: $vgpr7
.LBB118_121:
	s_delay_alu instid0(SALU_CYCLE_1)
	s_and_not1_b32 vcc_lo, exec_lo, s0
	s_cbranch_vccnz .LBB118_123
; %bb.122:
	s_wait_loadcnt 0x0
	global_load_u8 v7, v[0:1], off
.LBB118_123:
.LBB118_124:
	s_wait_xcnt 0x0
	v_mul_lo_u32 v0, v22, s18
	s_and_b32 s0, s25, 0xff
	s_delay_alu instid0(SALU_CYCLE_1) | instskip(NEXT) | instid1(VALU_DEP_1)
	s_cmp_lt_i32 s0, 11
	v_ashrrev_i32_e32 v1, 31, v0
	s_delay_alu instid0(VALU_DEP_1)
	v_add_nc_u64_e32 v[0:1], s[8:9], v[0:1]
	s_cbranch_scc1 .LBB118_131
; %bb.125:
	s_and_b32 s1, 0xffff, s0
	s_delay_alu instid0(SALU_CYCLE_1)
	s_cmp_gt_i32 s1, 25
	s_cbranch_scc0 .LBB118_133
; %bb.126:
	s_cmp_gt_i32 s1, 28
	s_cbranch_scc0 .LBB118_134
; %bb.127:
	;; [unrolled: 3-line block ×4, first 2 shown]
	s_cmp_eq_u32 s1, 46
	s_mov_b32 s42, 0
	s_cbranch_scc0 .LBB118_137
; %bb.130:
	global_load_b32 v2, v[0:1], off
	s_mov_b32 s41, -1
	s_wait_loadcnt 0x0
	v_lshlrev_b32_e32 v2, 16, v2
	s_delay_alu instid0(VALU_DEP_1)
	v_cvt_i32_f32_e32 v8, v2
	s_branch .LBB118_139
.LBB118_131:
	s_mov_b32 s41, 0
                                        ; implicit-def: $vgpr8
	s_cbranch_execnz .LBB118_200
.LBB118_132:
	s_and_not1_b32 vcc_lo, exec_lo, s41
	s_cbranch_vccnz .LBB118_628
	s_branch .LBB118_248
.LBB118_133:
	s_mov_b32 s42, -1
	s_mov_b32 s41, 0
                                        ; implicit-def: $vgpr8
	s_branch .LBB118_166
.LBB118_134:
	s_mov_b32 s42, -1
	s_mov_b32 s41, 0
                                        ; implicit-def: $vgpr8
	s_branch .LBB118_149
.LBB118_135:
	s_mov_b32 s42, -1
	s_mov_b32 s41, 0
                                        ; implicit-def: $vgpr8
	s_branch .LBB118_144
.LBB118_136:
	s_mov_b32 s42, -1
	s_branch .LBB118_138
.LBB118_137:
	s_mov_b32 s68, -1
.LBB118_138:
	s_mov_b32 s41, 0
                                        ; implicit-def: $vgpr8
.LBB118_139:
	s_and_b32 vcc_lo, exec_lo, s42
	s_cbranch_vccz .LBB118_143
; %bb.140:
	s_cmp_eq_u32 s1, 44
	s_cbranch_scc0 .LBB118_142
; %bb.141:
	global_load_u8 v2, v[0:1], off
	s_mov_b32 s68, 0
	s_mov_b32 s41, -1
	s_wait_loadcnt 0x0
	v_lshlrev_b32_e32 v3, 23, v2
	v_cmp_ne_u32_e32 vcc_lo, 0, v2
	s_delay_alu instid0(VALU_DEP_2) | instskip(NEXT) | instid1(VALU_DEP_1)
	v_cvt_i32_f32_e32 v3, v3
	v_cndmask_b32_e32 v8, 0, v3, vcc_lo
	s_branch .LBB118_143
.LBB118_142:
	s_mov_b32 s68, -1
                                        ; implicit-def: $vgpr8
.LBB118_143:
	s_mov_b32 s42, 0
.LBB118_144:
	s_delay_alu instid0(SALU_CYCLE_1)
	s_and_b32 vcc_lo, exec_lo, s42
	s_cbranch_vccz .LBB118_148
; %bb.145:
	s_cmp_eq_u32 s1, 29
	s_cbranch_scc0 .LBB118_147
; %bb.146:
	global_load_b32 v8, v[0:1], off
	s_mov_b32 s41, -1
	s_mov_b32 s68, 0
	s_branch .LBB118_148
.LBB118_147:
	s_mov_b32 s68, -1
                                        ; implicit-def: $vgpr8
.LBB118_148:
	s_mov_b32 s42, 0
.LBB118_149:
	s_delay_alu instid0(SALU_CYCLE_1)
	s_and_b32 vcc_lo, exec_lo, s42
	s_cbranch_vccz .LBB118_165
; %bb.150:
	s_cmp_lt_i32 s1, 27
	s_cbranch_scc1 .LBB118_153
; %bb.151:
	s_cmp_gt_i32 s1, 27
	s_cbranch_scc0 .LBB118_154
; %bb.152:
	s_wait_loadcnt 0x0
	global_load_b32 v8, v[0:1], off
	s_mov_b32 s41, 0
	s_branch .LBB118_155
.LBB118_153:
	s_mov_b32 s41, -1
                                        ; implicit-def: $vgpr8
	s_branch .LBB118_158
.LBB118_154:
	s_mov_b32 s41, -1
                                        ; implicit-def: $vgpr8
.LBB118_155:
	s_delay_alu instid0(SALU_CYCLE_1)
	s_and_not1_b32 vcc_lo, exec_lo, s41
	s_cbranch_vccnz .LBB118_157
; %bb.156:
	s_wait_loadcnt 0x0
	global_load_u16 v8, v[0:1], off
.LBB118_157:
	s_mov_b32 s41, 0
.LBB118_158:
	s_delay_alu instid0(SALU_CYCLE_1)
	s_and_not1_b32 vcc_lo, exec_lo, s41
	s_cbranch_vccnz .LBB118_164
; %bb.159:
	global_load_u8 v2, v[0:1], off
	s_mov_b32 s42, 0
	s_mov_b32 s41, exec_lo
	s_wait_loadcnt 0x0
	v_cmpx_lt_i16_e32 0x7f, v2
	s_xor_b32 s41, exec_lo, s41
	s_cbranch_execz .LBB118_176
; %bb.160:
	v_cmp_ne_u16_e32 vcc_lo, 0x80, v2
	s_and_b32 s42, vcc_lo, exec_lo
	s_and_not1_saveexec_b32 s41, s41
	s_cbranch_execnz .LBB118_177
.LBB118_161:
	s_or_b32 exec_lo, exec_lo, s41
	v_mov_b32_e32 v8, 0
	s_and_saveexec_b32 s41, s42
	s_cbranch_execz .LBB118_163
.LBB118_162:
	v_and_b32_e32 v3, 0xffff, v2
	s_delay_alu instid0(VALU_DEP_1) | instskip(SKIP_1) | instid1(VALU_DEP_2)
	v_and_b32_e32 v4, 7, v3
	v_bfe_u32 v8, v3, 3, 4
	v_clz_i32_u32_e32 v5, v4
	s_delay_alu instid0(VALU_DEP_2) | instskip(NEXT) | instid1(VALU_DEP_2)
	v_cmp_eq_u32_e32 vcc_lo, 0, v8
	v_min_u32_e32 v5, 32, v5
	s_delay_alu instid0(VALU_DEP_1) | instskip(NEXT) | instid1(VALU_DEP_1)
	v_subrev_nc_u32_e32 v6, 28, v5
	v_dual_lshlrev_b32 v3, v6, v3 :: v_dual_sub_nc_u32 v5, 29, v5
	s_delay_alu instid0(VALU_DEP_1) | instskip(NEXT) | instid1(VALU_DEP_2)
	v_dual_lshlrev_b32 v2, 24, v2 :: v_dual_bitop2_b32 v3, 7, v3 bitop3:0x40
	v_cndmask_b32_e32 v5, v8, v5, vcc_lo
	s_delay_alu instid0(VALU_DEP_2) | instskip(NEXT) | instid1(VALU_DEP_3)
	v_cndmask_b32_e32 v3, v4, v3, vcc_lo
	v_and_b32_e32 v2, 0x80000000, v2
	s_delay_alu instid0(VALU_DEP_3) | instskip(NEXT) | instid1(VALU_DEP_3)
	v_lshl_add_u32 v4, v5, 23, 0x3b800000
	v_lshlrev_b32_e32 v3, 20, v3
	s_delay_alu instid0(VALU_DEP_1) | instskip(NEXT) | instid1(VALU_DEP_1)
	v_or3_b32 v2, v2, v4, v3
	v_cvt_i32_f32_e32 v8, v2
.LBB118_163:
	s_or_b32 exec_lo, exec_lo, s41
.LBB118_164:
	s_mov_b32 s41, -1
.LBB118_165:
	s_mov_b32 s42, 0
.LBB118_166:
	s_delay_alu instid0(SALU_CYCLE_1)
	s_and_b32 vcc_lo, exec_lo, s42
	s_cbranch_vccz .LBB118_199
; %bb.167:
	s_cmp_gt_i32 s1, 22
	s_cbranch_scc0 .LBB118_175
; %bb.168:
	s_cmp_lt_i32 s1, 24
	s_cbranch_scc1 .LBB118_178
; %bb.169:
	s_cmp_gt_i32 s1, 24
	s_cbranch_scc0 .LBB118_179
; %bb.170:
	global_load_u8 v2, v[0:1], off
	s_mov_b32 s42, 0
	s_mov_b32 s41, exec_lo
	s_wait_loadcnt 0x0
	v_cmpx_lt_i16_e32 0x7f, v2
	s_xor_b32 s41, exec_lo, s41
	s_cbranch_execz .LBB118_191
; %bb.171:
	v_cmp_ne_u16_e32 vcc_lo, 0x80, v2
	s_and_b32 s42, vcc_lo, exec_lo
	s_and_not1_saveexec_b32 s41, s41
	s_cbranch_execnz .LBB118_192
.LBB118_172:
	s_or_b32 exec_lo, exec_lo, s41
	v_mov_b32_e32 v8, 0
	s_and_saveexec_b32 s41, s42
	s_cbranch_execz .LBB118_174
.LBB118_173:
	v_and_b32_e32 v3, 0xffff, v2
	s_delay_alu instid0(VALU_DEP_1) | instskip(SKIP_1) | instid1(VALU_DEP_2)
	v_and_b32_e32 v4, 3, v3
	v_bfe_u32 v8, v3, 2, 5
	v_clz_i32_u32_e32 v5, v4
	s_delay_alu instid0(VALU_DEP_2) | instskip(NEXT) | instid1(VALU_DEP_2)
	v_cmp_eq_u32_e32 vcc_lo, 0, v8
	v_min_u32_e32 v5, 32, v5
	s_delay_alu instid0(VALU_DEP_1) | instskip(NEXT) | instid1(VALU_DEP_1)
	v_subrev_nc_u32_e32 v6, 29, v5
	v_dual_lshlrev_b32 v3, v6, v3 :: v_dual_sub_nc_u32 v5, 30, v5
	s_delay_alu instid0(VALU_DEP_1) | instskip(NEXT) | instid1(VALU_DEP_2)
	v_dual_lshlrev_b32 v2, 24, v2 :: v_dual_bitop2_b32 v3, 3, v3 bitop3:0x40
	v_cndmask_b32_e32 v5, v8, v5, vcc_lo
	s_delay_alu instid0(VALU_DEP_2) | instskip(NEXT) | instid1(VALU_DEP_3)
	v_cndmask_b32_e32 v3, v4, v3, vcc_lo
	v_and_b32_e32 v2, 0x80000000, v2
	s_delay_alu instid0(VALU_DEP_3) | instskip(NEXT) | instid1(VALU_DEP_3)
	v_lshl_add_u32 v4, v5, 23, 0x37800000
	v_lshlrev_b32_e32 v3, 21, v3
	s_delay_alu instid0(VALU_DEP_1) | instskip(NEXT) | instid1(VALU_DEP_1)
	v_or3_b32 v2, v2, v4, v3
	v_cvt_i32_f32_e32 v8, v2
.LBB118_174:
	s_or_b32 exec_lo, exec_lo, s41
	s_mov_b32 s41, 0
	s_branch .LBB118_180
.LBB118_175:
	s_mov_b32 s42, -1
                                        ; implicit-def: $vgpr8
	s_branch .LBB118_186
.LBB118_176:
	s_and_not1_saveexec_b32 s41, s41
	s_cbranch_execz .LBB118_161
.LBB118_177:
	v_cmp_ne_u16_e32 vcc_lo, 0, v2
	s_and_not1_b32 s42, s42, exec_lo
	s_and_b32 s43, vcc_lo, exec_lo
	s_delay_alu instid0(SALU_CYCLE_1)
	s_or_b32 s42, s42, s43
	s_or_b32 exec_lo, exec_lo, s41
	v_mov_b32_e32 v8, 0
	s_and_saveexec_b32 s41, s42
	s_cbranch_execnz .LBB118_162
	s_branch .LBB118_163
.LBB118_178:
	s_mov_b32 s41, -1
                                        ; implicit-def: $vgpr8
	s_branch .LBB118_183
.LBB118_179:
	s_mov_b32 s41, -1
                                        ; implicit-def: $vgpr8
.LBB118_180:
	s_delay_alu instid0(SALU_CYCLE_1)
	s_and_b32 vcc_lo, exec_lo, s41
	s_cbranch_vccz .LBB118_182
; %bb.181:
	global_load_u8 v2, v[0:1], off
	s_wait_loadcnt 0x0
	v_lshlrev_b32_e32 v2, 24, v2
	s_delay_alu instid0(VALU_DEP_1) | instskip(NEXT) | instid1(VALU_DEP_1)
	v_and_b32_e32 v3, 0x7f000000, v2
	v_clz_i32_u32_e32 v4, v3
	v_cmp_ne_u32_e32 vcc_lo, 0, v3
	v_add_nc_u32_e32 v6, 0x1000000, v3
	s_delay_alu instid0(VALU_DEP_3) | instskip(NEXT) | instid1(VALU_DEP_1)
	v_min_u32_e32 v4, 32, v4
	v_sub_nc_u32_e64 v4, v4, 4 clamp
	s_delay_alu instid0(VALU_DEP_1) | instskip(NEXT) | instid1(VALU_DEP_1)
	v_dual_lshlrev_b32 v5, v4, v3 :: v_dual_lshlrev_b32 v4, 23, v4
	v_lshrrev_b32_e32 v5, 4, v5
	s_delay_alu instid0(VALU_DEP_1) | instskip(NEXT) | instid1(VALU_DEP_1)
	v_dual_sub_nc_u32 v4, v5, v4 :: v_dual_ashrrev_i32 v5, 8, v6
	v_add_nc_u32_e32 v4, 0x3c000000, v4
	s_delay_alu instid0(VALU_DEP_1) | instskip(NEXT) | instid1(VALU_DEP_1)
	v_and_or_b32 v4, 0x7f800000, v5, v4
	v_cndmask_b32_e32 v3, 0, v4, vcc_lo
	s_delay_alu instid0(VALU_DEP_1) | instskip(NEXT) | instid1(VALU_DEP_1)
	v_and_or_b32 v2, 0x80000000, v2, v3
	v_cvt_i32_f32_e32 v8, v2
.LBB118_182:
	s_mov_b32 s41, 0
.LBB118_183:
	s_delay_alu instid0(SALU_CYCLE_1)
	s_and_not1_b32 vcc_lo, exec_lo, s41
	s_cbranch_vccnz .LBB118_185
; %bb.184:
	global_load_u8 v2, v[0:1], off
	s_wait_loadcnt 0x0
	v_lshlrev_b32_e32 v3, 25, v2
	v_lshlrev_b16 v2, 8, v2
	s_delay_alu instid0(VALU_DEP_1) | instskip(SKIP_1) | instid1(VALU_DEP_2)
	v_and_or_b32 v5, 0x7f00, v2, 0.5
	v_bfe_i32 v2, v2, 0, 16
	v_dual_add_f32 v5, -0.5, v5 :: v_dual_lshrrev_b32 v4, 4, v3
	v_cmp_gt_u32_e32 vcc_lo, 0x8000000, v3
	s_delay_alu instid0(VALU_DEP_2) | instskip(NEXT) | instid1(VALU_DEP_1)
	v_or_b32_e32 v4, 0x70000000, v4
	v_mul_f32_e32 v4, 0x7800000, v4
	s_delay_alu instid0(VALU_DEP_1) | instskip(NEXT) | instid1(VALU_DEP_1)
	v_cndmask_b32_e32 v3, v4, v5, vcc_lo
	v_and_or_b32 v2, 0x80000000, v2, v3
	s_delay_alu instid0(VALU_DEP_1)
	v_cvt_i32_f32_e32 v8, v2
.LBB118_185:
	s_mov_b32 s42, 0
	s_mov_b32 s41, -1
.LBB118_186:
	s_and_not1_b32 vcc_lo, exec_lo, s42
	s_cbranch_vccnz .LBB118_199
; %bb.187:
	s_cmp_gt_i32 s1, 14
	s_cbranch_scc0 .LBB118_190
; %bb.188:
	s_cmp_eq_u32 s1, 15
	s_cbranch_scc0 .LBB118_193
; %bb.189:
	global_load_u16 v2, v[0:1], off
	s_mov_b32 s41, -1
	s_mov_b32 s68, 0
	s_wait_loadcnt 0x0
	v_lshlrev_b32_e32 v2, 16, v2
	s_delay_alu instid0(VALU_DEP_1)
	v_cvt_i32_f32_e32 v8, v2
	s_branch .LBB118_194
.LBB118_190:
	s_mov_b32 s42, -1
                                        ; implicit-def: $vgpr8
	s_branch .LBB118_195
.LBB118_191:
	s_and_not1_saveexec_b32 s41, s41
	s_cbranch_execz .LBB118_172
.LBB118_192:
	v_cmp_ne_u16_e32 vcc_lo, 0, v2
	s_and_not1_b32 s42, s42, exec_lo
	s_and_b32 s43, vcc_lo, exec_lo
	s_delay_alu instid0(SALU_CYCLE_1)
	s_or_b32 s42, s42, s43
	s_or_b32 exec_lo, exec_lo, s41
	v_mov_b32_e32 v8, 0
	s_and_saveexec_b32 s41, s42
	s_cbranch_execnz .LBB118_173
	s_branch .LBB118_174
.LBB118_193:
	s_mov_b32 s68, -1
                                        ; implicit-def: $vgpr8
.LBB118_194:
	s_mov_b32 s42, 0
.LBB118_195:
	s_delay_alu instid0(SALU_CYCLE_1)
	s_and_b32 vcc_lo, exec_lo, s42
	s_cbranch_vccz .LBB118_199
; %bb.196:
	s_cmp_eq_u32 s1, 11
	s_cbranch_scc0 .LBB118_198
; %bb.197:
	global_load_u8 v2, v[0:1], off
	s_mov_b32 s68, 0
	s_mov_b32 s41, -1
	s_wait_loadcnt 0x0
	v_cmp_ne_u16_e32 vcc_lo, 0, v2
	v_cndmask_b32_e64 v8, 0, 1, vcc_lo
	s_branch .LBB118_199
.LBB118_198:
	s_mov_b32 s68, -1
                                        ; implicit-def: $vgpr8
.LBB118_199:
	s_branch .LBB118_132
.LBB118_200:
	s_and_b32 s0, 0xffff, s0
	s_delay_alu instid0(SALU_CYCLE_1)
	s_cmp_lt_i32 s0, 5
	s_cbranch_scc1 .LBB118_205
; %bb.201:
	s_cmp_lt_i32 s0, 8
	s_cbranch_scc1 .LBB118_206
; %bb.202:
	;; [unrolled: 3-line block ×3, first 2 shown]
	s_cmp_gt_i32 s0, 9
	s_cbranch_scc0 .LBB118_208
; %bb.204:
	global_load_b64 v[2:3], v[0:1], off
	s_mov_b32 s1, 0
	s_wait_loadcnt 0x0
	v_cvt_i32_f64_e32 v8, v[2:3]
	s_branch .LBB118_209
.LBB118_205:
	s_mov_b32 s1, -1
                                        ; implicit-def: $vgpr8
	s_branch .LBB118_227
.LBB118_206:
	s_mov_b32 s1, -1
                                        ; implicit-def: $vgpr8
	s_branch .LBB118_215
.LBB118_207:
	s_mov_b32 s1, -1
                                        ; implicit-def: $vgpr8
	s_branch .LBB118_212
.LBB118_208:
	s_mov_b32 s1, -1
                                        ; implicit-def: $vgpr8
.LBB118_209:
	s_delay_alu instid0(SALU_CYCLE_1)
	s_and_not1_b32 vcc_lo, exec_lo, s1
	s_cbranch_vccnz .LBB118_211
; %bb.210:
	global_load_b32 v2, v[0:1], off
	s_wait_loadcnt 0x0
	v_cvt_i32_f32_e32 v8, v2
.LBB118_211:
	s_mov_b32 s1, 0
.LBB118_212:
	s_delay_alu instid0(SALU_CYCLE_1)
	s_and_not1_b32 vcc_lo, exec_lo, s1
	s_cbranch_vccnz .LBB118_214
; %bb.213:
	global_load_b32 v2, v[0:1], off
	s_wait_loadcnt 0x0
	v_cvt_f32_f16_e32 v2, v2
	s_delay_alu instid0(VALU_DEP_1)
	v_cvt_i32_f32_e32 v8, v2
.LBB118_214:
	s_mov_b32 s1, 0
.LBB118_215:
	s_delay_alu instid0(SALU_CYCLE_1)
	s_and_not1_b32 vcc_lo, exec_lo, s1
	s_cbranch_vccnz .LBB118_226
; %bb.216:
	s_cmp_lt_i32 s0, 6
	s_cbranch_scc1 .LBB118_219
; %bb.217:
	s_cmp_gt_i32 s0, 6
	s_cbranch_scc0 .LBB118_220
; %bb.218:
	global_load_b64 v[2:3], v[0:1], off
	s_mov_b32 s1, 0
	s_wait_loadcnt 0x0
	v_cvt_i32_f64_e32 v8, v[2:3]
	s_branch .LBB118_221
.LBB118_219:
	s_mov_b32 s1, -1
                                        ; implicit-def: $vgpr8
	s_branch .LBB118_224
.LBB118_220:
	s_mov_b32 s1, -1
                                        ; implicit-def: $vgpr8
.LBB118_221:
	s_delay_alu instid0(SALU_CYCLE_1)
	s_and_not1_b32 vcc_lo, exec_lo, s1
	s_cbranch_vccnz .LBB118_223
; %bb.222:
	global_load_b32 v2, v[0:1], off
	s_wait_loadcnt 0x0
	v_cvt_i32_f32_e32 v8, v2
.LBB118_223:
	s_mov_b32 s1, 0
.LBB118_224:
	s_delay_alu instid0(SALU_CYCLE_1)
	s_and_not1_b32 vcc_lo, exec_lo, s1
	s_cbranch_vccnz .LBB118_226
; %bb.225:
	global_load_u16 v2, v[0:1], off
	s_wait_loadcnt 0x0
	v_cvt_f32_f16_e32 v2, v2
	s_delay_alu instid0(VALU_DEP_1)
	v_cvt_i32_f32_e32 v8, v2
.LBB118_226:
	s_mov_b32 s1, 0
.LBB118_227:
	s_delay_alu instid0(SALU_CYCLE_1)
	s_and_not1_b32 vcc_lo, exec_lo, s1
	s_cbranch_vccnz .LBB118_247
; %bb.228:
	s_cmp_lt_i32 s0, 2
	s_cbranch_scc1 .LBB118_232
; %bb.229:
	s_cmp_lt_i32 s0, 3
	s_cbranch_scc1 .LBB118_233
; %bb.230:
	s_cmp_gt_i32 s0, 3
	s_cbranch_scc0 .LBB118_234
; %bb.231:
	s_wait_loadcnt 0x0
	global_load_b32 v8, v[0:1], off
	s_mov_b32 s1, 0
	s_branch .LBB118_235
.LBB118_232:
	s_mov_b32 s1, -1
                                        ; implicit-def: $vgpr8
	s_branch .LBB118_241
.LBB118_233:
	s_mov_b32 s1, -1
                                        ; implicit-def: $vgpr8
	s_branch .LBB118_238
.LBB118_234:
	s_mov_b32 s1, -1
                                        ; implicit-def: $vgpr8
.LBB118_235:
	s_delay_alu instid0(SALU_CYCLE_1)
	s_and_not1_b32 vcc_lo, exec_lo, s1
	s_cbranch_vccnz .LBB118_237
; %bb.236:
	s_wait_loadcnt 0x0
	global_load_b32 v8, v[0:1], off
.LBB118_237:
	s_mov_b32 s1, 0
.LBB118_238:
	s_delay_alu instid0(SALU_CYCLE_1)
	s_and_not1_b32 vcc_lo, exec_lo, s1
	s_cbranch_vccnz .LBB118_240
; %bb.239:
	s_wait_loadcnt 0x0
	global_load_i16 v8, v[0:1], off
.LBB118_240:
	s_mov_b32 s1, 0
.LBB118_241:
	s_delay_alu instid0(SALU_CYCLE_1)
	s_and_not1_b32 vcc_lo, exec_lo, s1
	s_cbranch_vccnz .LBB118_247
; %bb.242:
	s_cmp_gt_i32 s0, 0
	s_mov_b32 s0, 0
	s_cbranch_scc0 .LBB118_244
; %bb.243:
	s_wait_loadcnt 0x0
	global_load_i8 v8, v[0:1], off
	s_branch .LBB118_245
.LBB118_244:
	s_mov_b32 s0, -1
                                        ; implicit-def: $vgpr8
.LBB118_245:
	s_delay_alu instid0(SALU_CYCLE_1)
	s_and_not1_b32 vcc_lo, exec_lo, s0
	s_cbranch_vccnz .LBB118_247
; %bb.246:
	s_wait_loadcnt 0x0
	global_load_u8 v8, v[0:1], off
.LBB118_247:
.LBB118_248:
	s_wait_xcnt 0x0
	v_mul_lo_u32 v0, v22, s19
	s_and_b32 s0, s34, 0xff
	s_delay_alu instid0(SALU_CYCLE_1) | instskip(NEXT) | instid1(VALU_DEP_1)
	s_cmp_lt_i32 s0, 11
	v_ashrrev_i32_e32 v1, 31, v0
	s_delay_alu instid0(VALU_DEP_1)
	v_add_nc_u64_e32 v[2:3], s[10:11], v[0:1]
	s_cbranch_scc1 .LBB118_255
; %bb.249:
	s_and_b32 s1, 0xffff, s0
	s_delay_alu instid0(SALU_CYCLE_1)
	s_cmp_gt_i32 s1, 25
	s_cbranch_scc0 .LBB118_256
; %bb.250:
	s_cmp_gt_i32 s1, 28
	s_cbranch_scc0 .LBB118_257
; %bb.251:
	;; [unrolled: 3-line block ×4, first 2 shown]
	s_cmp_eq_u32 s1, 46
	s_mov_b32 s42, 0
	s_cbranch_scc0 .LBB118_260
; %bb.254:
	global_load_b32 v0, v[2:3], off
	s_mov_b32 s41, -1
	s_wait_loadcnt 0x0
	v_lshlrev_b32_e32 v0, 16, v0
	s_delay_alu instid0(VALU_DEP_1)
	v_cvt_i32_f32_e32 v0, v0
	s_branch .LBB118_262
.LBB118_255:
	s_mov_b32 s1, -1
	s_mov_b32 s41, 0
                                        ; implicit-def: $vgpr0
	s_branch .LBB118_323
.LBB118_256:
	s_mov_b32 s42, -1
	s_mov_b32 s41, 0
                                        ; implicit-def: $vgpr0
	s_branch .LBB118_289
.LBB118_257:
	s_mov_b32 s42, -1
	s_mov_b32 s41, 0
                                        ; implicit-def: $vgpr0
	s_branch .LBB118_272
.LBB118_258:
	s_mov_b32 s42, -1
	s_mov_b32 s41, 0
                                        ; implicit-def: $vgpr0
	s_branch .LBB118_267
.LBB118_259:
	s_mov_b32 s42, -1
	s_branch .LBB118_261
.LBB118_260:
	s_mov_b32 s67, -1
.LBB118_261:
	s_mov_b32 s41, 0
                                        ; implicit-def: $vgpr0
.LBB118_262:
	s_and_b32 vcc_lo, exec_lo, s42
	s_cbranch_vccz .LBB118_266
; %bb.263:
	s_cmp_eq_u32 s1, 44
	s_cbranch_scc0 .LBB118_265
; %bb.264:
	global_load_u8 v0, v[2:3], off
	s_mov_b32 s67, 0
	s_mov_b32 s41, -1
	s_wait_loadcnt 0x0
	v_lshlrev_b32_e32 v1, 23, v0
	v_cmp_ne_u32_e32 vcc_lo, 0, v0
	s_delay_alu instid0(VALU_DEP_2) | instskip(NEXT) | instid1(VALU_DEP_1)
	v_cvt_i32_f32_e32 v1, v1
	v_cndmask_b32_e32 v0, 0, v1, vcc_lo
	s_branch .LBB118_266
.LBB118_265:
	s_mov_b32 s67, -1
                                        ; implicit-def: $vgpr0
.LBB118_266:
	s_mov_b32 s42, 0
.LBB118_267:
	s_delay_alu instid0(SALU_CYCLE_1)
	s_and_b32 vcc_lo, exec_lo, s42
	s_cbranch_vccz .LBB118_271
; %bb.268:
	s_cmp_eq_u32 s1, 29
	s_cbranch_scc0 .LBB118_270
; %bb.269:
	global_load_b32 v0, v[2:3], off
	s_mov_b32 s41, -1
	s_mov_b32 s67, 0
	s_branch .LBB118_271
.LBB118_270:
	s_mov_b32 s67, -1
                                        ; implicit-def: $vgpr0
.LBB118_271:
	s_mov_b32 s42, 0
.LBB118_272:
	s_delay_alu instid0(SALU_CYCLE_1)
	s_and_b32 vcc_lo, exec_lo, s42
	s_cbranch_vccz .LBB118_288
; %bb.273:
	s_cmp_lt_i32 s1, 27
	s_cbranch_scc1 .LBB118_276
; %bb.274:
	s_cmp_gt_i32 s1, 27
	s_cbranch_scc0 .LBB118_277
; %bb.275:
	s_wait_loadcnt 0x0
	global_load_b32 v0, v[2:3], off
	s_mov_b32 s41, 0
	s_branch .LBB118_278
.LBB118_276:
	s_mov_b32 s41, -1
                                        ; implicit-def: $vgpr0
	s_branch .LBB118_281
.LBB118_277:
	s_mov_b32 s41, -1
                                        ; implicit-def: $vgpr0
.LBB118_278:
	s_delay_alu instid0(SALU_CYCLE_1)
	s_and_not1_b32 vcc_lo, exec_lo, s41
	s_cbranch_vccnz .LBB118_280
; %bb.279:
	s_wait_loadcnt 0x0
	global_load_u16 v0, v[2:3], off
.LBB118_280:
	s_mov_b32 s41, 0
.LBB118_281:
	s_delay_alu instid0(SALU_CYCLE_1)
	s_and_not1_b32 vcc_lo, exec_lo, s41
	s_cbranch_vccnz .LBB118_287
; %bb.282:
	global_load_u8 v1, v[2:3], off
	s_mov_b32 s42, 0
	s_mov_b32 s41, exec_lo
	s_wait_loadcnt 0x0
	v_cmpx_lt_i16_e32 0x7f, v1
	s_xor_b32 s41, exec_lo, s41
	s_cbranch_execz .LBB118_299
; %bb.283:
	v_cmp_ne_u16_e32 vcc_lo, 0x80, v1
	s_and_b32 s42, vcc_lo, exec_lo
	s_and_not1_saveexec_b32 s41, s41
	s_cbranch_execnz .LBB118_300
.LBB118_284:
	s_or_b32 exec_lo, exec_lo, s41
	v_mov_b32_e32 v0, 0
	s_and_saveexec_b32 s41, s42
	s_cbranch_execz .LBB118_286
.LBB118_285:
	v_and_b32_e32 v0, 0xffff, v1
	s_delay_alu instid0(VALU_DEP_1) | instskip(SKIP_1) | instid1(VALU_DEP_2)
	v_and_b32_e32 v4, 7, v0
	v_bfe_u32 v9, v0, 3, 4
	v_clz_i32_u32_e32 v5, v4
	s_delay_alu instid0(VALU_DEP_2) | instskip(NEXT) | instid1(VALU_DEP_2)
	v_cmp_eq_u32_e32 vcc_lo, 0, v9
	v_min_u32_e32 v5, 32, v5
	s_delay_alu instid0(VALU_DEP_1) | instskip(NEXT) | instid1(VALU_DEP_1)
	v_subrev_nc_u32_e32 v6, 28, v5
	v_dual_lshlrev_b32 v0, v6, v0 :: v_dual_sub_nc_u32 v5, 29, v5
	s_delay_alu instid0(VALU_DEP_1) | instskip(NEXT) | instid1(VALU_DEP_1)
	v_dual_lshlrev_b32 v1, 24, v1 :: v_dual_bitop2_b32 v0, 7, v0 bitop3:0x40
	v_dual_cndmask_b32 v0, v4, v0 :: v_dual_cndmask_b32 v5, v9, v5
	s_delay_alu instid0(VALU_DEP_2) | instskip(NEXT) | instid1(VALU_DEP_2)
	v_and_b32_e32 v1, 0x80000000, v1
	v_lshlrev_b32_e32 v0, 20, v0
	s_delay_alu instid0(VALU_DEP_3) | instskip(NEXT) | instid1(VALU_DEP_1)
	v_lshl_add_u32 v4, v5, 23, 0x3b800000
	v_or3_b32 v0, v1, v4, v0
	s_delay_alu instid0(VALU_DEP_1)
	v_cvt_i32_f32_e32 v0, v0
.LBB118_286:
	s_or_b32 exec_lo, exec_lo, s41
.LBB118_287:
	s_mov_b32 s41, -1
.LBB118_288:
	s_mov_b32 s42, 0
.LBB118_289:
	s_delay_alu instid0(SALU_CYCLE_1)
	s_and_b32 vcc_lo, exec_lo, s42
	s_cbranch_vccz .LBB118_322
; %bb.290:
	s_cmp_gt_i32 s1, 22
	s_cbranch_scc0 .LBB118_298
; %bb.291:
	s_cmp_lt_i32 s1, 24
	s_cbranch_scc1 .LBB118_301
; %bb.292:
	s_cmp_gt_i32 s1, 24
	s_cbranch_scc0 .LBB118_302
; %bb.293:
	global_load_u8 v1, v[2:3], off
	s_mov_b32 s42, 0
	s_mov_b32 s41, exec_lo
	s_wait_loadcnt 0x0
	v_cmpx_lt_i16_e32 0x7f, v1
	s_xor_b32 s41, exec_lo, s41
	s_cbranch_execz .LBB118_314
; %bb.294:
	v_cmp_ne_u16_e32 vcc_lo, 0x80, v1
	s_and_b32 s42, vcc_lo, exec_lo
	s_and_not1_saveexec_b32 s41, s41
	s_cbranch_execnz .LBB118_315
.LBB118_295:
	s_or_b32 exec_lo, exec_lo, s41
	v_mov_b32_e32 v0, 0
	s_and_saveexec_b32 s41, s42
	s_cbranch_execz .LBB118_297
.LBB118_296:
	v_and_b32_e32 v0, 0xffff, v1
	s_delay_alu instid0(VALU_DEP_1) | instskip(SKIP_1) | instid1(VALU_DEP_2)
	v_and_b32_e32 v4, 3, v0
	v_bfe_u32 v9, v0, 2, 5
	v_clz_i32_u32_e32 v5, v4
	s_delay_alu instid0(VALU_DEP_2) | instskip(NEXT) | instid1(VALU_DEP_2)
	v_cmp_eq_u32_e32 vcc_lo, 0, v9
	v_min_u32_e32 v5, 32, v5
	s_delay_alu instid0(VALU_DEP_1) | instskip(NEXT) | instid1(VALU_DEP_1)
	v_subrev_nc_u32_e32 v6, 29, v5
	v_dual_lshlrev_b32 v0, v6, v0 :: v_dual_sub_nc_u32 v5, 30, v5
	s_delay_alu instid0(VALU_DEP_1) | instskip(NEXT) | instid1(VALU_DEP_1)
	v_dual_lshlrev_b32 v1, 24, v1 :: v_dual_bitop2_b32 v0, 3, v0 bitop3:0x40
	v_dual_cndmask_b32 v0, v4, v0 :: v_dual_cndmask_b32 v5, v9, v5
	s_delay_alu instid0(VALU_DEP_2) | instskip(NEXT) | instid1(VALU_DEP_2)
	v_and_b32_e32 v1, 0x80000000, v1
	v_lshlrev_b32_e32 v0, 21, v0
	s_delay_alu instid0(VALU_DEP_3) | instskip(NEXT) | instid1(VALU_DEP_1)
	v_lshl_add_u32 v4, v5, 23, 0x37800000
	v_or3_b32 v0, v1, v4, v0
	s_delay_alu instid0(VALU_DEP_1)
	v_cvt_i32_f32_e32 v0, v0
.LBB118_297:
	s_or_b32 exec_lo, exec_lo, s41
	s_mov_b32 s41, 0
	s_branch .LBB118_303
.LBB118_298:
	s_mov_b32 s42, -1
                                        ; implicit-def: $vgpr0
	s_branch .LBB118_309
.LBB118_299:
	s_and_not1_saveexec_b32 s41, s41
	s_cbranch_execz .LBB118_284
.LBB118_300:
	v_cmp_ne_u16_e32 vcc_lo, 0, v1
	s_and_not1_b32 s42, s42, exec_lo
	s_and_b32 s43, vcc_lo, exec_lo
	s_delay_alu instid0(SALU_CYCLE_1)
	s_or_b32 s42, s42, s43
	s_or_b32 exec_lo, exec_lo, s41
	v_mov_b32_e32 v0, 0
	s_and_saveexec_b32 s41, s42
	s_cbranch_execnz .LBB118_285
	s_branch .LBB118_286
.LBB118_301:
	s_mov_b32 s41, -1
                                        ; implicit-def: $vgpr0
	s_branch .LBB118_306
.LBB118_302:
	s_mov_b32 s41, -1
                                        ; implicit-def: $vgpr0
.LBB118_303:
	s_delay_alu instid0(SALU_CYCLE_1)
	s_and_b32 vcc_lo, exec_lo, s41
	s_cbranch_vccz .LBB118_305
; %bb.304:
	s_wait_loadcnt 0x0
	global_load_u8 v0, v[2:3], off
	s_wait_loadcnt 0x0
	v_lshlrev_b32_e32 v0, 24, v0
	s_delay_alu instid0(VALU_DEP_1) | instskip(NEXT) | instid1(VALU_DEP_1)
	v_and_b32_e32 v1, 0x7f000000, v0
	v_clz_i32_u32_e32 v4, v1
	v_cmp_ne_u32_e32 vcc_lo, 0, v1
	v_add_nc_u32_e32 v6, 0x1000000, v1
	s_delay_alu instid0(VALU_DEP_3) | instskip(NEXT) | instid1(VALU_DEP_1)
	v_min_u32_e32 v4, 32, v4
	v_sub_nc_u32_e64 v4, v4, 4 clamp
	s_delay_alu instid0(VALU_DEP_1) | instskip(NEXT) | instid1(VALU_DEP_1)
	v_dual_lshlrev_b32 v5, v4, v1 :: v_dual_lshlrev_b32 v4, 23, v4
	v_lshrrev_b32_e32 v5, 4, v5
	s_delay_alu instid0(VALU_DEP_1) | instskip(NEXT) | instid1(VALU_DEP_1)
	v_dual_sub_nc_u32 v4, v5, v4 :: v_dual_ashrrev_i32 v5, 8, v6
	v_add_nc_u32_e32 v4, 0x3c000000, v4
	s_delay_alu instid0(VALU_DEP_1) | instskip(NEXT) | instid1(VALU_DEP_1)
	v_and_or_b32 v4, 0x7f800000, v5, v4
	v_cndmask_b32_e32 v1, 0, v4, vcc_lo
	s_delay_alu instid0(VALU_DEP_1) | instskip(NEXT) | instid1(VALU_DEP_1)
	v_and_or_b32 v0, 0x80000000, v0, v1
	v_cvt_i32_f32_e32 v0, v0
.LBB118_305:
	s_mov_b32 s41, 0
.LBB118_306:
	s_delay_alu instid0(SALU_CYCLE_1)
	s_and_not1_b32 vcc_lo, exec_lo, s41
	s_cbranch_vccnz .LBB118_308
; %bb.307:
	s_wait_loadcnt 0x0
	global_load_u8 v0, v[2:3], off
	s_wait_loadcnt 0x0
	v_lshlrev_b32_e32 v1, 25, v0
	v_lshlrev_b16 v0, 8, v0
	s_delay_alu instid0(VALU_DEP_1) | instskip(SKIP_1) | instid1(VALU_DEP_2)
	v_and_or_b32 v5, 0x7f00, v0, 0.5
	v_bfe_i32 v0, v0, 0, 16
	v_add_f32_e32 v5, -0.5, v5
	v_lshrrev_b32_e32 v4, 4, v1
	v_cmp_gt_u32_e32 vcc_lo, 0x8000000, v1
	s_delay_alu instid0(VALU_DEP_2) | instskip(NEXT) | instid1(VALU_DEP_1)
	v_or_b32_e32 v4, 0x70000000, v4
	v_mul_f32_e32 v4, 0x7800000, v4
	s_delay_alu instid0(VALU_DEP_1) | instskip(NEXT) | instid1(VALU_DEP_1)
	v_cndmask_b32_e32 v1, v4, v5, vcc_lo
	v_and_or_b32 v0, 0x80000000, v0, v1
	s_delay_alu instid0(VALU_DEP_1)
	v_cvt_i32_f32_e32 v0, v0
.LBB118_308:
	s_mov_b32 s42, 0
	s_mov_b32 s41, -1
.LBB118_309:
	s_and_not1_b32 vcc_lo, exec_lo, s42
	s_cbranch_vccnz .LBB118_322
; %bb.310:
	s_cmp_gt_i32 s1, 14
	s_cbranch_scc0 .LBB118_313
; %bb.311:
	s_cmp_eq_u32 s1, 15
	s_cbranch_scc0 .LBB118_316
; %bb.312:
	s_wait_loadcnt 0x0
	global_load_u16 v0, v[2:3], off
	s_mov_b32 s41, -1
	s_mov_b32 s67, 0
	s_wait_loadcnt 0x0
	v_lshlrev_b32_e32 v0, 16, v0
	s_delay_alu instid0(VALU_DEP_1)
	v_cvt_i32_f32_e32 v0, v0
	s_branch .LBB118_317
.LBB118_313:
	s_mov_b32 s42, -1
                                        ; implicit-def: $vgpr0
	s_branch .LBB118_318
.LBB118_314:
	s_and_not1_saveexec_b32 s41, s41
	s_cbranch_execz .LBB118_295
.LBB118_315:
	v_cmp_ne_u16_e32 vcc_lo, 0, v1
	s_and_not1_b32 s42, s42, exec_lo
	s_and_b32 s43, vcc_lo, exec_lo
	s_delay_alu instid0(SALU_CYCLE_1)
	s_or_b32 s42, s42, s43
	s_or_b32 exec_lo, exec_lo, s41
	v_mov_b32_e32 v0, 0
	s_and_saveexec_b32 s41, s42
	s_cbranch_execnz .LBB118_296
	s_branch .LBB118_297
.LBB118_316:
	s_mov_b32 s67, -1
                                        ; implicit-def: $vgpr0
.LBB118_317:
	s_mov_b32 s42, 0
.LBB118_318:
	s_delay_alu instid0(SALU_CYCLE_1)
	s_and_b32 vcc_lo, exec_lo, s42
	s_cbranch_vccz .LBB118_322
; %bb.319:
	s_cmp_eq_u32 s1, 11
	s_cbranch_scc0 .LBB118_321
; %bb.320:
	s_wait_loadcnt 0x0
	global_load_u8 v0, v[2:3], off
	s_mov_b32 s67, 0
	s_mov_b32 s41, -1
	s_wait_loadcnt 0x0
	v_cmp_ne_u16_e32 vcc_lo, 0, v0
	v_cndmask_b32_e64 v0, 0, 1, vcc_lo
	s_branch .LBB118_322
.LBB118_321:
	s_mov_b32 s67, -1
                                        ; implicit-def: $vgpr0
.LBB118_322:
	s_mov_b32 s1, 0
.LBB118_323:
	s_delay_alu instid0(SALU_CYCLE_1)
	s_and_b32 vcc_lo, exec_lo, s1
	s_cbranch_vccz .LBB118_372
; %bb.324:
	s_and_b32 s0, 0xffff, s0
	s_delay_alu instid0(SALU_CYCLE_1)
	s_cmp_lt_i32 s0, 5
	s_cbranch_scc1 .LBB118_329
; %bb.325:
	s_cmp_lt_i32 s0, 8
	s_cbranch_scc1 .LBB118_330
; %bb.326:
	;; [unrolled: 3-line block ×3, first 2 shown]
	s_cmp_gt_i32 s0, 9
	s_cbranch_scc0 .LBB118_332
; %bb.328:
	s_wait_loadcnt 0x0
	global_load_b64 v[0:1], v[2:3], off
	s_mov_b32 s1, 0
	s_wait_loadcnt 0x0
	v_cvt_i32_f64_e32 v0, v[0:1]
	s_branch .LBB118_333
.LBB118_329:
	s_mov_b32 s1, -1
                                        ; implicit-def: $vgpr0
	s_branch .LBB118_351
.LBB118_330:
	s_mov_b32 s1, -1
                                        ; implicit-def: $vgpr0
	s_branch .LBB118_339
.LBB118_331:
	s_mov_b32 s1, -1
                                        ; implicit-def: $vgpr0
	s_branch .LBB118_336
.LBB118_332:
	s_mov_b32 s1, -1
                                        ; implicit-def: $vgpr0
.LBB118_333:
	s_delay_alu instid0(SALU_CYCLE_1)
	s_and_not1_b32 vcc_lo, exec_lo, s1
	s_cbranch_vccnz .LBB118_335
; %bb.334:
	s_wait_loadcnt 0x0
	global_load_b32 v0, v[2:3], off
	s_wait_loadcnt 0x0
	v_cvt_i32_f32_e32 v0, v0
.LBB118_335:
	s_mov_b32 s1, 0
.LBB118_336:
	s_delay_alu instid0(SALU_CYCLE_1)
	s_and_not1_b32 vcc_lo, exec_lo, s1
	s_cbranch_vccnz .LBB118_338
; %bb.337:
	s_wait_loadcnt 0x0
	global_load_b32 v0, v[2:3], off
	s_wait_loadcnt 0x0
	v_cvt_f32_f16_e32 v0, v0
	s_delay_alu instid0(VALU_DEP_1)
	v_cvt_i32_f32_e32 v0, v0
.LBB118_338:
	s_mov_b32 s1, 0
.LBB118_339:
	s_delay_alu instid0(SALU_CYCLE_1)
	s_and_not1_b32 vcc_lo, exec_lo, s1
	s_cbranch_vccnz .LBB118_350
; %bb.340:
	s_cmp_lt_i32 s0, 6
	s_cbranch_scc1 .LBB118_343
; %bb.341:
	s_cmp_gt_i32 s0, 6
	s_cbranch_scc0 .LBB118_344
; %bb.342:
	s_wait_loadcnt 0x0
	global_load_b64 v[0:1], v[2:3], off
	s_mov_b32 s1, 0
	s_wait_loadcnt 0x0
	v_cvt_i32_f64_e32 v0, v[0:1]
	s_branch .LBB118_345
.LBB118_343:
	s_mov_b32 s1, -1
                                        ; implicit-def: $vgpr0
	s_branch .LBB118_348
.LBB118_344:
	s_mov_b32 s1, -1
                                        ; implicit-def: $vgpr0
.LBB118_345:
	s_delay_alu instid0(SALU_CYCLE_1)
	s_and_not1_b32 vcc_lo, exec_lo, s1
	s_cbranch_vccnz .LBB118_347
; %bb.346:
	s_wait_loadcnt 0x0
	global_load_b32 v0, v[2:3], off
	s_wait_loadcnt 0x0
	v_cvt_i32_f32_e32 v0, v0
.LBB118_347:
	s_mov_b32 s1, 0
.LBB118_348:
	s_delay_alu instid0(SALU_CYCLE_1)
	s_and_not1_b32 vcc_lo, exec_lo, s1
	s_cbranch_vccnz .LBB118_350
; %bb.349:
	s_wait_loadcnt 0x0
	global_load_u16 v0, v[2:3], off
	s_wait_loadcnt 0x0
	v_cvt_f32_f16_e32 v0, v0
	s_delay_alu instid0(VALU_DEP_1)
	v_cvt_i32_f32_e32 v0, v0
.LBB118_350:
	s_mov_b32 s1, 0
.LBB118_351:
	s_delay_alu instid0(SALU_CYCLE_1)
	s_and_not1_b32 vcc_lo, exec_lo, s1
	s_cbranch_vccnz .LBB118_371
; %bb.352:
	s_cmp_lt_i32 s0, 2
	s_cbranch_scc1 .LBB118_356
; %bb.353:
	s_cmp_lt_i32 s0, 3
	s_cbranch_scc1 .LBB118_357
; %bb.354:
	s_cmp_gt_i32 s0, 3
	s_cbranch_scc0 .LBB118_358
; %bb.355:
	s_wait_loadcnt 0x0
	global_load_b32 v0, v[2:3], off
	s_mov_b32 s1, 0
	s_branch .LBB118_359
.LBB118_356:
	s_mov_b32 s1, -1
                                        ; implicit-def: $vgpr0
	s_branch .LBB118_365
.LBB118_357:
	s_mov_b32 s1, -1
                                        ; implicit-def: $vgpr0
	s_branch .LBB118_362
.LBB118_358:
	s_mov_b32 s1, -1
                                        ; implicit-def: $vgpr0
.LBB118_359:
	s_delay_alu instid0(SALU_CYCLE_1)
	s_and_not1_b32 vcc_lo, exec_lo, s1
	s_cbranch_vccnz .LBB118_361
; %bb.360:
	s_wait_loadcnt 0x0
	global_load_b32 v0, v[2:3], off
.LBB118_361:
	s_mov_b32 s1, 0
.LBB118_362:
	s_delay_alu instid0(SALU_CYCLE_1)
	s_and_not1_b32 vcc_lo, exec_lo, s1
	s_cbranch_vccnz .LBB118_364
; %bb.363:
	s_wait_loadcnt 0x0
	global_load_i16 v0, v[2:3], off
.LBB118_364:
	s_mov_b32 s1, 0
.LBB118_365:
	s_delay_alu instid0(SALU_CYCLE_1)
	s_and_not1_b32 vcc_lo, exec_lo, s1
	s_cbranch_vccnz .LBB118_371
; %bb.366:
	s_cmp_gt_i32 s0, 0
	s_mov_b32 s0, 0
	s_cbranch_scc0 .LBB118_368
; %bb.367:
	s_wait_loadcnt 0x0
	global_load_i8 v0, v[2:3], off
	s_branch .LBB118_369
.LBB118_368:
	s_mov_b32 s0, -1
                                        ; implicit-def: $vgpr0
.LBB118_369:
	s_delay_alu instid0(SALU_CYCLE_1)
	s_and_not1_b32 vcc_lo, exec_lo, s0
	s_cbranch_vccnz .LBB118_371
; %bb.370:
	s_wait_loadcnt 0x0
	global_load_u8 v0, v[2:3], off
.LBB118_371:
	s_mov_b32 s41, -1
.LBB118_372:
	s_delay_alu instid0(SALU_CYCLE_1)
	s_and_not1_b32 vcc_lo, exec_lo, s41
	s_cbranch_vccnz .LBB118_628
; %bb.373:
	s_wait_xcnt 0x0
	v_mul_lo_u32 v2, v22, s36
	s_and_b32 s0, s3, 0xff
	s_delay_alu instid0(SALU_CYCLE_1) | instskip(NEXT) | instid1(VALU_DEP_1)
	s_cmp_lt_i32 s0, 11
	v_ashrrev_i32_e32 v3, 31, v2
	s_delay_alu instid0(VALU_DEP_1)
	v_add_nc_u64_e32 v[4:5], s[12:13], v[2:3]
	s_cbranch_scc1 .LBB118_380
; %bb.374:
	s_and_b32 s1, 0xffff, s0
	s_delay_alu instid0(SALU_CYCLE_1)
	s_cmp_gt_i32 s1, 25
	s_cbranch_scc0 .LBB118_381
; %bb.375:
	s_cmp_gt_i32 s1, 28
	s_cbranch_scc0 .LBB118_382
; %bb.376:
	;; [unrolled: 3-line block ×4, first 2 shown]
	s_cmp_eq_u32 s1, 46
	s_mov_b32 s42, 0
	s_cbranch_scc0 .LBB118_385
; %bb.379:
	global_load_b32 v1, v[4:5], off
	s_mov_b32 s41, -1
	s_wait_loadcnt 0x0
	v_lshlrev_b32_e32 v1, 16, v1
	s_delay_alu instid0(VALU_DEP_1)
	v_cvt_i32_f32_e32 v2, v1
	s_branch .LBB118_387
.LBB118_380:
	s_mov_b32 s1, -1
	s_mov_b32 s41, 0
                                        ; implicit-def: $vgpr2
	s_branch .LBB118_448
.LBB118_381:
	s_mov_b32 s42, -1
	s_mov_b32 s41, 0
                                        ; implicit-def: $vgpr2
	s_branch .LBB118_414
.LBB118_382:
	s_mov_b32 s42, -1
	s_mov_b32 s41, 0
                                        ; implicit-def: $vgpr2
	s_branch .LBB118_397
.LBB118_383:
	s_mov_b32 s42, -1
	s_mov_b32 s41, 0
                                        ; implicit-def: $vgpr2
	s_branch .LBB118_392
.LBB118_384:
	s_mov_b32 s42, -1
	s_branch .LBB118_386
.LBB118_385:
	s_mov_b32 s66, -1
.LBB118_386:
	s_mov_b32 s41, 0
                                        ; implicit-def: $vgpr2
.LBB118_387:
	s_and_b32 vcc_lo, exec_lo, s42
	s_cbranch_vccz .LBB118_391
; %bb.388:
	s_cmp_eq_u32 s1, 44
	s_cbranch_scc0 .LBB118_390
; %bb.389:
	global_load_u8 v1, v[4:5], off
	s_mov_b32 s66, 0
	s_mov_b32 s41, -1
	s_wait_loadcnt 0x0
	v_lshlrev_b32_e32 v2, 23, v1
	v_cmp_ne_u32_e32 vcc_lo, 0, v1
	s_delay_alu instid0(VALU_DEP_2) | instskip(NEXT) | instid1(VALU_DEP_1)
	v_cvt_i32_f32_e32 v2, v2
	v_cndmask_b32_e32 v2, 0, v2, vcc_lo
	s_branch .LBB118_391
.LBB118_390:
	s_mov_b32 s66, -1
                                        ; implicit-def: $vgpr2
.LBB118_391:
	s_mov_b32 s42, 0
.LBB118_392:
	s_delay_alu instid0(SALU_CYCLE_1)
	s_and_b32 vcc_lo, exec_lo, s42
	s_cbranch_vccz .LBB118_396
; %bb.393:
	s_cmp_eq_u32 s1, 29
	s_cbranch_scc0 .LBB118_395
; %bb.394:
	global_load_b32 v2, v[4:5], off
	s_mov_b32 s41, -1
	s_mov_b32 s66, 0
	s_branch .LBB118_396
.LBB118_395:
	s_mov_b32 s66, -1
                                        ; implicit-def: $vgpr2
.LBB118_396:
	s_mov_b32 s42, 0
.LBB118_397:
	s_delay_alu instid0(SALU_CYCLE_1)
	s_and_b32 vcc_lo, exec_lo, s42
	s_cbranch_vccz .LBB118_413
; %bb.398:
	s_cmp_lt_i32 s1, 27
	s_cbranch_scc1 .LBB118_401
; %bb.399:
	s_cmp_gt_i32 s1, 27
	s_cbranch_scc0 .LBB118_402
; %bb.400:
	s_wait_loadcnt 0x0
	global_load_b32 v2, v[4:5], off
	s_mov_b32 s41, 0
	s_branch .LBB118_403
.LBB118_401:
	s_mov_b32 s41, -1
                                        ; implicit-def: $vgpr2
	s_branch .LBB118_406
.LBB118_402:
	s_mov_b32 s41, -1
                                        ; implicit-def: $vgpr2
.LBB118_403:
	s_delay_alu instid0(SALU_CYCLE_1)
	s_and_not1_b32 vcc_lo, exec_lo, s41
	s_cbranch_vccnz .LBB118_405
; %bb.404:
	s_wait_loadcnt 0x0
	global_load_u16 v2, v[4:5], off
.LBB118_405:
	s_mov_b32 s41, 0
.LBB118_406:
	s_delay_alu instid0(SALU_CYCLE_1)
	s_and_not1_b32 vcc_lo, exec_lo, s41
	s_cbranch_vccnz .LBB118_412
; %bb.407:
	global_load_u8 v1, v[4:5], off
	s_mov_b32 s42, 0
	s_mov_b32 s41, exec_lo
	s_wait_loadcnt 0x0
	v_cmpx_lt_i16_e32 0x7f, v1
	s_xor_b32 s41, exec_lo, s41
	s_cbranch_execz .LBB118_424
; %bb.408:
	v_cmp_ne_u16_e32 vcc_lo, 0x80, v1
	s_and_b32 s42, vcc_lo, exec_lo
	s_and_not1_saveexec_b32 s41, s41
	s_cbranch_execnz .LBB118_425
.LBB118_409:
	s_or_b32 exec_lo, exec_lo, s41
	v_mov_b32_e32 v2, 0
	s_and_saveexec_b32 s41, s42
	s_cbranch_execz .LBB118_411
.LBB118_410:
	v_and_b32_e32 v2, 0xffff, v1
	s_delay_alu instid0(VALU_DEP_1) | instskip(SKIP_1) | instid1(VALU_DEP_2)
	v_dual_lshlrev_b32 v1, 24, v1 :: v_dual_bitop2_b32 v3, 7, v2 bitop3:0x40
	v_bfe_u32 v10, v2, 3, 4
	v_and_b32_e32 v1, 0x80000000, v1
	s_delay_alu instid0(VALU_DEP_3) | instskip(NEXT) | instid1(VALU_DEP_3)
	v_clz_i32_u32_e32 v6, v3
	v_cmp_eq_u32_e32 vcc_lo, 0, v10
	s_delay_alu instid0(VALU_DEP_2) | instskip(NEXT) | instid1(VALU_DEP_1)
	v_min_u32_e32 v6, 32, v6
	v_subrev_nc_u32_e32 v9, 28, v6
	v_sub_nc_u32_e32 v6, 29, v6
	s_delay_alu instid0(VALU_DEP_2) | instskip(NEXT) | instid1(VALU_DEP_2)
	v_lshlrev_b32_e32 v2, v9, v2
	v_cndmask_b32_e32 v6, v10, v6, vcc_lo
	s_delay_alu instid0(VALU_DEP_2) | instskip(NEXT) | instid1(VALU_DEP_1)
	v_and_b32_e32 v2, 7, v2
	v_cndmask_b32_e32 v2, v3, v2, vcc_lo
	s_delay_alu instid0(VALU_DEP_3) | instskip(NEXT) | instid1(VALU_DEP_2)
	v_lshl_add_u32 v3, v6, 23, 0x3b800000
	v_lshlrev_b32_e32 v2, 20, v2
	s_delay_alu instid0(VALU_DEP_1) | instskip(NEXT) | instid1(VALU_DEP_1)
	v_or3_b32 v1, v1, v3, v2
	v_cvt_i32_f32_e32 v2, v1
.LBB118_411:
	s_or_b32 exec_lo, exec_lo, s41
.LBB118_412:
	s_mov_b32 s41, -1
.LBB118_413:
	s_mov_b32 s42, 0
.LBB118_414:
	s_delay_alu instid0(SALU_CYCLE_1)
	s_and_b32 vcc_lo, exec_lo, s42
	s_cbranch_vccz .LBB118_447
; %bb.415:
	s_cmp_gt_i32 s1, 22
	s_cbranch_scc0 .LBB118_423
; %bb.416:
	s_cmp_lt_i32 s1, 24
	s_cbranch_scc1 .LBB118_426
; %bb.417:
	s_cmp_gt_i32 s1, 24
	s_cbranch_scc0 .LBB118_427
; %bb.418:
	global_load_u8 v1, v[4:5], off
	s_mov_b32 s42, 0
	s_mov_b32 s41, exec_lo
	s_wait_loadcnt 0x0
	v_cmpx_lt_i16_e32 0x7f, v1
	s_xor_b32 s41, exec_lo, s41
	s_cbranch_execz .LBB118_439
; %bb.419:
	v_cmp_ne_u16_e32 vcc_lo, 0x80, v1
	s_and_b32 s42, vcc_lo, exec_lo
	s_and_not1_saveexec_b32 s41, s41
	s_cbranch_execnz .LBB118_440
.LBB118_420:
	s_or_b32 exec_lo, exec_lo, s41
	v_mov_b32_e32 v2, 0
	s_and_saveexec_b32 s41, s42
	s_cbranch_execz .LBB118_422
.LBB118_421:
	v_and_b32_e32 v2, 0xffff, v1
	s_delay_alu instid0(VALU_DEP_1) | instskip(SKIP_1) | instid1(VALU_DEP_2)
	v_dual_lshlrev_b32 v1, 24, v1 :: v_dual_bitop2_b32 v3, 3, v2 bitop3:0x40
	v_bfe_u32 v10, v2, 2, 5
	v_and_b32_e32 v1, 0x80000000, v1
	s_delay_alu instid0(VALU_DEP_3) | instskip(NEXT) | instid1(VALU_DEP_3)
	v_clz_i32_u32_e32 v6, v3
	v_cmp_eq_u32_e32 vcc_lo, 0, v10
	s_delay_alu instid0(VALU_DEP_2) | instskip(NEXT) | instid1(VALU_DEP_1)
	v_min_u32_e32 v6, 32, v6
	v_subrev_nc_u32_e32 v9, 29, v6
	v_sub_nc_u32_e32 v6, 30, v6
	s_delay_alu instid0(VALU_DEP_2) | instskip(NEXT) | instid1(VALU_DEP_2)
	v_lshlrev_b32_e32 v2, v9, v2
	v_cndmask_b32_e32 v6, v10, v6, vcc_lo
	s_delay_alu instid0(VALU_DEP_2) | instskip(NEXT) | instid1(VALU_DEP_1)
	v_and_b32_e32 v2, 3, v2
	v_cndmask_b32_e32 v2, v3, v2, vcc_lo
	s_delay_alu instid0(VALU_DEP_3) | instskip(NEXT) | instid1(VALU_DEP_2)
	v_lshl_add_u32 v3, v6, 23, 0x37800000
	v_lshlrev_b32_e32 v2, 21, v2
	s_delay_alu instid0(VALU_DEP_1) | instskip(NEXT) | instid1(VALU_DEP_1)
	v_or3_b32 v1, v1, v3, v2
	v_cvt_i32_f32_e32 v2, v1
.LBB118_422:
	s_or_b32 exec_lo, exec_lo, s41
	s_mov_b32 s41, 0
	s_branch .LBB118_428
.LBB118_423:
	s_mov_b32 s42, -1
                                        ; implicit-def: $vgpr2
	s_branch .LBB118_434
.LBB118_424:
	s_and_not1_saveexec_b32 s41, s41
	s_cbranch_execz .LBB118_409
.LBB118_425:
	v_cmp_ne_u16_e32 vcc_lo, 0, v1
	s_and_not1_b32 s42, s42, exec_lo
	s_and_b32 s43, vcc_lo, exec_lo
	s_delay_alu instid0(SALU_CYCLE_1)
	s_or_b32 s42, s42, s43
	s_or_b32 exec_lo, exec_lo, s41
	v_mov_b32_e32 v2, 0
	s_and_saveexec_b32 s41, s42
	s_cbranch_execnz .LBB118_410
	s_branch .LBB118_411
.LBB118_426:
	s_mov_b32 s41, -1
                                        ; implicit-def: $vgpr2
	s_branch .LBB118_431
.LBB118_427:
	s_mov_b32 s41, -1
                                        ; implicit-def: $vgpr2
.LBB118_428:
	s_delay_alu instid0(SALU_CYCLE_1)
	s_and_b32 vcc_lo, exec_lo, s41
	s_cbranch_vccz .LBB118_430
; %bb.429:
	global_load_u8 v1, v[4:5], off
	s_wait_loadcnt 0x0
	v_lshlrev_b32_e32 v1, 24, v1
	s_delay_alu instid0(VALU_DEP_1) | instskip(NEXT) | instid1(VALU_DEP_1)
	v_and_b32_e32 v2, 0x7f000000, v1
	v_clz_i32_u32_e32 v3, v2
	v_cmp_ne_u32_e32 vcc_lo, 0, v2
	v_add_nc_u32_e32 v9, 0x1000000, v2
	s_delay_alu instid0(VALU_DEP_3) | instskip(NEXT) | instid1(VALU_DEP_1)
	v_min_u32_e32 v3, 32, v3
	v_sub_nc_u32_e64 v3, v3, 4 clamp
	s_delay_alu instid0(VALU_DEP_1) | instskip(NEXT) | instid1(VALU_DEP_1)
	v_dual_lshlrev_b32 v6, v3, v2 :: v_dual_lshlrev_b32 v3, 23, v3
	v_lshrrev_b32_e32 v6, 4, v6
	s_delay_alu instid0(VALU_DEP_1) | instskip(NEXT) | instid1(VALU_DEP_1)
	v_dual_sub_nc_u32 v3, v6, v3 :: v_dual_ashrrev_i32 v6, 8, v9
	v_add_nc_u32_e32 v3, 0x3c000000, v3
	s_delay_alu instid0(VALU_DEP_1) | instskip(NEXT) | instid1(VALU_DEP_1)
	v_and_or_b32 v3, 0x7f800000, v6, v3
	v_cndmask_b32_e32 v2, 0, v3, vcc_lo
	s_delay_alu instid0(VALU_DEP_1) | instskip(NEXT) | instid1(VALU_DEP_1)
	v_and_or_b32 v1, 0x80000000, v1, v2
	v_cvt_i32_f32_e32 v2, v1
.LBB118_430:
	s_mov_b32 s41, 0
.LBB118_431:
	s_delay_alu instid0(SALU_CYCLE_1)
	s_and_not1_b32 vcc_lo, exec_lo, s41
	s_cbranch_vccnz .LBB118_433
; %bb.432:
	global_load_u8 v1, v[4:5], off
	s_wait_loadcnt 0x0
	v_lshlrev_b32_e32 v2, 25, v1
	v_lshlrev_b16 v1, 8, v1
	s_delay_alu instid0(VALU_DEP_1) | instskip(SKIP_1) | instid1(VALU_DEP_2)
	v_and_or_b32 v6, 0x7f00, v1, 0.5
	v_bfe_i32 v1, v1, 0, 16
	v_add_f32_e32 v6, -0.5, v6
	v_lshrrev_b32_e32 v3, 4, v2
	v_cmp_gt_u32_e32 vcc_lo, 0x8000000, v2
	s_delay_alu instid0(VALU_DEP_2) | instskip(NEXT) | instid1(VALU_DEP_1)
	v_or_b32_e32 v3, 0x70000000, v3
	v_mul_f32_e32 v3, 0x7800000, v3
	s_delay_alu instid0(VALU_DEP_1) | instskip(NEXT) | instid1(VALU_DEP_1)
	v_cndmask_b32_e32 v2, v3, v6, vcc_lo
	v_and_or_b32 v1, 0x80000000, v1, v2
	s_delay_alu instid0(VALU_DEP_1)
	v_cvt_i32_f32_e32 v2, v1
.LBB118_433:
	s_mov_b32 s42, 0
	s_mov_b32 s41, -1
.LBB118_434:
	s_and_not1_b32 vcc_lo, exec_lo, s42
	s_cbranch_vccnz .LBB118_447
; %bb.435:
	s_cmp_gt_i32 s1, 14
	s_cbranch_scc0 .LBB118_438
; %bb.436:
	s_cmp_eq_u32 s1, 15
	s_cbranch_scc0 .LBB118_441
; %bb.437:
	global_load_u16 v1, v[4:5], off
	s_mov_b32 s41, -1
	s_mov_b32 s66, 0
	s_wait_loadcnt 0x0
	v_lshlrev_b32_e32 v1, 16, v1
	s_delay_alu instid0(VALU_DEP_1)
	v_cvt_i32_f32_e32 v2, v1
	s_branch .LBB118_442
.LBB118_438:
	s_mov_b32 s42, -1
                                        ; implicit-def: $vgpr2
	s_branch .LBB118_443
.LBB118_439:
	s_and_not1_saveexec_b32 s41, s41
	s_cbranch_execz .LBB118_420
.LBB118_440:
	v_cmp_ne_u16_e32 vcc_lo, 0, v1
	s_and_not1_b32 s42, s42, exec_lo
	s_and_b32 s43, vcc_lo, exec_lo
	s_delay_alu instid0(SALU_CYCLE_1)
	s_or_b32 s42, s42, s43
	s_or_b32 exec_lo, exec_lo, s41
	v_mov_b32_e32 v2, 0
	s_and_saveexec_b32 s41, s42
	s_cbranch_execnz .LBB118_421
	s_branch .LBB118_422
.LBB118_441:
	s_mov_b32 s66, -1
                                        ; implicit-def: $vgpr2
.LBB118_442:
	s_mov_b32 s42, 0
.LBB118_443:
	s_delay_alu instid0(SALU_CYCLE_1)
	s_and_b32 vcc_lo, exec_lo, s42
	s_cbranch_vccz .LBB118_447
; %bb.444:
	s_cmp_eq_u32 s1, 11
	s_cbranch_scc0 .LBB118_446
; %bb.445:
	global_load_u8 v1, v[4:5], off
	s_mov_b32 s66, 0
	s_mov_b32 s41, -1
	s_wait_loadcnt 0x0
	v_cmp_ne_u16_e32 vcc_lo, 0, v1
	v_cndmask_b32_e64 v2, 0, 1, vcc_lo
	s_branch .LBB118_447
.LBB118_446:
	s_mov_b32 s66, -1
                                        ; implicit-def: $vgpr2
.LBB118_447:
	s_mov_b32 s1, 0
.LBB118_448:
	s_delay_alu instid0(SALU_CYCLE_1)
	s_and_b32 vcc_lo, exec_lo, s1
	s_cbranch_vccz .LBB118_497
; %bb.449:
	s_and_b32 s0, 0xffff, s0
	s_delay_alu instid0(SALU_CYCLE_1)
	s_cmp_lt_i32 s0, 5
	s_cbranch_scc1 .LBB118_454
; %bb.450:
	s_cmp_lt_i32 s0, 8
	s_cbranch_scc1 .LBB118_455
; %bb.451:
	;; [unrolled: 3-line block ×3, first 2 shown]
	s_cmp_gt_i32 s0, 9
	s_cbranch_scc0 .LBB118_457
; %bb.453:
	s_wait_loadcnt 0x0
	global_load_b64 v[2:3], v[4:5], off
	s_mov_b32 s1, 0
	s_wait_loadcnt 0x0
	v_cvt_i32_f64_e32 v2, v[2:3]
	s_branch .LBB118_458
.LBB118_454:
	s_mov_b32 s1, -1
                                        ; implicit-def: $vgpr2
	s_branch .LBB118_476
.LBB118_455:
	s_mov_b32 s1, -1
                                        ; implicit-def: $vgpr2
	s_branch .LBB118_464
.LBB118_456:
	s_mov_b32 s1, -1
                                        ; implicit-def: $vgpr2
	s_branch .LBB118_461
.LBB118_457:
	s_mov_b32 s1, -1
                                        ; implicit-def: $vgpr2
.LBB118_458:
	s_delay_alu instid0(SALU_CYCLE_1)
	s_and_not1_b32 vcc_lo, exec_lo, s1
	s_cbranch_vccnz .LBB118_460
; %bb.459:
	global_load_b32 v1, v[4:5], off
	s_wait_loadcnt 0x0
	v_cvt_i32_f32_e32 v2, v1
.LBB118_460:
	s_mov_b32 s1, 0
.LBB118_461:
	s_delay_alu instid0(SALU_CYCLE_1)
	s_and_not1_b32 vcc_lo, exec_lo, s1
	s_cbranch_vccnz .LBB118_463
; %bb.462:
	global_load_b32 v1, v[4:5], off
	s_wait_loadcnt 0x0
	v_cvt_f32_f16_e32 v1, v1
	s_delay_alu instid0(VALU_DEP_1)
	v_cvt_i32_f32_e32 v2, v1
.LBB118_463:
	s_mov_b32 s1, 0
.LBB118_464:
	s_delay_alu instid0(SALU_CYCLE_1)
	s_and_not1_b32 vcc_lo, exec_lo, s1
	s_cbranch_vccnz .LBB118_475
; %bb.465:
	s_cmp_lt_i32 s0, 6
	s_cbranch_scc1 .LBB118_468
; %bb.466:
	s_cmp_gt_i32 s0, 6
	s_cbranch_scc0 .LBB118_469
; %bb.467:
	s_wait_loadcnt 0x0
	global_load_b64 v[2:3], v[4:5], off
	s_mov_b32 s1, 0
	s_wait_loadcnt 0x0
	v_cvt_i32_f64_e32 v2, v[2:3]
	s_branch .LBB118_470
.LBB118_468:
	s_mov_b32 s1, -1
                                        ; implicit-def: $vgpr2
	s_branch .LBB118_473
.LBB118_469:
	s_mov_b32 s1, -1
                                        ; implicit-def: $vgpr2
.LBB118_470:
	s_delay_alu instid0(SALU_CYCLE_1)
	s_and_not1_b32 vcc_lo, exec_lo, s1
	s_cbranch_vccnz .LBB118_472
; %bb.471:
	global_load_b32 v1, v[4:5], off
	s_wait_loadcnt 0x0
	v_cvt_i32_f32_e32 v2, v1
.LBB118_472:
	s_mov_b32 s1, 0
.LBB118_473:
	s_delay_alu instid0(SALU_CYCLE_1)
	s_and_not1_b32 vcc_lo, exec_lo, s1
	s_cbranch_vccnz .LBB118_475
; %bb.474:
	global_load_u16 v1, v[4:5], off
	s_wait_loadcnt 0x0
	v_cvt_f32_f16_e32 v1, v1
	s_delay_alu instid0(VALU_DEP_1)
	v_cvt_i32_f32_e32 v2, v1
.LBB118_475:
	s_mov_b32 s1, 0
.LBB118_476:
	s_delay_alu instid0(SALU_CYCLE_1)
	s_and_not1_b32 vcc_lo, exec_lo, s1
	s_cbranch_vccnz .LBB118_496
; %bb.477:
	s_cmp_lt_i32 s0, 2
	s_cbranch_scc1 .LBB118_481
; %bb.478:
	s_cmp_lt_i32 s0, 3
	s_cbranch_scc1 .LBB118_482
; %bb.479:
	s_cmp_gt_i32 s0, 3
	s_cbranch_scc0 .LBB118_483
; %bb.480:
	s_wait_loadcnt 0x0
	global_load_b32 v2, v[4:5], off
	s_mov_b32 s1, 0
	s_branch .LBB118_484
.LBB118_481:
	s_mov_b32 s1, -1
                                        ; implicit-def: $vgpr2
	s_branch .LBB118_490
.LBB118_482:
	s_mov_b32 s1, -1
                                        ; implicit-def: $vgpr2
	s_branch .LBB118_487
.LBB118_483:
	s_mov_b32 s1, -1
                                        ; implicit-def: $vgpr2
.LBB118_484:
	s_delay_alu instid0(SALU_CYCLE_1)
	s_and_not1_b32 vcc_lo, exec_lo, s1
	s_cbranch_vccnz .LBB118_486
; %bb.485:
	s_wait_loadcnt 0x0
	global_load_b32 v2, v[4:5], off
.LBB118_486:
	s_mov_b32 s1, 0
.LBB118_487:
	s_delay_alu instid0(SALU_CYCLE_1)
	s_and_not1_b32 vcc_lo, exec_lo, s1
	s_cbranch_vccnz .LBB118_489
; %bb.488:
	s_wait_loadcnt 0x0
	global_load_i16 v2, v[4:5], off
.LBB118_489:
	s_mov_b32 s1, 0
.LBB118_490:
	s_delay_alu instid0(SALU_CYCLE_1)
	s_and_not1_b32 vcc_lo, exec_lo, s1
	s_cbranch_vccnz .LBB118_496
; %bb.491:
	s_cmp_gt_i32 s0, 0
	s_mov_b32 s0, 0
	s_cbranch_scc0 .LBB118_493
; %bb.492:
	s_wait_loadcnt 0x0
	global_load_i8 v2, v[4:5], off
	s_branch .LBB118_494
.LBB118_493:
	s_mov_b32 s0, -1
                                        ; implicit-def: $vgpr2
.LBB118_494:
	s_delay_alu instid0(SALU_CYCLE_1)
	s_and_not1_b32 vcc_lo, exec_lo, s0
	s_cbranch_vccnz .LBB118_496
; %bb.495:
	s_wait_loadcnt 0x0
	global_load_u8 v2, v[4:5], off
.LBB118_496:
	s_mov_b32 s41, -1
.LBB118_497:
	s_delay_alu instid0(SALU_CYCLE_1)
	s_and_not1_b32 vcc_lo, exec_lo, s41
	s_cbranch_vccnz .LBB118_628
; %bb.498:
	s_wait_xcnt 0x0
	v_mul_lo_u32 v4, v22, s37
	s_and_b32 s0, s21, 0xff
	s_delay_alu instid0(SALU_CYCLE_1) | instskip(NEXT) | instid1(VALU_DEP_1)
	s_cmp_lt_i32 s0, 11
	v_ashrrev_i32_e32 v5, 31, v4
	s_delay_alu instid0(VALU_DEP_1)
	v_add_nc_u64_e32 v[4:5], s[14:15], v[4:5]
	s_cbranch_scc1 .LBB118_505
; %bb.499:
	s_and_b32 s1, 0xffff, s0
	s_delay_alu instid0(SALU_CYCLE_1)
	s_cmp_gt_i32 s1, 25
	s_cbranch_scc0 .LBB118_506
; %bb.500:
	s_cmp_gt_i32 s1, 28
	s_cbranch_scc0 .LBB118_507
; %bb.501:
	;; [unrolled: 3-line block ×4, first 2 shown]
	s_cmp_eq_u32 s1, 46
	s_mov_b32 s42, 0
	s_cbranch_scc0 .LBB118_510
; %bb.504:
	global_load_b32 v1, v[4:5], off
	s_mov_b32 s41, -1
	s_wait_loadcnt 0x0
	v_lshlrev_b32_e32 v1, 16, v1
	s_delay_alu instid0(VALU_DEP_1)
	v_cvt_i32_f32_e32 v6, v1
	s_branch .LBB118_512
.LBB118_505:
	s_mov_b32 s1, -1
	s_mov_b32 s41, 0
                                        ; implicit-def: $vgpr6
	s_branch .LBB118_573
.LBB118_506:
	s_mov_b32 s42, -1
	s_mov_b32 s41, 0
                                        ; implicit-def: $vgpr6
	s_branch .LBB118_539
.LBB118_507:
	s_mov_b32 s42, -1
	s_mov_b32 s41, 0
                                        ; implicit-def: $vgpr6
	s_branch .LBB118_522
.LBB118_508:
	s_mov_b32 s42, -1
	s_mov_b32 s41, 0
                                        ; implicit-def: $vgpr6
	s_branch .LBB118_517
.LBB118_509:
	s_mov_b32 s42, -1
	s_branch .LBB118_511
.LBB118_510:
	s_mov_b32 s65, -1
.LBB118_511:
	s_mov_b32 s41, 0
                                        ; implicit-def: $vgpr6
.LBB118_512:
	s_and_b32 vcc_lo, exec_lo, s42
	s_cbranch_vccz .LBB118_516
; %bb.513:
	s_cmp_eq_u32 s1, 44
	s_cbranch_scc0 .LBB118_515
; %bb.514:
	global_load_u8 v1, v[4:5], off
	s_mov_b32 s65, 0
	s_mov_b32 s41, -1
	s_wait_loadcnt 0x0
	v_lshlrev_b32_e32 v3, 23, v1
	v_cmp_ne_u32_e32 vcc_lo, 0, v1
	s_delay_alu instid0(VALU_DEP_2) | instskip(NEXT) | instid1(VALU_DEP_1)
	v_cvt_i32_f32_e32 v3, v3
	v_cndmask_b32_e32 v6, 0, v3, vcc_lo
	s_branch .LBB118_516
.LBB118_515:
	s_mov_b32 s65, -1
                                        ; implicit-def: $vgpr6
.LBB118_516:
	s_mov_b32 s42, 0
.LBB118_517:
	s_delay_alu instid0(SALU_CYCLE_1)
	s_and_b32 vcc_lo, exec_lo, s42
	s_cbranch_vccz .LBB118_521
; %bb.518:
	s_cmp_eq_u32 s1, 29
	s_cbranch_scc0 .LBB118_520
; %bb.519:
	global_load_b32 v6, v[4:5], off
	s_mov_b32 s41, -1
	s_mov_b32 s65, 0
	s_branch .LBB118_521
.LBB118_520:
	s_mov_b32 s65, -1
                                        ; implicit-def: $vgpr6
.LBB118_521:
	s_mov_b32 s42, 0
.LBB118_522:
	s_delay_alu instid0(SALU_CYCLE_1)
	s_and_b32 vcc_lo, exec_lo, s42
	s_cbranch_vccz .LBB118_538
; %bb.523:
	s_cmp_lt_i32 s1, 27
	s_cbranch_scc1 .LBB118_526
; %bb.524:
	s_cmp_gt_i32 s1, 27
	s_cbranch_scc0 .LBB118_527
; %bb.525:
	s_wait_loadcnt 0x0
	global_load_b32 v6, v[4:5], off
	s_mov_b32 s41, 0
	s_branch .LBB118_528
.LBB118_526:
	s_mov_b32 s41, -1
                                        ; implicit-def: $vgpr6
	s_branch .LBB118_531
.LBB118_527:
	s_mov_b32 s41, -1
                                        ; implicit-def: $vgpr6
.LBB118_528:
	s_delay_alu instid0(SALU_CYCLE_1)
	s_and_not1_b32 vcc_lo, exec_lo, s41
	s_cbranch_vccnz .LBB118_530
; %bb.529:
	s_wait_loadcnt 0x0
	global_load_u16 v6, v[4:5], off
.LBB118_530:
	s_mov_b32 s41, 0
.LBB118_531:
	s_delay_alu instid0(SALU_CYCLE_1)
	s_and_not1_b32 vcc_lo, exec_lo, s41
	s_cbranch_vccnz .LBB118_537
; %bb.532:
	global_load_u8 v1, v[4:5], off
	s_mov_b32 s42, 0
	s_mov_b32 s41, exec_lo
	s_wait_loadcnt 0x0
	v_cmpx_lt_i16_e32 0x7f, v1
	s_xor_b32 s41, exec_lo, s41
	s_cbranch_execz .LBB118_549
; %bb.533:
	v_cmp_ne_u16_e32 vcc_lo, 0x80, v1
	s_and_b32 s42, vcc_lo, exec_lo
	s_and_not1_saveexec_b32 s41, s41
	s_cbranch_execnz .LBB118_550
.LBB118_534:
	s_or_b32 exec_lo, exec_lo, s41
	v_mov_b32_e32 v6, 0
	s_and_saveexec_b32 s41, s42
	s_cbranch_execz .LBB118_536
.LBB118_535:
	v_and_b32_e32 v3, 0xffff, v1
	s_delay_alu instid0(VALU_DEP_1) | instskip(SKIP_1) | instid1(VALU_DEP_2)
	v_and_b32_e32 v6, 7, v3
	v_bfe_u32 v11, v3, 3, 4
	v_clz_i32_u32_e32 v9, v6
	s_delay_alu instid0(VALU_DEP_2) | instskip(NEXT) | instid1(VALU_DEP_2)
	v_cmp_eq_u32_e32 vcc_lo, 0, v11
	v_min_u32_e32 v9, 32, v9
	s_delay_alu instid0(VALU_DEP_1) | instskip(NEXT) | instid1(VALU_DEP_1)
	v_subrev_nc_u32_e32 v10, 28, v9
	v_dual_lshlrev_b32 v3, v10, v3 :: v_dual_sub_nc_u32 v9, 29, v9
	s_delay_alu instid0(VALU_DEP_1) | instskip(NEXT) | instid1(VALU_DEP_1)
	v_dual_lshlrev_b32 v1, 24, v1 :: v_dual_bitop2_b32 v3, 7, v3 bitop3:0x40
	v_dual_cndmask_b32 v3, v6, v3, vcc_lo :: v_dual_cndmask_b32 v9, v11, v9, vcc_lo
	s_delay_alu instid0(VALU_DEP_2) | instskip(NEXT) | instid1(VALU_DEP_2)
	v_and_b32_e32 v1, 0x80000000, v1
	v_lshlrev_b32_e32 v3, 20, v3
	s_delay_alu instid0(VALU_DEP_3) | instskip(NEXT) | instid1(VALU_DEP_1)
	v_lshl_add_u32 v6, v9, 23, 0x3b800000
	v_or3_b32 v1, v1, v6, v3
	s_delay_alu instid0(VALU_DEP_1)
	v_cvt_i32_f32_e32 v6, v1
.LBB118_536:
	s_or_b32 exec_lo, exec_lo, s41
.LBB118_537:
	s_mov_b32 s41, -1
.LBB118_538:
	s_mov_b32 s42, 0
.LBB118_539:
	s_delay_alu instid0(SALU_CYCLE_1)
	s_and_b32 vcc_lo, exec_lo, s42
	s_cbranch_vccz .LBB118_572
; %bb.540:
	s_cmp_gt_i32 s1, 22
	s_cbranch_scc0 .LBB118_548
; %bb.541:
	s_cmp_lt_i32 s1, 24
	s_cbranch_scc1 .LBB118_551
; %bb.542:
	s_cmp_gt_i32 s1, 24
	s_cbranch_scc0 .LBB118_552
; %bb.543:
	global_load_u8 v1, v[4:5], off
	s_mov_b32 s42, 0
	s_mov_b32 s41, exec_lo
	s_wait_loadcnt 0x0
	v_cmpx_lt_i16_e32 0x7f, v1
	s_xor_b32 s41, exec_lo, s41
	s_cbranch_execz .LBB118_564
; %bb.544:
	v_cmp_ne_u16_e32 vcc_lo, 0x80, v1
	s_and_b32 s42, vcc_lo, exec_lo
	s_and_not1_saveexec_b32 s41, s41
	s_cbranch_execnz .LBB118_565
.LBB118_545:
	s_or_b32 exec_lo, exec_lo, s41
	v_mov_b32_e32 v6, 0
	s_and_saveexec_b32 s41, s42
	s_cbranch_execz .LBB118_547
.LBB118_546:
	v_and_b32_e32 v3, 0xffff, v1
	s_delay_alu instid0(VALU_DEP_1) | instskip(SKIP_1) | instid1(VALU_DEP_2)
	v_and_b32_e32 v6, 3, v3
	v_bfe_u32 v11, v3, 2, 5
	v_clz_i32_u32_e32 v9, v6
	s_delay_alu instid0(VALU_DEP_2) | instskip(NEXT) | instid1(VALU_DEP_2)
	v_cmp_eq_u32_e32 vcc_lo, 0, v11
	v_min_u32_e32 v9, 32, v9
	s_delay_alu instid0(VALU_DEP_1) | instskip(NEXT) | instid1(VALU_DEP_1)
	v_subrev_nc_u32_e32 v10, 29, v9
	v_dual_lshlrev_b32 v3, v10, v3 :: v_dual_sub_nc_u32 v9, 30, v9
	s_delay_alu instid0(VALU_DEP_1) | instskip(NEXT) | instid1(VALU_DEP_1)
	v_dual_lshlrev_b32 v1, 24, v1 :: v_dual_bitop2_b32 v3, 3, v3 bitop3:0x40
	v_dual_cndmask_b32 v3, v6, v3, vcc_lo :: v_dual_cndmask_b32 v9, v11, v9, vcc_lo
	s_delay_alu instid0(VALU_DEP_2) | instskip(NEXT) | instid1(VALU_DEP_2)
	v_and_b32_e32 v1, 0x80000000, v1
	v_lshlrev_b32_e32 v3, 21, v3
	s_delay_alu instid0(VALU_DEP_3) | instskip(NEXT) | instid1(VALU_DEP_1)
	v_lshl_add_u32 v6, v9, 23, 0x37800000
	v_or3_b32 v1, v1, v6, v3
	s_delay_alu instid0(VALU_DEP_1)
	v_cvt_i32_f32_e32 v6, v1
.LBB118_547:
	s_or_b32 exec_lo, exec_lo, s41
	s_mov_b32 s41, 0
	s_branch .LBB118_553
.LBB118_548:
	s_mov_b32 s42, -1
                                        ; implicit-def: $vgpr6
	s_branch .LBB118_559
.LBB118_549:
	s_and_not1_saveexec_b32 s41, s41
	s_cbranch_execz .LBB118_534
.LBB118_550:
	v_cmp_ne_u16_e32 vcc_lo, 0, v1
	s_and_not1_b32 s42, s42, exec_lo
	s_and_b32 s43, vcc_lo, exec_lo
	s_delay_alu instid0(SALU_CYCLE_1)
	s_or_b32 s42, s42, s43
	s_or_b32 exec_lo, exec_lo, s41
	v_mov_b32_e32 v6, 0
	s_and_saveexec_b32 s41, s42
	s_cbranch_execnz .LBB118_535
	s_branch .LBB118_536
.LBB118_551:
	s_mov_b32 s41, -1
                                        ; implicit-def: $vgpr6
	s_branch .LBB118_556
.LBB118_552:
	s_mov_b32 s41, -1
                                        ; implicit-def: $vgpr6
.LBB118_553:
	s_delay_alu instid0(SALU_CYCLE_1)
	s_and_b32 vcc_lo, exec_lo, s41
	s_cbranch_vccz .LBB118_555
; %bb.554:
	global_load_u8 v1, v[4:5], off
	s_wait_loadcnt 0x0
	v_lshlrev_b32_e32 v1, 24, v1
	s_delay_alu instid0(VALU_DEP_1) | instskip(NEXT) | instid1(VALU_DEP_1)
	v_and_b32_e32 v3, 0x7f000000, v1
	v_clz_i32_u32_e32 v6, v3
	v_cmp_ne_u32_e32 vcc_lo, 0, v3
	v_add_nc_u32_e32 v10, 0x1000000, v3
	s_delay_alu instid0(VALU_DEP_3) | instskip(NEXT) | instid1(VALU_DEP_1)
	v_min_u32_e32 v6, 32, v6
	v_sub_nc_u32_e64 v6, v6, 4 clamp
	s_delay_alu instid0(VALU_DEP_1) | instskip(NEXT) | instid1(VALU_DEP_1)
	v_dual_lshlrev_b32 v9, v6, v3 :: v_dual_lshlrev_b32 v6, 23, v6
	v_lshrrev_b32_e32 v9, 4, v9
	s_delay_alu instid0(VALU_DEP_1) | instskip(SKIP_1) | instid1(VALU_DEP_2)
	v_sub_nc_u32_e32 v6, v9, v6
	v_ashrrev_i32_e32 v9, 8, v10
	v_add_nc_u32_e32 v6, 0x3c000000, v6
	s_delay_alu instid0(VALU_DEP_1) | instskip(NEXT) | instid1(VALU_DEP_1)
	v_and_or_b32 v6, 0x7f800000, v9, v6
	v_cndmask_b32_e32 v3, 0, v6, vcc_lo
	s_delay_alu instid0(VALU_DEP_1) | instskip(NEXT) | instid1(VALU_DEP_1)
	v_and_or_b32 v1, 0x80000000, v1, v3
	v_cvt_i32_f32_e32 v6, v1
.LBB118_555:
	s_mov_b32 s41, 0
.LBB118_556:
	s_delay_alu instid0(SALU_CYCLE_1)
	s_and_not1_b32 vcc_lo, exec_lo, s41
	s_cbranch_vccnz .LBB118_558
; %bb.557:
	global_load_u8 v1, v[4:5], off
	s_wait_loadcnt 0x0
	v_lshlrev_b32_e32 v3, 25, v1
	v_lshlrev_b16 v1, 8, v1
	s_delay_alu instid0(VALU_DEP_1) | instskip(NEXT) | instid1(VALU_DEP_3)
	v_and_or_b32 v9, 0x7f00, v1, 0.5
	v_lshrrev_b32_e32 v6, 4, v3
	v_bfe_i32 v1, v1, 0, 16
	s_delay_alu instid0(VALU_DEP_3) | instskip(NEXT) | instid1(VALU_DEP_3)
	v_add_f32_e32 v9, -0.5, v9
	v_or_b32_e32 v6, 0x70000000, v6
	s_delay_alu instid0(VALU_DEP_1) | instskip(SKIP_1) | instid1(VALU_DEP_2)
	v_mul_f32_e32 v6, 0x7800000, v6
	v_cmp_gt_u32_e32 vcc_lo, 0x8000000, v3
	v_cndmask_b32_e32 v3, v6, v9, vcc_lo
	s_delay_alu instid0(VALU_DEP_1) | instskip(NEXT) | instid1(VALU_DEP_1)
	v_and_or_b32 v1, 0x80000000, v1, v3
	v_cvt_i32_f32_e32 v6, v1
.LBB118_558:
	s_mov_b32 s42, 0
	s_mov_b32 s41, -1
.LBB118_559:
	s_and_not1_b32 vcc_lo, exec_lo, s42
	s_cbranch_vccnz .LBB118_572
; %bb.560:
	s_cmp_gt_i32 s1, 14
	s_cbranch_scc0 .LBB118_563
; %bb.561:
	s_cmp_eq_u32 s1, 15
	s_cbranch_scc0 .LBB118_566
; %bb.562:
	global_load_u16 v1, v[4:5], off
	s_mov_b32 s41, -1
	s_mov_b32 s65, 0
	s_wait_loadcnt 0x0
	v_lshlrev_b32_e32 v1, 16, v1
	s_delay_alu instid0(VALU_DEP_1)
	v_cvt_i32_f32_e32 v6, v1
	s_branch .LBB118_567
.LBB118_563:
	s_mov_b32 s42, -1
                                        ; implicit-def: $vgpr6
	s_branch .LBB118_568
.LBB118_564:
	s_and_not1_saveexec_b32 s41, s41
	s_cbranch_execz .LBB118_545
.LBB118_565:
	v_cmp_ne_u16_e32 vcc_lo, 0, v1
	s_and_not1_b32 s42, s42, exec_lo
	s_and_b32 s43, vcc_lo, exec_lo
	s_delay_alu instid0(SALU_CYCLE_1)
	s_or_b32 s42, s42, s43
	s_or_b32 exec_lo, exec_lo, s41
	v_mov_b32_e32 v6, 0
	s_and_saveexec_b32 s41, s42
	s_cbranch_execnz .LBB118_546
	s_branch .LBB118_547
.LBB118_566:
	s_mov_b32 s65, -1
                                        ; implicit-def: $vgpr6
.LBB118_567:
	s_mov_b32 s42, 0
.LBB118_568:
	s_delay_alu instid0(SALU_CYCLE_1)
	s_and_b32 vcc_lo, exec_lo, s42
	s_cbranch_vccz .LBB118_572
; %bb.569:
	s_cmp_eq_u32 s1, 11
	s_cbranch_scc0 .LBB118_571
; %bb.570:
	global_load_u8 v1, v[4:5], off
	s_mov_b32 s65, 0
	s_mov_b32 s41, -1
	s_wait_loadcnt 0x0
	v_cmp_ne_u16_e32 vcc_lo, 0, v1
	v_cndmask_b32_e64 v6, 0, 1, vcc_lo
	s_branch .LBB118_572
.LBB118_571:
	s_mov_b32 s65, -1
                                        ; implicit-def: $vgpr6
.LBB118_572:
	s_mov_b32 s1, 0
.LBB118_573:
	s_delay_alu instid0(SALU_CYCLE_1)
	s_and_b32 vcc_lo, exec_lo, s1
	s_cbranch_vccz .LBB118_622
; %bb.574:
	s_and_b32 s0, 0xffff, s0
	s_delay_alu instid0(SALU_CYCLE_1)
	s_cmp_lt_i32 s0, 5
	s_cbranch_scc1 .LBB118_579
; %bb.575:
	s_cmp_lt_i32 s0, 8
	s_cbranch_scc1 .LBB118_580
; %bb.576:
	s_cmp_lt_i32 s0, 9
	s_cbranch_scc1 .LBB118_581
; %bb.577:
	s_cmp_gt_i32 s0, 9
	s_cbranch_scc0 .LBB118_582
; %bb.578:
	global_load_b64 v[10:11], v[4:5], off
	s_mov_b32 s1, 0
	s_wait_loadcnt 0x0
	v_cvt_i32_f64_e32 v6, v[10:11]
	s_branch .LBB118_583
.LBB118_579:
	s_mov_b32 s1, -1
                                        ; implicit-def: $vgpr6
	s_branch .LBB118_601
.LBB118_580:
	s_mov_b32 s1, -1
                                        ; implicit-def: $vgpr6
	s_branch .LBB118_589
.LBB118_581:
	s_mov_b32 s1, -1
                                        ; implicit-def: $vgpr6
	s_branch .LBB118_586
.LBB118_582:
	s_mov_b32 s1, -1
                                        ; implicit-def: $vgpr6
.LBB118_583:
	s_delay_alu instid0(SALU_CYCLE_1)
	s_and_not1_b32 vcc_lo, exec_lo, s1
	s_cbranch_vccnz .LBB118_585
; %bb.584:
	global_load_b32 v1, v[4:5], off
	s_wait_loadcnt 0x0
	v_cvt_i32_f32_e32 v6, v1
.LBB118_585:
	s_mov_b32 s1, 0
.LBB118_586:
	s_delay_alu instid0(SALU_CYCLE_1)
	s_and_not1_b32 vcc_lo, exec_lo, s1
	s_cbranch_vccnz .LBB118_588
; %bb.587:
	global_load_b32 v1, v[4:5], off
	s_wait_loadcnt 0x0
	v_cvt_f32_f16_e32 v1, v1
	s_delay_alu instid0(VALU_DEP_1)
	v_cvt_i32_f32_e32 v6, v1
.LBB118_588:
	s_mov_b32 s1, 0
.LBB118_589:
	s_delay_alu instid0(SALU_CYCLE_1)
	s_and_not1_b32 vcc_lo, exec_lo, s1
	s_cbranch_vccnz .LBB118_600
; %bb.590:
	s_cmp_lt_i32 s0, 6
	s_cbranch_scc1 .LBB118_593
; %bb.591:
	s_cmp_gt_i32 s0, 6
	s_cbranch_scc0 .LBB118_594
; %bb.592:
	global_load_b64 v[10:11], v[4:5], off
	s_mov_b32 s1, 0
	s_wait_loadcnt 0x0
	v_cvt_i32_f64_e32 v6, v[10:11]
	s_branch .LBB118_595
.LBB118_593:
	s_mov_b32 s1, -1
                                        ; implicit-def: $vgpr6
	s_branch .LBB118_598
.LBB118_594:
	s_mov_b32 s1, -1
                                        ; implicit-def: $vgpr6
.LBB118_595:
	s_delay_alu instid0(SALU_CYCLE_1)
	s_and_not1_b32 vcc_lo, exec_lo, s1
	s_cbranch_vccnz .LBB118_597
; %bb.596:
	global_load_b32 v1, v[4:5], off
	s_wait_loadcnt 0x0
	v_cvt_i32_f32_e32 v6, v1
.LBB118_597:
	s_mov_b32 s1, 0
.LBB118_598:
	s_delay_alu instid0(SALU_CYCLE_1)
	s_and_not1_b32 vcc_lo, exec_lo, s1
	s_cbranch_vccnz .LBB118_600
; %bb.599:
	global_load_u16 v1, v[4:5], off
	s_wait_loadcnt 0x0
	v_cvt_f32_f16_e32 v1, v1
	s_delay_alu instid0(VALU_DEP_1)
	v_cvt_i32_f32_e32 v6, v1
.LBB118_600:
	s_mov_b32 s1, 0
.LBB118_601:
	s_delay_alu instid0(SALU_CYCLE_1)
	s_and_not1_b32 vcc_lo, exec_lo, s1
	s_cbranch_vccnz .LBB118_621
; %bb.602:
	s_cmp_lt_i32 s0, 2
	s_cbranch_scc1 .LBB118_606
; %bb.603:
	s_cmp_lt_i32 s0, 3
	s_cbranch_scc1 .LBB118_607
; %bb.604:
	s_cmp_gt_i32 s0, 3
	s_cbranch_scc0 .LBB118_608
; %bb.605:
	s_wait_loadcnt 0x0
	global_load_b32 v6, v[4:5], off
	s_mov_b32 s1, 0
	s_branch .LBB118_609
.LBB118_606:
	s_mov_b32 s1, -1
                                        ; implicit-def: $vgpr6
	s_branch .LBB118_615
.LBB118_607:
	s_mov_b32 s1, -1
                                        ; implicit-def: $vgpr6
	s_branch .LBB118_612
.LBB118_608:
	s_mov_b32 s1, -1
                                        ; implicit-def: $vgpr6
.LBB118_609:
	s_delay_alu instid0(SALU_CYCLE_1)
	s_and_not1_b32 vcc_lo, exec_lo, s1
	s_cbranch_vccnz .LBB118_611
; %bb.610:
	s_wait_loadcnt 0x0
	global_load_b32 v6, v[4:5], off
.LBB118_611:
	s_mov_b32 s1, 0
.LBB118_612:
	s_delay_alu instid0(SALU_CYCLE_1)
	s_and_not1_b32 vcc_lo, exec_lo, s1
	s_cbranch_vccnz .LBB118_614
; %bb.613:
	s_wait_loadcnt 0x0
	global_load_i16 v6, v[4:5], off
.LBB118_614:
	s_mov_b32 s1, 0
.LBB118_615:
	s_delay_alu instid0(SALU_CYCLE_1)
	s_and_not1_b32 vcc_lo, exec_lo, s1
	s_cbranch_vccnz .LBB118_621
; %bb.616:
	s_cmp_gt_i32 s0, 0
	s_mov_b32 s0, 0
	s_cbranch_scc0 .LBB118_618
; %bb.617:
	s_wait_loadcnt 0x0
	global_load_i8 v6, v[4:5], off
	s_branch .LBB118_619
.LBB118_618:
	s_mov_b32 s0, -1
                                        ; implicit-def: $vgpr6
.LBB118_619:
	s_delay_alu instid0(SALU_CYCLE_1)
	s_and_not1_b32 vcc_lo, exec_lo, s0
	s_cbranch_vccnz .LBB118_621
; %bb.620:
	s_wait_loadcnt 0x0
	global_load_u8 v6, v[4:5], off
.LBB118_621:
	s_mov_b32 s41, -1
.LBB118_622:
	s_delay_alu instid0(SALU_CYCLE_1)
	s_and_not1_b32 vcc_lo, exec_lo, s41
	s_cbranch_vccnz .LBB118_628
; %bb.623:
	s_wait_loadcnt 0x0
	v_cmp_eq_u32_e32 vcc_lo, s38, v7
	s_mov_b32 s1, -1
	s_mov_b32 s0, 0
	s_mov_b32 s41, 0
	s_mov_b32 s42, 0
	s_and_b32 s45, s58, vcc_lo
	s_mov_b32 s43, 0
	s_mov_b32 s44, 0
	s_and_saveexec_b32 s59, s45
	s_cbranch_execz .LBB118_3937
; %bb.624:
	v_cmp_eq_u32_e32 vcc_lo, s22, v8
	s_and_b32 s41, s57, vcc_lo
	s_delay_alu instid0(SALU_CYCLE_1)
	s_and_saveexec_b32 s61, s41
	s_cbranch_execz .LBB118_1919
; %bb.625:
	v_sub_nc_u32_e32 v1, v2, v0
	s_mov_b32 s41, 0
	s_delay_alu instid0(VALU_DEP_1)
	v_cmp_le_i32_e32 vcc_lo, s38, v1
	v_cmp_ge_i32_e64 s0, s20, v1
	s_and_b32 s42, vcc_lo, s0
	s_mov_b32 s0, 0
	s_and_b32 s43, s56, s42
	s_mov_b32 s42, 0
	s_and_saveexec_b32 s62, s43
	s_cbranch_execz .LBB118_1918
; %bb.626:
	v_mov_b64_e32 v[4:5], 0
	s_and_not1_b32 vcc_lo, exec_lo, s55
	s_cbranch_vccnz .LBB118_662
; %bb.627:
	v_ashrrev_i32_e32 v7, 31, v6
	s_mov_b32 s1, 0
	v_mov_b64_e32 v[4:5], 0
	s_mov_b32 s41, s1
	s_mov_b64 s[42:43], 0xffffffff
	v_mul_u64_e32 v[8:9], s[22:23], v[6:7]
	v_mov_b32_e32 v6, 0
	s_lshl_b64 s[46:47], s[40:41], 3
	s_mov_b32 s41, s24
	s_add_nc_u64 s[44:45], s[26:27], s[46:47]
	s_add_nc_u64 s[46:47], s[28:29], s[46:47]
	s_branch .LBB118_643
.LBB118_628:
	s_mov_b32 s0, 0
	s_mov_b32 s1, 0
	;; [unrolled: 1-line block ×6, first 2 shown]
                                        ; implicit-def: $vgpr22
.LBB118_629:
	s_delay_alu instid0(SALU_CYCLE_1)
	s_and_b32 s59, s44, exec_lo
	s_and_b32 s61, s43, exec_lo
	;; [unrolled: 1-line block ×10, first 2 shown]
	s_or_not1_b32 s1, s0, exec_lo
.LBB118_630:
	s_wait_xcnt 0x0
	s_or_b32 exec_lo, exec_lo, s70
	s_mov_b32 s43, 0
	s_mov_b32 s42, 0
                                        ; implicit-def: $sgpr0
                                        ; implicit-def: $vgpr0_vgpr1
                                        ; implicit-def: $vgpr7
	s_and_saveexec_b32 s70, s1
	s_cbranch_execz .LBB118_639
; %bb.631:
	s_mov_b32 s43, -1
	s_mov_b32 s71, s69
	s_mov_b32 s73, s68
	;; [unrolled: 1-line block ×10, first 2 shown]
	s_mov_b32 s81, exec_lo
	v_cmpx_gt_i32_e64 s60, v22
	s_cbranch_execz .LBB118_1299
; %bb.632:
	s_wait_loadcnt 0x0
	v_mul_lo_u32 v0, v22, s17
	s_and_b32 s0, s39, 0xff
	s_delay_alu instid0(SALU_CYCLE_1) | instskip(NEXT) | instid1(VALU_DEP_1)
	s_cmp_lt_i32 s0, 11
	v_ashrrev_i32_e32 v1, 31, v0
	s_delay_alu instid0(VALU_DEP_1)
	v_add_nc_u64_e32 v[0:1], s[6:7], v[0:1]
	s_cbranch_scc1 .LBB118_647
; %bb.633:
	s_and_b32 s1, 0xffff, s0
	s_delay_alu instid0(SALU_CYCLE_1)
	s_cmp_gt_i32 s1, 25
	s_cbranch_scc0 .LBB118_656
; %bb.634:
	s_cmp_gt_i32 s1, 28
	s_cbranch_scc0 .LBB118_658
; %bb.635:
	;; [unrolled: 3-line block ×4, first 2 shown]
	s_cmp_eq_u32 s1, 46
	s_cbranch_scc0 .LBB118_678
; %bb.638:
	global_load_b32 v2, v[0:1], off
	s_mov_b32 s41, -1
	s_mov_b32 s71, 0
	s_wait_loadcnt 0x0
	v_lshlrev_b32_e32 v2, 16, v2
	s_delay_alu instid0(VALU_DEP_1)
	v_cvt_i32_f32_e32 v7, v2
	s_branch .LBB118_680
.LBB118_639:
	s_or_b32 exec_lo, exec_lo, s70
	s_mov_b32 s1, 0
	s_and_saveexec_b32 s41, s69
	s_cbranch_execnz .LBB118_2140
.LBB118_640:
	s_or_b32 exec_lo, exec_lo, s41
	s_and_saveexec_b32 s41, s71
	s_delay_alu instid0(SALU_CYCLE_1)
	s_xor_b32 s41, exec_lo, s41
	s_cbranch_execz .LBB118_2141
.LBB118_641:
	s_wait_loadcnt 0x0
	global_load_u8 v2, v[0:1], off
	s_or_b32 s42, s42, exec_lo
	s_wait_loadcnt 0x0
	v_cmp_ne_u16_e32 vcc_lo, 0, v2
	v_cndmask_b32_e64 v7, 0, 1, vcc_lo
	s_wait_xcnt 0x0
	s_or_b32 exec_lo, exec_lo, s41
	s_and_saveexec_b32 s41, s43
	s_cbranch_execz .LBB118_2187
	s_branch .LBB118_2142
.LBB118_642:                            ;   in Loop: Header=BB118_643 Depth=1
	s_or_b32 exec_lo, exec_lo, s0
	s_delay_alu instid0(VALU_DEP_1)
	v_mul_u64_e32 v[12:13], s[48:49], v[10:11]
	s_load_b64 s[48:49], s[46:47], 0x0
	s_add_co_i32 s41, s41, -1
	s_add_nc_u64 s[44:45], s[44:45], -8
	s_cmp_eq_u32 s41, 0
	s_wait_xcnt 0x0
	s_add_nc_u64 s[46:47], s[46:47], -8
	s_delay_alu instid0(VALU_DEP_1) | instskip(SKIP_1) | instid1(VALU_DEP_1)
	v_sub_nc_u64_e32 v[8:9], v[8:9], v[12:13]
	s_wait_kmcnt 0x0
	v_mad_nc_u64_u32 v[4:5], v8, s48, v[4:5]
	s_delay_alu instid0(VALU_DEP_1) | instskip(NEXT) | instid1(VALU_DEP_1)
	v_mad_u32 v1, v9, s48, v5
	v_mad_u32 v5, v8, s49, v1
	v_mov_b64_e32 v[8:9], v[10:11]
	s_cbranch_scc1 .LBB118_662
.LBB118_643:                            ; =>This Inner Loop Header: Depth=1
	s_load_b64 s[48:49], s[44:45], 0x0
                                        ; implicit-def: $vgpr10_vgpr11
	s_mov_b32 s0, exec_lo
	s_wait_kmcnt 0x0
	s_delay_alu instid0(VALU_DEP_1) | instskip(NEXT) | instid1(VALU_DEP_1)
	v_or_b32_e32 v7, s49, v9
	v_cmpx_ne_u64_e32 0, v[6:7]
	s_xor_b32 s63, exec_lo, s0
	s_cbranch_execz .LBB118_645
; %bb.644:                              ;   in Loop: Header=BB118_643 Depth=1
	s_ashr_i32 s50, s49, 31
	v_dual_mov_b32 v15, v6 :: v_dual_ashrrev_i32 v10, 31, v9
	s_mov_b32 s51, s50
	v_mov_b32_e32 v25, v6
	s_add_nc_u64 s[52:53], s[48:49], s[50:51]
	s_delay_alu instid0(VALU_DEP_2) | instskip(SKIP_1) | instid1(SALU_CYCLE_1)
	v_mov_b32_e32 v11, v10
	s_xor_b64 s[52:53], s[52:53], s[50:51]
	s_cvt_f32_u32 s0, s52
	s_cvt_f32_u32 s51, s53
	s_sub_nc_u64 s[74:75], 0, s[52:53]
	v_add_nc_u64_e32 v[12:13], v[8:9], v[10:11]
	v_mov_b32_e32 v19, v6
	s_fmamk_f32 s0, s51, 0x4f800000, s0
	s_delay_alu instid0(SALU_CYCLE_3) | instskip(NEXT) | instid1(VALU_DEP_2)
	v_s_rcp_f32 s0, s0
	v_xor_b32_e32 v14, v12, v10
	s_delay_alu instid0(VALU_DEP_3) | instskip(NEXT) | instid1(TRANS32_DEP_1)
	v_xor_b32_e32 v18, v13, v10
	s_mul_f32 s0, s0, 0x5f7ffffc
	s_delay_alu instid0(SALU_CYCLE_3) | instskip(NEXT) | instid1(SALU_CYCLE_3)
	s_mul_f32 s51, s0, 0x2f800000
	s_trunc_f32 s51, s51
	s_delay_alu instid0(SALU_CYCLE_3) | instskip(SKIP_1) | instid1(SALU_CYCLE_2)
	s_fmamk_f32 s0, s51, 0xcf800000, s0
	s_cvt_u32_f32 s73, s51
	s_cvt_u32_f32 s72, s0
	s_delay_alu instid0(SALU_CYCLE_3) | instskip(NEXT) | instid1(SALU_CYCLE_1)
	s_mul_u64 s[76:77], s[74:75], s[72:73]
	s_mul_hi_u32 s79, s72, s77
	s_mul_i32 s78, s72, s77
	s_mul_hi_u32 s0, s72, s76
	s_mul_i32 s64, s73, s76
	s_add_nc_u64 s[78:79], s[0:1], s[78:79]
	s_mul_hi_u32 s51, s73, s76
	s_mul_hi_u32 s80, s73, s77
	s_add_co_u32 s0, s78, s64
	s_add_co_ci_u32 s0, s79, s51
	s_mul_i32 s76, s73, s77
	s_add_co_ci_u32 s77, s80, 0
	s_delay_alu instid0(SALU_CYCLE_1) | instskip(NEXT) | instid1(SALU_CYCLE_1)
	s_add_nc_u64 s[76:77], s[0:1], s[76:77]
	s_add_co_u32 s72, s72, s76
	s_cselect_b32 s0, -1, 0
	s_delay_alu instid0(SALU_CYCLE_1) | instskip(SKIP_1) | instid1(SALU_CYCLE_1)
	s_cmp_lg_u32 s0, 0
	s_add_co_ci_u32 s73, s73, s77
	s_mul_u64 s[74:75], s[74:75], s[72:73]
	s_delay_alu instid0(SALU_CYCLE_1)
	s_mul_hi_u32 s77, s72, s75
	s_mul_i32 s76, s72, s75
	s_mul_hi_u32 s0, s72, s74
	s_mul_i32 s64, s73, s74
	s_add_nc_u64 s[76:77], s[0:1], s[76:77]
	s_mul_hi_u32 s51, s73, s74
	s_mul_hi_u32 s78, s73, s75
	s_add_co_u32 s0, s76, s64
	s_add_co_ci_u32 s0, s77, s51
	s_mul_i32 s74, s73, s75
	s_add_co_ci_u32 s75, s78, 0
	s_delay_alu instid0(SALU_CYCLE_1) | instskip(NEXT) | instid1(SALU_CYCLE_1)
	s_add_nc_u64 s[74:75], s[0:1], s[74:75]
	s_add_co_u32 s64, s72, s74
	s_cselect_b32 s0, -1, 0
	v_mul_hi_u32 v24, v14, s64
	s_cmp_lg_u32 s0, 0
	s_add_co_ci_u32 s0, s73, s75
	s_and_b64 s[72:73], s[64:65], s[42:43]
	v_mul_u64_e32 v[16:17], s[0:1], v[14:15]
	v_mul_u64_e32 v[12:13], s[72:73], v[18:19]
	;; [unrolled: 1-line block ×3, first 2 shown]
	s_delay_alu instid0(VALU_DEP_3) | instskip(NEXT) | instid1(VALU_DEP_1)
	v_add_nc_u64_e32 v[16:17], v[24:25], v[16:17]
	v_add_co_u32 v1, vcc_lo, v16, v12
	s_delay_alu instid0(VALU_DEP_2) | instskip(NEXT) | instid1(VALU_DEP_4)
	v_add_co_ci_u32_e32 v24, vcc_lo, v17, v13, vcc_lo
	v_add_co_ci_u32_e32 v21, vcc_lo, 0, v21, vcc_lo
	s_delay_alu instid0(VALU_DEP_1) | instskip(NEXT) | instid1(VALU_DEP_1)
	v_add_nc_u64_e32 v[12:13], v[24:25], v[20:21]
	v_mul_u64_e32 v[16:17], s[52:53], v[12:13]
	s_delay_alu instid0(VALU_DEP_1) | instskip(NEXT) | instid1(VALU_DEP_2)
	v_sub_nc_u32_e32 v1, v18, v17
	v_sub_co_u32 v3, vcc_lo, v14, v16
	s_delay_alu instid0(VALU_DEP_1) | instskip(NEXT) | instid1(VALU_DEP_3)
	v_sub_co_ci_u32_e64 v11, null, v18, v17, vcc_lo
	v_subrev_co_ci_u32_e64 v1, null, s53, v1, vcc_lo
	s_delay_alu instid0(VALU_DEP_3) | instskip(SKIP_1) | instid1(VALU_DEP_3)
	v_sub_co_u32 v7, s0, v3, s52
	v_add_nc_u64_e32 v[16:17], 1, v[12:13]
	v_subrev_co_ci_u32_e64 v1, null, 0, v1, s0
	s_delay_alu instid0(VALU_DEP_3) | instskip(SKIP_1) | instid1(VALU_DEP_3)
	v_cmp_le_u32_e32 vcc_lo, s52, v7
	v_cndmask_b32_e64 v7, 0, -1, vcc_lo
	v_cmp_le_u32_e32 vcc_lo, s53, v1
	v_cndmask_b32_e64 v14, 0, -1, vcc_lo
	;; [unrolled: 2-line block ×4, first 2 shown]
	v_cmp_eq_u32_e32 vcc_lo, s53, v1
	v_cndmask_b32_e32 v1, v14, v7, vcc_lo
	v_cmp_eq_u32_e32 vcc_lo, s53, v11
	v_add_nc_u64_e32 v[14:15], 2, v[12:13]
	v_cndmask_b32_e32 v3, v18, v3, vcc_lo
	s_delay_alu instid0(VALU_DEP_4) | instskip(NEXT) | instid1(VALU_DEP_2)
	v_cmp_ne_u32_e32 vcc_lo, 0, v1
	v_cmp_ne_u32_e64 s0, 0, v3
	s_delay_alu instid0(VALU_DEP_4) | instskip(NEXT) | instid1(VALU_DEP_1)
	v_dual_cndmask_b32 v1, v17, v15, vcc_lo :: v_dual_cndmask_b32 v3, v16, v14, vcc_lo
	v_dual_cndmask_b32 v1, v13, v1, s0 :: v_dual_bitop2_b32 v10, s50, v10 bitop3:0x14
	s_delay_alu instid0(VALU_DEP_1) | instskip(NEXT) | instid1(VALU_DEP_2)
	v_dual_cndmask_b32 v3, v12, v3, s0 :: v_dual_mov_b32 v11, v10
	v_xor_b32_e32 v13, v1, v10
	s_delay_alu instid0(VALU_DEP_2) | instskip(NEXT) | instid1(VALU_DEP_1)
	v_xor_b32_e32 v12, v3, v10
	v_sub_nc_u64_e32 v[10:11], v[12:13], v[10:11]
.LBB118_645:                            ;   in Loop: Header=BB118_643 Depth=1
	s_and_not1_saveexec_b32 s0, s63
	s_cbranch_execz .LBB118_642
; %bb.646:                              ;   in Loop: Header=BB118_643 Depth=1
	v_cvt_f32_u32_e32 v1, s48
	s_sub_co_i32 s50, 0, s48
	v_mov_b32_e32 v11, v6
	s_delay_alu instid0(VALU_DEP_2) | instskip(SKIP_1) | instid1(TRANS32_DEP_1)
	v_rcp_iflag_f32_e32 v1, v1
	v_nop
	v_mul_f32_e32 v1, 0x4f7ffffe, v1
	s_delay_alu instid0(VALU_DEP_1) | instskip(NEXT) | instid1(VALU_DEP_1)
	v_cvt_u32_f32_e32 v1, v1
	v_mul_lo_u32 v3, s50, v1
	s_delay_alu instid0(VALU_DEP_1) | instskip(NEXT) | instid1(VALU_DEP_1)
	v_mul_hi_u32 v3, v1, v3
	v_add_nc_u32_e32 v1, v1, v3
	s_delay_alu instid0(VALU_DEP_1) | instskip(NEXT) | instid1(VALU_DEP_1)
	v_mul_hi_u32 v1, v8, v1
	v_mul_lo_u32 v3, v1, s48
	s_delay_alu instid0(VALU_DEP_1) | instskip(NEXT) | instid1(VALU_DEP_1)
	v_sub_nc_u32_e32 v3, v8, v3
	v_subrev_nc_u32_e32 v10, s48, v3
	v_cmp_le_u32_e32 vcc_lo, s48, v3
	s_delay_alu instid0(VALU_DEP_2) | instskip(NEXT) | instid1(VALU_DEP_1)
	v_dual_add_nc_u32 v7, 1, v1 :: v_dual_cndmask_b32 v3, v3, v10, vcc_lo
	v_cndmask_b32_e32 v1, v1, v7, vcc_lo
	s_delay_alu instid0(VALU_DEP_2) | instskip(NEXT) | instid1(VALU_DEP_2)
	v_cmp_le_u32_e32 vcc_lo, s48, v3
	v_add_nc_u32_e32 v7, 1, v1
	s_delay_alu instid0(VALU_DEP_1)
	v_cndmask_b32_e32 v10, v1, v7, vcc_lo
	s_branch .LBB118_642
.LBB118_647:
	s_mov_b32 s41, 0
	s_mov_b32 s71, s69
                                        ; implicit-def: $vgpr7
	s_cbranch_execnz .LBB118_742
.LBB118_648:
	s_and_not1_b32 vcc_lo, exec_lo, s41
	s_cbranch_vccnz .LBB118_790
.LBB118_649:
	s_wait_xcnt 0x0
	v_mul_lo_u32 v0, v22, s18
	s_and_b32 s0, s25, 0xff
	s_delay_alu instid0(SALU_CYCLE_1) | instskip(NEXT) | instid1(VALU_DEP_1)
	s_cmp_lt_i32 s0, 11
	v_ashrrev_i32_e32 v1, 31, v0
	s_delay_alu instid0(VALU_DEP_1)
	v_add_nc_u64_e32 v[0:1], s[8:9], v[0:1]
	s_cbranch_scc1 .LBB118_657
; %bb.650:
	s_and_b32 s1, 0xffff, s0
	s_delay_alu instid0(SALU_CYCLE_1)
	s_cmp_gt_i32 s1, 25
	s_cbranch_scc0 .LBB118_659
; %bb.651:
	s_cmp_gt_i32 s1, 28
	s_cbranch_scc0 .LBB118_661
; %bb.652:
	;; [unrolled: 3-line block ×4, first 2 shown]
	s_cmp_eq_u32 s1, 46
	s_mov_b32 s42, 0
	s_cbranch_scc0 .LBB118_792
; %bb.655:
	global_load_b32 v2, v[0:1], off
	s_mov_b32 s41, -1
	s_mov_b32 s73, 0
	s_wait_loadcnt 0x0
	v_lshlrev_b32_e32 v2, 16, v2
	s_delay_alu instid0(VALU_DEP_1)
	v_cvt_i32_f32_e32 v8, v2
	s_branch .LBB118_794
.LBB118_656:
	s_mov_b32 s42, -1
	s_mov_b32 s41, 0
	s_mov_b32 s71, s69
                                        ; implicit-def: $vgpr7
	s_branch .LBB118_708
.LBB118_657:
	s_mov_b32 s1, -1
	s_mov_b32 s41, 0
	s_mov_b32 s73, s68
                                        ; implicit-def: $vgpr8
	s_branch .LBB118_855
.LBB118_658:
	s_mov_b32 s42, -1
	s_mov_b32 s41, 0
	s_mov_b32 s71, s69
                                        ; implicit-def: $vgpr7
	s_branch .LBB118_691
.LBB118_659:
	s_mov_b32 s42, -1
	s_mov_b32 s41, 0
	s_mov_b32 s73, s68
                                        ; implicit-def: $vgpr8
	s_branch .LBB118_821
.LBB118_660:
	s_mov_b32 s42, -1
	s_mov_b32 s41, 0
	s_mov_b32 s71, s69
                                        ; implicit-def: $vgpr7
	s_branch .LBB118_686
.LBB118_661:
	s_mov_b32 s42, -1
	s_mov_b32 s41, 0
	s_mov_b32 s73, s68
                                        ; implicit-def: $vgpr8
	s_branch .LBB118_804
.LBB118_662:
	s_mov_b32 s43, -1
	s_mov_b32 s41, 0
	s_mov_b32 s0, 0
	s_mov_b32 s1, exec_lo
	v_cmpx_gt_i32_e64 v2, v0
	s_cbranch_execz .LBB118_670
; %bb.663:
	s_delay_alu instid0(VALU_DEP_2) | instskip(SKIP_2) | instid1(VALU_DEP_1)
	v_lshlrev_b64_e32 v[4:5], 2, v[4:5]
	v_dual_ashrrev_i32 v1, 31, v0 :: v_dual_ashrrev_i32 v3, 31, v2
	s_xor_b32 s43, s54, -1
                                        ; implicit-def: $sgpr42
                                        ; implicit-def: $sgpr45
                                        ; implicit-def: $sgpr44
	v_lshl_add_u64 v[0:1], v[0:1], 2, v[4:5]
	v_add_nc_u64_e32 v[4:5], s[30:31], v[4:5]
	s_delay_alu instid0(VALU_DEP_2) | instskip(NEXT) | instid1(VALU_DEP_2)
	v_add_nc_u64_e32 v[0:1], s[30:31], v[0:1]
	v_lshl_add_u64 v[2:3], v[2:3], 2, v[4:5]
	s_delay_alu instid0(VALU_DEP_2)
	v_add_nc_u64_e32 v[0:1], 4, v[0:1]
	s_branch .LBB118_665
.LBB118_664:                            ;   in Loop: Header=BB118_665 Depth=1
	s_or_b32 exec_lo, exec_lo, s46
	s_delay_alu instid0(SALU_CYCLE_1) | instskip(NEXT) | instid1(SALU_CYCLE_1)
	s_and_b32 s46, exec_lo, s45
	s_or_b32 s0, s46, s0
	s_and_not1_b32 s42, s42, exec_lo
	s_and_b32 s46, s44, exec_lo
	s_delay_alu instid0(SALU_CYCLE_1)
	s_or_b32 s42, s42, s46
	s_and_not1_b32 exec_lo, exec_lo, s0
	s_cbranch_execz .LBB118_669
.LBB118_665:                            ; =>This Inner Loop Header: Depth=1
	s_or_b32 s44, s44, exec_lo
	s_or_b32 s45, s45, exec_lo
	s_mov_b32 s46, exec_lo
	s_delay_alu instid0(VALU_DEP_1)
	v_cmpx_lt_u64_e64 v[0:1], v[2:3]
	s_cbranch_execz .LBB118_664
; %bb.666:                              ;   in Loop: Header=BB118_665 Depth=1
	global_load_b64 v[4:5], v[0:1], off offset:-4
	s_wait_xcnt 0x0
	v_add_nc_u64_e32 v[0:1], 4, v[0:1]
	s_and_not1_b32 s45, s45, exec_lo
	s_and_not1_b32 s44, s44, exec_lo
	s_wait_loadcnt 0x0
	v_cmp_ge_i32_e32 vcc_lo, v4, v5
	s_or_b32 s47, s43, vcc_lo
	s_delay_alu instid0(SALU_CYCLE_1) | instskip(NEXT) | instid1(SALU_CYCLE_1)
	s_and_b32 s47, s47, exec_lo
	s_or_b32 s45, s45, s47
	s_branch .LBB118_664
.LBB118_667:
	s_mov_b32 s42, -1
	s_mov_b32 s41, 0
	s_mov_b32 s71, s69
	s_branch .LBB118_679
.LBB118_668:
	s_mov_b32 s42, -1
	s_mov_b32 s41, 0
	s_mov_b32 s73, s68
                                        ; implicit-def: $vgpr8
	s_branch .LBB118_799
.LBB118_669:
	s_or_b32 exec_lo, exec_lo, s0
	s_delay_alu instid0(SALU_CYCLE_1)
	s_mov_b32 s0, exec_lo
	s_or_not1_b32 s43, s42, exec_lo
.LBB118_670:
	s_or_b32 exec_lo, exec_lo, s1
	s_mov_b32 s42, 0
	s_and_saveexec_b32 s1, s43
	s_cbranch_execz .LBB118_1917
; %bb.671:
	v_mul_lo_u32 v0, v22, s16
	s_and_b32 s42, s2, 0xff
	s_delay_alu instid0(SALU_CYCLE_1) | instskip(NEXT) | instid1(VALU_DEP_1)
	s_cmp_lt_i32 s42, 11
	v_ashrrev_i32_e32 v1, 31, v0
	s_delay_alu instid0(VALU_DEP_1)
	v_add_nc_u64_e32 v[0:1], s[4:5], v[0:1]
	s_cbranch_scc1 .LBB118_791
; %bb.672:
	s_and_b32 s43, 0xffff, s42
	s_delay_alu instid0(SALU_CYCLE_1)
	s_cmp_gt_i32 s43, 25
	s_cbranch_scc0 .LBB118_918
; %bb.673:
	s_cmp_gt_i32 s43, 28
	s_cbranch_scc0 .LBB118_1045
; %bb.674:
	;; [unrolled: 3-line block ×4, first 2 shown]
	s_mov_b32 s45, 0
	s_mov_b32 s41, -1
	s_cmp_eq_u32 s43, 46
	s_mov_b32 s44, 0
	s_cbranch_scc0 .LBB118_1835
; %bb.677:
	v_mov_b32_e32 v2, 0
	s_mov_b32 s44, -1
	s_mov_b32 s41, 0
	global_store_b32 v[0:1], v2, off
	s_branch .LBB118_1835
.LBB118_678:
	s_mov_b32 s71, -1
	s_mov_b32 s41, 0
.LBB118_679:
                                        ; implicit-def: $vgpr7
.LBB118_680:
	s_and_b32 vcc_lo, exec_lo, s42
	s_cbranch_vccz .LBB118_685
; %bb.681:
	s_cmp_eq_u32 s1, 44
	s_cbranch_scc0 .LBB118_684
; %bb.682:
	global_load_u8 v2, v[0:1], off
	s_mov_b32 s71, 0
	s_mov_b32 s41, -1
	s_wait_loadcnt 0x0
	v_lshlrev_b32_e32 v3, 23, v2
	v_cmp_ne_u32_e32 vcc_lo, 0, v2
	s_delay_alu instid0(VALU_DEP_2) | instskip(NEXT) | instid1(VALU_DEP_1)
	v_cvt_i32_f32_e32 v3, v3
	v_cndmask_b32_e32 v7, 0, v3, vcc_lo
	s_branch .LBB118_685
.LBB118_683:
	s_mov_b32 s42, -1
	s_mov_b32 s41, 0
	s_mov_b32 s73, s68
	s_branch .LBB118_793
.LBB118_684:
	s_mov_b32 s71, -1
                                        ; implicit-def: $vgpr7
.LBB118_685:
	s_mov_b32 s42, 0
.LBB118_686:
	s_delay_alu instid0(SALU_CYCLE_1)
	s_and_b32 vcc_lo, exec_lo, s42
	s_cbranch_vccz .LBB118_690
; %bb.687:
	s_cmp_eq_u32 s1, 29
	s_cbranch_scc0 .LBB118_689
; %bb.688:
	global_load_b32 v7, v[0:1], off
	s_mov_b32 s41, -1
	s_mov_b32 s71, 0
	s_branch .LBB118_690
.LBB118_689:
	s_mov_b32 s71, -1
                                        ; implicit-def: $vgpr7
.LBB118_690:
	s_mov_b32 s42, 0
.LBB118_691:
	s_delay_alu instid0(SALU_CYCLE_1)
	s_and_b32 vcc_lo, exec_lo, s42
	s_cbranch_vccz .LBB118_707
; %bb.692:
	s_cmp_lt_i32 s1, 27
	s_cbranch_scc1 .LBB118_695
; %bb.693:
	s_cmp_gt_i32 s1, 27
	s_cbranch_scc0 .LBB118_696
; %bb.694:
	s_wait_loadcnt 0x0
	global_load_b32 v7, v[0:1], off
	s_mov_b32 s41, 0
	s_branch .LBB118_697
.LBB118_695:
	s_mov_b32 s41, -1
                                        ; implicit-def: $vgpr7
	s_branch .LBB118_700
.LBB118_696:
	s_mov_b32 s41, -1
                                        ; implicit-def: $vgpr7
.LBB118_697:
	s_delay_alu instid0(SALU_CYCLE_1)
	s_and_not1_b32 vcc_lo, exec_lo, s41
	s_cbranch_vccnz .LBB118_699
; %bb.698:
	s_wait_loadcnt 0x0
	global_load_u16 v7, v[0:1], off
.LBB118_699:
	s_mov_b32 s41, 0
.LBB118_700:
	s_delay_alu instid0(SALU_CYCLE_1)
	s_and_not1_b32 vcc_lo, exec_lo, s41
	s_cbranch_vccnz .LBB118_706
; %bb.701:
	global_load_u8 v2, v[0:1], off
	s_mov_b32 s42, 0
	s_mov_b32 s41, exec_lo
	s_wait_loadcnt 0x0
	v_cmpx_lt_i16_e32 0x7f, v2
	s_xor_b32 s41, exec_lo, s41
	s_cbranch_execz .LBB118_718
; %bb.702:
	v_cmp_ne_u16_e32 vcc_lo, 0x80, v2
	s_and_b32 s42, vcc_lo, exec_lo
	s_and_not1_saveexec_b32 s41, s41
	s_cbranch_execnz .LBB118_719
.LBB118_703:
	s_or_b32 exec_lo, exec_lo, s41
	v_mov_b32_e32 v7, 0
	s_and_saveexec_b32 s41, s42
	s_cbranch_execz .LBB118_705
.LBB118_704:
	v_and_b32_e32 v3, 0xffff, v2
	s_delay_alu instid0(VALU_DEP_1) | instskip(SKIP_1) | instid1(VALU_DEP_2)
	v_and_b32_e32 v4, 7, v3
	v_bfe_u32 v7, v3, 3, 4
	v_clz_i32_u32_e32 v5, v4
	s_delay_alu instid0(VALU_DEP_2) | instskip(NEXT) | instid1(VALU_DEP_2)
	v_cmp_eq_u32_e32 vcc_lo, 0, v7
	v_min_u32_e32 v5, 32, v5
	s_delay_alu instid0(VALU_DEP_1) | instskip(NEXT) | instid1(VALU_DEP_1)
	v_subrev_nc_u32_e32 v6, 28, v5
	v_dual_lshlrev_b32 v3, v6, v3 :: v_dual_sub_nc_u32 v5, 29, v5
	s_delay_alu instid0(VALU_DEP_1) | instskip(NEXT) | instid1(VALU_DEP_1)
	v_dual_lshlrev_b32 v2, 24, v2 :: v_dual_bitop2_b32 v3, 7, v3 bitop3:0x40
	v_dual_cndmask_b32 v5, v7, v5, vcc_lo :: v_dual_cndmask_b32 v3, v4, v3, vcc_lo
	s_delay_alu instid0(VALU_DEP_2) | instskip(NEXT) | instid1(VALU_DEP_2)
	v_and_b32_e32 v2, 0x80000000, v2
	v_lshl_add_u32 v4, v5, 23, 0x3b800000
	s_delay_alu instid0(VALU_DEP_3) | instskip(NEXT) | instid1(VALU_DEP_1)
	v_lshlrev_b32_e32 v3, 20, v3
	v_or3_b32 v2, v2, v4, v3
	s_delay_alu instid0(VALU_DEP_1)
	v_cvt_i32_f32_e32 v7, v2
.LBB118_705:
	s_or_b32 exec_lo, exec_lo, s41
.LBB118_706:
	s_mov_b32 s41, -1
.LBB118_707:
	s_mov_b32 s42, 0
.LBB118_708:
	s_delay_alu instid0(SALU_CYCLE_1)
	s_and_b32 vcc_lo, exec_lo, s42
	s_cbranch_vccz .LBB118_741
; %bb.709:
	s_cmp_gt_i32 s1, 22
	s_cbranch_scc0 .LBB118_717
; %bb.710:
	s_cmp_lt_i32 s1, 24
	s_cbranch_scc1 .LBB118_720
; %bb.711:
	s_cmp_gt_i32 s1, 24
	s_cbranch_scc0 .LBB118_721
; %bb.712:
	global_load_u8 v2, v[0:1], off
	s_mov_b32 s42, 0
	s_mov_b32 s41, exec_lo
	s_wait_loadcnt 0x0
	v_cmpx_lt_i16_e32 0x7f, v2
	s_xor_b32 s41, exec_lo, s41
	s_cbranch_execz .LBB118_733
; %bb.713:
	v_cmp_ne_u16_e32 vcc_lo, 0x80, v2
	s_and_b32 s42, vcc_lo, exec_lo
	s_and_not1_saveexec_b32 s41, s41
	s_cbranch_execnz .LBB118_734
.LBB118_714:
	s_or_b32 exec_lo, exec_lo, s41
	v_mov_b32_e32 v7, 0
	s_and_saveexec_b32 s41, s42
	s_cbranch_execz .LBB118_716
.LBB118_715:
	v_and_b32_e32 v3, 0xffff, v2
	s_delay_alu instid0(VALU_DEP_1) | instskip(SKIP_1) | instid1(VALU_DEP_2)
	v_and_b32_e32 v4, 3, v3
	v_bfe_u32 v7, v3, 2, 5
	v_clz_i32_u32_e32 v5, v4
	s_delay_alu instid0(VALU_DEP_2) | instskip(NEXT) | instid1(VALU_DEP_2)
	v_cmp_eq_u32_e32 vcc_lo, 0, v7
	v_min_u32_e32 v5, 32, v5
	s_delay_alu instid0(VALU_DEP_1) | instskip(NEXT) | instid1(VALU_DEP_1)
	v_subrev_nc_u32_e32 v6, 29, v5
	v_dual_lshlrev_b32 v3, v6, v3 :: v_dual_sub_nc_u32 v5, 30, v5
	s_delay_alu instid0(VALU_DEP_1) | instskip(NEXT) | instid1(VALU_DEP_1)
	v_dual_lshlrev_b32 v2, 24, v2 :: v_dual_bitop2_b32 v3, 3, v3 bitop3:0x40
	v_dual_cndmask_b32 v5, v7, v5, vcc_lo :: v_dual_cndmask_b32 v3, v4, v3, vcc_lo
	s_delay_alu instid0(VALU_DEP_2) | instskip(NEXT) | instid1(VALU_DEP_2)
	v_and_b32_e32 v2, 0x80000000, v2
	v_lshl_add_u32 v4, v5, 23, 0x37800000
	s_delay_alu instid0(VALU_DEP_3) | instskip(NEXT) | instid1(VALU_DEP_1)
	v_lshlrev_b32_e32 v3, 21, v3
	v_or3_b32 v2, v2, v4, v3
	s_delay_alu instid0(VALU_DEP_1)
	v_cvt_i32_f32_e32 v7, v2
.LBB118_716:
	s_or_b32 exec_lo, exec_lo, s41
	s_mov_b32 s41, 0
	s_branch .LBB118_722
.LBB118_717:
	s_mov_b32 s42, -1
                                        ; implicit-def: $vgpr7
	s_branch .LBB118_728
.LBB118_718:
	s_and_not1_saveexec_b32 s41, s41
	s_cbranch_execz .LBB118_703
.LBB118_719:
	v_cmp_ne_u16_e32 vcc_lo, 0, v2
	s_and_not1_b32 s42, s42, exec_lo
	s_and_b32 s43, vcc_lo, exec_lo
	s_delay_alu instid0(SALU_CYCLE_1)
	s_or_b32 s42, s42, s43
	s_or_b32 exec_lo, exec_lo, s41
	v_mov_b32_e32 v7, 0
	s_and_saveexec_b32 s41, s42
	s_cbranch_execnz .LBB118_704
	s_branch .LBB118_705
.LBB118_720:
	s_mov_b32 s41, -1
                                        ; implicit-def: $vgpr7
	s_branch .LBB118_725
.LBB118_721:
	s_mov_b32 s41, -1
                                        ; implicit-def: $vgpr7
.LBB118_722:
	s_delay_alu instid0(SALU_CYCLE_1)
	s_and_b32 vcc_lo, exec_lo, s41
	s_cbranch_vccz .LBB118_724
; %bb.723:
	global_load_u8 v2, v[0:1], off
	s_wait_loadcnt 0x0
	v_lshlrev_b32_e32 v2, 24, v2
	s_delay_alu instid0(VALU_DEP_1) | instskip(NEXT) | instid1(VALU_DEP_1)
	v_and_b32_e32 v3, 0x7f000000, v2
	v_clz_i32_u32_e32 v4, v3
	v_cmp_ne_u32_e32 vcc_lo, 0, v3
	v_add_nc_u32_e32 v6, 0x1000000, v3
	s_delay_alu instid0(VALU_DEP_3) | instskip(NEXT) | instid1(VALU_DEP_1)
	v_min_u32_e32 v4, 32, v4
	v_sub_nc_u32_e64 v4, v4, 4 clamp
	s_delay_alu instid0(VALU_DEP_1) | instskip(NEXT) | instid1(VALU_DEP_1)
	v_dual_lshlrev_b32 v5, v4, v3 :: v_dual_lshlrev_b32 v4, 23, v4
	v_lshrrev_b32_e32 v5, 4, v5
	s_delay_alu instid0(VALU_DEP_1) | instskip(NEXT) | instid1(VALU_DEP_1)
	v_dual_sub_nc_u32 v4, v5, v4 :: v_dual_ashrrev_i32 v5, 8, v6
	v_add_nc_u32_e32 v4, 0x3c000000, v4
	s_delay_alu instid0(VALU_DEP_1) | instskip(NEXT) | instid1(VALU_DEP_1)
	v_and_or_b32 v4, 0x7f800000, v5, v4
	v_cndmask_b32_e32 v3, 0, v4, vcc_lo
	s_delay_alu instid0(VALU_DEP_1) | instskip(NEXT) | instid1(VALU_DEP_1)
	v_and_or_b32 v2, 0x80000000, v2, v3
	v_cvt_i32_f32_e32 v7, v2
.LBB118_724:
	s_mov_b32 s41, 0
.LBB118_725:
	s_delay_alu instid0(SALU_CYCLE_1)
	s_and_not1_b32 vcc_lo, exec_lo, s41
	s_cbranch_vccnz .LBB118_727
; %bb.726:
	global_load_u8 v2, v[0:1], off
	s_wait_loadcnt 0x0
	v_lshlrev_b32_e32 v3, 25, v2
	v_lshlrev_b16 v2, 8, v2
	s_delay_alu instid0(VALU_DEP_1) | instskip(SKIP_1) | instid1(VALU_DEP_2)
	v_and_or_b32 v5, 0x7f00, v2, 0.5
	v_bfe_i32 v2, v2, 0, 16
	v_dual_add_f32 v5, -0.5, v5 :: v_dual_lshrrev_b32 v4, 4, v3
	v_cmp_gt_u32_e32 vcc_lo, 0x8000000, v3
	s_delay_alu instid0(VALU_DEP_2) | instskip(NEXT) | instid1(VALU_DEP_1)
	v_or_b32_e32 v4, 0x70000000, v4
	v_mul_f32_e32 v4, 0x7800000, v4
	s_delay_alu instid0(VALU_DEP_1) | instskip(NEXT) | instid1(VALU_DEP_1)
	v_cndmask_b32_e32 v3, v4, v5, vcc_lo
	v_and_or_b32 v2, 0x80000000, v2, v3
	s_delay_alu instid0(VALU_DEP_1)
	v_cvt_i32_f32_e32 v7, v2
.LBB118_727:
	s_mov_b32 s42, 0
	s_mov_b32 s41, -1
.LBB118_728:
	s_and_not1_b32 vcc_lo, exec_lo, s42
	s_cbranch_vccnz .LBB118_741
; %bb.729:
	s_cmp_gt_i32 s1, 14
	s_cbranch_scc0 .LBB118_732
; %bb.730:
	s_cmp_eq_u32 s1, 15
	s_cbranch_scc0 .LBB118_735
; %bb.731:
	global_load_u16 v2, v[0:1], off
	s_mov_b32 s41, -1
	s_mov_b32 s71, 0
	s_wait_loadcnt 0x0
	v_lshlrev_b32_e32 v2, 16, v2
	s_delay_alu instid0(VALU_DEP_1)
	v_cvt_i32_f32_e32 v7, v2
	s_branch .LBB118_736
.LBB118_732:
	s_mov_b32 s42, -1
                                        ; implicit-def: $vgpr7
	s_branch .LBB118_737
.LBB118_733:
	s_and_not1_saveexec_b32 s41, s41
	s_cbranch_execz .LBB118_714
.LBB118_734:
	v_cmp_ne_u16_e32 vcc_lo, 0, v2
	s_and_not1_b32 s42, s42, exec_lo
	s_and_b32 s43, vcc_lo, exec_lo
	s_delay_alu instid0(SALU_CYCLE_1)
	s_or_b32 s42, s42, s43
	s_or_b32 exec_lo, exec_lo, s41
	v_mov_b32_e32 v7, 0
	s_and_saveexec_b32 s41, s42
	s_cbranch_execnz .LBB118_715
	s_branch .LBB118_716
.LBB118_735:
	s_mov_b32 s71, -1
                                        ; implicit-def: $vgpr7
.LBB118_736:
	s_mov_b32 s42, 0
.LBB118_737:
	s_delay_alu instid0(SALU_CYCLE_1)
	s_and_b32 vcc_lo, exec_lo, s42
	s_cbranch_vccz .LBB118_741
; %bb.738:
	s_cmp_eq_u32 s1, 11
	s_cbranch_scc0 .LBB118_740
; %bb.739:
	global_load_u8 v2, v[0:1], off
	s_mov_b32 s71, 0
	s_mov_b32 s41, -1
	s_wait_loadcnt 0x0
	v_cmp_ne_u16_e32 vcc_lo, 0, v2
	v_cndmask_b32_e64 v7, 0, 1, vcc_lo
	s_branch .LBB118_741
.LBB118_740:
	s_mov_b32 s71, -1
                                        ; implicit-def: $vgpr7
.LBB118_741:
	s_branch .LBB118_648
.LBB118_742:
	s_and_b32 s0, 0xffff, s0
	s_delay_alu instid0(SALU_CYCLE_1)
	s_cmp_lt_i32 s0, 5
	s_cbranch_scc1 .LBB118_747
; %bb.743:
	s_cmp_lt_i32 s0, 8
	s_cbranch_scc1 .LBB118_748
; %bb.744:
	s_cmp_lt_i32 s0, 9
	s_cbranch_scc1 .LBB118_749
; %bb.745:
	s_cmp_gt_i32 s0, 9
	s_cbranch_scc0 .LBB118_750
; %bb.746:
	global_load_b64 v[2:3], v[0:1], off
	s_mov_b32 s1, 0
	s_wait_loadcnt 0x0
	v_cvt_i32_f64_e32 v7, v[2:3]
	s_branch .LBB118_751
.LBB118_747:
	s_mov_b32 s1, -1
                                        ; implicit-def: $vgpr7
	s_branch .LBB118_769
.LBB118_748:
	s_mov_b32 s1, -1
                                        ; implicit-def: $vgpr7
	s_branch .LBB118_757
.LBB118_749:
	s_mov_b32 s1, -1
                                        ; implicit-def: $vgpr7
	s_branch .LBB118_754
.LBB118_750:
	s_mov_b32 s1, -1
                                        ; implicit-def: $vgpr7
.LBB118_751:
	s_delay_alu instid0(SALU_CYCLE_1)
	s_and_not1_b32 vcc_lo, exec_lo, s1
	s_cbranch_vccnz .LBB118_753
; %bb.752:
	global_load_b32 v2, v[0:1], off
	s_wait_loadcnt 0x0
	v_cvt_i32_f32_e32 v7, v2
.LBB118_753:
	s_mov_b32 s1, 0
.LBB118_754:
	s_delay_alu instid0(SALU_CYCLE_1)
	s_and_not1_b32 vcc_lo, exec_lo, s1
	s_cbranch_vccnz .LBB118_756
; %bb.755:
	global_load_b32 v2, v[0:1], off
	s_wait_loadcnt 0x0
	v_cvt_f32_f16_e32 v2, v2
	s_delay_alu instid0(VALU_DEP_1)
	v_cvt_i32_f32_e32 v7, v2
.LBB118_756:
	s_mov_b32 s1, 0
.LBB118_757:
	s_delay_alu instid0(SALU_CYCLE_1)
	s_and_not1_b32 vcc_lo, exec_lo, s1
	s_cbranch_vccnz .LBB118_768
; %bb.758:
	s_cmp_lt_i32 s0, 6
	s_cbranch_scc1 .LBB118_761
; %bb.759:
	s_cmp_gt_i32 s0, 6
	s_cbranch_scc0 .LBB118_762
; %bb.760:
	global_load_b64 v[2:3], v[0:1], off
	s_mov_b32 s1, 0
	s_wait_loadcnt 0x0
	v_cvt_i32_f64_e32 v7, v[2:3]
	s_branch .LBB118_763
.LBB118_761:
	s_mov_b32 s1, -1
                                        ; implicit-def: $vgpr7
	s_branch .LBB118_766
.LBB118_762:
	s_mov_b32 s1, -1
                                        ; implicit-def: $vgpr7
.LBB118_763:
	s_delay_alu instid0(SALU_CYCLE_1)
	s_and_not1_b32 vcc_lo, exec_lo, s1
	s_cbranch_vccnz .LBB118_765
; %bb.764:
	global_load_b32 v2, v[0:1], off
	s_wait_loadcnt 0x0
	v_cvt_i32_f32_e32 v7, v2
.LBB118_765:
	s_mov_b32 s1, 0
.LBB118_766:
	s_delay_alu instid0(SALU_CYCLE_1)
	s_and_not1_b32 vcc_lo, exec_lo, s1
	s_cbranch_vccnz .LBB118_768
; %bb.767:
	global_load_u16 v2, v[0:1], off
	s_wait_loadcnt 0x0
	v_cvt_f32_f16_e32 v2, v2
	s_delay_alu instid0(VALU_DEP_1)
	v_cvt_i32_f32_e32 v7, v2
.LBB118_768:
	s_mov_b32 s1, 0
.LBB118_769:
	s_delay_alu instid0(SALU_CYCLE_1)
	s_and_not1_b32 vcc_lo, exec_lo, s1
	s_cbranch_vccnz .LBB118_789
; %bb.770:
	s_cmp_lt_i32 s0, 2
	s_cbranch_scc1 .LBB118_774
; %bb.771:
	s_cmp_lt_i32 s0, 3
	s_cbranch_scc1 .LBB118_775
; %bb.772:
	s_cmp_gt_i32 s0, 3
	s_cbranch_scc0 .LBB118_776
; %bb.773:
	s_wait_loadcnt 0x0
	global_load_b32 v7, v[0:1], off
	s_mov_b32 s1, 0
	s_branch .LBB118_777
.LBB118_774:
	s_mov_b32 s1, -1
                                        ; implicit-def: $vgpr7
	s_branch .LBB118_783
.LBB118_775:
	s_mov_b32 s1, -1
                                        ; implicit-def: $vgpr7
	s_branch .LBB118_780
.LBB118_776:
	s_mov_b32 s1, -1
                                        ; implicit-def: $vgpr7
.LBB118_777:
	s_delay_alu instid0(SALU_CYCLE_1)
	s_and_not1_b32 vcc_lo, exec_lo, s1
	s_cbranch_vccnz .LBB118_779
; %bb.778:
	s_wait_loadcnt 0x0
	global_load_b32 v7, v[0:1], off
.LBB118_779:
	s_mov_b32 s1, 0
.LBB118_780:
	s_delay_alu instid0(SALU_CYCLE_1)
	s_and_not1_b32 vcc_lo, exec_lo, s1
	s_cbranch_vccnz .LBB118_782
; %bb.781:
	s_wait_loadcnt 0x0
	global_load_i16 v7, v[0:1], off
.LBB118_782:
	s_mov_b32 s1, 0
.LBB118_783:
	s_delay_alu instid0(SALU_CYCLE_1)
	s_and_not1_b32 vcc_lo, exec_lo, s1
	s_cbranch_vccnz .LBB118_789
; %bb.784:
	s_cmp_gt_i32 s0, 0
	s_mov_b32 s0, 0
	s_cbranch_scc0 .LBB118_786
; %bb.785:
	s_wait_loadcnt 0x0
	global_load_i8 v7, v[0:1], off
	s_branch .LBB118_787
.LBB118_786:
	s_mov_b32 s0, -1
                                        ; implicit-def: $vgpr7
.LBB118_787:
	s_delay_alu instid0(SALU_CYCLE_1)
	s_and_not1_b32 vcc_lo, exec_lo, s0
	s_cbranch_vccnz .LBB118_789
; %bb.788:
	s_wait_loadcnt 0x0
	global_load_u8 v7, v[0:1], off
.LBB118_789:
	s_branch .LBB118_649
.LBB118_790:
	s_mov_b32 s0, 0
	s_mov_b32 s1, s59
	;; [unrolled: 1-line block ×10, first 2 shown]
	s_branch .LBB118_1297
.LBB118_791:
	s_mov_b32 s43, -1
	s_mov_b32 s41, 0
	s_mov_b32 s44, 0
	s_branch .LBB118_1874
.LBB118_792:
	s_mov_b32 s73, -1
	s_mov_b32 s41, 0
.LBB118_793:
                                        ; implicit-def: $vgpr8
.LBB118_794:
	s_and_b32 vcc_lo, exec_lo, s42
	s_cbranch_vccz .LBB118_798
; %bb.795:
	s_cmp_eq_u32 s1, 44
	s_cbranch_scc0 .LBB118_797
; %bb.796:
	global_load_u8 v2, v[0:1], off
	s_mov_b32 s73, 0
	s_mov_b32 s41, -1
	s_wait_loadcnt 0x0
	v_lshlrev_b32_e32 v3, 23, v2
	v_cmp_ne_u32_e32 vcc_lo, 0, v2
	s_delay_alu instid0(VALU_DEP_2) | instskip(NEXT) | instid1(VALU_DEP_1)
	v_cvt_i32_f32_e32 v3, v3
	v_cndmask_b32_e32 v8, 0, v3, vcc_lo
	s_branch .LBB118_798
.LBB118_797:
	s_mov_b32 s73, -1
                                        ; implicit-def: $vgpr8
.LBB118_798:
	s_mov_b32 s42, 0
.LBB118_799:
	s_delay_alu instid0(SALU_CYCLE_1)
	s_and_b32 vcc_lo, exec_lo, s42
	s_cbranch_vccz .LBB118_803
; %bb.800:
	s_cmp_eq_u32 s1, 29
	s_cbranch_scc0 .LBB118_802
; %bb.801:
	global_load_b32 v8, v[0:1], off
	s_mov_b32 s41, -1
	s_mov_b32 s73, 0
	s_branch .LBB118_803
.LBB118_802:
	s_mov_b32 s73, -1
                                        ; implicit-def: $vgpr8
.LBB118_803:
	s_mov_b32 s42, 0
.LBB118_804:
	s_delay_alu instid0(SALU_CYCLE_1)
	s_and_b32 vcc_lo, exec_lo, s42
	s_cbranch_vccz .LBB118_820
; %bb.805:
	s_cmp_lt_i32 s1, 27
	s_cbranch_scc1 .LBB118_808
; %bb.806:
	s_cmp_gt_i32 s1, 27
	s_cbranch_scc0 .LBB118_809
; %bb.807:
	s_wait_loadcnt 0x0
	global_load_b32 v8, v[0:1], off
	s_mov_b32 s41, 0
	s_branch .LBB118_810
.LBB118_808:
	s_mov_b32 s41, -1
                                        ; implicit-def: $vgpr8
	s_branch .LBB118_813
.LBB118_809:
	s_mov_b32 s41, -1
                                        ; implicit-def: $vgpr8
.LBB118_810:
	s_delay_alu instid0(SALU_CYCLE_1)
	s_and_not1_b32 vcc_lo, exec_lo, s41
	s_cbranch_vccnz .LBB118_812
; %bb.811:
	s_wait_loadcnt 0x0
	global_load_u16 v8, v[0:1], off
.LBB118_812:
	s_mov_b32 s41, 0
.LBB118_813:
	s_delay_alu instid0(SALU_CYCLE_1)
	s_and_not1_b32 vcc_lo, exec_lo, s41
	s_cbranch_vccnz .LBB118_819
; %bb.814:
	global_load_u8 v2, v[0:1], off
	s_mov_b32 s42, 0
	s_mov_b32 s41, exec_lo
	s_wait_loadcnt 0x0
	v_cmpx_lt_i16_e32 0x7f, v2
	s_xor_b32 s41, exec_lo, s41
	s_cbranch_execz .LBB118_831
; %bb.815:
	v_cmp_ne_u16_e32 vcc_lo, 0x80, v2
	s_and_b32 s42, vcc_lo, exec_lo
	s_and_not1_saveexec_b32 s41, s41
	s_cbranch_execnz .LBB118_832
.LBB118_816:
	s_or_b32 exec_lo, exec_lo, s41
	v_mov_b32_e32 v8, 0
	s_and_saveexec_b32 s41, s42
	s_cbranch_execz .LBB118_818
.LBB118_817:
	v_and_b32_e32 v3, 0xffff, v2
	s_delay_alu instid0(VALU_DEP_1) | instskip(SKIP_1) | instid1(VALU_DEP_2)
	v_and_b32_e32 v4, 7, v3
	v_bfe_u32 v8, v3, 3, 4
	v_clz_i32_u32_e32 v5, v4
	s_delay_alu instid0(VALU_DEP_2) | instskip(NEXT) | instid1(VALU_DEP_2)
	v_cmp_eq_u32_e32 vcc_lo, 0, v8
	v_min_u32_e32 v5, 32, v5
	s_delay_alu instid0(VALU_DEP_1) | instskip(NEXT) | instid1(VALU_DEP_1)
	v_subrev_nc_u32_e32 v6, 28, v5
	v_dual_lshlrev_b32 v3, v6, v3 :: v_dual_sub_nc_u32 v5, 29, v5
	s_delay_alu instid0(VALU_DEP_1) | instskip(NEXT) | instid1(VALU_DEP_2)
	v_dual_lshlrev_b32 v2, 24, v2 :: v_dual_bitop2_b32 v3, 7, v3 bitop3:0x40
	v_cndmask_b32_e32 v5, v8, v5, vcc_lo
	s_delay_alu instid0(VALU_DEP_2) | instskip(NEXT) | instid1(VALU_DEP_3)
	v_cndmask_b32_e32 v3, v4, v3, vcc_lo
	v_and_b32_e32 v2, 0x80000000, v2
	s_delay_alu instid0(VALU_DEP_3) | instskip(NEXT) | instid1(VALU_DEP_3)
	v_lshl_add_u32 v4, v5, 23, 0x3b800000
	v_lshlrev_b32_e32 v3, 20, v3
	s_delay_alu instid0(VALU_DEP_1) | instskip(NEXT) | instid1(VALU_DEP_1)
	v_or3_b32 v2, v2, v4, v3
	v_cvt_i32_f32_e32 v8, v2
.LBB118_818:
	s_or_b32 exec_lo, exec_lo, s41
.LBB118_819:
	s_mov_b32 s41, -1
.LBB118_820:
	s_mov_b32 s42, 0
.LBB118_821:
	s_delay_alu instid0(SALU_CYCLE_1)
	s_and_b32 vcc_lo, exec_lo, s42
	s_cbranch_vccz .LBB118_854
; %bb.822:
	s_cmp_gt_i32 s1, 22
	s_cbranch_scc0 .LBB118_830
; %bb.823:
	s_cmp_lt_i32 s1, 24
	s_cbranch_scc1 .LBB118_833
; %bb.824:
	s_cmp_gt_i32 s1, 24
	s_cbranch_scc0 .LBB118_834
; %bb.825:
	global_load_u8 v2, v[0:1], off
	s_mov_b32 s42, 0
	s_mov_b32 s41, exec_lo
	s_wait_loadcnt 0x0
	v_cmpx_lt_i16_e32 0x7f, v2
	s_xor_b32 s41, exec_lo, s41
	s_cbranch_execz .LBB118_846
; %bb.826:
	v_cmp_ne_u16_e32 vcc_lo, 0x80, v2
	s_and_b32 s42, vcc_lo, exec_lo
	s_and_not1_saveexec_b32 s41, s41
	s_cbranch_execnz .LBB118_847
.LBB118_827:
	s_or_b32 exec_lo, exec_lo, s41
	v_mov_b32_e32 v8, 0
	s_and_saveexec_b32 s41, s42
	s_cbranch_execz .LBB118_829
.LBB118_828:
	v_and_b32_e32 v3, 0xffff, v2
	s_delay_alu instid0(VALU_DEP_1) | instskip(SKIP_1) | instid1(VALU_DEP_2)
	v_and_b32_e32 v4, 3, v3
	v_bfe_u32 v8, v3, 2, 5
	v_clz_i32_u32_e32 v5, v4
	s_delay_alu instid0(VALU_DEP_2) | instskip(NEXT) | instid1(VALU_DEP_2)
	v_cmp_eq_u32_e32 vcc_lo, 0, v8
	v_min_u32_e32 v5, 32, v5
	s_delay_alu instid0(VALU_DEP_1) | instskip(NEXT) | instid1(VALU_DEP_1)
	v_subrev_nc_u32_e32 v6, 29, v5
	v_dual_lshlrev_b32 v3, v6, v3 :: v_dual_sub_nc_u32 v5, 30, v5
	s_delay_alu instid0(VALU_DEP_1) | instskip(NEXT) | instid1(VALU_DEP_2)
	v_dual_lshlrev_b32 v2, 24, v2 :: v_dual_bitop2_b32 v3, 3, v3 bitop3:0x40
	v_cndmask_b32_e32 v5, v8, v5, vcc_lo
	s_delay_alu instid0(VALU_DEP_2) | instskip(NEXT) | instid1(VALU_DEP_3)
	v_cndmask_b32_e32 v3, v4, v3, vcc_lo
	v_and_b32_e32 v2, 0x80000000, v2
	s_delay_alu instid0(VALU_DEP_3) | instskip(NEXT) | instid1(VALU_DEP_3)
	v_lshl_add_u32 v4, v5, 23, 0x37800000
	v_lshlrev_b32_e32 v3, 21, v3
	s_delay_alu instid0(VALU_DEP_1) | instskip(NEXT) | instid1(VALU_DEP_1)
	v_or3_b32 v2, v2, v4, v3
	v_cvt_i32_f32_e32 v8, v2
.LBB118_829:
	s_or_b32 exec_lo, exec_lo, s41
	s_mov_b32 s41, 0
	s_branch .LBB118_835
.LBB118_830:
	s_mov_b32 s42, -1
                                        ; implicit-def: $vgpr8
	s_branch .LBB118_841
.LBB118_831:
	s_and_not1_saveexec_b32 s41, s41
	s_cbranch_execz .LBB118_816
.LBB118_832:
	v_cmp_ne_u16_e32 vcc_lo, 0, v2
	s_and_not1_b32 s42, s42, exec_lo
	s_and_b32 s43, vcc_lo, exec_lo
	s_delay_alu instid0(SALU_CYCLE_1)
	s_or_b32 s42, s42, s43
	s_or_b32 exec_lo, exec_lo, s41
	v_mov_b32_e32 v8, 0
	s_and_saveexec_b32 s41, s42
	s_cbranch_execnz .LBB118_817
	s_branch .LBB118_818
.LBB118_833:
	s_mov_b32 s41, -1
                                        ; implicit-def: $vgpr8
	s_branch .LBB118_838
.LBB118_834:
	s_mov_b32 s41, -1
                                        ; implicit-def: $vgpr8
.LBB118_835:
	s_delay_alu instid0(SALU_CYCLE_1)
	s_and_b32 vcc_lo, exec_lo, s41
	s_cbranch_vccz .LBB118_837
; %bb.836:
	global_load_u8 v2, v[0:1], off
	s_wait_loadcnt 0x0
	v_lshlrev_b32_e32 v2, 24, v2
	s_delay_alu instid0(VALU_DEP_1) | instskip(NEXT) | instid1(VALU_DEP_1)
	v_and_b32_e32 v3, 0x7f000000, v2
	v_clz_i32_u32_e32 v4, v3
	v_cmp_ne_u32_e32 vcc_lo, 0, v3
	v_add_nc_u32_e32 v6, 0x1000000, v3
	s_delay_alu instid0(VALU_DEP_3) | instskip(NEXT) | instid1(VALU_DEP_1)
	v_min_u32_e32 v4, 32, v4
	v_sub_nc_u32_e64 v4, v4, 4 clamp
	s_delay_alu instid0(VALU_DEP_1) | instskip(NEXT) | instid1(VALU_DEP_1)
	v_dual_lshlrev_b32 v5, v4, v3 :: v_dual_lshlrev_b32 v4, 23, v4
	v_lshrrev_b32_e32 v5, 4, v5
	s_delay_alu instid0(VALU_DEP_1) | instskip(NEXT) | instid1(VALU_DEP_1)
	v_dual_sub_nc_u32 v4, v5, v4 :: v_dual_ashrrev_i32 v5, 8, v6
	v_add_nc_u32_e32 v4, 0x3c000000, v4
	s_delay_alu instid0(VALU_DEP_1) | instskip(NEXT) | instid1(VALU_DEP_1)
	v_and_or_b32 v4, 0x7f800000, v5, v4
	v_cndmask_b32_e32 v3, 0, v4, vcc_lo
	s_delay_alu instid0(VALU_DEP_1) | instskip(NEXT) | instid1(VALU_DEP_1)
	v_and_or_b32 v2, 0x80000000, v2, v3
	v_cvt_i32_f32_e32 v8, v2
.LBB118_837:
	s_mov_b32 s41, 0
.LBB118_838:
	s_delay_alu instid0(SALU_CYCLE_1)
	s_and_not1_b32 vcc_lo, exec_lo, s41
	s_cbranch_vccnz .LBB118_840
; %bb.839:
	global_load_u8 v2, v[0:1], off
	s_wait_loadcnt 0x0
	v_lshlrev_b32_e32 v3, 25, v2
	v_lshlrev_b16 v2, 8, v2
	s_delay_alu instid0(VALU_DEP_1) | instskip(SKIP_1) | instid1(VALU_DEP_2)
	v_and_or_b32 v5, 0x7f00, v2, 0.5
	v_bfe_i32 v2, v2, 0, 16
	v_dual_add_f32 v5, -0.5, v5 :: v_dual_lshrrev_b32 v4, 4, v3
	v_cmp_gt_u32_e32 vcc_lo, 0x8000000, v3
	s_delay_alu instid0(VALU_DEP_2) | instskip(NEXT) | instid1(VALU_DEP_1)
	v_or_b32_e32 v4, 0x70000000, v4
	v_mul_f32_e32 v4, 0x7800000, v4
	s_delay_alu instid0(VALU_DEP_1) | instskip(NEXT) | instid1(VALU_DEP_1)
	v_cndmask_b32_e32 v3, v4, v5, vcc_lo
	v_and_or_b32 v2, 0x80000000, v2, v3
	s_delay_alu instid0(VALU_DEP_1)
	v_cvt_i32_f32_e32 v8, v2
.LBB118_840:
	s_mov_b32 s42, 0
	s_mov_b32 s41, -1
.LBB118_841:
	s_and_not1_b32 vcc_lo, exec_lo, s42
	s_cbranch_vccnz .LBB118_854
; %bb.842:
	s_cmp_gt_i32 s1, 14
	s_cbranch_scc0 .LBB118_845
; %bb.843:
	s_cmp_eq_u32 s1, 15
	s_cbranch_scc0 .LBB118_848
; %bb.844:
	global_load_u16 v2, v[0:1], off
	s_mov_b32 s41, -1
	s_mov_b32 s73, 0
	s_wait_loadcnt 0x0
	v_lshlrev_b32_e32 v2, 16, v2
	s_delay_alu instid0(VALU_DEP_1)
	v_cvt_i32_f32_e32 v8, v2
	s_branch .LBB118_849
.LBB118_845:
	s_mov_b32 s42, -1
                                        ; implicit-def: $vgpr8
	s_branch .LBB118_850
.LBB118_846:
	s_and_not1_saveexec_b32 s41, s41
	s_cbranch_execz .LBB118_827
.LBB118_847:
	v_cmp_ne_u16_e32 vcc_lo, 0, v2
	s_and_not1_b32 s42, s42, exec_lo
	s_and_b32 s43, vcc_lo, exec_lo
	s_delay_alu instid0(SALU_CYCLE_1)
	s_or_b32 s42, s42, s43
	s_or_b32 exec_lo, exec_lo, s41
	v_mov_b32_e32 v8, 0
	s_and_saveexec_b32 s41, s42
	s_cbranch_execnz .LBB118_828
	s_branch .LBB118_829
.LBB118_848:
	s_mov_b32 s73, -1
                                        ; implicit-def: $vgpr8
.LBB118_849:
	s_mov_b32 s42, 0
.LBB118_850:
	s_delay_alu instid0(SALU_CYCLE_1)
	s_and_b32 vcc_lo, exec_lo, s42
	s_cbranch_vccz .LBB118_854
; %bb.851:
	s_cmp_eq_u32 s1, 11
	s_cbranch_scc0 .LBB118_853
; %bb.852:
	global_load_u8 v2, v[0:1], off
	s_mov_b32 s73, 0
	s_mov_b32 s41, -1
	s_wait_loadcnt 0x0
	v_cmp_ne_u16_e32 vcc_lo, 0, v2
	v_cndmask_b32_e64 v8, 0, 1, vcc_lo
	s_branch .LBB118_854
.LBB118_853:
	s_mov_b32 s73, -1
                                        ; implicit-def: $vgpr8
.LBB118_854:
	s_mov_b32 s1, 0
.LBB118_855:
	s_delay_alu instid0(SALU_CYCLE_1)
	s_and_b32 vcc_lo, exec_lo, s1
	s_cbranch_vccz .LBB118_904
; %bb.856:
	s_and_b32 s0, 0xffff, s0
	s_delay_alu instid0(SALU_CYCLE_1)
	s_cmp_lt_i32 s0, 5
	s_cbranch_scc1 .LBB118_861
; %bb.857:
	s_cmp_lt_i32 s0, 8
	s_cbranch_scc1 .LBB118_862
; %bb.858:
	;; [unrolled: 3-line block ×3, first 2 shown]
	s_cmp_gt_i32 s0, 9
	s_cbranch_scc0 .LBB118_864
; %bb.860:
	global_load_b64 v[2:3], v[0:1], off
	s_mov_b32 s1, 0
	s_wait_loadcnt 0x0
	v_cvt_i32_f64_e32 v8, v[2:3]
	s_branch .LBB118_865
.LBB118_861:
	s_mov_b32 s1, -1
                                        ; implicit-def: $vgpr8
	s_branch .LBB118_883
.LBB118_862:
	s_mov_b32 s1, -1
                                        ; implicit-def: $vgpr8
	s_branch .LBB118_871
.LBB118_863:
	s_mov_b32 s1, -1
                                        ; implicit-def: $vgpr8
	s_branch .LBB118_868
.LBB118_864:
	s_mov_b32 s1, -1
                                        ; implicit-def: $vgpr8
.LBB118_865:
	s_delay_alu instid0(SALU_CYCLE_1)
	s_and_not1_b32 vcc_lo, exec_lo, s1
	s_cbranch_vccnz .LBB118_867
; %bb.866:
	global_load_b32 v2, v[0:1], off
	s_wait_loadcnt 0x0
	v_cvt_i32_f32_e32 v8, v2
.LBB118_867:
	s_mov_b32 s1, 0
.LBB118_868:
	s_delay_alu instid0(SALU_CYCLE_1)
	s_and_not1_b32 vcc_lo, exec_lo, s1
	s_cbranch_vccnz .LBB118_870
; %bb.869:
	global_load_b32 v2, v[0:1], off
	s_wait_loadcnt 0x0
	v_cvt_f32_f16_e32 v2, v2
	s_delay_alu instid0(VALU_DEP_1)
	v_cvt_i32_f32_e32 v8, v2
.LBB118_870:
	s_mov_b32 s1, 0
.LBB118_871:
	s_delay_alu instid0(SALU_CYCLE_1)
	s_and_not1_b32 vcc_lo, exec_lo, s1
	s_cbranch_vccnz .LBB118_882
; %bb.872:
	s_cmp_lt_i32 s0, 6
	s_cbranch_scc1 .LBB118_875
; %bb.873:
	s_cmp_gt_i32 s0, 6
	s_cbranch_scc0 .LBB118_876
; %bb.874:
	global_load_b64 v[2:3], v[0:1], off
	s_mov_b32 s1, 0
	s_wait_loadcnt 0x0
	v_cvt_i32_f64_e32 v8, v[2:3]
	s_branch .LBB118_877
.LBB118_875:
	s_mov_b32 s1, -1
                                        ; implicit-def: $vgpr8
	s_branch .LBB118_880
.LBB118_876:
	s_mov_b32 s1, -1
                                        ; implicit-def: $vgpr8
.LBB118_877:
	s_delay_alu instid0(SALU_CYCLE_1)
	s_and_not1_b32 vcc_lo, exec_lo, s1
	s_cbranch_vccnz .LBB118_879
; %bb.878:
	global_load_b32 v2, v[0:1], off
	s_wait_loadcnt 0x0
	v_cvt_i32_f32_e32 v8, v2
.LBB118_879:
	s_mov_b32 s1, 0
.LBB118_880:
	s_delay_alu instid0(SALU_CYCLE_1)
	s_and_not1_b32 vcc_lo, exec_lo, s1
	s_cbranch_vccnz .LBB118_882
; %bb.881:
	global_load_u16 v2, v[0:1], off
	s_wait_loadcnt 0x0
	v_cvt_f32_f16_e32 v2, v2
	s_delay_alu instid0(VALU_DEP_1)
	v_cvt_i32_f32_e32 v8, v2
.LBB118_882:
	s_mov_b32 s1, 0
.LBB118_883:
	s_delay_alu instid0(SALU_CYCLE_1)
	s_and_not1_b32 vcc_lo, exec_lo, s1
	s_cbranch_vccnz .LBB118_903
; %bb.884:
	s_cmp_lt_i32 s0, 2
	s_cbranch_scc1 .LBB118_888
; %bb.885:
	s_cmp_lt_i32 s0, 3
	s_cbranch_scc1 .LBB118_889
; %bb.886:
	s_cmp_gt_i32 s0, 3
	s_cbranch_scc0 .LBB118_890
; %bb.887:
	s_wait_loadcnt 0x0
	global_load_b32 v8, v[0:1], off
	s_mov_b32 s1, 0
	s_branch .LBB118_891
.LBB118_888:
	s_mov_b32 s1, -1
                                        ; implicit-def: $vgpr8
	s_branch .LBB118_897
.LBB118_889:
	s_mov_b32 s1, -1
                                        ; implicit-def: $vgpr8
	s_branch .LBB118_894
.LBB118_890:
	s_mov_b32 s1, -1
                                        ; implicit-def: $vgpr8
.LBB118_891:
	s_delay_alu instid0(SALU_CYCLE_1)
	s_and_not1_b32 vcc_lo, exec_lo, s1
	s_cbranch_vccnz .LBB118_893
; %bb.892:
	s_wait_loadcnt 0x0
	global_load_b32 v8, v[0:1], off
.LBB118_893:
	s_mov_b32 s1, 0
.LBB118_894:
	s_delay_alu instid0(SALU_CYCLE_1)
	s_and_not1_b32 vcc_lo, exec_lo, s1
	s_cbranch_vccnz .LBB118_896
; %bb.895:
	s_wait_loadcnt 0x0
	global_load_i16 v8, v[0:1], off
.LBB118_896:
	s_mov_b32 s1, 0
.LBB118_897:
	s_delay_alu instid0(SALU_CYCLE_1)
	s_and_not1_b32 vcc_lo, exec_lo, s1
	s_cbranch_vccnz .LBB118_903
; %bb.898:
	s_cmp_gt_i32 s0, 0
	s_mov_b32 s0, 0
	s_cbranch_scc0 .LBB118_900
; %bb.899:
	s_wait_loadcnt 0x0
	global_load_i8 v8, v[0:1], off
	s_branch .LBB118_901
.LBB118_900:
	s_mov_b32 s0, -1
                                        ; implicit-def: $vgpr8
.LBB118_901:
	s_delay_alu instid0(SALU_CYCLE_1)
	s_and_not1_b32 vcc_lo, exec_lo, s0
	s_cbranch_vccnz .LBB118_903
; %bb.902:
	s_wait_loadcnt 0x0
	global_load_u8 v8, v[0:1], off
.LBB118_903:
	s_mov_b32 s41, -1
.LBB118_904:
	s_delay_alu instid0(SALU_CYCLE_1)
	s_and_not1_b32 vcc_lo, exec_lo, s41
	s_cbranch_vccnz .LBB118_912
; %bb.905:
	s_wait_xcnt 0x0
	v_mul_lo_u32 v0, v22, s19
	s_and_b32 s0, s34, 0xff
	s_delay_alu instid0(SALU_CYCLE_1) | instskip(NEXT) | instid1(VALU_DEP_1)
	s_cmp_lt_i32 s0, 11
	v_ashrrev_i32_e32 v1, 31, v0
	s_delay_alu instid0(VALU_DEP_1)
	v_add_nc_u64_e32 v[2:3], s[10:11], v[0:1]
	s_cbranch_scc1 .LBB118_913
; %bb.906:
	s_and_b32 s1, 0xffff, s0
	s_delay_alu instid0(SALU_CYCLE_1)
	s_cmp_gt_i32 s1, 25
	s_cbranch_scc0 .LBB118_914
; %bb.907:
	s_cmp_gt_i32 s1, 28
	s_cbranch_scc0 .LBB118_915
; %bb.908:
	;; [unrolled: 3-line block ×4, first 2 shown]
	s_cmp_eq_u32 s1, 46
	s_mov_b32 s42, 0
	s_cbranch_scc0 .LBB118_919
; %bb.911:
	global_load_b32 v0, v[2:3], off
	s_mov_b32 s41, -1
	s_mov_b32 s72, 0
	s_wait_loadcnt 0x0
	v_lshlrev_b32_e32 v0, 16, v0
	s_delay_alu instid0(VALU_DEP_1)
	v_cvt_i32_f32_e32 v0, v0
	s_branch .LBB118_921
.LBB118_912:
	s_mov_b32 s0, 0
	s_mov_b32 s1, s59
	;; [unrolled: 1-line block ×9, first 2 shown]
	s_branch .LBB118_1297
.LBB118_913:
	s_mov_b32 s1, -1
	s_mov_b32 s41, 0
	s_mov_b32 s72, s67
                                        ; implicit-def: $vgpr0
	s_branch .LBB118_982
.LBB118_914:
	s_mov_b32 s42, -1
	s_mov_b32 s41, 0
	s_mov_b32 s72, s67
                                        ; implicit-def: $vgpr0
	s_branch .LBB118_948
.LBB118_915:
	s_mov_b32 s42, -1
	s_mov_b32 s41, 0
	s_mov_b32 s72, s67
                                        ; implicit-def: $vgpr0
	s_branch .LBB118_931
.LBB118_916:
	s_mov_b32 s42, -1
	s_mov_b32 s41, 0
	s_mov_b32 s72, s67
                                        ; implicit-def: $vgpr0
	s_branch .LBB118_926
.LBB118_917:
	s_mov_b32 s42, -1
	s_mov_b32 s41, 0
	s_mov_b32 s72, s67
	s_branch .LBB118_920
.LBB118_918:
	s_mov_b32 s45, -1
	s_mov_b32 s41, 0
	s_mov_b32 s44, 0
	s_branch .LBB118_1854
.LBB118_919:
	s_mov_b32 s72, -1
	s_mov_b32 s41, 0
.LBB118_920:
                                        ; implicit-def: $vgpr0
.LBB118_921:
	s_and_b32 vcc_lo, exec_lo, s42
	s_cbranch_vccz .LBB118_925
; %bb.922:
	s_cmp_eq_u32 s1, 44
	s_cbranch_scc0 .LBB118_924
; %bb.923:
	global_load_u8 v0, v[2:3], off
	s_mov_b32 s72, 0
	s_mov_b32 s41, -1
	s_wait_loadcnt 0x0
	v_lshlrev_b32_e32 v1, 23, v0
	v_cmp_ne_u32_e32 vcc_lo, 0, v0
	s_delay_alu instid0(VALU_DEP_2) | instskip(NEXT) | instid1(VALU_DEP_1)
	v_cvt_i32_f32_e32 v1, v1
	v_cndmask_b32_e32 v0, 0, v1, vcc_lo
	s_branch .LBB118_925
.LBB118_924:
	s_mov_b32 s72, -1
                                        ; implicit-def: $vgpr0
.LBB118_925:
	s_mov_b32 s42, 0
.LBB118_926:
	s_delay_alu instid0(SALU_CYCLE_1)
	s_and_b32 vcc_lo, exec_lo, s42
	s_cbranch_vccz .LBB118_930
; %bb.927:
	s_cmp_eq_u32 s1, 29
	s_cbranch_scc0 .LBB118_929
; %bb.928:
	global_load_b32 v0, v[2:3], off
	s_mov_b32 s41, -1
	s_mov_b32 s72, 0
	s_branch .LBB118_930
.LBB118_929:
	s_mov_b32 s72, -1
                                        ; implicit-def: $vgpr0
.LBB118_930:
	s_mov_b32 s42, 0
.LBB118_931:
	s_delay_alu instid0(SALU_CYCLE_1)
	s_and_b32 vcc_lo, exec_lo, s42
	s_cbranch_vccz .LBB118_947
; %bb.932:
	s_cmp_lt_i32 s1, 27
	s_cbranch_scc1 .LBB118_935
; %bb.933:
	s_cmp_gt_i32 s1, 27
	s_cbranch_scc0 .LBB118_936
; %bb.934:
	s_wait_loadcnt 0x0
	global_load_b32 v0, v[2:3], off
	s_mov_b32 s41, 0
	s_branch .LBB118_937
.LBB118_935:
	s_mov_b32 s41, -1
                                        ; implicit-def: $vgpr0
	s_branch .LBB118_940
.LBB118_936:
	s_mov_b32 s41, -1
                                        ; implicit-def: $vgpr0
.LBB118_937:
	s_delay_alu instid0(SALU_CYCLE_1)
	s_and_not1_b32 vcc_lo, exec_lo, s41
	s_cbranch_vccnz .LBB118_939
; %bb.938:
	s_wait_loadcnt 0x0
	global_load_u16 v0, v[2:3], off
.LBB118_939:
	s_mov_b32 s41, 0
.LBB118_940:
	s_delay_alu instid0(SALU_CYCLE_1)
	s_and_not1_b32 vcc_lo, exec_lo, s41
	s_cbranch_vccnz .LBB118_946
; %bb.941:
	global_load_u8 v1, v[2:3], off
	s_mov_b32 s42, 0
	s_mov_b32 s41, exec_lo
	s_wait_loadcnt 0x0
	v_cmpx_lt_i16_e32 0x7f, v1
	s_xor_b32 s41, exec_lo, s41
	s_cbranch_execz .LBB118_958
; %bb.942:
	v_cmp_ne_u16_e32 vcc_lo, 0x80, v1
	s_and_b32 s42, vcc_lo, exec_lo
	s_and_not1_saveexec_b32 s41, s41
	s_cbranch_execnz .LBB118_959
.LBB118_943:
	s_or_b32 exec_lo, exec_lo, s41
	v_mov_b32_e32 v0, 0
	s_and_saveexec_b32 s41, s42
	s_cbranch_execz .LBB118_945
.LBB118_944:
	v_and_b32_e32 v0, 0xffff, v1
	s_delay_alu instid0(VALU_DEP_1) | instskip(SKIP_1) | instid1(VALU_DEP_2)
	v_and_b32_e32 v4, 7, v0
	v_bfe_u32 v9, v0, 3, 4
	v_clz_i32_u32_e32 v5, v4
	s_delay_alu instid0(VALU_DEP_2) | instskip(NEXT) | instid1(VALU_DEP_2)
	v_cmp_eq_u32_e32 vcc_lo, 0, v9
	v_min_u32_e32 v5, 32, v5
	s_delay_alu instid0(VALU_DEP_1) | instskip(NEXT) | instid1(VALU_DEP_1)
	v_subrev_nc_u32_e32 v6, 28, v5
	v_dual_lshlrev_b32 v0, v6, v0 :: v_dual_sub_nc_u32 v5, 29, v5
	s_delay_alu instid0(VALU_DEP_1) | instskip(NEXT) | instid1(VALU_DEP_1)
	v_dual_lshlrev_b32 v1, 24, v1 :: v_dual_bitop2_b32 v0, 7, v0 bitop3:0x40
	v_dual_cndmask_b32 v0, v4, v0 :: v_dual_cndmask_b32 v5, v9, v5
	s_delay_alu instid0(VALU_DEP_2) | instskip(NEXT) | instid1(VALU_DEP_2)
	v_and_b32_e32 v1, 0x80000000, v1
	v_lshlrev_b32_e32 v0, 20, v0
	s_delay_alu instid0(VALU_DEP_3) | instskip(NEXT) | instid1(VALU_DEP_1)
	v_lshl_add_u32 v4, v5, 23, 0x3b800000
	v_or3_b32 v0, v1, v4, v0
	s_delay_alu instid0(VALU_DEP_1)
	v_cvt_i32_f32_e32 v0, v0
.LBB118_945:
	s_or_b32 exec_lo, exec_lo, s41
.LBB118_946:
	s_mov_b32 s41, -1
.LBB118_947:
	s_mov_b32 s42, 0
.LBB118_948:
	s_delay_alu instid0(SALU_CYCLE_1)
	s_and_b32 vcc_lo, exec_lo, s42
	s_cbranch_vccz .LBB118_981
; %bb.949:
	s_cmp_gt_i32 s1, 22
	s_cbranch_scc0 .LBB118_957
; %bb.950:
	s_cmp_lt_i32 s1, 24
	s_cbranch_scc1 .LBB118_960
; %bb.951:
	s_cmp_gt_i32 s1, 24
	s_cbranch_scc0 .LBB118_961
; %bb.952:
	global_load_u8 v1, v[2:3], off
	s_mov_b32 s42, 0
	s_mov_b32 s41, exec_lo
	s_wait_loadcnt 0x0
	v_cmpx_lt_i16_e32 0x7f, v1
	s_xor_b32 s41, exec_lo, s41
	s_cbranch_execz .LBB118_973
; %bb.953:
	v_cmp_ne_u16_e32 vcc_lo, 0x80, v1
	s_and_b32 s42, vcc_lo, exec_lo
	s_and_not1_saveexec_b32 s41, s41
	s_cbranch_execnz .LBB118_974
.LBB118_954:
	s_or_b32 exec_lo, exec_lo, s41
	v_mov_b32_e32 v0, 0
	s_and_saveexec_b32 s41, s42
	s_cbranch_execz .LBB118_956
.LBB118_955:
	v_and_b32_e32 v0, 0xffff, v1
	s_delay_alu instid0(VALU_DEP_1) | instskip(SKIP_1) | instid1(VALU_DEP_2)
	v_and_b32_e32 v4, 3, v0
	v_bfe_u32 v9, v0, 2, 5
	v_clz_i32_u32_e32 v5, v4
	s_delay_alu instid0(VALU_DEP_2) | instskip(NEXT) | instid1(VALU_DEP_2)
	v_cmp_eq_u32_e32 vcc_lo, 0, v9
	v_min_u32_e32 v5, 32, v5
	s_delay_alu instid0(VALU_DEP_1) | instskip(NEXT) | instid1(VALU_DEP_1)
	v_subrev_nc_u32_e32 v6, 29, v5
	v_dual_lshlrev_b32 v0, v6, v0 :: v_dual_sub_nc_u32 v5, 30, v5
	s_delay_alu instid0(VALU_DEP_1) | instskip(NEXT) | instid1(VALU_DEP_1)
	v_dual_lshlrev_b32 v1, 24, v1 :: v_dual_bitop2_b32 v0, 3, v0 bitop3:0x40
	v_dual_cndmask_b32 v0, v4, v0 :: v_dual_cndmask_b32 v5, v9, v5
	s_delay_alu instid0(VALU_DEP_2) | instskip(NEXT) | instid1(VALU_DEP_2)
	v_and_b32_e32 v1, 0x80000000, v1
	v_lshlrev_b32_e32 v0, 21, v0
	s_delay_alu instid0(VALU_DEP_3) | instskip(NEXT) | instid1(VALU_DEP_1)
	v_lshl_add_u32 v4, v5, 23, 0x37800000
	v_or3_b32 v0, v1, v4, v0
	s_delay_alu instid0(VALU_DEP_1)
	v_cvt_i32_f32_e32 v0, v0
.LBB118_956:
	s_or_b32 exec_lo, exec_lo, s41
	s_mov_b32 s41, 0
	s_branch .LBB118_962
.LBB118_957:
	s_mov_b32 s42, -1
                                        ; implicit-def: $vgpr0
	s_branch .LBB118_968
.LBB118_958:
	s_and_not1_saveexec_b32 s41, s41
	s_cbranch_execz .LBB118_943
.LBB118_959:
	v_cmp_ne_u16_e32 vcc_lo, 0, v1
	s_and_not1_b32 s42, s42, exec_lo
	s_and_b32 s43, vcc_lo, exec_lo
	s_delay_alu instid0(SALU_CYCLE_1)
	s_or_b32 s42, s42, s43
	s_or_b32 exec_lo, exec_lo, s41
	v_mov_b32_e32 v0, 0
	s_and_saveexec_b32 s41, s42
	s_cbranch_execnz .LBB118_944
	s_branch .LBB118_945
.LBB118_960:
	s_mov_b32 s41, -1
                                        ; implicit-def: $vgpr0
	s_branch .LBB118_965
.LBB118_961:
	s_mov_b32 s41, -1
                                        ; implicit-def: $vgpr0
.LBB118_962:
	s_delay_alu instid0(SALU_CYCLE_1)
	s_and_b32 vcc_lo, exec_lo, s41
	s_cbranch_vccz .LBB118_964
; %bb.963:
	s_wait_loadcnt 0x0
	global_load_u8 v0, v[2:3], off
	s_wait_loadcnt 0x0
	v_lshlrev_b32_e32 v0, 24, v0
	s_delay_alu instid0(VALU_DEP_1) | instskip(NEXT) | instid1(VALU_DEP_1)
	v_and_b32_e32 v1, 0x7f000000, v0
	v_clz_i32_u32_e32 v4, v1
	v_cmp_ne_u32_e32 vcc_lo, 0, v1
	v_add_nc_u32_e32 v6, 0x1000000, v1
	s_delay_alu instid0(VALU_DEP_3) | instskip(NEXT) | instid1(VALU_DEP_1)
	v_min_u32_e32 v4, 32, v4
	v_sub_nc_u32_e64 v4, v4, 4 clamp
	s_delay_alu instid0(VALU_DEP_1) | instskip(NEXT) | instid1(VALU_DEP_1)
	v_dual_lshlrev_b32 v5, v4, v1 :: v_dual_lshlrev_b32 v4, 23, v4
	v_lshrrev_b32_e32 v5, 4, v5
	s_delay_alu instid0(VALU_DEP_1) | instskip(NEXT) | instid1(VALU_DEP_1)
	v_dual_sub_nc_u32 v4, v5, v4 :: v_dual_ashrrev_i32 v5, 8, v6
	v_add_nc_u32_e32 v4, 0x3c000000, v4
	s_delay_alu instid0(VALU_DEP_1) | instskip(NEXT) | instid1(VALU_DEP_1)
	v_and_or_b32 v4, 0x7f800000, v5, v4
	v_cndmask_b32_e32 v1, 0, v4, vcc_lo
	s_delay_alu instid0(VALU_DEP_1) | instskip(NEXT) | instid1(VALU_DEP_1)
	v_and_or_b32 v0, 0x80000000, v0, v1
	v_cvt_i32_f32_e32 v0, v0
.LBB118_964:
	s_mov_b32 s41, 0
.LBB118_965:
	s_delay_alu instid0(SALU_CYCLE_1)
	s_and_not1_b32 vcc_lo, exec_lo, s41
	s_cbranch_vccnz .LBB118_967
; %bb.966:
	s_wait_loadcnt 0x0
	global_load_u8 v0, v[2:3], off
	s_wait_loadcnt 0x0
	v_lshlrev_b32_e32 v1, 25, v0
	v_lshlrev_b16 v0, 8, v0
	s_delay_alu instid0(VALU_DEP_1) | instskip(SKIP_1) | instid1(VALU_DEP_2)
	v_and_or_b32 v5, 0x7f00, v0, 0.5
	v_bfe_i32 v0, v0, 0, 16
	v_add_f32_e32 v5, -0.5, v5
	v_lshrrev_b32_e32 v4, 4, v1
	v_cmp_gt_u32_e32 vcc_lo, 0x8000000, v1
	s_delay_alu instid0(VALU_DEP_2) | instskip(NEXT) | instid1(VALU_DEP_1)
	v_or_b32_e32 v4, 0x70000000, v4
	v_mul_f32_e32 v4, 0x7800000, v4
	s_delay_alu instid0(VALU_DEP_1) | instskip(NEXT) | instid1(VALU_DEP_1)
	v_cndmask_b32_e32 v1, v4, v5, vcc_lo
	v_and_or_b32 v0, 0x80000000, v0, v1
	s_delay_alu instid0(VALU_DEP_1)
	v_cvt_i32_f32_e32 v0, v0
.LBB118_967:
	s_mov_b32 s42, 0
	s_mov_b32 s41, -1
.LBB118_968:
	s_and_not1_b32 vcc_lo, exec_lo, s42
	s_cbranch_vccnz .LBB118_981
; %bb.969:
	s_cmp_gt_i32 s1, 14
	s_cbranch_scc0 .LBB118_972
; %bb.970:
	s_cmp_eq_u32 s1, 15
	s_cbranch_scc0 .LBB118_975
; %bb.971:
	s_wait_loadcnt 0x0
	global_load_u16 v0, v[2:3], off
	s_mov_b32 s41, -1
	s_mov_b32 s72, 0
	s_wait_loadcnt 0x0
	v_lshlrev_b32_e32 v0, 16, v0
	s_delay_alu instid0(VALU_DEP_1)
	v_cvt_i32_f32_e32 v0, v0
	s_branch .LBB118_976
.LBB118_972:
	s_mov_b32 s42, -1
                                        ; implicit-def: $vgpr0
	s_branch .LBB118_977
.LBB118_973:
	s_and_not1_saveexec_b32 s41, s41
	s_cbranch_execz .LBB118_954
.LBB118_974:
	v_cmp_ne_u16_e32 vcc_lo, 0, v1
	s_and_not1_b32 s42, s42, exec_lo
	s_and_b32 s43, vcc_lo, exec_lo
	s_delay_alu instid0(SALU_CYCLE_1)
	s_or_b32 s42, s42, s43
	s_or_b32 exec_lo, exec_lo, s41
	v_mov_b32_e32 v0, 0
	s_and_saveexec_b32 s41, s42
	s_cbranch_execnz .LBB118_955
	s_branch .LBB118_956
.LBB118_975:
	s_mov_b32 s72, -1
                                        ; implicit-def: $vgpr0
.LBB118_976:
	s_mov_b32 s42, 0
.LBB118_977:
	s_delay_alu instid0(SALU_CYCLE_1)
	s_and_b32 vcc_lo, exec_lo, s42
	s_cbranch_vccz .LBB118_981
; %bb.978:
	s_cmp_eq_u32 s1, 11
	s_cbranch_scc0 .LBB118_980
; %bb.979:
	s_wait_loadcnt 0x0
	global_load_u8 v0, v[2:3], off
	s_mov_b32 s72, 0
	s_mov_b32 s41, -1
	s_wait_loadcnt 0x0
	v_cmp_ne_u16_e32 vcc_lo, 0, v0
	v_cndmask_b32_e64 v0, 0, 1, vcc_lo
	s_branch .LBB118_981
.LBB118_980:
	s_mov_b32 s72, -1
                                        ; implicit-def: $vgpr0
.LBB118_981:
	s_mov_b32 s1, 0
.LBB118_982:
	s_delay_alu instid0(SALU_CYCLE_1)
	s_and_b32 vcc_lo, exec_lo, s1
	s_cbranch_vccz .LBB118_1031
; %bb.983:
	s_and_b32 s0, 0xffff, s0
	s_delay_alu instid0(SALU_CYCLE_1)
	s_cmp_lt_i32 s0, 5
	s_cbranch_scc1 .LBB118_988
; %bb.984:
	s_cmp_lt_i32 s0, 8
	s_cbranch_scc1 .LBB118_989
; %bb.985:
	;; [unrolled: 3-line block ×3, first 2 shown]
	s_cmp_gt_i32 s0, 9
	s_cbranch_scc0 .LBB118_991
; %bb.987:
	s_wait_loadcnt 0x0
	global_load_b64 v[0:1], v[2:3], off
	s_mov_b32 s1, 0
	s_wait_loadcnt 0x0
	v_cvt_i32_f64_e32 v0, v[0:1]
	s_branch .LBB118_992
.LBB118_988:
	s_mov_b32 s1, -1
                                        ; implicit-def: $vgpr0
	s_branch .LBB118_1010
.LBB118_989:
	s_mov_b32 s1, -1
                                        ; implicit-def: $vgpr0
	s_branch .LBB118_998
.LBB118_990:
	s_mov_b32 s1, -1
                                        ; implicit-def: $vgpr0
	s_branch .LBB118_995
.LBB118_991:
	s_mov_b32 s1, -1
                                        ; implicit-def: $vgpr0
.LBB118_992:
	s_delay_alu instid0(SALU_CYCLE_1)
	s_and_not1_b32 vcc_lo, exec_lo, s1
	s_cbranch_vccnz .LBB118_994
; %bb.993:
	s_wait_loadcnt 0x0
	global_load_b32 v0, v[2:3], off
	s_wait_loadcnt 0x0
	v_cvt_i32_f32_e32 v0, v0
.LBB118_994:
	s_mov_b32 s1, 0
.LBB118_995:
	s_delay_alu instid0(SALU_CYCLE_1)
	s_and_not1_b32 vcc_lo, exec_lo, s1
	s_cbranch_vccnz .LBB118_997
; %bb.996:
	s_wait_loadcnt 0x0
	global_load_b32 v0, v[2:3], off
	s_wait_loadcnt 0x0
	v_cvt_f32_f16_e32 v0, v0
	s_delay_alu instid0(VALU_DEP_1)
	v_cvt_i32_f32_e32 v0, v0
.LBB118_997:
	s_mov_b32 s1, 0
.LBB118_998:
	s_delay_alu instid0(SALU_CYCLE_1)
	s_and_not1_b32 vcc_lo, exec_lo, s1
	s_cbranch_vccnz .LBB118_1009
; %bb.999:
	s_cmp_lt_i32 s0, 6
	s_cbranch_scc1 .LBB118_1002
; %bb.1000:
	s_cmp_gt_i32 s0, 6
	s_cbranch_scc0 .LBB118_1003
; %bb.1001:
	s_wait_loadcnt 0x0
	global_load_b64 v[0:1], v[2:3], off
	s_mov_b32 s1, 0
	s_wait_loadcnt 0x0
	v_cvt_i32_f64_e32 v0, v[0:1]
	s_branch .LBB118_1004
.LBB118_1002:
	s_mov_b32 s1, -1
                                        ; implicit-def: $vgpr0
	s_branch .LBB118_1007
.LBB118_1003:
	s_mov_b32 s1, -1
                                        ; implicit-def: $vgpr0
.LBB118_1004:
	s_delay_alu instid0(SALU_CYCLE_1)
	s_and_not1_b32 vcc_lo, exec_lo, s1
	s_cbranch_vccnz .LBB118_1006
; %bb.1005:
	s_wait_loadcnt 0x0
	global_load_b32 v0, v[2:3], off
	s_wait_loadcnt 0x0
	v_cvt_i32_f32_e32 v0, v0
.LBB118_1006:
	s_mov_b32 s1, 0
.LBB118_1007:
	s_delay_alu instid0(SALU_CYCLE_1)
	s_and_not1_b32 vcc_lo, exec_lo, s1
	s_cbranch_vccnz .LBB118_1009
; %bb.1008:
	s_wait_loadcnt 0x0
	global_load_u16 v0, v[2:3], off
	s_wait_loadcnt 0x0
	v_cvt_f32_f16_e32 v0, v0
	s_delay_alu instid0(VALU_DEP_1)
	v_cvt_i32_f32_e32 v0, v0
.LBB118_1009:
	s_mov_b32 s1, 0
.LBB118_1010:
	s_delay_alu instid0(SALU_CYCLE_1)
	s_and_not1_b32 vcc_lo, exec_lo, s1
	s_cbranch_vccnz .LBB118_1030
; %bb.1011:
	s_cmp_lt_i32 s0, 2
	s_cbranch_scc1 .LBB118_1015
; %bb.1012:
	s_cmp_lt_i32 s0, 3
	s_cbranch_scc1 .LBB118_1016
; %bb.1013:
	s_cmp_gt_i32 s0, 3
	s_cbranch_scc0 .LBB118_1017
; %bb.1014:
	s_wait_loadcnt 0x0
	global_load_b32 v0, v[2:3], off
	s_mov_b32 s1, 0
	s_branch .LBB118_1018
.LBB118_1015:
	s_mov_b32 s1, -1
                                        ; implicit-def: $vgpr0
	s_branch .LBB118_1024
.LBB118_1016:
	s_mov_b32 s1, -1
                                        ; implicit-def: $vgpr0
	s_branch .LBB118_1021
.LBB118_1017:
	s_mov_b32 s1, -1
                                        ; implicit-def: $vgpr0
.LBB118_1018:
	s_delay_alu instid0(SALU_CYCLE_1)
	s_and_not1_b32 vcc_lo, exec_lo, s1
	s_cbranch_vccnz .LBB118_1020
; %bb.1019:
	s_wait_loadcnt 0x0
	global_load_b32 v0, v[2:3], off
.LBB118_1020:
	s_mov_b32 s1, 0
.LBB118_1021:
	s_delay_alu instid0(SALU_CYCLE_1)
	s_and_not1_b32 vcc_lo, exec_lo, s1
	s_cbranch_vccnz .LBB118_1023
; %bb.1022:
	s_wait_loadcnt 0x0
	global_load_i16 v0, v[2:3], off
.LBB118_1023:
	s_mov_b32 s1, 0
.LBB118_1024:
	s_delay_alu instid0(SALU_CYCLE_1)
	s_and_not1_b32 vcc_lo, exec_lo, s1
	s_cbranch_vccnz .LBB118_1030
; %bb.1025:
	s_cmp_gt_i32 s0, 0
	s_mov_b32 s0, 0
	s_cbranch_scc0 .LBB118_1027
; %bb.1026:
	s_wait_loadcnt 0x0
	global_load_i8 v0, v[2:3], off
	s_branch .LBB118_1028
.LBB118_1027:
	s_mov_b32 s0, -1
                                        ; implicit-def: $vgpr0
.LBB118_1028:
	s_delay_alu instid0(SALU_CYCLE_1)
	s_and_not1_b32 vcc_lo, exec_lo, s0
	s_cbranch_vccnz .LBB118_1030
; %bb.1029:
	s_wait_loadcnt 0x0
	global_load_u8 v0, v[2:3], off
.LBB118_1030:
	s_mov_b32 s41, -1
.LBB118_1031:
	s_delay_alu instid0(SALU_CYCLE_1)
	s_and_not1_b32 vcc_lo, exec_lo, s41
	s_cbranch_vccnz .LBB118_1039
; %bb.1032:
	s_wait_xcnt 0x0
	v_mul_lo_u32 v2, v22, s36
	s_and_b32 s0, s3, 0xff
	s_delay_alu instid0(SALU_CYCLE_1) | instskip(NEXT) | instid1(VALU_DEP_1)
	s_cmp_lt_i32 s0, 11
	v_ashrrev_i32_e32 v3, 31, v2
	s_delay_alu instid0(VALU_DEP_1)
	v_add_nc_u64_e32 v[4:5], s[12:13], v[2:3]
	s_cbranch_scc1 .LBB118_1040
; %bb.1033:
	s_and_b32 s1, 0xffff, s0
	s_delay_alu instid0(SALU_CYCLE_1)
	s_cmp_gt_i32 s1, 25
	s_cbranch_scc0 .LBB118_1041
; %bb.1034:
	s_cmp_gt_i32 s1, 28
	s_cbranch_scc0 .LBB118_1042
; %bb.1035:
	;; [unrolled: 3-line block ×4, first 2 shown]
	s_cmp_eq_u32 s1, 46
	s_mov_b32 s42, 0
	s_cbranch_scc0 .LBB118_1046
; %bb.1038:
	global_load_b32 v1, v[4:5], off
	s_mov_b32 s41, -1
	s_mov_b32 s75, 0
	s_wait_loadcnt 0x0
	v_lshlrev_b32_e32 v1, 16, v1
	s_delay_alu instid0(VALU_DEP_1)
	v_cvt_i32_f32_e32 v2, v1
	s_branch .LBB118_1048
.LBB118_1039:
	s_mov_b32 s0, 0
	s_mov_b32 s1, s59
	;; [unrolled: 1-line block ×8, first 2 shown]
	s_branch .LBB118_1297
.LBB118_1040:
	s_mov_b32 s1, -1
	s_mov_b32 s41, 0
	s_mov_b32 s75, s66
                                        ; implicit-def: $vgpr2
	s_branch .LBB118_1109
.LBB118_1041:
	s_mov_b32 s42, -1
	s_mov_b32 s41, 0
	s_mov_b32 s75, s66
                                        ; implicit-def: $vgpr2
	s_branch .LBB118_1075
.LBB118_1042:
	s_mov_b32 s42, -1
	s_mov_b32 s41, 0
	s_mov_b32 s75, s66
                                        ; implicit-def: $vgpr2
	s_branch .LBB118_1058
.LBB118_1043:
	s_mov_b32 s42, -1
	s_mov_b32 s41, 0
	s_mov_b32 s75, s66
                                        ; implicit-def: $vgpr2
	s_branch .LBB118_1053
.LBB118_1044:
	s_mov_b32 s42, -1
	s_mov_b32 s41, 0
	s_mov_b32 s75, s66
	s_branch .LBB118_1047
.LBB118_1045:
	s_mov_b32 s45, -1
	s_mov_b32 s41, 0
	s_mov_b32 s44, 0
	s_branch .LBB118_1843
.LBB118_1046:
	s_mov_b32 s75, -1
	s_mov_b32 s41, 0
.LBB118_1047:
                                        ; implicit-def: $vgpr2
.LBB118_1048:
	s_and_b32 vcc_lo, exec_lo, s42
	s_cbranch_vccz .LBB118_1052
; %bb.1049:
	s_cmp_eq_u32 s1, 44
	s_cbranch_scc0 .LBB118_1051
; %bb.1050:
	global_load_u8 v1, v[4:5], off
	s_mov_b32 s75, 0
	s_mov_b32 s41, -1
	s_wait_loadcnt 0x0
	v_lshlrev_b32_e32 v2, 23, v1
	v_cmp_ne_u32_e32 vcc_lo, 0, v1
	s_delay_alu instid0(VALU_DEP_2) | instskip(NEXT) | instid1(VALU_DEP_1)
	v_cvt_i32_f32_e32 v2, v2
	v_cndmask_b32_e32 v2, 0, v2, vcc_lo
	s_branch .LBB118_1052
.LBB118_1051:
	s_mov_b32 s75, -1
                                        ; implicit-def: $vgpr2
.LBB118_1052:
	s_mov_b32 s42, 0
.LBB118_1053:
	s_delay_alu instid0(SALU_CYCLE_1)
	s_and_b32 vcc_lo, exec_lo, s42
	s_cbranch_vccz .LBB118_1057
; %bb.1054:
	s_cmp_eq_u32 s1, 29
	s_cbranch_scc0 .LBB118_1056
; %bb.1055:
	global_load_b32 v2, v[4:5], off
	s_mov_b32 s41, -1
	s_mov_b32 s75, 0
	s_branch .LBB118_1057
.LBB118_1056:
	s_mov_b32 s75, -1
                                        ; implicit-def: $vgpr2
.LBB118_1057:
	s_mov_b32 s42, 0
.LBB118_1058:
	s_delay_alu instid0(SALU_CYCLE_1)
	s_and_b32 vcc_lo, exec_lo, s42
	s_cbranch_vccz .LBB118_1074
; %bb.1059:
	s_cmp_lt_i32 s1, 27
	s_cbranch_scc1 .LBB118_1062
; %bb.1060:
	s_cmp_gt_i32 s1, 27
	s_cbranch_scc0 .LBB118_1063
; %bb.1061:
	s_wait_loadcnt 0x0
	global_load_b32 v2, v[4:5], off
	s_mov_b32 s41, 0
	s_branch .LBB118_1064
.LBB118_1062:
	s_mov_b32 s41, -1
                                        ; implicit-def: $vgpr2
	s_branch .LBB118_1067
.LBB118_1063:
	s_mov_b32 s41, -1
                                        ; implicit-def: $vgpr2
.LBB118_1064:
	s_delay_alu instid0(SALU_CYCLE_1)
	s_and_not1_b32 vcc_lo, exec_lo, s41
	s_cbranch_vccnz .LBB118_1066
; %bb.1065:
	s_wait_loadcnt 0x0
	global_load_u16 v2, v[4:5], off
.LBB118_1066:
	s_mov_b32 s41, 0
.LBB118_1067:
	s_delay_alu instid0(SALU_CYCLE_1)
	s_and_not1_b32 vcc_lo, exec_lo, s41
	s_cbranch_vccnz .LBB118_1073
; %bb.1068:
	global_load_u8 v1, v[4:5], off
	s_mov_b32 s42, 0
	s_mov_b32 s41, exec_lo
	s_wait_loadcnt 0x0
	v_cmpx_lt_i16_e32 0x7f, v1
	s_xor_b32 s41, exec_lo, s41
	s_cbranch_execz .LBB118_1085
; %bb.1069:
	v_cmp_ne_u16_e32 vcc_lo, 0x80, v1
	s_and_b32 s42, vcc_lo, exec_lo
	s_and_not1_saveexec_b32 s41, s41
	s_cbranch_execnz .LBB118_1086
.LBB118_1070:
	s_or_b32 exec_lo, exec_lo, s41
	v_mov_b32_e32 v2, 0
	s_and_saveexec_b32 s41, s42
	s_cbranch_execz .LBB118_1072
.LBB118_1071:
	v_and_b32_e32 v2, 0xffff, v1
	s_delay_alu instid0(VALU_DEP_1) | instskip(SKIP_1) | instid1(VALU_DEP_2)
	v_dual_lshlrev_b32 v1, 24, v1 :: v_dual_bitop2_b32 v3, 7, v2 bitop3:0x40
	v_bfe_u32 v10, v2, 3, 4
	v_and_b32_e32 v1, 0x80000000, v1
	s_delay_alu instid0(VALU_DEP_3) | instskip(NEXT) | instid1(VALU_DEP_3)
	v_clz_i32_u32_e32 v6, v3
	v_cmp_eq_u32_e32 vcc_lo, 0, v10
	s_delay_alu instid0(VALU_DEP_2) | instskip(NEXT) | instid1(VALU_DEP_1)
	v_min_u32_e32 v6, 32, v6
	v_subrev_nc_u32_e32 v9, 28, v6
	v_sub_nc_u32_e32 v6, 29, v6
	s_delay_alu instid0(VALU_DEP_2) | instskip(NEXT) | instid1(VALU_DEP_2)
	v_lshlrev_b32_e32 v2, v9, v2
	v_cndmask_b32_e32 v6, v10, v6, vcc_lo
	s_delay_alu instid0(VALU_DEP_2) | instskip(NEXT) | instid1(VALU_DEP_1)
	v_and_b32_e32 v2, 7, v2
	v_cndmask_b32_e32 v2, v3, v2, vcc_lo
	s_delay_alu instid0(VALU_DEP_3) | instskip(NEXT) | instid1(VALU_DEP_2)
	v_lshl_add_u32 v3, v6, 23, 0x3b800000
	v_lshlrev_b32_e32 v2, 20, v2
	s_delay_alu instid0(VALU_DEP_1) | instskip(NEXT) | instid1(VALU_DEP_1)
	v_or3_b32 v1, v1, v3, v2
	v_cvt_i32_f32_e32 v2, v1
.LBB118_1072:
	s_or_b32 exec_lo, exec_lo, s41
.LBB118_1073:
	s_mov_b32 s41, -1
.LBB118_1074:
	s_mov_b32 s42, 0
.LBB118_1075:
	s_delay_alu instid0(SALU_CYCLE_1)
	s_and_b32 vcc_lo, exec_lo, s42
	s_cbranch_vccz .LBB118_1108
; %bb.1076:
	s_cmp_gt_i32 s1, 22
	s_cbranch_scc0 .LBB118_1084
; %bb.1077:
	s_cmp_lt_i32 s1, 24
	s_cbranch_scc1 .LBB118_1087
; %bb.1078:
	s_cmp_gt_i32 s1, 24
	s_cbranch_scc0 .LBB118_1088
; %bb.1079:
	global_load_u8 v1, v[4:5], off
	s_mov_b32 s42, 0
	s_mov_b32 s41, exec_lo
	s_wait_loadcnt 0x0
	v_cmpx_lt_i16_e32 0x7f, v1
	s_xor_b32 s41, exec_lo, s41
	s_cbranch_execz .LBB118_1100
; %bb.1080:
	v_cmp_ne_u16_e32 vcc_lo, 0x80, v1
	s_and_b32 s42, vcc_lo, exec_lo
	s_and_not1_saveexec_b32 s41, s41
	s_cbranch_execnz .LBB118_1101
.LBB118_1081:
	s_or_b32 exec_lo, exec_lo, s41
	v_mov_b32_e32 v2, 0
	s_and_saveexec_b32 s41, s42
	s_cbranch_execz .LBB118_1083
.LBB118_1082:
	v_and_b32_e32 v2, 0xffff, v1
	s_delay_alu instid0(VALU_DEP_1) | instskip(SKIP_1) | instid1(VALU_DEP_2)
	v_dual_lshlrev_b32 v1, 24, v1 :: v_dual_bitop2_b32 v3, 3, v2 bitop3:0x40
	v_bfe_u32 v10, v2, 2, 5
	v_and_b32_e32 v1, 0x80000000, v1
	s_delay_alu instid0(VALU_DEP_3) | instskip(NEXT) | instid1(VALU_DEP_3)
	v_clz_i32_u32_e32 v6, v3
	v_cmp_eq_u32_e32 vcc_lo, 0, v10
	s_delay_alu instid0(VALU_DEP_2) | instskip(NEXT) | instid1(VALU_DEP_1)
	v_min_u32_e32 v6, 32, v6
	v_subrev_nc_u32_e32 v9, 29, v6
	v_sub_nc_u32_e32 v6, 30, v6
	s_delay_alu instid0(VALU_DEP_2) | instskip(NEXT) | instid1(VALU_DEP_2)
	v_lshlrev_b32_e32 v2, v9, v2
	v_cndmask_b32_e32 v6, v10, v6, vcc_lo
	s_delay_alu instid0(VALU_DEP_2) | instskip(NEXT) | instid1(VALU_DEP_1)
	v_and_b32_e32 v2, 3, v2
	v_cndmask_b32_e32 v2, v3, v2, vcc_lo
	s_delay_alu instid0(VALU_DEP_3) | instskip(NEXT) | instid1(VALU_DEP_2)
	v_lshl_add_u32 v3, v6, 23, 0x37800000
	v_lshlrev_b32_e32 v2, 21, v2
	s_delay_alu instid0(VALU_DEP_1) | instskip(NEXT) | instid1(VALU_DEP_1)
	v_or3_b32 v1, v1, v3, v2
	v_cvt_i32_f32_e32 v2, v1
.LBB118_1083:
	s_or_b32 exec_lo, exec_lo, s41
	s_mov_b32 s41, 0
	s_branch .LBB118_1089
.LBB118_1084:
	s_mov_b32 s42, -1
                                        ; implicit-def: $vgpr2
	s_branch .LBB118_1095
.LBB118_1085:
	s_and_not1_saveexec_b32 s41, s41
	s_cbranch_execz .LBB118_1070
.LBB118_1086:
	v_cmp_ne_u16_e32 vcc_lo, 0, v1
	s_and_not1_b32 s42, s42, exec_lo
	s_and_b32 s43, vcc_lo, exec_lo
	s_delay_alu instid0(SALU_CYCLE_1)
	s_or_b32 s42, s42, s43
	s_or_b32 exec_lo, exec_lo, s41
	v_mov_b32_e32 v2, 0
	s_and_saveexec_b32 s41, s42
	s_cbranch_execnz .LBB118_1071
	s_branch .LBB118_1072
.LBB118_1087:
	s_mov_b32 s41, -1
                                        ; implicit-def: $vgpr2
	s_branch .LBB118_1092
.LBB118_1088:
	s_mov_b32 s41, -1
                                        ; implicit-def: $vgpr2
.LBB118_1089:
	s_delay_alu instid0(SALU_CYCLE_1)
	s_and_b32 vcc_lo, exec_lo, s41
	s_cbranch_vccz .LBB118_1091
; %bb.1090:
	global_load_u8 v1, v[4:5], off
	s_wait_loadcnt 0x0
	v_lshlrev_b32_e32 v1, 24, v1
	s_delay_alu instid0(VALU_DEP_1) | instskip(NEXT) | instid1(VALU_DEP_1)
	v_and_b32_e32 v2, 0x7f000000, v1
	v_clz_i32_u32_e32 v3, v2
	v_cmp_ne_u32_e32 vcc_lo, 0, v2
	v_add_nc_u32_e32 v9, 0x1000000, v2
	s_delay_alu instid0(VALU_DEP_3) | instskip(NEXT) | instid1(VALU_DEP_1)
	v_min_u32_e32 v3, 32, v3
	v_sub_nc_u32_e64 v3, v3, 4 clamp
	s_delay_alu instid0(VALU_DEP_1) | instskip(NEXT) | instid1(VALU_DEP_1)
	v_dual_lshlrev_b32 v6, v3, v2 :: v_dual_lshlrev_b32 v3, 23, v3
	v_lshrrev_b32_e32 v6, 4, v6
	s_delay_alu instid0(VALU_DEP_1) | instskip(NEXT) | instid1(VALU_DEP_1)
	v_dual_sub_nc_u32 v3, v6, v3 :: v_dual_ashrrev_i32 v6, 8, v9
	v_add_nc_u32_e32 v3, 0x3c000000, v3
	s_delay_alu instid0(VALU_DEP_1) | instskip(NEXT) | instid1(VALU_DEP_1)
	v_and_or_b32 v3, 0x7f800000, v6, v3
	v_cndmask_b32_e32 v2, 0, v3, vcc_lo
	s_delay_alu instid0(VALU_DEP_1) | instskip(NEXT) | instid1(VALU_DEP_1)
	v_and_or_b32 v1, 0x80000000, v1, v2
	v_cvt_i32_f32_e32 v2, v1
.LBB118_1091:
	s_mov_b32 s41, 0
.LBB118_1092:
	s_delay_alu instid0(SALU_CYCLE_1)
	s_and_not1_b32 vcc_lo, exec_lo, s41
	s_cbranch_vccnz .LBB118_1094
; %bb.1093:
	global_load_u8 v1, v[4:5], off
	s_wait_loadcnt 0x0
	v_lshlrev_b32_e32 v2, 25, v1
	v_lshlrev_b16 v1, 8, v1
	s_delay_alu instid0(VALU_DEP_1) | instskip(SKIP_1) | instid1(VALU_DEP_2)
	v_and_or_b32 v6, 0x7f00, v1, 0.5
	v_bfe_i32 v1, v1, 0, 16
	v_add_f32_e32 v6, -0.5, v6
	v_lshrrev_b32_e32 v3, 4, v2
	v_cmp_gt_u32_e32 vcc_lo, 0x8000000, v2
	s_delay_alu instid0(VALU_DEP_2) | instskip(NEXT) | instid1(VALU_DEP_1)
	v_or_b32_e32 v3, 0x70000000, v3
	v_mul_f32_e32 v3, 0x7800000, v3
	s_delay_alu instid0(VALU_DEP_1) | instskip(NEXT) | instid1(VALU_DEP_1)
	v_cndmask_b32_e32 v2, v3, v6, vcc_lo
	v_and_or_b32 v1, 0x80000000, v1, v2
	s_delay_alu instid0(VALU_DEP_1)
	v_cvt_i32_f32_e32 v2, v1
.LBB118_1094:
	s_mov_b32 s42, 0
	s_mov_b32 s41, -1
.LBB118_1095:
	s_and_not1_b32 vcc_lo, exec_lo, s42
	s_cbranch_vccnz .LBB118_1108
; %bb.1096:
	s_cmp_gt_i32 s1, 14
	s_cbranch_scc0 .LBB118_1099
; %bb.1097:
	s_cmp_eq_u32 s1, 15
	s_cbranch_scc0 .LBB118_1102
; %bb.1098:
	global_load_u16 v1, v[4:5], off
	s_mov_b32 s41, -1
	s_mov_b32 s75, 0
	s_wait_loadcnt 0x0
	v_lshlrev_b32_e32 v1, 16, v1
	s_delay_alu instid0(VALU_DEP_1)
	v_cvt_i32_f32_e32 v2, v1
	s_branch .LBB118_1103
.LBB118_1099:
	s_mov_b32 s42, -1
                                        ; implicit-def: $vgpr2
	s_branch .LBB118_1104
.LBB118_1100:
	s_and_not1_saveexec_b32 s41, s41
	s_cbranch_execz .LBB118_1081
.LBB118_1101:
	v_cmp_ne_u16_e32 vcc_lo, 0, v1
	s_and_not1_b32 s42, s42, exec_lo
	s_and_b32 s43, vcc_lo, exec_lo
	s_delay_alu instid0(SALU_CYCLE_1)
	s_or_b32 s42, s42, s43
	s_or_b32 exec_lo, exec_lo, s41
	v_mov_b32_e32 v2, 0
	s_and_saveexec_b32 s41, s42
	s_cbranch_execnz .LBB118_1082
	s_branch .LBB118_1083
.LBB118_1102:
	s_mov_b32 s75, -1
                                        ; implicit-def: $vgpr2
.LBB118_1103:
	s_mov_b32 s42, 0
.LBB118_1104:
	s_delay_alu instid0(SALU_CYCLE_1)
	s_and_b32 vcc_lo, exec_lo, s42
	s_cbranch_vccz .LBB118_1108
; %bb.1105:
	s_cmp_eq_u32 s1, 11
	s_cbranch_scc0 .LBB118_1107
; %bb.1106:
	global_load_u8 v1, v[4:5], off
	s_mov_b32 s75, 0
	s_mov_b32 s41, -1
	s_wait_loadcnt 0x0
	v_cmp_ne_u16_e32 vcc_lo, 0, v1
	v_cndmask_b32_e64 v2, 0, 1, vcc_lo
	s_branch .LBB118_1108
.LBB118_1107:
	s_mov_b32 s75, -1
                                        ; implicit-def: $vgpr2
.LBB118_1108:
	s_mov_b32 s1, 0
.LBB118_1109:
	s_delay_alu instid0(SALU_CYCLE_1)
	s_and_b32 vcc_lo, exec_lo, s1
	s_cbranch_vccz .LBB118_1158
; %bb.1110:
	s_and_b32 s0, 0xffff, s0
	s_delay_alu instid0(SALU_CYCLE_1)
	s_cmp_lt_i32 s0, 5
	s_cbranch_scc1 .LBB118_1115
; %bb.1111:
	s_cmp_lt_i32 s0, 8
	s_cbranch_scc1 .LBB118_1116
; %bb.1112:
	;; [unrolled: 3-line block ×3, first 2 shown]
	s_cmp_gt_i32 s0, 9
	s_cbranch_scc0 .LBB118_1118
; %bb.1114:
	s_wait_loadcnt 0x0
	global_load_b64 v[2:3], v[4:5], off
	s_mov_b32 s1, 0
	s_wait_loadcnt 0x0
	v_cvt_i32_f64_e32 v2, v[2:3]
	s_branch .LBB118_1119
.LBB118_1115:
	s_mov_b32 s1, -1
                                        ; implicit-def: $vgpr2
	s_branch .LBB118_1137
.LBB118_1116:
	s_mov_b32 s1, -1
                                        ; implicit-def: $vgpr2
	s_branch .LBB118_1125
.LBB118_1117:
	s_mov_b32 s1, -1
                                        ; implicit-def: $vgpr2
	s_branch .LBB118_1122
.LBB118_1118:
	s_mov_b32 s1, -1
                                        ; implicit-def: $vgpr2
.LBB118_1119:
	s_delay_alu instid0(SALU_CYCLE_1)
	s_and_not1_b32 vcc_lo, exec_lo, s1
	s_cbranch_vccnz .LBB118_1121
; %bb.1120:
	global_load_b32 v1, v[4:5], off
	s_wait_loadcnt 0x0
	v_cvt_i32_f32_e32 v2, v1
.LBB118_1121:
	s_mov_b32 s1, 0
.LBB118_1122:
	s_delay_alu instid0(SALU_CYCLE_1)
	s_and_not1_b32 vcc_lo, exec_lo, s1
	s_cbranch_vccnz .LBB118_1124
; %bb.1123:
	global_load_b32 v1, v[4:5], off
	s_wait_loadcnt 0x0
	v_cvt_f32_f16_e32 v1, v1
	s_delay_alu instid0(VALU_DEP_1)
	v_cvt_i32_f32_e32 v2, v1
.LBB118_1124:
	s_mov_b32 s1, 0
.LBB118_1125:
	s_delay_alu instid0(SALU_CYCLE_1)
	s_and_not1_b32 vcc_lo, exec_lo, s1
	s_cbranch_vccnz .LBB118_1136
; %bb.1126:
	s_cmp_lt_i32 s0, 6
	s_cbranch_scc1 .LBB118_1129
; %bb.1127:
	s_cmp_gt_i32 s0, 6
	s_cbranch_scc0 .LBB118_1130
; %bb.1128:
	s_wait_loadcnt 0x0
	global_load_b64 v[2:3], v[4:5], off
	s_mov_b32 s1, 0
	s_wait_loadcnt 0x0
	v_cvt_i32_f64_e32 v2, v[2:3]
	s_branch .LBB118_1131
.LBB118_1129:
	s_mov_b32 s1, -1
                                        ; implicit-def: $vgpr2
	s_branch .LBB118_1134
.LBB118_1130:
	s_mov_b32 s1, -1
                                        ; implicit-def: $vgpr2
.LBB118_1131:
	s_delay_alu instid0(SALU_CYCLE_1)
	s_and_not1_b32 vcc_lo, exec_lo, s1
	s_cbranch_vccnz .LBB118_1133
; %bb.1132:
	global_load_b32 v1, v[4:5], off
	s_wait_loadcnt 0x0
	v_cvt_i32_f32_e32 v2, v1
.LBB118_1133:
	s_mov_b32 s1, 0
.LBB118_1134:
	s_delay_alu instid0(SALU_CYCLE_1)
	s_and_not1_b32 vcc_lo, exec_lo, s1
	s_cbranch_vccnz .LBB118_1136
; %bb.1135:
	global_load_u16 v1, v[4:5], off
	s_wait_loadcnt 0x0
	v_cvt_f32_f16_e32 v1, v1
	s_delay_alu instid0(VALU_DEP_1)
	v_cvt_i32_f32_e32 v2, v1
.LBB118_1136:
	s_mov_b32 s1, 0
.LBB118_1137:
	s_delay_alu instid0(SALU_CYCLE_1)
	s_and_not1_b32 vcc_lo, exec_lo, s1
	s_cbranch_vccnz .LBB118_1157
; %bb.1138:
	s_cmp_lt_i32 s0, 2
	s_cbranch_scc1 .LBB118_1142
; %bb.1139:
	s_cmp_lt_i32 s0, 3
	s_cbranch_scc1 .LBB118_1143
; %bb.1140:
	s_cmp_gt_i32 s0, 3
	s_cbranch_scc0 .LBB118_1144
; %bb.1141:
	s_wait_loadcnt 0x0
	global_load_b32 v2, v[4:5], off
	s_mov_b32 s1, 0
	s_branch .LBB118_1145
.LBB118_1142:
	s_mov_b32 s1, -1
                                        ; implicit-def: $vgpr2
	s_branch .LBB118_1151
.LBB118_1143:
	s_mov_b32 s1, -1
                                        ; implicit-def: $vgpr2
	s_branch .LBB118_1148
.LBB118_1144:
	s_mov_b32 s1, -1
                                        ; implicit-def: $vgpr2
.LBB118_1145:
	s_delay_alu instid0(SALU_CYCLE_1)
	s_and_not1_b32 vcc_lo, exec_lo, s1
	s_cbranch_vccnz .LBB118_1147
; %bb.1146:
	s_wait_loadcnt 0x0
	global_load_b32 v2, v[4:5], off
.LBB118_1147:
	s_mov_b32 s1, 0
.LBB118_1148:
	s_delay_alu instid0(SALU_CYCLE_1)
	s_and_not1_b32 vcc_lo, exec_lo, s1
	s_cbranch_vccnz .LBB118_1150
; %bb.1149:
	s_wait_loadcnt 0x0
	global_load_i16 v2, v[4:5], off
.LBB118_1150:
	s_mov_b32 s1, 0
.LBB118_1151:
	s_delay_alu instid0(SALU_CYCLE_1)
	s_and_not1_b32 vcc_lo, exec_lo, s1
	s_cbranch_vccnz .LBB118_1157
; %bb.1152:
	s_cmp_gt_i32 s0, 0
	s_mov_b32 s0, 0
	s_cbranch_scc0 .LBB118_1154
; %bb.1153:
	s_wait_loadcnt 0x0
	global_load_i8 v2, v[4:5], off
	s_branch .LBB118_1155
.LBB118_1154:
	s_mov_b32 s0, -1
                                        ; implicit-def: $vgpr2
.LBB118_1155:
	s_delay_alu instid0(SALU_CYCLE_1)
	s_and_not1_b32 vcc_lo, exec_lo, s0
	s_cbranch_vccnz .LBB118_1157
; %bb.1156:
	s_wait_loadcnt 0x0
	global_load_u8 v2, v[4:5], off
.LBB118_1157:
	s_mov_b32 s41, -1
.LBB118_1158:
	s_delay_alu instid0(SALU_CYCLE_1)
	s_and_not1_b32 vcc_lo, exec_lo, s41
	s_cbranch_vccnz .LBB118_1166
; %bb.1159:
	s_wait_xcnt 0x0
	v_mul_lo_u32 v4, v22, s37
	s_and_b32 s0, s21, 0xff
	s_delay_alu instid0(SALU_CYCLE_1) | instskip(NEXT) | instid1(VALU_DEP_1)
	s_cmp_lt_i32 s0, 11
	v_ashrrev_i32_e32 v5, 31, v4
	s_delay_alu instid0(VALU_DEP_1)
	v_add_nc_u64_e32 v[4:5], s[14:15], v[4:5]
	s_cbranch_scc1 .LBB118_1167
; %bb.1160:
	s_and_b32 s1, 0xffff, s0
	s_delay_alu instid0(SALU_CYCLE_1)
	s_cmp_gt_i32 s1, 25
	s_cbranch_scc0 .LBB118_1168
; %bb.1161:
	s_cmp_gt_i32 s1, 28
	s_cbranch_scc0 .LBB118_1169
; %bb.1162:
	;; [unrolled: 3-line block ×4, first 2 shown]
	s_cmp_eq_u32 s1, 46
	s_mov_b32 s42, 0
	s_cbranch_scc0 .LBB118_1173
; %bb.1165:
	global_load_b32 v1, v[4:5], off
	s_mov_b32 s41, -1
	s_mov_b32 s74, 0
	s_wait_loadcnt 0x0
	v_lshlrev_b32_e32 v1, 16, v1
	s_delay_alu instid0(VALU_DEP_1)
	v_cvt_i32_f32_e32 v6, v1
	s_branch .LBB118_1175
.LBB118_1166:
	s_mov_b32 s0, 0
	s_mov_b32 s1, s59
	;; [unrolled: 1-line block ×7, first 2 shown]
	s_branch .LBB118_1297
.LBB118_1167:
	s_mov_b32 s1, -1
	s_mov_b32 s41, 0
	s_mov_b32 s74, s65
                                        ; implicit-def: $vgpr6
	s_branch .LBB118_1236
.LBB118_1168:
	s_mov_b32 s42, -1
	s_mov_b32 s41, 0
	s_mov_b32 s74, s65
                                        ; implicit-def: $vgpr6
	s_branch .LBB118_1202
.LBB118_1169:
	s_mov_b32 s42, -1
	s_mov_b32 s41, 0
	s_mov_b32 s74, s65
                                        ; implicit-def: $vgpr6
	s_branch .LBB118_1185
.LBB118_1170:
	s_mov_b32 s42, -1
	s_mov_b32 s41, 0
	s_mov_b32 s74, s65
                                        ; implicit-def: $vgpr6
	s_branch .LBB118_1180
.LBB118_1171:
	s_mov_b32 s42, -1
	s_mov_b32 s41, 0
	s_mov_b32 s74, s65
	s_branch .LBB118_1174
.LBB118_1172:
	s_mov_b32 s45, -1
	s_mov_b32 s41, 0
	s_mov_b32 s44, 0
	s_branch .LBB118_1839
.LBB118_1173:
	s_mov_b32 s74, -1
	s_mov_b32 s41, 0
.LBB118_1174:
                                        ; implicit-def: $vgpr6
.LBB118_1175:
	s_and_b32 vcc_lo, exec_lo, s42
	s_cbranch_vccz .LBB118_1179
; %bb.1176:
	s_cmp_eq_u32 s1, 44
	s_cbranch_scc0 .LBB118_1178
; %bb.1177:
	global_load_u8 v1, v[4:5], off
	s_mov_b32 s74, 0
	s_mov_b32 s41, -1
	s_wait_loadcnt 0x0
	v_lshlrev_b32_e32 v3, 23, v1
	v_cmp_ne_u32_e32 vcc_lo, 0, v1
	s_delay_alu instid0(VALU_DEP_2) | instskip(NEXT) | instid1(VALU_DEP_1)
	v_cvt_i32_f32_e32 v3, v3
	v_cndmask_b32_e32 v6, 0, v3, vcc_lo
	s_branch .LBB118_1179
.LBB118_1178:
	s_mov_b32 s74, -1
                                        ; implicit-def: $vgpr6
.LBB118_1179:
	s_mov_b32 s42, 0
.LBB118_1180:
	s_delay_alu instid0(SALU_CYCLE_1)
	s_and_b32 vcc_lo, exec_lo, s42
	s_cbranch_vccz .LBB118_1184
; %bb.1181:
	s_cmp_eq_u32 s1, 29
	s_cbranch_scc0 .LBB118_1183
; %bb.1182:
	global_load_b32 v6, v[4:5], off
	s_mov_b32 s41, -1
	s_mov_b32 s74, 0
	s_branch .LBB118_1184
.LBB118_1183:
	s_mov_b32 s74, -1
                                        ; implicit-def: $vgpr6
.LBB118_1184:
	s_mov_b32 s42, 0
.LBB118_1185:
	s_delay_alu instid0(SALU_CYCLE_1)
	s_and_b32 vcc_lo, exec_lo, s42
	s_cbranch_vccz .LBB118_1201
; %bb.1186:
	s_cmp_lt_i32 s1, 27
	s_cbranch_scc1 .LBB118_1189
; %bb.1187:
	s_cmp_gt_i32 s1, 27
	s_cbranch_scc0 .LBB118_1190
; %bb.1188:
	s_wait_loadcnt 0x0
	global_load_b32 v6, v[4:5], off
	s_mov_b32 s41, 0
	s_branch .LBB118_1191
.LBB118_1189:
	s_mov_b32 s41, -1
                                        ; implicit-def: $vgpr6
	s_branch .LBB118_1194
.LBB118_1190:
	s_mov_b32 s41, -1
                                        ; implicit-def: $vgpr6
.LBB118_1191:
	s_delay_alu instid0(SALU_CYCLE_1)
	s_and_not1_b32 vcc_lo, exec_lo, s41
	s_cbranch_vccnz .LBB118_1193
; %bb.1192:
	s_wait_loadcnt 0x0
	global_load_u16 v6, v[4:5], off
.LBB118_1193:
	s_mov_b32 s41, 0
.LBB118_1194:
	s_delay_alu instid0(SALU_CYCLE_1)
	s_and_not1_b32 vcc_lo, exec_lo, s41
	s_cbranch_vccnz .LBB118_1200
; %bb.1195:
	global_load_u8 v1, v[4:5], off
	s_mov_b32 s42, 0
	s_mov_b32 s41, exec_lo
	s_wait_loadcnt 0x0
	v_cmpx_lt_i16_e32 0x7f, v1
	s_xor_b32 s41, exec_lo, s41
	s_cbranch_execz .LBB118_1212
; %bb.1196:
	v_cmp_ne_u16_e32 vcc_lo, 0x80, v1
	s_and_b32 s42, vcc_lo, exec_lo
	s_and_not1_saveexec_b32 s41, s41
	s_cbranch_execnz .LBB118_1213
.LBB118_1197:
	s_or_b32 exec_lo, exec_lo, s41
	v_mov_b32_e32 v6, 0
	s_and_saveexec_b32 s41, s42
	s_cbranch_execz .LBB118_1199
.LBB118_1198:
	v_and_b32_e32 v3, 0xffff, v1
	s_delay_alu instid0(VALU_DEP_1) | instskip(SKIP_1) | instid1(VALU_DEP_2)
	v_and_b32_e32 v6, 7, v3
	v_bfe_u32 v11, v3, 3, 4
	v_clz_i32_u32_e32 v9, v6
	s_delay_alu instid0(VALU_DEP_2) | instskip(NEXT) | instid1(VALU_DEP_2)
	v_cmp_eq_u32_e32 vcc_lo, 0, v11
	v_min_u32_e32 v9, 32, v9
	s_delay_alu instid0(VALU_DEP_1) | instskip(NEXT) | instid1(VALU_DEP_1)
	v_subrev_nc_u32_e32 v10, 28, v9
	v_dual_lshlrev_b32 v3, v10, v3 :: v_dual_sub_nc_u32 v9, 29, v9
	s_delay_alu instid0(VALU_DEP_1) | instskip(NEXT) | instid1(VALU_DEP_1)
	v_dual_lshlrev_b32 v1, 24, v1 :: v_dual_bitop2_b32 v3, 7, v3 bitop3:0x40
	v_dual_cndmask_b32 v3, v6, v3, vcc_lo :: v_dual_cndmask_b32 v9, v11, v9, vcc_lo
	s_delay_alu instid0(VALU_DEP_2) | instskip(NEXT) | instid1(VALU_DEP_2)
	v_and_b32_e32 v1, 0x80000000, v1
	v_lshlrev_b32_e32 v3, 20, v3
	s_delay_alu instid0(VALU_DEP_3) | instskip(NEXT) | instid1(VALU_DEP_1)
	v_lshl_add_u32 v6, v9, 23, 0x3b800000
	v_or3_b32 v1, v1, v6, v3
	s_delay_alu instid0(VALU_DEP_1)
	v_cvt_i32_f32_e32 v6, v1
.LBB118_1199:
	s_or_b32 exec_lo, exec_lo, s41
.LBB118_1200:
	s_mov_b32 s41, -1
.LBB118_1201:
	s_mov_b32 s42, 0
.LBB118_1202:
	s_delay_alu instid0(SALU_CYCLE_1)
	s_and_b32 vcc_lo, exec_lo, s42
	s_cbranch_vccz .LBB118_1235
; %bb.1203:
	s_cmp_gt_i32 s1, 22
	s_cbranch_scc0 .LBB118_1211
; %bb.1204:
	s_cmp_lt_i32 s1, 24
	s_cbranch_scc1 .LBB118_1214
; %bb.1205:
	s_cmp_gt_i32 s1, 24
	s_cbranch_scc0 .LBB118_1215
; %bb.1206:
	global_load_u8 v1, v[4:5], off
	s_mov_b32 s42, 0
	s_mov_b32 s41, exec_lo
	s_wait_loadcnt 0x0
	v_cmpx_lt_i16_e32 0x7f, v1
	s_xor_b32 s41, exec_lo, s41
	s_cbranch_execz .LBB118_1227
; %bb.1207:
	v_cmp_ne_u16_e32 vcc_lo, 0x80, v1
	s_and_b32 s42, vcc_lo, exec_lo
	s_and_not1_saveexec_b32 s41, s41
	s_cbranch_execnz .LBB118_1228
.LBB118_1208:
	s_or_b32 exec_lo, exec_lo, s41
	v_mov_b32_e32 v6, 0
	s_and_saveexec_b32 s41, s42
	s_cbranch_execz .LBB118_1210
.LBB118_1209:
	v_and_b32_e32 v3, 0xffff, v1
	s_delay_alu instid0(VALU_DEP_1) | instskip(SKIP_1) | instid1(VALU_DEP_2)
	v_and_b32_e32 v6, 3, v3
	v_bfe_u32 v11, v3, 2, 5
	v_clz_i32_u32_e32 v9, v6
	s_delay_alu instid0(VALU_DEP_2) | instskip(NEXT) | instid1(VALU_DEP_2)
	v_cmp_eq_u32_e32 vcc_lo, 0, v11
	v_min_u32_e32 v9, 32, v9
	s_delay_alu instid0(VALU_DEP_1) | instskip(NEXT) | instid1(VALU_DEP_1)
	v_subrev_nc_u32_e32 v10, 29, v9
	v_dual_lshlrev_b32 v3, v10, v3 :: v_dual_sub_nc_u32 v9, 30, v9
	s_delay_alu instid0(VALU_DEP_1) | instskip(NEXT) | instid1(VALU_DEP_1)
	v_dual_lshlrev_b32 v1, 24, v1 :: v_dual_bitop2_b32 v3, 3, v3 bitop3:0x40
	v_dual_cndmask_b32 v3, v6, v3, vcc_lo :: v_dual_cndmask_b32 v9, v11, v9, vcc_lo
	s_delay_alu instid0(VALU_DEP_2) | instskip(NEXT) | instid1(VALU_DEP_2)
	v_and_b32_e32 v1, 0x80000000, v1
	v_lshlrev_b32_e32 v3, 21, v3
	s_delay_alu instid0(VALU_DEP_3) | instskip(NEXT) | instid1(VALU_DEP_1)
	v_lshl_add_u32 v6, v9, 23, 0x37800000
	v_or3_b32 v1, v1, v6, v3
	s_delay_alu instid0(VALU_DEP_1)
	v_cvt_i32_f32_e32 v6, v1
.LBB118_1210:
	s_or_b32 exec_lo, exec_lo, s41
	s_mov_b32 s41, 0
	s_branch .LBB118_1216
.LBB118_1211:
	s_mov_b32 s42, -1
                                        ; implicit-def: $vgpr6
	s_branch .LBB118_1222
.LBB118_1212:
	s_and_not1_saveexec_b32 s41, s41
	s_cbranch_execz .LBB118_1197
.LBB118_1213:
	v_cmp_ne_u16_e32 vcc_lo, 0, v1
	s_and_not1_b32 s42, s42, exec_lo
	s_and_b32 s43, vcc_lo, exec_lo
	s_delay_alu instid0(SALU_CYCLE_1)
	s_or_b32 s42, s42, s43
	s_or_b32 exec_lo, exec_lo, s41
	v_mov_b32_e32 v6, 0
	s_and_saveexec_b32 s41, s42
	s_cbranch_execnz .LBB118_1198
	s_branch .LBB118_1199
.LBB118_1214:
	s_mov_b32 s41, -1
                                        ; implicit-def: $vgpr6
	s_branch .LBB118_1219
.LBB118_1215:
	s_mov_b32 s41, -1
                                        ; implicit-def: $vgpr6
.LBB118_1216:
	s_delay_alu instid0(SALU_CYCLE_1)
	s_and_b32 vcc_lo, exec_lo, s41
	s_cbranch_vccz .LBB118_1218
; %bb.1217:
	global_load_u8 v1, v[4:5], off
	s_wait_loadcnt 0x0
	v_lshlrev_b32_e32 v1, 24, v1
	s_delay_alu instid0(VALU_DEP_1) | instskip(NEXT) | instid1(VALU_DEP_1)
	v_and_b32_e32 v3, 0x7f000000, v1
	v_clz_i32_u32_e32 v6, v3
	v_cmp_ne_u32_e32 vcc_lo, 0, v3
	v_add_nc_u32_e32 v10, 0x1000000, v3
	s_delay_alu instid0(VALU_DEP_3) | instskip(NEXT) | instid1(VALU_DEP_1)
	v_min_u32_e32 v6, 32, v6
	v_sub_nc_u32_e64 v6, v6, 4 clamp
	s_delay_alu instid0(VALU_DEP_1) | instskip(NEXT) | instid1(VALU_DEP_1)
	v_dual_lshlrev_b32 v9, v6, v3 :: v_dual_lshlrev_b32 v6, 23, v6
	v_lshrrev_b32_e32 v9, 4, v9
	s_delay_alu instid0(VALU_DEP_1) | instskip(SKIP_1) | instid1(VALU_DEP_2)
	v_sub_nc_u32_e32 v6, v9, v6
	v_ashrrev_i32_e32 v9, 8, v10
	v_add_nc_u32_e32 v6, 0x3c000000, v6
	s_delay_alu instid0(VALU_DEP_1) | instskip(NEXT) | instid1(VALU_DEP_1)
	v_and_or_b32 v6, 0x7f800000, v9, v6
	v_cndmask_b32_e32 v3, 0, v6, vcc_lo
	s_delay_alu instid0(VALU_DEP_1) | instskip(NEXT) | instid1(VALU_DEP_1)
	v_and_or_b32 v1, 0x80000000, v1, v3
	v_cvt_i32_f32_e32 v6, v1
.LBB118_1218:
	s_mov_b32 s41, 0
.LBB118_1219:
	s_delay_alu instid0(SALU_CYCLE_1)
	s_and_not1_b32 vcc_lo, exec_lo, s41
	s_cbranch_vccnz .LBB118_1221
; %bb.1220:
	global_load_u8 v1, v[4:5], off
	s_wait_loadcnt 0x0
	v_lshlrev_b32_e32 v3, 25, v1
	v_lshlrev_b16 v1, 8, v1
	s_delay_alu instid0(VALU_DEP_1) | instskip(NEXT) | instid1(VALU_DEP_3)
	v_and_or_b32 v9, 0x7f00, v1, 0.5
	v_lshrrev_b32_e32 v6, 4, v3
	v_bfe_i32 v1, v1, 0, 16
	s_delay_alu instid0(VALU_DEP_3) | instskip(NEXT) | instid1(VALU_DEP_3)
	v_add_f32_e32 v9, -0.5, v9
	v_or_b32_e32 v6, 0x70000000, v6
	s_delay_alu instid0(VALU_DEP_1) | instskip(SKIP_1) | instid1(VALU_DEP_2)
	v_mul_f32_e32 v6, 0x7800000, v6
	v_cmp_gt_u32_e32 vcc_lo, 0x8000000, v3
	v_cndmask_b32_e32 v3, v6, v9, vcc_lo
	s_delay_alu instid0(VALU_DEP_1) | instskip(NEXT) | instid1(VALU_DEP_1)
	v_and_or_b32 v1, 0x80000000, v1, v3
	v_cvt_i32_f32_e32 v6, v1
.LBB118_1221:
	s_mov_b32 s42, 0
	s_mov_b32 s41, -1
.LBB118_1222:
	s_and_not1_b32 vcc_lo, exec_lo, s42
	s_cbranch_vccnz .LBB118_1235
; %bb.1223:
	s_cmp_gt_i32 s1, 14
	s_cbranch_scc0 .LBB118_1226
; %bb.1224:
	s_cmp_eq_u32 s1, 15
	s_cbranch_scc0 .LBB118_1229
; %bb.1225:
	global_load_u16 v1, v[4:5], off
	s_mov_b32 s41, -1
	s_mov_b32 s74, 0
	s_wait_loadcnt 0x0
	v_lshlrev_b32_e32 v1, 16, v1
	s_delay_alu instid0(VALU_DEP_1)
	v_cvt_i32_f32_e32 v6, v1
	s_branch .LBB118_1230
.LBB118_1226:
	s_mov_b32 s42, -1
                                        ; implicit-def: $vgpr6
	s_branch .LBB118_1231
.LBB118_1227:
	s_and_not1_saveexec_b32 s41, s41
	s_cbranch_execz .LBB118_1208
.LBB118_1228:
	v_cmp_ne_u16_e32 vcc_lo, 0, v1
	s_and_not1_b32 s42, s42, exec_lo
	s_and_b32 s43, vcc_lo, exec_lo
	s_delay_alu instid0(SALU_CYCLE_1)
	s_or_b32 s42, s42, s43
	s_or_b32 exec_lo, exec_lo, s41
	v_mov_b32_e32 v6, 0
	s_and_saveexec_b32 s41, s42
	s_cbranch_execnz .LBB118_1209
	s_branch .LBB118_1210
.LBB118_1229:
	s_mov_b32 s74, -1
                                        ; implicit-def: $vgpr6
.LBB118_1230:
	s_mov_b32 s42, 0
.LBB118_1231:
	s_delay_alu instid0(SALU_CYCLE_1)
	s_and_b32 vcc_lo, exec_lo, s42
	s_cbranch_vccz .LBB118_1235
; %bb.1232:
	s_cmp_eq_u32 s1, 11
	s_cbranch_scc0 .LBB118_1234
; %bb.1233:
	global_load_u8 v1, v[4:5], off
	s_mov_b32 s74, 0
	s_mov_b32 s41, -1
	s_wait_loadcnt 0x0
	v_cmp_ne_u16_e32 vcc_lo, 0, v1
	v_cndmask_b32_e64 v6, 0, 1, vcc_lo
	s_branch .LBB118_1235
.LBB118_1234:
	s_mov_b32 s74, -1
                                        ; implicit-def: $vgpr6
.LBB118_1235:
	s_mov_b32 s1, 0
.LBB118_1236:
	s_delay_alu instid0(SALU_CYCLE_1)
	s_and_b32 vcc_lo, exec_lo, s1
	s_cbranch_vccz .LBB118_1285
; %bb.1237:
	s_and_b32 s0, 0xffff, s0
	s_delay_alu instid0(SALU_CYCLE_1)
	s_cmp_lt_i32 s0, 5
	s_cbranch_scc1 .LBB118_1242
; %bb.1238:
	s_cmp_lt_i32 s0, 8
	s_cbranch_scc1 .LBB118_1243
; %bb.1239:
	;; [unrolled: 3-line block ×3, first 2 shown]
	s_cmp_gt_i32 s0, 9
	s_cbranch_scc0 .LBB118_1245
; %bb.1241:
	global_load_b64 v[10:11], v[4:5], off
	s_mov_b32 s1, 0
	s_wait_loadcnt 0x0
	v_cvt_i32_f64_e32 v6, v[10:11]
	s_branch .LBB118_1246
.LBB118_1242:
	s_mov_b32 s1, -1
                                        ; implicit-def: $vgpr6
	s_branch .LBB118_1264
.LBB118_1243:
	s_mov_b32 s1, -1
                                        ; implicit-def: $vgpr6
	s_branch .LBB118_1252
.LBB118_1244:
	s_mov_b32 s1, -1
                                        ; implicit-def: $vgpr6
	s_branch .LBB118_1249
.LBB118_1245:
	s_mov_b32 s1, -1
                                        ; implicit-def: $vgpr6
.LBB118_1246:
	s_delay_alu instid0(SALU_CYCLE_1)
	s_and_not1_b32 vcc_lo, exec_lo, s1
	s_cbranch_vccnz .LBB118_1248
; %bb.1247:
	global_load_b32 v1, v[4:5], off
	s_wait_loadcnt 0x0
	v_cvt_i32_f32_e32 v6, v1
.LBB118_1248:
	s_mov_b32 s1, 0
.LBB118_1249:
	s_delay_alu instid0(SALU_CYCLE_1)
	s_and_not1_b32 vcc_lo, exec_lo, s1
	s_cbranch_vccnz .LBB118_1251
; %bb.1250:
	global_load_b32 v1, v[4:5], off
	s_wait_loadcnt 0x0
	v_cvt_f32_f16_e32 v1, v1
	s_delay_alu instid0(VALU_DEP_1)
	v_cvt_i32_f32_e32 v6, v1
.LBB118_1251:
	s_mov_b32 s1, 0
.LBB118_1252:
	s_delay_alu instid0(SALU_CYCLE_1)
	s_and_not1_b32 vcc_lo, exec_lo, s1
	s_cbranch_vccnz .LBB118_1263
; %bb.1253:
	s_cmp_lt_i32 s0, 6
	s_cbranch_scc1 .LBB118_1256
; %bb.1254:
	s_cmp_gt_i32 s0, 6
	s_cbranch_scc0 .LBB118_1257
; %bb.1255:
	global_load_b64 v[10:11], v[4:5], off
	s_mov_b32 s1, 0
	s_wait_loadcnt 0x0
	v_cvt_i32_f64_e32 v6, v[10:11]
	s_branch .LBB118_1258
.LBB118_1256:
	s_mov_b32 s1, -1
                                        ; implicit-def: $vgpr6
	s_branch .LBB118_1261
.LBB118_1257:
	s_mov_b32 s1, -1
                                        ; implicit-def: $vgpr6
.LBB118_1258:
	s_delay_alu instid0(SALU_CYCLE_1)
	s_and_not1_b32 vcc_lo, exec_lo, s1
	s_cbranch_vccnz .LBB118_1260
; %bb.1259:
	global_load_b32 v1, v[4:5], off
	s_wait_loadcnt 0x0
	v_cvt_i32_f32_e32 v6, v1
.LBB118_1260:
	s_mov_b32 s1, 0
.LBB118_1261:
	s_delay_alu instid0(SALU_CYCLE_1)
	s_and_not1_b32 vcc_lo, exec_lo, s1
	s_cbranch_vccnz .LBB118_1263
; %bb.1262:
	global_load_u16 v1, v[4:5], off
	s_wait_loadcnt 0x0
	v_cvt_f32_f16_e32 v1, v1
	s_delay_alu instid0(VALU_DEP_1)
	v_cvt_i32_f32_e32 v6, v1
.LBB118_1263:
	s_mov_b32 s1, 0
.LBB118_1264:
	s_delay_alu instid0(SALU_CYCLE_1)
	s_and_not1_b32 vcc_lo, exec_lo, s1
	s_cbranch_vccnz .LBB118_1284
; %bb.1265:
	s_cmp_lt_i32 s0, 2
	s_cbranch_scc1 .LBB118_1269
; %bb.1266:
	s_cmp_lt_i32 s0, 3
	s_cbranch_scc1 .LBB118_1270
; %bb.1267:
	s_cmp_gt_i32 s0, 3
	s_cbranch_scc0 .LBB118_1271
; %bb.1268:
	s_wait_loadcnt 0x0
	global_load_b32 v6, v[4:5], off
	s_mov_b32 s1, 0
	s_branch .LBB118_1272
.LBB118_1269:
	s_mov_b32 s1, -1
                                        ; implicit-def: $vgpr6
	s_branch .LBB118_1278
.LBB118_1270:
	s_mov_b32 s1, -1
                                        ; implicit-def: $vgpr6
	s_branch .LBB118_1275
.LBB118_1271:
	s_mov_b32 s1, -1
                                        ; implicit-def: $vgpr6
.LBB118_1272:
	s_delay_alu instid0(SALU_CYCLE_1)
	s_and_not1_b32 vcc_lo, exec_lo, s1
	s_cbranch_vccnz .LBB118_1274
; %bb.1273:
	s_wait_loadcnt 0x0
	global_load_b32 v6, v[4:5], off
.LBB118_1274:
	s_mov_b32 s1, 0
.LBB118_1275:
	s_delay_alu instid0(SALU_CYCLE_1)
	s_and_not1_b32 vcc_lo, exec_lo, s1
	s_cbranch_vccnz .LBB118_1277
; %bb.1276:
	s_wait_loadcnt 0x0
	global_load_i16 v6, v[4:5], off
.LBB118_1277:
	s_mov_b32 s1, 0
.LBB118_1278:
	s_delay_alu instid0(SALU_CYCLE_1)
	s_and_not1_b32 vcc_lo, exec_lo, s1
	s_cbranch_vccnz .LBB118_1284
; %bb.1279:
	s_cmp_gt_i32 s0, 0
	s_mov_b32 s0, 0
	s_cbranch_scc0 .LBB118_1281
; %bb.1280:
	s_wait_loadcnt 0x0
	global_load_i8 v6, v[4:5], off
	s_branch .LBB118_1282
.LBB118_1281:
	s_mov_b32 s0, -1
                                        ; implicit-def: $vgpr6
.LBB118_1282:
	s_delay_alu instid0(SALU_CYCLE_1)
	s_and_not1_b32 vcc_lo, exec_lo, s0
	s_cbranch_vccnz .LBB118_1284
; %bb.1283:
	s_wait_loadcnt 0x0
	global_load_u8 v6, v[4:5], off
.LBB118_1284:
	s_mov_b32 s41, -1
.LBB118_1285:
	s_delay_alu instid0(SALU_CYCLE_1)
	s_and_not1_b32 vcc_lo, exec_lo, s41
	s_cbranch_vccnz .LBB118_1296
; %bb.1286:
	s_wait_loadcnt 0x0
	v_cmp_eq_u32_e32 vcc_lo, s38, v7
	s_mov_b32 s0, 0
	s_mov_b32 s43, -1
	s_mov_b32 s44, s63
	s_mov_b32 s42, s62
	s_and_b32 s45, s58, vcc_lo
	s_mov_b32 s41, s61
	s_mov_b32 s1, s59
	s_wait_xcnt 0x0
	s_and_saveexec_b32 s76, s45
	s_cbranch_execz .LBB118_4066
; %bb.1287:
	v_cmp_eq_u32_e32 vcc_lo, s22, v8
	s_mov_b32 s42, -1
	s_mov_b32 s43, s62
	s_mov_b32 s41, s61
	;; [unrolled: 1-line block ×3, first 2 shown]
	s_and_b32 s1, s57, vcc_lo
	s_delay_alu instid0(SALU_CYCLE_1)
	s_and_saveexec_b32 s77, s1
	s_cbranch_execz .LBB118_3592
; %bb.1288:
	v_sub_nc_u32_e32 v1, v2, v0
	s_mov_b32 s1, 0
	s_mov_b32 s41, -1
	s_mov_b32 s43, s59
	s_delay_alu instid0(VALU_DEP_1) | instskip(SKIP_4) | instid1(SALU_CYCLE_1)
	v_cmp_le_i32_e32 vcc_lo, s38, v1
	v_cmp_ge_i32_e64 s0, s20, v1
	s_and_b32 s42, vcc_lo, s0
	s_mov_b32 s0, s61
	s_and_b32 s42, s56, s42
	s_and_saveexec_b32 s78, s42
	s_cbranch_execz .LBB118_3591
; %bb.1289:
	v_mov_b64_e32 v[4:5], 0
	s_and_not1_b32 vcc_lo, exec_lo, s55
	s_cbranch_vccnz .LBB118_1312
; %bb.1290:
	v_ashrrev_i32_e32 v7, 31, v6
	v_mov_b64_e32 v[4:5], 0
	s_mov_b32 s41, s1
	s_mov_b64 s[42:43], 0xffffffff
	s_lshl_b64 s[46:47], s[40:41], 3
	v_mul_u64_e32 v[8:9], s[22:23], v[6:7]
	v_mov_b32_e32 v6, 0
	s_add_nc_u64 s[44:45], s[26:27], s[46:47]
	s_add_nc_u64 s[46:47], s[28:29], s[46:47]
	s_mov_b32 s41, s24
	s_branch .LBB118_1292
.LBB118_1291:                           ;   in Loop: Header=BB118_1292 Depth=1
	s_or_b32 exec_lo, exec_lo, s0
	global_load_b64 v[12:13], v6, s[46:47]
	v_mul_u64_e32 v[14:15], s[48:49], v[10:11]
	s_add_co_i32 s41, s41, -1
	s_add_nc_u64 s[44:45], s[44:45], -8
	s_cmp_lg_u32 s41, 0
	s_wait_xcnt 0x0
	s_add_nc_u64 s[46:47], s[46:47], -8
	s_delay_alu instid0(VALU_DEP_1) | instskip(SKIP_1) | instid1(VALU_DEP_1)
	v_sub_nc_u64_e32 v[8:9], v[8:9], v[14:15]
	s_wait_loadcnt 0x0
	v_mad_nc_u64_u32 v[4:5], v8, v12, v[4:5]
	s_delay_alu instid0(VALU_DEP_1) | instskip(NEXT) | instid1(VALU_DEP_1)
	v_mad_u32 v1, v9, v12, v5
	v_mad_u32 v5, v8, v13, v1
	v_mov_b64_e32 v[8:9], v[10:11]
	s_cbranch_scc0 .LBB118_1312
.LBB118_1292:                           ; =>This Inner Loop Header: Depth=1
	global_load_b64 v[10:11], v6, s[44:45]
	s_mov_b32 s0, exec_lo
	s_wait_loadcnt 0x0
	v_or_b32_e32 v7, v9, v11
	v_readfirstlane_b32 s48, v10
	v_readfirstlane_b32 s49, v11
                                        ; implicit-def: $vgpr10_vgpr11
	s_wait_xcnt 0x0
	s_delay_alu instid0(VALU_DEP_3)
	v_cmpx_ne_u64_e32 0, v[6:7]
	s_xor_b32 s79, exec_lo, s0
	s_cbranch_execz .LBB118_1294
; %bb.1293:                             ;   in Loop: Header=BB118_1292 Depth=1
	s_ashr_i32 s50, s49, 31
	v_dual_mov_b32 v15, v6 :: v_dual_ashrrev_i32 v10, 31, v9
	s_mov_b32 s51, s50
	v_mov_b32_e32 v25, v6
	s_add_nc_u64 s[52:53], s[48:49], s[50:51]
	s_delay_alu instid0(VALU_DEP_2) | instskip(SKIP_1) | instid1(SALU_CYCLE_1)
	v_mov_b32_e32 v11, v10
	s_xor_b64 s[52:53], s[52:53], s[50:51]
	s_cvt_f32_u32 s0, s52
	s_cvt_f32_u32 s51, s53
	s_sub_nc_u64 s[84:85], 0, s[52:53]
	v_add_nc_u64_e32 v[12:13], v[8:9], v[10:11]
	v_mov_b32_e32 v19, v6
	s_fmamk_f32 s0, s51, 0x4f800000, s0
	s_delay_alu instid0(SALU_CYCLE_3) | instskip(NEXT) | instid1(VALU_DEP_2)
	v_s_rcp_f32 s0, s0
	v_xor_b32_e32 v14, v12, v10
	s_delay_alu instid0(VALU_DEP_3) | instskip(NEXT) | instid1(TRANS32_DEP_1)
	v_xor_b32_e32 v18, v13, v10
	s_mul_f32 s0, s0, 0x5f7ffffc
	s_delay_alu instid0(SALU_CYCLE_3) | instskip(NEXT) | instid1(SALU_CYCLE_3)
	s_mul_f32 s51, s0, 0x2f800000
	s_trunc_f32 s51, s51
	s_delay_alu instid0(SALU_CYCLE_3) | instskip(SKIP_1) | instid1(SALU_CYCLE_2)
	s_fmamk_f32 s0, s51, 0xcf800000, s0
	s_cvt_u32_f32 s83, s51
	s_cvt_u32_f32 s82, s0
	s_delay_alu instid0(SALU_CYCLE_3) | instskip(NEXT) | instid1(SALU_CYCLE_1)
	s_mul_u64 s[86:87], s[84:85], s[82:83]
	s_mul_hi_u32 s89, s82, s87
	s_mul_i32 s88, s82, s87
	s_mul_hi_u32 s0, s82, s86
	s_mul_i32 s80, s83, s86
	s_add_nc_u64 s[88:89], s[0:1], s[88:89]
	s_mul_hi_u32 s51, s83, s86
	s_mul_hi_u32 s90, s83, s87
	s_add_co_u32 s0, s88, s80
	s_add_co_ci_u32 s0, s89, s51
	s_mul_i32 s86, s83, s87
	s_add_co_ci_u32 s87, s90, 0
	s_delay_alu instid0(SALU_CYCLE_1) | instskip(NEXT) | instid1(SALU_CYCLE_1)
	s_add_nc_u64 s[86:87], s[0:1], s[86:87]
	s_add_co_u32 s82, s82, s86
	s_cselect_b32 s0, -1, 0
	s_delay_alu instid0(SALU_CYCLE_1) | instskip(SKIP_1) | instid1(SALU_CYCLE_1)
	s_cmp_lg_u32 s0, 0
	s_add_co_ci_u32 s83, s83, s87
	s_mul_u64 s[84:85], s[84:85], s[82:83]
	s_delay_alu instid0(SALU_CYCLE_1)
	s_mul_hi_u32 s87, s82, s85
	s_mul_i32 s86, s82, s85
	s_mul_hi_u32 s0, s82, s84
	s_mul_i32 s80, s83, s84
	s_add_nc_u64 s[86:87], s[0:1], s[86:87]
	s_mul_hi_u32 s51, s83, s84
	s_mul_hi_u32 s88, s83, s85
	s_add_co_u32 s0, s86, s80
	s_add_co_ci_u32 s0, s87, s51
	s_mul_i32 s84, s83, s85
	s_add_co_ci_u32 s85, s88, 0
	s_delay_alu instid0(SALU_CYCLE_1) | instskip(NEXT) | instid1(SALU_CYCLE_1)
	s_add_nc_u64 s[84:85], s[0:1], s[84:85]
	s_add_co_u32 s80, s82, s84
	s_cselect_b32 s0, -1, 0
	v_mul_hi_u32 v24, v14, s80
	s_cmp_lg_u32 s0, 0
	s_add_co_ci_u32 s0, s83, s85
	s_and_b64 s[82:83], s[80:81], s[42:43]
	v_mul_u64_e32 v[16:17], s[0:1], v[14:15]
	v_mul_u64_e32 v[12:13], s[82:83], v[18:19]
	;; [unrolled: 1-line block ×3, first 2 shown]
	s_delay_alu instid0(VALU_DEP_3) | instskip(NEXT) | instid1(VALU_DEP_1)
	v_add_nc_u64_e32 v[16:17], v[24:25], v[16:17]
	v_add_co_u32 v1, vcc_lo, v16, v12
	s_delay_alu instid0(VALU_DEP_2) | instskip(NEXT) | instid1(VALU_DEP_4)
	v_add_co_ci_u32_e32 v24, vcc_lo, v17, v13, vcc_lo
	v_add_co_ci_u32_e32 v21, vcc_lo, 0, v21, vcc_lo
	s_delay_alu instid0(VALU_DEP_1) | instskip(NEXT) | instid1(VALU_DEP_1)
	v_add_nc_u64_e32 v[12:13], v[24:25], v[20:21]
	v_mul_u64_e32 v[16:17], s[52:53], v[12:13]
	s_delay_alu instid0(VALU_DEP_1) | instskip(NEXT) | instid1(VALU_DEP_2)
	v_sub_nc_u32_e32 v1, v18, v17
	v_sub_co_u32 v3, vcc_lo, v14, v16
	s_delay_alu instid0(VALU_DEP_1) | instskip(NEXT) | instid1(VALU_DEP_3)
	v_sub_co_ci_u32_e64 v11, null, v18, v17, vcc_lo
	v_subrev_co_ci_u32_e64 v1, null, s53, v1, vcc_lo
	s_delay_alu instid0(VALU_DEP_3) | instskip(SKIP_1) | instid1(VALU_DEP_3)
	v_sub_co_u32 v7, s0, v3, s52
	v_add_nc_u64_e32 v[16:17], 1, v[12:13]
	v_subrev_co_ci_u32_e64 v1, null, 0, v1, s0
	s_delay_alu instid0(VALU_DEP_3) | instskip(SKIP_1) | instid1(VALU_DEP_3)
	v_cmp_le_u32_e32 vcc_lo, s52, v7
	v_cndmask_b32_e64 v7, 0, -1, vcc_lo
	v_cmp_le_u32_e32 vcc_lo, s53, v1
	v_cndmask_b32_e64 v14, 0, -1, vcc_lo
	v_cmp_le_u32_e32 vcc_lo, s52, v3
	v_cndmask_b32_e64 v3, 0, -1, vcc_lo
	v_cmp_le_u32_e32 vcc_lo, s53, v11
	v_cndmask_b32_e64 v18, 0, -1, vcc_lo
	v_cmp_eq_u32_e32 vcc_lo, s53, v1
	v_cndmask_b32_e32 v1, v14, v7, vcc_lo
	v_cmp_eq_u32_e32 vcc_lo, s53, v11
	v_add_nc_u64_e32 v[14:15], 2, v[12:13]
	v_cndmask_b32_e32 v3, v18, v3, vcc_lo
	s_delay_alu instid0(VALU_DEP_4) | instskip(NEXT) | instid1(VALU_DEP_2)
	v_cmp_ne_u32_e32 vcc_lo, 0, v1
	v_cmp_ne_u32_e64 s0, 0, v3
	s_delay_alu instid0(VALU_DEP_4) | instskip(NEXT) | instid1(VALU_DEP_1)
	v_dual_cndmask_b32 v1, v17, v15, vcc_lo :: v_dual_cndmask_b32 v3, v16, v14, vcc_lo
	v_dual_cndmask_b32 v1, v13, v1, s0 :: v_dual_bitop2_b32 v10, s50, v10 bitop3:0x14
	s_delay_alu instid0(VALU_DEP_1) | instskip(NEXT) | instid1(VALU_DEP_2)
	v_dual_cndmask_b32 v3, v12, v3, s0 :: v_dual_mov_b32 v11, v10
	v_xor_b32_e32 v13, v1, v10
	s_delay_alu instid0(VALU_DEP_2) | instskip(NEXT) | instid1(VALU_DEP_1)
	v_xor_b32_e32 v12, v3, v10
	v_sub_nc_u64_e32 v[10:11], v[12:13], v[10:11]
.LBB118_1294:                           ;   in Loop: Header=BB118_1292 Depth=1
	s_and_not1_saveexec_b32 s0, s79
	s_cbranch_execz .LBB118_1291
; %bb.1295:                             ;   in Loop: Header=BB118_1292 Depth=1
	v_cvt_f32_u32_e32 v1, s48
	s_sub_co_i32 s50, 0, s48
	v_mov_b32_e32 v11, v6
	s_delay_alu instid0(VALU_DEP_2) | instskip(SKIP_1) | instid1(TRANS32_DEP_1)
	v_rcp_iflag_f32_e32 v1, v1
	v_nop
	v_mul_f32_e32 v1, 0x4f7ffffe, v1
	s_delay_alu instid0(VALU_DEP_1) | instskip(NEXT) | instid1(VALU_DEP_1)
	v_cvt_u32_f32_e32 v1, v1
	v_mul_lo_u32 v3, s50, v1
	s_delay_alu instid0(VALU_DEP_1) | instskip(NEXT) | instid1(VALU_DEP_1)
	v_mul_hi_u32 v3, v1, v3
	v_add_nc_u32_e32 v1, v1, v3
	s_delay_alu instid0(VALU_DEP_1) | instskip(NEXT) | instid1(VALU_DEP_1)
	v_mul_hi_u32 v1, v8, v1
	v_mul_lo_u32 v3, v1, s48
	s_delay_alu instid0(VALU_DEP_1) | instskip(NEXT) | instid1(VALU_DEP_1)
	v_sub_nc_u32_e32 v3, v8, v3
	v_subrev_nc_u32_e32 v10, s48, v3
	v_cmp_le_u32_e32 vcc_lo, s48, v3
	s_delay_alu instid0(VALU_DEP_2) | instskip(NEXT) | instid1(VALU_DEP_1)
	v_dual_add_nc_u32 v7, 1, v1 :: v_dual_cndmask_b32 v3, v3, v10, vcc_lo
	v_cndmask_b32_e32 v1, v1, v7, vcc_lo
	s_delay_alu instid0(VALU_DEP_2) | instskip(NEXT) | instid1(VALU_DEP_2)
	v_cmp_le_u32_e32 vcc_lo, s48, v3
	v_add_nc_u32_e32 v7, 1, v1
	s_delay_alu instid0(VALU_DEP_1)
	v_cndmask_b32_e32 v10, v1, v7, vcc_lo
	s_branch .LBB118_1291
.LBB118_1296:
	s_mov_b32 s0, 0
	s_mov_b32 s1, s59
	;; [unrolled: 1-line block ×6, first 2 shown]
.LBB118_1297:
                                        ; implicit-def: $vgpr22
.LBB118_1298:
	s_and_not1_b32 s45, s59, exec_lo
	s_and_b32 s1, s1, exec_lo
	s_and_not1_b32 s46, s61, exec_lo
	s_and_b32 s41, s41, exec_lo
	s_or_b32 s78, s45, s1
	s_or_b32 s79, s46, s41
	s_and_not1_b32 s1, s62, exec_lo
	s_and_b32 s41, s42, exec_lo
	s_and_not1_b32 s42, s63, exec_lo
	s_and_b32 s44, s44, exec_lo
	s_or_b32 s80, s1, s41
	s_or_b32 s76, s42, s44
	;; [unrolled: 6-line block ×5, first 2 shown]
	s_or_not1_b32 s43, s0, exec_lo
.LBB118_1299:
	s_wait_xcnt 0x0
	s_or_b32 exec_lo, exec_lo, s81
	s_mov_b32 s1, 0
	s_mov_b32 s41, 0
	;; [unrolled: 1-line block ×3, first 2 shown]
                                        ; implicit-def: $sgpr0
                                        ; implicit-def: $vgpr0_vgpr1
                                        ; implicit-def: $vgpr7
	s_and_saveexec_b32 s81, s43
	s_cbranch_execz .LBB118_2139
; %bb.1300:
	s_mov_b32 s83, -1
	s_mov_b32 s1, s71
	s_mov_b32 s43, s73
	;; [unrolled: 1-line block ×10, first 2 shown]
	s_mov_b32 s82, exec_lo
	v_cmpx_gt_i32_e64 s60, v22
	s_cbranch_execz .LBB118_2047
; %bb.1301:
	s_wait_loadcnt 0x0
	v_mul_lo_u32 v0, v22, s17
	s_and_b32 s0, s39, 0xff
	s_delay_alu instid0(SALU_CYCLE_1) | instskip(NEXT) | instid1(VALU_DEP_1)
	s_cmp_lt_i32 s0, 11
	v_ashrrev_i32_e32 v1, 31, v0
	s_delay_alu instid0(VALU_DEP_1)
	v_add_nc_u64_e32 v[0:1], s[6:7], v[0:1]
	s_cbranch_scc1 .LBB118_1308
; %bb.1302:
	s_and_b32 s1, 0xffff, s0
	s_delay_alu instid0(SALU_CYCLE_1)
	s_cmp_gt_i32 s1, 25
	s_cbranch_scc0 .LBB118_1309
; %bb.1303:
	s_cmp_gt_i32 s1, 28
	s_cbranch_scc0 .LBB118_1310
; %bb.1304:
	;; [unrolled: 3-line block ×4, first 2 shown]
	s_cmp_eq_u32 s1, 46
	s_mov_b32 s42, 0
	s_cbranch_scc0 .LBB118_1327
; %bb.1307:
	global_load_b32 v2, v[0:1], off
	s_mov_b32 s41, -1
	s_mov_b32 s83, 0
	s_wait_loadcnt 0x0
	v_lshlrev_b32_e32 v2, 16, v2
	s_delay_alu instid0(VALU_DEP_1)
	v_cvt_i32_f32_e32 v7, v2
	s_branch .LBB118_1329
.LBB118_1308:
	s_mov_b32 s1, -1
	s_mov_b32 s41, 0
	s_mov_b32 s83, s71
                                        ; implicit-def: $vgpr7
	s_branch .LBB118_1390
.LBB118_1309:
	s_mov_b32 s42, -1
	s_mov_b32 s41, 0
	s_mov_b32 s83, s71
                                        ; implicit-def: $vgpr7
	s_branch .LBB118_1356
.LBB118_1310:
	s_mov_b32 s42, -1
	s_mov_b32 s41, 0
	s_mov_b32 s83, s71
                                        ; implicit-def: $vgpr7
	s_branch .LBB118_1339
.LBB118_1311:
	s_mov_b32 s42, -1
	s_mov_b32 s41, 0
	s_mov_b32 s83, s71
                                        ; implicit-def: $vgpr7
	s_branch .LBB118_1334
.LBB118_1312:
	s_mov_b32 s43, -1
	s_mov_b32 s0, s61
	s_mov_b32 s1, exec_lo
	v_cmpx_gt_i32_e64 v2, v0
	s_cbranch_execz .LBB118_1319
; %bb.1313:
	s_delay_alu instid0(VALU_DEP_2) | instskip(SKIP_3) | instid1(VALU_DEP_1)
	v_lshlrev_b64_e32 v[4:5], 2, v[4:5]
	v_dual_ashrrev_i32 v1, 31, v0 :: v_dual_ashrrev_i32 v3, 31, v2
	s_mov_b32 s0, 0
	s_xor_b32 s42, s54, -1
                                        ; implicit-def: $sgpr41
                                        ; implicit-def: $sgpr44
                                        ; implicit-def: $sgpr43
	v_lshl_add_u64 v[0:1], v[0:1], 2, v[4:5]
	v_add_nc_u64_e32 v[4:5], s[30:31], v[4:5]
	s_delay_alu instid0(VALU_DEP_2) | instskip(NEXT) | instid1(VALU_DEP_2)
	v_add_nc_u64_e32 v[0:1], s[30:31], v[0:1]
	v_lshl_add_u64 v[2:3], v[2:3], 2, v[4:5]
	s_delay_alu instid0(VALU_DEP_2)
	v_add_nc_u64_e32 v[0:1], 4, v[0:1]
	s_branch .LBB118_1315
.LBB118_1314:                           ;   in Loop: Header=BB118_1315 Depth=1
	s_or_b32 exec_lo, exec_lo, s45
	s_delay_alu instid0(SALU_CYCLE_1) | instskip(NEXT) | instid1(SALU_CYCLE_1)
	s_and_b32 s45, exec_lo, s44
	s_or_b32 s0, s45, s0
	s_and_not1_b32 s41, s41, exec_lo
	s_and_b32 s45, s43, exec_lo
	s_delay_alu instid0(SALU_CYCLE_1)
	s_or_b32 s41, s41, s45
	s_and_not1_b32 exec_lo, exec_lo, s0
	s_cbranch_execz .LBB118_1318
.LBB118_1315:                           ; =>This Inner Loop Header: Depth=1
	s_or_b32 s43, s43, exec_lo
	s_or_b32 s44, s44, exec_lo
	s_mov_b32 s45, exec_lo
	s_delay_alu instid0(VALU_DEP_1)
	v_cmpx_lt_u64_e64 v[0:1], v[2:3]
	s_cbranch_execz .LBB118_1314
; %bb.1316:                             ;   in Loop: Header=BB118_1315 Depth=1
	global_load_b64 v[4:5], v[0:1], off offset:-4
	s_wait_xcnt 0x0
	v_add_nc_u64_e32 v[0:1], 4, v[0:1]
	s_and_not1_b32 s44, s44, exec_lo
	s_and_not1_b32 s43, s43, exec_lo
	s_wait_loadcnt 0x0
	v_cmp_ge_i32_e32 vcc_lo, v4, v5
	s_or_b32 s46, s42, vcc_lo
	s_delay_alu instid0(SALU_CYCLE_1) | instskip(NEXT) | instid1(SALU_CYCLE_1)
	s_and_b32 s46, s46, exec_lo
	s_or_b32 s44, s44, s46
	s_branch .LBB118_1314
.LBB118_1317:
	s_mov_b32 s42, -1
	s_mov_b32 s41, 0
	s_mov_b32 s83, s71
	s_branch .LBB118_1328
.LBB118_1318:
	s_or_b32 exec_lo, exec_lo, s0
	s_delay_alu instid0(SALU_CYCLE_1)
	s_or_b32 s0, s61, exec_lo
	s_or_not1_b32 s43, s41, exec_lo
.LBB118_1319:
	s_or_b32 exec_lo, exec_lo, s1
	s_mov_b32 s42, 0
	s_mov_b32 s41, s59
	s_and_saveexec_b32 s1, s43
	s_cbranch_execz .LBB118_3590
; %bb.1320:
	v_mul_lo_u32 v0, v22, s16
	s_and_b32 s42, s2, 0xff
	s_delay_alu instid0(SALU_CYCLE_1) | instskip(NEXT) | instid1(VALU_DEP_1)
	s_cmp_lt_i32 s42, 11
	v_ashrrev_i32_e32 v1, 31, v0
	s_delay_alu instid0(VALU_DEP_1)
	v_add_nc_u64_e32 v[0:1], s[4:5], v[0:1]
	s_cbranch_scc1 .LBB118_1453
; %bb.1321:
	s_and_b32 s43, 0xffff, s42
	s_delay_alu instid0(SALU_CYCLE_1)
	s_cmp_gt_i32 s43, 25
	s_cbranch_scc0 .LBB118_1580
; %bb.1322:
	s_cmp_gt_i32 s43, 28
	s_cbranch_scc0 .LBB118_1707
; %bb.1323:
	;; [unrolled: 3-line block ×4, first 2 shown]
	s_mov_b32 s45, 0
	s_mov_b32 s41, -1
	s_cmp_eq_u32 s43, 46
	s_mov_b32 s44, 0
	s_cbranch_scc0 .LBB118_3508
; %bb.1326:
	v_mov_b32_e32 v2, 0
	s_mov_b32 s44, -1
	s_mov_b32 s41, 0
	global_store_b32 v[0:1], v2, off
	s_branch .LBB118_3508
.LBB118_1327:
	s_mov_b32 s41, 0
.LBB118_1328:
                                        ; implicit-def: $vgpr7
.LBB118_1329:
	s_and_b32 vcc_lo, exec_lo, s42
	s_cbranch_vccz .LBB118_1333
; %bb.1330:
	s_cmp_eq_u32 s1, 44
	s_cbranch_scc0 .LBB118_1332
; %bb.1331:
	global_load_u8 v2, v[0:1], off
	s_mov_b32 s83, 0
	s_mov_b32 s41, -1
	s_wait_loadcnt 0x0
	v_lshlrev_b32_e32 v3, 23, v2
	v_cmp_ne_u32_e32 vcc_lo, 0, v2
	s_delay_alu instid0(VALU_DEP_2) | instskip(NEXT) | instid1(VALU_DEP_1)
	v_cvt_i32_f32_e32 v3, v3
	v_cndmask_b32_e32 v7, 0, v3, vcc_lo
	s_branch .LBB118_1333
.LBB118_1332:
	s_mov_b32 s83, -1
                                        ; implicit-def: $vgpr7
.LBB118_1333:
	s_mov_b32 s42, 0
.LBB118_1334:
	s_delay_alu instid0(SALU_CYCLE_1)
	s_and_b32 vcc_lo, exec_lo, s42
	s_cbranch_vccz .LBB118_1338
; %bb.1335:
	s_cmp_eq_u32 s1, 29
	s_cbranch_scc0 .LBB118_1337
; %bb.1336:
	global_load_b32 v7, v[0:1], off
	s_mov_b32 s41, -1
	s_mov_b32 s83, 0
	s_branch .LBB118_1338
.LBB118_1337:
	s_mov_b32 s83, -1
                                        ; implicit-def: $vgpr7
.LBB118_1338:
	s_mov_b32 s42, 0
.LBB118_1339:
	s_delay_alu instid0(SALU_CYCLE_1)
	s_and_b32 vcc_lo, exec_lo, s42
	s_cbranch_vccz .LBB118_1355
; %bb.1340:
	s_cmp_lt_i32 s1, 27
	s_cbranch_scc1 .LBB118_1343
; %bb.1341:
	s_cmp_gt_i32 s1, 27
	s_cbranch_scc0 .LBB118_1344
; %bb.1342:
	s_wait_loadcnt 0x0
	global_load_b32 v7, v[0:1], off
	s_mov_b32 s41, 0
	s_branch .LBB118_1345
.LBB118_1343:
	s_mov_b32 s41, -1
                                        ; implicit-def: $vgpr7
	s_branch .LBB118_1348
.LBB118_1344:
	s_mov_b32 s41, -1
                                        ; implicit-def: $vgpr7
.LBB118_1345:
	s_delay_alu instid0(SALU_CYCLE_1)
	s_and_not1_b32 vcc_lo, exec_lo, s41
	s_cbranch_vccnz .LBB118_1347
; %bb.1346:
	s_wait_loadcnt 0x0
	global_load_u16 v7, v[0:1], off
.LBB118_1347:
	s_mov_b32 s41, 0
.LBB118_1348:
	s_delay_alu instid0(SALU_CYCLE_1)
	s_and_not1_b32 vcc_lo, exec_lo, s41
	s_cbranch_vccnz .LBB118_1354
; %bb.1349:
	global_load_u8 v2, v[0:1], off
	s_mov_b32 s42, 0
	s_mov_b32 s41, exec_lo
	s_wait_loadcnt 0x0
	v_cmpx_lt_i16_e32 0x7f, v2
	s_xor_b32 s41, exec_lo, s41
	s_cbranch_execz .LBB118_1366
; %bb.1350:
	v_cmp_ne_u16_e32 vcc_lo, 0x80, v2
	s_and_b32 s42, vcc_lo, exec_lo
	s_and_not1_saveexec_b32 s41, s41
	s_cbranch_execnz .LBB118_1367
.LBB118_1351:
	s_or_b32 exec_lo, exec_lo, s41
	v_mov_b32_e32 v7, 0
	s_and_saveexec_b32 s41, s42
	s_cbranch_execz .LBB118_1353
.LBB118_1352:
	v_and_b32_e32 v3, 0xffff, v2
	s_delay_alu instid0(VALU_DEP_1) | instskip(SKIP_1) | instid1(VALU_DEP_2)
	v_and_b32_e32 v4, 7, v3
	v_bfe_u32 v7, v3, 3, 4
	v_clz_i32_u32_e32 v5, v4
	s_delay_alu instid0(VALU_DEP_2) | instskip(NEXT) | instid1(VALU_DEP_2)
	v_cmp_eq_u32_e32 vcc_lo, 0, v7
	v_min_u32_e32 v5, 32, v5
	s_delay_alu instid0(VALU_DEP_1) | instskip(NEXT) | instid1(VALU_DEP_1)
	v_subrev_nc_u32_e32 v6, 28, v5
	v_dual_lshlrev_b32 v3, v6, v3 :: v_dual_sub_nc_u32 v5, 29, v5
	s_delay_alu instid0(VALU_DEP_1) | instskip(NEXT) | instid1(VALU_DEP_1)
	v_dual_lshlrev_b32 v2, 24, v2 :: v_dual_bitop2_b32 v3, 7, v3 bitop3:0x40
	v_dual_cndmask_b32 v5, v7, v5, vcc_lo :: v_dual_cndmask_b32 v3, v4, v3, vcc_lo
	s_delay_alu instid0(VALU_DEP_2) | instskip(NEXT) | instid1(VALU_DEP_2)
	v_and_b32_e32 v2, 0x80000000, v2
	v_lshl_add_u32 v4, v5, 23, 0x3b800000
	s_delay_alu instid0(VALU_DEP_3) | instskip(NEXT) | instid1(VALU_DEP_1)
	v_lshlrev_b32_e32 v3, 20, v3
	v_or3_b32 v2, v2, v4, v3
	s_delay_alu instid0(VALU_DEP_1)
	v_cvt_i32_f32_e32 v7, v2
.LBB118_1353:
	s_or_b32 exec_lo, exec_lo, s41
.LBB118_1354:
	s_mov_b32 s41, -1
.LBB118_1355:
	s_mov_b32 s42, 0
.LBB118_1356:
	s_delay_alu instid0(SALU_CYCLE_1)
	s_and_b32 vcc_lo, exec_lo, s42
	s_cbranch_vccz .LBB118_1389
; %bb.1357:
	s_cmp_gt_i32 s1, 22
	s_cbranch_scc0 .LBB118_1365
; %bb.1358:
	s_cmp_lt_i32 s1, 24
	s_cbranch_scc1 .LBB118_1368
; %bb.1359:
	s_cmp_gt_i32 s1, 24
	s_cbranch_scc0 .LBB118_1369
; %bb.1360:
	global_load_u8 v2, v[0:1], off
	s_mov_b32 s42, 0
	s_mov_b32 s41, exec_lo
	s_wait_loadcnt 0x0
	v_cmpx_lt_i16_e32 0x7f, v2
	s_xor_b32 s41, exec_lo, s41
	s_cbranch_execz .LBB118_1381
; %bb.1361:
	v_cmp_ne_u16_e32 vcc_lo, 0x80, v2
	s_and_b32 s42, vcc_lo, exec_lo
	s_and_not1_saveexec_b32 s41, s41
	s_cbranch_execnz .LBB118_1382
.LBB118_1362:
	s_or_b32 exec_lo, exec_lo, s41
	v_mov_b32_e32 v7, 0
	s_and_saveexec_b32 s41, s42
	s_cbranch_execz .LBB118_1364
.LBB118_1363:
	v_and_b32_e32 v3, 0xffff, v2
	s_delay_alu instid0(VALU_DEP_1) | instskip(SKIP_1) | instid1(VALU_DEP_2)
	v_and_b32_e32 v4, 3, v3
	v_bfe_u32 v7, v3, 2, 5
	v_clz_i32_u32_e32 v5, v4
	s_delay_alu instid0(VALU_DEP_2) | instskip(NEXT) | instid1(VALU_DEP_2)
	v_cmp_eq_u32_e32 vcc_lo, 0, v7
	v_min_u32_e32 v5, 32, v5
	s_delay_alu instid0(VALU_DEP_1) | instskip(NEXT) | instid1(VALU_DEP_1)
	v_subrev_nc_u32_e32 v6, 29, v5
	v_dual_lshlrev_b32 v3, v6, v3 :: v_dual_sub_nc_u32 v5, 30, v5
	s_delay_alu instid0(VALU_DEP_1) | instskip(NEXT) | instid1(VALU_DEP_1)
	v_dual_lshlrev_b32 v2, 24, v2 :: v_dual_bitop2_b32 v3, 3, v3 bitop3:0x40
	v_dual_cndmask_b32 v5, v7, v5, vcc_lo :: v_dual_cndmask_b32 v3, v4, v3, vcc_lo
	s_delay_alu instid0(VALU_DEP_2) | instskip(NEXT) | instid1(VALU_DEP_2)
	v_and_b32_e32 v2, 0x80000000, v2
	v_lshl_add_u32 v4, v5, 23, 0x37800000
	s_delay_alu instid0(VALU_DEP_3) | instskip(NEXT) | instid1(VALU_DEP_1)
	v_lshlrev_b32_e32 v3, 21, v3
	v_or3_b32 v2, v2, v4, v3
	s_delay_alu instid0(VALU_DEP_1)
	v_cvt_i32_f32_e32 v7, v2
.LBB118_1364:
	s_or_b32 exec_lo, exec_lo, s41
	s_mov_b32 s41, 0
	s_branch .LBB118_1370
.LBB118_1365:
	s_mov_b32 s42, -1
                                        ; implicit-def: $vgpr7
	s_branch .LBB118_1376
.LBB118_1366:
	s_and_not1_saveexec_b32 s41, s41
	s_cbranch_execz .LBB118_1351
.LBB118_1367:
	v_cmp_ne_u16_e32 vcc_lo, 0, v2
	s_and_not1_b32 s42, s42, exec_lo
	s_and_b32 s43, vcc_lo, exec_lo
	s_delay_alu instid0(SALU_CYCLE_1)
	s_or_b32 s42, s42, s43
	s_or_b32 exec_lo, exec_lo, s41
	v_mov_b32_e32 v7, 0
	s_and_saveexec_b32 s41, s42
	s_cbranch_execnz .LBB118_1352
	s_branch .LBB118_1353
.LBB118_1368:
	s_mov_b32 s41, -1
                                        ; implicit-def: $vgpr7
	s_branch .LBB118_1373
.LBB118_1369:
	s_mov_b32 s41, -1
                                        ; implicit-def: $vgpr7
.LBB118_1370:
	s_delay_alu instid0(SALU_CYCLE_1)
	s_and_b32 vcc_lo, exec_lo, s41
	s_cbranch_vccz .LBB118_1372
; %bb.1371:
	global_load_u8 v2, v[0:1], off
	s_wait_loadcnt 0x0
	v_lshlrev_b32_e32 v2, 24, v2
	s_delay_alu instid0(VALU_DEP_1) | instskip(NEXT) | instid1(VALU_DEP_1)
	v_and_b32_e32 v3, 0x7f000000, v2
	v_clz_i32_u32_e32 v4, v3
	v_cmp_ne_u32_e32 vcc_lo, 0, v3
	v_add_nc_u32_e32 v6, 0x1000000, v3
	s_delay_alu instid0(VALU_DEP_3) | instskip(NEXT) | instid1(VALU_DEP_1)
	v_min_u32_e32 v4, 32, v4
	v_sub_nc_u32_e64 v4, v4, 4 clamp
	s_delay_alu instid0(VALU_DEP_1) | instskip(NEXT) | instid1(VALU_DEP_1)
	v_dual_lshlrev_b32 v5, v4, v3 :: v_dual_lshlrev_b32 v4, 23, v4
	v_lshrrev_b32_e32 v5, 4, v5
	s_delay_alu instid0(VALU_DEP_1) | instskip(NEXT) | instid1(VALU_DEP_1)
	v_dual_sub_nc_u32 v4, v5, v4 :: v_dual_ashrrev_i32 v5, 8, v6
	v_add_nc_u32_e32 v4, 0x3c000000, v4
	s_delay_alu instid0(VALU_DEP_1) | instskip(NEXT) | instid1(VALU_DEP_1)
	v_and_or_b32 v4, 0x7f800000, v5, v4
	v_cndmask_b32_e32 v3, 0, v4, vcc_lo
	s_delay_alu instid0(VALU_DEP_1) | instskip(NEXT) | instid1(VALU_DEP_1)
	v_and_or_b32 v2, 0x80000000, v2, v3
	v_cvt_i32_f32_e32 v7, v2
.LBB118_1372:
	s_mov_b32 s41, 0
.LBB118_1373:
	s_delay_alu instid0(SALU_CYCLE_1)
	s_and_not1_b32 vcc_lo, exec_lo, s41
	s_cbranch_vccnz .LBB118_1375
; %bb.1374:
	global_load_u8 v2, v[0:1], off
	s_wait_loadcnt 0x0
	v_lshlrev_b32_e32 v3, 25, v2
	v_lshlrev_b16 v2, 8, v2
	s_delay_alu instid0(VALU_DEP_1) | instskip(SKIP_1) | instid1(VALU_DEP_2)
	v_and_or_b32 v5, 0x7f00, v2, 0.5
	v_bfe_i32 v2, v2, 0, 16
	v_dual_add_f32 v5, -0.5, v5 :: v_dual_lshrrev_b32 v4, 4, v3
	v_cmp_gt_u32_e32 vcc_lo, 0x8000000, v3
	s_delay_alu instid0(VALU_DEP_2) | instskip(NEXT) | instid1(VALU_DEP_1)
	v_or_b32_e32 v4, 0x70000000, v4
	v_mul_f32_e32 v4, 0x7800000, v4
	s_delay_alu instid0(VALU_DEP_1) | instskip(NEXT) | instid1(VALU_DEP_1)
	v_cndmask_b32_e32 v3, v4, v5, vcc_lo
	v_and_or_b32 v2, 0x80000000, v2, v3
	s_delay_alu instid0(VALU_DEP_1)
	v_cvt_i32_f32_e32 v7, v2
.LBB118_1375:
	s_mov_b32 s42, 0
	s_mov_b32 s41, -1
.LBB118_1376:
	s_and_not1_b32 vcc_lo, exec_lo, s42
	s_cbranch_vccnz .LBB118_1389
; %bb.1377:
	s_cmp_gt_i32 s1, 14
	s_cbranch_scc0 .LBB118_1380
; %bb.1378:
	s_cmp_eq_u32 s1, 15
	s_cbranch_scc0 .LBB118_1383
; %bb.1379:
	global_load_u16 v2, v[0:1], off
	s_mov_b32 s41, -1
	s_mov_b32 s83, 0
	s_wait_loadcnt 0x0
	v_lshlrev_b32_e32 v2, 16, v2
	s_delay_alu instid0(VALU_DEP_1)
	v_cvt_i32_f32_e32 v7, v2
	s_branch .LBB118_1384
.LBB118_1380:
	s_mov_b32 s42, -1
                                        ; implicit-def: $vgpr7
	s_branch .LBB118_1385
.LBB118_1381:
	s_and_not1_saveexec_b32 s41, s41
	s_cbranch_execz .LBB118_1362
.LBB118_1382:
	v_cmp_ne_u16_e32 vcc_lo, 0, v2
	s_and_not1_b32 s42, s42, exec_lo
	s_and_b32 s43, vcc_lo, exec_lo
	s_delay_alu instid0(SALU_CYCLE_1)
	s_or_b32 s42, s42, s43
	s_or_b32 exec_lo, exec_lo, s41
	v_mov_b32_e32 v7, 0
	s_and_saveexec_b32 s41, s42
	s_cbranch_execnz .LBB118_1363
	s_branch .LBB118_1364
.LBB118_1383:
	s_mov_b32 s83, -1
                                        ; implicit-def: $vgpr7
.LBB118_1384:
	s_mov_b32 s42, 0
.LBB118_1385:
	s_delay_alu instid0(SALU_CYCLE_1)
	s_and_b32 vcc_lo, exec_lo, s42
	s_cbranch_vccz .LBB118_1389
; %bb.1386:
	s_cmp_eq_u32 s1, 11
	s_cbranch_scc0 .LBB118_1388
; %bb.1387:
	global_load_u8 v2, v[0:1], off
	s_mov_b32 s83, 0
	s_mov_b32 s41, -1
	s_wait_loadcnt 0x0
	v_cmp_ne_u16_e32 vcc_lo, 0, v2
	v_cndmask_b32_e64 v7, 0, 1, vcc_lo
	s_branch .LBB118_1389
.LBB118_1388:
	s_mov_b32 s83, -1
                                        ; implicit-def: $vgpr7
.LBB118_1389:
	s_mov_b32 s1, 0
.LBB118_1390:
	s_delay_alu instid0(SALU_CYCLE_1)
	s_and_b32 vcc_lo, exec_lo, s1
	s_cbranch_vccz .LBB118_1439
; %bb.1391:
	s_and_b32 s0, 0xffff, s0
	s_delay_alu instid0(SALU_CYCLE_1)
	s_cmp_lt_i32 s0, 5
	s_cbranch_scc1 .LBB118_1396
; %bb.1392:
	s_cmp_lt_i32 s0, 8
	s_cbranch_scc1 .LBB118_1397
; %bb.1393:
	;; [unrolled: 3-line block ×3, first 2 shown]
	s_cmp_gt_i32 s0, 9
	s_cbranch_scc0 .LBB118_1399
; %bb.1395:
	global_load_b64 v[2:3], v[0:1], off
	s_mov_b32 s1, 0
	s_wait_loadcnt 0x0
	v_cvt_i32_f64_e32 v7, v[2:3]
	s_branch .LBB118_1400
.LBB118_1396:
	s_mov_b32 s1, -1
                                        ; implicit-def: $vgpr7
	s_branch .LBB118_1418
.LBB118_1397:
	s_mov_b32 s1, -1
                                        ; implicit-def: $vgpr7
	s_branch .LBB118_1406
.LBB118_1398:
	s_mov_b32 s1, -1
                                        ; implicit-def: $vgpr7
	s_branch .LBB118_1403
.LBB118_1399:
	s_mov_b32 s1, -1
                                        ; implicit-def: $vgpr7
.LBB118_1400:
	s_delay_alu instid0(SALU_CYCLE_1)
	s_and_not1_b32 vcc_lo, exec_lo, s1
	s_cbranch_vccnz .LBB118_1402
; %bb.1401:
	global_load_b32 v2, v[0:1], off
	s_wait_loadcnt 0x0
	v_cvt_i32_f32_e32 v7, v2
.LBB118_1402:
	s_mov_b32 s1, 0
.LBB118_1403:
	s_delay_alu instid0(SALU_CYCLE_1)
	s_and_not1_b32 vcc_lo, exec_lo, s1
	s_cbranch_vccnz .LBB118_1405
; %bb.1404:
	global_load_b32 v2, v[0:1], off
	s_wait_loadcnt 0x0
	v_cvt_f32_f16_e32 v2, v2
	s_delay_alu instid0(VALU_DEP_1)
	v_cvt_i32_f32_e32 v7, v2
.LBB118_1405:
	s_mov_b32 s1, 0
.LBB118_1406:
	s_delay_alu instid0(SALU_CYCLE_1)
	s_and_not1_b32 vcc_lo, exec_lo, s1
	s_cbranch_vccnz .LBB118_1417
; %bb.1407:
	s_cmp_lt_i32 s0, 6
	s_cbranch_scc1 .LBB118_1410
; %bb.1408:
	s_cmp_gt_i32 s0, 6
	s_cbranch_scc0 .LBB118_1411
; %bb.1409:
	global_load_b64 v[2:3], v[0:1], off
	s_mov_b32 s1, 0
	s_wait_loadcnt 0x0
	v_cvt_i32_f64_e32 v7, v[2:3]
	s_branch .LBB118_1412
.LBB118_1410:
	s_mov_b32 s1, -1
                                        ; implicit-def: $vgpr7
	s_branch .LBB118_1415
.LBB118_1411:
	s_mov_b32 s1, -1
                                        ; implicit-def: $vgpr7
.LBB118_1412:
	s_delay_alu instid0(SALU_CYCLE_1)
	s_and_not1_b32 vcc_lo, exec_lo, s1
	s_cbranch_vccnz .LBB118_1414
; %bb.1413:
	global_load_b32 v2, v[0:1], off
	s_wait_loadcnt 0x0
	v_cvt_i32_f32_e32 v7, v2
.LBB118_1414:
	s_mov_b32 s1, 0
.LBB118_1415:
	s_delay_alu instid0(SALU_CYCLE_1)
	s_and_not1_b32 vcc_lo, exec_lo, s1
	s_cbranch_vccnz .LBB118_1417
; %bb.1416:
	global_load_u16 v2, v[0:1], off
	s_wait_loadcnt 0x0
	v_cvt_f32_f16_e32 v2, v2
	s_delay_alu instid0(VALU_DEP_1)
	v_cvt_i32_f32_e32 v7, v2
.LBB118_1417:
	s_mov_b32 s1, 0
.LBB118_1418:
	s_delay_alu instid0(SALU_CYCLE_1)
	s_and_not1_b32 vcc_lo, exec_lo, s1
	s_cbranch_vccnz .LBB118_1438
; %bb.1419:
	s_cmp_lt_i32 s0, 2
	s_cbranch_scc1 .LBB118_1423
; %bb.1420:
	s_cmp_lt_i32 s0, 3
	s_cbranch_scc1 .LBB118_1424
; %bb.1421:
	s_cmp_gt_i32 s0, 3
	s_cbranch_scc0 .LBB118_1425
; %bb.1422:
	s_wait_loadcnt 0x0
	global_load_b32 v7, v[0:1], off
	s_mov_b32 s1, 0
	s_branch .LBB118_1426
.LBB118_1423:
	s_mov_b32 s1, -1
                                        ; implicit-def: $vgpr7
	s_branch .LBB118_1432
.LBB118_1424:
	s_mov_b32 s1, -1
                                        ; implicit-def: $vgpr7
	s_branch .LBB118_1429
.LBB118_1425:
	s_mov_b32 s1, -1
                                        ; implicit-def: $vgpr7
.LBB118_1426:
	s_delay_alu instid0(SALU_CYCLE_1)
	s_and_not1_b32 vcc_lo, exec_lo, s1
	s_cbranch_vccnz .LBB118_1428
; %bb.1427:
	s_wait_loadcnt 0x0
	global_load_b32 v7, v[0:1], off
.LBB118_1428:
	s_mov_b32 s1, 0
.LBB118_1429:
	s_delay_alu instid0(SALU_CYCLE_1)
	s_and_not1_b32 vcc_lo, exec_lo, s1
	s_cbranch_vccnz .LBB118_1431
; %bb.1430:
	s_wait_loadcnt 0x0
	global_load_i16 v7, v[0:1], off
.LBB118_1431:
	s_mov_b32 s1, 0
.LBB118_1432:
	s_delay_alu instid0(SALU_CYCLE_1)
	s_and_not1_b32 vcc_lo, exec_lo, s1
	s_cbranch_vccnz .LBB118_1438
; %bb.1433:
	s_cmp_gt_i32 s0, 0
	s_mov_b32 s0, 0
	s_cbranch_scc0 .LBB118_1435
; %bb.1434:
	s_wait_loadcnt 0x0
	global_load_i8 v7, v[0:1], off
	s_branch .LBB118_1436
.LBB118_1435:
	s_mov_b32 s0, -1
                                        ; implicit-def: $vgpr7
.LBB118_1436:
	s_delay_alu instid0(SALU_CYCLE_1)
	s_and_not1_b32 vcc_lo, exec_lo, s0
	s_cbranch_vccnz .LBB118_1438
; %bb.1437:
	s_wait_loadcnt 0x0
	global_load_u8 v7, v[0:1], off
.LBB118_1438:
	s_mov_b32 s41, -1
.LBB118_1439:
	s_delay_alu instid0(SALU_CYCLE_1)
	s_and_not1_b32 vcc_lo, exec_lo, s41
	s_cbranch_vccnz .LBB118_1447
; %bb.1440:
	s_wait_xcnt 0x0
	v_mul_lo_u32 v0, v22, s18
	s_and_b32 s0, s25, 0xff
	s_delay_alu instid0(SALU_CYCLE_1) | instskip(NEXT) | instid1(VALU_DEP_1)
	s_cmp_lt_i32 s0, 11
	v_ashrrev_i32_e32 v1, 31, v0
	s_delay_alu instid0(VALU_DEP_1)
	v_add_nc_u64_e32 v[0:1], s[8:9], v[0:1]
	s_cbranch_scc1 .LBB118_1448
; %bb.1441:
	s_and_b32 s1, 0xffff, s0
	s_delay_alu instid0(SALU_CYCLE_1)
	s_cmp_gt_i32 s1, 25
	s_cbranch_scc0 .LBB118_1449
; %bb.1442:
	s_cmp_gt_i32 s1, 28
	s_cbranch_scc0 .LBB118_1450
; %bb.1443:
	;; [unrolled: 3-line block ×4, first 2 shown]
	s_cmp_eq_u32 s1, 46
	s_mov_b32 s42, 0
	s_cbranch_scc0 .LBB118_1454
; %bb.1446:
	global_load_b32 v2, v[0:1], off
	s_mov_b32 s41, -1
	s_mov_b32 s84, 0
	s_wait_loadcnt 0x0
	v_lshlrev_b32_e32 v2, 16, v2
	s_delay_alu instid0(VALU_DEP_1)
	v_cvt_i32_f32_e32 v8, v2
	s_branch .LBB118_1456
.LBB118_1447:
	s_mov_b32 s0, 0
	s_mov_b32 s1, s78
	;; [unrolled: 1-line block ×10, first 2 shown]
	s_branch .LBB118_2045
.LBB118_1448:
	s_mov_b32 s1, -1
	s_mov_b32 s41, 0
	s_mov_b32 s84, s73
                                        ; implicit-def: $vgpr8
	s_branch .LBB118_1517
.LBB118_1449:
	s_mov_b32 s42, -1
	s_mov_b32 s41, 0
	s_mov_b32 s84, s73
                                        ; implicit-def: $vgpr8
	s_branch .LBB118_1483
.LBB118_1450:
	s_mov_b32 s42, -1
	s_mov_b32 s41, 0
	s_mov_b32 s84, s73
                                        ; implicit-def: $vgpr8
	s_branch .LBB118_1466
.LBB118_1451:
	s_mov_b32 s42, -1
	s_mov_b32 s41, 0
	s_mov_b32 s84, s73
                                        ; implicit-def: $vgpr8
	s_branch .LBB118_1461
.LBB118_1452:
	s_mov_b32 s42, -1
	s_mov_b32 s41, 0
	s_mov_b32 s84, s73
	s_branch .LBB118_1455
.LBB118_1453:
	s_mov_b32 s43, -1
	s_mov_b32 s44, 0
	s_mov_b32 s41, s59
	s_branch .LBB118_3547
.LBB118_1454:
	s_mov_b32 s84, -1
	s_mov_b32 s41, 0
.LBB118_1455:
                                        ; implicit-def: $vgpr8
.LBB118_1456:
	s_and_b32 vcc_lo, exec_lo, s42
	s_cbranch_vccz .LBB118_1460
; %bb.1457:
	s_cmp_eq_u32 s1, 44
	s_cbranch_scc0 .LBB118_1459
; %bb.1458:
	global_load_u8 v2, v[0:1], off
	s_mov_b32 s84, 0
	s_mov_b32 s41, -1
	s_wait_loadcnt 0x0
	v_lshlrev_b32_e32 v3, 23, v2
	v_cmp_ne_u32_e32 vcc_lo, 0, v2
	s_delay_alu instid0(VALU_DEP_2) | instskip(NEXT) | instid1(VALU_DEP_1)
	v_cvt_i32_f32_e32 v3, v3
	v_cndmask_b32_e32 v8, 0, v3, vcc_lo
	s_branch .LBB118_1460
.LBB118_1459:
	s_mov_b32 s84, -1
                                        ; implicit-def: $vgpr8
.LBB118_1460:
	s_mov_b32 s42, 0
.LBB118_1461:
	s_delay_alu instid0(SALU_CYCLE_1)
	s_and_b32 vcc_lo, exec_lo, s42
	s_cbranch_vccz .LBB118_1465
; %bb.1462:
	s_cmp_eq_u32 s1, 29
	s_cbranch_scc0 .LBB118_1464
; %bb.1463:
	global_load_b32 v8, v[0:1], off
	s_mov_b32 s41, -1
	s_mov_b32 s84, 0
	s_branch .LBB118_1465
.LBB118_1464:
	s_mov_b32 s84, -1
                                        ; implicit-def: $vgpr8
.LBB118_1465:
	s_mov_b32 s42, 0
.LBB118_1466:
	s_delay_alu instid0(SALU_CYCLE_1)
	s_and_b32 vcc_lo, exec_lo, s42
	s_cbranch_vccz .LBB118_1482
; %bb.1467:
	s_cmp_lt_i32 s1, 27
	s_cbranch_scc1 .LBB118_1470
; %bb.1468:
	s_cmp_gt_i32 s1, 27
	s_cbranch_scc0 .LBB118_1471
; %bb.1469:
	s_wait_loadcnt 0x0
	global_load_b32 v8, v[0:1], off
	s_mov_b32 s41, 0
	s_branch .LBB118_1472
.LBB118_1470:
	s_mov_b32 s41, -1
                                        ; implicit-def: $vgpr8
	s_branch .LBB118_1475
.LBB118_1471:
	s_mov_b32 s41, -1
                                        ; implicit-def: $vgpr8
.LBB118_1472:
	s_delay_alu instid0(SALU_CYCLE_1)
	s_and_not1_b32 vcc_lo, exec_lo, s41
	s_cbranch_vccnz .LBB118_1474
; %bb.1473:
	s_wait_loadcnt 0x0
	global_load_u16 v8, v[0:1], off
.LBB118_1474:
	s_mov_b32 s41, 0
.LBB118_1475:
	s_delay_alu instid0(SALU_CYCLE_1)
	s_and_not1_b32 vcc_lo, exec_lo, s41
	s_cbranch_vccnz .LBB118_1481
; %bb.1476:
	global_load_u8 v2, v[0:1], off
	s_mov_b32 s42, 0
	s_mov_b32 s41, exec_lo
	s_wait_loadcnt 0x0
	v_cmpx_lt_i16_e32 0x7f, v2
	s_xor_b32 s41, exec_lo, s41
	s_cbranch_execz .LBB118_1493
; %bb.1477:
	v_cmp_ne_u16_e32 vcc_lo, 0x80, v2
	s_and_b32 s42, vcc_lo, exec_lo
	s_and_not1_saveexec_b32 s41, s41
	s_cbranch_execnz .LBB118_1494
.LBB118_1478:
	s_or_b32 exec_lo, exec_lo, s41
	v_mov_b32_e32 v8, 0
	s_and_saveexec_b32 s41, s42
	s_cbranch_execz .LBB118_1480
.LBB118_1479:
	v_and_b32_e32 v3, 0xffff, v2
	s_delay_alu instid0(VALU_DEP_1) | instskip(SKIP_1) | instid1(VALU_DEP_2)
	v_and_b32_e32 v4, 7, v3
	v_bfe_u32 v8, v3, 3, 4
	v_clz_i32_u32_e32 v5, v4
	s_delay_alu instid0(VALU_DEP_2) | instskip(NEXT) | instid1(VALU_DEP_2)
	v_cmp_eq_u32_e32 vcc_lo, 0, v8
	v_min_u32_e32 v5, 32, v5
	s_delay_alu instid0(VALU_DEP_1) | instskip(NEXT) | instid1(VALU_DEP_1)
	v_subrev_nc_u32_e32 v6, 28, v5
	v_dual_lshlrev_b32 v3, v6, v3 :: v_dual_sub_nc_u32 v5, 29, v5
	s_delay_alu instid0(VALU_DEP_1) | instskip(NEXT) | instid1(VALU_DEP_2)
	v_dual_lshlrev_b32 v2, 24, v2 :: v_dual_bitop2_b32 v3, 7, v3 bitop3:0x40
	v_cndmask_b32_e32 v5, v8, v5, vcc_lo
	s_delay_alu instid0(VALU_DEP_2) | instskip(NEXT) | instid1(VALU_DEP_3)
	v_cndmask_b32_e32 v3, v4, v3, vcc_lo
	v_and_b32_e32 v2, 0x80000000, v2
	s_delay_alu instid0(VALU_DEP_3) | instskip(NEXT) | instid1(VALU_DEP_3)
	v_lshl_add_u32 v4, v5, 23, 0x3b800000
	v_lshlrev_b32_e32 v3, 20, v3
	s_delay_alu instid0(VALU_DEP_1) | instskip(NEXT) | instid1(VALU_DEP_1)
	v_or3_b32 v2, v2, v4, v3
	v_cvt_i32_f32_e32 v8, v2
.LBB118_1480:
	s_or_b32 exec_lo, exec_lo, s41
.LBB118_1481:
	s_mov_b32 s41, -1
.LBB118_1482:
	s_mov_b32 s42, 0
.LBB118_1483:
	s_delay_alu instid0(SALU_CYCLE_1)
	s_and_b32 vcc_lo, exec_lo, s42
	s_cbranch_vccz .LBB118_1516
; %bb.1484:
	s_cmp_gt_i32 s1, 22
	s_cbranch_scc0 .LBB118_1492
; %bb.1485:
	s_cmp_lt_i32 s1, 24
	s_cbranch_scc1 .LBB118_1495
; %bb.1486:
	s_cmp_gt_i32 s1, 24
	s_cbranch_scc0 .LBB118_1496
; %bb.1487:
	global_load_u8 v2, v[0:1], off
	s_mov_b32 s42, 0
	s_mov_b32 s41, exec_lo
	s_wait_loadcnt 0x0
	v_cmpx_lt_i16_e32 0x7f, v2
	s_xor_b32 s41, exec_lo, s41
	s_cbranch_execz .LBB118_1508
; %bb.1488:
	v_cmp_ne_u16_e32 vcc_lo, 0x80, v2
	s_and_b32 s42, vcc_lo, exec_lo
	s_and_not1_saveexec_b32 s41, s41
	s_cbranch_execnz .LBB118_1509
.LBB118_1489:
	s_or_b32 exec_lo, exec_lo, s41
	v_mov_b32_e32 v8, 0
	s_and_saveexec_b32 s41, s42
	s_cbranch_execz .LBB118_1491
.LBB118_1490:
	v_and_b32_e32 v3, 0xffff, v2
	s_delay_alu instid0(VALU_DEP_1) | instskip(SKIP_1) | instid1(VALU_DEP_2)
	v_and_b32_e32 v4, 3, v3
	v_bfe_u32 v8, v3, 2, 5
	v_clz_i32_u32_e32 v5, v4
	s_delay_alu instid0(VALU_DEP_2) | instskip(NEXT) | instid1(VALU_DEP_2)
	v_cmp_eq_u32_e32 vcc_lo, 0, v8
	v_min_u32_e32 v5, 32, v5
	s_delay_alu instid0(VALU_DEP_1) | instskip(NEXT) | instid1(VALU_DEP_1)
	v_subrev_nc_u32_e32 v6, 29, v5
	v_dual_lshlrev_b32 v3, v6, v3 :: v_dual_sub_nc_u32 v5, 30, v5
	s_delay_alu instid0(VALU_DEP_1) | instskip(NEXT) | instid1(VALU_DEP_2)
	v_dual_lshlrev_b32 v2, 24, v2 :: v_dual_bitop2_b32 v3, 3, v3 bitop3:0x40
	v_cndmask_b32_e32 v5, v8, v5, vcc_lo
	s_delay_alu instid0(VALU_DEP_2) | instskip(NEXT) | instid1(VALU_DEP_3)
	v_cndmask_b32_e32 v3, v4, v3, vcc_lo
	v_and_b32_e32 v2, 0x80000000, v2
	s_delay_alu instid0(VALU_DEP_3) | instskip(NEXT) | instid1(VALU_DEP_3)
	v_lshl_add_u32 v4, v5, 23, 0x37800000
	v_lshlrev_b32_e32 v3, 21, v3
	s_delay_alu instid0(VALU_DEP_1) | instskip(NEXT) | instid1(VALU_DEP_1)
	v_or3_b32 v2, v2, v4, v3
	v_cvt_i32_f32_e32 v8, v2
.LBB118_1491:
	s_or_b32 exec_lo, exec_lo, s41
	s_mov_b32 s41, 0
	s_branch .LBB118_1497
.LBB118_1492:
	s_mov_b32 s42, -1
                                        ; implicit-def: $vgpr8
	s_branch .LBB118_1503
.LBB118_1493:
	s_and_not1_saveexec_b32 s41, s41
	s_cbranch_execz .LBB118_1478
.LBB118_1494:
	v_cmp_ne_u16_e32 vcc_lo, 0, v2
	s_and_not1_b32 s42, s42, exec_lo
	s_and_b32 s43, vcc_lo, exec_lo
	s_delay_alu instid0(SALU_CYCLE_1)
	s_or_b32 s42, s42, s43
	s_or_b32 exec_lo, exec_lo, s41
	v_mov_b32_e32 v8, 0
	s_and_saveexec_b32 s41, s42
	s_cbranch_execnz .LBB118_1479
	s_branch .LBB118_1480
.LBB118_1495:
	s_mov_b32 s41, -1
                                        ; implicit-def: $vgpr8
	s_branch .LBB118_1500
.LBB118_1496:
	s_mov_b32 s41, -1
                                        ; implicit-def: $vgpr8
.LBB118_1497:
	s_delay_alu instid0(SALU_CYCLE_1)
	s_and_b32 vcc_lo, exec_lo, s41
	s_cbranch_vccz .LBB118_1499
; %bb.1498:
	global_load_u8 v2, v[0:1], off
	s_wait_loadcnt 0x0
	v_lshlrev_b32_e32 v2, 24, v2
	s_delay_alu instid0(VALU_DEP_1) | instskip(NEXT) | instid1(VALU_DEP_1)
	v_and_b32_e32 v3, 0x7f000000, v2
	v_clz_i32_u32_e32 v4, v3
	v_cmp_ne_u32_e32 vcc_lo, 0, v3
	v_add_nc_u32_e32 v6, 0x1000000, v3
	s_delay_alu instid0(VALU_DEP_3) | instskip(NEXT) | instid1(VALU_DEP_1)
	v_min_u32_e32 v4, 32, v4
	v_sub_nc_u32_e64 v4, v4, 4 clamp
	s_delay_alu instid0(VALU_DEP_1) | instskip(NEXT) | instid1(VALU_DEP_1)
	v_dual_lshlrev_b32 v5, v4, v3 :: v_dual_lshlrev_b32 v4, 23, v4
	v_lshrrev_b32_e32 v5, 4, v5
	s_delay_alu instid0(VALU_DEP_1) | instskip(NEXT) | instid1(VALU_DEP_1)
	v_dual_sub_nc_u32 v4, v5, v4 :: v_dual_ashrrev_i32 v5, 8, v6
	v_add_nc_u32_e32 v4, 0x3c000000, v4
	s_delay_alu instid0(VALU_DEP_1) | instskip(NEXT) | instid1(VALU_DEP_1)
	v_and_or_b32 v4, 0x7f800000, v5, v4
	v_cndmask_b32_e32 v3, 0, v4, vcc_lo
	s_delay_alu instid0(VALU_DEP_1) | instskip(NEXT) | instid1(VALU_DEP_1)
	v_and_or_b32 v2, 0x80000000, v2, v3
	v_cvt_i32_f32_e32 v8, v2
.LBB118_1499:
	s_mov_b32 s41, 0
.LBB118_1500:
	s_delay_alu instid0(SALU_CYCLE_1)
	s_and_not1_b32 vcc_lo, exec_lo, s41
	s_cbranch_vccnz .LBB118_1502
; %bb.1501:
	global_load_u8 v2, v[0:1], off
	s_wait_loadcnt 0x0
	v_lshlrev_b32_e32 v3, 25, v2
	v_lshlrev_b16 v2, 8, v2
	s_delay_alu instid0(VALU_DEP_1) | instskip(SKIP_1) | instid1(VALU_DEP_2)
	v_and_or_b32 v5, 0x7f00, v2, 0.5
	v_bfe_i32 v2, v2, 0, 16
	v_dual_add_f32 v5, -0.5, v5 :: v_dual_lshrrev_b32 v4, 4, v3
	v_cmp_gt_u32_e32 vcc_lo, 0x8000000, v3
	s_delay_alu instid0(VALU_DEP_2) | instskip(NEXT) | instid1(VALU_DEP_1)
	v_or_b32_e32 v4, 0x70000000, v4
	v_mul_f32_e32 v4, 0x7800000, v4
	s_delay_alu instid0(VALU_DEP_1) | instskip(NEXT) | instid1(VALU_DEP_1)
	v_cndmask_b32_e32 v3, v4, v5, vcc_lo
	v_and_or_b32 v2, 0x80000000, v2, v3
	s_delay_alu instid0(VALU_DEP_1)
	v_cvt_i32_f32_e32 v8, v2
.LBB118_1502:
	s_mov_b32 s42, 0
	s_mov_b32 s41, -1
.LBB118_1503:
	s_and_not1_b32 vcc_lo, exec_lo, s42
	s_cbranch_vccnz .LBB118_1516
; %bb.1504:
	s_cmp_gt_i32 s1, 14
	s_cbranch_scc0 .LBB118_1507
; %bb.1505:
	s_cmp_eq_u32 s1, 15
	s_cbranch_scc0 .LBB118_1510
; %bb.1506:
	global_load_u16 v2, v[0:1], off
	s_mov_b32 s41, -1
	s_mov_b32 s84, 0
	s_wait_loadcnt 0x0
	v_lshlrev_b32_e32 v2, 16, v2
	s_delay_alu instid0(VALU_DEP_1)
	v_cvt_i32_f32_e32 v8, v2
	s_branch .LBB118_1511
.LBB118_1507:
	s_mov_b32 s42, -1
                                        ; implicit-def: $vgpr8
	s_branch .LBB118_1512
.LBB118_1508:
	s_and_not1_saveexec_b32 s41, s41
	s_cbranch_execz .LBB118_1489
.LBB118_1509:
	v_cmp_ne_u16_e32 vcc_lo, 0, v2
	s_and_not1_b32 s42, s42, exec_lo
	s_and_b32 s43, vcc_lo, exec_lo
	s_delay_alu instid0(SALU_CYCLE_1)
	s_or_b32 s42, s42, s43
	s_or_b32 exec_lo, exec_lo, s41
	v_mov_b32_e32 v8, 0
	s_and_saveexec_b32 s41, s42
	s_cbranch_execnz .LBB118_1490
	s_branch .LBB118_1491
.LBB118_1510:
	s_mov_b32 s84, -1
                                        ; implicit-def: $vgpr8
.LBB118_1511:
	s_mov_b32 s42, 0
.LBB118_1512:
	s_delay_alu instid0(SALU_CYCLE_1)
	s_and_b32 vcc_lo, exec_lo, s42
	s_cbranch_vccz .LBB118_1516
; %bb.1513:
	s_cmp_eq_u32 s1, 11
	s_cbranch_scc0 .LBB118_1515
; %bb.1514:
	global_load_u8 v2, v[0:1], off
	s_mov_b32 s84, 0
	s_mov_b32 s41, -1
	s_wait_loadcnt 0x0
	v_cmp_ne_u16_e32 vcc_lo, 0, v2
	v_cndmask_b32_e64 v8, 0, 1, vcc_lo
	s_branch .LBB118_1516
.LBB118_1515:
	s_mov_b32 s84, -1
                                        ; implicit-def: $vgpr8
.LBB118_1516:
	s_mov_b32 s1, 0
.LBB118_1517:
	s_delay_alu instid0(SALU_CYCLE_1)
	s_and_b32 vcc_lo, exec_lo, s1
	s_cbranch_vccz .LBB118_1566
; %bb.1518:
	s_and_b32 s0, 0xffff, s0
	s_delay_alu instid0(SALU_CYCLE_1)
	s_cmp_lt_i32 s0, 5
	s_cbranch_scc1 .LBB118_1523
; %bb.1519:
	s_cmp_lt_i32 s0, 8
	s_cbranch_scc1 .LBB118_1524
; %bb.1520:
	s_cmp_lt_i32 s0, 9
	s_cbranch_scc1 .LBB118_1525
; %bb.1521:
	s_cmp_gt_i32 s0, 9
	s_cbranch_scc0 .LBB118_1526
; %bb.1522:
	global_load_b64 v[2:3], v[0:1], off
	s_mov_b32 s1, 0
	s_wait_loadcnt 0x0
	v_cvt_i32_f64_e32 v8, v[2:3]
	s_branch .LBB118_1527
.LBB118_1523:
	s_mov_b32 s1, -1
                                        ; implicit-def: $vgpr8
	s_branch .LBB118_1545
.LBB118_1524:
	s_mov_b32 s1, -1
                                        ; implicit-def: $vgpr8
	s_branch .LBB118_1533
.LBB118_1525:
	s_mov_b32 s1, -1
                                        ; implicit-def: $vgpr8
	s_branch .LBB118_1530
.LBB118_1526:
	s_mov_b32 s1, -1
                                        ; implicit-def: $vgpr8
.LBB118_1527:
	s_delay_alu instid0(SALU_CYCLE_1)
	s_and_not1_b32 vcc_lo, exec_lo, s1
	s_cbranch_vccnz .LBB118_1529
; %bb.1528:
	global_load_b32 v2, v[0:1], off
	s_wait_loadcnt 0x0
	v_cvt_i32_f32_e32 v8, v2
.LBB118_1529:
	s_mov_b32 s1, 0
.LBB118_1530:
	s_delay_alu instid0(SALU_CYCLE_1)
	s_and_not1_b32 vcc_lo, exec_lo, s1
	s_cbranch_vccnz .LBB118_1532
; %bb.1531:
	global_load_b32 v2, v[0:1], off
	s_wait_loadcnt 0x0
	v_cvt_f32_f16_e32 v2, v2
	s_delay_alu instid0(VALU_DEP_1)
	v_cvt_i32_f32_e32 v8, v2
.LBB118_1532:
	s_mov_b32 s1, 0
.LBB118_1533:
	s_delay_alu instid0(SALU_CYCLE_1)
	s_and_not1_b32 vcc_lo, exec_lo, s1
	s_cbranch_vccnz .LBB118_1544
; %bb.1534:
	s_cmp_lt_i32 s0, 6
	s_cbranch_scc1 .LBB118_1537
; %bb.1535:
	s_cmp_gt_i32 s0, 6
	s_cbranch_scc0 .LBB118_1538
; %bb.1536:
	global_load_b64 v[2:3], v[0:1], off
	s_mov_b32 s1, 0
	s_wait_loadcnt 0x0
	v_cvt_i32_f64_e32 v8, v[2:3]
	s_branch .LBB118_1539
.LBB118_1537:
	s_mov_b32 s1, -1
                                        ; implicit-def: $vgpr8
	s_branch .LBB118_1542
.LBB118_1538:
	s_mov_b32 s1, -1
                                        ; implicit-def: $vgpr8
.LBB118_1539:
	s_delay_alu instid0(SALU_CYCLE_1)
	s_and_not1_b32 vcc_lo, exec_lo, s1
	s_cbranch_vccnz .LBB118_1541
; %bb.1540:
	global_load_b32 v2, v[0:1], off
	s_wait_loadcnt 0x0
	v_cvt_i32_f32_e32 v8, v2
.LBB118_1541:
	s_mov_b32 s1, 0
.LBB118_1542:
	s_delay_alu instid0(SALU_CYCLE_1)
	s_and_not1_b32 vcc_lo, exec_lo, s1
	s_cbranch_vccnz .LBB118_1544
; %bb.1543:
	global_load_u16 v2, v[0:1], off
	s_wait_loadcnt 0x0
	v_cvt_f32_f16_e32 v2, v2
	s_delay_alu instid0(VALU_DEP_1)
	v_cvt_i32_f32_e32 v8, v2
.LBB118_1544:
	s_mov_b32 s1, 0
.LBB118_1545:
	s_delay_alu instid0(SALU_CYCLE_1)
	s_and_not1_b32 vcc_lo, exec_lo, s1
	s_cbranch_vccnz .LBB118_1565
; %bb.1546:
	s_cmp_lt_i32 s0, 2
	s_cbranch_scc1 .LBB118_1550
; %bb.1547:
	s_cmp_lt_i32 s0, 3
	s_cbranch_scc1 .LBB118_1551
; %bb.1548:
	s_cmp_gt_i32 s0, 3
	s_cbranch_scc0 .LBB118_1552
; %bb.1549:
	s_wait_loadcnt 0x0
	global_load_b32 v8, v[0:1], off
	s_mov_b32 s1, 0
	s_branch .LBB118_1553
.LBB118_1550:
	s_mov_b32 s1, -1
                                        ; implicit-def: $vgpr8
	s_branch .LBB118_1559
.LBB118_1551:
	s_mov_b32 s1, -1
                                        ; implicit-def: $vgpr8
	s_branch .LBB118_1556
.LBB118_1552:
	s_mov_b32 s1, -1
                                        ; implicit-def: $vgpr8
.LBB118_1553:
	s_delay_alu instid0(SALU_CYCLE_1)
	s_and_not1_b32 vcc_lo, exec_lo, s1
	s_cbranch_vccnz .LBB118_1555
; %bb.1554:
	s_wait_loadcnt 0x0
	global_load_b32 v8, v[0:1], off
.LBB118_1555:
	s_mov_b32 s1, 0
.LBB118_1556:
	s_delay_alu instid0(SALU_CYCLE_1)
	s_and_not1_b32 vcc_lo, exec_lo, s1
	s_cbranch_vccnz .LBB118_1558
; %bb.1557:
	s_wait_loadcnt 0x0
	global_load_i16 v8, v[0:1], off
.LBB118_1558:
	s_mov_b32 s1, 0
.LBB118_1559:
	s_delay_alu instid0(SALU_CYCLE_1)
	s_and_not1_b32 vcc_lo, exec_lo, s1
	s_cbranch_vccnz .LBB118_1565
; %bb.1560:
	s_cmp_gt_i32 s0, 0
	s_mov_b32 s0, 0
	s_cbranch_scc0 .LBB118_1562
; %bb.1561:
	s_wait_loadcnt 0x0
	global_load_i8 v8, v[0:1], off
	s_branch .LBB118_1563
.LBB118_1562:
	s_mov_b32 s0, -1
                                        ; implicit-def: $vgpr8
.LBB118_1563:
	s_delay_alu instid0(SALU_CYCLE_1)
	s_and_not1_b32 vcc_lo, exec_lo, s0
	s_cbranch_vccnz .LBB118_1565
; %bb.1564:
	s_wait_loadcnt 0x0
	global_load_u8 v8, v[0:1], off
.LBB118_1565:
	s_mov_b32 s41, -1
.LBB118_1566:
	s_delay_alu instid0(SALU_CYCLE_1)
	s_and_not1_b32 vcc_lo, exec_lo, s41
	s_cbranch_vccnz .LBB118_1574
; %bb.1567:
	s_wait_xcnt 0x0
	v_mul_lo_u32 v0, v22, s19
	s_and_b32 s0, s34, 0xff
	s_delay_alu instid0(SALU_CYCLE_1) | instskip(NEXT) | instid1(VALU_DEP_1)
	s_cmp_lt_i32 s0, 11
	v_ashrrev_i32_e32 v1, 31, v0
	s_delay_alu instid0(VALU_DEP_1)
	v_add_nc_u64_e32 v[2:3], s[10:11], v[0:1]
	s_cbranch_scc1 .LBB118_1575
; %bb.1568:
	s_and_b32 s1, 0xffff, s0
	s_delay_alu instid0(SALU_CYCLE_1)
	s_cmp_gt_i32 s1, 25
	s_cbranch_scc0 .LBB118_1576
; %bb.1569:
	s_cmp_gt_i32 s1, 28
	s_cbranch_scc0 .LBB118_1577
; %bb.1570:
	;; [unrolled: 3-line block ×4, first 2 shown]
	s_cmp_eq_u32 s1, 46
	s_mov_b32 s42, 0
	s_cbranch_scc0 .LBB118_1581
; %bb.1573:
	global_load_b32 v0, v[2:3], off
	s_mov_b32 s41, -1
	s_mov_b32 s85, 0
	s_wait_loadcnt 0x0
	v_lshlrev_b32_e32 v0, 16, v0
	s_delay_alu instid0(VALU_DEP_1)
	v_cvt_i32_f32_e32 v0, v0
	s_branch .LBB118_1583
.LBB118_1574:
	s_mov_b32 s0, 0
	s_mov_b32 s1, s78
	;; [unrolled: 1-line block ×9, first 2 shown]
	s_branch .LBB118_2045
.LBB118_1575:
	s_mov_b32 s1, -1
	s_mov_b32 s41, 0
	s_mov_b32 s85, s72
                                        ; implicit-def: $vgpr0
	s_branch .LBB118_1644
.LBB118_1576:
	s_mov_b32 s42, -1
	s_mov_b32 s41, 0
	s_mov_b32 s85, s72
                                        ; implicit-def: $vgpr0
	s_branch .LBB118_1610
.LBB118_1577:
	s_mov_b32 s42, -1
	s_mov_b32 s41, 0
	s_mov_b32 s85, s72
                                        ; implicit-def: $vgpr0
	s_branch .LBB118_1593
.LBB118_1578:
	s_mov_b32 s42, -1
	s_mov_b32 s41, 0
	s_mov_b32 s85, s72
                                        ; implicit-def: $vgpr0
	s_branch .LBB118_1588
.LBB118_1579:
	s_mov_b32 s42, -1
	s_mov_b32 s41, 0
	s_mov_b32 s85, s72
	s_branch .LBB118_1582
.LBB118_1580:
	s_mov_b32 s45, -1
	s_mov_b32 s44, 0
	s_mov_b32 s41, s59
	s_branch .LBB118_3527
.LBB118_1581:
	s_mov_b32 s85, -1
	s_mov_b32 s41, 0
.LBB118_1582:
                                        ; implicit-def: $vgpr0
.LBB118_1583:
	s_and_b32 vcc_lo, exec_lo, s42
	s_cbranch_vccz .LBB118_1587
; %bb.1584:
	s_cmp_eq_u32 s1, 44
	s_cbranch_scc0 .LBB118_1586
; %bb.1585:
	global_load_u8 v0, v[2:3], off
	s_mov_b32 s85, 0
	s_mov_b32 s41, -1
	s_wait_loadcnt 0x0
	v_lshlrev_b32_e32 v1, 23, v0
	v_cmp_ne_u32_e32 vcc_lo, 0, v0
	s_delay_alu instid0(VALU_DEP_2) | instskip(NEXT) | instid1(VALU_DEP_1)
	v_cvt_i32_f32_e32 v1, v1
	v_cndmask_b32_e32 v0, 0, v1, vcc_lo
	s_branch .LBB118_1587
.LBB118_1586:
	s_mov_b32 s85, -1
                                        ; implicit-def: $vgpr0
.LBB118_1587:
	s_mov_b32 s42, 0
.LBB118_1588:
	s_delay_alu instid0(SALU_CYCLE_1)
	s_and_b32 vcc_lo, exec_lo, s42
	s_cbranch_vccz .LBB118_1592
; %bb.1589:
	s_cmp_eq_u32 s1, 29
	s_cbranch_scc0 .LBB118_1591
; %bb.1590:
	global_load_b32 v0, v[2:3], off
	s_mov_b32 s41, -1
	s_mov_b32 s85, 0
	s_branch .LBB118_1592
.LBB118_1591:
	s_mov_b32 s85, -1
                                        ; implicit-def: $vgpr0
.LBB118_1592:
	s_mov_b32 s42, 0
.LBB118_1593:
	s_delay_alu instid0(SALU_CYCLE_1)
	s_and_b32 vcc_lo, exec_lo, s42
	s_cbranch_vccz .LBB118_1609
; %bb.1594:
	s_cmp_lt_i32 s1, 27
	s_cbranch_scc1 .LBB118_1597
; %bb.1595:
	s_cmp_gt_i32 s1, 27
	s_cbranch_scc0 .LBB118_1598
; %bb.1596:
	s_wait_loadcnt 0x0
	global_load_b32 v0, v[2:3], off
	s_mov_b32 s41, 0
	s_branch .LBB118_1599
.LBB118_1597:
	s_mov_b32 s41, -1
                                        ; implicit-def: $vgpr0
	s_branch .LBB118_1602
.LBB118_1598:
	s_mov_b32 s41, -1
                                        ; implicit-def: $vgpr0
.LBB118_1599:
	s_delay_alu instid0(SALU_CYCLE_1)
	s_and_not1_b32 vcc_lo, exec_lo, s41
	s_cbranch_vccnz .LBB118_1601
; %bb.1600:
	s_wait_loadcnt 0x0
	global_load_u16 v0, v[2:3], off
.LBB118_1601:
	s_mov_b32 s41, 0
.LBB118_1602:
	s_delay_alu instid0(SALU_CYCLE_1)
	s_and_not1_b32 vcc_lo, exec_lo, s41
	s_cbranch_vccnz .LBB118_1608
; %bb.1603:
	global_load_u8 v1, v[2:3], off
	s_mov_b32 s42, 0
	s_mov_b32 s41, exec_lo
	s_wait_loadcnt 0x0
	v_cmpx_lt_i16_e32 0x7f, v1
	s_xor_b32 s41, exec_lo, s41
	s_cbranch_execz .LBB118_1620
; %bb.1604:
	v_cmp_ne_u16_e32 vcc_lo, 0x80, v1
	s_and_b32 s42, vcc_lo, exec_lo
	s_and_not1_saveexec_b32 s41, s41
	s_cbranch_execnz .LBB118_1621
.LBB118_1605:
	s_or_b32 exec_lo, exec_lo, s41
	v_mov_b32_e32 v0, 0
	s_and_saveexec_b32 s41, s42
	s_cbranch_execz .LBB118_1607
.LBB118_1606:
	v_and_b32_e32 v0, 0xffff, v1
	s_delay_alu instid0(VALU_DEP_1) | instskip(SKIP_1) | instid1(VALU_DEP_2)
	v_and_b32_e32 v4, 7, v0
	v_bfe_u32 v9, v0, 3, 4
	v_clz_i32_u32_e32 v5, v4
	s_delay_alu instid0(VALU_DEP_2) | instskip(NEXT) | instid1(VALU_DEP_2)
	v_cmp_eq_u32_e32 vcc_lo, 0, v9
	v_min_u32_e32 v5, 32, v5
	s_delay_alu instid0(VALU_DEP_1) | instskip(NEXT) | instid1(VALU_DEP_1)
	v_subrev_nc_u32_e32 v6, 28, v5
	v_dual_lshlrev_b32 v0, v6, v0 :: v_dual_sub_nc_u32 v5, 29, v5
	s_delay_alu instid0(VALU_DEP_1) | instskip(NEXT) | instid1(VALU_DEP_1)
	v_dual_lshlrev_b32 v1, 24, v1 :: v_dual_bitop2_b32 v0, 7, v0 bitop3:0x40
	v_dual_cndmask_b32 v0, v4, v0 :: v_dual_cndmask_b32 v5, v9, v5
	s_delay_alu instid0(VALU_DEP_2) | instskip(NEXT) | instid1(VALU_DEP_2)
	v_and_b32_e32 v1, 0x80000000, v1
	v_lshlrev_b32_e32 v0, 20, v0
	s_delay_alu instid0(VALU_DEP_3) | instskip(NEXT) | instid1(VALU_DEP_1)
	v_lshl_add_u32 v4, v5, 23, 0x3b800000
	v_or3_b32 v0, v1, v4, v0
	s_delay_alu instid0(VALU_DEP_1)
	v_cvt_i32_f32_e32 v0, v0
.LBB118_1607:
	s_or_b32 exec_lo, exec_lo, s41
.LBB118_1608:
	s_mov_b32 s41, -1
.LBB118_1609:
	s_mov_b32 s42, 0
.LBB118_1610:
	s_delay_alu instid0(SALU_CYCLE_1)
	s_and_b32 vcc_lo, exec_lo, s42
	s_cbranch_vccz .LBB118_1643
; %bb.1611:
	s_cmp_gt_i32 s1, 22
	s_cbranch_scc0 .LBB118_1619
; %bb.1612:
	s_cmp_lt_i32 s1, 24
	s_cbranch_scc1 .LBB118_1622
; %bb.1613:
	s_cmp_gt_i32 s1, 24
	s_cbranch_scc0 .LBB118_1623
; %bb.1614:
	global_load_u8 v1, v[2:3], off
	s_mov_b32 s42, 0
	s_mov_b32 s41, exec_lo
	s_wait_loadcnt 0x0
	v_cmpx_lt_i16_e32 0x7f, v1
	s_xor_b32 s41, exec_lo, s41
	s_cbranch_execz .LBB118_1635
; %bb.1615:
	v_cmp_ne_u16_e32 vcc_lo, 0x80, v1
	s_and_b32 s42, vcc_lo, exec_lo
	s_and_not1_saveexec_b32 s41, s41
	s_cbranch_execnz .LBB118_1636
.LBB118_1616:
	s_or_b32 exec_lo, exec_lo, s41
	v_mov_b32_e32 v0, 0
	s_and_saveexec_b32 s41, s42
	s_cbranch_execz .LBB118_1618
.LBB118_1617:
	v_and_b32_e32 v0, 0xffff, v1
	s_delay_alu instid0(VALU_DEP_1) | instskip(SKIP_1) | instid1(VALU_DEP_2)
	v_and_b32_e32 v4, 3, v0
	v_bfe_u32 v9, v0, 2, 5
	v_clz_i32_u32_e32 v5, v4
	s_delay_alu instid0(VALU_DEP_2) | instskip(NEXT) | instid1(VALU_DEP_2)
	v_cmp_eq_u32_e32 vcc_lo, 0, v9
	v_min_u32_e32 v5, 32, v5
	s_delay_alu instid0(VALU_DEP_1) | instskip(NEXT) | instid1(VALU_DEP_1)
	v_subrev_nc_u32_e32 v6, 29, v5
	v_dual_lshlrev_b32 v0, v6, v0 :: v_dual_sub_nc_u32 v5, 30, v5
	s_delay_alu instid0(VALU_DEP_1) | instskip(NEXT) | instid1(VALU_DEP_1)
	v_dual_lshlrev_b32 v1, 24, v1 :: v_dual_bitop2_b32 v0, 3, v0 bitop3:0x40
	v_dual_cndmask_b32 v0, v4, v0 :: v_dual_cndmask_b32 v5, v9, v5
	s_delay_alu instid0(VALU_DEP_2) | instskip(NEXT) | instid1(VALU_DEP_2)
	v_and_b32_e32 v1, 0x80000000, v1
	v_lshlrev_b32_e32 v0, 21, v0
	s_delay_alu instid0(VALU_DEP_3) | instskip(NEXT) | instid1(VALU_DEP_1)
	v_lshl_add_u32 v4, v5, 23, 0x37800000
	v_or3_b32 v0, v1, v4, v0
	s_delay_alu instid0(VALU_DEP_1)
	v_cvt_i32_f32_e32 v0, v0
.LBB118_1618:
	s_or_b32 exec_lo, exec_lo, s41
	s_mov_b32 s41, 0
	s_branch .LBB118_1624
.LBB118_1619:
	s_mov_b32 s42, -1
                                        ; implicit-def: $vgpr0
	s_branch .LBB118_1630
.LBB118_1620:
	s_and_not1_saveexec_b32 s41, s41
	s_cbranch_execz .LBB118_1605
.LBB118_1621:
	v_cmp_ne_u16_e32 vcc_lo, 0, v1
	s_and_not1_b32 s42, s42, exec_lo
	s_and_b32 s43, vcc_lo, exec_lo
	s_delay_alu instid0(SALU_CYCLE_1)
	s_or_b32 s42, s42, s43
	s_or_b32 exec_lo, exec_lo, s41
	v_mov_b32_e32 v0, 0
	s_and_saveexec_b32 s41, s42
	s_cbranch_execnz .LBB118_1606
	s_branch .LBB118_1607
.LBB118_1622:
	s_mov_b32 s41, -1
                                        ; implicit-def: $vgpr0
	s_branch .LBB118_1627
.LBB118_1623:
	s_mov_b32 s41, -1
                                        ; implicit-def: $vgpr0
.LBB118_1624:
	s_delay_alu instid0(SALU_CYCLE_1)
	s_and_b32 vcc_lo, exec_lo, s41
	s_cbranch_vccz .LBB118_1626
; %bb.1625:
	s_wait_loadcnt 0x0
	global_load_u8 v0, v[2:3], off
	s_wait_loadcnt 0x0
	v_lshlrev_b32_e32 v0, 24, v0
	s_delay_alu instid0(VALU_DEP_1) | instskip(NEXT) | instid1(VALU_DEP_1)
	v_and_b32_e32 v1, 0x7f000000, v0
	v_clz_i32_u32_e32 v4, v1
	v_cmp_ne_u32_e32 vcc_lo, 0, v1
	v_add_nc_u32_e32 v6, 0x1000000, v1
	s_delay_alu instid0(VALU_DEP_3) | instskip(NEXT) | instid1(VALU_DEP_1)
	v_min_u32_e32 v4, 32, v4
	v_sub_nc_u32_e64 v4, v4, 4 clamp
	s_delay_alu instid0(VALU_DEP_1) | instskip(NEXT) | instid1(VALU_DEP_1)
	v_dual_lshlrev_b32 v5, v4, v1 :: v_dual_lshlrev_b32 v4, 23, v4
	v_lshrrev_b32_e32 v5, 4, v5
	s_delay_alu instid0(VALU_DEP_1) | instskip(NEXT) | instid1(VALU_DEP_1)
	v_dual_sub_nc_u32 v4, v5, v4 :: v_dual_ashrrev_i32 v5, 8, v6
	v_add_nc_u32_e32 v4, 0x3c000000, v4
	s_delay_alu instid0(VALU_DEP_1) | instskip(NEXT) | instid1(VALU_DEP_1)
	v_and_or_b32 v4, 0x7f800000, v5, v4
	v_cndmask_b32_e32 v1, 0, v4, vcc_lo
	s_delay_alu instid0(VALU_DEP_1) | instskip(NEXT) | instid1(VALU_DEP_1)
	v_and_or_b32 v0, 0x80000000, v0, v1
	v_cvt_i32_f32_e32 v0, v0
.LBB118_1626:
	s_mov_b32 s41, 0
.LBB118_1627:
	s_delay_alu instid0(SALU_CYCLE_1)
	s_and_not1_b32 vcc_lo, exec_lo, s41
	s_cbranch_vccnz .LBB118_1629
; %bb.1628:
	s_wait_loadcnt 0x0
	global_load_u8 v0, v[2:3], off
	s_wait_loadcnt 0x0
	v_lshlrev_b32_e32 v1, 25, v0
	v_lshlrev_b16 v0, 8, v0
	s_delay_alu instid0(VALU_DEP_1) | instskip(SKIP_1) | instid1(VALU_DEP_2)
	v_and_or_b32 v5, 0x7f00, v0, 0.5
	v_bfe_i32 v0, v0, 0, 16
	v_add_f32_e32 v5, -0.5, v5
	v_lshrrev_b32_e32 v4, 4, v1
	v_cmp_gt_u32_e32 vcc_lo, 0x8000000, v1
	s_delay_alu instid0(VALU_DEP_2) | instskip(NEXT) | instid1(VALU_DEP_1)
	v_or_b32_e32 v4, 0x70000000, v4
	v_mul_f32_e32 v4, 0x7800000, v4
	s_delay_alu instid0(VALU_DEP_1) | instskip(NEXT) | instid1(VALU_DEP_1)
	v_cndmask_b32_e32 v1, v4, v5, vcc_lo
	v_and_or_b32 v0, 0x80000000, v0, v1
	s_delay_alu instid0(VALU_DEP_1)
	v_cvt_i32_f32_e32 v0, v0
.LBB118_1629:
	s_mov_b32 s42, 0
	s_mov_b32 s41, -1
.LBB118_1630:
	s_and_not1_b32 vcc_lo, exec_lo, s42
	s_cbranch_vccnz .LBB118_1643
; %bb.1631:
	s_cmp_gt_i32 s1, 14
	s_cbranch_scc0 .LBB118_1634
; %bb.1632:
	s_cmp_eq_u32 s1, 15
	s_cbranch_scc0 .LBB118_1637
; %bb.1633:
	s_wait_loadcnt 0x0
	global_load_u16 v0, v[2:3], off
	s_mov_b32 s41, -1
	s_mov_b32 s85, 0
	s_wait_loadcnt 0x0
	v_lshlrev_b32_e32 v0, 16, v0
	s_delay_alu instid0(VALU_DEP_1)
	v_cvt_i32_f32_e32 v0, v0
	s_branch .LBB118_1638
.LBB118_1634:
	s_mov_b32 s42, -1
                                        ; implicit-def: $vgpr0
	s_branch .LBB118_1639
.LBB118_1635:
	s_and_not1_saveexec_b32 s41, s41
	s_cbranch_execz .LBB118_1616
.LBB118_1636:
	v_cmp_ne_u16_e32 vcc_lo, 0, v1
	s_and_not1_b32 s42, s42, exec_lo
	s_and_b32 s43, vcc_lo, exec_lo
	s_delay_alu instid0(SALU_CYCLE_1)
	s_or_b32 s42, s42, s43
	s_or_b32 exec_lo, exec_lo, s41
	v_mov_b32_e32 v0, 0
	s_and_saveexec_b32 s41, s42
	s_cbranch_execnz .LBB118_1617
	s_branch .LBB118_1618
.LBB118_1637:
	s_mov_b32 s85, -1
                                        ; implicit-def: $vgpr0
.LBB118_1638:
	s_mov_b32 s42, 0
.LBB118_1639:
	s_delay_alu instid0(SALU_CYCLE_1)
	s_and_b32 vcc_lo, exec_lo, s42
	s_cbranch_vccz .LBB118_1643
; %bb.1640:
	s_cmp_eq_u32 s1, 11
	s_cbranch_scc0 .LBB118_1642
; %bb.1641:
	s_wait_loadcnt 0x0
	global_load_u8 v0, v[2:3], off
	s_mov_b32 s85, 0
	s_mov_b32 s41, -1
	s_wait_loadcnt 0x0
	v_cmp_ne_u16_e32 vcc_lo, 0, v0
	v_cndmask_b32_e64 v0, 0, 1, vcc_lo
	s_branch .LBB118_1643
.LBB118_1642:
	s_mov_b32 s85, -1
                                        ; implicit-def: $vgpr0
.LBB118_1643:
	s_mov_b32 s1, 0
.LBB118_1644:
	s_delay_alu instid0(SALU_CYCLE_1)
	s_and_b32 vcc_lo, exec_lo, s1
	s_cbranch_vccz .LBB118_1693
; %bb.1645:
	s_and_b32 s0, 0xffff, s0
	s_delay_alu instid0(SALU_CYCLE_1)
	s_cmp_lt_i32 s0, 5
	s_cbranch_scc1 .LBB118_1650
; %bb.1646:
	s_cmp_lt_i32 s0, 8
	s_cbranch_scc1 .LBB118_1651
; %bb.1647:
	;; [unrolled: 3-line block ×3, first 2 shown]
	s_cmp_gt_i32 s0, 9
	s_cbranch_scc0 .LBB118_1653
; %bb.1649:
	s_wait_loadcnt 0x0
	global_load_b64 v[0:1], v[2:3], off
	s_mov_b32 s1, 0
	s_wait_loadcnt 0x0
	v_cvt_i32_f64_e32 v0, v[0:1]
	s_branch .LBB118_1654
.LBB118_1650:
	s_mov_b32 s1, -1
                                        ; implicit-def: $vgpr0
	s_branch .LBB118_1672
.LBB118_1651:
	s_mov_b32 s1, -1
                                        ; implicit-def: $vgpr0
	s_branch .LBB118_1660
.LBB118_1652:
	s_mov_b32 s1, -1
                                        ; implicit-def: $vgpr0
	s_branch .LBB118_1657
.LBB118_1653:
	s_mov_b32 s1, -1
                                        ; implicit-def: $vgpr0
.LBB118_1654:
	s_delay_alu instid0(SALU_CYCLE_1)
	s_and_not1_b32 vcc_lo, exec_lo, s1
	s_cbranch_vccnz .LBB118_1656
; %bb.1655:
	s_wait_loadcnt 0x0
	global_load_b32 v0, v[2:3], off
	s_wait_loadcnt 0x0
	v_cvt_i32_f32_e32 v0, v0
.LBB118_1656:
	s_mov_b32 s1, 0
.LBB118_1657:
	s_delay_alu instid0(SALU_CYCLE_1)
	s_and_not1_b32 vcc_lo, exec_lo, s1
	s_cbranch_vccnz .LBB118_1659
; %bb.1658:
	s_wait_loadcnt 0x0
	global_load_b32 v0, v[2:3], off
	s_wait_loadcnt 0x0
	v_cvt_f32_f16_e32 v0, v0
	s_delay_alu instid0(VALU_DEP_1)
	v_cvt_i32_f32_e32 v0, v0
.LBB118_1659:
	s_mov_b32 s1, 0
.LBB118_1660:
	s_delay_alu instid0(SALU_CYCLE_1)
	s_and_not1_b32 vcc_lo, exec_lo, s1
	s_cbranch_vccnz .LBB118_1671
; %bb.1661:
	s_cmp_lt_i32 s0, 6
	s_cbranch_scc1 .LBB118_1664
; %bb.1662:
	s_cmp_gt_i32 s0, 6
	s_cbranch_scc0 .LBB118_1665
; %bb.1663:
	s_wait_loadcnt 0x0
	global_load_b64 v[0:1], v[2:3], off
	s_mov_b32 s1, 0
	s_wait_loadcnt 0x0
	v_cvt_i32_f64_e32 v0, v[0:1]
	s_branch .LBB118_1666
.LBB118_1664:
	s_mov_b32 s1, -1
                                        ; implicit-def: $vgpr0
	s_branch .LBB118_1669
.LBB118_1665:
	s_mov_b32 s1, -1
                                        ; implicit-def: $vgpr0
.LBB118_1666:
	s_delay_alu instid0(SALU_CYCLE_1)
	s_and_not1_b32 vcc_lo, exec_lo, s1
	s_cbranch_vccnz .LBB118_1668
; %bb.1667:
	s_wait_loadcnt 0x0
	global_load_b32 v0, v[2:3], off
	s_wait_loadcnt 0x0
	v_cvt_i32_f32_e32 v0, v0
.LBB118_1668:
	s_mov_b32 s1, 0
.LBB118_1669:
	s_delay_alu instid0(SALU_CYCLE_1)
	s_and_not1_b32 vcc_lo, exec_lo, s1
	s_cbranch_vccnz .LBB118_1671
; %bb.1670:
	s_wait_loadcnt 0x0
	global_load_u16 v0, v[2:3], off
	s_wait_loadcnt 0x0
	v_cvt_f32_f16_e32 v0, v0
	s_delay_alu instid0(VALU_DEP_1)
	v_cvt_i32_f32_e32 v0, v0
.LBB118_1671:
	s_mov_b32 s1, 0
.LBB118_1672:
	s_delay_alu instid0(SALU_CYCLE_1)
	s_and_not1_b32 vcc_lo, exec_lo, s1
	s_cbranch_vccnz .LBB118_1692
; %bb.1673:
	s_cmp_lt_i32 s0, 2
	s_cbranch_scc1 .LBB118_1677
; %bb.1674:
	s_cmp_lt_i32 s0, 3
	s_cbranch_scc1 .LBB118_1678
; %bb.1675:
	s_cmp_gt_i32 s0, 3
	s_cbranch_scc0 .LBB118_1679
; %bb.1676:
	s_wait_loadcnt 0x0
	global_load_b32 v0, v[2:3], off
	s_mov_b32 s1, 0
	s_branch .LBB118_1680
.LBB118_1677:
	s_mov_b32 s1, -1
                                        ; implicit-def: $vgpr0
	s_branch .LBB118_1686
.LBB118_1678:
	s_mov_b32 s1, -1
                                        ; implicit-def: $vgpr0
	s_branch .LBB118_1683
.LBB118_1679:
	s_mov_b32 s1, -1
                                        ; implicit-def: $vgpr0
.LBB118_1680:
	s_delay_alu instid0(SALU_CYCLE_1)
	s_and_not1_b32 vcc_lo, exec_lo, s1
	s_cbranch_vccnz .LBB118_1682
; %bb.1681:
	s_wait_loadcnt 0x0
	global_load_b32 v0, v[2:3], off
.LBB118_1682:
	s_mov_b32 s1, 0
.LBB118_1683:
	s_delay_alu instid0(SALU_CYCLE_1)
	s_and_not1_b32 vcc_lo, exec_lo, s1
	s_cbranch_vccnz .LBB118_1685
; %bb.1684:
	s_wait_loadcnt 0x0
	global_load_i16 v0, v[2:3], off
.LBB118_1685:
	s_mov_b32 s1, 0
.LBB118_1686:
	s_delay_alu instid0(SALU_CYCLE_1)
	s_and_not1_b32 vcc_lo, exec_lo, s1
	s_cbranch_vccnz .LBB118_1692
; %bb.1687:
	s_cmp_gt_i32 s0, 0
	s_mov_b32 s0, 0
	s_cbranch_scc0 .LBB118_1689
; %bb.1688:
	s_wait_loadcnt 0x0
	global_load_i8 v0, v[2:3], off
	s_branch .LBB118_1690
.LBB118_1689:
	s_mov_b32 s0, -1
                                        ; implicit-def: $vgpr0
.LBB118_1690:
	s_delay_alu instid0(SALU_CYCLE_1)
	s_and_not1_b32 vcc_lo, exec_lo, s0
	s_cbranch_vccnz .LBB118_1692
; %bb.1691:
	s_wait_loadcnt 0x0
	global_load_u8 v0, v[2:3], off
.LBB118_1692:
	s_mov_b32 s41, -1
.LBB118_1693:
	s_delay_alu instid0(SALU_CYCLE_1)
	s_and_not1_b32 vcc_lo, exec_lo, s41
	s_cbranch_vccnz .LBB118_1701
; %bb.1694:
	s_wait_xcnt 0x0
	v_mul_lo_u32 v2, v22, s36
	s_and_b32 s0, s3, 0xff
	s_delay_alu instid0(SALU_CYCLE_1) | instskip(NEXT) | instid1(VALU_DEP_1)
	s_cmp_lt_i32 s0, 11
	v_ashrrev_i32_e32 v3, 31, v2
	s_delay_alu instid0(VALU_DEP_1)
	v_add_nc_u64_e32 v[4:5], s[12:13], v[2:3]
	s_cbranch_scc1 .LBB118_1702
; %bb.1695:
	s_and_b32 s1, 0xffff, s0
	s_delay_alu instid0(SALU_CYCLE_1)
	s_cmp_gt_i32 s1, 25
	s_cbranch_scc0 .LBB118_1703
; %bb.1696:
	s_cmp_gt_i32 s1, 28
	s_cbranch_scc0 .LBB118_1704
; %bb.1697:
	;; [unrolled: 3-line block ×4, first 2 shown]
	s_cmp_eq_u32 s1, 46
	s_mov_b32 s42, 0
	s_cbranch_scc0 .LBB118_1708
; %bb.1700:
	global_load_b32 v1, v[4:5], off
	s_mov_b32 s41, -1
	s_mov_b32 s86, 0
	s_wait_loadcnt 0x0
	v_lshlrev_b32_e32 v1, 16, v1
	s_delay_alu instid0(VALU_DEP_1)
	v_cvt_i32_f32_e32 v2, v1
	s_branch .LBB118_1710
.LBB118_1701:
	s_mov_b32 s0, 0
	s_mov_b32 s1, s78
	;; [unrolled: 1-line block ×8, first 2 shown]
	s_branch .LBB118_2045
.LBB118_1702:
	s_mov_b32 s1, -1
	s_mov_b32 s41, 0
	s_mov_b32 s86, s75
                                        ; implicit-def: $vgpr2
	s_branch .LBB118_1771
.LBB118_1703:
	s_mov_b32 s42, -1
	s_mov_b32 s41, 0
	s_mov_b32 s86, s75
                                        ; implicit-def: $vgpr2
	s_branch .LBB118_1737
.LBB118_1704:
	s_mov_b32 s42, -1
	s_mov_b32 s41, 0
	s_mov_b32 s86, s75
                                        ; implicit-def: $vgpr2
	s_branch .LBB118_1720
.LBB118_1705:
	s_mov_b32 s42, -1
	s_mov_b32 s41, 0
	s_mov_b32 s86, s75
                                        ; implicit-def: $vgpr2
	s_branch .LBB118_1715
.LBB118_1706:
	s_mov_b32 s42, -1
	s_mov_b32 s41, 0
	s_mov_b32 s86, s75
	s_branch .LBB118_1709
.LBB118_1707:
	s_mov_b32 s45, -1
	s_mov_b32 s44, 0
	s_mov_b32 s41, s59
	s_branch .LBB118_3516
.LBB118_1708:
	s_mov_b32 s86, -1
	s_mov_b32 s41, 0
.LBB118_1709:
                                        ; implicit-def: $vgpr2
.LBB118_1710:
	s_and_b32 vcc_lo, exec_lo, s42
	s_cbranch_vccz .LBB118_1714
; %bb.1711:
	s_cmp_eq_u32 s1, 44
	s_cbranch_scc0 .LBB118_1713
; %bb.1712:
	global_load_u8 v1, v[4:5], off
	s_mov_b32 s86, 0
	s_mov_b32 s41, -1
	s_wait_loadcnt 0x0
	v_lshlrev_b32_e32 v2, 23, v1
	v_cmp_ne_u32_e32 vcc_lo, 0, v1
	s_delay_alu instid0(VALU_DEP_2) | instskip(NEXT) | instid1(VALU_DEP_1)
	v_cvt_i32_f32_e32 v2, v2
	v_cndmask_b32_e32 v2, 0, v2, vcc_lo
	s_branch .LBB118_1714
.LBB118_1713:
	s_mov_b32 s86, -1
                                        ; implicit-def: $vgpr2
.LBB118_1714:
	s_mov_b32 s42, 0
.LBB118_1715:
	s_delay_alu instid0(SALU_CYCLE_1)
	s_and_b32 vcc_lo, exec_lo, s42
	s_cbranch_vccz .LBB118_1719
; %bb.1716:
	s_cmp_eq_u32 s1, 29
	s_cbranch_scc0 .LBB118_1718
; %bb.1717:
	global_load_b32 v2, v[4:5], off
	s_mov_b32 s41, -1
	s_mov_b32 s86, 0
	s_branch .LBB118_1719
.LBB118_1718:
	s_mov_b32 s86, -1
                                        ; implicit-def: $vgpr2
.LBB118_1719:
	s_mov_b32 s42, 0
.LBB118_1720:
	s_delay_alu instid0(SALU_CYCLE_1)
	s_and_b32 vcc_lo, exec_lo, s42
	s_cbranch_vccz .LBB118_1736
; %bb.1721:
	s_cmp_lt_i32 s1, 27
	s_cbranch_scc1 .LBB118_1724
; %bb.1722:
	s_cmp_gt_i32 s1, 27
	s_cbranch_scc0 .LBB118_1725
; %bb.1723:
	s_wait_loadcnt 0x0
	global_load_b32 v2, v[4:5], off
	s_mov_b32 s41, 0
	s_branch .LBB118_1726
.LBB118_1724:
	s_mov_b32 s41, -1
                                        ; implicit-def: $vgpr2
	s_branch .LBB118_1729
.LBB118_1725:
	s_mov_b32 s41, -1
                                        ; implicit-def: $vgpr2
.LBB118_1726:
	s_delay_alu instid0(SALU_CYCLE_1)
	s_and_not1_b32 vcc_lo, exec_lo, s41
	s_cbranch_vccnz .LBB118_1728
; %bb.1727:
	s_wait_loadcnt 0x0
	global_load_u16 v2, v[4:5], off
.LBB118_1728:
	s_mov_b32 s41, 0
.LBB118_1729:
	s_delay_alu instid0(SALU_CYCLE_1)
	s_and_not1_b32 vcc_lo, exec_lo, s41
	s_cbranch_vccnz .LBB118_1735
; %bb.1730:
	global_load_u8 v1, v[4:5], off
	s_mov_b32 s42, 0
	s_mov_b32 s41, exec_lo
	s_wait_loadcnt 0x0
	v_cmpx_lt_i16_e32 0x7f, v1
	s_xor_b32 s41, exec_lo, s41
	s_cbranch_execz .LBB118_1747
; %bb.1731:
	v_cmp_ne_u16_e32 vcc_lo, 0x80, v1
	s_and_b32 s42, vcc_lo, exec_lo
	s_and_not1_saveexec_b32 s41, s41
	s_cbranch_execnz .LBB118_1748
.LBB118_1732:
	s_or_b32 exec_lo, exec_lo, s41
	v_mov_b32_e32 v2, 0
	s_and_saveexec_b32 s41, s42
	s_cbranch_execz .LBB118_1734
.LBB118_1733:
	v_and_b32_e32 v2, 0xffff, v1
	s_delay_alu instid0(VALU_DEP_1) | instskip(SKIP_1) | instid1(VALU_DEP_2)
	v_dual_lshlrev_b32 v1, 24, v1 :: v_dual_bitop2_b32 v3, 7, v2 bitop3:0x40
	v_bfe_u32 v10, v2, 3, 4
	v_and_b32_e32 v1, 0x80000000, v1
	s_delay_alu instid0(VALU_DEP_3) | instskip(NEXT) | instid1(VALU_DEP_3)
	v_clz_i32_u32_e32 v6, v3
	v_cmp_eq_u32_e32 vcc_lo, 0, v10
	s_delay_alu instid0(VALU_DEP_2) | instskip(NEXT) | instid1(VALU_DEP_1)
	v_min_u32_e32 v6, 32, v6
	v_subrev_nc_u32_e32 v9, 28, v6
	v_sub_nc_u32_e32 v6, 29, v6
	s_delay_alu instid0(VALU_DEP_2) | instskip(NEXT) | instid1(VALU_DEP_2)
	v_lshlrev_b32_e32 v2, v9, v2
	v_cndmask_b32_e32 v6, v10, v6, vcc_lo
	s_delay_alu instid0(VALU_DEP_2) | instskip(NEXT) | instid1(VALU_DEP_1)
	v_and_b32_e32 v2, 7, v2
	v_cndmask_b32_e32 v2, v3, v2, vcc_lo
	s_delay_alu instid0(VALU_DEP_3) | instskip(NEXT) | instid1(VALU_DEP_2)
	v_lshl_add_u32 v3, v6, 23, 0x3b800000
	v_lshlrev_b32_e32 v2, 20, v2
	s_delay_alu instid0(VALU_DEP_1) | instskip(NEXT) | instid1(VALU_DEP_1)
	v_or3_b32 v1, v1, v3, v2
	v_cvt_i32_f32_e32 v2, v1
.LBB118_1734:
	s_or_b32 exec_lo, exec_lo, s41
.LBB118_1735:
	s_mov_b32 s41, -1
.LBB118_1736:
	s_mov_b32 s42, 0
.LBB118_1737:
	s_delay_alu instid0(SALU_CYCLE_1)
	s_and_b32 vcc_lo, exec_lo, s42
	s_cbranch_vccz .LBB118_1770
; %bb.1738:
	s_cmp_gt_i32 s1, 22
	s_cbranch_scc0 .LBB118_1746
; %bb.1739:
	s_cmp_lt_i32 s1, 24
	s_cbranch_scc1 .LBB118_1749
; %bb.1740:
	s_cmp_gt_i32 s1, 24
	s_cbranch_scc0 .LBB118_1750
; %bb.1741:
	global_load_u8 v1, v[4:5], off
	s_mov_b32 s42, 0
	s_mov_b32 s41, exec_lo
	s_wait_loadcnt 0x0
	v_cmpx_lt_i16_e32 0x7f, v1
	s_xor_b32 s41, exec_lo, s41
	s_cbranch_execz .LBB118_1762
; %bb.1742:
	v_cmp_ne_u16_e32 vcc_lo, 0x80, v1
	s_and_b32 s42, vcc_lo, exec_lo
	s_and_not1_saveexec_b32 s41, s41
	s_cbranch_execnz .LBB118_1763
.LBB118_1743:
	s_or_b32 exec_lo, exec_lo, s41
	v_mov_b32_e32 v2, 0
	s_and_saveexec_b32 s41, s42
	s_cbranch_execz .LBB118_1745
.LBB118_1744:
	v_and_b32_e32 v2, 0xffff, v1
	s_delay_alu instid0(VALU_DEP_1) | instskip(SKIP_1) | instid1(VALU_DEP_2)
	v_dual_lshlrev_b32 v1, 24, v1 :: v_dual_bitop2_b32 v3, 3, v2 bitop3:0x40
	v_bfe_u32 v10, v2, 2, 5
	v_and_b32_e32 v1, 0x80000000, v1
	s_delay_alu instid0(VALU_DEP_3) | instskip(NEXT) | instid1(VALU_DEP_3)
	v_clz_i32_u32_e32 v6, v3
	v_cmp_eq_u32_e32 vcc_lo, 0, v10
	s_delay_alu instid0(VALU_DEP_2) | instskip(NEXT) | instid1(VALU_DEP_1)
	v_min_u32_e32 v6, 32, v6
	v_subrev_nc_u32_e32 v9, 29, v6
	v_sub_nc_u32_e32 v6, 30, v6
	s_delay_alu instid0(VALU_DEP_2) | instskip(NEXT) | instid1(VALU_DEP_2)
	v_lshlrev_b32_e32 v2, v9, v2
	v_cndmask_b32_e32 v6, v10, v6, vcc_lo
	s_delay_alu instid0(VALU_DEP_2) | instskip(NEXT) | instid1(VALU_DEP_1)
	v_and_b32_e32 v2, 3, v2
	v_cndmask_b32_e32 v2, v3, v2, vcc_lo
	s_delay_alu instid0(VALU_DEP_3) | instskip(NEXT) | instid1(VALU_DEP_2)
	v_lshl_add_u32 v3, v6, 23, 0x37800000
	v_lshlrev_b32_e32 v2, 21, v2
	s_delay_alu instid0(VALU_DEP_1) | instskip(NEXT) | instid1(VALU_DEP_1)
	v_or3_b32 v1, v1, v3, v2
	v_cvt_i32_f32_e32 v2, v1
.LBB118_1745:
	s_or_b32 exec_lo, exec_lo, s41
	s_mov_b32 s41, 0
	s_branch .LBB118_1751
.LBB118_1746:
	s_mov_b32 s42, -1
                                        ; implicit-def: $vgpr2
	s_branch .LBB118_1757
.LBB118_1747:
	s_and_not1_saveexec_b32 s41, s41
	s_cbranch_execz .LBB118_1732
.LBB118_1748:
	v_cmp_ne_u16_e32 vcc_lo, 0, v1
	s_and_not1_b32 s42, s42, exec_lo
	s_and_b32 s43, vcc_lo, exec_lo
	s_delay_alu instid0(SALU_CYCLE_1)
	s_or_b32 s42, s42, s43
	s_or_b32 exec_lo, exec_lo, s41
	v_mov_b32_e32 v2, 0
	s_and_saveexec_b32 s41, s42
	s_cbranch_execnz .LBB118_1733
	s_branch .LBB118_1734
.LBB118_1749:
	s_mov_b32 s41, -1
                                        ; implicit-def: $vgpr2
	s_branch .LBB118_1754
.LBB118_1750:
	s_mov_b32 s41, -1
                                        ; implicit-def: $vgpr2
.LBB118_1751:
	s_delay_alu instid0(SALU_CYCLE_1)
	s_and_b32 vcc_lo, exec_lo, s41
	s_cbranch_vccz .LBB118_1753
; %bb.1752:
	global_load_u8 v1, v[4:5], off
	s_wait_loadcnt 0x0
	v_lshlrev_b32_e32 v1, 24, v1
	s_delay_alu instid0(VALU_DEP_1) | instskip(NEXT) | instid1(VALU_DEP_1)
	v_and_b32_e32 v2, 0x7f000000, v1
	v_clz_i32_u32_e32 v3, v2
	v_cmp_ne_u32_e32 vcc_lo, 0, v2
	v_add_nc_u32_e32 v9, 0x1000000, v2
	s_delay_alu instid0(VALU_DEP_3) | instskip(NEXT) | instid1(VALU_DEP_1)
	v_min_u32_e32 v3, 32, v3
	v_sub_nc_u32_e64 v3, v3, 4 clamp
	s_delay_alu instid0(VALU_DEP_1) | instskip(NEXT) | instid1(VALU_DEP_1)
	v_dual_lshlrev_b32 v6, v3, v2 :: v_dual_lshlrev_b32 v3, 23, v3
	v_lshrrev_b32_e32 v6, 4, v6
	s_delay_alu instid0(VALU_DEP_1) | instskip(NEXT) | instid1(VALU_DEP_1)
	v_dual_sub_nc_u32 v3, v6, v3 :: v_dual_ashrrev_i32 v6, 8, v9
	v_add_nc_u32_e32 v3, 0x3c000000, v3
	s_delay_alu instid0(VALU_DEP_1) | instskip(NEXT) | instid1(VALU_DEP_1)
	v_and_or_b32 v3, 0x7f800000, v6, v3
	v_cndmask_b32_e32 v2, 0, v3, vcc_lo
	s_delay_alu instid0(VALU_DEP_1) | instskip(NEXT) | instid1(VALU_DEP_1)
	v_and_or_b32 v1, 0x80000000, v1, v2
	v_cvt_i32_f32_e32 v2, v1
.LBB118_1753:
	s_mov_b32 s41, 0
.LBB118_1754:
	s_delay_alu instid0(SALU_CYCLE_1)
	s_and_not1_b32 vcc_lo, exec_lo, s41
	s_cbranch_vccnz .LBB118_1756
; %bb.1755:
	global_load_u8 v1, v[4:5], off
	s_wait_loadcnt 0x0
	v_lshlrev_b32_e32 v2, 25, v1
	v_lshlrev_b16 v1, 8, v1
	s_delay_alu instid0(VALU_DEP_1) | instskip(SKIP_1) | instid1(VALU_DEP_2)
	v_and_or_b32 v6, 0x7f00, v1, 0.5
	v_bfe_i32 v1, v1, 0, 16
	v_add_f32_e32 v6, -0.5, v6
	v_lshrrev_b32_e32 v3, 4, v2
	v_cmp_gt_u32_e32 vcc_lo, 0x8000000, v2
	s_delay_alu instid0(VALU_DEP_2) | instskip(NEXT) | instid1(VALU_DEP_1)
	v_or_b32_e32 v3, 0x70000000, v3
	v_mul_f32_e32 v3, 0x7800000, v3
	s_delay_alu instid0(VALU_DEP_1) | instskip(NEXT) | instid1(VALU_DEP_1)
	v_cndmask_b32_e32 v2, v3, v6, vcc_lo
	v_and_or_b32 v1, 0x80000000, v1, v2
	s_delay_alu instid0(VALU_DEP_1)
	v_cvt_i32_f32_e32 v2, v1
.LBB118_1756:
	s_mov_b32 s42, 0
	s_mov_b32 s41, -1
.LBB118_1757:
	s_and_not1_b32 vcc_lo, exec_lo, s42
	s_cbranch_vccnz .LBB118_1770
; %bb.1758:
	s_cmp_gt_i32 s1, 14
	s_cbranch_scc0 .LBB118_1761
; %bb.1759:
	s_cmp_eq_u32 s1, 15
	s_cbranch_scc0 .LBB118_1764
; %bb.1760:
	global_load_u16 v1, v[4:5], off
	s_mov_b32 s41, -1
	s_mov_b32 s86, 0
	s_wait_loadcnt 0x0
	v_lshlrev_b32_e32 v1, 16, v1
	s_delay_alu instid0(VALU_DEP_1)
	v_cvt_i32_f32_e32 v2, v1
	s_branch .LBB118_1765
.LBB118_1761:
	s_mov_b32 s42, -1
                                        ; implicit-def: $vgpr2
	s_branch .LBB118_1766
.LBB118_1762:
	s_and_not1_saveexec_b32 s41, s41
	s_cbranch_execz .LBB118_1743
.LBB118_1763:
	v_cmp_ne_u16_e32 vcc_lo, 0, v1
	s_and_not1_b32 s42, s42, exec_lo
	s_and_b32 s43, vcc_lo, exec_lo
	s_delay_alu instid0(SALU_CYCLE_1)
	s_or_b32 s42, s42, s43
	s_or_b32 exec_lo, exec_lo, s41
	v_mov_b32_e32 v2, 0
	s_and_saveexec_b32 s41, s42
	s_cbranch_execnz .LBB118_1744
	s_branch .LBB118_1745
.LBB118_1764:
	s_mov_b32 s86, -1
                                        ; implicit-def: $vgpr2
.LBB118_1765:
	s_mov_b32 s42, 0
.LBB118_1766:
	s_delay_alu instid0(SALU_CYCLE_1)
	s_and_b32 vcc_lo, exec_lo, s42
	s_cbranch_vccz .LBB118_1770
; %bb.1767:
	s_cmp_eq_u32 s1, 11
	s_cbranch_scc0 .LBB118_1769
; %bb.1768:
	global_load_u8 v1, v[4:5], off
	s_mov_b32 s86, 0
	s_mov_b32 s41, -1
	s_wait_loadcnt 0x0
	v_cmp_ne_u16_e32 vcc_lo, 0, v1
	v_cndmask_b32_e64 v2, 0, 1, vcc_lo
	s_branch .LBB118_1770
.LBB118_1769:
	s_mov_b32 s86, -1
                                        ; implicit-def: $vgpr2
.LBB118_1770:
	s_mov_b32 s1, 0
.LBB118_1771:
	s_delay_alu instid0(SALU_CYCLE_1)
	s_and_b32 vcc_lo, exec_lo, s1
	s_cbranch_vccz .LBB118_1820
; %bb.1772:
	s_and_b32 s0, 0xffff, s0
	s_delay_alu instid0(SALU_CYCLE_1)
	s_cmp_lt_i32 s0, 5
	s_cbranch_scc1 .LBB118_1777
; %bb.1773:
	s_cmp_lt_i32 s0, 8
	s_cbranch_scc1 .LBB118_1778
; %bb.1774:
	;; [unrolled: 3-line block ×3, first 2 shown]
	s_cmp_gt_i32 s0, 9
	s_cbranch_scc0 .LBB118_1780
; %bb.1776:
	s_wait_loadcnt 0x0
	global_load_b64 v[2:3], v[4:5], off
	s_mov_b32 s1, 0
	s_wait_loadcnt 0x0
	v_cvt_i32_f64_e32 v2, v[2:3]
	s_branch .LBB118_1781
.LBB118_1777:
	s_mov_b32 s1, -1
                                        ; implicit-def: $vgpr2
	s_branch .LBB118_1799
.LBB118_1778:
	s_mov_b32 s1, -1
                                        ; implicit-def: $vgpr2
	s_branch .LBB118_1787
.LBB118_1779:
	s_mov_b32 s1, -1
                                        ; implicit-def: $vgpr2
	s_branch .LBB118_1784
.LBB118_1780:
	s_mov_b32 s1, -1
                                        ; implicit-def: $vgpr2
.LBB118_1781:
	s_delay_alu instid0(SALU_CYCLE_1)
	s_and_not1_b32 vcc_lo, exec_lo, s1
	s_cbranch_vccnz .LBB118_1783
; %bb.1782:
	global_load_b32 v1, v[4:5], off
	s_wait_loadcnt 0x0
	v_cvt_i32_f32_e32 v2, v1
.LBB118_1783:
	s_mov_b32 s1, 0
.LBB118_1784:
	s_delay_alu instid0(SALU_CYCLE_1)
	s_and_not1_b32 vcc_lo, exec_lo, s1
	s_cbranch_vccnz .LBB118_1786
; %bb.1785:
	global_load_b32 v1, v[4:5], off
	s_wait_loadcnt 0x0
	v_cvt_f32_f16_e32 v1, v1
	s_delay_alu instid0(VALU_DEP_1)
	v_cvt_i32_f32_e32 v2, v1
.LBB118_1786:
	s_mov_b32 s1, 0
.LBB118_1787:
	s_delay_alu instid0(SALU_CYCLE_1)
	s_and_not1_b32 vcc_lo, exec_lo, s1
	s_cbranch_vccnz .LBB118_1798
; %bb.1788:
	s_cmp_lt_i32 s0, 6
	s_cbranch_scc1 .LBB118_1791
; %bb.1789:
	s_cmp_gt_i32 s0, 6
	s_cbranch_scc0 .LBB118_1792
; %bb.1790:
	s_wait_loadcnt 0x0
	global_load_b64 v[2:3], v[4:5], off
	s_mov_b32 s1, 0
	s_wait_loadcnt 0x0
	v_cvt_i32_f64_e32 v2, v[2:3]
	s_branch .LBB118_1793
.LBB118_1791:
	s_mov_b32 s1, -1
                                        ; implicit-def: $vgpr2
	s_branch .LBB118_1796
.LBB118_1792:
	s_mov_b32 s1, -1
                                        ; implicit-def: $vgpr2
.LBB118_1793:
	s_delay_alu instid0(SALU_CYCLE_1)
	s_and_not1_b32 vcc_lo, exec_lo, s1
	s_cbranch_vccnz .LBB118_1795
; %bb.1794:
	global_load_b32 v1, v[4:5], off
	s_wait_loadcnt 0x0
	v_cvt_i32_f32_e32 v2, v1
.LBB118_1795:
	s_mov_b32 s1, 0
.LBB118_1796:
	s_delay_alu instid0(SALU_CYCLE_1)
	s_and_not1_b32 vcc_lo, exec_lo, s1
	s_cbranch_vccnz .LBB118_1798
; %bb.1797:
	global_load_u16 v1, v[4:5], off
	s_wait_loadcnt 0x0
	v_cvt_f32_f16_e32 v1, v1
	s_delay_alu instid0(VALU_DEP_1)
	v_cvt_i32_f32_e32 v2, v1
.LBB118_1798:
	s_mov_b32 s1, 0
.LBB118_1799:
	s_delay_alu instid0(SALU_CYCLE_1)
	s_and_not1_b32 vcc_lo, exec_lo, s1
	s_cbranch_vccnz .LBB118_1819
; %bb.1800:
	s_cmp_lt_i32 s0, 2
	s_cbranch_scc1 .LBB118_1804
; %bb.1801:
	s_cmp_lt_i32 s0, 3
	s_cbranch_scc1 .LBB118_1805
; %bb.1802:
	s_cmp_gt_i32 s0, 3
	s_cbranch_scc0 .LBB118_1806
; %bb.1803:
	s_wait_loadcnt 0x0
	global_load_b32 v2, v[4:5], off
	s_mov_b32 s1, 0
	s_branch .LBB118_1807
.LBB118_1804:
	s_mov_b32 s1, -1
                                        ; implicit-def: $vgpr2
	s_branch .LBB118_1813
.LBB118_1805:
	s_mov_b32 s1, -1
                                        ; implicit-def: $vgpr2
	s_branch .LBB118_1810
.LBB118_1806:
	s_mov_b32 s1, -1
                                        ; implicit-def: $vgpr2
.LBB118_1807:
	s_delay_alu instid0(SALU_CYCLE_1)
	s_and_not1_b32 vcc_lo, exec_lo, s1
	s_cbranch_vccnz .LBB118_1809
; %bb.1808:
	s_wait_loadcnt 0x0
	global_load_b32 v2, v[4:5], off
.LBB118_1809:
	s_mov_b32 s1, 0
.LBB118_1810:
	s_delay_alu instid0(SALU_CYCLE_1)
	s_and_not1_b32 vcc_lo, exec_lo, s1
	s_cbranch_vccnz .LBB118_1812
; %bb.1811:
	s_wait_loadcnt 0x0
	global_load_i16 v2, v[4:5], off
.LBB118_1812:
	s_mov_b32 s1, 0
.LBB118_1813:
	s_delay_alu instid0(SALU_CYCLE_1)
	s_and_not1_b32 vcc_lo, exec_lo, s1
	s_cbranch_vccnz .LBB118_1819
; %bb.1814:
	s_cmp_gt_i32 s0, 0
	s_mov_b32 s0, 0
	s_cbranch_scc0 .LBB118_1816
; %bb.1815:
	s_wait_loadcnt 0x0
	global_load_i8 v2, v[4:5], off
	s_branch .LBB118_1817
.LBB118_1816:
	s_mov_b32 s0, -1
                                        ; implicit-def: $vgpr2
.LBB118_1817:
	s_delay_alu instid0(SALU_CYCLE_1)
	s_and_not1_b32 vcc_lo, exec_lo, s0
	s_cbranch_vccnz .LBB118_1819
; %bb.1818:
	s_wait_loadcnt 0x0
	global_load_u8 v2, v[4:5], off
.LBB118_1819:
	s_mov_b32 s41, -1
.LBB118_1820:
	s_delay_alu instid0(SALU_CYCLE_1)
	s_and_not1_b32 vcc_lo, exec_lo, s41
	s_cbranch_vccnz .LBB118_1828
; %bb.1821:
	s_wait_xcnt 0x0
	v_mul_lo_u32 v4, v22, s37
	s_and_b32 s0, s21, 0xff
	s_delay_alu instid0(SALU_CYCLE_1) | instskip(NEXT) | instid1(VALU_DEP_1)
	s_cmp_lt_i32 s0, 11
	v_ashrrev_i32_e32 v5, 31, v4
	s_delay_alu instid0(VALU_DEP_1)
	v_add_nc_u64_e32 v[4:5], s[14:15], v[4:5]
	s_cbranch_scc1 .LBB118_1829
; %bb.1822:
	s_and_b32 s1, 0xffff, s0
	s_delay_alu instid0(SALU_CYCLE_1)
	s_cmp_gt_i32 s1, 25
	s_cbranch_scc0 .LBB118_1830
; %bb.1823:
	s_cmp_gt_i32 s1, 28
	s_cbranch_scc0 .LBB118_1831
; %bb.1824:
	;; [unrolled: 3-line block ×4, first 2 shown]
	s_cmp_eq_u32 s1, 46
	s_mov_b32 s42, 0
	s_cbranch_scc0 .LBB118_1921
; %bb.1827:
	global_load_b32 v1, v[4:5], off
	s_mov_b32 s41, -1
	s_mov_b32 s87, 0
	s_wait_loadcnt 0x0
	v_lshlrev_b32_e32 v1, 16, v1
	s_delay_alu instid0(VALU_DEP_1)
	v_cvt_i32_f32_e32 v6, v1
	s_branch .LBB118_1923
.LBB118_1828:
	s_mov_b32 s0, 0
	s_mov_b32 s1, s78
	;; [unrolled: 1-line block ×7, first 2 shown]
	s_branch .LBB118_2045
.LBB118_1829:
	s_mov_b32 s1, -1
	s_mov_b32 s41, 0
	s_mov_b32 s87, s74
                                        ; implicit-def: $vgpr6
	s_branch .LBB118_1984
.LBB118_1830:
	s_mov_b32 s42, -1
	s_mov_b32 s41, 0
	s_mov_b32 s87, s74
                                        ; implicit-def: $vgpr6
	s_branch .LBB118_1950
.LBB118_1831:
	s_mov_b32 s42, -1
	s_mov_b32 s41, 0
	s_mov_b32 s87, s74
                                        ; implicit-def: $vgpr6
	s_branch .LBB118_1933
.LBB118_1832:
	s_mov_b32 s42, -1
	s_mov_b32 s41, 0
	s_mov_b32 s87, s74
                                        ; implicit-def: $vgpr6
	s_branch .LBB118_1928
.LBB118_1833:
	s_mov_b32 s42, -1
	s_mov_b32 s41, 0
	s_mov_b32 s87, s74
	s_branch .LBB118_1922
.LBB118_1834:
	s_mov_b32 s45, -1
	s_mov_b32 s41, 0
	s_mov_b32 s44, 0
.LBB118_1835:
	s_and_b32 vcc_lo, exec_lo, s45
	s_cbranch_vccz .LBB118_1838
; %bb.1836:
	s_cmp_eq_u32 s43, 44
	s_mov_b32 s41, -1
	s_cbranch_scc0 .LBB118_1838
; %bb.1837:
	s_wait_xcnt 0x0
	v_mov_b32_e32 v2, 0
	s_mov_b32 s44, -1
	s_mov_b32 s41, 0
	s_mov_b32 s45, 0
	global_store_b8 v[0:1], v2, off
	s_branch .LBB118_1839
.LBB118_1838:
	s_mov_b32 s45, 0
.LBB118_1839:
	s_delay_alu instid0(SALU_CYCLE_1)
	s_and_b32 vcc_lo, exec_lo, s45
	s_cbranch_vccz .LBB118_1842
; %bb.1840:
	s_cmp_eq_u32 s43, 29
	s_mov_b32 s41, -1
	s_cbranch_scc0 .LBB118_1842
; %bb.1841:
	s_wait_xcnt 0x0
	v_mov_b64_e32 v[2:3], 0
	s_mov_b32 s44, -1
	s_mov_b32 s41, 0
	s_mov_b32 s45, 0
	global_store_b64 v[0:1], v[2:3], off
	s_branch .LBB118_1843
.LBB118_1842:
	s_mov_b32 s45, 0
.LBB118_1843:
	s_delay_alu instid0(SALU_CYCLE_1)
	s_and_b32 vcc_lo, exec_lo, s45
	s_cbranch_vccz .LBB118_1853
; %bb.1844:
	s_cmp_lt_i32 s43, 27
	s_mov_b32 s44, -1
	s_cbranch_scc1 .LBB118_1850
; %bb.1845:
	s_cmp_gt_i32 s43, 27
	s_cbranch_scc0 .LBB118_1847
; %bb.1846:
	s_wait_xcnt 0x0
	v_mov_b32_e32 v2, 0
	s_mov_b32 s44, 0
	global_store_b32 v[0:1], v2, off
.LBB118_1847:
	s_and_not1_b32 vcc_lo, exec_lo, s44
	s_cbranch_vccnz .LBB118_1849
; %bb.1848:
	s_wait_xcnt 0x0
	v_mov_b32_e32 v2, 0
	global_store_b16 v[0:1], v2, off
.LBB118_1849:
	s_mov_b32 s44, 0
.LBB118_1850:
	s_delay_alu instid0(SALU_CYCLE_1)
	s_and_not1_b32 vcc_lo, exec_lo, s44
	s_cbranch_vccnz .LBB118_1852
; %bb.1851:
	s_wait_xcnt 0x0
	v_mov_b32_e32 v2, 0
	global_store_b8 v[0:1], v2, off
.LBB118_1852:
	s_mov_b32 s44, -1
.LBB118_1853:
	s_mov_b32 s45, 0
.LBB118_1854:
	s_delay_alu instid0(SALU_CYCLE_1)
	s_and_b32 vcc_lo, exec_lo, s45
	s_cbranch_vccz .LBB118_1873
; %bb.1855:
	s_cmp_gt_i32 s43, 22
	s_mov_b32 s45, -1
	s_cbranch_scc0 .LBB118_1865
; %bb.1856:
	s_cmp_lt_i32 s43, 24
	s_mov_b32 s44, -1
	s_cbranch_scc1 .LBB118_1862
; %bb.1857:
	s_cmp_gt_i32 s43, 24
	s_cbranch_scc0 .LBB118_1859
; %bb.1858:
	s_wait_xcnt 0x0
	v_mov_b32_e32 v2, 0
	s_mov_b32 s44, 0
	global_store_b8 v[0:1], v2, off
.LBB118_1859:
	s_and_not1_b32 vcc_lo, exec_lo, s44
	s_cbranch_vccnz .LBB118_1861
; %bb.1860:
	s_wait_xcnt 0x0
	v_mov_b32_e32 v2, 0
	global_store_b8 v[0:1], v2, off
.LBB118_1861:
	s_mov_b32 s44, 0
.LBB118_1862:
	s_delay_alu instid0(SALU_CYCLE_1)
	s_and_not1_b32 vcc_lo, exec_lo, s44
	s_cbranch_vccnz .LBB118_1864
; %bb.1863:
	s_wait_xcnt 0x0
	v_mov_b32_e32 v2, 0
	global_store_b8 v[0:1], v2, off
.LBB118_1864:
	s_mov_b32 s45, 0
	s_mov_b32 s44, -1
.LBB118_1865:
	s_and_not1_b32 vcc_lo, exec_lo, s45
	s_cbranch_vccnz .LBB118_1873
; %bb.1866:
	s_cmp_gt_i32 s43, 14
	s_mov_b32 s45, -1
	s_cbranch_scc0 .LBB118_1870
; %bb.1867:
	s_cmp_eq_u32 s43, 15
	s_mov_b32 s41, -1
	s_cbranch_scc0 .LBB118_1869
; %bb.1868:
	s_wait_xcnt 0x0
	v_mov_b32_e32 v2, 0
	s_mov_b32 s44, -1
	s_mov_b32 s41, 0
	global_store_b16 v[0:1], v2, off
.LBB118_1869:
	s_mov_b32 s45, 0
.LBB118_1870:
	s_delay_alu instid0(SALU_CYCLE_1)
	s_and_b32 vcc_lo, exec_lo, s45
	s_cbranch_vccz .LBB118_1873
; %bb.1871:
	s_cmp_eq_u32 s43, 11
	s_mov_b32 s41, -1
	s_cbranch_scc0 .LBB118_1873
; %bb.1872:
	s_wait_xcnt 0x0
	v_mov_b32_e32 v2, 0
	s_mov_b32 s44, -1
	s_mov_b32 s41, 0
	global_store_b8 v[0:1], v2, off
.LBB118_1873:
	s_mov_b32 s43, 0
.LBB118_1874:
	s_delay_alu instid0(SALU_CYCLE_1)
	s_and_b32 vcc_lo, exec_lo, s43
	s_cbranch_vccz .LBB118_1913
; %bb.1875:
	s_and_b32 s42, 0xffff, s42
	s_mov_b32 s43, -1
	s_cmp_lt_i32 s42, 5
	s_cbranch_scc1 .LBB118_1896
; %bb.1876:
	s_cmp_lt_i32 s42, 8
	s_cbranch_scc1 .LBB118_1886
; %bb.1877:
	;; [unrolled: 3-line block ×3, first 2 shown]
	s_cmp_gt_i32 s42, 9
	s_cbranch_scc0 .LBB118_1880
; %bb.1879:
	s_wait_xcnt 0x0
	v_mov_b32_e32 v2, 0
	s_mov_b32 s43, 0
	s_delay_alu instid0(VALU_DEP_1)
	v_dual_mov_b32 v3, v2 :: v_dual_mov_b32 v4, v2
	v_mov_b32_e32 v5, v2
	global_store_b128 v[0:1], v[2:5], off
.LBB118_1880:
	s_and_not1_b32 vcc_lo, exec_lo, s43
	s_cbranch_vccnz .LBB118_1882
; %bb.1881:
	s_wait_xcnt 0x0
	v_mov_b64_e32 v[2:3], 0
	global_store_b64 v[0:1], v[2:3], off
.LBB118_1882:
	s_mov_b32 s43, 0
.LBB118_1883:
	s_delay_alu instid0(SALU_CYCLE_1)
	s_and_not1_b32 vcc_lo, exec_lo, s43
	s_cbranch_vccnz .LBB118_1885
; %bb.1884:
	s_wait_xcnt 0x0
	v_mov_b32_e32 v2, 0
	global_store_b32 v[0:1], v2, off
.LBB118_1885:
	s_mov_b32 s43, 0
.LBB118_1886:
	s_delay_alu instid0(SALU_CYCLE_1)
	s_and_not1_b32 vcc_lo, exec_lo, s43
	s_cbranch_vccnz .LBB118_1895
; %bb.1887:
	s_cmp_lt_i32 s42, 6
	s_mov_b32 s43, -1
	s_cbranch_scc1 .LBB118_1893
; %bb.1888:
	s_cmp_gt_i32 s42, 6
	s_cbranch_scc0 .LBB118_1890
; %bb.1889:
	s_wait_xcnt 0x0
	v_mov_b64_e32 v[2:3], 0
	s_mov_b32 s43, 0
	global_store_b64 v[0:1], v[2:3], off
.LBB118_1890:
	s_and_not1_b32 vcc_lo, exec_lo, s43
	s_cbranch_vccnz .LBB118_1892
; %bb.1891:
	s_wait_xcnt 0x0
	v_mov_b32_e32 v2, 0
	global_store_b32 v[0:1], v2, off
.LBB118_1892:
	s_mov_b32 s43, 0
.LBB118_1893:
	s_delay_alu instid0(SALU_CYCLE_1)
	s_and_not1_b32 vcc_lo, exec_lo, s43
	s_cbranch_vccnz .LBB118_1895
; %bb.1894:
	s_wait_xcnt 0x0
	v_mov_b32_e32 v2, 0
	global_store_b16 v[0:1], v2, off
.LBB118_1895:
	s_mov_b32 s43, 0
.LBB118_1896:
	s_delay_alu instid0(SALU_CYCLE_1)
	s_and_not1_b32 vcc_lo, exec_lo, s43
	s_cbranch_vccnz .LBB118_1912
; %bb.1897:
	s_cmp_lt_i32 s42, 2
	s_mov_b32 s43, -1
	s_cbranch_scc1 .LBB118_1907
; %bb.1898:
	s_cmp_lt_i32 s42, 3
	s_cbranch_scc1 .LBB118_1904
; %bb.1899:
	s_cmp_gt_i32 s42, 3
	s_cbranch_scc0 .LBB118_1901
; %bb.1900:
	s_wait_xcnt 0x0
	v_mov_b64_e32 v[2:3], 0
	s_mov_b32 s43, 0
	global_store_b64 v[0:1], v[2:3], off
.LBB118_1901:
	s_and_not1_b32 vcc_lo, exec_lo, s43
	s_cbranch_vccnz .LBB118_1903
; %bb.1902:
	s_wait_xcnt 0x0
	v_mov_b32_e32 v2, 0
	global_store_b32 v[0:1], v2, off
.LBB118_1903:
	s_mov_b32 s43, 0
.LBB118_1904:
	s_delay_alu instid0(SALU_CYCLE_1)
	s_and_not1_b32 vcc_lo, exec_lo, s43
	s_cbranch_vccnz .LBB118_1906
; %bb.1905:
	s_wait_xcnt 0x0
	v_mov_b32_e32 v2, 0
	global_store_b16 v[0:1], v2, off
.LBB118_1906:
	s_mov_b32 s43, 0
.LBB118_1907:
	s_delay_alu instid0(SALU_CYCLE_1)
	s_and_not1_b32 vcc_lo, exec_lo, s43
	s_cbranch_vccnz .LBB118_1912
; %bb.1908:
	s_cmp_gt_i32 s42, 0
	s_mov_b32 s42, -1
	s_cbranch_scc0 .LBB118_1910
; %bb.1909:
	s_wait_xcnt 0x0
	v_mov_b32_e32 v2, 0
	s_mov_b32 s42, 0
	global_store_b8 v[0:1], v2, off
.LBB118_1910:
	s_and_not1_b32 vcc_lo, exec_lo, s42
	s_cbranch_vccnz .LBB118_1912
; %bb.1911:
	s_wait_xcnt 0x0
	v_mov_b32_e32 v2, 0
	global_store_b8 v[0:1], v2, off
.LBB118_1912:
	s_mov_b32 s44, -1
.LBB118_1913:
	s_delay_alu instid0(SALU_CYCLE_1)
	s_and_not1_b32 vcc_lo, exec_lo, s44
	s_cbranch_vccnz .LBB118_1915
; %bb.1914:
	v_add_nc_u32_e32 v22, 0x80, v22
	s_mov_b32 s43, -1
	s_branch .LBB118_1916
.LBB118_1915:
	s_mov_b32 s43, 0
                                        ; implicit-def: $vgpr22
.LBB118_1916:
	s_and_b32 s42, s41, exec_lo
	s_and_not1_b32 s0, s0, exec_lo
	s_and_b32 s41, s43, exec_lo
.LBB118_1917:
	s_wait_xcnt 0x0
	s_or_b32 exec_lo, exec_lo, s1
	s_delay_alu instid0(SALU_CYCLE_1)
	s_and_b32 s42, s42, exec_lo
	s_and_b32 s0, s0, exec_lo
	s_xor_b32 s1, exec_lo, -1
	s_and_b32 s41, s41, exec_lo
.LBB118_1918:
	s_or_b32 exec_lo, exec_lo, s62
	s_delay_alu instid0(SALU_CYCLE_1)
	s_and_b32 s44, s42, exec_lo
	s_and_b32 s43, s0, exec_lo
	;; [unrolled: 1-line block ×3, first 2 shown]
	s_xor_b32 s1, exec_lo, -1
	s_and_b32 s0, s41, exec_lo
.LBB118_1919:
	s_or_b32 exec_lo, exec_lo, s61
	s_delay_alu instid0(SALU_CYCLE_1)
	s_and_b32 s44, s44, exec_lo
	s_and_b32 s43, s43, exec_lo
	;; [unrolled: 1-line block ×4, first 2 shown]
	s_xor_b32 s1, exec_lo, -1
	s_and_b32 s0, s0, exec_lo
	s_or_b32 exec_lo, exec_lo, s59
	s_branch .LBB118_629
.LBB118_1920:
	s_mov_b32 s45, -1
	s_mov_b32 s44, 0
	s_mov_b32 s41, s59
	s_branch .LBB118_3512
.LBB118_1921:
	s_mov_b32 s87, -1
	s_mov_b32 s41, 0
.LBB118_1922:
                                        ; implicit-def: $vgpr6
.LBB118_1923:
	s_and_b32 vcc_lo, exec_lo, s42
	s_cbranch_vccz .LBB118_1927
; %bb.1924:
	s_cmp_eq_u32 s1, 44
	s_cbranch_scc0 .LBB118_1926
; %bb.1925:
	global_load_u8 v1, v[4:5], off
	s_mov_b32 s87, 0
	s_mov_b32 s41, -1
	s_wait_loadcnt 0x0
	v_lshlrev_b32_e32 v3, 23, v1
	v_cmp_ne_u32_e32 vcc_lo, 0, v1
	s_delay_alu instid0(VALU_DEP_2) | instskip(NEXT) | instid1(VALU_DEP_1)
	v_cvt_i32_f32_e32 v3, v3
	v_cndmask_b32_e32 v6, 0, v3, vcc_lo
	s_branch .LBB118_1927
.LBB118_1926:
	s_mov_b32 s87, -1
                                        ; implicit-def: $vgpr6
.LBB118_1927:
	s_mov_b32 s42, 0
.LBB118_1928:
	s_delay_alu instid0(SALU_CYCLE_1)
	s_and_b32 vcc_lo, exec_lo, s42
	s_cbranch_vccz .LBB118_1932
; %bb.1929:
	s_cmp_eq_u32 s1, 29
	s_cbranch_scc0 .LBB118_1931
; %bb.1930:
	global_load_b32 v6, v[4:5], off
	s_mov_b32 s41, -1
	s_mov_b32 s87, 0
	s_branch .LBB118_1932
.LBB118_1931:
	s_mov_b32 s87, -1
                                        ; implicit-def: $vgpr6
.LBB118_1932:
	s_mov_b32 s42, 0
.LBB118_1933:
	s_delay_alu instid0(SALU_CYCLE_1)
	s_and_b32 vcc_lo, exec_lo, s42
	s_cbranch_vccz .LBB118_1949
; %bb.1934:
	s_cmp_lt_i32 s1, 27
	s_cbranch_scc1 .LBB118_1937
; %bb.1935:
	s_cmp_gt_i32 s1, 27
	s_cbranch_scc0 .LBB118_1938
; %bb.1936:
	s_wait_loadcnt 0x0
	global_load_b32 v6, v[4:5], off
	s_mov_b32 s41, 0
	s_branch .LBB118_1939
.LBB118_1937:
	s_mov_b32 s41, -1
                                        ; implicit-def: $vgpr6
	s_branch .LBB118_1942
.LBB118_1938:
	s_mov_b32 s41, -1
                                        ; implicit-def: $vgpr6
.LBB118_1939:
	s_delay_alu instid0(SALU_CYCLE_1)
	s_and_not1_b32 vcc_lo, exec_lo, s41
	s_cbranch_vccnz .LBB118_1941
; %bb.1940:
	s_wait_loadcnt 0x0
	global_load_u16 v6, v[4:5], off
.LBB118_1941:
	s_mov_b32 s41, 0
.LBB118_1942:
	s_delay_alu instid0(SALU_CYCLE_1)
	s_and_not1_b32 vcc_lo, exec_lo, s41
	s_cbranch_vccnz .LBB118_1948
; %bb.1943:
	global_load_u8 v1, v[4:5], off
	s_mov_b32 s42, 0
	s_mov_b32 s41, exec_lo
	s_wait_loadcnt 0x0
	v_cmpx_lt_i16_e32 0x7f, v1
	s_xor_b32 s41, exec_lo, s41
	s_cbranch_execz .LBB118_1960
; %bb.1944:
	v_cmp_ne_u16_e32 vcc_lo, 0x80, v1
	s_and_b32 s42, vcc_lo, exec_lo
	s_and_not1_saveexec_b32 s41, s41
	s_cbranch_execnz .LBB118_1961
.LBB118_1945:
	s_or_b32 exec_lo, exec_lo, s41
	v_mov_b32_e32 v6, 0
	s_and_saveexec_b32 s41, s42
	s_cbranch_execz .LBB118_1947
.LBB118_1946:
	v_and_b32_e32 v3, 0xffff, v1
	s_delay_alu instid0(VALU_DEP_1) | instskip(SKIP_1) | instid1(VALU_DEP_2)
	v_and_b32_e32 v6, 7, v3
	v_bfe_u32 v11, v3, 3, 4
	v_clz_i32_u32_e32 v9, v6
	s_delay_alu instid0(VALU_DEP_2) | instskip(NEXT) | instid1(VALU_DEP_2)
	v_cmp_eq_u32_e32 vcc_lo, 0, v11
	v_min_u32_e32 v9, 32, v9
	s_delay_alu instid0(VALU_DEP_1) | instskip(NEXT) | instid1(VALU_DEP_1)
	v_subrev_nc_u32_e32 v10, 28, v9
	v_dual_lshlrev_b32 v3, v10, v3 :: v_dual_sub_nc_u32 v9, 29, v9
	s_delay_alu instid0(VALU_DEP_1) | instskip(NEXT) | instid1(VALU_DEP_1)
	v_dual_lshlrev_b32 v1, 24, v1 :: v_dual_bitop2_b32 v3, 7, v3 bitop3:0x40
	v_dual_cndmask_b32 v3, v6, v3, vcc_lo :: v_dual_cndmask_b32 v9, v11, v9, vcc_lo
	s_delay_alu instid0(VALU_DEP_2) | instskip(NEXT) | instid1(VALU_DEP_2)
	v_and_b32_e32 v1, 0x80000000, v1
	v_lshlrev_b32_e32 v3, 20, v3
	s_delay_alu instid0(VALU_DEP_3) | instskip(NEXT) | instid1(VALU_DEP_1)
	v_lshl_add_u32 v6, v9, 23, 0x3b800000
	v_or3_b32 v1, v1, v6, v3
	s_delay_alu instid0(VALU_DEP_1)
	v_cvt_i32_f32_e32 v6, v1
.LBB118_1947:
	s_or_b32 exec_lo, exec_lo, s41
.LBB118_1948:
	s_mov_b32 s41, -1
.LBB118_1949:
	s_mov_b32 s42, 0
.LBB118_1950:
	s_delay_alu instid0(SALU_CYCLE_1)
	s_and_b32 vcc_lo, exec_lo, s42
	s_cbranch_vccz .LBB118_1983
; %bb.1951:
	s_cmp_gt_i32 s1, 22
	s_cbranch_scc0 .LBB118_1959
; %bb.1952:
	s_cmp_lt_i32 s1, 24
	s_cbranch_scc1 .LBB118_1962
; %bb.1953:
	s_cmp_gt_i32 s1, 24
	s_cbranch_scc0 .LBB118_1963
; %bb.1954:
	global_load_u8 v1, v[4:5], off
	s_mov_b32 s42, 0
	s_mov_b32 s41, exec_lo
	s_wait_loadcnt 0x0
	v_cmpx_lt_i16_e32 0x7f, v1
	s_xor_b32 s41, exec_lo, s41
	s_cbranch_execz .LBB118_1975
; %bb.1955:
	v_cmp_ne_u16_e32 vcc_lo, 0x80, v1
	s_and_b32 s42, vcc_lo, exec_lo
	s_and_not1_saveexec_b32 s41, s41
	s_cbranch_execnz .LBB118_1976
.LBB118_1956:
	s_or_b32 exec_lo, exec_lo, s41
	v_mov_b32_e32 v6, 0
	s_and_saveexec_b32 s41, s42
	s_cbranch_execz .LBB118_1958
.LBB118_1957:
	v_and_b32_e32 v3, 0xffff, v1
	s_delay_alu instid0(VALU_DEP_1) | instskip(SKIP_1) | instid1(VALU_DEP_2)
	v_and_b32_e32 v6, 3, v3
	v_bfe_u32 v11, v3, 2, 5
	v_clz_i32_u32_e32 v9, v6
	s_delay_alu instid0(VALU_DEP_2) | instskip(NEXT) | instid1(VALU_DEP_2)
	v_cmp_eq_u32_e32 vcc_lo, 0, v11
	v_min_u32_e32 v9, 32, v9
	s_delay_alu instid0(VALU_DEP_1) | instskip(NEXT) | instid1(VALU_DEP_1)
	v_subrev_nc_u32_e32 v10, 29, v9
	v_dual_lshlrev_b32 v3, v10, v3 :: v_dual_sub_nc_u32 v9, 30, v9
	s_delay_alu instid0(VALU_DEP_1) | instskip(NEXT) | instid1(VALU_DEP_1)
	v_dual_lshlrev_b32 v1, 24, v1 :: v_dual_bitop2_b32 v3, 3, v3 bitop3:0x40
	v_dual_cndmask_b32 v3, v6, v3, vcc_lo :: v_dual_cndmask_b32 v9, v11, v9, vcc_lo
	s_delay_alu instid0(VALU_DEP_2) | instskip(NEXT) | instid1(VALU_DEP_2)
	v_and_b32_e32 v1, 0x80000000, v1
	v_lshlrev_b32_e32 v3, 21, v3
	s_delay_alu instid0(VALU_DEP_3) | instskip(NEXT) | instid1(VALU_DEP_1)
	v_lshl_add_u32 v6, v9, 23, 0x37800000
	v_or3_b32 v1, v1, v6, v3
	s_delay_alu instid0(VALU_DEP_1)
	v_cvt_i32_f32_e32 v6, v1
.LBB118_1958:
	s_or_b32 exec_lo, exec_lo, s41
	s_mov_b32 s41, 0
	s_branch .LBB118_1964
.LBB118_1959:
	s_mov_b32 s42, -1
                                        ; implicit-def: $vgpr6
	s_branch .LBB118_1970
.LBB118_1960:
	s_and_not1_saveexec_b32 s41, s41
	s_cbranch_execz .LBB118_1945
.LBB118_1961:
	v_cmp_ne_u16_e32 vcc_lo, 0, v1
	s_and_not1_b32 s42, s42, exec_lo
	s_and_b32 s43, vcc_lo, exec_lo
	s_delay_alu instid0(SALU_CYCLE_1)
	s_or_b32 s42, s42, s43
	s_or_b32 exec_lo, exec_lo, s41
	v_mov_b32_e32 v6, 0
	s_and_saveexec_b32 s41, s42
	s_cbranch_execnz .LBB118_1946
	s_branch .LBB118_1947
.LBB118_1962:
	s_mov_b32 s41, -1
                                        ; implicit-def: $vgpr6
	s_branch .LBB118_1967
.LBB118_1963:
	s_mov_b32 s41, -1
                                        ; implicit-def: $vgpr6
.LBB118_1964:
	s_delay_alu instid0(SALU_CYCLE_1)
	s_and_b32 vcc_lo, exec_lo, s41
	s_cbranch_vccz .LBB118_1966
; %bb.1965:
	global_load_u8 v1, v[4:5], off
	s_wait_loadcnt 0x0
	v_lshlrev_b32_e32 v1, 24, v1
	s_delay_alu instid0(VALU_DEP_1) | instskip(NEXT) | instid1(VALU_DEP_1)
	v_and_b32_e32 v3, 0x7f000000, v1
	v_clz_i32_u32_e32 v6, v3
	v_cmp_ne_u32_e32 vcc_lo, 0, v3
	v_add_nc_u32_e32 v10, 0x1000000, v3
	s_delay_alu instid0(VALU_DEP_3) | instskip(NEXT) | instid1(VALU_DEP_1)
	v_min_u32_e32 v6, 32, v6
	v_sub_nc_u32_e64 v6, v6, 4 clamp
	s_delay_alu instid0(VALU_DEP_1) | instskip(NEXT) | instid1(VALU_DEP_1)
	v_dual_lshlrev_b32 v9, v6, v3 :: v_dual_lshlrev_b32 v6, 23, v6
	v_lshrrev_b32_e32 v9, 4, v9
	s_delay_alu instid0(VALU_DEP_1) | instskip(SKIP_1) | instid1(VALU_DEP_2)
	v_sub_nc_u32_e32 v6, v9, v6
	v_ashrrev_i32_e32 v9, 8, v10
	v_add_nc_u32_e32 v6, 0x3c000000, v6
	s_delay_alu instid0(VALU_DEP_1) | instskip(NEXT) | instid1(VALU_DEP_1)
	v_and_or_b32 v6, 0x7f800000, v9, v6
	v_cndmask_b32_e32 v3, 0, v6, vcc_lo
	s_delay_alu instid0(VALU_DEP_1) | instskip(NEXT) | instid1(VALU_DEP_1)
	v_and_or_b32 v1, 0x80000000, v1, v3
	v_cvt_i32_f32_e32 v6, v1
.LBB118_1966:
	s_mov_b32 s41, 0
.LBB118_1967:
	s_delay_alu instid0(SALU_CYCLE_1)
	s_and_not1_b32 vcc_lo, exec_lo, s41
	s_cbranch_vccnz .LBB118_1969
; %bb.1968:
	global_load_u8 v1, v[4:5], off
	s_wait_loadcnt 0x0
	v_lshlrev_b32_e32 v3, 25, v1
	v_lshlrev_b16 v1, 8, v1
	s_delay_alu instid0(VALU_DEP_1) | instskip(NEXT) | instid1(VALU_DEP_3)
	v_and_or_b32 v9, 0x7f00, v1, 0.5
	v_lshrrev_b32_e32 v6, 4, v3
	v_bfe_i32 v1, v1, 0, 16
	s_delay_alu instid0(VALU_DEP_3) | instskip(NEXT) | instid1(VALU_DEP_3)
	v_add_f32_e32 v9, -0.5, v9
	v_or_b32_e32 v6, 0x70000000, v6
	s_delay_alu instid0(VALU_DEP_1) | instskip(SKIP_1) | instid1(VALU_DEP_2)
	v_mul_f32_e32 v6, 0x7800000, v6
	v_cmp_gt_u32_e32 vcc_lo, 0x8000000, v3
	v_cndmask_b32_e32 v3, v6, v9, vcc_lo
	s_delay_alu instid0(VALU_DEP_1) | instskip(NEXT) | instid1(VALU_DEP_1)
	v_and_or_b32 v1, 0x80000000, v1, v3
	v_cvt_i32_f32_e32 v6, v1
.LBB118_1969:
	s_mov_b32 s42, 0
	s_mov_b32 s41, -1
.LBB118_1970:
	s_and_not1_b32 vcc_lo, exec_lo, s42
	s_cbranch_vccnz .LBB118_1983
; %bb.1971:
	s_cmp_gt_i32 s1, 14
	s_cbranch_scc0 .LBB118_1974
; %bb.1972:
	s_cmp_eq_u32 s1, 15
	s_cbranch_scc0 .LBB118_1977
; %bb.1973:
	global_load_u16 v1, v[4:5], off
	s_mov_b32 s41, -1
	s_mov_b32 s87, 0
	s_wait_loadcnt 0x0
	v_lshlrev_b32_e32 v1, 16, v1
	s_delay_alu instid0(VALU_DEP_1)
	v_cvt_i32_f32_e32 v6, v1
	s_branch .LBB118_1978
.LBB118_1974:
	s_mov_b32 s42, -1
                                        ; implicit-def: $vgpr6
	s_branch .LBB118_1979
.LBB118_1975:
	s_and_not1_saveexec_b32 s41, s41
	s_cbranch_execz .LBB118_1956
.LBB118_1976:
	v_cmp_ne_u16_e32 vcc_lo, 0, v1
	s_and_not1_b32 s42, s42, exec_lo
	s_and_b32 s43, vcc_lo, exec_lo
	s_delay_alu instid0(SALU_CYCLE_1)
	s_or_b32 s42, s42, s43
	s_or_b32 exec_lo, exec_lo, s41
	v_mov_b32_e32 v6, 0
	s_and_saveexec_b32 s41, s42
	s_cbranch_execnz .LBB118_1957
	s_branch .LBB118_1958
.LBB118_1977:
	s_mov_b32 s87, -1
                                        ; implicit-def: $vgpr6
.LBB118_1978:
	s_mov_b32 s42, 0
.LBB118_1979:
	s_delay_alu instid0(SALU_CYCLE_1)
	s_and_b32 vcc_lo, exec_lo, s42
	s_cbranch_vccz .LBB118_1983
; %bb.1980:
	s_cmp_eq_u32 s1, 11
	s_cbranch_scc0 .LBB118_1982
; %bb.1981:
	global_load_u8 v1, v[4:5], off
	s_mov_b32 s87, 0
	s_mov_b32 s41, -1
	s_wait_loadcnt 0x0
	v_cmp_ne_u16_e32 vcc_lo, 0, v1
	v_cndmask_b32_e64 v6, 0, 1, vcc_lo
	s_branch .LBB118_1983
.LBB118_1982:
	s_mov_b32 s87, -1
                                        ; implicit-def: $vgpr6
.LBB118_1983:
	s_mov_b32 s1, 0
.LBB118_1984:
	s_delay_alu instid0(SALU_CYCLE_1)
	s_and_b32 vcc_lo, exec_lo, s1
	s_cbranch_vccz .LBB118_2033
; %bb.1985:
	s_and_b32 s0, 0xffff, s0
	s_delay_alu instid0(SALU_CYCLE_1)
	s_cmp_lt_i32 s0, 5
	s_cbranch_scc1 .LBB118_1990
; %bb.1986:
	s_cmp_lt_i32 s0, 8
	s_cbranch_scc1 .LBB118_1991
; %bb.1987:
	;; [unrolled: 3-line block ×3, first 2 shown]
	s_cmp_gt_i32 s0, 9
	s_cbranch_scc0 .LBB118_1993
; %bb.1989:
	global_load_b64 v[10:11], v[4:5], off
	s_mov_b32 s1, 0
	s_wait_loadcnt 0x0
	v_cvt_i32_f64_e32 v6, v[10:11]
	s_branch .LBB118_1994
.LBB118_1990:
	s_mov_b32 s1, -1
                                        ; implicit-def: $vgpr6
	s_branch .LBB118_2012
.LBB118_1991:
	s_mov_b32 s1, -1
                                        ; implicit-def: $vgpr6
	s_branch .LBB118_2000
.LBB118_1992:
	s_mov_b32 s1, -1
                                        ; implicit-def: $vgpr6
	s_branch .LBB118_1997
.LBB118_1993:
	s_mov_b32 s1, -1
                                        ; implicit-def: $vgpr6
.LBB118_1994:
	s_delay_alu instid0(SALU_CYCLE_1)
	s_and_not1_b32 vcc_lo, exec_lo, s1
	s_cbranch_vccnz .LBB118_1996
; %bb.1995:
	global_load_b32 v1, v[4:5], off
	s_wait_loadcnt 0x0
	v_cvt_i32_f32_e32 v6, v1
.LBB118_1996:
	s_mov_b32 s1, 0
.LBB118_1997:
	s_delay_alu instid0(SALU_CYCLE_1)
	s_and_not1_b32 vcc_lo, exec_lo, s1
	s_cbranch_vccnz .LBB118_1999
; %bb.1998:
	global_load_b32 v1, v[4:5], off
	s_wait_loadcnt 0x0
	v_cvt_f32_f16_e32 v1, v1
	s_delay_alu instid0(VALU_DEP_1)
	v_cvt_i32_f32_e32 v6, v1
.LBB118_1999:
	s_mov_b32 s1, 0
.LBB118_2000:
	s_delay_alu instid0(SALU_CYCLE_1)
	s_and_not1_b32 vcc_lo, exec_lo, s1
	s_cbranch_vccnz .LBB118_2011
; %bb.2001:
	s_cmp_lt_i32 s0, 6
	s_cbranch_scc1 .LBB118_2004
; %bb.2002:
	s_cmp_gt_i32 s0, 6
	s_cbranch_scc0 .LBB118_2005
; %bb.2003:
	global_load_b64 v[10:11], v[4:5], off
	s_mov_b32 s1, 0
	s_wait_loadcnt 0x0
	v_cvt_i32_f64_e32 v6, v[10:11]
	s_branch .LBB118_2006
.LBB118_2004:
	s_mov_b32 s1, -1
                                        ; implicit-def: $vgpr6
	s_branch .LBB118_2009
.LBB118_2005:
	s_mov_b32 s1, -1
                                        ; implicit-def: $vgpr6
.LBB118_2006:
	s_delay_alu instid0(SALU_CYCLE_1)
	s_and_not1_b32 vcc_lo, exec_lo, s1
	s_cbranch_vccnz .LBB118_2008
; %bb.2007:
	global_load_b32 v1, v[4:5], off
	s_wait_loadcnt 0x0
	v_cvt_i32_f32_e32 v6, v1
.LBB118_2008:
	s_mov_b32 s1, 0
.LBB118_2009:
	s_delay_alu instid0(SALU_CYCLE_1)
	s_and_not1_b32 vcc_lo, exec_lo, s1
	s_cbranch_vccnz .LBB118_2011
; %bb.2010:
	global_load_u16 v1, v[4:5], off
	s_wait_loadcnt 0x0
	v_cvt_f32_f16_e32 v1, v1
	s_delay_alu instid0(VALU_DEP_1)
	v_cvt_i32_f32_e32 v6, v1
.LBB118_2011:
	s_mov_b32 s1, 0
.LBB118_2012:
	s_delay_alu instid0(SALU_CYCLE_1)
	s_and_not1_b32 vcc_lo, exec_lo, s1
	s_cbranch_vccnz .LBB118_2032
; %bb.2013:
	s_cmp_lt_i32 s0, 2
	s_cbranch_scc1 .LBB118_2017
; %bb.2014:
	s_cmp_lt_i32 s0, 3
	s_cbranch_scc1 .LBB118_2018
; %bb.2015:
	s_cmp_gt_i32 s0, 3
	s_cbranch_scc0 .LBB118_2019
; %bb.2016:
	s_wait_loadcnt 0x0
	global_load_b32 v6, v[4:5], off
	s_mov_b32 s1, 0
	s_branch .LBB118_2020
.LBB118_2017:
	s_mov_b32 s1, -1
                                        ; implicit-def: $vgpr6
	s_branch .LBB118_2026
.LBB118_2018:
	s_mov_b32 s1, -1
                                        ; implicit-def: $vgpr6
	s_branch .LBB118_2023
.LBB118_2019:
	s_mov_b32 s1, -1
                                        ; implicit-def: $vgpr6
.LBB118_2020:
	s_delay_alu instid0(SALU_CYCLE_1)
	s_and_not1_b32 vcc_lo, exec_lo, s1
	s_cbranch_vccnz .LBB118_2022
; %bb.2021:
	s_wait_loadcnt 0x0
	global_load_b32 v6, v[4:5], off
.LBB118_2022:
	s_mov_b32 s1, 0
.LBB118_2023:
	s_delay_alu instid0(SALU_CYCLE_1)
	s_and_not1_b32 vcc_lo, exec_lo, s1
	s_cbranch_vccnz .LBB118_2025
; %bb.2024:
	s_wait_loadcnt 0x0
	global_load_i16 v6, v[4:5], off
.LBB118_2025:
	s_mov_b32 s1, 0
.LBB118_2026:
	s_delay_alu instid0(SALU_CYCLE_1)
	s_and_not1_b32 vcc_lo, exec_lo, s1
	s_cbranch_vccnz .LBB118_2032
; %bb.2027:
	s_cmp_gt_i32 s0, 0
	s_mov_b32 s0, 0
	s_cbranch_scc0 .LBB118_2029
; %bb.2028:
	s_wait_loadcnt 0x0
	global_load_i8 v6, v[4:5], off
	s_branch .LBB118_2030
.LBB118_2029:
	s_mov_b32 s0, -1
                                        ; implicit-def: $vgpr6
.LBB118_2030:
	s_delay_alu instid0(SALU_CYCLE_1)
	s_and_not1_b32 vcc_lo, exec_lo, s0
	s_cbranch_vccnz .LBB118_2032
; %bb.2031:
	s_wait_loadcnt 0x0
	global_load_u8 v6, v[4:5], off
.LBB118_2032:
	s_mov_b32 s41, -1
.LBB118_2033:
	s_delay_alu instid0(SALU_CYCLE_1)
	s_and_not1_b32 vcc_lo, exec_lo, s41
	s_cbranch_vccnz .LBB118_2044
; %bb.2034:
	s_wait_loadcnt 0x0
	v_cmp_eq_u32_e32 vcc_lo, s38, v7
	s_mov_b32 s0, 0
	s_mov_b32 s43, -1
	s_mov_b32 s44, s76
	s_mov_b32 s42, s80
	s_and_b32 s45, s58, vcc_lo
	s_mov_b32 s41, s79
	s_mov_b32 s1, s78
	s_wait_xcnt 0x0
	s_and_saveexec_b32 s88, s45
	s_cbranch_execz .LBB118_4195
; %bb.2035:
	v_cmp_eq_u32_e32 vcc_lo, s22, v8
	s_mov_b32 s42, -1
	s_mov_b32 s43, s80
	s_mov_b32 s41, s79
	;; [unrolled: 1-line block ×3, first 2 shown]
	s_and_b32 s1, s57, vcc_lo
	s_delay_alu instid0(SALU_CYCLE_1)
	s_and_saveexec_b32 s89, s1
	s_cbranch_execz .LBB118_3681
; %bb.2036:
	v_sub_nc_u32_e32 v1, v2, v0
	s_mov_b32 s1, 0
	s_mov_b32 s41, -1
	s_mov_b32 s43, s78
	s_delay_alu instid0(VALU_DEP_1) | instskip(SKIP_4) | instid1(SALU_CYCLE_1)
	v_cmp_le_i32_e32 vcc_lo, s38, v1
	v_cmp_ge_i32_e64 s0, s20, v1
	s_and_b32 s42, vcc_lo, s0
	s_mov_b32 s0, s79
	s_and_b32 s42, s56, s42
	s_and_saveexec_b32 s90, s42
	s_cbranch_execz .LBB118_3680
; %bb.2037:
	v_mov_b64_e32 v[4:5], 0
	s_and_not1_b32 vcc_lo, exec_lo, s55
	s_cbranch_vccnz .LBB118_2060
; %bb.2038:
	v_ashrrev_i32_e32 v7, 31, v6
	v_mov_b64_e32 v[4:5], 0
	s_mov_b32 s41, s1
	s_mov_b64 s[42:43], 0xffffffff
	s_lshl_b64 s[46:47], s[40:41], 3
	v_mul_u64_e32 v[8:9], s[22:23], v[6:7]
	v_mov_b32_e32 v6, 0
	s_add_nc_u64 s[44:45], s[26:27], s[46:47]
	s_add_nc_u64 s[46:47], s[28:29], s[46:47]
	s_mov_b32 s41, s24
	s_branch .LBB118_2040
.LBB118_2039:                           ;   in Loop: Header=BB118_2040 Depth=1
	s_or_b32 exec_lo, exec_lo, s0
	global_load_b64 v[12:13], v6, s[46:47]
	v_mul_u64_e32 v[14:15], s[48:49], v[10:11]
	s_add_co_i32 s41, s41, -1
	s_add_nc_u64 s[44:45], s[44:45], -8
	s_cmp_lg_u32 s41, 0
	s_wait_xcnt 0x0
	s_add_nc_u64 s[46:47], s[46:47], -8
	s_delay_alu instid0(VALU_DEP_1) | instskip(SKIP_1) | instid1(VALU_DEP_1)
	v_sub_nc_u64_e32 v[8:9], v[8:9], v[14:15]
	s_wait_loadcnt 0x0
	v_mad_nc_u64_u32 v[4:5], v8, v12, v[4:5]
	s_delay_alu instid0(VALU_DEP_1) | instskip(NEXT) | instid1(VALU_DEP_1)
	v_mad_u32 v1, v9, v12, v5
	v_mad_u32 v5, v8, v13, v1
	v_mov_b64_e32 v[8:9], v[10:11]
	s_cbranch_scc0 .LBB118_2060
.LBB118_2040:                           ; =>This Inner Loop Header: Depth=1
	global_load_b64 v[10:11], v6, s[44:45]
	s_mov_b32 s0, exec_lo
	s_wait_loadcnt 0x0
	v_or_b32_e32 v7, v9, v11
	v_readfirstlane_b32 s48, v10
	v_readfirstlane_b32 s49, v11
                                        ; implicit-def: $vgpr10_vgpr11
	s_wait_xcnt 0x0
	s_delay_alu instid0(VALU_DEP_3)
	v_cmpx_ne_u64_e32 0, v[6:7]
	s_xor_b32 s91, exec_lo, s0
	s_cbranch_execz .LBB118_2042
; %bb.2041:                             ;   in Loop: Header=BB118_2040 Depth=1
	s_ashr_i32 s50, s49, 31
	v_dual_mov_b32 v15, v6 :: v_dual_ashrrev_i32 v10, 31, v9
	s_mov_b32 s51, s50
	v_mov_b32_e32 v25, v6
	s_add_nc_u64 s[52:53], s[48:49], s[50:51]
	s_delay_alu instid0(VALU_DEP_2) | instskip(SKIP_1) | instid1(SALU_CYCLE_1)
	v_mov_b32_e32 v11, v10
	s_xor_b64 s[52:53], s[52:53], s[50:51]
	s_cvt_f32_u32 s0, s52
	s_cvt_f32_u32 s51, s53
	s_sub_nc_u64 s[94:95], 0, s[52:53]
	v_add_nc_u64_e32 v[12:13], v[8:9], v[10:11]
	v_mov_b32_e32 v19, v6
	s_fmamk_f32 s0, s51, 0x4f800000, s0
	s_delay_alu instid0(SALU_CYCLE_3) | instskip(NEXT) | instid1(VALU_DEP_2)
	v_s_rcp_f32 s0, s0
	v_xor_b32_e32 v14, v12, v10
	s_delay_alu instid0(VALU_DEP_3) | instskip(NEXT) | instid1(TRANS32_DEP_1)
	v_xor_b32_e32 v18, v13, v10
	s_mul_f32 s0, s0, 0x5f7ffffc
	s_delay_alu instid0(SALU_CYCLE_3) | instskip(NEXT) | instid1(SALU_CYCLE_3)
	s_mul_f32 s51, s0, 0x2f800000
	s_trunc_f32 s51, s51
	s_delay_alu instid0(SALU_CYCLE_3) | instskip(SKIP_1) | instid1(SALU_CYCLE_2)
	s_fmamk_f32 s0, s51, 0xcf800000, s0
	s_cvt_u32_f32 s93, s51
	s_cvt_u32_f32 s92, s0
	s_delay_alu instid0(SALU_CYCLE_3) | instskip(NEXT) | instid1(SALU_CYCLE_1)
	s_mul_u64 s[96:97], s[94:95], s[92:93]
	s_mul_hi_u32 s99, s92, s97
	s_mul_i32 s98, s92, s97
	s_mul_hi_u32 s0, s92, s96
	s_mul_i32 s100, s93, s96
	s_add_nc_u64 s[98:99], s[0:1], s[98:99]
	s_mul_hi_u32 s51, s93, s96
	s_mul_hi_u32 s101, s93, s97
	s_add_co_u32 s0, s98, s100
	s_add_co_ci_u32 s0, s99, s51
	s_mul_i32 s96, s93, s97
	s_add_co_ci_u32 s97, s101, 0
	s_delay_alu instid0(SALU_CYCLE_1) | instskip(NEXT) | instid1(SALU_CYCLE_1)
	s_add_nc_u64 s[96:97], s[0:1], s[96:97]
	s_add_co_u32 s92, s92, s96
	s_cselect_b32 s0, -1, 0
	s_delay_alu instid0(SALU_CYCLE_1) | instskip(SKIP_1) | instid1(SALU_CYCLE_1)
	s_cmp_lg_u32 s0, 0
	s_add_co_ci_u32 s93, s93, s97
	s_mul_u64 s[94:95], s[94:95], s[92:93]
	s_delay_alu instid0(SALU_CYCLE_1)
	s_mul_hi_u32 s97, s92, s95
	s_mul_i32 s96, s92, s95
	s_mul_hi_u32 s0, s92, s94
	s_mul_i32 s98, s93, s94
	s_add_nc_u64 s[96:97], s[0:1], s[96:97]
	s_mul_hi_u32 s51, s93, s94
	s_mul_hi_u32 s99, s93, s95
	s_add_co_u32 s0, s96, s98
	s_add_co_ci_u32 s0, s97, s51
	s_mul_i32 s94, s93, s95
	s_add_co_ci_u32 s95, s99, 0
	s_delay_alu instid0(SALU_CYCLE_1) | instskip(NEXT) | instid1(SALU_CYCLE_1)
	s_add_nc_u64 s[94:95], s[0:1], s[94:95]
	s_add_co_u32 s92, s92, s94
	s_cselect_b32 s0, -1, 0
	v_mul_hi_u32 v24, v14, s92
	s_cmp_lg_u32 s0, 0
	s_add_co_ci_u32 s0, s93, s95
	s_and_b64 s[94:95], s[92:93], s[42:43]
	v_mul_u64_e32 v[16:17], s[0:1], v[14:15]
	v_mul_u64_e32 v[12:13], s[94:95], v[18:19]
	;; [unrolled: 1-line block ×3, first 2 shown]
	s_delay_alu instid0(VALU_DEP_3) | instskip(NEXT) | instid1(VALU_DEP_1)
	v_add_nc_u64_e32 v[16:17], v[24:25], v[16:17]
	v_add_co_u32 v1, vcc_lo, v16, v12
	s_delay_alu instid0(VALU_DEP_2) | instskip(NEXT) | instid1(VALU_DEP_4)
	v_add_co_ci_u32_e32 v24, vcc_lo, v17, v13, vcc_lo
	v_add_co_ci_u32_e32 v21, vcc_lo, 0, v21, vcc_lo
	s_delay_alu instid0(VALU_DEP_1) | instskip(NEXT) | instid1(VALU_DEP_1)
	v_add_nc_u64_e32 v[12:13], v[24:25], v[20:21]
	v_mul_u64_e32 v[16:17], s[52:53], v[12:13]
	s_delay_alu instid0(VALU_DEP_1) | instskip(NEXT) | instid1(VALU_DEP_2)
	v_sub_nc_u32_e32 v1, v18, v17
	v_sub_co_u32 v3, vcc_lo, v14, v16
	s_delay_alu instid0(VALU_DEP_1) | instskip(NEXT) | instid1(VALU_DEP_3)
	v_sub_co_ci_u32_e64 v11, null, v18, v17, vcc_lo
	v_subrev_co_ci_u32_e64 v1, null, s53, v1, vcc_lo
	s_delay_alu instid0(VALU_DEP_3) | instskip(SKIP_1) | instid1(VALU_DEP_3)
	v_sub_co_u32 v7, s0, v3, s52
	v_add_nc_u64_e32 v[16:17], 1, v[12:13]
	v_subrev_co_ci_u32_e64 v1, null, 0, v1, s0
	s_delay_alu instid0(VALU_DEP_3) | instskip(SKIP_1) | instid1(VALU_DEP_3)
	v_cmp_le_u32_e32 vcc_lo, s52, v7
	v_cndmask_b32_e64 v7, 0, -1, vcc_lo
	v_cmp_le_u32_e32 vcc_lo, s53, v1
	v_cndmask_b32_e64 v14, 0, -1, vcc_lo
	;; [unrolled: 2-line block ×4, first 2 shown]
	v_cmp_eq_u32_e32 vcc_lo, s53, v1
	v_cndmask_b32_e32 v1, v14, v7, vcc_lo
	v_cmp_eq_u32_e32 vcc_lo, s53, v11
	v_add_nc_u64_e32 v[14:15], 2, v[12:13]
	v_cndmask_b32_e32 v3, v18, v3, vcc_lo
	s_delay_alu instid0(VALU_DEP_4) | instskip(NEXT) | instid1(VALU_DEP_2)
	v_cmp_ne_u32_e32 vcc_lo, 0, v1
	v_cmp_ne_u32_e64 s0, 0, v3
	s_delay_alu instid0(VALU_DEP_4) | instskip(NEXT) | instid1(VALU_DEP_1)
	v_dual_cndmask_b32 v1, v17, v15, vcc_lo :: v_dual_cndmask_b32 v3, v16, v14, vcc_lo
	v_dual_cndmask_b32 v1, v13, v1, s0 :: v_dual_bitop2_b32 v10, s50, v10 bitop3:0x14
	s_delay_alu instid0(VALU_DEP_1) | instskip(NEXT) | instid1(VALU_DEP_2)
	v_dual_cndmask_b32 v3, v12, v3, s0 :: v_dual_mov_b32 v11, v10
	v_xor_b32_e32 v13, v1, v10
	s_delay_alu instid0(VALU_DEP_2) | instskip(NEXT) | instid1(VALU_DEP_1)
	v_xor_b32_e32 v12, v3, v10
	v_sub_nc_u64_e32 v[10:11], v[12:13], v[10:11]
.LBB118_2042:                           ;   in Loop: Header=BB118_2040 Depth=1
	s_and_not1_saveexec_b32 s0, s91
	s_cbranch_execz .LBB118_2039
; %bb.2043:                             ;   in Loop: Header=BB118_2040 Depth=1
	v_cvt_f32_u32_e32 v1, s48
	s_sub_co_i32 s50, 0, s48
	v_mov_b32_e32 v11, v6
	s_delay_alu instid0(VALU_DEP_2) | instskip(SKIP_1) | instid1(TRANS32_DEP_1)
	v_rcp_iflag_f32_e32 v1, v1
	v_nop
	v_mul_f32_e32 v1, 0x4f7ffffe, v1
	s_delay_alu instid0(VALU_DEP_1) | instskip(NEXT) | instid1(VALU_DEP_1)
	v_cvt_u32_f32_e32 v1, v1
	v_mul_lo_u32 v3, s50, v1
	s_delay_alu instid0(VALU_DEP_1) | instskip(NEXT) | instid1(VALU_DEP_1)
	v_mul_hi_u32 v3, v1, v3
	v_add_nc_u32_e32 v1, v1, v3
	s_delay_alu instid0(VALU_DEP_1) | instskip(NEXT) | instid1(VALU_DEP_1)
	v_mul_hi_u32 v1, v8, v1
	v_mul_lo_u32 v3, v1, s48
	s_delay_alu instid0(VALU_DEP_1) | instskip(NEXT) | instid1(VALU_DEP_1)
	v_sub_nc_u32_e32 v3, v8, v3
	v_subrev_nc_u32_e32 v10, s48, v3
	v_cmp_le_u32_e32 vcc_lo, s48, v3
	s_delay_alu instid0(VALU_DEP_2) | instskip(NEXT) | instid1(VALU_DEP_1)
	v_dual_add_nc_u32 v7, 1, v1 :: v_dual_cndmask_b32 v3, v3, v10, vcc_lo
	v_cndmask_b32_e32 v1, v1, v7, vcc_lo
	s_delay_alu instid0(VALU_DEP_2) | instskip(NEXT) | instid1(VALU_DEP_2)
	v_cmp_le_u32_e32 vcc_lo, s48, v3
	v_add_nc_u32_e32 v7, 1, v1
	s_delay_alu instid0(VALU_DEP_1)
	v_cndmask_b32_e32 v10, v1, v7, vcc_lo
	s_branch .LBB118_2039
.LBB118_2044:
	s_mov_b32 s0, 0
	s_mov_b32 s1, s78
	;; [unrolled: 1-line block ×6, first 2 shown]
.LBB118_2045:
                                        ; implicit-def: $vgpr22
.LBB118_2046:
	s_and_not1_b32 s45, s78, exec_lo
	s_and_b32 s1, s1, exec_lo
	s_and_not1_b32 s46, s79, exec_lo
	s_and_b32 s41, s41, exec_lo
	s_or_b32 s49, s45, s1
	s_or_b32 s46, s46, s41
	s_and_not1_b32 s1, s80, exec_lo
	s_and_b32 s41, s42, exec_lo
	s_and_not1_b32 s42, s76, exec_lo
	s_and_b32 s44, s44, exec_lo
	s_or_b32 s48, s1, s41
	s_or_b32 s44, s42, s44
	;; [unrolled: 6-line block ×5, first 2 shown]
	s_or_not1_b32 s83, s0, exec_lo
.LBB118_2047:
	s_wait_xcnt 0x0
	s_or_b32 exec_lo, exec_lo, s82
	s_mov_b32 s51, 0
	s_mov_b32 s52, 0
	;; [unrolled: 1-line block ×3, first 2 shown]
                                        ; implicit-def: $sgpr0
                                        ; implicit-def: $vgpr0_vgpr1
                                        ; implicit-def: $vgpr7
	s_and_saveexec_b32 s50, s83
	s_cbranch_execz .LBB118_2138
; %bb.2048:
	v_cmp_gt_i32_e32 vcc_lo, s60, v22
	s_mov_b32 s60, 0
	s_mov_b32 s83, s1
	;; [unrolled: 1-line block ×3, first 2 shown]
                                        ; implicit-def: $sgpr0
                                        ; implicit-def: $vgpr0_vgpr1
                                        ; implicit-def: $vgpr7
	s_and_saveexec_b32 s51, vcc_lo
	s_cbranch_execz .LBB118_2137
; %bb.2049:
	s_wait_loadcnt 0x0
	v_mul_lo_u32 v0, v22, s17
	s_and_b32 s0, s39, 0xff
	s_delay_alu instid0(SALU_CYCLE_1) | instskip(NEXT) | instid1(VALU_DEP_1)
	s_cmp_lt_i32 s0, 11
	v_ashrrev_i32_e32 v1, 31, v0
	s_delay_alu instid0(VALU_DEP_1)
	v_add_nc_u64_e32 v[0:1], s[6:7], v[0:1]
	s_cbranch_scc1 .LBB118_2056
; %bb.2050:
	s_and_b32 s53, 0xffff, s0
	s_delay_alu instid0(SALU_CYCLE_1)
	s_cmp_gt_i32 s53, 25
	s_cbranch_scc0 .LBB118_2057
; %bb.2051:
	s_cmp_gt_i32 s53, 28
	s_cbranch_scc0 .LBB118_2058
; %bb.2052:
	;; [unrolled: 3-line block ×4, first 2 shown]
	s_cmp_eq_u32 s53, 46
	s_mov_b32 s83, 0
	s_cbranch_scc0 .LBB118_2075
; %bb.2055:
	global_load_b32 v2, v[0:1], off
	s_mov_b32 s82, -1
	s_wait_loadcnt 0x0
	v_lshlrev_b32_e32 v2, 16, v2
	s_delay_alu instid0(VALU_DEP_1)
	v_cvt_i32_f32_e32 v7, v2
	s_branch .LBB118_2077
.LBB118_2056:
	s_mov_b32 s83, -1
	s_mov_b32 s52, s1
                                        ; implicit-def: $vgpr7
	s_branch .LBB118_2136
.LBB118_2057:
	s_mov_b32 s83, -1
	s_mov_b32 s52, s1
                                        ; implicit-def: $vgpr7
	s_branch .LBB118_2104
.LBB118_2058:
	s_mov_b32 s83, -1
	s_mov_b32 s52, s1
                                        ; implicit-def: $vgpr7
	s_branch .LBB118_2087
.LBB118_2059:
	s_mov_b32 s83, -1
	s_mov_b32 s52, s1
                                        ; implicit-def: $vgpr7
	s_branch .LBB118_2082
.LBB118_2060:
	s_mov_b32 s43, -1
	s_mov_b32 s0, s79
	s_mov_b32 s1, exec_lo
	v_cmpx_gt_i32_e64 v2, v0
	s_cbranch_execz .LBB118_2067
; %bb.2061:
	s_delay_alu instid0(VALU_DEP_2) | instskip(SKIP_3) | instid1(VALU_DEP_1)
	v_lshlrev_b64_e32 v[4:5], 2, v[4:5]
	v_dual_ashrrev_i32 v1, 31, v0 :: v_dual_ashrrev_i32 v3, 31, v2
	s_mov_b32 s0, 0
	s_xor_b32 s42, s54, -1
                                        ; implicit-def: $sgpr41
                                        ; implicit-def: $sgpr44
                                        ; implicit-def: $sgpr43
	v_lshl_add_u64 v[0:1], v[0:1], 2, v[4:5]
	v_add_nc_u64_e32 v[4:5], s[30:31], v[4:5]
	s_delay_alu instid0(VALU_DEP_2) | instskip(NEXT) | instid1(VALU_DEP_2)
	v_add_nc_u64_e32 v[0:1], s[30:31], v[0:1]
	v_lshl_add_u64 v[2:3], v[2:3], 2, v[4:5]
	s_delay_alu instid0(VALU_DEP_2)
	v_add_nc_u64_e32 v[0:1], 4, v[0:1]
	s_branch .LBB118_2063
.LBB118_2062:                           ;   in Loop: Header=BB118_2063 Depth=1
	s_or_b32 exec_lo, exec_lo, s45
	s_delay_alu instid0(SALU_CYCLE_1) | instskip(NEXT) | instid1(SALU_CYCLE_1)
	s_and_b32 s45, exec_lo, s44
	s_or_b32 s0, s45, s0
	s_and_not1_b32 s41, s41, exec_lo
	s_and_b32 s45, s43, exec_lo
	s_delay_alu instid0(SALU_CYCLE_1)
	s_or_b32 s41, s41, s45
	s_and_not1_b32 exec_lo, exec_lo, s0
	s_cbranch_execz .LBB118_2066
.LBB118_2063:                           ; =>This Inner Loop Header: Depth=1
	s_or_b32 s43, s43, exec_lo
	s_or_b32 s44, s44, exec_lo
	s_mov_b32 s45, exec_lo
	s_delay_alu instid0(VALU_DEP_1)
	v_cmpx_lt_u64_e64 v[0:1], v[2:3]
	s_cbranch_execz .LBB118_2062
; %bb.2064:                             ;   in Loop: Header=BB118_2063 Depth=1
	global_load_b64 v[4:5], v[0:1], off offset:-4
	s_wait_xcnt 0x0
	v_add_nc_u64_e32 v[0:1], 4, v[0:1]
	s_and_not1_b32 s44, s44, exec_lo
	s_and_not1_b32 s43, s43, exec_lo
	s_wait_loadcnt 0x0
	v_cmp_ge_i32_e32 vcc_lo, v4, v5
	s_or_b32 s46, s42, vcc_lo
	s_delay_alu instid0(SALU_CYCLE_1) | instskip(NEXT) | instid1(SALU_CYCLE_1)
	s_and_b32 s46, s46, exec_lo
	s_or_b32 s44, s44, s46
	s_branch .LBB118_2062
.LBB118_2065:
	s_mov_b32 s83, -1
	s_mov_b32 s52, s1
	s_branch .LBB118_2076
.LBB118_2066:
	s_or_b32 exec_lo, exec_lo, s0
	s_delay_alu instid0(SALU_CYCLE_1)
	s_or_b32 s0, s79, exec_lo
	s_or_not1_b32 s43, s41, exec_lo
.LBB118_2067:
	s_or_b32 exec_lo, exec_lo, s1
	s_mov_b32 s42, 0
	s_mov_b32 s41, s78
	s_and_saveexec_b32 s1, s43
	s_cbranch_execz .LBB118_3679
; %bb.2068:
	v_mul_lo_u32 v0, v22, s16
	s_and_b32 s42, s2, 0xff
	s_delay_alu instid0(SALU_CYCLE_1) | instskip(NEXT) | instid1(VALU_DEP_1)
	s_cmp_lt_i32 s42, 11
	v_ashrrev_i32_e32 v1, 31, v0
	s_delay_alu instid0(VALU_DEP_1)
	v_add_nc_u64_e32 v[0:1], s[4:5], v[0:1]
	s_cbranch_scc1 .LBB118_3501
; %bb.2069:
	s_and_b32 s43, 0xffff, s42
	s_delay_alu instid0(SALU_CYCLE_1)
	s_cmp_gt_i32 s43, 25
	s_cbranch_scc0 .LBB118_3503
; %bb.2070:
	s_cmp_gt_i32 s43, 28
	s_cbranch_scc0 .LBB118_3505
; %bb.2071:
	;; [unrolled: 3-line block ×4, first 2 shown]
	s_mov_b32 s45, 0
	s_mov_b32 s41, -1
	s_cmp_eq_u32 s43, 46
	s_mov_b32 s44, 0
	s_cbranch_scc0 .LBB118_3597
; %bb.2074:
	v_mov_b32_e32 v2, 0
	s_mov_b32 s44, -1
	s_mov_b32 s41, 0
	global_store_b32 v[0:1], v2, off
	s_branch .LBB118_3597
.LBB118_2075:
	s_mov_b32 s52, -1
.LBB118_2076:
                                        ; implicit-def: $vgpr7
.LBB118_2077:
	s_and_b32 vcc_lo, exec_lo, s83
	s_cbranch_vccz .LBB118_2081
; %bb.2078:
	s_cmp_eq_u32 s53, 44
	s_cbranch_scc0 .LBB118_2080
; %bb.2079:
	global_load_u8 v2, v[0:1], off
	s_mov_b32 s52, 0
	s_mov_b32 s82, -1
	s_wait_loadcnt 0x0
	v_lshlrev_b32_e32 v3, 23, v2
	v_cmp_ne_u32_e32 vcc_lo, 0, v2
	s_delay_alu instid0(VALU_DEP_2) | instskip(NEXT) | instid1(VALU_DEP_1)
	v_cvt_i32_f32_e32 v3, v3
	v_cndmask_b32_e32 v7, 0, v3, vcc_lo
	s_branch .LBB118_2081
.LBB118_2080:
	s_mov_b32 s52, -1
                                        ; implicit-def: $vgpr7
.LBB118_2081:
	s_mov_b32 s83, 0
.LBB118_2082:
	s_delay_alu instid0(SALU_CYCLE_1)
	s_and_b32 vcc_lo, exec_lo, s83
	s_cbranch_vccz .LBB118_2086
; %bb.2083:
	s_cmp_eq_u32 s53, 29
	s_cbranch_scc0 .LBB118_2085
; %bb.2084:
	global_load_b32 v7, v[0:1], off
	s_mov_b32 s52, 0
	s_mov_b32 s82, -1
	s_branch .LBB118_2086
.LBB118_2085:
	s_mov_b32 s52, -1
                                        ; implicit-def: $vgpr7
.LBB118_2086:
	s_mov_b32 s83, 0
.LBB118_2087:
	s_delay_alu instid0(SALU_CYCLE_1)
	s_and_b32 vcc_lo, exec_lo, s83
	s_cbranch_vccz .LBB118_2103
; %bb.2088:
	s_cmp_lt_i32 s53, 27
	s_cbranch_scc1 .LBB118_2091
; %bb.2089:
	s_cmp_gt_i32 s53, 27
	s_cbranch_scc0 .LBB118_2092
; %bb.2090:
	s_wait_loadcnt 0x0
	global_load_b32 v7, v[0:1], off
	s_mov_b32 s82, 0
	s_branch .LBB118_2093
.LBB118_2091:
	s_mov_b32 s82, -1
                                        ; implicit-def: $vgpr7
	s_branch .LBB118_2096
.LBB118_2092:
	s_mov_b32 s82, -1
                                        ; implicit-def: $vgpr7
.LBB118_2093:
	s_delay_alu instid0(SALU_CYCLE_1)
	s_and_not1_b32 vcc_lo, exec_lo, s82
	s_cbranch_vccnz .LBB118_2095
; %bb.2094:
	s_wait_loadcnt 0x0
	global_load_u16 v7, v[0:1], off
.LBB118_2095:
	s_mov_b32 s82, 0
.LBB118_2096:
	s_delay_alu instid0(SALU_CYCLE_1)
	s_and_not1_b32 vcc_lo, exec_lo, s82
	s_cbranch_vccnz .LBB118_2102
; %bb.2097:
	global_load_u8 v2, v[0:1], off
	s_mov_b32 s83, 0
	s_mov_b32 s82, exec_lo
	s_wait_loadcnt 0x0
	v_cmpx_lt_i16_e32 0x7f, v2
	s_xor_b32 s82, exec_lo, s82
	s_cbranch_execz .LBB118_2114
; %bb.2098:
	v_cmp_ne_u16_e32 vcc_lo, 0x80, v2
	s_and_b32 s83, vcc_lo, exec_lo
	s_and_not1_saveexec_b32 s82, s82
	s_cbranch_execnz .LBB118_2115
.LBB118_2099:
	s_or_b32 exec_lo, exec_lo, s82
	v_mov_b32_e32 v7, 0
	s_and_saveexec_b32 s82, s83
	s_cbranch_execz .LBB118_2101
.LBB118_2100:
	v_and_b32_e32 v3, 0xffff, v2
	s_delay_alu instid0(VALU_DEP_1) | instskip(SKIP_1) | instid1(VALU_DEP_2)
	v_and_b32_e32 v4, 7, v3
	v_bfe_u32 v7, v3, 3, 4
	v_clz_i32_u32_e32 v5, v4
	s_delay_alu instid0(VALU_DEP_2) | instskip(NEXT) | instid1(VALU_DEP_2)
	v_cmp_eq_u32_e32 vcc_lo, 0, v7
	v_min_u32_e32 v5, 32, v5
	s_delay_alu instid0(VALU_DEP_1) | instskip(NEXT) | instid1(VALU_DEP_1)
	v_subrev_nc_u32_e32 v6, 28, v5
	v_dual_lshlrev_b32 v3, v6, v3 :: v_dual_sub_nc_u32 v5, 29, v5
	s_delay_alu instid0(VALU_DEP_1) | instskip(NEXT) | instid1(VALU_DEP_1)
	v_dual_lshlrev_b32 v2, 24, v2 :: v_dual_bitop2_b32 v3, 7, v3 bitop3:0x40
	v_dual_cndmask_b32 v5, v7, v5, vcc_lo :: v_dual_cndmask_b32 v3, v4, v3, vcc_lo
	s_delay_alu instid0(VALU_DEP_2) | instskip(NEXT) | instid1(VALU_DEP_2)
	v_and_b32_e32 v2, 0x80000000, v2
	v_lshl_add_u32 v4, v5, 23, 0x3b800000
	s_delay_alu instid0(VALU_DEP_3) | instskip(NEXT) | instid1(VALU_DEP_1)
	v_lshlrev_b32_e32 v3, 20, v3
	v_or3_b32 v2, v2, v4, v3
	s_delay_alu instid0(VALU_DEP_1)
	v_cvt_i32_f32_e32 v7, v2
.LBB118_2101:
	s_or_b32 exec_lo, exec_lo, s82
.LBB118_2102:
	s_mov_b32 s82, -1
.LBB118_2103:
	s_mov_b32 s83, 0
.LBB118_2104:
	s_delay_alu instid0(SALU_CYCLE_1)
	s_and_b32 vcc_lo, exec_lo, s83
	s_cbranch_vccz .LBB118_2135
; %bb.2105:
	s_cmp_gt_i32 s53, 22
	s_cbranch_scc0 .LBB118_2113
; %bb.2106:
	s_cmp_lt_i32 s53, 24
	s_cbranch_scc1 .LBB118_2116
; %bb.2107:
	s_cmp_gt_i32 s53, 24
	s_cbranch_scc0 .LBB118_2117
; %bb.2108:
	global_load_u8 v2, v[0:1], off
	s_mov_b32 s82, 0
	s_mov_b32 s60, exec_lo
	s_wait_loadcnt 0x0
	v_cmpx_lt_i16_e32 0x7f, v2
	s_xor_b32 s60, exec_lo, s60
	s_cbranch_execz .LBB118_2129
; %bb.2109:
	v_cmp_ne_u16_e32 vcc_lo, 0x80, v2
	s_and_b32 s82, vcc_lo, exec_lo
	s_and_not1_saveexec_b32 s60, s60
	s_cbranch_execnz .LBB118_2130
.LBB118_2110:
	s_or_b32 exec_lo, exec_lo, s60
	v_mov_b32_e32 v7, 0
	s_and_saveexec_b32 s60, s82
	s_cbranch_execz .LBB118_2112
.LBB118_2111:
	v_and_b32_e32 v3, 0xffff, v2
	s_delay_alu instid0(VALU_DEP_1) | instskip(SKIP_1) | instid1(VALU_DEP_2)
	v_and_b32_e32 v4, 3, v3
	v_bfe_u32 v7, v3, 2, 5
	v_clz_i32_u32_e32 v5, v4
	s_delay_alu instid0(VALU_DEP_2) | instskip(NEXT) | instid1(VALU_DEP_2)
	v_cmp_eq_u32_e32 vcc_lo, 0, v7
	v_min_u32_e32 v5, 32, v5
	s_delay_alu instid0(VALU_DEP_1) | instskip(NEXT) | instid1(VALU_DEP_1)
	v_subrev_nc_u32_e32 v6, 29, v5
	v_dual_lshlrev_b32 v3, v6, v3 :: v_dual_sub_nc_u32 v5, 30, v5
	s_delay_alu instid0(VALU_DEP_1) | instskip(NEXT) | instid1(VALU_DEP_1)
	v_dual_lshlrev_b32 v2, 24, v2 :: v_dual_bitop2_b32 v3, 3, v3 bitop3:0x40
	v_dual_cndmask_b32 v5, v7, v5, vcc_lo :: v_dual_cndmask_b32 v3, v4, v3, vcc_lo
	s_delay_alu instid0(VALU_DEP_2) | instskip(NEXT) | instid1(VALU_DEP_2)
	v_and_b32_e32 v2, 0x80000000, v2
	v_lshl_add_u32 v4, v5, 23, 0x37800000
	s_delay_alu instid0(VALU_DEP_3) | instskip(NEXT) | instid1(VALU_DEP_1)
	v_lshlrev_b32_e32 v3, 21, v3
	v_or3_b32 v2, v2, v4, v3
	s_delay_alu instid0(VALU_DEP_1)
	v_cvt_i32_f32_e32 v7, v2
.LBB118_2112:
	s_or_b32 exec_lo, exec_lo, s60
	s_mov_b32 s60, 0
	s_branch .LBB118_2118
.LBB118_2113:
	s_mov_b32 s60, -1
                                        ; implicit-def: $vgpr7
	s_branch .LBB118_2124
.LBB118_2114:
	s_and_not1_saveexec_b32 s82, s82
	s_cbranch_execz .LBB118_2099
.LBB118_2115:
	v_cmp_ne_u16_e32 vcc_lo, 0, v2
	s_and_not1_b32 s83, s83, exec_lo
	s_and_b32 s84, vcc_lo, exec_lo
	s_delay_alu instid0(SALU_CYCLE_1)
	s_or_b32 s83, s83, s84
	s_or_b32 exec_lo, exec_lo, s82
	v_mov_b32_e32 v7, 0
	s_and_saveexec_b32 s82, s83
	s_cbranch_execnz .LBB118_2100
	s_branch .LBB118_2101
.LBB118_2116:
	s_mov_b32 s60, -1
                                        ; implicit-def: $vgpr7
	s_branch .LBB118_2121
.LBB118_2117:
	s_mov_b32 s60, -1
                                        ; implicit-def: $vgpr7
.LBB118_2118:
	s_delay_alu instid0(SALU_CYCLE_1)
	s_and_b32 vcc_lo, exec_lo, s60
	s_cbranch_vccz .LBB118_2120
; %bb.2119:
	global_load_u8 v2, v[0:1], off
	s_wait_loadcnt 0x0
	v_lshlrev_b32_e32 v2, 24, v2
	s_delay_alu instid0(VALU_DEP_1) | instskip(NEXT) | instid1(VALU_DEP_1)
	v_and_b32_e32 v3, 0x7f000000, v2
	v_clz_i32_u32_e32 v4, v3
	v_cmp_ne_u32_e32 vcc_lo, 0, v3
	v_add_nc_u32_e32 v6, 0x1000000, v3
	s_delay_alu instid0(VALU_DEP_3) | instskip(NEXT) | instid1(VALU_DEP_1)
	v_min_u32_e32 v4, 32, v4
	v_sub_nc_u32_e64 v4, v4, 4 clamp
	s_delay_alu instid0(VALU_DEP_1) | instskip(NEXT) | instid1(VALU_DEP_1)
	v_dual_lshlrev_b32 v5, v4, v3 :: v_dual_lshlrev_b32 v4, 23, v4
	v_lshrrev_b32_e32 v5, 4, v5
	s_delay_alu instid0(VALU_DEP_1) | instskip(NEXT) | instid1(VALU_DEP_1)
	v_dual_sub_nc_u32 v4, v5, v4 :: v_dual_ashrrev_i32 v5, 8, v6
	v_add_nc_u32_e32 v4, 0x3c000000, v4
	s_delay_alu instid0(VALU_DEP_1) | instskip(NEXT) | instid1(VALU_DEP_1)
	v_and_or_b32 v4, 0x7f800000, v5, v4
	v_cndmask_b32_e32 v3, 0, v4, vcc_lo
	s_delay_alu instid0(VALU_DEP_1) | instskip(NEXT) | instid1(VALU_DEP_1)
	v_and_or_b32 v2, 0x80000000, v2, v3
	v_cvt_i32_f32_e32 v7, v2
.LBB118_2120:
	s_mov_b32 s60, 0
.LBB118_2121:
	s_delay_alu instid0(SALU_CYCLE_1)
	s_and_not1_b32 vcc_lo, exec_lo, s60
	s_cbranch_vccnz .LBB118_2123
; %bb.2122:
	global_load_u8 v2, v[0:1], off
	s_wait_loadcnt 0x0
	v_lshlrev_b32_e32 v3, 25, v2
	v_lshlrev_b16 v2, 8, v2
	s_delay_alu instid0(VALU_DEP_1) | instskip(SKIP_1) | instid1(VALU_DEP_2)
	v_and_or_b32 v5, 0x7f00, v2, 0.5
	v_bfe_i32 v2, v2, 0, 16
	v_dual_add_f32 v5, -0.5, v5 :: v_dual_lshrrev_b32 v4, 4, v3
	v_cmp_gt_u32_e32 vcc_lo, 0x8000000, v3
	s_delay_alu instid0(VALU_DEP_2) | instskip(NEXT) | instid1(VALU_DEP_1)
	v_or_b32_e32 v4, 0x70000000, v4
	v_mul_f32_e32 v4, 0x7800000, v4
	s_delay_alu instid0(VALU_DEP_1) | instskip(NEXT) | instid1(VALU_DEP_1)
	v_cndmask_b32_e32 v3, v4, v5, vcc_lo
	v_and_or_b32 v2, 0x80000000, v2, v3
	s_delay_alu instid0(VALU_DEP_1)
	v_cvt_i32_f32_e32 v7, v2
.LBB118_2123:
	s_mov_b32 s60, 0
	s_mov_b32 s82, -1
.LBB118_2124:
	s_and_not1_b32 vcc_lo, exec_lo, s60
	s_mov_b32 s60, 0
	s_cbranch_vccnz .LBB118_2135
; %bb.2125:
	s_cmp_gt_i32 s53, 14
	s_cbranch_scc0 .LBB118_2128
; %bb.2126:
	s_cmp_eq_u32 s53, 15
	s_cbranch_scc0 .LBB118_2131
; %bb.2127:
	global_load_u16 v2, v[0:1], off
	s_mov_b32 s52, 0
	s_mov_b32 s82, -1
	s_wait_loadcnt 0x0
	v_lshlrev_b32_e32 v2, 16, v2
	s_delay_alu instid0(VALU_DEP_1)
	v_cvt_i32_f32_e32 v7, v2
	s_branch .LBB118_2133
.LBB118_2128:
	s_mov_b32 s60, -1
	s_branch .LBB118_2132
.LBB118_2129:
	s_and_not1_saveexec_b32 s60, s60
	s_cbranch_execz .LBB118_2110
.LBB118_2130:
	v_cmp_ne_u16_e32 vcc_lo, 0, v2
	s_and_not1_b32 s82, s82, exec_lo
	s_and_b32 s83, vcc_lo, exec_lo
	s_delay_alu instid0(SALU_CYCLE_1)
	s_or_b32 s82, s82, s83
	s_or_b32 exec_lo, exec_lo, s60
	v_mov_b32_e32 v7, 0
	s_and_saveexec_b32 s60, s82
	s_cbranch_execnz .LBB118_2111
	s_branch .LBB118_2112
.LBB118_2131:
	s_mov_b32 s52, -1
.LBB118_2132:
                                        ; implicit-def: $vgpr7
.LBB118_2133:
	s_and_b32 vcc_lo, exec_lo, s60
	s_mov_b32 s60, 0
	s_cbranch_vccz .LBB118_2135
; %bb.2134:
	s_cmp_lg_u32 s53, 11
	s_mov_b32 s60, -1
	s_cselect_b32 s53, -1, 0
	s_and_not1_b32 s52, s52, exec_lo
	s_and_b32 s53, s53, exec_lo
	s_delay_alu instid0(SALU_CYCLE_1)
	s_or_b32 s52, s52, s53
.LBB118_2135:
	s_mov_b32 s83, 0
.LBB118_2136:
	s_and_b32 s53, s82, exec_lo
	s_and_b32 s82, s83, exec_lo
	s_and_not1_b32 s83, s1, exec_lo
	s_and_b32 s52, s52, exec_lo
	s_and_b32 s60, s60, exec_lo
	s_or_b32 s83, s83, s52
.LBB118_2137:
	s_wait_xcnt 0x0
	s_or_b32 exec_lo, exec_lo, s51
	s_delay_alu instid0(SALU_CYCLE_1)
	s_and_b32 s52, s82, exec_lo
	s_and_not1_b32 s1, s1, exec_lo
	s_and_b32 s82, s83, exec_lo
	s_and_b32 s53, s53, exec_lo
	;; [unrolled: 1-line block ×3, first 2 shown]
	s_or_b32 s1, s1, s82
.LBB118_2138:
	s_or_b32 exec_lo, exec_lo, s50
	s_delay_alu instid0(SALU_CYCLE_1)
	s_and_not1_b32 s50, s78, exec_lo
	s_and_b32 s49, s49, exec_lo
	s_and_b32 s46, s46, exec_lo
	s_or_b32 s78, s50, s49
	s_and_not1_b32 s49, s79, exec_lo
	s_and_b32 s44, s44, exec_lo
	s_or_b32 s79, s49, s46
	s_and_not1_b32 s46, s76, exec_lo
	;; [unrolled: 3-line block ×3, first 2 shown]
	s_and_not1_b32 s50, s80, exec_lo
	s_and_b32 s48, s48, exec_lo
	s_or_b32 s74, s44, s42
	s_and_not1_b32 s44, s73, exec_lo
	s_and_b32 s43, s43, exec_lo
	s_or_b32 s80, s50, s48
	s_and_not1_b32 s48, s77, exec_lo
	s_and_b32 s47, s47, exec_lo
	s_and_not1_b32 s46, s75, exec_lo
	s_and_b32 s45, s45, exec_lo
	s_and_not1_b32 s42, s72, exec_lo
	s_and_b32 s41, s41, exec_lo
	s_or_b32 s73, s44, s43
	s_and_not1_b32 s43, s71, exec_lo
	s_and_b32 s44, s1, exec_lo
	s_or_b32 s77, s48, s47
	s_or_b32 s75, s46, s45
	;; [unrolled: 1-line block ×3, first 2 shown]
	s_and_b32 s42, s53, exec_lo
	s_and_b32 s41, s52, exec_lo
	;; [unrolled: 1-line block ×3, first 2 shown]
	s_or_b32 s71, s43, s44
.LBB118_2139:
	s_or_b32 exec_lo, exec_lo, s81
	s_delay_alu instid0(SALU_CYCLE_1)
	s_and_not1_b32 s43, s59, exec_lo
	s_and_b32 s44, s78, exec_lo
	s_and_not1_b32 s45, s62, exec_lo
	s_or_b32 s59, s43, s44
	s_and_not1_b32 s43, s61, exec_lo
	s_and_b32 s44, s79, exec_lo
	s_and_b32 s46, s80, exec_lo
	s_or_b32 s61, s43, s44
	s_and_not1_b32 s43, s63, exec_lo
	s_and_b32 s44, s76, exec_lo
	s_or_b32 s62, s45, s46
	s_and_not1_b32 s45, s64, exec_lo
	;; [unrolled: 3-line block ×6, first 2 shown]
	s_and_b32 s46, s73, exec_lo
	s_or_b32 s67, s43, s44
	s_and_b32 s43, s41, exec_lo
	s_and_not1_b32 s41, s69, exec_lo
	s_and_b32 s44, s71, exec_lo
	s_or_b32 s68, s45, s46
	s_and_b32 s42, s42, exec_lo
	s_and_b32 s71, s1, exec_lo
	s_or_b32 s69, s41, s44
	s_or_b32 exec_lo, exec_lo, s70
	s_mov_b32 s1, 0
	s_and_saveexec_b32 s41, s69
	s_cbranch_execz .LBB118_640
.LBB118_2140:
	s_mov_b32 s1, exec_lo
	s_and_not1_b32 s71, s71, exec_lo
	s_trap 2
	s_or_b32 exec_lo, exec_lo, s41
	s_and_saveexec_b32 s41, s71
	s_delay_alu instid0(SALU_CYCLE_1)
	s_xor_b32 s41, exec_lo, s41
	s_cbranch_execnz .LBB118_641
.LBB118_2141:
	s_or_b32 exec_lo, exec_lo, s41
	s_and_saveexec_b32 s41, s43
	s_cbranch_execz .LBB118_2187
.LBB118_2142:
	s_sext_i32_i16 s43, s0
	s_delay_alu instid0(SALU_CYCLE_1)
	s_cmp_lt_i32 s43, 5
	s_cbranch_scc1 .LBB118_2147
; %bb.2143:
	s_cmp_lt_i32 s43, 8
	s_cbranch_scc1 .LBB118_2148
; %bb.2144:
	;; [unrolled: 3-line block ×3, first 2 shown]
	s_cmp_gt_i32 s43, 9
	s_cbranch_scc0 .LBB118_2150
; %bb.2146:
	s_wait_loadcnt 0x0
	global_load_b64 v[2:3], v[0:1], off
	s_mov_b32 s43, 0
	s_wait_loadcnt 0x0
	v_cvt_i32_f64_e32 v7, v[2:3]
	s_branch .LBB118_2151
.LBB118_2147:
                                        ; implicit-def: $vgpr7
	s_branch .LBB118_2168
.LBB118_2148:
                                        ; implicit-def: $vgpr7
	s_branch .LBB118_2157
.LBB118_2149:
	s_mov_b32 s43, -1
                                        ; implicit-def: $vgpr7
	s_branch .LBB118_2154
.LBB118_2150:
	s_mov_b32 s43, -1
                                        ; implicit-def: $vgpr7
.LBB118_2151:
	s_delay_alu instid0(SALU_CYCLE_1)
	s_and_not1_b32 vcc_lo, exec_lo, s43
	s_cbranch_vccnz .LBB118_2153
; %bb.2152:
	s_wait_loadcnt 0x0
	global_load_b32 v2, v[0:1], off
	s_wait_loadcnt 0x0
	v_cvt_i32_f32_e32 v7, v2
.LBB118_2153:
	s_mov_b32 s43, 0
.LBB118_2154:
	s_delay_alu instid0(SALU_CYCLE_1)
	s_and_not1_b32 vcc_lo, exec_lo, s43
	s_cbranch_vccnz .LBB118_2156
; %bb.2155:
	s_wait_loadcnt 0x0
	global_load_b32 v2, v[0:1], off
	s_wait_loadcnt 0x0
	v_cvt_f32_f16_e32 v2, v2
	s_delay_alu instid0(VALU_DEP_1)
	v_cvt_i32_f32_e32 v7, v2
.LBB118_2156:
	s_cbranch_execnz .LBB118_2167
.LBB118_2157:
	s_sext_i32_i16 s43, s0
	s_delay_alu instid0(SALU_CYCLE_1)
	s_cmp_lt_i32 s43, 6
	s_cbranch_scc1 .LBB118_2160
; %bb.2158:
	s_cmp_gt_i32 s43, 6
	s_cbranch_scc0 .LBB118_2161
; %bb.2159:
	s_wait_loadcnt 0x0
	global_load_b64 v[2:3], v[0:1], off
	s_mov_b32 s43, 0
	s_wait_loadcnt 0x0
	v_cvt_i32_f64_e32 v7, v[2:3]
	s_branch .LBB118_2162
.LBB118_2160:
	s_mov_b32 s43, -1
                                        ; implicit-def: $vgpr7
	s_branch .LBB118_2165
.LBB118_2161:
	s_mov_b32 s43, -1
                                        ; implicit-def: $vgpr7
.LBB118_2162:
	s_delay_alu instid0(SALU_CYCLE_1)
	s_and_not1_b32 vcc_lo, exec_lo, s43
	s_cbranch_vccnz .LBB118_2164
; %bb.2163:
	s_wait_loadcnt 0x0
	global_load_b32 v2, v[0:1], off
	s_wait_loadcnt 0x0
	v_cvt_i32_f32_e32 v7, v2
.LBB118_2164:
	s_mov_b32 s43, 0
.LBB118_2165:
	s_delay_alu instid0(SALU_CYCLE_1)
	s_and_not1_b32 vcc_lo, exec_lo, s43
	s_cbranch_vccnz .LBB118_2167
; %bb.2166:
	s_wait_loadcnt 0x0
	global_load_u16 v2, v[0:1], off
	s_wait_loadcnt 0x0
	v_cvt_f32_f16_e32 v2, v2
	s_delay_alu instid0(VALU_DEP_1)
	v_cvt_i32_f32_e32 v7, v2
.LBB118_2167:
	s_cbranch_execnz .LBB118_2186
.LBB118_2168:
	s_sext_i32_i16 s43, s0
	s_delay_alu instid0(SALU_CYCLE_1)
	s_cmp_lt_i32 s43, 2
	s_cbranch_scc1 .LBB118_2172
; %bb.2169:
	s_cmp_lt_i32 s43, 3
	s_cbranch_scc1 .LBB118_2173
; %bb.2170:
	s_cmp_gt_i32 s43, 3
	s_cbranch_scc0 .LBB118_2174
; %bb.2171:
	s_wait_loadcnt 0x0
	global_load_b32 v7, v[0:1], off
	s_mov_b32 s43, 0
	s_branch .LBB118_2175
.LBB118_2172:
                                        ; implicit-def: $vgpr7
	s_branch .LBB118_2181
.LBB118_2173:
	s_mov_b32 s43, -1
                                        ; implicit-def: $vgpr7
	s_branch .LBB118_2178
.LBB118_2174:
	s_mov_b32 s43, -1
                                        ; implicit-def: $vgpr7
.LBB118_2175:
	s_delay_alu instid0(SALU_CYCLE_1)
	s_and_not1_b32 vcc_lo, exec_lo, s43
	s_cbranch_vccnz .LBB118_2177
; %bb.2176:
	s_wait_loadcnt 0x0
	global_load_b32 v7, v[0:1], off
.LBB118_2177:
	s_mov_b32 s43, 0
.LBB118_2178:
	s_delay_alu instid0(SALU_CYCLE_1)
	s_and_not1_b32 vcc_lo, exec_lo, s43
	s_cbranch_vccnz .LBB118_2180
; %bb.2179:
	s_wait_loadcnt 0x0
	global_load_i16 v7, v[0:1], off
.LBB118_2180:
	s_cbranch_execnz .LBB118_2186
.LBB118_2181:
	s_sext_i32_i16 s0, s0
	s_delay_alu instid0(SALU_CYCLE_1)
	s_cmp_gt_i32 s0, 0
	s_mov_b32 s0, 0
	s_cbranch_scc0 .LBB118_2183
; %bb.2182:
	s_wait_loadcnt 0x0
	global_load_i8 v7, v[0:1], off
	s_branch .LBB118_2184
.LBB118_2183:
	s_mov_b32 s0, -1
                                        ; implicit-def: $vgpr7
.LBB118_2184:
	s_delay_alu instid0(SALU_CYCLE_1)
	s_and_not1_b32 vcc_lo, exec_lo, s0
	s_cbranch_vccnz .LBB118_2186
; %bb.2185:
	s_wait_loadcnt 0x0
	global_load_u8 v7, v[0:1], off
.LBB118_2186:
	s_or_b32 s42, s42, exec_lo
.LBB118_2187:
	s_wait_xcnt 0x0
	s_or_b32 exec_lo, exec_lo, s41
	s_mov_b32 s44, 0
	s_mov_b32 s45, 0
	;; [unrolled: 1-line block ×3, first 2 shown]
                                        ; implicit-def: $sgpr0
                                        ; implicit-def: $vgpr0_vgpr1
                                        ; implicit-def: $vgpr8
	s_and_saveexec_b32 s41, s42
	s_cbranch_execz .LBB118_2195
; %bb.2188:
	s_wait_loadcnt 0x0
	v_mul_lo_u32 v0, v22, s18
	s_and_b32 s0, s25, 0xff
	s_delay_alu instid0(SALU_CYCLE_1) | instskip(NEXT) | instid1(VALU_DEP_1)
	s_cmp_lt_i32 s0, 11
	v_ashrrev_i32_e32 v1, 31, v0
	s_delay_alu instid0(VALU_DEP_1)
	v_add_nc_u64_e32 v[0:1], s[8:9], v[0:1]
	s_cbranch_scc1 .LBB118_2198
; %bb.2189:
	s_and_b32 s43, 0xffff, s0
	s_delay_alu instid0(SALU_CYCLE_1)
	s_cmp_gt_i32 s43, 25
	s_cbranch_scc0 .LBB118_2199
; %bb.2190:
	s_cmp_gt_i32 s43, 28
	s_cbranch_scc0 .LBB118_2200
; %bb.2191:
	;; [unrolled: 3-line block ×4, first 2 shown]
	s_cmp_eq_u32 s43, 46
	s_mov_b32 s46, 0
	s_cbranch_scc0 .LBB118_2203
; %bb.2194:
	global_load_b32 v2, v[0:1], off
	s_mov_b32 s42, 0
	s_mov_b32 s45, -1
	s_wait_loadcnt 0x0
	v_lshlrev_b32_e32 v2, 16, v2
	s_delay_alu instid0(VALU_DEP_1)
	v_cvt_i32_f32_e32 v8, v2
	s_branch .LBB118_2205
.LBB118_2195:
	s_or_b32 exec_lo, exec_lo, s41
	s_and_saveexec_b32 s41, s68
	s_cbranch_execnz .LBB118_2264
.LBB118_2196:
	s_or_b32 exec_lo, exec_lo, s41
	s_and_saveexec_b32 s41, s44
	s_delay_alu instid0(SALU_CYCLE_1)
	s_xor_b32 s41, exec_lo, s41
	s_cbranch_execz .LBB118_2265
.LBB118_2197:
	s_wait_loadcnt 0x0
	global_load_u8 v2, v[0:1], off
	s_or_b32 s43, s43, exec_lo
	s_wait_loadcnt 0x0
	v_cmp_ne_u16_e32 vcc_lo, 0, v2
	v_cndmask_b32_e64 v8, 0, 1, vcc_lo
	s_wait_xcnt 0x0
	s_or_b32 exec_lo, exec_lo, s41
	s_and_saveexec_b32 s41, s45
	s_cbranch_execz .LBB118_2311
	s_branch .LBB118_2266
.LBB118_2198:
	s_mov_b32 s46, -1
	s_mov_b32 s42, s68
                                        ; implicit-def: $vgpr8
	s_branch .LBB118_2263
.LBB118_2199:
	s_mov_b32 s42, s68
                                        ; implicit-def: $vgpr8
	s_cbranch_execnz .LBB118_2232
	s_branch .LBB118_2262
.LBB118_2200:
	s_mov_b32 s46, -1
	s_mov_b32 s42, s68
                                        ; implicit-def: $vgpr8
	s_branch .LBB118_2215
.LBB118_2201:
	s_mov_b32 s46, -1
	s_mov_b32 s42, s68
                                        ; implicit-def: $vgpr8
	s_branch .LBB118_2210
.LBB118_2202:
	s_mov_b32 s46, -1
	s_mov_b32 s42, s68
	s_branch .LBB118_2204
.LBB118_2203:
	s_mov_b32 s42, -1
.LBB118_2204:
                                        ; implicit-def: $vgpr8
.LBB118_2205:
	s_and_b32 vcc_lo, exec_lo, s46
	s_cbranch_vccz .LBB118_2209
; %bb.2206:
	s_cmp_eq_u32 s43, 44
	s_cbranch_scc0 .LBB118_2208
; %bb.2207:
	global_load_u8 v2, v[0:1], off
	s_mov_b32 s42, 0
	s_mov_b32 s45, -1
	s_wait_loadcnt 0x0
	v_lshlrev_b32_e32 v3, 23, v2
	v_cmp_ne_u32_e32 vcc_lo, 0, v2
	s_delay_alu instid0(VALU_DEP_2) | instskip(NEXT) | instid1(VALU_DEP_1)
	v_cvt_i32_f32_e32 v3, v3
	v_cndmask_b32_e32 v8, 0, v3, vcc_lo
	s_branch .LBB118_2209
.LBB118_2208:
	s_mov_b32 s42, -1
                                        ; implicit-def: $vgpr8
.LBB118_2209:
	s_mov_b32 s46, 0
.LBB118_2210:
	s_delay_alu instid0(SALU_CYCLE_1)
	s_and_b32 vcc_lo, exec_lo, s46
	s_cbranch_vccz .LBB118_2214
; %bb.2211:
	s_cmp_eq_u32 s43, 29
	s_cbranch_scc0 .LBB118_2213
; %bb.2212:
	global_load_b32 v8, v[0:1], off
	s_mov_b32 s42, 0
	s_mov_b32 s45, -1
	s_branch .LBB118_2214
.LBB118_2213:
	s_mov_b32 s42, -1
                                        ; implicit-def: $vgpr8
.LBB118_2214:
	s_mov_b32 s46, 0
.LBB118_2215:
	s_delay_alu instid0(SALU_CYCLE_1)
	s_and_b32 vcc_lo, exec_lo, s46
	s_cbranch_vccz .LBB118_2231
; %bb.2216:
	s_cmp_lt_i32 s43, 27
	s_cbranch_scc1 .LBB118_2219
; %bb.2217:
	s_cmp_gt_i32 s43, 27
	s_cbranch_scc0 .LBB118_2220
; %bb.2218:
	s_wait_loadcnt 0x0
	global_load_b32 v8, v[0:1], off
	s_mov_b32 s45, 0
	s_branch .LBB118_2221
.LBB118_2219:
	s_mov_b32 s45, -1
                                        ; implicit-def: $vgpr8
	s_branch .LBB118_2224
.LBB118_2220:
	s_mov_b32 s45, -1
                                        ; implicit-def: $vgpr8
.LBB118_2221:
	s_delay_alu instid0(SALU_CYCLE_1)
	s_and_not1_b32 vcc_lo, exec_lo, s45
	s_cbranch_vccnz .LBB118_2223
; %bb.2222:
	s_wait_loadcnt 0x0
	global_load_u16 v8, v[0:1], off
.LBB118_2223:
	s_mov_b32 s45, 0
.LBB118_2224:
	s_delay_alu instid0(SALU_CYCLE_1)
	s_and_not1_b32 vcc_lo, exec_lo, s45
	s_cbranch_vccnz .LBB118_2230
; %bb.2225:
	global_load_u8 v2, v[0:1], off
	s_mov_b32 s46, 0
	s_mov_b32 s45, exec_lo
	s_wait_loadcnt 0x0
	v_cmpx_lt_i16_e32 0x7f, v2
	s_xor_b32 s45, exec_lo, s45
	s_cbranch_execz .LBB118_2241
; %bb.2226:
	v_cmp_ne_u16_e32 vcc_lo, 0x80, v2
	s_and_b32 s46, vcc_lo, exec_lo
	s_and_not1_saveexec_b32 s45, s45
	s_cbranch_execnz .LBB118_2242
.LBB118_2227:
	s_or_b32 exec_lo, exec_lo, s45
	v_mov_b32_e32 v8, 0
	s_and_saveexec_b32 s45, s46
	s_cbranch_execz .LBB118_2229
.LBB118_2228:
	v_and_b32_e32 v3, 0xffff, v2
	s_delay_alu instid0(VALU_DEP_1) | instskip(SKIP_1) | instid1(VALU_DEP_2)
	v_and_b32_e32 v4, 7, v3
	v_bfe_u32 v8, v3, 3, 4
	v_clz_i32_u32_e32 v5, v4
	s_delay_alu instid0(VALU_DEP_2) | instskip(NEXT) | instid1(VALU_DEP_2)
	v_cmp_eq_u32_e32 vcc_lo, 0, v8
	v_min_u32_e32 v5, 32, v5
	s_delay_alu instid0(VALU_DEP_1) | instskip(NEXT) | instid1(VALU_DEP_1)
	v_subrev_nc_u32_e32 v6, 28, v5
	v_dual_lshlrev_b32 v3, v6, v3 :: v_dual_sub_nc_u32 v5, 29, v5
	s_delay_alu instid0(VALU_DEP_1) | instskip(NEXT) | instid1(VALU_DEP_2)
	v_dual_lshlrev_b32 v2, 24, v2 :: v_dual_bitop2_b32 v3, 7, v3 bitop3:0x40
	v_cndmask_b32_e32 v5, v8, v5, vcc_lo
	s_delay_alu instid0(VALU_DEP_2) | instskip(NEXT) | instid1(VALU_DEP_3)
	v_cndmask_b32_e32 v3, v4, v3, vcc_lo
	v_and_b32_e32 v2, 0x80000000, v2
	s_delay_alu instid0(VALU_DEP_3) | instskip(NEXT) | instid1(VALU_DEP_3)
	v_lshl_add_u32 v4, v5, 23, 0x3b800000
	v_lshlrev_b32_e32 v3, 20, v3
	s_delay_alu instid0(VALU_DEP_1) | instskip(NEXT) | instid1(VALU_DEP_1)
	v_or3_b32 v2, v2, v4, v3
	v_cvt_i32_f32_e32 v8, v2
.LBB118_2229:
	s_or_b32 exec_lo, exec_lo, s45
.LBB118_2230:
	s_mov_b32 s45, -1
.LBB118_2231:
	s_branch .LBB118_2262
.LBB118_2232:
	s_cmp_gt_i32 s43, 22
	s_cbranch_scc0 .LBB118_2240
; %bb.2233:
	s_cmp_lt_i32 s43, 24
	s_cbranch_scc1 .LBB118_2243
; %bb.2234:
	s_cmp_gt_i32 s43, 24
	s_cbranch_scc0 .LBB118_2244
; %bb.2235:
	global_load_u8 v2, v[0:1], off
	s_mov_b32 s45, 0
	s_mov_b32 s44, exec_lo
	s_wait_loadcnt 0x0
	v_cmpx_lt_i16_e32 0x7f, v2
	s_xor_b32 s44, exec_lo, s44
	s_cbranch_execz .LBB118_2256
; %bb.2236:
	v_cmp_ne_u16_e32 vcc_lo, 0x80, v2
	s_and_b32 s45, vcc_lo, exec_lo
	s_and_not1_saveexec_b32 s44, s44
	s_cbranch_execnz .LBB118_2257
.LBB118_2237:
	s_or_b32 exec_lo, exec_lo, s44
	v_mov_b32_e32 v8, 0
	s_and_saveexec_b32 s44, s45
	s_cbranch_execz .LBB118_2239
.LBB118_2238:
	v_and_b32_e32 v3, 0xffff, v2
	s_delay_alu instid0(VALU_DEP_1) | instskip(SKIP_1) | instid1(VALU_DEP_2)
	v_and_b32_e32 v4, 3, v3
	v_bfe_u32 v8, v3, 2, 5
	v_clz_i32_u32_e32 v5, v4
	s_delay_alu instid0(VALU_DEP_2) | instskip(NEXT) | instid1(VALU_DEP_2)
	v_cmp_eq_u32_e32 vcc_lo, 0, v8
	v_min_u32_e32 v5, 32, v5
	s_delay_alu instid0(VALU_DEP_1) | instskip(NEXT) | instid1(VALU_DEP_1)
	v_subrev_nc_u32_e32 v6, 29, v5
	v_dual_lshlrev_b32 v3, v6, v3 :: v_dual_sub_nc_u32 v5, 30, v5
	s_delay_alu instid0(VALU_DEP_1) | instskip(NEXT) | instid1(VALU_DEP_2)
	v_dual_lshlrev_b32 v2, 24, v2 :: v_dual_bitop2_b32 v3, 3, v3 bitop3:0x40
	v_cndmask_b32_e32 v5, v8, v5, vcc_lo
	s_delay_alu instid0(VALU_DEP_2) | instskip(NEXT) | instid1(VALU_DEP_3)
	v_cndmask_b32_e32 v3, v4, v3, vcc_lo
	v_and_b32_e32 v2, 0x80000000, v2
	s_delay_alu instid0(VALU_DEP_3) | instskip(NEXT) | instid1(VALU_DEP_3)
	v_lshl_add_u32 v4, v5, 23, 0x37800000
	v_lshlrev_b32_e32 v3, 21, v3
	s_delay_alu instid0(VALU_DEP_1) | instskip(NEXT) | instid1(VALU_DEP_1)
	v_or3_b32 v2, v2, v4, v3
	v_cvt_i32_f32_e32 v8, v2
.LBB118_2239:
	s_or_b32 exec_lo, exec_lo, s44
	s_mov_b32 s44, 0
	s_branch .LBB118_2245
.LBB118_2240:
	s_mov_b32 s44, -1
                                        ; implicit-def: $vgpr8
	s_branch .LBB118_2251
.LBB118_2241:
	s_and_not1_saveexec_b32 s45, s45
	s_cbranch_execz .LBB118_2227
.LBB118_2242:
	v_cmp_ne_u16_e32 vcc_lo, 0, v2
	s_and_not1_b32 s46, s46, exec_lo
	s_and_b32 s47, vcc_lo, exec_lo
	s_delay_alu instid0(SALU_CYCLE_1)
	s_or_b32 s46, s46, s47
	s_or_b32 exec_lo, exec_lo, s45
	v_mov_b32_e32 v8, 0
	s_and_saveexec_b32 s45, s46
	s_cbranch_execnz .LBB118_2228
	s_branch .LBB118_2229
.LBB118_2243:
	s_mov_b32 s44, -1
                                        ; implicit-def: $vgpr8
	s_branch .LBB118_2248
.LBB118_2244:
	s_mov_b32 s44, -1
                                        ; implicit-def: $vgpr8
.LBB118_2245:
	s_delay_alu instid0(SALU_CYCLE_1)
	s_and_b32 vcc_lo, exec_lo, s44
	s_cbranch_vccz .LBB118_2247
; %bb.2246:
	global_load_u8 v2, v[0:1], off
	s_wait_loadcnt 0x0
	v_lshlrev_b32_e32 v2, 24, v2
	s_delay_alu instid0(VALU_DEP_1) | instskip(NEXT) | instid1(VALU_DEP_1)
	v_and_b32_e32 v3, 0x7f000000, v2
	v_clz_i32_u32_e32 v4, v3
	v_cmp_ne_u32_e32 vcc_lo, 0, v3
	v_add_nc_u32_e32 v6, 0x1000000, v3
	s_delay_alu instid0(VALU_DEP_3) | instskip(NEXT) | instid1(VALU_DEP_1)
	v_min_u32_e32 v4, 32, v4
	v_sub_nc_u32_e64 v4, v4, 4 clamp
	s_delay_alu instid0(VALU_DEP_1) | instskip(NEXT) | instid1(VALU_DEP_1)
	v_dual_lshlrev_b32 v5, v4, v3 :: v_dual_lshlrev_b32 v4, 23, v4
	v_lshrrev_b32_e32 v5, 4, v5
	s_delay_alu instid0(VALU_DEP_1) | instskip(NEXT) | instid1(VALU_DEP_1)
	v_dual_sub_nc_u32 v4, v5, v4 :: v_dual_ashrrev_i32 v5, 8, v6
	v_add_nc_u32_e32 v4, 0x3c000000, v4
	s_delay_alu instid0(VALU_DEP_1) | instskip(NEXT) | instid1(VALU_DEP_1)
	v_and_or_b32 v4, 0x7f800000, v5, v4
	v_cndmask_b32_e32 v3, 0, v4, vcc_lo
	s_delay_alu instid0(VALU_DEP_1) | instskip(NEXT) | instid1(VALU_DEP_1)
	v_and_or_b32 v2, 0x80000000, v2, v3
	v_cvt_i32_f32_e32 v8, v2
.LBB118_2247:
	s_mov_b32 s44, 0
.LBB118_2248:
	s_delay_alu instid0(SALU_CYCLE_1)
	s_and_not1_b32 vcc_lo, exec_lo, s44
	s_cbranch_vccnz .LBB118_2250
; %bb.2249:
	global_load_u8 v2, v[0:1], off
	s_wait_loadcnt 0x0
	v_lshlrev_b32_e32 v3, 25, v2
	v_lshlrev_b16 v2, 8, v2
	s_delay_alu instid0(VALU_DEP_1) | instskip(SKIP_1) | instid1(VALU_DEP_2)
	v_and_or_b32 v5, 0x7f00, v2, 0.5
	v_bfe_i32 v2, v2, 0, 16
	v_dual_add_f32 v5, -0.5, v5 :: v_dual_lshrrev_b32 v4, 4, v3
	v_cmp_gt_u32_e32 vcc_lo, 0x8000000, v3
	s_delay_alu instid0(VALU_DEP_2) | instskip(NEXT) | instid1(VALU_DEP_1)
	v_or_b32_e32 v4, 0x70000000, v4
	v_mul_f32_e32 v4, 0x7800000, v4
	s_delay_alu instid0(VALU_DEP_1) | instskip(NEXT) | instid1(VALU_DEP_1)
	v_cndmask_b32_e32 v3, v4, v5, vcc_lo
	v_and_or_b32 v2, 0x80000000, v2, v3
	s_delay_alu instid0(VALU_DEP_1)
	v_cvt_i32_f32_e32 v8, v2
.LBB118_2250:
	s_mov_b32 s44, 0
	s_mov_b32 s45, -1
.LBB118_2251:
	s_and_not1_b32 vcc_lo, exec_lo, s44
	s_mov_b32 s44, 0
	s_cbranch_vccnz .LBB118_2262
; %bb.2252:
	s_cmp_gt_i32 s43, 14
	s_cbranch_scc0 .LBB118_2255
; %bb.2253:
	s_cmp_eq_u32 s43, 15
	s_cbranch_scc0 .LBB118_2258
; %bb.2254:
	global_load_u16 v2, v[0:1], off
	s_mov_b32 s42, 0
	s_mov_b32 s45, -1
	s_wait_loadcnt 0x0
	v_lshlrev_b32_e32 v2, 16, v2
	s_delay_alu instid0(VALU_DEP_1)
	v_cvt_i32_f32_e32 v8, v2
	s_branch .LBB118_2260
.LBB118_2255:
	s_mov_b32 s44, -1
	s_branch .LBB118_2259
.LBB118_2256:
	s_and_not1_saveexec_b32 s44, s44
	s_cbranch_execz .LBB118_2237
.LBB118_2257:
	v_cmp_ne_u16_e32 vcc_lo, 0, v2
	s_and_not1_b32 s45, s45, exec_lo
	s_and_b32 s46, vcc_lo, exec_lo
	s_delay_alu instid0(SALU_CYCLE_1)
	s_or_b32 s45, s45, s46
	s_or_b32 exec_lo, exec_lo, s44
	v_mov_b32_e32 v8, 0
	s_and_saveexec_b32 s44, s45
	s_cbranch_execnz .LBB118_2238
	s_branch .LBB118_2239
.LBB118_2258:
	s_mov_b32 s42, -1
.LBB118_2259:
                                        ; implicit-def: $vgpr8
.LBB118_2260:
	s_and_b32 vcc_lo, exec_lo, s44
	s_mov_b32 s44, 0
	s_cbranch_vccz .LBB118_2262
; %bb.2261:
	s_cmp_lg_u32 s43, 11
	s_mov_b32 s44, -1
	s_cselect_b32 s43, -1, 0
	s_and_not1_b32 s42, s42, exec_lo
	s_and_b32 s43, s43, exec_lo
	s_delay_alu instid0(SALU_CYCLE_1)
	s_or_b32 s42, s42, s43
.LBB118_2262:
	s_mov_b32 s46, 0
.LBB118_2263:
	s_and_b32 s43, s45, exec_lo
	s_and_b32 s45, s46, exec_lo
	s_and_not1_b32 s46, s68, exec_lo
	s_and_b32 s42, s42, exec_lo
	s_and_b32 s44, s44, exec_lo
	s_or_b32 s68, s46, s42
	s_wait_xcnt 0x0
	s_or_b32 exec_lo, exec_lo, s41
	s_and_saveexec_b32 s41, s68
	s_cbranch_execz .LBB118_2196
.LBB118_2264:
	s_or_b32 s1, s1, exec_lo
	s_and_not1_b32 s44, s44, exec_lo
	s_trap 2
	s_or_b32 exec_lo, exec_lo, s41
	s_and_saveexec_b32 s41, s44
	s_delay_alu instid0(SALU_CYCLE_1)
	s_xor_b32 s41, exec_lo, s41
	s_cbranch_execnz .LBB118_2197
.LBB118_2265:
	s_or_b32 exec_lo, exec_lo, s41
	s_and_saveexec_b32 s41, s45
	s_cbranch_execz .LBB118_2311
.LBB118_2266:
	s_sext_i32_i16 s42, s0
	s_delay_alu instid0(SALU_CYCLE_1)
	s_cmp_lt_i32 s42, 5
	s_cbranch_scc1 .LBB118_2271
; %bb.2267:
	s_cmp_lt_i32 s42, 8
	s_cbranch_scc1 .LBB118_2272
; %bb.2268:
	;; [unrolled: 3-line block ×3, first 2 shown]
	s_cmp_gt_i32 s42, 9
	s_cbranch_scc0 .LBB118_2274
; %bb.2270:
	s_wait_loadcnt 0x0
	global_load_b64 v[2:3], v[0:1], off
	s_mov_b32 s42, 0
	s_wait_loadcnt 0x0
	v_cvt_i32_f64_e32 v8, v[2:3]
	s_branch .LBB118_2275
.LBB118_2271:
                                        ; implicit-def: $vgpr8
	s_branch .LBB118_2292
.LBB118_2272:
                                        ; implicit-def: $vgpr8
	s_branch .LBB118_2281
.LBB118_2273:
	s_mov_b32 s42, -1
                                        ; implicit-def: $vgpr8
	s_branch .LBB118_2278
.LBB118_2274:
	s_mov_b32 s42, -1
                                        ; implicit-def: $vgpr8
.LBB118_2275:
	s_delay_alu instid0(SALU_CYCLE_1)
	s_and_not1_b32 vcc_lo, exec_lo, s42
	s_cbranch_vccnz .LBB118_2277
; %bb.2276:
	s_wait_loadcnt 0x0
	global_load_b32 v2, v[0:1], off
	s_wait_loadcnt 0x0
	v_cvt_i32_f32_e32 v8, v2
.LBB118_2277:
	s_mov_b32 s42, 0
.LBB118_2278:
	s_delay_alu instid0(SALU_CYCLE_1)
	s_and_not1_b32 vcc_lo, exec_lo, s42
	s_cbranch_vccnz .LBB118_2280
; %bb.2279:
	s_wait_loadcnt 0x0
	global_load_b32 v2, v[0:1], off
	s_wait_loadcnt 0x0
	v_cvt_f32_f16_e32 v2, v2
	s_delay_alu instid0(VALU_DEP_1)
	v_cvt_i32_f32_e32 v8, v2
.LBB118_2280:
	s_cbranch_execnz .LBB118_2291
.LBB118_2281:
	s_sext_i32_i16 s42, s0
	s_delay_alu instid0(SALU_CYCLE_1)
	s_cmp_lt_i32 s42, 6
	s_cbranch_scc1 .LBB118_2284
; %bb.2282:
	s_cmp_gt_i32 s42, 6
	s_cbranch_scc0 .LBB118_2285
; %bb.2283:
	s_wait_loadcnt 0x0
	global_load_b64 v[2:3], v[0:1], off
	s_mov_b32 s42, 0
	s_wait_loadcnt 0x0
	v_cvt_i32_f64_e32 v8, v[2:3]
	s_branch .LBB118_2286
.LBB118_2284:
	s_mov_b32 s42, -1
                                        ; implicit-def: $vgpr8
	s_branch .LBB118_2289
.LBB118_2285:
	s_mov_b32 s42, -1
                                        ; implicit-def: $vgpr8
.LBB118_2286:
	s_delay_alu instid0(SALU_CYCLE_1)
	s_and_not1_b32 vcc_lo, exec_lo, s42
	s_cbranch_vccnz .LBB118_2288
; %bb.2287:
	s_wait_loadcnt 0x0
	global_load_b32 v2, v[0:1], off
	s_wait_loadcnt 0x0
	v_cvt_i32_f32_e32 v8, v2
.LBB118_2288:
	s_mov_b32 s42, 0
.LBB118_2289:
	s_delay_alu instid0(SALU_CYCLE_1)
	s_and_not1_b32 vcc_lo, exec_lo, s42
	s_cbranch_vccnz .LBB118_2291
; %bb.2290:
	s_wait_loadcnt 0x0
	global_load_u16 v2, v[0:1], off
	s_wait_loadcnt 0x0
	v_cvt_f32_f16_e32 v2, v2
	s_delay_alu instid0(VALU_DEP_1)
	v_cvt_i32_f32_e32 v8, v2
.LBB118_2291:
	s_cbranch_execnz .LBB118_2310
.LBB118_2292:
	s_sext_i32_i16 s42, s0
	s_delay_alu instid0(SALU_CYCLE_1)
	s_cmp_lt_i32 s42, 2
	s_cbranch_scc1 .LBB118_2296
; %bb.2293:
	s_cmp_lt_i32 s42, 3
	s_cbranch_scc1 .LBB118_2297
; %bb.2294:
	s_cmp_gt_i32 s42, 3
	s_cbranch_scc0 .LBB118_2298
; %bb.2295:
	s_wait_loadcnt 0x0
	global_load_b32 v8, v[0:1], off
	s_mov_b32 s42, 0
	s_branch .LBB118_2299
.LBB118_2296:
                                        ; implicit-def: $vgpr8
	s_branch .LBB118_2305
.LBB118_2297:
	s_mov_b32 s42, -1
                                        ; implicit-def: $vgpr8
	s_branch .LBB118_2302
.LBB118_2298:
	s_mov_b32 s42, -1
                                        ; implicit-def: $vgpr8
.LBB118_2299:
	s_delay_alu instid0(SALU_CYCLE_1)
	s_and_not1_b32 vcc_lo, exec_lo, s42
	s_cbranch_vccnz .LBB118_2301
; %bb.2300:
	s_wait_loadcnt 0x0
	global_load_b32 v8, v[0:1], off
.LBB118_2301:
	s_mov_b32 s42, 0
.LBB118_2302:
	s_delay_alu instid0(SALU_CYCLE_1)
	s_and_not1_b32 vcc_lo, exec_lo, s42
	s_cbranch_vccnz .LBB118_2304
; %bb.2303:
	s_wait_loadcnt 0x0
	global_load_i16 v8, v[0:1], off
.LBB118_2304:
	s_cbranch_execnz .LBB118_2310
.LBB118_2305:
	s_sext_i32_i16 s0, s0
	s_delay_alu instid0(SALU_CYCLE_1)
	s_cmp_gt_i32 s0, 0
	s_mov_b32 s0, 0
	s_cbranch_scc0 .LBB118_2307
; %bb.2306:
	s_wait_loadcnt 0x0
	global_load_i8 v8, v[0:1], off
	s_branch .LBB118_2308
.LBB118_2307:
	s_mov_b32 s0, -1
                                        ; implicit-def: $vgpr8
.LBB118_2308:
	s_delay_alu instid0(SALU_CYCLE_1)
	s_and_not1_b32 vcc_lo, exec_lo, s0
	s_cbranch_vccnz .LBB118_2310
; %bb.2309:
	s_wait_loadcnt 0x0
	global_load_u8 v8, v[0:1], off
.LBB118_2310:
	s_or_b32 s43, s43, exec_lo
.LBB118_2311:
	s_wait_xcnt 0x0
	s_or_b32 exec_lo, exec_lo, s41
	s_mov_b32 s42, 0
	s_mov_b32 s46, 0
	s_mov_b32 s44, 0
                                        ; implicit-def: $sgpr0
                                        ; implicit-def: $vgpr2_vgpr3
                                        ; implicit-def: $vgpr0
	s_and_saveexec_b32 s41, s43
	s_cbranch_execz .LBB118_2319
; %bb.2312:
	s_wait_loadcnt 0x0
	v_mul_lo_u32 v0, v22, s19
	s_and_b32 s0, s34, 0xff
	s_delay_alu instid0(SALU_CYCLE_1) | instskip(NEXT) | instid1(VALU_DEP_1)
	s_cmp_lt_i32 s0, 11
	v_ashrrev_i32_e32 v1, 31, v0
	s_delay_alu instid0(VALU_DEP_1)
	v_add_nc_u64_e32 v[2:3], s[10:11], v[0:1]
	s_cbranch_scc1 .LBB118_2322
; %bb.2313:
	s_and_b32 s43, 0xffff, s0
	s_mov_b32 s45, 0
	s_cmp_gt_i32 s43, 25
	s_cbranch_scc0 .LBB118_2323
; %bb.2314:
	s_cmp_gt_i32 s43, 28
	s_cbranch_scc0 .LBB118_2324
; %bb.2315:
	;; [unrolled: 3-line block ×4, first 2 shown]
	s_cmp_eq_u32 s43, 46
	s_cbranch_scc0 .LBB118_2327
; %bb.2318:
	global_load_b32 v0, v[2:3], off
	s_mov_b32 s44, -1
	s_wait_loadcnt 0x0
	v_lshlrev_b32_e32 v0, 16, v0
	s_delay_alu instid0(VALU_DEP_1)
	v_cvt_i32_f32_e32 v0, v0
	s_branch .LBB118_2329
.LBB118_2319:
	s_or_b32 exec_lo, exec_lo, s41
	s_and_saveexec_b32 s41, s67
	s_cbranch_execnz .LBB118_2388
.LBB118_2320:
	s_or_b32 exec_lo, exec_lo, s41
	s_and_saveexec_b32 s41, s42
	s_delay_alu instid0(SALU_CYCLE_1)
	s_xor_b32 s41, exec_lo, s41
	s_cbranch_execz .LBB118_2389
.LBB118_2321:
	s_wait_loadcnt 0x0
	global_load_u8 v0, v[2:3], off
	s_or_b32 s44, s44, exec_lo
	s_wait_loadcnt 0x0
	v_cmp_ne_u16_e32 vcc_lo, 0, v0
	v_cndmask_b32_e64 v0, 0, 1, vcc_lo
	s_wait_xcnt 0x0
	s_or_b32 exec_lo, exec_lo, s41
	s_and_saveexec_b32 s41, s46
	s_cbranch_execz .LBB118_2435
	s_branch .LBB118_2390
.LBB118_2322:
	s_mov_b32 s43, -1
	s_mov_b32 s45, 0
	s_mov_b32 s42, s67
                                        ; implicit-def: $vgpr0
	s_branch .LBB118_2387
.LBB118_2323:
	s_mov_b32 s42, s67
                                        ; implicit-def: $vgpr0
	s_cbranch_execnz .LBB118_2356
	s_branch .LBB118_2386
.LBB118_2324:
	s_mov_b32 s46, -1
	s_mov_b32 s42, s67
                                        ; implicit-def: $vgpr0
	s_branch .LBB118_2339
.LBB118_2325:
	s_mov_b32 s46, -1
	s_mov_b32 s42, s67
                                        ; implicit-def: $vgpr0
	s_branch .LBB118_2334
.LBB118_2326:
	s_mov_b32 s46, -1
	s_mov_b32 s42, s67
	s_branch .LBB118_2328
.LBB118_2327:
	s_mov_b32 s42, -1
.LBB118_2328:
                                        ; implicit-def: $vgpr0
.LBB118_2329:
	s_and_b32 vcc_lo, exec_lo, s46
	s_cbranch_vccz .LBB118_2333
; %bb.2330:
	s_cmp_eq_u32 s43, 44
	s_cbranch_scc0 .LBB118_2332
; %bb.2331:
	global_load_u8 v0, v[2:3], off
	s_mov_b32 s42, 0
	s_mov_b32 s44, -1
	s_wait_loadcnt 0x0
	v_lshlrev_b32_e32 v1, 23, v0
	v_cmp_ne_u32_e32 vcc_lo, 0, v0
	s_delay_alu instid0(VALU_DEP_2) | instskip(NEXT) | instid1(VALU_DEP_1)
	v_cvt_i32_f32_e32 v1, v1
	v_cndmask_b32_e32 v0, 0, v1, vcc_lo
	s_branch .LBB118_2333
.LBB118_2332:
	s_mov_b32 s42, -1
                                        ; implicit-def: $vgpr0
.LBB118_2333:
	s_mov_b32 s46, 0
.LBB118_2334:
	s_delay_alu instid0(SALU_CYCLE_1)
	s_and_b32 vcc_lo, exec_lo, s46
	s_cbranch_vccz .LBB118_2338
; %bb.2335:
	s_cmp_eq_u32 s43, 29
	s_cbranch_scc0 .LBB118_2337
; %bb.2336:
	global_load_b32 v0, v[2:3], off
	s_mov_b32 s42, 0
	s_mov_b32 s44, -1
	s_branch .LBB118_2338
.LBB118_2337:
	s_mov_b32 s42, -1
                                        ; implicit-def: $vgpr0
.LBB118_2338:
	s_mov_b32 s46, 0
.LBB118_2339:
	s_delay_alu instid0(SALU_CYCLE_1)
	s_and_b32 vcc_lo, exec_lo, s46
	s_cbranch_vccz .LBB118_2355
; %bb.2340:
	s_cmp_lt_i32 s43, 27
	s_cbranch_scc1 .LBB118_2343
; %bb.2341:
	s_cmp_gt_i32 s43, 27
	s_cbranch_scc0 .LBB118_2344
; %bb.2342:
	s_wait_loadcnt 0x0
	global_load_b32 v0, v[2:3], off
	s_mov_b32 s44, 0
	s_branch .LBB118_2345
.LBB118_2343:
	s_mov_b32 s44, -1
                                        ; implicit-def: $vgpr0
	s_branch .LBB118_2348
.LBB118_2344:
	s_mov_b32 s44, -1
                                        ; implicit-def: $vgpr0
.LBB118_2345:
	s_delay_alu instid0(SALU_CYCLE_1)
	s_and_not1_b32 vcc_lo, exec_lo, s44
	s_cbranch_vccnz .LBB118_2347
; %bb.2346:
	s_wait_loadcnt 0x0
	global_load_u16 v0, v[2:3], off
.LBB118_2347:
	s_mov_b32 s44, 0
.LBB118_2348:
	s_delay_alu instid0(SALU_CYCLE_1)
	s_and_not1_b32 vcc_lo, exec_lo, s44
	s_cbranch_vccnz .LBB118_2354
; %bb.2349:
	global_load_u8 v1, v[2:3], off
	s_mov_b32 s46, 0
	s_mov_b32 s44, exec_lo
	s_wait_loadcnt 0x0
	v_cmpx_lt_i16_e32 0x7f, v1
	s_xor_b32 s44, exec_lo, s44
	s_cbranch_execz .LBB118_2365
; %bb.2350:
	v_cmp_ne_u16_e32 vcc_lo, 0x80, v1
	s_and_b32 s46, vcc_lo, exec_lo
	s_and_not1_saveexec_b32 s44, s44
	s_cbranch_execnz .LBB118_2366
.LBB118_2351:
	s_or_b32 exec_lo, exec_lo, s44
	v_mov_b32_e32 v0, 0
	s_and_saveexec_b32 s44, s46
	s_cbranch_execz .LBB118_2353
.LBB118_2352:
	v_and_b32_e32 v0, 0xffff, v1
	s_delay_alu instid0(VALU_DEP_1) | instskip(SKIP_1) | instid1(VALU_DEP_2)
	v_and_b32_e32 v4, 7, v0
	v_bfe_u32 v9, v0, 3, 4
	v_clz_i32_u32_e32 v5, v4
	s_delay_alu instid0(VALU_DEP_2) | instskip(NEXT) | instid1(VALU_DEP_2)
	v_cmp_eq_u32_e32 vcc_lo, 0, v9
	v_min_u32_e32 v5, 32, v5
	s_delay_alu instid0(VALU_DEP_1) | instskip(NEXT) | instid1(VALU_DEP_1)
	v_subrev_nc_u32_e32 v6, 28, v5
	v_dual_lshlrev_b32 v0, v6, v0 :: v_dual_sub_nc_u32 v5, 29, v5
	s_delay_alu instid0(VALU_DEP_1) | instskip(NEXT) | instid1(VALU_DEP_1)
	v_dual_lshlrev_b32 v1, 24, v1 :: v_dual_bitop2_b32 v0, 7, v0 bitop3:0x40
	v_dual_cndmask_b32 v0, v4, v0 :: v_dual_cndmask_b32 v5, v9, v5
	s_delay_alu instid0(VALU_DEP_2) | instskip(NEXT) | instid1(VALU_DEP_2)
	v_and_b32_e32 v1, 0x80000000, v1
	v_lshlrev_b32_e32 v0, 20, v0
	s_delay_alu instid0(VALU_DEP_3) | instskip(NEXT) | instid1(VALU_DEP_1)
	v_lshl_add_u32 v4, v5, 23, 0x3b800000
	v_or3_b32 v0, v1, v4, v0
	s_delay_alu instid0(VALU_DEP_1)
	v_cvt_i32_f32_e32 v0, v0
.LBB118_2353:
	s_or_b32 exec_lo, exec_lo, s44
.LBB118_2354:
	s_mov_b32 s44, -1
.LBB118_2355:
	s_branch .LBB118_2386
.LBB118_2356:
	s_cmp_gt_i32 s43, 22
	s_cbranch_scc0 .LBB118_2364
; %bb.2357:
	s_cmp_lt_i32 s43, 24
	s_cbranch_scc1 .LBB118_2367
; %bb.2358:
	s_cmp_gt_i32 s43, 24
	s_cbranch_scc0 .LBB118_2368
; %bb.2359:
	global_load_u8 v1, v[2:3], off
	s_mov_b32 s44, exec_lo
	s_wait_loadcnt 0x0
	v_cmpx_lt_i16_e32 0x7f, v1
	s_xor_b32 s44, exec_lo, s44
	s_cbranch_execz .LBB118_2380
; %bb.2360:
	v_cmp_ne_u16_e32 vcc_lo, 0x80, v1
	s_and_b32 s45, vcc_lo, exec_lo
	s_and_not1_saveexec_b32 s44, s44
	s_cbranch_execnz .LBB118_2381
.LBB118_2361:
	s_or_b32 exec_lo, exec_lo, s44
	v_mov_b32_e32 v0, 0
	s_and_saveexec_b32 s44, s45
	s_cbranch_execz .LBB118_2363
.LBB118_2362:
	v_and_b32_e32 v0, 0xffff, v1
	s_delay_alu instid0(VALU_DEP_1) | instskip(SKIP_1) | instid1(VALU_DEP_2)
	v_and_b32_e32 v4, 3, v0
	v_bfe_u32 v9, v0, 2, 5
	v_clz_i32_u32_e32 v5, v4
	s_delay_alu instid0(VALU_DEP_2) | instskip(NEXT) | instid1(VALU_DEP_2)
	v_cmp_eq_u32_e32 vcc_lo, 0, v9
	v_min_u32_e32 v5, 32, v5
	s_delay_alu instid0(VALU_DEP_1) | instskip(NEXT) | instid1(VALU_DEP_1)
	v_subrev_nc_u32_e32 v6, 29, v5
	v_dual_lshlrev_b32 v0, v6, v0 :: v_dual_sub_nc_u32 v5, 30, v5
	s_delay_alu instid0(VALU_DEP_1) | instskip(NEXT) | instid1(VALU_DEP_1)
	v_dual_lshlrev_b32 v1, 24, v1 :: v_dual_bitop2_b32 v0, 3, v0 bitop3:0x40
	v_dual_cndmask_b32 v0, v4, v0 :: v_dual_cndmask_b32 v5, v9, v5
	s_delay_alu instid0(VALU_DEP_2) | instskip(NEXT) | instid1(VALU_DEP_2)
	v_and_b32_e32 v1, 0x80000000, v1
	v_lshlrev_b32_e32 v0, 21, v0
	s_delay_alu instid0(VALU_DEP_3) | instskip(NEXT) | instid1(VALU_DEP_1)
	v_lshl_add_u32 v4, v5, 23, 0x37800000
	v_or3_b32 v0, v1, v4, v0
	s_delay_alu instid0(VALU_DEP_1)
	v_cvt_i32_f32_e32 v0, v0
.LBB118_2363:
	s_or_b32 exec_lo, exec_lo, s44
	s_mov_b32 s44, 0
	s_branch .LBB118_2369
.LBB118_2364:
	s_mov_b32 s45, -1
                                        ; implicit-def: $vgpr0
	s_branch .LBB118_2375
.LBB118_2365:
	s_and_not1_saveexec_b32 s44, s44
	s_cbranch_execz .LBB118_2351
.LBB118_2366:
	v_cmp_ne_u16_e32 vcc_lo, 0, v1
	s_and_not1_b32 s46, s46, exec_lo
	s_and_b32 s47, vcc_lo, exec_lo
	s_delay_alu instid0(SALU_CYCLE_1)
	s_or_b32 s46, s46, s47
	s_or_b32 exec_lo, exec_lo, s44
	v_mov_b32_e32 v0, 0
	s_and_saveexec_b32 s44, s46
	s_cbranch_execnz .LBB118_2352
	s_branch .LBB118_2353
.LBB118_2367:
	s_mov_b32 s44, -1
                                        ; implicit-def: $vgpr0
	s_branch .LBB118_2372
.LBB118_2368:
	s_mov_b32 s44, -1
                                        ; implicit-def: $vgpr0
.LBB118_2369:
	s_delay_alu instid0(SALU_CYCLE_1)
	s_and_b32 vcc_lo, exec_lo, s44
	s_cbranch_vccz .LBB118_2371
; %bb.2370:
	s_wait_loadcnt 0x0
	global_load_u8 v0, v[2:3], off
	s_wait_loadcnt 0x0
	v_lshlrev_b32_e32 v0, 24, v0
	s_delay_alu instid0(VALU_DEP_1) | instskip(NEXT) | instid1(VALU_DEP_1)
	v_and_b32_e32 v1, 0x7f000000, v0
	v_clz_i32_u32_e32 v4, v1
	v_cmp_ne_u32_e32 vcc_lo, 0, v1
	v_add_nc_u32_e32 v6, 0x1000000, v1
	s_delay_alu instid0(VALU_DEP_3) | instskip(NEXT) | instid1(VALU_DEP_1)
	v_min_u32_e32 v4, 32, v4
	v_sub_nc_u32_e64 v4, v4, 4 clamp
	s_delay_alu instid0(VALU_DEP_1) | instskip(NEXT) | instid1(VALU_DEP_1)
	v_dual_lshlrev_b32 v5, v4, v1 :: v_dual_lshlrev_b32 v4, 23, v4
	v_lshrrev_b32_e32 v5, 4, v5
	s_delay_alu instid0(VALU_DEP_1) | instskip(NEXT) | instid1(VALU_DEP_1)
	v_dual_sub_nc_u32 v4, v5, v4 :: v_dual_ashrrev_i32 v5, 8, v6
	v_add_nc_u32_e32 v4, 0x3c000000, v4
	s_delay_alu instid0(VALU_DEP_1) | instskip(NEXT) | instid1(VALU_DEP_1)
	v_and_or_b32 v4, 0x7f800000, v5, v4
	v_cndmask_b32_e32 v1, 0, v4, vcc_lo
	s_delay_alu instid0(VALU_DEP_1) | instskip(NEXT) | instid1(VALU_DEP_1)
	v_and_or_b32 v0, 0x80000000, v0, v1
	v_cvt_i32_f32_e32 v0, v0
.LBB118_2371:
	s_mov_b32 s44, 0
.LBB118_2372:
	s_delay_alu instid0(SALU_CYCLE_1)
	s_and_not1_b32 vcc_lo, exec_lo, s44
	s_cbranch_vccnz .LBB118_2374
; %bb.2373:
	s_wait_loadcnt 0x0
	global_load_u8 v0, v[2:3], off
	s_wait_loadcnt 0x0
	v_lshlrev_b32_e32 v1, 25, v0
	v_lshlrev_b16 v0, 8, v0
	s_delay_alu instid0(VALU_DEP_1) | instskip(SKIP_1) | instid1(VALU_DEP_2)
	v_and_or_b32 v5, 0x7f00, v0, 0.5
	v_bfe_i32 v0, v0, 0, 16
	v_add_f32_e32 v5, -0.5, v5
	v_lshrrev_b32_e32 v4, 4, v1
	v_cmp_gt_u32_e32 vcc_lo, 0x8000000, v1
	s_delay_alu instid0(VALU_DEP_2) | instskip(NEXT) | instid1(VALU_DEP_1)
	v_or_b32_e32 v4, 0x70000000, v4
	v_mul_f32_e32 v4, 0x7800000, v4
	s_delay_alu instid0(VALU_DEP_1) | instskip(NEXT) | instid1(VALU_DEP_1)
	v_cndmask_b32_e32 v1, v4, v5, vcc_lo
	v_and_or_b32 v0, 0x80000000, v0, v1
	s_delay_alu instid0(VALU_DEP_1)
	v_cvt_i32_f32_e32 v0, v0
.LBB118_2374:
	s_mov_b32 s45, 0
	s_mov_b32 s44, -1
.LBB118_2375:
	s_and_not1_b32 vcc_lo, exec_lo, s45
	s_mov_b32 s45, 0
	s_cbranch_vccnz .LBB118_2386
; %bb.2376:
	s_cmp_gt_i32 s43, 14
	s_cbranch_scc0 .LBB118_2379
; %bb.2377:
	s_cmp_eq_u32 s43, 15
	s_cbranch_scc0 .LBB118_2382
; %bb.2378:
	s_wait_loadcnt 0x0
	global_load_u16 v0, v[2:3], off
	s_mov_b32 s42, 0
	s_mov_b32 s44, -1
	s_wait_loadcnt 0x0
	v_lshlrev_b32_e32 v0, 16, v0
	s_delay_alu instid0(VALU_DEP_1)
	v_cvt_i32_f32_e32 v0, v0
	s_branch .LBB118_2384
.LBB118_2379:
	s_mov_b32 s45, -1
	s_branch .LBB118_2383
.LBB118_2380:
	s_and_not1_saveexec_b32 s44, s44
	s_cbranch_execz .LBB118_2361
.LBB118_2381:
	v_cmp_ne_u16_e32 vcc_lo, 0, v1
	s_and_not1_b32 s45, s45, exec_lo
	s_and_b32 s46, vcc_lo, exec_lo
	s_delay_alu instid0(SALU_CYCLE_1)
	s_or_b32 s45, s45, s46
	s_or_b32 exec_lo, exec_lo, s44
	v_mov_b32_e32 v0, 0
	s_and_saveexec_b32 s44, s45
	s_cbranch_execnz .LBB118_2362
	s_branch .LBB118_2363
.LBB118_2382:
	s_mov_b32 s42, -1
.LBB118_2383:
                                        ; implicit-def: $vgpr0
.LBB118_2384:
	s_and_b32 vcc_lo, exec_lo, s45
	s_mov_b32 s45, 0
	s_cbranch_vccz .LBB118_2386
; %bb.2385:
	s_cmp_lg_u32 s43, 11
	s_mov_b32 s45, -1
	s_cselect_b32 s43, -1, 0
	s_and_not1_b32 s42, s42, exec_lo
	s_and_b32 s43, s43, exec_lo
	s_delay_alu instid0(SALU_CYCLE_1)
	s_or_b32 s42, s42, s43
.LBB118_2386:
	s_mov_b32 s43, 0
.LBB118_2387:
	s_delay_alu instid0(SALU_CYCLE_1)
	s_and_b32 s46, s43, exec_lo
	s_and_not1_b32 s43, s67, exec_lo
	s_and_b32 s47, s42, exec_lo
	s_and_b32 s44, s44, exec_lo
	;; [unrolled: 1-line block ×3, first 2 shown]
	s_or_b32 s67, s43, s47
	s_wait_xcnt 0x0
	s_or_b32 exec_lo, exec_lo, s41
	s_and_saveexec_b32 s41, s67
	s_cbranch_execz .LBB118_2320
.LBB118_2388:
	s_or_b32 s1, s1, exec_lo
	s_and_not1_b32 s42, s42, exec_lo
	s_trap 2
	s_or_b32 exec_lo, exec_lo, s41
	s_and_saveexec_b32 s41, s42
	s_delay_alu instid0(SALU_CYCLE_1)
	s_xor_b32 s41, exec_lo, s41
	s_cbranch_execnz .LBB118_2321
.LBB118_2389:
	s_or_b32 exec_lo, exec_lo, s41
	s_and_saveexec_b32 s41, s46
	s_cbranch_execz .LBB118_2435
.LBB118_2390:
	s_sext_i32_i16 s42, s0
	s_delay_alu instid0(SALU_CYCLE_1)
	s_cmp_lt_i32 s42, 5
	s_cbranch_scc1 .LBB118_2395
; %bb.2391:
	s_cmp_lt_i32 s42, 8
	s_cbranch_scc1 .LBB118_2396
; %bb.2392:
	;; [unrolled: 3-line block ×3, first 2 shown]
	s_cmp_gt_i32 s42, 9
	s_cbranch_scc0 .LBB118_2398
; %bb.2394:
	s_wait_loadcnt 0x0
	global_load_b64 v[0:1], v[2:3], off
	s_mov_b32 s42, 0
	s_wait_loadcnt 0x0
	v_cvt_i32_f64_e32 v0, v[0:1]
	s_branch .LBB118_2399
.LBB118_2395:
                                        ; implicit-def: $vgpr0
	s_branch .LBB118_2416
.LBB118_2396:
                                        ; implicit-def: $vgpr0
	s_branch .LBB118_2405
.LBB118_2397:
	s_mov_b32 s42, -1
                                        ; implicit-def: $vgpr0
	s_branch .LBB118_2402
.LBB118_2398:
	s_mov_b32 s42, -1
                                        ; implicit-def: $vgpr0
.LBB118_2399:
	s_delay_alu instid0(SALU_CYCLE_1)
	s_and_not1_b32 vcc_lo, exec_lo, s42
	s_cbranch_vccnz .LBB118_2401
; %bb.2400:
	s_wait_loadcnt 0x0
	global_load_b32 v0, v[2:3], off
	s_wait_loadcnt 0x0
	v_cvt_i32_f32_e32 v0, v0
.LBB118_2401:
	s_mov_b32 s42, 0
.LBB118_2402:
	s_delay_alu instid0(SALU_CYCLE_1)
	s_and_not1_b32 vcc_lo, exec_lo, s42
	s_cbranch_vccnz .LBB118_2404
; %bb.2403:
	s_wait_loadcnt 0x0
	global_load_b32 v0, v[2:3], off
	s_wait_loadcnt 0x0
	v_cvt_f32_f16_e32 v0, v0
	s_delay_alu instid0(VALU_DEP_1)
	v_cvt_i32_f32_e32 v0, v0
.LBB118_2404:
	s_cbranch_execnz .LBB118_2415
.LBB118_2405:
	s_sext_i32_i16 s42, s0
	s_delay_alu instid0(SALU_CYCLE_1)
	s_cmp_lt_i32 s42, 6
	s_cbranch_scc1 .LBB118_2408
; %bb.2406:
	s_cmp_gt_i32 s42, 6
	s_cbranch_scc0 .LBB118_2409
; %bb.2407:
	s_wait_loadcnt 0x0
	global_load_b64 v[0:1], v[2:3], off
	s_mov_b32 s42, 0
	s_wait_loadcnt 0x0
	v_cvt_i32_f64_e32 v0, v[0:1]
	s_branch .LBB118_2410
.LBB118_2408:
	s_mov_b32 s42, -1
                                        ; implicit-def: $vgpr0
	s_branch .LBB118_2413
.LBB118_2409:
	s_mov_b32 s42, -1
                                        ; implicit-def: $vgpr0
.LBB118_2410:
	s_delay_alu instid0(SALU_CYCLE_1)
	s_and_not1_b32 vcc_lo, exec_lo, s42
	s_cbranch_vccnz .LBB118_2412
; %bb.2411:
	s_wait_loadcnt 0x0
	global_load_b32 v0, v[2:3], off
	s_wait_loadcnt 0x0
	v_cvt_i32_f32_e32 v0, v0
.LBB118_2412:
	s_mov_b32 s42, 0
.LBB118_2413:
	s_delay_alu instid0(SALU_CYCLE_1)
	s_and_not1_b32 vcc_lo, exec_lo, s42
	s_cbranch_vccnz .LBB118_2415
; %bb.2414:
	s_wait_loadcnt 0x0
	global_load_u16 v0, v[2:3], off
	s_wait_loadcnt 0x0
	v_cvt_f32_f16_e32 v0, v0
	s_delay_alu instid0(VALU_DEP_1)
	v_cvt_i32_f32_e32 v0, v0
.LBB118_2415:
	s_cbranch_execnz .LBB118_2434
.LBB118_2416:
	s_sext_i32_i16 s42, s0
	s_delay_alu instid0(SALU_CYCLE_1)
	s_cmp_lt_i32 s42, 2
	s_cbranch_scc1 .LBB118_2420
; %bb.2417:
	s_cmp_lt_i32 s42, 3
	s_cbranch_scc1 .LBB118_2421
; %bb.2418:
	s_cmp_gt_i32 s42, 3
	s_cbranch_scc0 .LBB118_2422
; %bb.2419:
	s_wait_loadcnt 0x0
	global_load_b32 v0, v[2:3], off
	s_mov_b32 s42, 0
	s_branch .LBB118_2423
.LBB118_2420:
                                        ; implicit-def: $vgpr0
	s_branch .LBB118_2429
.LBB118_2421:
	s_mov_b32 s42, -1
                                        ; implicit-def: $vgpr0
	s_branch .LBB118_2426
.LBB118_2422:
	s_mov_b32 s42, -1
                                        ; implicit-def: $vgpr0
.LBB118_2423:
	s_delay_alu instid0(SALU_CYCLE_1)
	s_and_not1_b32 vcc_lo, exec_lo, s42
	s_cbranch_vccnz .LBB118_2425
; %bb.2424:
	s_wait_loadcnt 0x0
	global_load_b32 v0, v[2:3], off
.LBB118_2425:
	s_mov_b32 s42, 0
.LBB118_2426:
	s_delay_alu instid0(SALU_CYCLE_1)
	s_and_not1_b32 vcc_lo, exec_lo, s42
	s_cbranch_vccnz .LBB118_2428
; %bb.2427:
	s_wait_loadcnt 0x0
	global_load_i16 v0, v[2:3], off
.LBB118_2428:
	s_cbranch_execnz .LBB118_2434
.LBB118_2429:
	s_sext_i32_i16 s0, s0
	s_delay_alu instid0(SALU_CYCLE_1)
	s_cmp_gt_i32 s0, 0
	s_mov_b32 s0, 0
	s_cbranch_scc0 .LBB118_2431
; %bb.2430:
	s_wait_loadcnt 0x0
	global_load_i8 v0, v[2:3], off
	s_branch .LBB118_2432
.LBB118_2431:
	s_mov_b32 s0, -1
                                        ; implicit-def: $vgpr0
.LBB118_2432:
	s_delay_alu instid0(SALU_CYCLE_1)
	s_and_not1_b32 vcc_lo, exec_lo, s0
	s_cbranch_vccnz .LBB118_2434
; %bb.2433:
	s_wait_loadcnt 0x0
	global_load_u8 v0, v[2:3], off
.LBB118_2434:
	s_or_b32 s44, s44, exec_lo
.LBB118_2435:
	s_wait_xcnt 0x0
	s_or_b32 exec_lo, exec_lo, s41
	s_mov_b32 s42, 0
	s_mov_b32 s45, 0
	;; [unrolled: 1-line block ×3, first 2 shown]
                                        ; implicit-def: $sgpr0
                                        ; implicit-def: $vgpr4_vgpr5
                                        ; implicit-def: $vgpr2
	s_and_saveexec_b32 s41, s44
	s_cbranch_execz .LBB118_2443
; %bb.2436:
	s_wait_loadcnt 0x0
	v_mul_lo_u32 v2, v22, s36
	s_and_b32 s0, s3, 0xff
	s_delay_alu instid0(SALU_CYCLE_1) | instskip(NEXT) | instid1(VALU_DEP_1)
	s_cmp_lt_i32 s0, 11
	v_ashrrev_i32_e32 v3, 31, v2
	s_delay_alu instid0(VALU_DEP_1)
	v_add_nc_u64_e32 v[4:5], s[12:13], v[2:3]
	s_cbranch_scc1 .LBB118_2446
; %bb.2437:
	s_and_b32 s43, 0xffff, s0
	s_mov_b32 s44, 0
	s_cmp_gt_i32 s43, 25
	s_cbranch_scc0 .LBB118_2447
; %bb.2438:
	s_cmp_gt_i32 s43, 28
	s_cbranch_scc0 .LBB118_2448
; %bb.2439:
	;; [unrolled: 3-line block ×4, first 2 shown]
	s_cmp_eq_u32 s43, 46
	s_mov_b32 s46, 0
	s_cbranch_scc0 .LBB118_2451
; %bb.2442:
	global_load_b32 v1, v[4:5], off
	s_mov_b32 s45, -1
	s_wait_loadcnt 0x0
	v_lshlrev_b32_e32 v1, 16, v1
	s_delay_alu instid0(VALU_DEP_1)
	v_cvt_i32_f32_e32 v2, v1
	s_branch .LBB118_2453
.LBB118_2443:
	s_or_b32 exec_lo, exec_lo, s41
	s_and_saveexec_b32 s41, s66
	s_cbranch_execnz .LBB118_2512
.LBB118_2444:
	s_or_b32 exec_lo, exec_lo, s41
	s_and_saveexec_b32 s41, s42
	s_delay_alu instid0(SALU_CYCLE_1)
	s_xor_b32 s41, exec_lo, s41
	s_cbranch_execz .LBB118_2513
.LBB118_2445:
	global_load_u8 v1, v[4:5], off
	s_or_b32 s43, s43, exec_lo
	s_wait_loadcnt 0x0
	v_cmp_ne_u16_e32 vcc_lo, 0, v1
	v_cndmask_b32_e64 v2, 0, 1, vcc_lo
	s_wait_xcnt 0x0
	s_or_b32 exec_lo, exec_lo, s41
	s_and_saveexec_b32 s41, s45
	s_cbranch_execz .LBB118_2559
	s_branch .LBB118_2514
.LBB118_2446:
	s_mov_b32 s46, -1
	s_mov_b32 s44, 0
	s_mov_b32 s42, s66
                                        ; implicit-def: $vgpr2
	s_branch .LBB118_2511
.LBB118_2447:
	s_mov_b32 s42, s66
                                        ; implicit-def: $vgpr2
	s_cbranch_execnz .LBB118_2480
	s_branch .LBB118_2510
.LBB118_2448:
	s_mov_b32 s46, -1
	s_mov_b32 s42, s66
                                        ; implicit-def: $vgpr2
	s_branch .LBB118_2463
.LBB118_2449:
	s_mov_b32 s46, -1
	s_mov_b32 s42, s66
                                        ; implicit-def: $vgpr2
	s_branch .LBB118_2458
.LBB118_2450:
	s_mov_b32 s46, -1
	s_mov_b32 s42, s66
	s_branch .LBB118_2452
.LBB118_2451:
	s_mov_b32 s42, -1
.LBB118_2452:
                                        ; implicit-def: $vgpr2
.LBB118_2453:
	s_and_b32 vcc_lo, exec_lo, s46
	s_cbranch_vccz .LBB118_2457
; %bb.2454:
	s_cmp_eq_u32 s43, 44
	s_cbranch_scc0 .LBB118_2456
; %bb.2455:
	global_load_u8 v1, v[4:5], off
	s_mov_b32 s42, 0
	s_mov_b32 s45, -1
	s_wait_loadcnt 0x0
	v_lshlrev_b32_e32 v2, 23, v1
	v_cmp_ne_u32_e32 vcc_lo, 0, v1
	s_delay_alu instid0(VALU_DEP_2) | instskip(NEXT) | instid1(VALU_DEP_1)
	v_cvt_i32_f32_e32 v2, v2
	v_cndmask_b32_e32 v2, 0, v2, vcc_lo
	s_branch .LBB118_2457
.LBB118_2456:
	s_mov_b32 s42, -1
                                        ; implicit-def: $vgpr2
.LBB118_2457:
	s_mov_b32 s46, 0
.LBB118_2458:
	s_delay_alu instid0(SALU_CYCLE_1)
	s_and_b32 vcc_lo, exec_lo, s46
	s_cbranch_vccz .LBB118_2462
; %bb.2459:
	s_cmp_eq_u32 s43, 29
	s_cbranch_scc0 .LBB118_2461
; %bb.2460:
	global_load_b32 v2, v[4:5], off
	s_mov_b32 s42, 0
	s_mov_b32 s45, -1
	s_branch .LBB118_2462
.LBB118_2461:
	s_mov_b32 s42, -1
                                        ; implicit-def: $vgpr2
.LBB118_2462:
	s_mov_b32 s46, 0
.LBB118_2463:
	s_delay_alu instid0(SALU_CYCLE_1)
	s_and_b32 vcc_lo, exec_lo, s46
	s_cbranch_vccz .LBB118_2479
; %bb.2464:
	s_cmp_lt_i32 s43, 27
	s_cbranch_scc1 .LBB118_2467
; %bb.2465:
	s_cmp_gt_i32 s43, 27
	s_cbranch_scc0 .LBB118_2468
; %bb.2466:
	s_wait_loadcnt 0x0
	global_load_b32 v2, v[4:5], off
	s_mov_b32 s45, 0
	s_branch .LBB118_2469
.LBB118_2467:
	s_mov_b32 s45, -1
                                        ; implicit-def: $vgpr2
	s_branch .LBB118_2472
.LBB118_2468:
	s_mov_b32 s45, -1
                                        ; implicit-def: $vgpr2
.LBB118_2469:
	s_delay_alu instid0(SALU_CYCLE_1)
	s_and_not1_b32 vcc_lo, exec_lo, s45
	s_cbranch_vccnz .LBB118_2471
; %bb.2470:
	s_wait_loadcnt 0x0
	global_load_u16 v2, v[4:5], off
.LBB118_2471:
	s_mov_b32 s45, 0
.LBB118_2472:
	s_delay_alu instid0(SALU_CYCLE_1)
	s_and_not1_b32 vcc_lo, exec_lo, s45
	s_cbranch_vccnz .LBB118_2478
; %bb.2473:
	global_load_u8 v1, v[4:5], off
	s_mov_b32 s46, 0
	s_mov_b32 s45, exec_lo
	s_wait_loadcnt 0x0
	v_cmpx_lt_i16_e32 0x7f, v1
	s_xor_b32 s45, exec_lo, s45
	s_cbranch_execz .LBB118_2489
; %bb.2474:
	v_cmp_ne_u16_e32 vcc_lo, 0x80, v1
	s_and_b32 s46, vcc_lo, exec_lo
	s_and_not1_saveexec_b32 s45, s45
	s_cbranch_execnz .LBB118_2490
.LBB118_2475:
	s_or_b32 exec_lo, exec_lo, s45
	v_mov_b32_e32 v2, 0
	s_and_saveexec_b32 s45, s46
	s_cbranch_execz .LBB118_2477
.LBB118_2476:
	v_and_b32_e32 v2, 0xffff, v1
	s_delay_alu instid0(VALU_DEP_1) | instskip(SKIP_1) | instid1(VALU_DEP_2)
	v_dual_lshlrev_b32 v1, 24, v1 :: v_dual_bitop2_b32 v3, 7, v2 bitop3:0x40
	v_bfe_u32 v10, v2, 3, 4
	v_and_b32_e32 v1, 0x80000000, v1
	s_delay_alu instid0(VALU_DEP_3) | instskip(NEXT) | instid1(VALU_DEP_3)
	v_clz_i32_u32_e32 v6, v3
	v_cmp_eq_u32_e32 vcc_lo, 0, v10
	s_delay_alu instid0(VALU_DEP_2) | instskip(NEXT) | instid1(VALU_DEP_1)
	v_min_u32_e32 v6, 32, v6
	v_subrev_nc_u32_e32 v9, 28, v6
	v_sub_nc_u32_e32 v6, 29, v6
	s_delay_alu instid0(VALU_DEP_2) | instskip(NEXT) | instid1(VALU_DEP_2)
	v_lshlrev_b32_e32 v2, v9, v2
	v_cndmask_b32_e32 v6, v10, v6, vcc_lo
	s_delay_alu instid0(VALU_DEP_2) | instskip(NEXT) | instid1(VALU_DEP_1)
	v_and_b32_e32 v2, 7, v2
	v_cndmask_b32_e32 v2, v3, v2, vcc_lo
	s_delay_alu instid0(VALU_DEP_3) | instskip(NEXT) | instid1(VALU_DEP_2)
	v_lshl_add_u32 v3, v6, 23, 0x3b800000
	v_lshlrev_b32_e32 v2, 20, v2
	s_delay_alu instid0(VALU_DEP_1) | instskip(NEXT) | instid1(VALU_DEP_1)
	v_or3_b32 v1, v1, v3, v2
	v_cvt_i32_f32_e32 v2, v1
.LBB118_2477:
	s_or_b32 exec_lo, exec_lo, s45
.LBB118_2478:
	s_mov_b32 s45, -1
.LBB118_2479:
	s_branch .LBB118_2510
.LBB118_2480:
	s_cmp_gt_i32 s43, 22
	s_cbranch_scc0 .LBB118_2488
; %bb.2481:
	s_cmp_lt_i32 s43, 24
	s_cbranch_scc1 .LBB118_2491
; %bb.2482:
	s_cmp_gt_i32 s43, 24
	s_cbranch_scc0 .LBB118_2492
; %bb.2483:
	global_load_u8 v1, v[4:5], off
	s_mov_b32 s45, 0
	s_mov_b32 s44, exec_lo
	s_wait_loadcnt 0x0
	v_cmpx_lt_i16_e32 0x7f, v1
	s_xor_b32 s44, exec_lo, s44
	s_cbranch_execz .LBB118_2504
; %bb.2484:
	v_cmp_ne_u16_e32 vcc_lo, 0x80, v1
	s_and_b32 s45, vcc_lo, exec_lo
	s_and_not1_saveexec_b32 s44, s44
	s_cbranch_execnz .LBB118_2505
.LBB118_2485:
	s_or_b32 exec_lo, exec_lo, s44
	v_mov_b32_e32 v2, 0
	s_and_saveexec_b32 s44, s45
	s_cbranch_execz .LBB118_2487
.LBB118_2486:
	v_and_b32_e32 v2, 0xffff, v1
	s_delay_alu instid0(VALU_DEP_1) | instskip(SKIP_1) | instid1(VALU_DEP_2)
	v_dual_lshlrev_b32 v1, 24, v1 :: v_dual_bitop2_b32 v3, 3, v2 bitop3:0x40
	v_bfe_u32 v10, v2, 2, 5
	v_and_b32_e32 v1, 0x80000000, v1
	s_delay_alu instid0(VALU_DEP_3) | instskip(NEXT) | instid1(VALU_DEP_3)
	v_clz_i32_u32_e32 v6, v3
	v_cmp_eq_u32_e32 vcc_lo, 0, v10
	s_delay_alu instid0(VALU_DEP_2) | instskip(NEXT) | instid1(VALU_DEP_1)
	v_min_u32_e32 v6, 32, v6
	v_subrev_nc_u32_e32 v9, 29, v6
	v_sub_nc_u32_e32 v6, 30, v6
	s_delay_alu instid0(VALU_DEP_2) | instskip(NEXT) | instid1(VALU_DEP_2)
	v_lshlrev_b32_e32 v2, v9, v2
	v_cndmask_b32_e32 v6, v10, v6, vcc_lo
	s_delay_alu instid0(VALU_DEP_2) | instskip(NEXT) | instid1(VALU_DEP_1)
	v_and_b32_e32 v2, 3, v2
	v_cndmask_b32_e32 v2, v3, v2, vcc_lo
	s_delay_alu instid0(VALU_DEP_3) | instskip(NEXT) | instid1(VALU_DEP_2)
	v_lshl_add_u32 v3, v6, 23, 0x37800000
	v_lshlrev_b32_e32 v2, 21, v2
	s_delay_alu instid0(VALU_DEP_1) | instskip(NEXT) | instid1(VALU_DEP_1)
	v_or3_b32 v1, v1, v3, v2
	v_cvt_i32_f32_e32 v2, v1
.LBB118_2487:
	s_or_b32 exec_lo, exec_lo, s44
	s_mov_b32 s44, 0
	s_branch .LBB118_2493
.LBB118_2488:
	s_mov_b32 s44, -1
                                        ; implicit-def: $vgpr2
	s_branch .LBB118_2499
.LBB118_2489:
	s_and_not1_saveexec_b32 s45, s45
	s_cbranch_execz .LBB118_2475
.LBB118_2490:
	v_cmp_ne_u16_e32 vcc_lo, 0, v1
	s_and_not1_b32 s46, s46, exec_lo
	s_and_b32 s47, vcc_lo, exec_lo
	s_delay_alu instid0(SALU_CYCLE_1)
	s_or_b32 s46, s46, s47
	s_or_b32 exec_lo, exec_lo, s45
	v_mov_b32_e32 v2, 0
	s_and_saveexec_b32 s45, s46
	s_cbranch_execnz .LBB118_2476
	s_branch .LBB118_2477
.LBB118_2491:
	s_mov_b32 s44, -1
                                        ; implicit-def: $vgpr2
	s_branch .LBB118_2496
.LBB118_2492:
	s_mov_b32 s44, -1
                                        ; implicit-def: $vgpr2
.LBB118_2493:
	s_delay_alu instid0(SALU_CYCLE_1)
	s_and_b32 vcc_lo, exec_lo, s44
	s_cbranch_vccz .LBB118_2495
; %bb.2494:
	global_load_u8 v1, v[4:5], off
	s_wait_loadcnt 0x0
	v_lshlrev_b32_e32 v1, 24, v1
	s_delay_alu instid0(VALU_DEP_1) | instskip(NEXT) | instid1(VALU_DEP_1)
	v_and_b32_e32 v2, 0x7f000000, v1
	v_clz_i32_u32_e32 v3, v2
	v_cmp_ne_u32_e32 vcc_lo, 0, v2
	v_add_nc_u32_e32 v9, 0x1000000, v2
	s_delay_alu instid0(VALU_DEP_3) | instskip(NEXT) | instid1(VALU_DEP_1)
	v_min_u32_e32 v3, 32, v3
	v_sub_nc_u32_e64 v3, v3, 4 clamp
	s_delay_alu instid0(VALU_DEP_1) | instskip(NEXT) | instid1(VALU_DEP_1)
	v_dual_lshlrev_b32 v6, v3, v2 :: v_dual_lshlrev_b32 v3, 23, v3
	v_lshrrev_b32_e32 v6, 4, v6
	s_delay_alu instid0(VALU_DEP_1) | instskip(NEXT) | instid1(VALU_DEP_1)
	v_dual_sub_nc_u32 v3, v6, v3 :: v_dual_ashrrev_i32 v6, 8, v9
	v_add_nc_u32_e32 v3, 0x3c000000, v3
	s_delay_alu instid0(VALU_DEP_1) | instskip(NEXT) | instid1(VALU_DEP_1)
	v_and_or_b32 v3, 0x7f800000, v6, v3
	v_cndmask_b32_e32 v2, 0, v3, vcc_lo
	s_delay_alu instid0(VALU_DEP_1) | instskip(NEXT) | instid1(VALU_DEP_1)
	v_and_or_b32 v1, 0x80000000, v1, v2
	v_cvt_i32_f32_e32 v2, v1
.LBB118_2495:
	s_mov_b32 s44, 0
.LBB118_2496:
	s_delay_alu instid0(SALU_CYCLE_1)
	s_and_not1_b32 vcc_lo, exec_lo, s44
	s_cbranch_vccnz .LBB118_2498
; %bb.2497:
	global_load_u8 v1, v[4:5], off
	s_wait_loadcnt 0x0
	v_lshlrev_b32_e32 v2, 25, v1
	v_lshlrev_b16 v1, 8, v1
	s_delay_alu instid0(VALU_DEP_1) | instskip(SKIP_1) | instid1(VALU_DEP_2)
	v_and_or_b32 v6, 0x7f00, v1, 0.5
	v_bfe_i32 v1, v1, 0, 16
	v_add_f32_e32 v6, -0.5, v6
	v_lshrrev_b32_e32 v3, 4, v2
	v_cmp_gt_u32_e32 vcc_lo, 0x8000000, v2
	s_delay_alu instid0(VALU_DEP_2) | instskip(NEXT) | instid1(VALU_DEP_1)
	v_or_b32_e32 v3, 0x70000000, v3
	v_mul_f32_e32 v3, 0x7800000, v3
	s_delay_alu instid0(VALU_DEP_1) | instskip(NEXT) | instid1(VALU_DEP_1)
	v_cndmask_b32_e32 v2, v3, v6, vcc_lo
	v_and_or_b32 v1, 0x80000000, v1, v2
	s_delay_alu instid0(VALU_DEP_1)
	v_cvt_i32_f32_e32 v2, v1
.LBB118_2498:
	s_mov_b32 s44, 0
	s_mov_b32 s45, -1
.LBB118_2499:
	s_and_not1_b32 vcc_lo, exec_lo, s44
	s_mov_b32 s44, 0
	s_cbranch_vccnz .LBB118_2510
; %bb.2500:
	s_cmp_gt_i32 s43, 14
	s_cbranch_scc0 .LBB118_2503
; %bb.2501:
	s_cmp_eq_u32 s43, 15
	s_cbranch_scc0 .LBB118_2506
; %bb.2502:
	global_load_u16 v1, v[4:5], off
	s_mov_b32 s42, 0
	s_mov_b32 s45, -1
	s_wait_loadcnt 0x0
	v_lshlrev_b32_e32 v1, 16, v1
	s_delay_alu instid0(VALU_DEP_1)
	v_cvt_i32_f32_e32 v2, v1
	s_branch .LBB118_2508
.LBB118_2503:
	s_mov_b32 s44, -1
	s_branch .LBB118_2507
.LBB118_2504:
	s_and_not1_saveexec_b32 s44, s44
	s_cbranch_execz .LBB118_2485
.LBB118_2505:
	v_cmp_ne_u16_e32 vcc_lo, 0, v1
	s_and_not1_b32 s45, s45, exec_lo
	s_and_b32 s46, vcc_lo, exec_lo
	s_delay_alu instid0(SALU_CYCLE_1)
	s_or_b32 s45, s45, s46
	s_or_b32 exec_lo, exec_lo, s44
	v_mov_b32_e32 v2, 0
	s_and_saveexec_b32 s44, s45
	s_cbranch_execnz .LBB118_2486
	s_branch .LBB118_2487
.LBB118_2506:
	s_mov_b32 s42, -1
.LBB118_2507:
                                        ; implicit-def: $vgpr2
.LBB118_2508:
	s_and_b32 vcc_lo, exec_lo, s44
	s_mov_b32 s44, 0
	s_cbranch_vccz .LBB118_2510
; %bb.2509:
	s_cmp_lg_u32 s43, 11
	s_mov_b32 s44, -1
	s_cselect_b32 s43, -1, 0
	s_and_not1_b32 s42, s42, exec_lo
	s_and_b32 s43, s43, exec_lo
	s_delay_alu instid0(SALU_CYCLE_1)
	s_or_b32 s42, s42, s43
.LBB118_2510:
	s_mov_b32 s46, 0
.LBB118_2511:
	s_and_b32 s43, s45, exec_lo
	s_and_b32 s45, s46, exec_lo
	s_and_not1_b32 s46, s66, exec_lo
	s_and_b32 s47, s42, exec_lo
	s_and_b32 s42, s44, exec_lo
	s_or_b32 s66, s46, s47
	s_wait_xcnt 0x0
	s_or_b32 exec_lo, exec_lo, s41
	s_and_saveexec_b32 s41, s66
	s_cbranch_execz .LBB118_2444
.LBB118_2512:
	s_or_b32 s1, s1, exec_lo
	s_and_not1_b32 s42, s42, exec_lo
	s_trap 2
	s_or_b32 exec_lo, exec_lo, s41
	s_and_saveexec_b32 s41, s42
	s_delay_alu instid0(SALU_CYCLE_1)
	s_xor_b32 s41, exec_lo, s41
	s_cbranch_execnz .LBB118_2445
.LBB118_2513:
	s_or_b32 exec_lo, exec_lo, s41
	s_and_saveexec_b32 s41, s45
	s_cbranch_execz .LBB118_2559
.LBB118_2514:
	s_sext_i32_i16 s42, s0
	s_delay_alu instid0(SALU_CYCLE_1)
	s_cmp_lt_i32 s42, 5
	s_cbranch_scc1 .LBB118_2519
; %bb.2515:
	s_cmp_lt_i32 s42, 8
	s_cbranch_scc1 .LBB118_2520
; %bb.2516:
	;; [unrolled: 3-line block ×3, first 2 shown]
	s_cmp_gt_i32 s42, 9
	s_cbranch_scc0 .LBB118_2522
; %bb.2518:
	s_wait_loadcnt 0x0
	global_load_b64 v[2:3], v[4:5], off
	s_mov_b32 s42, 0
	s_wait_loadcnt 0x0
	v_cvt_i32_f64_e32 v2, v[2:3]
	s_branch .LBB118_2523
.LBB118_2519:
                                        ; implicit-def: $vgpr2
	s_branch .LBB118_2540
.LBB118_2520:
                                        ; implicit-def: $vgpr2
	s_branch .LBB118_2529
.LBB118_2521:
	s_mov_b32 s42, -1
                                        ; implicit-def: $vgpr2
	s_branch .LBB118_2526
.LBB118_2522:
	s_mov_b32 s42, -1
                                        ; implicit-def: $vgpr2
.LBB118_2523:
	s_delay_alu instid0(SALU_CYCLE_1)
	s_and_not1_b32 vcc_lo, exec_lo, s42
	s_cbranch_vccnz .LBB118_2525
; %bb.2524:
	global_load_b32 v1, v[4:5], off
	s_wait_loadcnt 0x0
	v_cvt_i32_f32_e32 v2, v1
.LBB118_2525:
	s_mov_b32 s42, 0
.LBB118_2526:
	s_delay_alu instid0(SALU_CYCLE_1)
	s_and_not1_b32 vcc_lo, exec_lo, s42
	s_cbranch_vccnz .LBB118_2528
; %bb.2527:
	global_load_b32 v1, v[4:5], off
	s_wait_loadcnt 0x0
	v_cvt_f32_f16_e32 v1, v1
	s_delay_alu instid0(VALU_DEP_1)
	v_cvt_i32_f32_e32 v2, v1
.LBB118_2528:
	s_cbranch_execnz .LBB118_2539
.LBB118_2529:
	s_sext_i32_i16 s42, s0
	s_delay_alu instid0(SALU_CYCLE_1)
	s_cmp_lt_i32 s42, 6
	s_cbranch_scc1 .LBB118_2532
; %bb.2530:
	s_cmp_gt_i32 s42, 6
	s_cbranch_scc0 .LBB118_2533
; %bb.2531:
	s_wait_loadcnt 0x0
	global_load_b64 v[2:3], v[4:5], off
	s_mov_b32 s42, 0
	s_wait_loadcnt 0x0
	v_cvt_i32_f64_e32 v2, v[2:3]
	s_branch .LBB118_2534
.LBB118_2532:
	s_mov_b32 s42, -1
                                        ; implicit-def: $vgpr2
	s_branch .LBB118_2537
.LBB118_2533:
	s_mov_b32 s42, -1
                                        ; implicit-def: $vgpr2
.LBB118_2534:
	s_delay_alu instid0(SALU_CYCLE_1)
	s_and_not1_b32 vcc_lo, exec_lo, s42
	s_cbranch_vccnz .LBB118_2536
; %bb.2535:
	global_load_b32 v1, v[4:5], off
	s_wait_loadcnt 0x0
	v_cvt_i32_f32_e32 v2, v1
.LBB118_2536:
	s_mov_b32 s42, 0
.LBB118_2537:
	s_delay_alu instid0(SALU_CYCLE_1)
	s_and_not1_b32 vcc_lo, exec_lo, s42
	s_cbranch_vccnz .LBB118_2539
; %bb.2538:
	global_load_u16 v1, v[4:5], off
	s_wait_loadcnt 0x0
	v_cvt_f32_f16_e32 v1, v1
	s_delay_alu instid0(VALU_DEP_1)
	v_cvt_i32_f32_e32 v2, v1
.LBB118_2539:
	s_cbranch_execnz .LBB118_2558
.LBB118_2540:
	s_sext_i32_i16 s42, s0
	s_delay_alu instid0(SALU_CYCLE_1)
	s_cmp_lt_i32 s42, 2
	s_cbranch_scc1 .LBB118_2544
; %bb.2541:
	s_cmp_lt_i32 s42, 3
	s_cbranch_scc1 .LBB118_2545
; %bb.2542:
	s_cmp_gt_i32 s42, 3
	s_cbranch_scc0 .LBB118_2546
; %bb.2543:
	s_wait_loadcnt 0x0
	global_load_b32 v2, v[4:5], off
	s_mov_b32 s42, 0
	s_branch .LBB118_2547
.LBB118_2544:
                                        ; implicit-def: $vgpr2
	s_branch .LBB118_2553
.LBB118_2545:
	s_mov_b32 s42, -1
                                        ; implicit-def: $vgpr2
	s_branch .LBB118_2550
.LBB118_2546:
	s_mov_b32 s42, -1
                                        ; implicit-def: $vgpr2
.LBB118_2547:
	s_delay_alu instid0(SALU_CYCLE_1)
	s_and_not1_b32 vcc_lo, exec_lo, s42
	s_cbranch_vccnz .LBB118_2549
; %bb.2548:
	s_wait_loadcnt 0x0
	global_load_b32 v2, v[4:5], off
.LBB118_2549:
	s_mov_b32 s42, 0
.LBB118_2550:
	s_delay_alu instid0(SALU_CYCLE_1)
	s_and_not1_b32 vcc_lo, exec_lo, s42
	s_cbranch_vccnz .LBB118_2552
; %bb.2551:
	s_wait_loadcnt 0x0
	global_load_i16 v2, v[4:5], off
.LBB118_2552:
	s_cbranch_execnz .LBB118_2558
.LBB118_2553:
	s_sext_i32_i16 s0, s0
	s_delay_alu instid0(SALU_CYCLE_1)
	s_cmp_gt_i32 s0, 0
	s_mov_b32 s0, 0
	s_cbranch_scc0 .LBB118_2555
; %bb.2554:
	s_wait_loadcnt 0x0
	global_load_i8 v2, v[4:5], off
	s_branch .LBB118_2556
.LBB118_2555:
	s_mov_b32 s0, -1
                                        ; implicit-def: $vgpr2
.LBB118_2556:
	s_delay_alu instid0(SALU_CYCLE_1)
	s_and_not1_b32 vcc_lo, exec_lo, s0
	s_cbranch_vccnz .LBB118_2558
; %bb.2557:
	s_wait_loadcnt 0x0
	global_load_u8 v2, v[4:5], off
.LBB118_2558:
	s_or_b32 s43, s43, exec_lo
.LBB118_2559:
	s_wait_xcnt 0x0
	s_or_b32 exec_lo, exec_lo, s41
	s_mov_b32 s42, 0
	s_mov_b32 s46, 0
	;; [unrolled: 1-line block ×3, first 2 shown]
                                        ; implicit-def: $sgpr0
                                        ; implicit-def: $vgpr4_vgpr5
                                        ; implicit-def: $vgpr6
	s_and_saveexec_b32 s41, s43
	s_cbranch_execz .LBB118_2567
; %bb.2560:
	v_mul_lo_u32 v4, v22, s37
	s_and_b32 s0, s21, 0xff
	s_delay_alu instid0(SALU_CYCLE_1) | instskip(NEXT) | instid1(VALU_DEP_1)
	s_cmp_lt_i32 s0, 11
	v_ashrrev_i32_e32 v5, 31, v4
	s_delay_alu instid0(VALU_DEP_1)
	v_add_nc_u64_e32 v[4:5], s[14:15], v[4:5]
	s_cbranch_scc1 .LBB118_2570
; %bb.2561:
	s_and_b32 s43, 0xffff, s0
	s_mov_b32 s45, 0
	s_cmp_gt_i32 s43, 25
	s_cbranch_scc0 .LBB118_2571
; %bb.2562:
	s_cmp_gt_i32 s43, 28
	s_cbranch_scc0 .LBB118_2572
; %bb.2563:
	;; [unrolled: 3-line block ×4, first 2 shown]
	s_cmp_eq_u32 s43, 46
	s_cbranch_scc0 .LBB118_2575
; %bb.2566:
	global_load_b32 v1, v[4:5], off
	s_mov_b32 s44, -1
	s_wait_loadcnt 0x0
	v_lshlrev_b32_e32 v1, 16, v1
	s_delay_alu instid0(VALU_DEP_1)
	v_cvt_i32_f32_e32 v6, v1
	s_branch .LBB118_2577
.LBB118_2567:
	s_or_b32 exec_lo, exec_lo, s41
	s_and_saveexec_b32 s41, s65
	s_cbranch_execnz .LBB118_2636
.LBB118_2568:
	s_or_b32 exec_lo, exec_lo, s41
	s_and_saveexec_b32 s41, s42
	s_delay_alu instid0(SALU_CYCLE_1)
	s_xor_b32 s41, exec_lo, s41
	s_cbranch_execz .LBB118_2637
.LBB118_2569:
	global_load_u8 v1, v[4:5], off
	s_or_b32 s44, s44, exec_lo
	s_wait_loadcnt 0x0
	v_cmp_ne_u16_e32 vcc_lo, 0, v1
	v_cndmask_b32_e64 v6, 0, 1, vcc_lo
	s_wait_xcnt 0x0
	s_or_b32 exec_lo, exec_lo, s41
	s_and_saveexec_b32 s41, s46
	s_cbranch_execz .LBB118_2683
	s_branch .LBB118_2638
.LBB118_2570:
	s_mov_b32 s43, -1
	s_mov_b32 s45, 0
	s_mov_b32 s42, s65
                                        ; implicit-def: $vgpr6
	s_branch .LBB118_2635
.LBB118_2571:
	s_mov_b32 s42, s65
                                        ; implicit-def: $vgpr6
	s_cbranch_execnz .LBB118_2604
	s_branch .LBB118_2634
.LBB118_2572:
	s_mov_b32 s46, -1
	s_mov_b32 s42, s65
                                        ; implicit-def: $vgpr6
	s_branch .LBB118_2587
.LBB118_2573:
	s_mov_b32 s46, -1
	s_mov_b32 s42, s65
                                        ; implicit-def: $vgpr6
	s_branch .LBB118_2582
.LBB118_2574:
	s_mov_b32 s46, -1
	s_mov_b32 s42, s65
	s_branch .LBB118_2576
.LBB118_2575:
	s_mov_b32 s42, -1
.LBB118_2576:
                                        ; implicit-def: $vgpr6
.LBB118_2577:
	s_and_b32 vcc_lo, exec_lo, s46
	s_cbranch_vccz .LBB118_2581
; %bb.2578:
	s_cmp_eq_u32 s43, 44
	s_cbranch_scc0 .LBB118_2580
; %bb.2579:
	global_load_u8 v1, v[4:5], off
	s_mov_b32 s42, 0
	s_mov_b32 s44, -1
	s_wait_loadcnt 0x0
	v_lshlrev_b32_e32 v3, 23, v1
	v_cmp_ne_u32_e32 vcc_lo, 0, v1
	s_delay_alu instid0(VALU_DEP_2) | instskip(NEXT) | instid1(VALU_DEP_1)
	v_cvt_i32_f32_e32 v3, v3
	v_cndmask_b32_e32 v6, 0, v3, vcc_lo
	s_branch .LBB118_2581
.LBB118_2580:
	s_mov_b32 s42, -1
                                        ; implicit-def: $vgpr6
.LBB118_2581:
	s_mov_b32 s46, 0
.LBB118_2582:
	s_delay_alu instid0(SALU_CYCLE_1)
	s_and_b32 vcc_lo, exec_lo, s46
	s_cbranch_vccz .LBB118_2586
; %bb.2583:
	s_cmp_eq_u32 s43, 29
	s_cbranch_scc0 .LBB118_2585
; %bb.2584:
	s_wait_loadcnt 0x0
	global_load_b32 v6, v[4:5], off
	s_mov_b32 s42, 0
	s_mov_b32 s44, -1
	s_branch .LBB118_2586
.LBB118_2585:
	s_mov_b32 s42, -1
                                        ; implicit-def: $vgpr6
.LBB118_2586:
	s_mov_b32 s46, 0
.LBB118_2587:
	s_delay_alu instid0(SALU_CYCLE_1)
	s_and_b32 vcc_lo, exec_lo, s46
	s_cbranch_vccz .LBB118_2603
; %bb.2588:
	s_cmp_lt_i32 s43, 27
	s_cbranch_scc1 .LBB118_2591
; %bb.2589:
	s_cmp_gt_i32 s43, 27
	s_cbranch_scc0 .LBB118_2592
; %bb.2590:
	s_wait_loadcnt 0x0
	global_load_b32 v6, v[4:5], off
	s_mov_b32 s44, 0
	s_branch .LBB118_2593
.LBB118_2591:
	s_mov_b32 s44, -1
                                        ; implicit-def: $vgpr6
	s_branch .LBB118_2596
.LBB118_2592:
	s_mov_b32 s44, -1
                                        ; implicit-def: $vgpr6
.LBB118_2593:
	s_delay_alu instid0(SALU_CYCLE_1)
	s_and_not1_b32 vcc_lo, exec_lo, s44
	s_cbranch_vccnz .LBB118_2595
; %bb.2594:
	s_wait_loadcnt 0x0
	global_load_u16 v6, v[4:5], off
.LBB118_2595:
	s_mov_b32 s44, 0
.LBB118_2596:
	s_delay_alu instid0(SALU_CYCLE_1)
	s_and_not1_b32 vcc_lo, exec_lo, s44
	s_cbranch_vccnz .LBB118_2602
; %bb.2597:
	global_load_u8 v1, v[4:5], off
	s_mov_b32 s46, 0
	s_mov_b32 s44, exec_lo
	s_wait_loadcnt 0x0
	v_cmpx_lt_i16_e32 0x7f, v1
	s_xor_b32 s44, exec_lo, s44
	s_cbranch_execz .LBB118_2613
; %bb.2598:
	v_cmp_ne_u16_e32 vcc_lo, 0x80, v1
	s_and_b32 s46, vcc_lo, exec_lo
	s_and_not1_saveexec_b32 s44, s44
	s_cbranch_execnz .LBB118_2614
.LBB118_2599:
	s_or_b32 exec_lo, exec_lo, s44
	v_mov_b32_e32 v6, 0
	s_and_saveexec_b32 s44, s46
	s_cbranch_execz .LBB118_2601
.LBB118_2600:
	v_and_b32_e32 v3, 0xffff, v1
	s_delay_alu instid0(VALU_DEP_1) | instskip(SKIP_1) | instid1(VALU_DEP_2)
	v_and_b32_e32 v6, 7, v3
	v_bfe_u32 v11, v3, 3, 4
	v_clz_i32_u32_e32 v9, v6
	s_delay_alu instid0(VALU_DEP_2) | instskip(NEXT) | instid1(VALU_DEP_2)
	v_cmp_eq_u32_e32 vcc_lo, 0, v11
	v_min_u32_e32 v9, 32, v9
	s_delay_alu instid0(VALU_DEP_1) | instskip(NEXT) | instid1(VALU_DEP_1)
	v_subrev_nc_u32_e32 v10, 28, v9
	v_dual_lshlrev_b32 v3, v10, v3 :: v_dual_sub_nc_u32 v9, 29, v9
	s_delay_alu instid0(VALU_DEP_1) | instskip(NEXT) | instid1(VALU_DEP_1)
	v_dual_lshlrev_b32 v1, 24, v1 :: v_dual_bitop2_b32 v3, 7, v3 bitop3:0x40
	v_dual_cndmask_b32 v3, v6, v3, vcc_lo :: v_dual_cndmask_b32 v9, v11, v9, vcc_lo
	s_delay_alu instid0(VALU_DEP_2) | instskip(NEXT) | instid1(VALU_DEP_2)
	v_and_b32_e32 v1, 0x80000000, v1
	v_lshlrev_b32_e32 v3, 20, v3
	s_delay_alu instid0(VALU_DEP_3) | instskip(NEXT) | instid1(VALU_DEP_1)
	v_lshl_add_u32 v6, v9, 23, 0x3b800000
	v_or3_b32 v1, v1, v6, v3
	s_delay_alu instid0(VALU_DEP_1)
	v_cvt_i32_f32_e32 v6, v1
.LBB118_2601:
	s_or_b32 exec_lo, exec_lo, s44
.LBB118_2602:
	s_mov_b32 s44, -1
.LBB118_2603:
	s_branch .LBB118_2634
.LBB118_2604:
	s_cmp_gt_i32 s43, 22
	s_cbranch_scc0 .LBB118_2612
; %bb.2605:
	s_cmp_lt_i32 s43, 24
	s_cbranch_scc1 .LBB118_2615
; %bb.2606:
	s_cmp_gt_i32 s43, 24
	s_cbranch_scc0 .LBB118_2616
; %bb.2607:
	global_load_u8 v1, v[4:5], off
	s_mov_b32 s44, exec_lo
	s_wait_loadcnt 0x0
	v_cmpx_lt_i16_e32 0x7f, v1
	s_xor_b32 s44, exec_lo, s44
	s_cbranch_execz .LBB118_2628
; %bb.2608:
	v_cmp_ne_u16_e32 vcc_lo, 0x80, v1
	s_and_b32 s45, vcc_lo, exec_lo
	s_and_not1_saveexec_b32 s44, s44
	s_cbranch_execnz .LBB118_2629
.LBB118_2609:
	s_or_b32 exec_lo, exec_lo, s44
	v_mov_b32_e32 v6, 0
	s_and_saveexec_b32 s44, s45
	s_cbranch_execz .LBB118_2611
.LBB118_2610:
	v_and_b32_e32 v3, 0xffff, v1
	s_delay_alu instid0(VALU_DEP_1) | instskip(SKIP_1) | instid1(VALU_DEP_2)
	v_and_b32_e32 v6, 3, v3
	v_bfe_u32 v11, v3, 2, 5
	v_clz_i32_u32_e32 v9, v6
	s_delay_alu instid0(VALU_DEP_2) | instskip(NEXT) | instid1(VALU_DEP_2)
	v_cmp_eq_u32_e32 vcc_lo, 0, v11
	v_min_u32_e32 v9, 32, v9
	s_delay_alu instid0(VALU_DEP_1) | instskip(NEXT) | instid1(VALU_DEP_1)
	v_subrev_nc_u32_e32 v10, 29, v9
	v_dual_lshlrev_b32 v3, v10, v3 :: v_dual_sub_nc_u32 v9, 30, v9
	s_delay_alu instid0(VALU_DEP_1) | instskip(NEXT) | instid1(VALU_DEP_1)
	v_dual_lshlrev_b32 v1, 24, v1 :: v_dual_bitop2_b32 v3, 3, v3 bitop3:0x40
	v_dual_cndmask_b32 v3, v6, v3, vcc_lo :: v_dual_cndmask_b32 v9, v11, v9, vcc_lo
	s_delay_alu instid0(VALU_DEP_2) | instskip(NEXT) | instid1(VALU_DEP_2)
	v_and_b32_e32 v1, 0x80000000, v1
	v_lshlrev_b32_e32 v3, 21, v3
	s_delay_alu instid0(VALU_DEP_3) | instskip(NEXT) | instid1(VALU_DEP_1)
	v_lshl_add_u32 v6, v9, 23, 0x37800000
	v_or3_b32 v1, v1, v6, v3
	s_delay_alu instid0(VALU_DEP_1)
	v_cvt_i32_f32_e32 v6, v1
.LBB118_2611:
	s_or_b32 exec_lo, exec_lo, s44
	s_mov_b32 s44, 0
	s_branch .LBB118_2617
.LBB118_2612:
	s_mov_b32 s45, -1
                                        ; implicit-def: $vgpr6
	s_branch .LBB118_2623
.LBB118_2613:
	s_and_not1_saveexec_b32 s44, s44
	s_cbranch_execz .LBB118_2599
.LBB118_2614:
	v_cmp_ne_u16_e32 vcc_lo, 0, v1
	s_and_not1_b32 s46, s46, exec_lo
	s_and_b32 s47, vcc_lo, exec_lo
	s_delay_alu instid0(SALU_CYCLE_1)
	s_or_b32 s46, s46, s47
	s_or_b32 exec_lo, exec_lo, s44
	v_mov_b32_e32 v6, 0
	s_and_saveexec_b32 s44, s46
	s_cbranch_execnz .LBB118_2600
	s_branch .LBB118_2601
.LBB118_2615:
	s_mov_b32 s44, -1
                                        ; implicit-def: $vgpr6
	s_branch .LBB118_2620
.LBB118_2616:
	s_mov_b32 s44, -1
                                        ; implicit-def: $vgpr6
.LBB118_2617:
	s_delay_alu instid0(SALU_CYCLE_1)
	s_and_b32 vcc_lo, exec_lo, s44
	s_cbranch_vccz .LBB118_2619
; %bb.2618:
	global_load_u8 v1, v[4:5], off
	s_wait_loadcnt 0x0
	v_lshlrev_b32_e32 v1, 24, v1
	s_delay_alu instid0(VALU_DEP_1) | instskip(NEXT) | instid1(VALU_DEP_1)
	v_and_b32_e32 v3, 0x7f000000, v1
	v_clz_i32_u32_e32 v6, v3
	v_cmp_ne_u32_e32 vcc_lo, 0, v3
	v_add_nc_u32_e32 v10, 0x1000000, v3
	s_delay_alu instid0(VALU_DEP_3) | instskip(NEXT) | instid1(VALU_DEP_1)
	v_min_u32_e32 v6, 32, v6
	v_sub_nc_u32_e64 v6, v6, 4 clamp
	s_delay_alu instid0(VALU_DEP_1) | instskip(NEXT) | instid1(VALU_DEP_1)
	v_dual_lshlrev_b32 v9, v6, v3 :: v_dual_lshlrev_b32 v6, 23, v6
	v_lshrrev_b32_e32 v9, 4, v9
	s_delay_alu instid0(VALU_DEP_1) | instskip(SKIP_1) | instid1(VALU_DEP_2)
	v_sub_nc_u32_e32 v6, v9, v6
	v_ashrrev_i32_e32 v9, 8, v10
	v_add_nc_u32_e32 v6, 0x3c000000, v6
	s_delay_alu instid0(VALU_DEP_1) | instskip(NEXT) | instid1(VALU_DEP_1)
	v_and_or_b32 v6, 0x7f800000, v9, v6
	v_cndmask_b32_e32 v3, 0, v6, vcc_lo
	s_delay_alu instid0(VALU_DEP_1) | instskip(NEXT) | instid1(VALU_DEP_1)
	v_and_or_b32 v1, 0x80000000, v1, v3
	v_cvt_i32_f32_e32 v6, v1
.LBB118_2619:
	s_mov_b32 s44, 0
.LBB118_2620:
	s_delay_alu instid0(SALU_CYCLE_1)
	s_and_not1_b32 vcc_lo, exec_lo, s44
	s_cbranch_vccnz .LBB118_2622
; %bb.2621:
	global_load_u8 v1, v[4:5], off
	s_wait_loadcnt 0x0
	v_lshlrev_b32_e32 v3, 25, v1
	v_lshlrev_b16 v1, 8, v1
	s_delay_alu instid0(VALU_DEP_1) | instskip(NEXT) | instid1(VALU_DEP_3)
	v_and_or_b32 v9, 0x7f00, v1, 0.5
	v_lshrrev_b32_e32 v6, 4, v3
	v_bfe_i32 v1, v1, 0, 16
	s_delay_alu instid0(VALU_DEP_3) | instskip(NEXT) | instid1(VALU_DEP_3)
	v_add_f32_e32 v9, -0.5, v9
	v_or_b32_e32 v6, 0x70000000, v6
	s_delay_alu instid0(VALU_DEP_1) | instskip(SKIP_1) | instid1(VALU_DEP_2)
	v_mul_f32_e32 v6, 0x7800000, v6
	v_cmp_gt_u32_e32 vcc_lo, 0x8000000, v3
	v_cndmask_b32_e32 v3, v6, v9, vcc_lo
	s_delay_alu instid0(VALU_DEP_1) | instskip(NEXT) | instid1(VALU_DEP_1)
	v_and_or_b32 v1, 0x80000000, v1, v3
	v_cvt_i32_f32_e32 v6, v1
.LBB118_2622:
	s_mov_b32 s45, 0
	s_mov_b32 s44, -1
.LBB118_2623:
	s_and_not1_b32 vcc_lo, exec_lo, s45
	s_mov_b32 s45, 0
	s_cbranch_vccnz .LBB118_2634
; %bb.2624:
	s_cmp_gt_i32 s43, 14
	s_cbranch_scc0 .LBB118_2627
; %bb.2625:
	s_cmp_eq_u32 s43, 15
	s_cbranch_scc0 .LBB118_2630
; %bb.2626:
	global_load_u16 v1, v[4:5], off
	s_mov_b32 s42, 0
	s_mov_b32 s44, -1
	s_wait_loadcnt 0x0
	v_lshlrev_b32_e32 v1, 16, v1
	s_delay_alu instid0(VALU_DEP_1)
	v_cvt_i32_f32_e32 v6, v1
	s_branch .LBB118_2632
.LBB118_2627:
	s_mov_b32 s45, -1
	s_branch .LBB118_2631
.LBB118_2628:
	s_and_not1_saveexec_b32 s44, s44
	s_cbranch_execz .LBB118_2609
.LBB118_2629:
	v_cmp_ne_u16_e32 vcc_lo, 0, v1
	s_and_not1_b32 s45, s45, exec_lo
	s_and_b32 s46, vcc_lo, exec_lo
	s_delay_alu instid0(SALU_CYCLE_1)
	s_or_b32 s45, s45, s46
	s_or_b32 exec_lo, exec_lo, s44
	v_mov_b32_e32 v6, 0
	s_and_saveexec_b32 s44, s45
	s_cbranch_execnz .LBB118_2610
	s_branch .LBB118_2611
.LBB118_2630:
	s_mov_b32 s42, -1
.LBB118_2631:
                                        ; implicit-def: $vgpr6
.LBB118_2632:
	s_and_b32 vcc_lo, exec_lo, s45
	s_mov_b32 s45, 0
	s_cbranch_vccz .LBB118_2634
; %bb.2633:
	s_cmp_lg_u32 s43, 11
	s_mov_b32 s45, -1
	s_cselect_b32 s43, -1, 0
	s_and_not1_b32 s42, s42, exec_lo
	s_and_b32 s43, s43, exec_lo
	s_delay_alu instid0(SALU_CYCLE_1)
	s_or_b32 s42, s42, s43
.LBB118_2634:
	s_mov_b32 s43, 0
.LBB118_2635:
	s_delay_alu instid0(SALU_CYCLE_1)
	s_and_b32 s46, s43, exec_lo
	s_and_not1_b32 s43, s65, exec_lo
	s_and_b32 s47, s42, exec_lo
	s_and_b32 s44, s44, exec_lo
	;; [unrolled: 1-line block ×3, first 2 shown]
	s_or_b32 s65, s43, s47
	s_wait_xcnt 0x0
	s_or_b32 exec_lo, exec_lo, s41
	s_and_saveexec_b32 s41, s65
	s_cbranch_execz .LBB118_2568
.LBB118_2636:
	s_or_b32 s1, s1, exec_lo
	s_and_not1_b32 s42, s42, exec_lo
	s_trap 2
	s_or_b32 exec_lo, exec_lo, s41
	s_and_saveexec_b32 s41, s42
	s_delay_alu instid0(SALU_CYCLE_1)
	s_xor_b32 s41, exec_lo, s41
	s_cbranch_execnz .LBB118_2569
.LBB118_2637:
	s_or_b32 exec_lo, exec_lo, s41
	s_and_saveexec_b32 s41, s46
	s_cbranch_execz .LBB118_2683
.LBB118_2638:
	s_sext_i32_i16 s42, s0
	s_delay_alu instid0(SALU_CYCLE_1)
	s_cmp_lt_i32 s42, 5
	s_cbranch_scc1 .LBB118_2643
; %bb.2639:
	s_cmp_lt_i32 s42, 8
	s_cbranch_scc1 .LBB118_2644
; %bb.2640:
	;; [unrolled: 3-line block ×3, first 2 shown]
	s_cmp_gt_i32 s42, 9
	s_cbranch_scc0 .LBB118_2646
; %bb.2642:
	global_load_b64 v[10:11], v[4:5], off
	s_mov_b32 s42, 0
	s_wait_loadcnt 0x0
	v_cvt_i32_f64_e32 v6, v[10:11]
	s_branch .LBB118_2647
.LBB118_2643:
                                        ; implicit-def: $vgpr6
	s_branch .LBB118_2664
.LBB118_2644:
                                        ; implicit-def: $vgpr6
	s_branch .LBB118_2653
.LBB118_2645:
	s_mov_b32 s42, -1
                                        ; implicit-def: $vgpr6
	s_branch .LBB118_2650
.LBB118_2646:
	s_mov_b32 s42, -1
                                        ; implicit-def: $vgpr6
.LBB118_2647:
	s_delay_alu instid0(SALU_CYCLE_1)
	s_and_not1_b32 vcc_lo, exec_lo, s42
	s_cbranch_vccnz .LBB118_2649
; %bb.2648:
	global_load_b32 v1, v[4:5], off
	s_wait_loadcnt 0x0
	v_cvt_i32_f32_e32 v6, v1
.LBB118_2649:
	s_mov_b32 s42, 0
.LBB118_2650:
	s_delay_alu instid0(SALU_CYCLE_1)
	s_and_not1_b32 vcc_lo, exec_lo, s42
	s_cbranch_vccnz .LBB118_2652
; %bb.2651:
	global_load_b32 v1, v[4:5], off
	s_wait_loadcnt 0x0
	v_cvt_f32_f16_e32 v1, v1
	s_delay_alu instid0(VALU_DEP_1)
	v_cvt_i32_f32_e32 v6, v1
.LBB118_2652:
	s_cbranch_execnz .LBB118_2663
.LBB118_2653:
	s_sext_i32_i16 s42, s0
	s_delay_alu instid0(SALU_CYCLE_1)
	s_cmp_lt_i32 s42, 6
	s_cbranch_scc1 .LBB118_2656
; %bb.2654:
	s_cmp_gt_i32 s42, 6
	s_cbranch_scc0 .LBB118_2657
; %bb.2655:
	global_load_b64 v[10:11], v[4:5], off
	s_mov_b32 s42, 0
	s_wait_loadcnt 0x0
	v_cvt_i32_f64_e32 v6, v[10:11]
	s_branch .LBB118_2658
.LBB118_2656:
	s_mov_b32 s42, -1
                                        ; implicit-def: $vgpr6
	s_branch .LBB118_2661
.LBB118_2657:
	s_mov_b32 s42, -1
                                        ; implicit-def: $vgpr6
.LBB118_2658:
	s_delay_alu instid0(SALU_CYCLE_1)
	s_and_not1_b32 vcc_lo, exec_lo, s42
	s_cbranch_vccnz .LBB118_2660
; %bb.2659:
	global_load_b32 v1, v[4:5], off
	s_wait_loadcnt 0x0
	v_cvt_i32_f32_e32 v6, v1
.LBB118_2660:
	s_mov_b32 s42, 0
.LBB118_2661:
	s_delay_alu instid0(SALU_CYCLE_1)
	s_and_not1_b32 vcc_lo, exec_lo, s42
	s_cbranch_vccnz .LBB118_2663
; %bb.2662:
	global_load_u16 v1, v[4:5], off
	s_wait_loadcnt 0x0
	v_cvt_f32_f16_e32 v1, v1
	s_delay_alu instid0(VALU_DEP_1)
	v_cvt_i32_f32_e32 v6, v1
.LBB118_2663:
	s_cbranch_execnz .LBB118_2682
.LBB118_2664:
	s_sext_i32_i16 s42, s0
	s_delay_alu instid0(SALU_CYCLE_1)
	s_cmp_lt_i32 s42, 2
	s_cbranch_scc1 .LBB118_2668
; %bb.2665:
	s_cmp_lt_i32 s42, 3
	s_cbranch_scc1 .LBB118_2669
; %bb.2666:
	s_cmp_gt_i32 s42, 3
	s_cbranch_scc0 .LBB118_2670
; %bb.2667:
	s_wait_loadcnt 0x0
	global_load_b32 v6, v[4:5], off
	s_mov_b32 s42, 0
	s_branch .LBB118_2671
.LBB118_2668:
                                        ; implicit-def: $vgpr6
	s_branch .LBB118_2677
.LBB118_2669:
	s_mov_b32 s42, -1
                                        ; implicit-def: $vgpr6
	s_branch .LBB118_2674
.LBB118_2670:
	s_mov_b32 s42, -1
                                        ; implicit-def: $vgpr6
.LBB118_2671:
	s_delay_alu instid0(SALU_CYCLE_1)
	s_and_not1_b32 vcc_lo, exec_lo, s42
	s_cbranch_vccnz .LBB118_2673
; %bb.2672:
	s_wait_loadcnt 0x0
	global_load_b32 v6, v[4:5], off
.LBB118_2673:
	s_mov_b32 s42, 0
.LBB118_2674:
	s_delay_alu instid0(SALU_CYCLE_1)
	s_and_not1_b32 vcc_lo, exec_lo, s42
	s_cbranch_vccnz .LBB118_2676
; %bb.2675:
	s_wait_loadcnt 0x0
	global_load_i16 v6, v[4:5], off
.LBB118_2676:
	s_cbranch_execnz .LBB118_2682
.LBB118_2677:
	s_sext_i32_i16 s0, s0
	s_delay_alu instid0(SALU_CYCLE_1)
	s_cmp_gt_i32 s0, 0
	s_mov_b32 s0, 0
	s_cbranch_scc0 .LBB118_2679
; %bb.2678:
	s_wait_loadcnt 0x0
	global_load_i8 v6, v[4:5], off
	s_branch .LBB118_2680
.LBB118_2679:
	s_mov_b32 s0, -1
                                        ; implicit-def: $vgpr6
.LBB118_2680:
	s_delay_alu instid0(SALU_CYCLE_1)
	s_and_not1_b32 vcc_lo, exec_lo, s0
	s_cbranch_vccnz .LBB118_2682
; %bb.2681:
	s_wait_loadcnt 0x0
	global_load_u8 v6, v[4:5], off
.LBB118_2682:
	s_or_b32 s44, s44, exec_lo
.LBB118_2683:
	s_wait_xcnt 0x0
	s_or_b32 exec_lo, exec_lo, s41
	s_mov_b32 s0, 0
	s_and_saveexec_b32 s41, s44
	s_delay_alu instid0(SALU_CYCLE_1)
	s_xor_b32 s41, exec_lo, s41
	s_cbranch_execz .LBB118_2685
; %bb.2684:
	s_wait_loadcnt 0x0
	v_cmp_ne_u32_e32 vcc_lo, s38, v7
	s_xor_b32 s42, s58, -1
	s_and_not1_b32 s43, s64, exec_lo
	s_mov_b32 s0, exec_lo
	s_or_b32 s42, s42, vcc_lo
	s_delay_alu instid0(SALU_CYCLE_1) | instskip(NEXT) | instid1(SALU_CYCLE_1)
	s_and_b32 s42, s42, exec_lo
	s_or_b32 s64, s43, s42
.LBB118_2685:
	s_or_b32 exec_lo, exec_lo, s41
	s_and_saveexec_b32 s41, s64
	s_cbranch_execnz .LBB118_2722
.LBB118_2686:
	s_or_b32 exec_lo, exec_lo, s41
	s_mov_b32 s42, 0
	s_and_saveexec_b32 s41, s0
	s_delay_alu instid0(SALU_CYCLE_1)
	s_xor_b32 s0, exec_lo, s41
	s_cbranch_execz .LBB118_2688
; %bb.2687:
	s_wait_loadcnt 0x0
	v_cmp_ne_u32_e32 vcc_lo, s22, v8
	s_xor_b32 s41, s57, -1
	s_and_not1_b32 s43, s63, exec_lo
	s_mov_b32 s42, exec_lo
	s_or_b32 s41, s41, vcc_lo
	s_delay_alu instid0(SALU_CYCLE_1) | instskip(NEXT) | instid1(SALU_CYCLE_1)
	s_and_b32 s41, s41, exec_lo
	s_or_b32 s63, s43, s41
.LBB118_2688:
	s_or_b32 exec_lo, exec_lo, s0
	s_and_saveexec_b32 s0, s63
	s_cbranch_execnz .LBB118_2723
.LBB118_2689:
	s_or_b32 exec_lo, exec_lo, s0
	s_mov_b32 s41, 0
	s_and_saveexec_b32 s0, s42
	s_delay_alu instid0(SALU_CYCLE_1)
	s_xor_b32 s42, exec_lo, s0
	s_cbranch_execz .LBB118_2701
; %bb.2690:
	s_wait_loadcnt 0x0
	v_sub_nc_u32_e32 v1, v2, v0
	s_and_not1_b32 s43, s62, exec_lo
	s_mov_b32 s41, exec_lo
	s_delay_alu instid0(VALU_DEP_1) | instskip(SKIP_2) | instid1(SALU_CYCLE_1)
	v_cmp_le_i32_e32 vcc_lo, s38, v1
	v_cmp_ge_i32_e64 s0, s20, v1
	s_and_b32 s0, vcc_lo, s0
	s_and_b32 s0, s56, s0
	s_delay_alu instid0(SALU_CYCLE_1) | instskip(NEXT) | instid1(SALU_CYCLE_1)
	s_xor_b32 s0, s0, -1
	s_and_b32 s0, s0, exec_lo
	s_delay_alu instid0(SALU_CYCLE_1)
	s_or_b32 s62, s43, s0
	s_or_b32 exec_lo, exec_lo, s42
	s_and_saveexec_b32 s0, s62
	s_cbranch_execz .LBB118_2702
.LBB118_2691:
	s_or_b32 s1, s1, exec_lo
	s_and_not1_b32 s41, s41, exec_lo
	s_trap 2
	s_or_b32 exec_lo, exec_lo, s0
	s_mov_b32 s43, 0
	s_and_saveexec_b32 s56, s41
	s_cbranch_execnz .LBB118_2703
.LBB118_2692:
	s_or_b32 exec_lo, exec_lo, s56
	s_and_saveexec_b32 s0, s61
	s_cbranch_execnz .LBB118_2721
.LBB118_2693:
	s_or_b32 exec_lo, exec_lo, s0
	s_mov_b32 s41, 0
	s_mov_b32 s42, 0
                                        ; implicit-def: $sgpr0
                                        ; implicit-def: $vgpr0_vgpr1
	s_and_saveexec_b32 s40, s43
	s_cbranch_execz .LBB118_2710
; %bb.2694:
	s_wait_loadcnt 0x0
	v_mul_lo_u32 v0, v22, s16
	s_and_b32 s0, s2, 0xff
	s_delay_alu instid0(SALU_CYCLE_1) | instskip(NEXT) | instid1(VALU_DEP_1)
	s_cmp_lt_i32 s0, 11
	v_ashrrev_i32_e32 v1, 31, v0
	s_delay_alu instid0(VALU_DEP_1)
	v_add_nc_u64_e32 v[0:1], s[4:5], v[0:1]
	s_cbranch_scc1 .LBB118_2718
; %bb.2695:
	s_and_b32 s42, 0xffff, s0
	s_mov_b32 s43, -1
	s_cmp_gt_i32 s42, 25
	s_mov_b32 s41, s59
	s_cbranch_scc0 .LBB118_2743
; %bb.2696:
	s_cmp_gt_i32 s42, 28
	s_mov_b32 s41, s59
	s_cbranch_scc0 .LBB118_2733
; %bb.2697:
	;; [unrolled: 4-line block ×4, first 2 shown]
	s_cmp_eq_u32 s42, 46
	s_mov_b32 s41, -1
	s_cbranch_scc0 .LBB118_2724
; %bb.2700:
	v_mov_b32_e32 v2, 0
	s_mov_b32 s41, 0
	s_mov_b32 s43, 0
	global_store_b32 v[0:1], v2, off
	s_branch .LBB118_2725
.LBB118_2701:
	s_or_b32 exec_lo, exec_lo, s42
	s_and_saveexec_b32 s0, s62
	s_cbranch_execnz .LBB118_2691
.LBB118_2702:
	s_or_b32 exec_lo, exec_lo, s0
	s_mov_b32 s43, 0
	s_and_saveexec_b32 s56, s41
	s_cbranch_execz .LBB118_2692
.LBB118_2703:
	v_mov_b64_e32 v[4:5], 0
	s_and_not1_b32 vcc_lo, exec_lo, s55
	s_cbranch_vccnz .LBB118_2713
; %bb.2704:
	s_wait_loadcnt 0x0
	v_ashrrev_i32_e32 v7, 31, v6
	v_mov_b64_e32 v[4:5], 0
	s_mov_b32 s41, 0
	s_mov_b64 s[42:43], 0xffffffff
	s_lshl_b64 s[46:47], s[40:41], 3
	v_mul_u64_e32 v[8:9], s[22:23], v[6:7]
	v_mov_b32_e32 v6, 0
	s_add_nc_u64 s[44:45], s[26:27], s[46:47]
	s_add_nc_u64 s[46:47], s[28:29], s[46:47]
	s_mov_b32 s55, s24
	s_branch .LBB118_2706
.LBB118_2705:                           ;   in Loop: Header=BB118_2706 Depth=1
	s_or_b32 exec_lo, exec_lo, s0
	global_load_b64 v[12:13], v6, s[46:47]
	v_mul_u64_e32 v[14:15], s[48:49], v[10:11]
	s_add_co_i32 s55, s55, -1
	s_add_nc_u64 s[44:45], s[44:45], -8
	s_cmp_lg_u32 s55, 0
	s_wait_xcnt 0x0
	s_add_nc_u64 s[46:47], s[46:47], -8
	s_delay_alu instid0(VALU_DEP_1) | instskip(SKIP_1) | instid1(VALU_DEP_1)
	v_sub_nc_u64_e32 v[8:9], v[8:9], v[14:15]
	s_wait_loadcnt 0x0
	v_mad_nc_u64_u32 v[4:5], v8, v12, v[4:5]
	s_delay_alu instid0(VALU_DEP_1) | instskip(NEXT) | instid1(VALU_DEP_1)
	v_mad_u32 v1, v9, v12, v5
	v_mad_u32 v5, v8, v13, v1
	v_mov_b64_e32 v[8:9], v[10:11]
	s_cbranch_scc0 .LBB118_2713
.LBB118_2706:                           ; =>This Inner Loop Header: Depth=1
	global_load_b64 v[10:11], v6, s[44:45]
	s_mov_b32 s0, exec_lo
	s_wait_loadcnt 0x0
	v_or_b32_e32 v7, v9, v11
	v_readfirstlane_b32 s48, v10
	v_readfirstlane_b32 s49, v11
                                        ; implicit-def: $vgpr10_vgpr11
	s_wait_xcnt 0x0
	s_delay_alu instid0(VALU_DEP_3)
	v_cmpx_ne_u64_e32 0, v[6:7]
	s_xor_b32 s57, exec_lo, s0
	s_cbranch_execz .LBB118_2708
; %bb.2707:                             ;   in Loop: Header=BB118_2706 Depth=1
	s_ashr_i32 s50, s49, 31
	v_dual_mov_b32 v15, v6 :: v_dual_ashrrev_i32 v10, 31, v9
	s_mov_b32 s51, s50
	v_mov_b32_e32 v25, v6
	s_add_nc_u64 s[52:53], s[48:49], s[50:51]
	s_delay_alu instid0(VALU_DEP_2) | instskip(SKIP_1) | instid1(SALU_CYCLE_1)
	v_mov_b32_e32 v11, v10
	s_xor_b64 s[52:53], s[52:53], s[50:51]
	s_cvt_f32_u32 s0, s52
	s_cvt_f32_u32 s40, s53
	s_sub_nc_u64 s[64:65], 0, s[52:53]
	v_add_nc_u64_e32 v[12:13], v[8:9], v[10:11]
	v_mov_b32_e32 v19, v6
	s_fmamk_f32 s0, s40, 0x4f800000, s0
	s_delay_alu instid0(SALU_CYCLE_3) | instskip(NEXT) | instid1(VALU_DEP_2)
	v_s_rcp_f32 s0, s0
	v_xor_b32_e32 v14, v12, v10
	s_delay_alu instid0(VALU_DEP_3) | instskip(NEXT) | instid1(TRANS32_DEP_1)
	v_xor_b32_e32 v18, v13, v10
	s_mul_f32 s0, s0, 0x5f7ffffc
	s_delay_alu instid0(SALU_CYCLE_3) | instskip(NEXT) | instid1(SALU_CYCLE_3)
	s_mul_f32 s40, s0, 0x2f800000
	s_trunc_f32 s40, s40
	s_delay_alu instid0(SALU_CYCLE_3) | instskip(SKIP_1) | instid1(SALU_CYCLE_2)
	s_fmamk_f32 s0, s40, 0xcf800000, s0
	s_cvt_u32_f32 s63, s40
	s_cvt_u32_f32 s62, s0
	s_delay_alu instid0(SALU_CYCLE_3) | instskip(NEXT) | instid1(SALU_CYCLE_1)
	s_mul_u64 s[66:67], s[64:65], s[62:63]
	s_mul_hi_u32 s69, s62, s67
	s_mul_i32 s68, s62, s67
	s_mul_hi_u32 s40, s62, s66
	s_mul_i32 s51, s63, s66
	s_add_nc_u64 s[68:69], s[40:41], s[68:69]
	s_mul_hi_u32 s0, s63, s66
	s_mul_hi_u32 s58, s63, s67
	s_add_co_u32 s40, s68, s51
	s_add_co_ci_u32 s40, s69, s0
	s_mul_i32 s66, s63, s67
	s_add_co_ci_u32 s67, s58, 0
	s_delay_alu instid0(SALU_CYCLE_1) | instskip(NEXT) | instid1(SALU_CYCLE_1)
	s_add_nc_u64 s[66:67], s[40:41], s[66:67]
	s_add_co_u32 s62, s62, s66
	s_cselect_b32 s0, -1, 0
	s_delay_alu instid0(SALU_CYCLE_1) | instskip(SKIP_1) | instid1(SALU_CYCLE_1)
	s_cmp_lg_u32 s0, 0
	s_add_co_ci_u32 s63, s63, s67
	s_mul_u64 s[64:65], s[64:65], s[62:63]
	s_delay_alu instid0(SALU_CYCLE_1)
	s_mul_hi_u32 s67, s62, s65
	s_mul_i32 s66, s62, s65
	s_mul_hi_u32 s40, s62, s64
	s_mul_i32 s51, s63, s64
	s_add_nc_u64 s[66:67], s[40:41], s[66:67]
	s_mul_hi_u32 s0, s63, s64
	s_mul_hi_u32 s58, s63, s65
	s_add_co_u32 s40, s66, s51
	s_add_co_ci_u32 s40, s67, s0
	s_mul_i32 s64, s63, s65
	s_add_co_ci_u32 s65, s58, 0
	s_delay_alu instid0(SALU_CYCLE_1) | instskip(NEXT) | instid1(SALU_CYCLE_1)
	s_add_nc_u64 s[64:65], s[40:41], s[64:65]
	s_add_co_u32 s0, s62, s64
	s_cselect_b32 s40, -1, 0
	v_mul_hi_u32 v24, v14, s0
	s_cmp_lg_u32 s40, 0
	s_add_co_ci_u32 s40, s63, s65
	s_and_b64 s[62:63], s[0:1], s[42:43]
	v_mul_u64_e32 v[16:17], s[40:41], v[14:15]
	v_mul_u64_e32 v[12:13], s[62:63], v[18:19]
	;; [unrolled: 1-line block ×3, first 2 shown]
	s_delay_alu instid0(VALU_DEP_3) | instskip(NEXT) | instid1(VALU_DEP_1)
	v_add_nc_u64_e32 v[16:17], v[24:25], v[16:17]
	v_add_co_u32 v1, vcc_lo, v16, v12
	s_delay_alu instid0(VALU_DEP_2) | instskip(NEXT) | instid1(VALU_DEP_4)
	v_add_co_ci_u32_e32 v24, vcc_lo, v17, v13, vcc_lo
	v_add_co_ci_u32_e32 v21, vcc_lo, 0, v21, vcc_lo
	s_delay_alu instid0(VALU_DEP_1) | instskip(NEXT) | instid1(VALU_DEP_1)
	v_add_nc_u64_e32 v[12:13], v[24:25], v[20:21]
	v_mul_u64_e32 v[16:17], s[52:53], v[12:13]
	s_delay_alu instid0(VALU_DEP_1) | instskip(NEXT) | instid1(VALU_DEP_2)
	v_sub_nc_u32_e32 v1, v18, v17
	v_sub_co_u32 v3, vcc_lo, v14, v16
	s_delay_alu instid0(VALU_DEP_1) | instskip(NEXT) | instid1(VALU_DEP_3)
	v_sub_co_ci_u32_e64 v11, null, v18, v17, vcc_lo
	v_subrev_co_ci_u32_e64 v1, null, s53, v1, vcc_lo
	s_delay_alu instid0(VALU_DEP_3) | instskip(SKIP_1) | instid1(VALU_DEP_3)
	v_sub_co_u32 v7, s0, v3, s52
	v_add_nc_u64_e32 v[16:17], 1, v[12:13]
	v_subrev_co_ci_u32_e64 v1, null, 0, v1, s0
	s_delay_alu instid0(VALU_DEP_3) | instskip(SKIP_1) | instid1(VALU_DEP_3)
	v_cmp_le_u32_e32 vcc_lo, s52, v7
	v_cndmask_b32_e64 v7, 0, -1, vcc_lo
	v_cmp_le_u32_e32 vcc_lo, s53, v1
	v_cndmask_b32_e64 v14, 0, -1, vcc_lo
	;; [unrolled: 2-line block ×4, first 2 shown]
	v_cmp_eq_u32_e32 vcc_lo, s53, v1
	v_cndmask_b32_e32 v1, v14, v7, vcc_lo
	v_cmp_eq_u32_e32 vcc_lo, s53, v11
	v_add_nc_u64_e32 v[14:15], 2, v[12:13]
	v_cndmask_b32_e32 v3, v18, v3, vcc_lo
	s_delay_alu instid0(VALU_DEP_4) | instskip(NEXT) | instid1(VALU_DEP_2)
	v_cmp_ne_u32_e32 vcc_lo, 0, v1
	v_cmp_ne_u32_e64 s0, 0, v3
	s_delay_alu instid0(VALU_DEP_4) | instskip(NEXT) | instid1(VALU_DEP_1)
	v_dual_cndmask_b32 v1, v17, v15, vcc_lo :: v_dual_cndmask_b32 v3, v16, v14, vcc_lo
	v_dual_cndmask_b32 v1, v13, v1, s0 :: v_dual_bitop2_b32 v10, s50, v10 bitop3:0x14
	s_delay_alu instid0(VALU_DEP_1) | instskip(NEXT) | instid1(VALU_DEP_2)
	v_dual_cndmask_b32 v3, v12, v3, s0 :: v_dual_mov_b32 v11, v10
	v_xor_b32_e32 v13, v1, v10
	s_delay_alu instid0(VALU_DEP_2) | instskip(NEXT) | instid1(VALU_DEP_1)
	v_xor_b32_e32 v12, v3, v10
	v_sub_nc_u64_e32 v[10:11], v[12:13], v[10:11]
.LBB118_2708:                           ;   in Loop: Header=BB118_2706 Depth=1
	s_and_not1_saveexec_b32 s0, s57
	s_cbranch_execz .LBB118_2705
; %bb.2709:                             ;   in Loop: Header=BB118_2706 Depth=1
	v_cvt_f32_u32_e32 v1, s48
	s_sub_co_i32 s40, 0, s48
	v_mov_b32_e32 v11, v6
	s_delay_alu instid0(VALU_DEP_2) | instskip(SKIP_1) | instid1(TRANS32_DEP_1)
	v_rcp_iflag_f32_e32 v1, v1
	v_nop
	v_mul_f32_e32 v1, 0x4f7ffffe, v1
	s_delay_alu instid0(VALU_DEP_1) | instskip(NEXT) | instid1(VALU_DEP_1)
	v_cvt_u32_f32_e32 v1, v1
	v_mul_lo_u32 v3, s40, v1
	s_delay_alu instid0(VALU_DEP_1) | instskip(NEXT) | instid1(VALU_DEP_1)
	v_mul_hi_u32 v3, v1, v3
	v_add_nc_u32_e32 v1, v1, v3
	s_delay_alu instid0(VALU_DEP_1) | instskip(NEXT) | instid1(VALU_DEP_1)
	v_mul_hi_u32 v1, v8, v1
	v_mul_lo_u32 v3, v1, s48
	s_delay_alu instid0(VALU_DEP_1) | instskip(NEXT) | instid1(VALU_DEP_1)
	v_sub_nc_u32_e32 v3, v8, v3
	v_subrev_nc_u32_e32 v10, s48, v3
	v_cmp_le_u32_e32 vcc_lo, s48, v3
	s_delay_alu instid0(VALU_DEP_2) | instskip(NEXT) | instid1(VALU_DEP_1)
	v_dual_add_nc_u32 v7, 1, v1 :: v_dual_cndmask_b32 v3, v3, v10, vcc_lo
	v_cndmask_b32_e32 v1, v1, v7, vcc_lo
	s_delay_alu instid0(VALU_DEP_2) | instskip(NEXT) | instid1(VALU_DEP_2)
	v_cmp_le_u32_e32 vcc_lo, s48, v3
	v_add_nc_u32_e32 v7, 1, v1
	s_delay_alu instid0(VALU_DEP_1)
	v_cndmask_b32_e32 v10, v1, v7, vcc_lo
	s_branch .LBB118_2705
.LBB118_2710:
	s_or_b32 exec_lo, exec_lo, s40
	s_and_saveexec_b32 s40, s59
	s_cbranch_execnz .LBB118_2763
.LBB118_2711:
	s_or_b32 exec_lo, exec_lo, s40
	s_and_saveexec_b32 s40, s41
	s_delay_alu instid0(SALU_CYCLE_1)
	s_xor_b32 s40, exec_lo, s40
	s_cbranch_execz .LBB118_2764
.LBB118_2712:
	s_wait_loadcnt 0x0
	v_mov_b32_e32 v2, 0
	global_store_b8 v[0:1], v2, off
	s_wait_xcnt 0x0
	s_or_b32 exec_lo, exec_lo, s40
	s_and_saveexec_b32 s40, s42
	s_delay_alu instid0(SALU_CYCLE_1)
	s_xor_b32 s40, exec_lo, s40
	s_cbranch_execz .LBB118_2802
	s_branch .LBB118_2765
.LBB118_2713:
	s_mov_b32 s40, s61
	s_mov_b32 s0, exec_lo
	s_wait_loadcnt 0x0
	v_cmpx_gt_i32_e64 v2, v0
	s_cbranch_execz .LBB118_2720
; %bb.2714:
	s_delay_alu instid0(VALU_DEP_2) | instskip(SKIP_3) | instid1(VALU_DEP_1)
	v_lshlrev_b64_e32 v[4:5], 2, v[4:5]
	v_dual_ashrrev_i32 v1, 31, v0 :: v_dual_ashrrev_i32 v3, 31, v2
	s_mov_b32 s40, 0
	s_xor_b32 s42, s54, -1
                                        ; implicit-def: $sgpr41
                                        ; implicit-def: $sgpr44
                                        ; implicit-def: $sgpr43
	v_lshl_add_u64 v[0:1], v[0:1], 2, v[4:5]
	v_add_nc_u64_e32 v[4:5], s[30:31], v[4:5]
	s_delay_alu instid0(VALU_DEP_2) | instskip(NEXT) | instid1(VALU_DEP_2)
	v_add_nc_u64_e32 v[0:1], s[30:31], v[0:1]
	v_lshl_add_u64 v[2:3], v[2:3], 2, v[4:5]
	s_delay_alu instid0(VALU_DEP_2)
	v_add_nc_u64_e32 v[0:1], 4, v[0:1]
	s_branch .LBB118_2716
.LBB118_2715:                           ;   in Loop: Header=BB118_2716 Depth=1
	s_or_b32 exec_lo, exec_lo, s45
	s_xor_b32 s45, s43, -1
	s_and_b32 s46, exec_lo, s44
	s_delay_alu instid0(SALU_CYCLE_1) | instskip(SKIP_2) | instid1(SALU_CYCLE_1)
	s_or_b32 s40, s46, s40
	s_and_not1_b32 s41, s41, exec_lo
	s_and_b32 s45, s45, exec_lo
	s_or_b32 s41, s41, s45
	s_and_not1_b32 exec_lo, exec_lo, s40
	s_cbranch_execz .LBB118_2719
.LBB118_2716:                           ; =>This Inner Loop Header: Depth=1
	s_or_b32 s43, s43, exec_lo
	s_or_b32 s44, s44, exec_lo
	s_mov_b32 s45, exec_lo
	s_delay_alu instid0(VALU_DEP_1)
	v_cmpx_lt_u64_e64 v[0:1], v[2:3]
	s_cbranch_execz .LBB118_2715
; %bb.2717:                             ;   in Loop: Header=BB118_2716 Depth=1
	global_load_b64 v[4:5], v[0:1], off offset:-4
	s_wait_xcnt 0x0
	v_add_nc_u64_e32 v[0:1], 4, v[0:1]
	s_and_not1_b32 s44, s44, exec_lo
	s_and_not1_b32 s43, s43, exec_lo
	s_wait_loadcnt 0x0
	v_cmp_ge_i32_e32 vcc_lo, v4, v5
	s_or_b32 s46, s42, vcc_lo
	s_delay_alu instid0(SALU_CYCLE_1) | instskip(NEXT) | instid1(SALU_CYCLE_1)
	s_and_b32 s46, s46, exec_lo
	s_or_b32 s44, s44, s46
	s_branch .LBB118_2715
.LBB118_2718:
	s_mov_b32 s44, 0
	s_mov_b32 s43, -1
	s_mov_b32 s41, s59
	s_branch .LBB118_2762
.LBB118_2719:
	s_or_b32 exec_lo, exec_lo, s40
	s_delay_alu instid0(SALU_CYCLE_1) | instskip(SKIP_1) | instid1(SALU_CYCLE_1)
	s_and_not1_b32 s40, s61, exec_lo
	s_and_b32 s41, s41, exec_lo
	s_or_b32 s40, s40, s41
.LBB118_2720:
	s_or_b32 exec_lo, exec_lo, s0
	s_delay_alu instid0(SALU_CYCLE_1)
	s_and_not1_b32 s0, s61, exec_lo
	s_and_b32 s40, s40, exec_lo
	s_mov_b32 s43, exec_lo
	s_or_b32 s61, s0, s40
	s_or_b32 exec_lo, exec_lo, s56
	s_and_saveexec_b32 s0, s61
	s_cbranch_execz .LBB118_2693
.LBB118_2721:
	s_or_b32 s1, s1, exec_lo
	s_and_not1_b32 s43, s43, exec_lo
	s_trap 2
	s_branch .LBB118_2693
.LBB118_2722:
	s_or_b32 s1, s1, exec_lo
	s_and_not1_b32 s0, s0, exec_lo
	s_trap 2
	s_branch .LBB118_2686
.LBB118_2723:
	s_or_b32 s1, s1, exec_lo
	s_and_not1_b32 s42, s42, exec_lo
	s_trap 2
	s_branch .LBB118_2689
.LBB118_2724:
	s_mov_b32 s43, 0
.LBB118_2725:
	s_delay_alu instid0(SALU_CYCLE_1)
	s_and_b32 vcc_lo, exec_lo, s43
	s_cbranch_vccz .LBB118_2728
; %bb.2726:
	s_cmp_eq_u32 s42, 44
	s_mov_b32 s41, -1
	s_cbranch_scc0 .LBB118_2728
; %bb.2727:
	s_wait_xcnt 0x0
	v_mov_b32_e32 v2, 0
	s_mov_b32 s41, 0
	s_mov_b32 s43, 0
	global_store_b8 v[0:1], v2, off
	s_branch .LBB118_2729
.LBB118_2728:
	s_mov_b32 s43, 0
.LBB118_2729:
	s_delay_alu instid0(SALU_CYCLE_1)
	s_and_b32 vcc_lo, exec_lo, s43
	s_cbranch_vccz .LBB118_2732
; %bb.2730:
	s_cmp_eq_u32 s42, 29
	s_mov_b32 s41, -1
	s_cbranch_scc0 .LBB118_2732
; %bb.2731:
	s_wait_xcnt 0x0
	v_mov_b64_e32 v[2:3], 0
	s_mov_b32 s41, 0
	s_mov_b32 s43, 0
	global_store_b64 v[0:1], v[2:3], off
	s_branch .LBB118_2733
.LBB118_2732:
	s_mov_b32 s43, 0
.LBB118_2733:
	s_delay_alu instid0(SALU_CYCLE_1)
	s_and_b32 vcc_lo, exec_lo, s43
	s_cbranch_vccz .LBB118_2742
; %bb.2734:
	s_cmp_lt_i32 s42, 27
	s_mov_b32 s43, -1
	s_cbranch_scc1 .LBB118_2740
; %bb.2735:
	s_cmp_gt_i32 s42, 27
	s_cbranch_scc0 .LBB118_2737
; %bb.2736:
	s_wait_xcnt 0x0
	v_mov_b32_e32 v2, 0
	s_mov_b32 s43, 0
	global_store_b32 v[0:1], v2, off
.LBB118_2737:
	s_and_not1_b32 vcc_lo, exec_lo, s43
	s_cbranch_vccnz .LBB118_2739
; %bb.2738:
	s_wait_xcnt 0x0
	v_mov_b32_e32 v2, 0
	global_store_b16 v[0:1], v2, off
.LBB118_2739:
	s_mov_b32 s43, 0
.LBB118_2740:
	s_delay_alu instid0(SALU_CYCLE_1)
	s_and_not1_b32 vcc_lo, exec_lo, s43
	s_cbranch_vccnz .LBB118_2742
; %bb.2741:
	s_wait_xcnt 0x0
	v_mov_b32_e32 v2, 0
	global_store_b8 v[0:1], v2, off
.LBB118_2742:
	s_mov_b32 s43, 0
.LBB118_2743:
	s_delay_alu instid0(SALU_CYCLE_1)
	s_and_b32 vcc_lo, exec_lo, s43
	s_mov_b32 s43, 0
	s_cbranch_vccz .LBB118_2761
; %bb.2744:
	s_cmp_gt_i32 s42, 22
	s_mov_b32 s44, -1
	s_cbranch_scc0 .LBB118_2754
; %bb.2745:
	s_cmp_lt_i32 s42, 24
	s_cbranch_scc1 .LBB118_2751
; %bb.2746:
	s_cmp_gt_i32 s42, 24
	s_cbranch_scc0 .LBB118_2748
; %bb.2747:
	s_wait_xcnt 0x0
	v_mov_b32_e32 v2, 0
	s_mov_b32 s44, 0
	global_store_b8 v[0:1], v2, off
.LBB118_2748:
	s_and_not1_b32 vcc_lo, exec_lo, s44
	s_cbranch_vccnz .LBB118_2750
; %bb.2749:
	s_wait_xcnt 0x0
	v_mov_b32_e32 v2, 0
	global_store_b8 v[0:1], v2, off
.LBB118_2750:
	s_mov_b32 s44, 0
.LBB118_2751:
	s_delay_alu instid0(SALU_CYCLE_1)
	s_and_not1_b32 vcc_lo, exec_lo, s44
	s_cbranch_vccnz .LBB118_2753
; %bb.2752:
	s_wait_xcnt 0x0
	v_mov_b32_e32 v2, 0
	global_store_b8 v[0:1], v2, off
.LBB118_2753:
	s_mov_b32 s44, 0
.LBB118_2754:
	s_delay_alu instid0(SALU_CYCLE_1)
	s_and_not1_b32 vcc_lo, exec_lo, s44
	s_mov_b32 s44, 0
	s_cbranch_vccnz .LBB118_2762
; %bb.2755:
	s_cmp_gt_i32 s42, 14
	s_mov_b32 s44, -1
	s_cbranch_scc0 .LBB118_2759
; %bb.2756:
	s_cmp_eq_u32 s42, 15
	s_mov_b32 s41, -1
	s_cbranch_scc0 .LBB118_2758
; %bb.2757:
	s_wait_xcnt 0x0
	v_mov_b32_e32 v2, 0
	s_mov_b32 s41, 0
	global_store_b16 v[0:1], v2, off
.LBB118_2758:
	s_mov_b32 s44, 0
.LBB118_2759:
	s_delay_alu instid0(SALU_CYCLE_1)
	s_and_b32 vcc_lo, exec_lo, s44
	s_mov_b32 s44, 0
	s_cbranch_vccz .LBB118_2762
; %bb.2760:
	s_cmp_lg_u32 s42, 11
	s_mov_b32 s44, -1
	s_cselect_b32 s42, -1, 0
	s_and_not1_b32 s41, s41, exec_lo
	s_and_b32 s42, s42, exec_lo
	s_delay_alu instid0(SALU_CYCLE_1)
	s_or_b32 s41, s41, s42
	s_branch .LBB118_2762
.LBB118_2761:
	s_mov_b32 s44, 0
.LBB118_2762:
	s_and_b32 s42, s43, exec_lo
	s_and_not1_b32 s43, s59, exec_lo
	s_and_b32 s45, s41, exec_lo
	s_and_b32 s41, s44, exec_lo
	s_or_b32 s59, s43, s45
	s_wait_xcnt 0x0
	s_or_b32 exec_lo, exec_lo, s40
	s_and_saveexec_b32 s40, s59
	s_cbranch_execz .LBB118_2711
.LBB118_2763:
	s_or_b32 s1, s1, exec_lo
	s_and_not1_b32 s41, s41, exec_lo
	s_trap 2
	s_or_b32 exec_lo, exec_lo, s40
	s_and_saveexec_b32 s40, s41
	s_delay_alu instid0(SALU_CYCLE_1)
	s_xor_b32 s40, exec_lo, s40
	s_cbranch_execnz .LBB118_2712
.LBB118_2764:
	s_or_b32 exec_lo, exec_lo, s40
	s_and_saveexec_b32 s40, s42
	s_delay_alu instid0(SALU_CYCLE_1)
	s_xor_b32 s40, exec_lo, s40
	s_cbranch_execz .LBB118_2802
.LBB118_2765:
	s_sext_i32_i16 s42, s0
	s_mov_b32 s41, -1
	s_cmp_lt_i32 s42, 5
	s_cbranch_scc1 .LBB118_2786
; %bb.2766:
	s_cmp_lt_i32 s42, 8
	s_cbranch_scc1 .LBB118_2776
; %bb.2767:
	;; [unrolled: 3-line block ×3, first 2 shown]
	s_cmp_gt_i32 s42, 9
	s_cbranch_scc0 .LBB118_2770
; %bb.2769:
	s_wait_loadcnt 0x0
	v_mov_b32_e32 v2, 0
	s_mov_b32 s41, 0
	s_delay_alu instid0(VALU_DEP_1)
	v_dual_mov_b32 v3, v2 :: v_dual_mov_b32 v4, v2
	v_mov_b32_e32 v5, v2
	global_store_b128 v[0:1], v[2:5], off
.LBB118_2770:
	s_and_not1_b32 vcc_lo, exec_lo, s41
	s_cbranch_vccnz .LBB118_2772
; %bb.2771:
	s_wait_loadcnt 0x0
	v_mov_b64_e32 v[2:3], 0
	global_store_b64 v[0:1], v[2:3], off
.LBB118_2772:
	s_mov_b32 s41, 0
.LBB118_2773:
	s_delay_alu instid0(SALU_CYCLE_1)
	s_and_not1_b32 vcc_lo, exec_lo, s41
	s_cbranch_vccnz .LBB118_2775
; %bb.2774:
	s_wait_loadcnt 0x0
	v_mov_b32_e32 v2, 0
	global_store_b32 v[0:1], v2, off
.LBB118_2775:
	s_mov_b32 s41, 0
.LBB118_2776:
	s_delay_alu instid0(SALU_CYCLE_1)
	s_and_not1_b32 vcc_lo, exec_lo, s41
	s_cbranch_vccnz .LBB118_2785
; %bb.2777:
	s_sext_i32_i16 s42, s0
	s_mov_b32 s41, -1
	s_cmp_lt_i32 s42, 6
	s_cbranch_scc1 .LBB118_2783
; %bb.2778:
	s_cmp_gt_i32 s42, 6
	s_cbranch_scc0 .LBB118_2780
; %bb.2779:
	s_wait_loadcnt 0x0
	v_mov_b64_e32 v[2:3], 0
	s_mov_b32 s41, 0
	global_store_b64 v[0:1], v[2:3], off
.LBB118_2780:
	s_and_not1_b32 vcc_lo, exec_lo, s41
	s_cbranch_vccnz .LBB118_2782
; %bb.2781:
	s_wait_loadcnt 0x0
	v_mov_b32_e32 v2, 0
	global_store_b32 v[0:1], v2, off
.LBB118_2782:
	s_mov_b32 s41, 0
.LBB118_2783:
	s_delay_alu instid0(SALU_CYCLE_1)
	s_and_not1_b32 vcc_lo, exec_lo, s41
	s_cbranch_vccnz .LBB118_2785
; %bb.2784:
	s_wait_loadcnt 0x0
	v_mov_b32_e32 v2, 0
	global_store_b16 v[0:1], v2, off
.LBB118_2785:
	s_mov_b32 s41, 0
.LBB118_2786:
	s_delay_alu instid0(SALU_CYCLE_1)
	s_and_not1_b32 vcc_lo, exec_lo, s41
	s_cbranch_vccnz .LBB118_2802
; %bb.2787:
	s_sext_i32_i16 s42, s0
	s_mov_b32 s41, -1
	s_cmp_lt_i32 s42, 2
	s_cbranch_scc1 .LBB118_2797
; %bb.2788:
	s_cmp_lt_i32 s42, 3
	s_cbranch_scc1 .LBB118_2794
; %bb.2789:
	s_cmp_gt_i32 s42, 3
	s_cbranch_scc0 .LBB118_2791
; %bb.2790:
	s_wait_loadcnt 0x0
	v_mov_b64_e32 v[2:3], 0
	s_mov_b32 s41, 0
	global_store_b64 v[0:1], v[2:3], off
.LBB118_2791:
	s_and_not1_b32 vcc_lo, exec_lo, s41
	s_cbranch_vccnz .LBB118_2793
; %bb.2792:
	s_wait_loadcnt 0x0
	v_mov_b32_e32 v2, 0
	global_store_b32 v[0:1], v2, off
.LBB118_2793:
	s_mov_b32 s41, 0
.LBB118_2794:
	s_delay_alu instid0(SALU_CYCLE_1)
	s_and_not1_b32 vcc_lo, exec_lo, s41
	s_cbranch_vccnz .LBB118_2796
; %bb.2795:
	s_wait_loadcnt 0x0
	v_mov_b32_e32 v2, 0
	global_store_b16 v[0:1], v2, off
.LBB118_2796:
	s_mov_b32 s41, 0
.LBB118_2797:
	s_delay_alu instid0(SALU_CYCLE_1)
	s_and_not1_b32 vcc_lo, exec_lo, s41
	s_cbranch_vccnz .LBB118_2802
; %bb.2798:
	s_sext_i32_i16 s0, s0
	s_delay_alu instid0(SALU_CYCLE_1)
	s_cmp_gt_i32 s0, 0
	s_mov_b32 s0, -1
	s_cbranch_scc0 .LBB118_2800
; %bb.2799:
	s_wait_loadcnt 0x0
	v_mov_b32_e32 v2, 0
	s_mov_b32 s0, 0
	global_store_b8 v[0:1], v2, off
.LBB118_2800:
	s_and_not1_b32 vcc_lo, exec_lo, s0
	s_cbranch_vccnz .LBB118_2802
; %bb.2801:
	s_wait_loadcnt 0x0
	v_mov_b32_e32 v2, 0
	global_store_b8 v[0:1], v2, off
.LBB118_2802:
	s_wait_xcnt 0x0
	s_or_b32 exec_lo, exec_lo, s40
	s_delay_alu instid0(SALU_CYCLE_1)
	s_and_b32 s52, s1, exec_lo
                                        ; implicit-def: $vgpr22
.LBB118_2803:
	s_or_saveexec_b32 s53, s35
	s_mov_b32 s35, 0
                                        ; implicit-def: $sgpr0
                                        ; implicit-def: $vgpr14_vgpr15
	s_xor_b32 exec_lo, exec_lo, s53
	s_cbranch_execz .LBB118_3436
; %bb.2804:
	s_wait_loadcnt 0x0
	v_mul_lo_u32 v0, s17, v22
	s_and_b32 s55, s39, 0xff
	s_delay_alu instid0(SALU_CYCLE_1) | instskip(NEXT) | instid1(VALU_DEP_1)
	s_cmp_lt_i32 s55, 11
	v_ashrrev_i32_e32 v1, 31, v0
	s_delay_alu instid0(VALU_DEP_1)
	v_add_nc_u64_e32 v[2:3], s[6:7], v[0:1]
	s_cbranch_scc1 .LBB118_2811
; %bb.2805:
	s_and_b32 s0, 0xffff, s55
	s_delay_alu instid0(SALU_CYCLE_1)
	s_cmp_gt_i32 s0, 25
	s_cbranch_scc0 .LBB118_2813
; %bb.2806:
	s_cmp_gt_i32 s0, 28
	s_cbranch_scc0 .LBB118_2814
; %bb.2807:
	;; [unrolled: 3-line block ×4, first 2 shown]
	s_cmp_eq_u32 s0, 46
	s_mov_b32 s33, 0
	s_cbranch_scc0 .LBB118_2817
; %bb.2810:
	global_load_b32 v1, v[2:3], off
	s_mov_b32 s1, 0
	s_mov_b32 s39, -1
	s_wait_loadcnt 0x0
	v_lshlrev_b32_e32 v1, 16, v1
	s_delay_alu instid0(VALU_DEP_1)
	v_cvt_i32_f32_e32 v1, v1
	s_branch .LBB118_2819
.LBB118_2811:
	s_mov_b32 s39, 0
	s_mov_b32 s33, s52
                                        ; implicit-def: $vgpr1
	s_cbranch_execnz .LBB118_2877
.LBB118_2812:
	s_and_not1_b32 vcc_lo, exec_lo, s39
	s_cbranch_vccz .LBB118_2922
	s_branch .LBB118_3434
.LBB118_2813:
	s_mov_b32 s39, 0
	s_mov_b32 s1, 0
                                        ; implicit-def: $vgpr1
	s_cbranch_execnz .LBB118_2844
	s_branch .LBB118_2873
.LBB118_2814:
	s_mov_b32 s39, 0
	s_mov_b32 s1, 0
                                        ; implicit-def: $vgpr1
	s_cbranch_execz .LBB118_2843
	s_branch .LBB118_2828
.LBB118_2815:
	s_mov_b32 s39, 0
	s_mov_b32 s1, 0
                                        ; implicit-def: $vgpr1
	s_cbranch_execnz .LBB118_2824
	s_branch .LBB118_2827
.LBB118_2816:
	s_mov_b32 s33, -1
	s_mov_b32 s39, 0
	s_mov_b32 s1, 0
	s_branch .LBB118_2818
.LBB118_2817:
	s_mov_b32 s1, -1
	s_mov_b32 s39, 0
.LBB118_2818:
                                        ; implicit-def: $vgpr1
.LBB118_2819:
	s_and_b32 vcc_lo, exec_lo, s33
	s_cbranch_vccz .LBB118_2822
; %bb.2820:
	s_cmp_eq_u32 s0, 44
	s_cbranch_scc0 .LBB118_2823
; %bb.2821:
	global_load_u8 v1, v[2:3], off
	s_mov_b32 s1, 0
	s_mov_b32 s39, -1
	s_wait_loadcnt 0x0
	v_lshlrev_b32_e32 v4, 23, v1
	v_cmp_ne_u32_e32 vcc_lo, 0, v1
	s_delay_alu instid0(VALU_DEP_2) | instskip(NEXT) | instid1(VALU_DEP_1)
	v_cvt_i32_f32_e32 v4, v4
	v_cndmask_b32_e32 v1, 0, v4, vcc_lo
.LBB118_2822:
	s_branch .LBB118_2827
.LBB118_2823:
	s_mov_b32 s1, -1
                                        ; implicit-def: $vgpr1
	s_branch .LBB118_2827
.LBB118_2824:
	s_cmp_eq_u32 s0, 29
	s_cbranch_scc0 .LBB118_2826
; %bb.2825:
	global_load_b32 v1, v[2:3], off
	s_mov_b32 s1, 0
	s_mov_b32 s39, -1
	s_branch .LBB118_2827
.LBB118_2826:
	s_mov_b32 s1, -1
                                        ; implicit-def: $vgpr1
.LBB118_2827:
	s_branch .LBB118_2843
.LBB118_2828:
	s_cmp_lt_i32 s0, 27
	s_cbranch_scc1 .LBB118_2831
; %bb.2829:
	s_cmp_gt_i32 s0, 27
	s_cbranch_scc0 .LBB118_2832
; %bb.2830:
	s_wait_loadcnt 0x0
	global_load_b32 v1, v[2:3], off
	s_mov_b32 s33, 0
	s_branch .LBB118_2833
.LBB118_2831:
	s_mov_b32 s33, -1
                                        ; implicit-def: $vgpr1
	s_branch .LBB118_2836
.LBB118_2832:
	s_mov_b32 s33, -1
                                        ; implicit-def: $vgpr1
.LBB118_2833:
	s_delay_alu instid0(SALU_CYCLE_1)
	s_and_not1_b32 vcc_lo, exec_lo, s33
	s_cbranch_vccnz .LBB118_2835
; %bb.2834:
	s_wait_loadcnt 0x0
	global_load_u16 v1, v[2:3], off
.LBB118_2835:
	s_mov_b32 s33, 0
.LBB118_2836:
	s_delay_alu instid0(SALU_CYCLE_1)
	s_and_not1_b32 vcc_lo, exec_lo, s33
	s_cbranch_vccnz .LBB118_2842
; %bb.2837:
	global_load_u8 v4, v[2:3], off
	s_mov_b32 s39, 0
	s_mov_b32 s33, exec_lo
	s_wait_loadcnt 0x0
	v_cmpx_lt_i16_e32 0x7f, v4
	s_xor_b32 s33, exec_lo, s33
	s_cbranch_execz .LBB118_2853
; %bb.2838:
	v_cmp_ne_u16_e32 vcc_lo, 0x80, v4
	s_and_b32 s39, vcc_lo, exec_lo
	s_and_not1_saveexec_b32 s33, s33
	s_cbranch_execnz .LBB118_2854
.LBB118_2839:
	s_or_b32 exec_lo, exec_lo, s33
	v_mov_b32_e32 v1, 0
	s_and_saveexec_b32 s33, s39
	s_cbranch_execz .LBB118_2841
.LBB118_2840:
	v_and_b32_e32 v1, 0xffff, v4
	s_delay_alu instid0(VALU_DEP_1) | instskip(SKIP_1) | instid1(VALU_DEP_2)
	v_and_b32_e32 v5, 7, v1
	v_bfe_u32 v8, v1, 3, 4
	v_clz_i32_u32_e32 v6, v5
	s_delay_alu instid0(VALU_DEP_2) | instskip(NEXT) | instid1(VALU_DEP_2)
	v_cmp_eq_u32_e32 vcc_lo, 0, v8
	v_min_u32_e32 v6, 32, v6
	s_delay_alu instid0(VALU_DEP_1) | instskip(NEXT) | instid1(VALU_DEP_1)
	v_subrev_nc_u32_e32 v7, 28, v6
	v_dual_lshlrev_b32 v1, v7, v1 :: v_dual_sub_nc_u32 v6, 29, v6
	s_delay_alu instid0(VALU_DEP_1) | instskip(NEXT) | instid1(VALU_DEP_1)
	v_dual_lshlrev_b32 v4, 24, v4 :: v_dual_bitop2_b32 v1, 7, v1 bitop3:0x40
	v_dual_cndmask_b32 v6, v8, v6 :: v_dual_cndmask_b32 v1, v5, v1
	s_delay_alu instid0(VALU_DEP_2) | instskip(NEXT) | instid1(VALU_DEP_2)
	v_and_b32_e32 v4, 0x80000000, v4
	v_lshl_add_u32 v5, v6, 23, 0x3b800000
	s_delay_alu instid0(VALU_DEP_3) | instskip(NEXT) | instid1(VALU_DEP_1)
	v_lshlrev_b32_e32 v1, 20, v1
	v_or3_b32 v1, v4, v5, v1
	s_delay_alu instid0(VALU_DEP_1)
	v_cvt_i32_f32_e32 v1, v1
.LBB118_2841:
	s_or_b32 exec_lo, exec_lo, s33
.LBB118_2842:
	s_mov_b32 s39, -1
.LBB118_2843:
	s_branch .LBB118_2873
.LBB118_2844:
	s_cmp_gt_i32 s0, 22
	s_cbranch_scc0 .LBB118_2852
; %bb.2845:
	s_cmp_lt_i32 s0, 24
	s_cbranch_scc1 .LBB118_2855
; %bb.2846:
	s_cmp_gt_i32 s0, 24
	s_cbranch_scc0 .LBB118_2856
; %bb.2847:
	global_load_u8 v4, v[2:3], off
	s_mov_b32 s33, exec_lo
	s_wait_loadcnt 0x0
	v_cmpx_lt_i16_e32 0x7f, v4
	s_xor_b32 s33, exec_lo, s33
	s_cbranch_execz .LBB118_2867
; %bb.2848:
	v_cmp_ne_u16_e32 vcc_lo, 0x80, v4
	s_and_b32 s35, vcc_lo, exec_lo
	s_and_not1_saveexec_b32 s33, s33
	s_cbranch_execnz .LBB118_2868
.LBB118_2849:
	s_or_b32 exec_lo, exec_lo, s33
	v_mov_b32_e32 v1, 0
	s_and_saveexec_b32 s33, s35
	s_cbranch_execz .LBB118_2851
.LBB118_2850:
	v_and_b32_e32 v1, 0xffff, v4
	s_delay_alu instid0(VALU_DEP_1) | instskip(SKIP_1) | instid1(VALU_DEP_2)
	v_and_b32_e32 v5, 3, v1
	v_bfe_u32 v8, v1, 2, 5
	v_clz_i32_u32_e32 v6, v5
	s_delay_alu instid0(VALU_DEP_2) | instskip(NEXT) | instid1(VALU_DEP_2)
	v_cmp_eq_u32_e32 vcc_lo, 0, v8
	v_min_u32_e32 v6, 32, v6
	s_delay_alu instid0(VALU_DEP_1) | instskip(NEXT) | instid1(VALU_DEP_1)
	v_subrev_nc_u32_e32 v7, 29, v6
	v_dual_lshlrev_b32 v1, v7, v1 :: v_dual_sub_nc_u32 v6, 30, v6
	s_delay_alu instid0(VALU_DEP_1) | instskip(NEXT) | instid1(VALU_DEP_1)
	v_dual_lshlrev_b32 v4, 24, v4 :: v_dual_bitop2_b32 v1, 3, v1 bitop3:0x40
	v_dual_cndmask_b32 v6, v8, v6 :: v_dual_cndmask_b32 v1, v5, v1
	s_delay_alu instid0(VALU_DEP_2) | instskip(NEXT) | instid1(VALU_DEP_2)
	v_and_b32_e32 v4, 0x80000000, v4
	v_lshl_add_u32 v5, v6, 23, 0x37800000
	s_delay_alu instid0(VALU_DEP_3) | instskip(NEXT) | instid1(VALU_DEP_1)
	v_lshlrev_b32_e32 v1, 21, v1
	v_or3_b32 v1, v4, v5, v1
	s_delay_alu instid0(VALU_DEP_1)
	v_cvt_i32_f32_e32 v1, v1
.LBB118_2851:
	s_or_b32 exec_lo, exec_lo, s33
	s_mov_b32 s33, 0
	s_branch .LBB118_2857
.LBB118_2852:
                                        ; implicit-def: $vgpr1
	s_mov_b32 s35, 0
	s_branch .LBB118_2863
.LBB118_2853:
	s_and_not1_saveexec_b32 s33, s33
	s_cbranch_execz .LBB118_2839
.LBB118_2854:
	v_cmp_ne_u16_e32 vcc_lo, 0, v4
	s_and_not1_b32 s39, s39, exec_lo
	s_and_b32 s40, vcc_lo, exec_lo
	s_delay_alu instid0(SALU_CYCLE_1)
	s_or_b32 s39, s39, s40
	s_or_b32 exec_lo, exec_lo, s33
	v_mov_b32_e32 v1, 0
	s_and_saveexec_b32 s33, s39
	s_cbranch_execnz .LBB118_2840
	s_branch .LBB118_2841
.LBB118_2855:
	s_mov_b32 s33, -1
                                        ; implicit-def: $vgpr1
	s_branch .LBB118_2860
.LBB118_2856:
	s_mov_b32 s33, -1
                                        ; implicit-def: $vgpr1
.LBB118_2857:
	s_delay_alu instid0(SALU_CYCLE_1)
	s_and_b32 vcc_lo, exec_lo, s33
	s_cbranch_vccz .LBB118_2859
; %bb.2858:
	s_wait_loadcnt 0x0
	global_load_u8 v1, v[2:3], off
	s_wait_loadcnt 0x0
	v_lshlrev_b32_e32 v1, 24, v1
	s_delay_alu instid0(VALU_DEP_1) | instskip(NEXT) | instid1(VALU_DEP_1)
	v_and_b32_e32 v4, 0x7f000000, v1
	v_clz_i32_u32_e32 v5, v4
	v_cmp_ne_u32_e32 vcc_lo, 0, v4
	v_add_nc_u32_e32 v7, 0x1000000, v4
	s_delay_alu instid0(VALU_DEP_3) | instskip(NEXT) | instid1(VALU_DEP_1)
	v_min_u32_e32 v5, 32, v5
	v_sub_nc_u32_e64 v5, v5, 4 clamp
	s_delay_alu instid0(VALU_DEP_1) | instskip(NEXT) | instid1(VALU_DEP_1)
	v_dual_lshlrev_b32 v6, v5, v4 :: v_dual_lshlrev_b32 v5, 23, v5
	v_lshrrev_b32_e32 v6, 4, v6
	s_delay_alu instid0(VALU_DEP_1) | instskip(NEXT) | instid1(VALU_DEP_1)
	v_dual_sub_nc_u32 v5, v6, v5 :: v_dual_ashrrev_i32 v6, 8, v7
	v_add_nc_u32_e32 v5, 0x3c000000, v5
	s_delay_alu instid0(VALU_DEP_1) | instskip(NEXT) | instid1(VALU_DEP_1)
	v_and_or_b32 v5, 0x7f800000, v6, v5
	v_cndmask_b32_e32 v4, 0, v5, vcc_lo
	s_delay_alu instid0(VALU_DEP_1) | instskip(NEXT) | instid1(VALU_DEP_1)
	v_and_or_b32 v1, 0x80000000, v1, v4
	v_cvt_i32_f32_e32 v1, v1
.LBB118_2859:
	s_mov_b32 s33, 0
.LBB118_2860:
	s_delay_alu instid0(SALU_CYCLE_1)
	s_and_not1_b32 vcc_lo, exec_lo, s33
	s_cbranch_vccnz .LBB118_2862
; %bb.2861:
	s_wait_loadcnt 0x0
	global_load_u8 v1, v[2:3], off
	s_wait_loadcnt 0x0
	v_lshlrev_b32_e32 v4, 25, v1
	v_lshlrev_b16 v1, 8, v1
	s_delay_alu instid0(VALU_DEP_1) | instskip(SKIP_1) | instid1(VALU_DEP_2)
	v_and_or_b32 v6, 0x7f00, v1, 0.5
	v_bfe_i32 v1, v1, 0, 16
	v_dual_add_f32 v6, -0.5, v6 :: v_dual_lshrrev_b32 v5, 4, v4
	v_cmp_gt_u32_e32 vcc_lo, 0x8000000, v4
	s_delay_alu instid0(VALU_DEP_2) | instskip(NEXT) | instid1(VALU_DEP_1)
	v_or_b32_e32 v5, 0x70000000, v5
	v_mul_f32_e32 v5, 0x7800000, v5
	s_delay_alu instid0(VALU_DEP_1) | instskip(NEXT) | instid1(VALU_DEP_1)
	v_cndmask_b32_e32 v4, v5, v6, vcc_lo
	v_and_or_b32 v1, 0x80000000, v1, v4
	s_delay_alu instid0(VALU_DEP_1)
	v_cvt_i32_f32_e32 v1, v1
.LBB118_2862:
	s_mov_b32 s39, -1
	s_mov_b32 s35, 0
	s_cbranch_execnz .LBB118_2873
.LBB118_2863:
	s_cmp_gt_i32 s0, 14
	s_cbranch_scc0 .LBB118_2866
; %bb.2864:
	s_cmp_eq_u32 s0, 15
	s_cbranch_scc0 .LBB118_2869
; %bb.2865:
	s_wait_loadcnt 0x0
	global_load_u16 v1, v[2:3], off
	s_mov_b32 s1, 0
	s_mov_b32 s39, -1
	s_wait_loadcnt 0x0
	v_lshlrev_b32_e32 v1, 16, v1
	s_delay_alu instid0(VALU_DEP_1)
	v_cvt_i32_f32_e32 v1, v1
	s_branch .LBB118_2870
.LBB118_2866:
	s_mov_b32 s33, -1
                                        ; implicit-def: $vgpr1
	s_branch .LBB118_2871
.LBB118_2867:
	s_and_not1_saveexec_b32 s33, s33
	s_cbranch_execz .LBB118_2849
.LBB118_2868:
	v_cmp_ne_u16_e32 vcc_lo, 0, v4
	s_and_not1_b32 s35, s35, exec_lo
	s_and_b32 s39, vcc_lo, exec_lo
	s_delay_alu instid0(SALU_CYCLE_1)
	s_or_b32 s35, s35, s39
	s_or_b32 exec_lo, exec_lo, s33
	v_mov_b32_e32 v1, 0
	s_and_saveexec_b32 s33, s35
	s_cbranch_execnz .LBB118_2850
	s_branch .LBB118_2851
.LBB118_2869:
	s_mov_b32 s1, -1
                                        ; implicit-def: $vgpr1
.LBB118_2870:
	s_mov_b32 s33, 0
.LBB118_2871:
	s_delay_alu instid0(SALU_CYCLE_1)
	s_and_b32 vcc_lo, exec_lo, s33
	s_cbranch_vccz .LBB118_2873
; %bb.2872:
	s_cmp_lg_u32 s0, 11
	s_mov_b32 s35, -1
	s_cselect_b32 s1, -1, 0
.LBB118_2873:
	s_delay_alu instid0(SALU_CYCLE_1)
	s_and_b32 vcc_lo, exec_lo, s1
	s_mov_b32 s33, s52
	s_cbranch_vccnz .LBB118_2934
; %bb.2874:
	s_and_not1_b32 vcc_lo, exec_lo, s35
	s_cbranch_vccnz .LBB118_2876
.LBB118_2875:
	s_wait_loadcnt 0x0
	global_load_u8 v1, v[2:3], off
	s_mov_b32 s39, -1
	s_wait_loadcnt 0x0
	v_cmp_ne_u16_e32 vcc_lo, 0, v1
	v_cndmask_b32_e64 v1, 0, 1, vcc_lo
.LBB118_2876:
	s_branch .LBB118_2812
.LBB118_2877:
	s_and_b32 s0, 0xffff, s55
	s_delay_alu instid0(SALU_CYCLE_1)
	s_cmp_lt_i32 s0, 5
	s_cbranch_scc1 .LBB118_2882
; %bb.2878:
	s_cmp_lt_i32 s0, 8
	s_cbranch_scc1 .LBB118_2883
; %bb.2879:
	;; [unrolled: 3-line block ×3, first 2 shown]
	s_cmp_gt_i32 s0, 9
	s_cbranch_scc0 .LBB118_2885
; %bb.2881:
	global_load_b64 v[4:5], v[2:3], off
	s_mov_b32 s1, 0
	s_wait_loadcnt 0x0
	v_cvt_i32_f64_e32 v1, v[4:5]
	s_branch .LBB118_2886
.LBB118_2882:
                                        ; implicit-def: $vgpr1
	s_branch .LBB118_2903
.LBB118_2883:
                                        ; implicit-def: $vgpr1
	s_branch .LBB118_2892
.LBB118_2884:
	s_mov_b32 s1, -1
                                        ; implicit-def: $vgpr1
	s_branch .LBB118_2889
.LBB118_2885:
	s_mov_b32 s1, -1
                                        ; implicit-def: $vgpr1
.LBB118_2886:
	s_delay_alu instid0(SALU_CYCLE_1)
	s_and_not1_b32 vcc_lo, exec_lo, s1
	s_cbranch_vccnz .LBB118_2888
; %bb.2887:
	s_wait_loadcnt 0x0
	global_load_b32 v1, v[2:3], off
	s_wait_loadcnt 0x0
	v_cvt_i32_f32_e32 v1, v1
.LBB118_2888:
	s_mov_b32 s1, 0
.LBB118_2889:
	s_delay_alu instid0(SALU_CYCLE_1)
	s_and_not1_b32 vcc_lo, exec_lo, s1
	s_cbranch_vccnz .LBB118_2891
; %bb.2890:
	s_wait_loadcnt 0x0
	global_load_b32 v1, v[2:3], off
	s_wait_loadcnt 0x0
	v_cvt_f32_f16_e32 v1, v1
	s_delay_alu instid0(VALU_DEP_1)
	v_cvt_i32_f32_e32 v1, v1
.LBB118_2891:
	s_cbranch_execnz .LBB118_2902
.LBB118_2892:
	s_cmp_lt_i32 s0, 6
	s_cbranch_scc1 .LBB118_2895
; %bb.2893:
	s_cmp_gt_i32 s0, 6
	s_cbranch_scc0 .LBB118_2896
; %bb.2894:
	global_load_b64 v[4:5], v[2:3], off
	s_mov_b32 s1, 0
	s_wait_loadcnt 0x0
	v_cvt_i32_f64_e32 v1, v[4:5]
	s_branch .LBB118_2897
.LBB118_2895:
	s_mov_b32 s1, -1
                                        ; implicit-def: $vgpr1
	s_branch .LBB118_2900
.LBB118_2896:
	s_mov_b32 s1, -1
                                        ; implicit-def: $vgpr1
.LBB118_2897:
	s_delay_alu instid0(SALU_CYCLE_1)
	s_and_not1_b32 vcc_lo, exec_lo, s1
	s_cbranch_vccnz .LBB118_2899
; %bb.2898:
	s_wait_loadcnt 0x0
	global_load_b32 v1, v[2:3], off
	s_wait_loadcnt 0x0
	v_cvt_i32_f32_e32 v1, v1
.LBB118_2899:
	s_mov_b32 s1, 0
.LBB118_2900:
	s_delay_alu instid0(SALU_CYCLE_1)
	s_and_not1_b32 vcc_lo, exec_lo, s1
	s_cbranch_vccnz .LBB118_2902
; %bb.2901:
	s_wait_loadcnt 0x0
	global_load_u16 v1, v[2:3], off
	s_wait_loadcnt 0x0
	v_cvt_f32_f16_e32 v1, v1
	s_delay_alu instid0(VALU_DEP_1)
	v_cvt_i32_f32_e32 v1, v1
.LBB118_2902:
	s_cbranch_execnz .LBB118_2921
.LBB118_2903:
	s_cmp_lt_i32 s0, 2
	s_cbranch_scc1 .LBB118_2907
; %bb.2904:
	s_cmp_lt_i32 s0, 3
	s_cbranch_scc1 .LBB118_2908
; %bb.2905:
	s_cmp_gt_i32 s0, 3
	s_cbranch_scc0 .LBB118_2909
; %bb.2906:
	s_wait_loadcnt 0x0
	global_load_b32 v1, v[2:3], off
	s_mov_b32 s1, 0
	s_branch .LBB118_2910
.LBB118_2907:
                                        ; implicit-def: $vgpr1
	s_branch .LBB118_2916
.LBB118_2908:
	s_mov_b32 s1, -1
                                        ; implicit-def: $vgpr1
	s_branch .LBB118_2913
.LBB118_2909:
	s_mov_b32 s1, -1
                                        ; implicit-def: $vgpr1
.LBB118_2910:
	s_delay_alu instid0(SALU_CYCLE_1)
	s_and_not1_b32 vcc_lo, exec_lo, s1
	s_cbranch_vccnz .LBB118_2912
; %bb.2911:
	s_wait_loadcnt 0x0
	global_load_b32 v1, v[2:3], off
.LBB118_2912:
	s_mov_b32 s1, 0
.LBB118_2913:
	s_delay_alu instid0(SALU_CYCLE_1)
	s_and_not1_b32 vcc_lo, exec_lo, s1
	s_cbranch_vccnz .LBB118_2915
; %bb.2914:
	s_wait_loadcnt 0x0
	global_load_i16 v1, v[2:3], off
.LBB118_2915:
	s_cbranch_execnz .LBB118_2921
.LBB118_2916:
	s_cmp_gt_i32 s0, 0
	s_mov_b32 s0, 0
	s_cbranch_scc0 .LBB118_2918
; %bb.2917:
	s_wait_loadcnt 0x0
	global_load_i8 v1, v[2:3], off
	s_branch .LBB118_2919
.LBB118_2918:
	s_mov_b32 s0, -1
                                        ; implicit-def: $vgpr1
.LBB118_2919:
	s_delay_alu instid0(SALU_CYCLE_1)
	s_and_not1_b32 vcc_lo, exec_lo, s0
	s_cbranch_vccnz .LBB118_2921
; %bb.2920:
	s_wait_loadcnt 0x0
	global_load_u8 v1, v[2:3], off
.LBB118_2921:
.LBB118_2922:
	s_wait_xcnt 0x0
	v_mul_lo_u32 v2, s18, v22
	s_and_b32 s56, s25, 0xff
	s_delay_alu instid0(SALU_CYCLE_1) | instskip(NEXT) | instid1(VALU_DEP_1)
	s_cmp_lt_i32 s56, 11
	v_ashrrev_i32_e32 v3, 31, v2
	s_delay_alu instid0(VALU_DEP_1)
	v_add_nc_u64_e32 v[4:5], s[8:9], v[2:3]
	s_cbranch_scc1 .LBB118_2929
; %bb.2923:
	s_and_b32 s0, 0xffff, s56
	s_mov_b32 s25, 0
	s_cmp_gt_i32 s0, 25
	s_cbranch_scc0 .LBB118_2931
; %bb.2924:
	s_cmp_gt_i32 s0, 28
	s_cbranch_scc0 .LBB118_2932
; %bb.2925:
	;; [unrolled: 3-line block ×4, first 2 shown]
	s_cmp_eq_u32 s0, 46
	s_mov_b32 s39, 0
	s_cbranch_scc0 .LBB118_2936
; %bb.2928:
	global_load_b32 v3, v[4:5], off
	s_mov_b32 s1, 0
	s_mov_b32 s35, -1
	s_wait_loadcnt 0x0
	v_lshlrev_b32_e32 v3, 16, v3
	s_delay_alu instid0(VALU_DEP_1)
	v_cvt_i32_f32_e32 v3, v3
	s_branch .LBB118_2938
.LBB118_2929:
	s_mov_b32 s35, 0
                                        ; implicit-def: $vgpr3
	s_cbranch_execnz .LBB118_2999
.LBB118_2930:
	s_and_not1_b32 vcc_lo, exec_lo, s35
	s_cbranch_vccnz .LBB118_3434
	s_branch .LBB118_3046
.LBB118_2931:
	s_mov_b32 s35, 0
	s_mov_b32 s1, 0
                                        ; implicit-def: $vgpr3
	s_cbranch_execnz .LBB118_2965
	s_branch .LBB118_2995
.LBB118_2932:
	s_mov_b32 s39, -1
	s_mov_b32 s35, 0
	s_mov_b32 s1, 0
                                        ; implicit-def: $vgpr3
	s_branch .LBB118_2948
.LBB118_2933:
	s_mov_b32 s39, -1
	s_mov_b32 s35, 0
	s_mov_b32 s1, 0
                                        ; implicit-def: $vgpr3
	s_branch .LBB118_2943
.LBB118_2934:
	s_or_b32 s33, s52, exec_lo
	s_trap 2
	s_cbranch_execz .LBB118_2875
	s_branch .LBB118_2876
.LBB118_2935:
	s_mov_b32 s39, -1
	s_mov_b32 s35, 0
	s_mov_b32 s1, 0
	s_branch .LBB118_2937
.LBB118_2936:
	s_mov_b32 s1, -1
	s_mov_b32 s35, 0
.LBB118_2937:
                                        ; implicit-def: $vgpr3
.LBB118_2938:
	s_and_b32 vcc_lo, exec_lo, s39
	s_cbranch_vccz .LBB118_2942
; %bb.2939:
	s_cmp_eq_u32 s0, 44
	s_cbranch_scc0 .LBB118_2941
; %bb.2940:
	global_load_u8 v3, v[4:5], off
	s_mov_b32 s1, 0
	s_mov_b32 s35, -1
	s_wait_loadcnt 0x0
	v_lshlrev_b32_e32 v6, 23, v3
	v_cmp_ne_u32_e32 vcc_lo, 0, v3
	s_delay_alu instid0(VALU_DEP_2) | instskip(NEXT) | instid1(VALU_DEP_1)
	v_cvt_i32_f32_e32 v6, v6
	v_cndmask_b32_e32 v3, 0, v6, vcc_lo
	s_branch .LBB118_2942
.LBB118_2941:
	s_mov_b32 s1, -1
                                        ; implicit-def: $vgpr3
.LBB118_2942:
	s_mov_b32 s39, 0
.LBB118_2943:
	s_delay_alu instid0(SALU_CYCLE_1)
	s_and_b32 vcc_lo, exec_lo, s39
	s_cbranch_vccz .LBB118_2947
; %bb.2944:
	s_cmp_eq_u32 s0, 29
	s_cbranch_scc0 .LBB118_2946
; %bb.2945:
	global_load_b32 v3, v[4:5], off
	s_mov_b32 s1, 0
	s_mov_b32 s35, -1
	s_branch .LBB118_2947
.LBB118_2946:
	s_mov_b32 s1, -1
                                        ; implicit-def: $vgpr3
.LBB118_2947:
	s_mov_b32 s39, 0
.LBB118_2948:
	s_delay_alu instid0(SALU_CYCLE_1)
	s_and_b32 vcc_lo, exec_lo, s39
	s_cbranch_vccz .LBB118_2964
; %bb.2949:
	s_cmp_lt_i32 s0, 27
	s_cbranch_scc1 .LBB118_2952
; %bb.2950:
	s_cmp_gt_i32 s0, 27
	s_cbranch_scc0 .LBB118_2953
; %bb.2951:
	s_wait_loadcnt 0x0
	global_load_b32 v3, v[4:5], off
	s_mov_b32 s35, 0
	s_branch .LBB118_2954
.LBB118_2952:
	s_mov_b32 s35, -1
                                        ; implicit-def: $vgpr3
	s_branch .LBB118_2957
.LBB118_2953:
	s_mov_b32 s35, -1
                                        ; implicit-def: $vgpr3
.LBB118_2954:
	s_delay_alu instid0(SALU_CYCLE_1)
	s_and_not1_b32 vcc_lo, exec_lo, s35
	s_cbranch_vccnz .LBB118_2956
; %bb.2955:
	s_wait_loadcnt 0x0
	global_load_u16 v3, v[4:5], off
.LBB118_2956:
	s_mov_b32 s35, 0
.LBB118_2957:
	s_delay_alu instid0(SALU_CYCLE_1)
	s_and_not1_b32 vcc_lo, exec_lo, s35
	s_cbranch_vccnz .LBB118_2963
; %bb.2958:
	global_load_u8 v6, v[4:5], off
	s_mov_b32 s39, 0
	s_mov_b32 s35, exec_lo
	s_wait_loadcnt 0x0
	v_cmpx_lt_i16_e32 0x7f, v6
	s_xor_b32 s35, exec_lo, s35
	s_cbranch_execz .LBB118_2974
; %bb.2959:
	v_cmp_ne_u16_e32 vcc_lo, 0x80, v6
	s_and_b32 s39, vcc_lo, exec_lo
	s_and_not1_saveexec_b32 s35, s35
	s_cbranch_execnz .LBB118_2975
.LBB118_2960:
	s_or_b32 exec_lo, exec_lo, s35
	v_mov_b32_e32 v3, 0
	s_and_saveexec_b32 s35, s39
	s_cbranch_execz .LBB118_2962
.LBB118_2961:
	v_and_b32_e32 v3, 0xffff, v6
	s_delay_alu instid0(VALU_DEP_1) | instskip(SKIP_1) | instid1(VALU_DEP_2)
	v_and_b32_e32 v7, 7, v3
	v_bfe_u32 v10, v3, 3, 4
	v_clz_i32_u32_e32 v8, v7
	s_delay_alu instid0(VALU_DEP_2) | instskip(NEXT) | instid1(VALU_DEP_2)
	v_cmp_eq_u32_e32 vcc_lo, 0, v10
	v_min_u32_e32 v8, 32, v8
	s_delay_alu instid0(VALU_DEP_1) | instskip(NEXT) | instid1(VALU_DEP_1)
	v_subrev_nc_u32_e32 v9, 28, v8
	v_dual_lshlrev_b32 v3, v9, v3 :: v_dual_sub_nc_u32 v8, 29, v8
	s_delay_alu instid0(VALU_DEP_1) | instskip(NEXT) | instid1(VALU_DEP_1)
	v_dual_lshlrev_b32 v6, 24, v6 :: v_dual_bitop2_b32 v3, 7, v3 bitop3:0x40
	v_dual_cndmask_b32 v8, v10, v8 :: v_dual_cndmask_b32 v3, v7, v3
	s_delay_alu instid0(VALU_DEP_2) | instskip(NEXT) | instid1(VALU_DEP_2)
	v_and_b32_e32 v6, 0x80000000, v6
	v_lshl_add_u32 v7, v8, 23, 0x3b800000
	s_delay_alu instid0(VALU_DEP_3) | instskip(NEXT) | instid1(VALU_DEP_1)
	v_lshlrev_b32_e32 v3, 20, v3
	v_or3_b32 v3, v6, v7, v3
	s_delay_alu instid0(VALU_DEP_1)
	v_cvt_i32_f32_e32 v3, v3
.LBB118_2962:
	s_or_b32 exec_lo, exec_lo, s35
.LBB118_2963:
	s_mov_b32 s35, -1
.LBB118_2964:
	s_branch .LBB118_2995
.LBB118_2965:
	s_cmp_gt_i32 s0, 22
	s_cbranch_scc0 .LBB118_2973
; %bb.2966:
	s_cmp_lt_i32 s0, 24
	s_cbranch_scc1 .LBB118_2976
; %bb.2967:
	s_cmp_gt_i32 s0, 24
	s_cbranch_scc0 .LBB118_2977
; %bb.2968:
	global_load_u8 v6, v[4:5], off
	s_mov_b32 s35, 0
	s_mov_b32 s25, exec_lo
	s_wait_loadcnt 0x0
	v_cmpx_lt_i16_e32 0x7f, v6
	s_xor_b32 s25, exec_lo, s25
	s_cbranch_execz .LBB118_2989
; %bb.2969:
	v_cmp_ne_u16_e32 vcc_lo, 0x80, v6
	s_and_b32 s35, vcc_lo, exec_lo
	s_and_not1_saveexec_b32 s25, s25
	s_cbranch_execnz .LBB118_2990
.LBB118_2970:
	s_or_b32 exec_lo, exec_lo, s25
	v_mov_b32_e32 v3, 0
	s_and_saveexec_b32 s25, s35
	s_cbranch_execz .LBB118_2972
.LBB118_2971:
	v_and_b32_e32 v3, 0xffff, v6
	s_delay_alu instid0(VALU_DEP_1) | instskip(SKIP_1) | instid1(VALU_DEP_2)
	v_and_b32_e32 v7, 3, v3
	v_bfe_u32 v10, v3, 2, 5
	v_clz_i32_u32_e32 v8, v7
	s_delay_alu instid0(VALU_DEP_2) | instskip(NEXT) | instid1(VALU_DEP_2)
	v_cmp_eq_u32_e32 vcc_lo, 0, v10
	v_min_u32_e32 v8, 32, v8
	s_delay_alu instid0(VALU_DEP_1) | instskip(NEXT) | instid1(VALU_DEP_1)
	v_subrev_nc_u32_e32 v9, 29, v8
	v_dual_lshlrev_b32 v3, v9, v3 :: v_dual_sub_nc_u32 v8, 30, v8
	s_delay_alu instid0(VALU_DEP_1) | instskip(NEXT) | instid1(VALU_DEP_1)
	v_dual_lshlrev_b32 v6, 24, v6 :: v_dual_bitop2_b32 v3, 3, v3 bitop3:0x40
	v_dual_cndmask_b32 v8, v10, v8 :: v_dual_cndmask_b32 v3, v7, v3
	s_delay_alu instid0(VALU_DEP_2) | instskip(NEXT) | instid1(VALU_DEP_2)
	v_and_b32_e32 v6, 0x80000000, v6
	v_lshl_add_u32 v7, v8, 23, 0x37800000
	s_delay_alu instid0(VALU_DEP_3) | instskip(NEXT) | instid1(VALU_DEP_1)
	v_lshlrev_b32_e32 v3, 21, v3
	v_or3_b32 v3, v6, v7, v3
	s_delay_alu instid0(VALU_DEP_1)
	v_cvt_i32_f32_e32 v3, v3
.LBB118_2972:
	s_or_b32 exec_lo, exec_lo, s25
	s_mov_b32 s25, 0
	s_branch .LBB118_2978
.LBB118_2973:
	s_mov_b32 s25, -1
                                        ; implicit-def: $vgpr3
	s_branch .LBB118_2984
.LBB118_2974:
	s_and_not1_saveexec_b32 s35, s35
	s_cbranch_execz .LBB118_2960
.LBB118_2975:
	v_cmp_ne_u16_e32 vcc_lo, 0, v6
	s_and_not1_b32 s39, s39, exec_lo
	s_and_b32 s40, vcc_lo, exec_lo
	s_delay_alu instid0(SALU_CYCLE_1)
	s_or_b32 s39, s39, s40
	s_or_b32 exec_lo, exec_lo, s35
	v_mov_b32_e32 v3, 0
	s_and_saveexec_b32 s35, s39
	s_cbranch_execnz .LBB118_2961
	s_branch .LBB118_2962
.LBB118_2976:
	s_mov_b32 s25, -1
                                        ; implicit-def: $vgpr3
	s_branch .LBB118_2981
.LBB118_2977:
	s_mov_b32 s25, -1
                                        ; implicit-def: $vgpr3
.LBB118_2978:
	s_delay_alu instid0(SALU_CYCLE_1)
	s_and_b32 vcc_lo, exec_lo, s25
	s_cbranch_vccz .LBB118_2980
; %bb.2979:
	s_wait_loadcnt 0x0
	global_load_u8 v3, v[4:5], off
	s_wait_loadcnt 0x0
	v_lshlrev_b32_e32 v3, 24, v3
	s_delay_alu instid0(VALU_DEP_1) | instskip(NEXT) | instid1(VALU_DEP_1)
	v_and_b32_e32 v6, 0x7f000000, v3
	v_clz_i32_u32_e32 v7, v6
	v_cmp_ne_u32_e32 vcc_lo, 0, v6
	v_add_nc_u32_e32 v9, 0x1000000, v6
	s_delay_alu instid0(VALU_DEP_3) | instskip(NEXT) | instid1(VALU_DEP_1)
	v_min_u32_e32 v7, 32, v7
	v_sub_nc_u32_e64 v7, v7, 4 clamp
	s_delay_alu instid0(VALU_DEP_1) | instskip(NEXT) | instid1(VALU_DEP_1)
	v_dual_lshlrev_b32 v8, v7, v6 :: v_dual_lshlrev_b32 v7, 23, v7
	v_lshrrev_b32_e32 v8, 4, v8
	s_delay_alu instid0(VALU_DEP_1) | instskip(NEXT) | instid1(VALU_DEP_1)
	v_dual_sub_nc_u32 v7, v8, v7 :: v_dual_ashrrev_i32 v8, 8, v9
	v_add_nc_u32_e32 v7, 0x3c000000, v7
	s_delay_alu instid0(VALU_DEP_1) | instskip(NEXT) | instid1(VALU_DEP_1)
	v_and_or_b32 v7, 0x7f800000, v8, v7
	v_cndmask_b32_e32 v6, 0, v7, vcc_lo
	s_delay_alu instid0(VALU_DEP_1) | instskip(NEXT) | instid1(VALU_DEP_1)
	v_and_or_b32 v3, 0x80000000, v3, v6
	v_cvt_i32_f32_e32 v3, v3
.LBB118_2980:
	s_mov_b32 s25, 0
.LBB118_2981:
	s_delay_alu instid0(SALU_CYCLE_1)
	s_and_not1_b32 vcc_lo, exec_lo, s25
	s_cbranch_vccnz .LBB118_2983
; %bb.2982:
	s_wait_loadcnt 0x0
	global_load_u8 v3, v[4:5], off
	s_wait_loadcnt 0x0
	v_lshlrev_b32_e32 v6, 25, v3
	v_lshlrev_b16 v3, 8, v3
	s_delay_alu instid0(VALU_DEP_1) | instskip(SKIP_1) | instid1(VALU_DEP_2)
	v_and_or_b32 v8, 0x7f00, v3, 0.5
	v_bfe_i32 v3, v3, 0, 16
	v_dual_add_f32 v8, -0.5, v8 :: v_dual_lshrrev_b32 v7, 4, v6
	v_cmp_gt_u32_e32 vcc_lo, 0x8000000, v6
	s_delay_alu instid0(VALU_DEP_2) | instskip(NEXT) | instid1(VALU_DEP_1)
	v_or_b32_e32 v7, 0x70000000, v7
	v_mul_f32_e32 v7, 0x7800000, v7
	s_delay_alu instid0(VALU_DEP_1) | instskip(NEXT) | instid1(VALU_DEP_1)
	v_cndmask_b32_e32 v6, v7, v8, vcc_lo
	v_and_or_b32 v3, 0x80000000, v3, v6
	s_delay_alu instid0(VALU_DEP_1)
	v_cvt_i32_f32_e32 v3, v3
.LBB118_2983:
	s_mov_b32 s25, 0
	s_mov_b32 s35, -1
.LBB118_2984:
	s_and_not1_b32 vcc_lo, exec_lo, s25
	s_mov_b32 s25, 0
	s_cbranch_vccnz .LBB118_2995
; %bb.2985:
	s_cmp_gt_i32 s0, 14
	s_cbranch_scc0 .LBB118_2988
; %bb.2986:
	s_cmp_eq_u32 s0, 15
	s_cbranch_scc0 .LBB118_2991
; %bb.2987:
	s_wait_loadcnt 0x0
	global_load_u16 v3, v[4:5], off
	s_mov_b32 s1, 0
	s_mov_b32 s35, -1
	s_wait_loadcnt 0x0
	v_lshlrev_b32_e32 v3, 16, v3
	s_delay_alu instid0(VALU_DEP_1)
	v_cvt_i32_f32_e32 v3, v3
	s_branch .LBB118_2993
.LBB118_2988:
	s_mov_b32 s25, -1
	s_branch .LBB118_2992
.LBB118_2989:
	s_and_not1_saveexec_b32 s25, s25
	s_cbranch_execz .LBB118_2970
.LBB118_2990:
	v_cmp_ne_u16_e32 vcc_lo, 0, v6
	s_and_not1_b32 s35, s35, exec_lo
	s_and_b32 s39, vcc_lo, exec_lo
	s_delay_alu instid0(SALU_CYCLE_1)
	s_or_b32 s35, s35, s39
	s_or_b32 exec_lo, exec_lo, s25
	v_mov_b32_e32 v3, 0
	s_and_saveexec_b32 s25, s35
	s_cbranch_execnz .LBB118_2971
	s_branch .LBB118_2972
.LBB118_2991:
	s_mov_b32 s1, -1
.LBB118_2992:
                                        ; implicit-def: $vgpr3
.LBB118_2993:
	s_and_b32 vcc_lo, exec_lo, s25
	s_mov_b32 s25, 0
	s_cbranch_vccz .LBB118_2995
; %bb.2994:
	s_cmp_lg_u32 s0, 11
	s_mov_b32 s25, -1
	s_cselect_b32 s1, -1, 0
.LBB118_2995:
	s_delay_alu instid0(SALU_CYCLE_1)
	s_and_b32 vcc_lo, exec_lo, s1
	s_cbranch_vccnz .LBB118_3058
; %bb.2996:
	s_and_not1_b32 vcc_lo, exec_lo, s25
	s_cbranch_vccnz .LBB118_2998
.LBB118_2997:
	s_wait_loadcnt 0x0
	global_load_u8 v3, v[4:5], off
	s_mov_b32 s35, -1
	s_wait_loadcnt 0x0
	v_cmp_ne_u16_e32 vcc_lo, 0, v3
	v_cndmask_b32_e64 v3, 0, 1, vcc_lo
.LBB118_2998:
	s_branch .LBB118_2930
.LBB118_2999:
	s_and_b32 s0, 0xffff, s56
	s_delay_alu instid0(SALU_CYCLE_1)
	s_cmp_lt_i32 s0, 5
	s_cbranch_scc1 .LBB118_3004
; %bb.3000:
	s_cmp_lt_i32 s0, 8
	s_cbranch_scc1 .LBB118_3005
; %bb.3001:
	;; [unrolled: 3-line block ×3, first 2 shown]
	s_cmp_gt_i32 s0, 9
	s_cbranch_scc0 .LBB118_3007
; %bb.3003:
	global_load_b64 v[6:7], v[4:5], off
	s_mov_b32 s1, 0
	s_wait_loadcnt 0x0
	v_cvt_i32_f64_e32 v3, v[6:7]
	s_branch .LBB118_3008
.LBB118_3004:
                                        ; implicit-def: $vgpr3
	s_branch .LBB118_3026
.LBB118_3005:
	s_mov_b32 s1, -1
                                        ; implicit-def: $vgpr3
	s_branch .LBB118_3014
.LBB118_3006:
	s_mov_b32 s1, -1
                                        ; implicit-def: $vgpr3
	s_branch .LBB118_3011
.LBB118_3007:
	s_mov_b32 s1, -1
                                        ; implicit-def: $vgpr3
.LBB118_3008:
	s_delay_alu instid0(SALU_CYCLE_1)
	s_and_not1_b32 vcc_lo, exec_lo, s1
	s_cbranch_vccnz .LBB118_3010
; %bb.3009:
	s_wait_loadcnt 0x0
	global_load_b32 v3, v[4:5], off
	s_wait_loadcnt 0x0
	v_cvt_i32_f32_e32 v3, v3
.LBB118_3010:
	s_mov_b32 s1, 0
.LBB118_3011:
	s_delay_alu instid0(SALU_CYCLE_1)
	s_and_not1_b32 vcc_lo, exec_lo, s1
	s_cbranch_vccnz .LBB118_3013
; %bb.3012:
	s_wait_loadcnt 0x0
	global_load_b32 v3, v[4:5], off
	s_wait_loadcnt 0x0
	v_cvt_f32_f16_e32 v3, v3
	s_delay_alu instid0(VALU_DEP_1)
	v_cvt_i32_f32_e32 v3, v3
.LBB118_3013:
	s_mov_b32 s1, 0
.LBB118_3014:
	s_delay_alu instid0(SALU_CYCLE_1)
	s_and_not1_b32 vcc_lo, exec_lo, s1
	s_cbranch_vccnz .LBB118_3025
; %bb.3015:
	s_cmp_lt_i32 s0, 6
	s_cbranch_scc1 .LBB118_3018
; %bb.3016:
	s_cmp_gt_i32 s0, 6
	s_cbranch_scc0 .LBB118_3019
; %bb.3017:
	global_load_b64 v[6:7], v[4:5], off
	s_mov_b32 s1, 0
	s_wait_loadcnt 0x0
	v_cvt_i32_f64_e32 v3, v[6:7]
	s_branch .LBB118_3020
.LBB118_3018:
	s_mov_b32 s1, -1
                                        ; implicit-def: $vgpr3
	s_branch .LBB118_3023
.LBB118_3019:
	s_mov_b32 s1, -1
                                        ; implicit-def: $vgpr3
.LBB118_3020:
	s_delay_alu instid0(SALU_CYCLE_1)
	s_and_not1_b32 vcc_lo, exec_lo, s1
	s_cbranch_vccnz .LBB118_3022
; %bb.3021:
	s_wait_loadcnt 0x0
	global_load_b32 v3, v[4:5], off
	s_wait_loadcnt 0x0
	v_cvt_i32_f32_e32 v3, v3
.LBB118_3022:
	s_mov_b32 s1, 0
.LBB118_3023:
	s_delay_alu instid0(SALU_CYCLE_1)
	s_and_not1_b32 vcc_lo, exec_lo, s1
	s_cbranch_vccnz .LBB118_3025
; %bb.3024:
	s_wait_loadcnt 0x0
	global_load_u16 v3, v[4:5], off
	s_wait_loadcnt 0x0
	v_cvt_f32_f16_e32 v3, v3
	s_delay_alu instid0(VALU_DEP_1)
	v_cvt_i32_f32_e32 v3, v3
.LBB118_3025:
	s_cbranch_execnz .LBB118_3045
.LBB118_3026:
	s_cmp_lt_i32 s0, 2
	s_cbranch_scc1 .LBB118_3030
; %bb.3027:
	s_cmp_lt_i32 s0, 3
	s_cbranch_scc1 .LBB118_3031
; %bb.3028:
	s_cmp_gt_i32 s0, 3
	s_cbranch_scc0 .LBB118_3032
; %bb.3029:
	s_wait_loadcnt 0x0
	global_load_b32 v3, v[4:5], off
	s_mov_b32 s1, 0
	s_branch .LBB118_3033
.LBB118_3030:
	s_mov_b32 s1, -1
                                        ; implicit-def: $vgpr3
	s_branch .LBB118_3039
.LBB118_3031:
	s_mov_b32 s1, -1
                                        ; implicit-def: $vgpr3
	s_branch .LBB118_3036
.LBB118_3032:
	s_mov_b32 s1, -1
                                        ; implicit-def: $vgpr3
.LBB118_3033:
	s_delay_alu instid0(SALU_CYCLE_1)
	s_and_not1_b32 vcc_lo, exec_lo, s1
	s_cbranch_vccnz .LBB118_3035
; %bb.3034:
	s_wait_loadcnt 0x0
	global_load_b32 v3, v[4:5], off
.LBB118_3035:
	s_mov_b32 s1, 0
.LBB118_3036:
	s_delay_alu instid0(SALU_CYCLE_1)
	s_and_not1_b32 vcc_lo, exec_lo, s1
	s_cbranch_vccnz .LBB118_3038
; %bb.3037:
	s_wait_loadcnt 0x0
	global_load_i16 v3, v[4:5], off
.LBB118_3038:
	s_mov_b32 s1, 0
.LBB118_3039:
	s_delay_alu instid0(SALU_CYCLE_1)
	s_and_not1_b32 vcc_lo, exec_lo, s1
	s_cbranch_vccnz .LBB118_3045
; %bb.3040:
	s_cmp_gt_i32 s0, 0
	s_mov_b32 s0, 0
	s_cbranch_scc0 .LBB118_3042
; %bb.3041:
	s_wait_loadcnt 0x0
	global_load_i8 v3, v[4:5], off
	s_branch .LBB118_3043
.LBB118_3042:
	s_mov_b32 s0, -1
                                        ; implicit-def: $vgpr3
.LBB118_3043:
	s_delay_alu instid0(SALU_CYCLE_1)
	s_and_not1_b32 vcc_lo, exec_lo, s0
	s_cbranch_vccnz .LBB118_3045
; %bb.3044:
	s_wait_loadcnt 0x0
	global_load_u8 v3, v[4:5], off
.LBB118_3045:
.LBB118_3046:
	s_wait_xcnt 0x0
	v_mul_lo_u32 v4, s19, v22
	s_and_b32 s57, s34, 0xff
	s_delay_alu instid0(SALU_CYCLE_1) | instskip(NEXT) | instid1(VALU_DEP_1)
	s_cmp_lt_i32 s57, 11
	v_ashrrev_i32_e32 v5, 31, v4
	s_delay_alu instid0(VALU_DEP_1)
	v_add_nc_u64_e32 v[6:7], s[10:11], v[4:5]
	s_cbranch_scc1 .LBB118_3053
; %bb.3047:
	s_and_b32 s0, 0xffff, s57
	s_mov_b32 s25, 0
	s_cmp_gt_i32 s0, 25
	s_cbranch_scc0 .LBB118_3055
; %bb.3048:
	s_cmp_gt_i32 s0, 28
	s_cbranch_scc0 .LBB118_3056
; %bb.3049:
	;; [unrolled: 3-line block ×4, first 2 shown]
	s_cmp_eq_u32 s0, 46
	s_mov_b32 s35, 0
	s_cbranch_scc0 .LBB118_3060
; %bb.3052:
	global_load_b32 v5, v[6:7], off
	s_mov_b32 s1, 0
	s_mov_b32 s34, -1
	s_wait_loadcnt 0x0
	v_lshlrev_b32_e32 v5, 16, v5
	s_delay_alu instid0(VALU_DEP_1)
	v_cvt_i32_f32_e32 v10, v5
	s_branch .LBB118_3062
.LBB118_3053:
	s_mov_b32 s34, 0
                                        ; implicit-def: $vgpr10
	s_cbranch_execnz .LBB118_3124
.LBB118_3054:
	s_and_not1_b32 vcc_lo, exec_lo, s34
	s_cbranch_vccnz .LBB118_3434
	s_branch .LBB118_3172
.LBB118_3055:
	s_mov_b32 s35, -1
	s_mov_b32 s34, 0
	s_mov_b32 s1, 0
                                        ; implicit-def: $vgpr10
	s_branch .LBB118_3089
.LBB118_3056:
	s_mov_b32 s35, -1
	s_mov_b32 s34, 0
	s_mov_b32 s1, 0
                                        ; implicit-def: $vgpr10
	s_branch .LBB118_3072
.LBB118_3057:
	s_mov_b32 s35, -1
	s_mov_b32 s34, 0
	s_mov_b32 s1, 0
                                        ; implicit-def: $vgpr10
	s_branch .LBB118_3067
.LBB118_3058:
	s_or_b32 s33, s33, exec_lo
	s_trap 2
	s_cbranch_execz .LBB118_2997
	s_branch .LBB118_2998
.LBB118_3059:
	s_mov_b32 s35, -1
	s_mov_b32 s34, 0
	s_mov_b32 s1, 0
	s_branch .LBB118_3061
.LBB118_3060:
	s_mov_b32 s1, -1
	s_mov_b32 s34, 0
.LBB118_3061:
                                        ; implicit-def: $vgpr10
.LBB118_3062:
	s_and_b32 vcc_lo, exec_lo, s35
	s_cbranch_vccz .LBB118_3066
; %bb.3063:
	s_cmp_eq_u32 s0, 44
	s_cbranch_scc0 .LBB118_3065
; %bb.3064:
	global_load_u8 v5, v[6:7], off
	s_mov_b32 s1, 0
	s_mov_b32 s34, -1
	s_wait_loadcnt 0x0
	v_lshlrev_b32_e32 v8, 23, v5
	v_cmp_ne_u32_e32 vcc_lo, 0, v5
	s_delay_alu instid0(VALU_DEP_2) | instskip(NEXT) | instid1(VALU_DEP_1)
	v_cvt_i32_f32_e32 v8, v8
	v_cndmask_b32_e32 v10, 0, v8, vcc_lo
	s_branch .LBB118_3066
.LBB118_3065:
	s_mov_b32 s1, -1
                                        ; implicit-def: $vgpr10
.LBB118_3066:
	s_mov_b32 s35, 0
.LBB118_3067:
	s_delay_alu instid0(SALU_CYCLE_1)
	s_and_b32 vcc_lo, exec_lo, s35
	s_cbranch_vccz .LBB118_3071
; %bb.3068:
	s_cmp_eq_u32 s0, 29
	s_cbranch_scc0 .LBB118_3070
; %bb.3069:
	global_load_b32 v10, v[6:7], off
	s_mov_b32 s1, 0
	s_mov_b32 s34, -1
	s_branch .LBB118_3071
.LBB118_3070:
	s_mov_b32 s1, -1
                                        ; implicit-def: $vgpr10
.LBB118_3071:
	s_mov_b32 s35, 0
.LBB118_3072:
	s_delay_alu instid0(SALU_CYCLE_1)
	s_and_b32 vcc_lo, exec_lo, s35
	s_cbranch_vccz .LBB118_3088
; %bb.3073:
	s_cmp_lt_i32 s0, 27
	s_cbranch_scc1 .LBB118_3076
; %bb.3074:
	s_cmp_gt_i32 s0, 27
	s_cbranch_scc0 .LBB118_3077
; %bb.3075:
	s_wait_loadcnt 0x0
	global_load_b32 v10, v[6:7], off
	s_mov_b32 s34, 0
	s_branch .LBB118_3078
.LBB118_3076:
	s_mov_b32 s34, -1
                                        ; implicit-def: $vgpr10
	s_branch .LBB118_3081
.LBB118_3077:
	s_mov_b32 s34, -1
                                        ; implicit-def: $vgpr10
.LBB118_3078:
	s_delay_alu instid0(SALU_CYCLE_1)
	s_and_not1_b32 vcc_lo, exec_lo, s34
	s_cbranch_vccnz .LBB118_3080
; %bb.3079:
	s_wait_loadcnt 0x0
	global_load_u16 v10, v[6:7], off
.LBB118_3080:
	s_mov_b32 s34, 0
.LBB118_3081:
	s_delay_alu instid0(SALU_CYCLE_1)
	s_and_not1_b32 vcc_lo, exec_lo, s34
	s_cbranch_vccnz .LBB118_3087
; %bb.3082:
	global_load_u8 v5, v[6:7], off
	s_mov_b32 s35, 0
	s_mov_b32 s34, exec_lo
	s_wait_loadcnt 0x0
	v_cmpx_lt_i16_e32 0x7f, v5
	s_xor_b32 s34, exec_lo, s34
	s_cbranch_execz .LBB118_3099
; %bb.3083:
	v_cmp_ne_u16_e32 vcc_lo, 0x80, v5
	s_and_b32 s35, vcc_lo, exec_lo
	s_and_not1_saveexec_b32 s34, s34
	s_cbranch_execnz .LBB118_3100
.LBB118_3084:
	s_or_b32 exec_lo, exec_lo, s34
	v_mov_b32_e32 v10, 0
	s_and_saveexec_b32 s34, s35
	s_cbranch_execz .LBB118_3086
.LBB118_3085:
	v_and_b32_e32 v8, 0xffff, v5
	s_delay_alu instid0(VALU_DEP_1) | instskip(SKIP_1) | instid1(VALU_DEP_2)
	v_and_b32_e32 v9, 7, v8
	v_bfe_u32 v12, v8, 3, 4
	v_clz_i32_u32_e32 v10, v9
	s_delay_alu instid0(VALU_DEP_2) | instskip(NEXT) | instid1(VALU_DEP_2)
	v_cmp_eq_u32_e32 vcc_lo, 0, v12
	v_min_u32_e32 v10, 32, v10
	s_delay_alu instid0(VALU_DEP_1) | instskip(NEXT) | instid1(VALU_DEP_1)
	v_subrev_nc_u32_e32 v11, 28, v10
	v_dual_lshlrev_b32 v8, v11, v8 :: v_dual_sub_nc_u32 v10, 29, v10
	s_delay_alu instid0(VALU_DEP_1) | instskip(NEXT) | instid1(VALU_DEP_1)
	v_dual_lshlrev_b32 v5, 24, v5 :: v_dual_bitop2_b32 v8, 7, v8 bitop3:0x40
	v_dual_cndmask_b32 v10, v12, v10, vcc_lo :: v_dual_cndmask_b32 v8, v9, v8, vcc_lo
	s_delay_alu instid0(VALU_DEP_2) | instskip(NEXT) | instid1(VALU_DEP_2)
	v_and_b32_e32 v5, 0x80000000, v5
	v_lshl_add_u32 v9, v10, 23, 0x3b800000
	s_delay_alu instid0(VALU_DEP_3) | instskip(NEXT) | instid1(VALU_DEP_1)
	v_lshlrev_b32_e32 v8, 20, v8
	v_or3_b32 v5, v5, v9, v8
	s_delay_alu instid0(VALU_DEP_1)
	v_cvt_i32_f32_e32 v10, v5
.LBB118_3086:
	s_or_b32 exec_lo, exec_lo, s34
.LBB118_3087:
	s_mov_b32 s34, -1
.LBB118_3088:
	s_mov_b32 s35, 0
.LBB118_3089:
	s_delay_alu instid0(SALU_CYCLE_1)
	s_and_b32 vcc_lo, exec_lo, s35
	s_cbranch_vccz .LBB118_3120
; %bb.3090:
	s_cmp_gt_i32 s0, 22
	s_cbranch_scc0 .LBB118_3098
; %bb.3091:
	s_cmp_lt_i32 s0, 24
	s_cbranch_scc1 .LBB118_3101
; %bb.3092:
	s_cmp_gt_i32 s0, 24
	s_cbranch_scc0 .LBB118_3102
; %bb.3093:
	global_load_u8 v5, v[6:7], off
	s_mov_b32 s34, 0
	s_mov_b32 s25, exec_lo
	s_wait_loadcnt 0x0
	v_cmpx_lt_i16_e32 0x7f, v5
	s_xor_b32 s25, exec_lo, s25
	s_cbranch_execz .LBB118_3114
; %bb.3094:
	v_cmp_ne_u16_e32 vcc_lo, 0x80, v5
	s_and_b32 s34, vcc_lo, exec_lo
	s_and_not1_saveexec_b32 s25, s25
	s_cbranch_execnz .LBB118_3115
.LBB118_3095:
	s_or_b32 exec_lo, exec_lo, s25
	v_mov_b32_e32 v10, 0
	s_and_saveexec_b32 s25, s34
	s_cbranch_execz .LBB118_3097
.LBB118_3096:
	v_and_b32_e32 v8, 0xffff, v5
	s_delay_alu instid0(VALU_DEP_1) | instskip(SKIP_1) | instid1(VALU_DEP_2)
	v_and_b32_e32 v9, 3, v8
	v_bfe_u32 v12, v8, 2, 5
	v_clz_i32_u32_e32 v10, v9
	s_delay_alu instid0(VALU_DEP_2) | instskip(NEXT) | instid1(VALU_DEP_2)
	v_cmp_eq_u32_e32 vcc_lo, 0, v12
	v_min_u32_e32 v10, 32, v10
	s_delay_alu instid0(VALU_DEP_1) | instskip(NEXT) | instid1(VALU_DEP_1)
	v_subrev_nc_u32_e32 v11, 29, v10
	v_dual_lshlrev_b32 v8, v11, v8 :: v_dual_sub_nc_u32 v10, 30, v10
	s_delay_alu instid0(VALU_DEP_1) | instskip(NEXT) | instid1(VALU_DEP_1)
	v_dual_lshlrev_b32 v5, 24, v5 :: v_dual_bitop2_b32 v8, 3, v8 bitop3:0x40
	v_dual_cndmask_b32 v10, v12, v10, vcc_lo :: v_dual_cndmask_b32 v8, v9, v8, vcc_lo
	s_delay_alu instid0(VALU_DEP_2) | instskip(NEXT) | instid1(VALU_DEP_2)
	v_and_b32_e32 v5, 0x80000000, v5
	v_lshl_add_u32 v9, v10, 23, 0x37800000
	s_delay_alu instid0(VALU_DEP_3) | instskip(NEXT) | instid1(VALU_DEP_1)
	v_lshlrev_b32_e32 v8, 21, v8
	v_or3_b32 v5, v5, v9, v8
	s_delay_alu instid0(VALU_DEP_1)
	v_cvt_i32_f32_e32 v10, v5
.LBB118_3097:
	s_or_b32 exec_lo, exec_lo, s25
	s_mov_b32 s25, 0
	s_branch .LBB118_3103
.LBB118_3098:
	s_mov_b32 s25, -1
                                        ; implicit-def: $vgpr10
	s_branch .LBB118_3109
.LBB118_3099:
	s_and_not1_saveexec_b32 s34, s34
	s_cbranch_execz .LBB118_3084
.LBB118_3100:
	v_cmp_ne_u16_e32 vcc_lo, 0, v5
	s_and_not1_b32 s35, s35, exec_lo
	s_and_b32 s39, vcc_lo, exec_lo
	s_delay_alu instid0(SALU_CYCLE_1)
	s_or_b32 s35, s35, s39
	s_or_b32 exec_lo, exec_lo, s34
	v_mov_b32_e32 v10, 0
	s_and_saveexec_b32 s34, s35
	s_cbranch_execnz .LBB118_3085
	s_branch .LBB118_3086
.LBB118_3101:
	s_mov_b32 s25, -1
                                        ; implicit-def: $vgpr10
	s_branch .LBB118_3106
.LBB118_3102:
	s_mov_b32 s25, -1
                                        ; implicit-def: $vgpr10
.LBB118_3103:
	s_delay_alu instid0(SALU_CYCLE_1)
	s_and_b32 vcc_lo, exec_lo, s25
	s_cbranch_vccz .LBB118_3105
; %bb.3104:
	global_load_u8 v5, v[6:7], off
	s_wait_loadcnt 0x0
	v_lshlrev_b32_e32 v5, 24, v5
	s_delay_alu instid0(VALU_DEP_1) | instskip(NEXT) | instid1(VALU_DEP_1)
	v_and_b32_e32 v8, 0x7f000000, v5
	v_clz_i32_u32_e32 v9, v8
	v_cmp_ne_u32_e32 vcc_lo, 0, v8
	v_add_nc_u32_e32 v11, 0x1000000, v8
	s_delay_alu instid0(VALU_DEP_3) | instskip(NEXT) | instid1(VALU_DEP_1)
	v_min_u32_e32 v9, 32, v9
	v_sub_nc_u32_e64 v9, v9, 4 clamp
	s_delay_alu instid0(VALU_DEP_1) | instskip(NEXT) | instid1(VALU_DEP_1)
	v_dual_lshlrev_b32 v10, v9, v8 :: v_dual_lshlrev_b32 v9, 23, v9
	v_lshrrev_b32_e32 v10, 4, v10
	s_delay_alu instid0(VALU_DEP_1) | instskip(NEXT) | instid1(VALU_DEP_1)
	v_dual_sub_nc_u32 v9, v10, v9 :: v_dual_ashrrev_i32 v10, 8, v11
	v_add_nc_u32_e32 v9, 0x3c000000, v9
	s_delay_alu instid0(VALU_DEP_1) | instskip(NEXT) | instid1(VALU_DEP_1)
	v_and_or_b32 v9, 0x7f800000, v10, v9
	v_cndmask_b32_e32 v8, 0, v9, vcc_lo
	s_delay_alu instid0(VALU_DEP_1) | instskip(NEXT) | instid1(VALU_DEP_1)
	v_and_or_b32 v5, 0x80000000, v5, v8
	v_cvt_i32_f32_e32 v10, v5
.LBB118_3105:
	s_mov_b32 s25, 0
.LBB118_3106:
	s_delay_alu instid0(SALU_CYCLE_1)
	s_and_not1_b32 vcc_lo, exec_lo, s25
	s_cbranch_vccnz .LBB118_3108
; %bb.3107:
	global_load_u8 v5, v[6:7], off
	s_wait_loadcnt 0x0
	v_lshlrev_b32_e32 v8, 25, v5
	v_lshlrev_b16 v5, 8, v5
	s_delay_alu instid0(VALU_DEP_1) | instskip(SKIP_1) | instid1(VALU_DEP_2)
	v_and_or_b32 v10, 0x7f00, v5, 0.5
	v_bfe_i32 v5, v5, 0, 16
	v_dual_add_f32 v10, -0.5, v10 :: v_dual_lshrrev_b32 v9, 4, v8
	v_cmp_gt_u32_e32 vcc_lo, 0x8000000, v8
	s_delay_alu instid0(VALU_DEP_2) | instskip(NEXT) | instid1(VALU_DEP_1)
	v_or_b32_e32 v9, 0x70000000, v9
	v_mul_f32_e32 v9, 0x7800000, v9
	s_delay_alu instid0(VALU_DEP_1) | instskip(NEXT) | instid1(VALU_DEP_1)
	v_cndmask_b32_e32 v8, v9, v10, vcc_lo
	v_and_or_b32 v5, 0x80000000, v5, v8
	s_delay_alu instid0(VALU_DEP_1)
	v_cvt_i32_f32_e32 v10, v5
.LBB118_3108:
	s_mov_b32 s25, 0
	s_mov_b32 s34, -1
.LBB118_3109:
	s_and_not1_b32 vcc_lo, exec_lo, s25
	s_mov_b32 s25, 0
	s_cbranch_vccnz .LBB118_3120
; %bb.3110:
	s_cmp_gt_i32 s0, 14
	s_cbranch_scc0 .LBB118_3113
; %bb.3111:
	s_cmp_eq_u32 s0, 15
	s_cbranch_scc0 .LBB118_3116
; %bb.3112:
	global_load_u16 v5, v[6:7], off
	s_mov_b32 s1, 0
	s_mov_b32 s34, -1
	s_wait_loadcnt 0x0
	v_lshlrev_b32_e32 v5, 16, v5
	s_delay_alu instid0(VALU_DEP_1)
	v_cvt_i32_f32_e32 v10, v5
	s_branch .LBB118_3118
.LBB118_3113:
	s_mov_b32 s25, -1
	s_branch .LBB118_3117
.LBB118_3114:
	s_and_not1_saveexec_b32 s25, s25
	s_cbranch_execz .LBB118_3095
.LBB118_3115:
	v_cmp_ne_u16_e32 vcc_lo, 0, v5
	s_and_not1_b32 s34, s34, exec_lo
	s_and_b32 s35, vcc_lo, exec_lo
	s_delay_alu instid0(SALU_CYCLE_1)
	s_or_b32 s34, s34, s35
	s_or_b32 exec_lo, exec_lo, s25
	v_mov_b32_e32 v10, 0
	s_and_saveexec_b32 s25, s34
	s_cbranch_execnz .LBB118_3096
	s_branch .LBB118_3097
.LBB118_3116:
	s_mov_b32 s1, -1
.LBB118_3117:
                                        ; implicit-def: $vgpr10
.LBB118_3118:
	s_and_b32 vcc_lo, exec_lo, s25
	s_mov_b32 s25, 0
	s_cbranch_vccz .LBB118_3120
; %bb.3119:
	s_cmp_lg_u32 s0, 11
	s_mov_b32 s25, -1
	s_cselect_b32 s1, -1, 0
.LBB118_3120:
	s_delay_alu instid0(SALU_CYCLE_1)
	s_and_b32 vcc_lo, exec_lo, s1
	s_cbranch_vccnz .LBB118_3183
; %bb.3121:
	s_and_not1_b32 vcc_lo, exec_lo, s25
	s_cbranch_vccnz .LBB118_3123
.LBB118_3122:
	global_load_u8 v5, v[6:7], off
	s_mov_b32 s34, -1
	s_wait_loadcnt 0x0
	v_cmp_ne_u16_e32 vcc_lo, 0, v5
	v_cndmask_b32_e64 v10, 0, 1, vcc_lo
.LBB118_3123:
	s_branch .LBB118_3054
.LBB118_3124:
	s_and_b32 s0, 0xffff, s57
	s_delay_alu instid0(SALU_CYCLE_1)
	s_cmp_lt_i32 s0, 5
	s_cbranch_scc1 .LBB118_3129
; %bb.3125:
	s_cmp_lt_i32 s0, 8
	s_cbranch_scc1 .LBB118_3130
; %bb.3126:
	;; [unrolled: 3-line block ×3, first 2 shown]
	s_cmp_gt_i32 s0, 9
	s_cbranch_scc0 .LBB118_3132
; %bb.3128:
	global_load_b64 v[8:9], v[6:7], off
	s_mov_b32 s1, 0
	s_wait_loadcnt 0x0
	v_cvt_i32_f64_e32 v10, v[8:9]
	s_branch .LBB118_3133
.LBB118_3129:
	s_mov_b32 s1, -1
                                        ; implicit-def: $vgpr10
	s_branch .LBB118_3151
.LBB118_3130:
	s_mov_b32 s1, -1
                                        ; implicit-def: $vgpr10
	s_branch .LBB118_3139
.LBB118_3131:
	s_mov_b32 s1, -1
                                        ; implicit-def: $vgpr10
	s_branch .LBB118_3136
.LBB118_3132:
	s_mov_b32 s1, -1
                                        ; implicit-def: $vgpr10
.LBB118_3133:
	s_delay_alu instid0(SALU_CYCLE_1)
	s_and_not1_b32 vcc_lo, exec_lo, s1
	s_cbranch_vccnz .LBB118_3135
; %bb.3134:
	global_load_b32 v5, v[6:7], off
	s_wait_loadcnt 0x0
	v_cvt_i32_f32_e32 v10, v5
.LBB118_3135:
	s_mov_b32 s1, 0
.LBB118_3136:
	s_delay_alu instid0(SALU_CYCLE_1)
	s_and_not1_b32 vcc_lo, exec_lo, s1
	s_cbranch_vccnz .LBB118_3138
; %bb.3137:
	global_load_b32 v5, v[6:7], off
	s_wait_loadcnt 0x0
	v_cvt_f32_f16_e32 v5, v5
	s_delay_alu instid0(VALU_DEP_1)
	v_cvt_i32_f32_e32 v10, v5
.LBB118_3138:
	s_mov_b32 s1, 0
.LBB118_3139:
	s_delay_alu instid0(SALU_CYCLE_1)
	s_and_not1_b32 vcc_lo, exec_lo, s1
	s_cbranch_vccnz .LBB118_3150
; %bb.3140:
	s_cmp_lt_i32 s0, 6
	s_cbranch_scc1 .LBB118_3143
; %bb.3141:
	s_cmp_gt_i32 s0, 6
	s_cbranch_scc0 .LBB118_3144
; %bb.3142:
	global_load_b64 v[8:9], v[6:7], off
	s_mov_b32 s1, 0
	s_wait_loadcnt 0x0
	v_cvt_i32_f64_e32 v10, v[8:9]
	s_branch .LBB118_3145
.LBB118_3143:
	s_mov_b32 s1, -1
                                        ; implicit-def: $vgpr10
	s_branch .LBB118_3148
.LBB118_3144:
	s_mov_b32 s1, -1
                                        ; implicit-def: $vgpr10
.LBB118_3145:
	s_delay_alu instid0(SALU_CYCLE_1)
	s_and_not1_b32 vcc_lo, exec_lo, s1
	s_cbranch_vccnz .LBB118_3147
; %bb.3146:
	global_load_b32 v5, v[6:7], off
	s_wait_loadcnt 0x0
	v_cvt_i32_f32_e32 v10, v5
.LBB118_3147:
	s_mov_b32 s1, 0
.LBB118_3148:
	s_delay_alu instid0(SALU_CYCLE_1)
	s_and_not1_b32 vcc_lo, exec_lo, s1
	s_cbranch_vccnz .LBB118_3150
; %bb.3149:
	global_load_u16 v5, v[6:7], off
	s_wait_loadcnt 0x0
	v_cvt_f32_f16_e32 v5, v5
	s_delay_alu instid0(VALU_DEP_1)
	v_cvt_i32_f32_e32 v10, v5
.LBB118_3150:
	s_mov_b32 s1, 0
.LBB118_3151:
	s_delay_alu instid0(SALU_CYCLE_1)
	s_and_not1_b32 vcc_lo, exec_lo, s1
	s_cbranch_vccnz .LBB118_3171
; %bb.3152:
	s_cmp_lt_i32 s0, 2
	s_cbranch_scc1 .LBB118_3156
; %bb.3153:
	s_cmp_lt_i32 s0, 3
	s_cbranch_scc1 .LBB118_3157
; %bb.3154:
	s_cmp_gt_i32 s0, 3
	s_cbranch_scc0 .LBB118_3158
; %bb.3155:
	s_wait_loadcnt 0x0
	global_load_b32 v10, v[6:7], off
	s_mov_b32 s1, 0
	s_branch .LBB118_3159
.LBB118_3156:
	s_mov_b32 s1, -1
                                        ; implicit-def: $vgpr10
	s_branch .LBB118_3165
.LBB118_3157:
	s_mov_b32 s1, -1
                                        ; implicit-def: $vgpr10
	s_branch .LBB118_3162
.LBB118_3158:
	s_mov_b32 s1, -1
                                        ; implicit-def: $vgpr10
.LBB118_3159:
	s_delay_alu instid0(SALU_CYCLE_1)
	s_and_not1_b32 vcc_lo, exec_lo, s1
	s_cbranch_vccnz .LBB118_3161
; %bb.3160:
	s_wait_loadcnt 0x0
	global_load_b32 v10, v[6:7], off
.LBB118_3161:
	s_mov_b32 s1, 0
.LBB118_3162:
	s_delay_alu instid0(SALU_CYCLE_1)
	s_and_not1_b32 vcc_lo, exec_lo, s1
	s_cbranch_vccnz .LBB118_3164
; %bb.3163:
	s_wait_loadcnt 0x0
	global_load_i16 v10, v[6:7], off
.LBB118_3164:
	s_mov_b32 s1, 0
.LBB118_3165:
	s_delay_alu instid0(SALU_CYCLE_1)
	s_and_not1_b32 vcc_lo, exec_lo, s1
	s_cbranch_vccnz .LBB118_3171
; %bb.3166:
	s_cmp_gt_i32 s0, 0
	s_mov_b32 s0, 0
	s_cbranch_scc0 .LBB118_3168
; %bb.3167:
	s_wait_loadcnt 0x0
	global_load_i8 v10, v[6:7], off
	s_branch .LBB118_3169
.LBB118_3168:
	s_mov_b32 s0, -1
                                        ; implicit-def: $vgpr10
.LBB118_3169:
	s_delay_alu instid0(SALU_CYCLE_1)
	s_and_not1_b32 vcc_lo, exec_lo, s0
	s_cbranch_vccnz .LBB118_3171
; %bb.3170:
	s_wait_loadcnt 0x0
	global_load_u8 v10, v[6:7], off
.LBB118_3171:
.LBB118_3172:
	s_wait_xcnt 0x0
	v_mul_lo_u32 v6, s36, v22
	s_and_b32 s58, s3, 0xff
	s_delay_alu instid0(SALU_CYCLE_1) | instskip(NEXT) | instid1(VALU_DEP_1)
	s_cmp_lt_i32 s58, 11
	v_ashrrev_i32_e32 v7, 31, v6
	s_delay_alu instid0(VALU_DEP_1)
	v_add_nc_u64_e32 v[8:9], s[12:13], v[6:7]
	s_cbranch_scc1 .LBB118_3179
; %bb.3173:
	s_and_b32 s0, 0xffff, s58
	s_mov_b32 s3, 0
	s_cmp_gt_i32 s0, 25
	s_cbranch_scc0 .LBB118_3180
; %bb.3174:
	s_cmp_gt_i32 s0, 28
	s_cbranch_scc0 .LBB118_3181
; %bb.3175:
	;; [unrolled: 3-line block ×4, first 2 shown]
	s_cmp_eq_u32 s0, 46
	s_mov_b32 s34, 0
	s_cbranch_scc0 .LBB118_3185
; %bb.3178:
	global_load_b32 v5, v[8:9], off
	s_mov_b32 s1, 0
	s_mov_b32 s25, -1
	s_wait_loadcnt 0x0
	v_lshlrev_b32_e32 v5, 16, v5
	s_delay_alu instid0(VALU_DEP_1)
	v_cvt_i32_f32_e32 v12, v5
	s_branch .LBB118_3187
.LBB118_3179:
	s_mov_b32 s0, -1
	s_mov_b32 s25, 0
                                        ; implicit-def: $vgpr12
	s_branch .LBB118_3249
.LBB118_3180:
	s_mov_b32 s34, -1
	s_mov_b32 s25, 0
	s_mov_b32 s1, 0
                                        ; implicit-def: $vgpr12
	s_branch .LBB118_3214
.LBB118_3181:
	s_mov_b32 s34, -1
	s_mov_b32 s25, 0
	s_mov_b32 s1, 0
                                        ; implicit-def: $vgpr12
	s_branch .LBB118_3197
.LBB118_3182:
	s_mov_b32 s34, -1
	s_mov_b32 s25, 0
	s_mov_b32 s1, 0
                                        ; implicit-def: $vgpr12
	s_branch .LBB118_3192
.LBB118_3183:
	s_or_b32 s33, s33, exec_lo
	s_trap 2
	s_cbranch_execz .LBB118_3122
	s_branch .LBB118_3123
.LBB118_3184:
	s_mov_b32 s34, -1
	s_mov_b32 s25, 0
	s_mov_b32 s1, 0
	s_branch .LBB118_3186
.LBB118_3185:
	s_mov_b32 s1, -1
	s_mov_b32 s25, 0
.LBB118_3186:
                                        ; implicit-def: $vgpr12
.LBB118_3187:
	s_and_b32 vcc_lo, exec_lo, s34
	s_cbranch_vccz .LBB118_3191
; %bb.3188:
	s_cmp_eq_u32 s0, 44
	s_cbranch_scc0 .LBB118_3190
; %bb.3189:
	global_load_u8 v5, v[8:9], off
	s_mov_b32 s1, 0
	s_mov_b32 s25, -1
	s_wait_loadcnt 0x0
	v_lshlrev_b32_e32 v7, 23, v5
	v_cmp_ne_u32_e32 vcc_lo, 0, v5
	s_delay_alu instid0(VALU_DEP_2) | instskip(NEXT) | instid1(VALU_DEP_1)
	v_cvt_i32_f32_e32 v7, v7
	v_cndmask_b32_e32 v12, 0, v7, vcc_lo
	s_branch .LBB118_3191
.LBB118_3190:
	s_mov_b32 s1, -1
                                        ; implicit-def: $vgpr12
.LBB118_3191:
	s_mov_b32 s34, 0
.LBB118_3192:
	s_delay_alu instid0(SALU_CYCLE_1)
	s_and_b32 vcc_lo, exec_lo, s34
	s_cbranch_vccz .LBB118_3196
; %bb.3193:
	s_cmp_eq_u32 s0, 29
	s_cbranch_scc0 .LBB118_3195
; %bb.3194:
	global_load_b32 v12, v[8:9], off
	s_mov_b32 s1, 0
	s_mov_b32 s25, -1
	s_branch .LBB118_3196
.LBB118_3195:
	s_mov_b32 s1, -1
                                        ; implicit-def: $vgpr12
.LBB118_3196:
	s_mov_b32 s34, 0
.LBB118_3197:
	s_delay_alu instid0(SALU_CYCLE_1)
	s_and_b32 vcc_lo, exec_lo, s34
	s_cbranch_vccz .LBB118_3213
; %bb.3198:
	s_cmp_lt_i32 s0, 27
	s_cbranch_scc1 .LBB118_3201
; %bb.3199:
	s_cmp_gt_i32 s0, 27
	s_cbranch_scc0 .LBB118_3202
; %bb.3200:
	s_wait_loadcnt 0x0
	global_load_b32 v12, v[8:9], off
	s_mov_b32 s25, 0
	s_branch .LBB118_3203
.LBB118_3201:
	s_mov_b32 s25, -1
                                        ; implicit-def: $vgpr12
	s_branch .LBB118_3206
.LBB118_3202:
	s_mov_b32 s25, -1
                                        ; implicit-def: $vgpr12
.LBB118_3203:
	s_delay_alu instid0(SALU_CYCLE_1)
	s_and_not1_b32 vcc_lo, exec_lo, s25
	s_cbranch_vccnz .LBB118_3205
; %bb.3204:
	s_wait_loadcnt 0x0
	global_load_u16 v12, v[8:9], off
.LBB118_3205:
	s_mov_b32 s25, 0
.LBB118_3206:
	s_delay_alu instid0(SALU_CYCLE_1)
	s_and_not1_b32 vcc_lo, exec_lo, s25
	s_cbranch_vccnz .LBB118_3212
; %bb.3207:
	global_load_u8 v5, v[8:9], off
	s_mov_b32 s34, 0
	s_mov_b32 s25, exec_lo
	s_wait_loadcnt 0x0
	v_cmpx_lt_i16_e32 0x7f, v5
	s_xor_b32 s25, exec_lo, s25
	s_cbranch_execz .LBB118_3224
; %bb.3208:
	v_cmp_ne_u16_e32 vcc_lo, 0x80, v5
	s_and_b32 s34, vcc_lo, exec_lo
	s_and_not1_saveexec_b32 s25, s25
	s_cbranch_execnz .LBB118_3225
.LBB118_3209:
	s_or_b32 exec_lo, exec_lo, s25
	v_mov_b32_e32 v12, 0
	s_and_saveexec_b32 s25, s34
	s_cbranch_execz .LBB118_3211
.LBB118_3210:
	v_and_b32_e32 v7, 0xffff, v5
	s_delay_alu instid0(VALU_DEP_1) | instskip(SKIP_1) | instid1(VALU_DEP_2)
	v_and_b32_e32 v11, 7, v7
	v_bfe_u32 v14, v7, 3, 4
	v_clz_i32_u32_e32 v12, v11
	s_delay_alu instid0(VALU_DEP_2) | instskip(NEXT) | instid1(VALU_DEP_2)
	v_cmp_eq_u32_e32 vcc_lo, 0, v14
	v_min_u32_e32 v12, 32, v12
	s_delay_alu instid0(VALU_DEP_1) | instskip(NEXT) | instid1(VALU_DEP_1)
	v_subrev_nc_u32_e32 v13, 28, v12
	v_dual_lshlrev_b32 v7, v13, v7 :: v_dual_sub_nc_u32 v12, 29, v12
	s_delay_alu instid0(VALU_DEP_1) | instskip(NEXT) | instid1(VALU_DEP_1)
	v_dual_lshlrev_b32 v5, 24, v5 :: v_dual_bitop2_b32 v7, 7, v7 bitop3:0x40
	v_dual_cndmask_b32 v12, v14, v12 :: v_dual_cndmask_b32 v7, v11, v7
	s_delay_alu instid0(VALU_DEP_2) | instskip(NEXT) | instid1(VALU_DEP_2)
	v_and_b32_e32 v5, 0x80000000, v5
	v_lshl_add_u32 v11, v12, 23, 0x3b800000
	s_delay_alu instid0(VALU_DEP_3) | instskip(NEXT) | instid1(VALU_DEP_1)
	v_lshlrev_b32_e32 v7, 20, v7
	v_or3_b32 v5, v5, v11, v7
	s_delay_alu instid0(VALU_DEP_1)
	v_cvt_i32_f32_e32 v12, v5
.LBB118_3211:
	s_or_b32 exec_lo, exec_lo, s25
.LBB118_3212:
	s_mov_b32 s25, -1
.LBB118_3213:
	s_mov_b32 s34, 0
.LBB118_3214:
	s_delay_alu instid0(SALU_CYCLE_1)
	s_and_b32 vcc_lo, exec_lo, s34
	s_cbranch_vccz .LBB118_3245
; %bb.3215:
	s_cmp_gt_i32 s0, 22
	s_cbranch_scc0 .LBB118_3223
; %bb.3216:
	s_cmp_lt_i32 s0, 24
	s_cbranch_scc1 .LBB118_3226
; %bb.3217:
	s_cmp_gt_i32 s0, 24
	s_cbranch_scc0 .LBB118_3227
; %bb.3218:
	global_load_u8 v5, v[8:9], off
	s_mov_b32 s25, 0
	s_mov_b32 s3, exec_lo
	s_wait_loadcnt 0x0
	v_cmpx_lt_i16_e32 0x7f, v5
	s_xor_b32 s3, exec_lo, s3
	s_cbranch_execz .LBB118_3239
; %bb.3219:
	v_cmp_ne_u16_e32 vcc_lo, 0x80, v5
	s_and_b32 s25, vcc_lo, exec_lo
	s_and_not1_saveexec_b32 s3, s3
	s_cbranch_execnz .LBB118_3240
.LBB118_3220:
	s_or_b32 exec_lo, exec_lo, s3
	v_mov_b32_e32 v12, 0
	s_and_saveexec_b32 s3, s25
	s_cbranch_execz .LBB118_3222
.LBB118_3221:
	v_and_b32_e32 v7, 0xffff, v5
	s_delay_alu instid0(VALU_DEP_1) | instskip(SKIP_1) | instid1(VALU_DEP_2)
	v_and_b32_e32 v11, 3, v7
	v_bfe_u32 v14, v7, 2, 5
	v_clz_i32_u32_e32 v12, v11
	s_delay_alu instid0(VALU_DEP_2) | instskip(NEXT) | instid1(VALU_DEP_2)
	v_cmp_eq_u32_e32 vcc_lo, 0, v14
	v_min_u32_e32 v12, 32, v12
	s_delay_alu instid0(VALU_DEP_1) | instskip(NEXT) | instid1(VALU_DEP_1)
	v_subrev_nc_u32_e32 v13, 29, v12
	v_dual_lshlrev_b32 v7, v13, v7 :: v_dual_sub_nc_u32 v12, 30, v12
	s_delay_alu instid0(VALU_DEP_1) | instskip(NEXT) | instid1(VALU_DEP_1)
	v_dual_lshlrev_b32 v5, 24, v5 :: v_dual_bitop2_b32 v7, 3, v7 bitop3:0x40
	v_dual_cndmask_b32 v12, v14, v12 :: v_dual_cndmask_b32 v7, v11, v7
	s_delay_alu instid0(VALU_DEP_2) | instskip(NEXT) | instid1(VALU_DEP_2)
	v_and_b32_e32 v5, 0x80000000, v5
	v_lshl_add_u32 v11, v12, 23, 0x37800000
	s_delay_alu instid0(VALU_DEP_3) | instskip(NEXT) | instid1(VALU_DEP_1)
	v_lshlrev_b32_e32 v7, 21, v7
	v_or3_b32 v5, v5, v11, v7
	s_delay_alu instid0(VALU_DEP_1)
	v_cvt_i32_f32_e32 v12, v5
.LBB118_3222:
	s_or_b32 exec_lo, exec_lo, s3
	s_mov_b32 s3, 0
	s_branch .LBB118_3228
.LBB118_3223:
	s_mov_b32 s3, -1
                                        ; implicit-def: $vgpr12
	s_branch .LBB118_3234
.LBB118_3224:
	s_and_not1_saveexec_b32 s25, s25
	s_cbranch_execz .LBB118_3209
.LBB118_3225:
	v_cmp_ne_u16_e32 vcc_lo, 0, v5
	s_and_not1_b32 s34, s34, exec_lo
	s_and_b32 s35, vcc_lo, exec_lo
	s_delay_alu instid0(SALU_CYCLE_1)
	s_or_b32 s34, s34, s35
	s_or_b32 exec_lo, exec_lo, s25
	v_mov_b32_e32 v12, 0
	s_and_saveexec_b32 s25, s34
	s_cbranch_execnz .LBB118_3210
	s_branch .LBB118_3211
.LBB118_3226:
	s_mov_b32 s3, -1
                                        ; implicit-def: $vgpr12
	s_branch .LBB118_3231
.LBB118_3227:
	s_mov_b32 s3, -1
                                        ; implicit-def: $vgpr12
.LBB118_3228:
	s_delay_alu instid0(SALU_CYCLE_1)
	s_and_b32 vcc_lo, exec_lo, s3
	s_cbranch_vccz .LBB118_3230
; %bb.3229:
	global_load_u8 v5, v[8:9], off
	s_wait_loadcnt 0x0
	v_lshlrev_b32_e32 v5, 24, v5
	s_delay_alu instid0(VALU_DEP_1) | instskip(NEXT) | instid1(VALU_DEP_1)
	v_and_b32_e32 v7, 0x7f000000, v5
	v_clz_i32_u32_e32 v11, v7
	v_add_nc_u32_e32 v13, 0x1000000, v7
	v_cmp_ne_u32_e32 vcc_lo, 0, v7
	s_delay_alu instid0(VALU_DEP_3) | instskip(NEXT) | instid1(VALU_DEP_1)
	v_min_u32_e32 v11, 32, v11
	v_sub_nc_u32_e64 v11, v11, 4 clamp
	s_delay_alu instid0(VALU_DEP_1) | instskip(NEXT) | instid1(VALU_DEP_1)
	v_lshlrev_b32_e32 v12, v11, v7
	v_dual_lshlrev_b32 v11, 23, v11 :: v_dual_lshrrev_b32 v12, 4, v12
	s_delay_alu instid0(VALU_DEP_1) | instskip(NEXT) | instid1(VALU_DEP_1)
	v_dual_sub_nc_u32 v11, v12, v11 :: v_dual_ashrrev_i32 v12, 8, v13
	v_add_nc_u32_e32 v11, 0x3c000000, v11
	s_delay_alu instid0(VALU_DEP_1) | instskip(NEXT) | instid1(VALU_DEP_1)
	v_and_or_b32 v11, 0x7f800000, v12, v11
	v_cndmask_b32_e32 v7, 0, v11, vcc_lo
	s_delay_alu instid0(VALU_DEP_1) | instskip(NEXT) | instid1(VALU_DEP_1)
	v_and_or_b32 v5, 0x80000000, v5, v7
	v_cvt_i32_f32_e32 v12, v5
.LBB118_3230:
	s_mov_b32 s3, 0
.LBB118_3231:
	s_delay_alu instid0(SALU_CYCLE_1)
	s_and_not1_b32 vcc_lo, exec_lo, s3
	s_cbranch_vccnz .LBB118_3233
; %bb.3232:
	global_load_u8 v5, v[8:9], off
	s_wait_loadcnt 0x0
	v_lshlrev_b32_e32 v7, 25, v5
	v_lshlrev_b16 v5, 8, v5
	s_delay_alu instid0(VALU_DEP_1) | instskip(SKIP_1) | instid1(VALU_DEP_2)
	v_and_or_b32 v12, 0x7f00, v5, 0.5
	v_bfe_i32 v5, v5, 0, 16
	v_dual_add_f32 v12, -0.5, v12 :: v_dual_lshrrev_b32 v11, 4, v7
	v_cmp_gt_u32_e32 vcc_lo, 0x8000000, v7
	s_delay_alu instid0(VALU_DEP_2) | instskip(NEXT) | instid1(VALU_DEP_1)
	v_or_b32_e32 v11, 0x70000000, v11
	v_mul_f32_e32 v11, 0x7800000, v11
	s_delay_alu instid0(VALU_DEP_1) | instskip(NEXT) | instid1(VALU_DEP_1)
	v_cndmask_b32_e32 v7, v11, v12, vcc_lo
	v_and_or_b32 v5, 0x80000000, v5, v7
	s_delay_alu instid0(VALU_DEP_1)
	v_cvt_i32_f32_e32 v12, v5
.LBB118_3233:
	s_mov_b32 s3, 0
	s_mov_b32 s25, -1
.LBB118_3234:
	s_and_not1_b32 vcc_lo, exec_lo, s3
	s_mov_b32 s3, 0
	s_cbranch_vccnz .LBB118_3245
; %bb.3235:
	s_cmp_gt_i32 s0, 14
	s_cbranch_scc0 .LBB118_3238
; %bb.3236:
	s_cmp_eq_u32 s0, 15
	s_cbranch_scc0 .LBB118_3241
; %bb.3237:
	global_load_u16 v5, v[8:9], off
	s_mov_b32 s1, 0
	s_mov_b32 s25, -1
	s_wait_loadcnt 0x0
	v_lshlrev_b32_e32 v5, 16, v5
	s_delay_alu instid0(VALU_DEP_1)
	v_cvt_i32_f32_e32 v12, v5
	s_branch .LBB118_3243
.LBB118_3238:
	s_mov_b32 s3, -1
	s_branch .LBB118_3242
.LBB118_3239:
	s_and_not1_saveexec_b32 s3, s3
	s_cbranch_execz .LBB118_3220
.LBB118_3240:
	v_cmp_ne_u16_e32 vcc_lo, 0, v5
	s_and_not1_b32 s25, s25, exec_lo
	s_and_b32 s34, vcc_lo, exec_lo
	s_delay_alu instid0(SALU_CYCLE_1)
	s_or_b32 s25, s25, s34
	s_or_b32 exec_lo, exec_lo, s3
	v_mov_b32_e32 v12, 0
	s_and_saveexec_b32 s3, s25
	s_cbranch_execnz .LBB118_3221
	s_branch .LBB118_3222
.LBB118_3241:
	s_mov_b32 s1, -1
.LBB118_3242:
                                        ; implicit-def: $vgpr12
.LBB118_3243:
	s_and_b32 vcc_lo, exec_lo, s3
	s_mov_b32 s3, 0
	s_cbranch_vccz .LBB118_3245
; %bb.3244:
	s_cmp_lg_u32 s0, 11
	s_mov_b32 s3, -1
	s_cselect_b32 s1, -1, 0
.LBB118_3245:
	s_delay_alu instid0(SALU_CYCLE_1)
	s_and_b32 vcc_lo, exec_lo, s1
	s_cbranch_vccnz .LBB118_3310
; %bb.3246:
	s_and_not1_b32 vcc_lo, exec_lo, s3
	s_cbranch_vccnz .LBB118_3248
.LBB118_3247:
	global_load_u8 v5, v[8:9], off
	s_mov_b32 s25, -1
	s_wait_loadcnt 0x0
	v_cmp_ne_u16_e32 vcc_lo, 0, v5
	v_cndmask_b32_e64 v12, 0, 1, vcc_lo
.LBB118_3248:
	s_mov_b32 s0, 0
.LBB118_3249:
	s_delay_alu instid0(SALU_CYCLE_1)
	s_and_b32 vcc_lo, exec_lo, s0
	s_cbranch_vccz .LBB118_3298
; %bb.3250:
	s_and_b32 s0, 0xffff, s58
	s_delay_alu instid0(SALU_CYCLE_1)
	s_cmp_lt_i32 s0, 5
	s_cbranch_scc1 .LBB118_3255
; %bb.3251:
	s_cmp_lt_i32 s0, 8
	s_cbranch_scc1 .LBB118_3256
; %bb.3252:
	s_cmp_lt_i32 s0, 9
	s_cbranch_scc1 .LBB118_3257
; %bb.3253:
	s_cmp_gt_i32 s0, 9
	s_cbranch_scc0 .LBB118_3258
; %bb.3254:
	s_wait_loadcnt 0x0
	global_load_b64 v[12:13], v[8:9], off
	s_mov_b32 s1, 0
	s_wait_loadcnt 0x0
	v_cvt_i32_f64_e32 v12, v[12:13]
	s_branch .LBB118_3259
.LBB118_3255:
	s_mov_b32 s1, -1
                                        ; implicit-def: $vgpr12
	s_branch .LBB118_3277
.LBB118_3256:
	s_mov_b32 s1, -1
                                        ; implicit-def: $vgpr12
	s_branch .LBB118_3265
.LBB118_3257:
	s_mov_b32 s1, -1
                                        ; implicit-def: $vgpr12
	s_branch .LBB118_3262
.LBB118_3258:
	s_mov_b32 s1, -1
                                        ; implicit-def: $vgpr12
.LBB118_3259:
	s_delay_alu instid0(SALU_CYCLE_1)
	s_and_not1_b32 vcc_lo, exec_lo, s1
	s_cbranch_vccnz .LBB118_3261
; %bb.3260:
	global_load_b32 v5, v[8:9], off
	s_wait_loadcnt 0x0
	v_cvt_i32_f32_e32 v12, v5
.LBB118_3261:
	s_mov_b32 s1, 0
.LBB118_3262:
	s_delay_alu instid0(SALU_CYCLE_1)
	s_and_not1_b32 vcc_lo, exec_lo, s1
	s_cbranch_vccnz .LBB118_3264
; %bb.3263:
	global_load_b32 v5, v[8:9], off
	s_wait_loadcnt 0x0
	v_cvt_f32_f16_e32 v5, v5
	s_delay_alu instid0(VALU_DEP_1)
	v_cvt_i32_f32_e32 v12, v5
.LBB118_3264:
	s_mov_b32 s1, 0
.LBB118_3265:
	s_delay_alu instid0(SALU_CYCLE_1)
	s_and_not1_b32 vcc_lo, exec_lo, s1
	s_cbranch_vccnz .LBB118_3276
; %bb.3266:
	s_cmp_lt_i32 s0, 6
	s_cbranch_scc1 .LBB118_3269
; %bb.3267:
	s_cmp_gt_i32 s0, 6
	s_cbranch_scc0 .LBB118_3270
; %bb.3268:
	s_wait_loadcnt 0x0
	global_load_b64 v[12:13], v[8:9], off
	s_mov_b32 s1, 0
	s_wait_loadcnt 0x0
	v_cvt_i32_f64_e32 v12, v[12:13]
	s_branch .LBB118_3271
.LBB118_3269:
	s_mov_b32 s1, -1
                                        ; implicit-def: $vgpr12
	s_branch .LBB118_3274
.LBB118_3270:
	s_mov_b32 s1, -1
                                        ; implicit-def: $vgpr12
.LBB118_3271:
	s_delay_alu instid0(SALU_CYCLE_1)
	s_and_not1_b32 vcc_lo, exec_lo, s1
	s_cbranch_vccnz .LBB118_3273
; %bb.3272:
	global_load_b32 v5, v[8:9], off
	s_wait_loadcnt 0x0
	v_cvt_i32_f32_e32 v12, v5
.LBB118_3273:
	s_mov_b32 s1, 0
.LBB118_3274:
	s_delay_alu instid0(SALU_CYCLE_1)
	s_and_not1_b32 vcc_lo, exec_lo, s1
	s_cbranch_vccnz .LBB118_3276
; %bb.3275:
	global_load_u16 v5, v[8:9], off
	s_wait_loadcnt 0x0
	v_cvt_f32_f16_e32 v5, v5
	s_delay_alu instid0(VALU_DEP_1)
	v_cvt_i32_f32_e32 v12, v5
.LBB118_3276:
	s_mov_b32 s1, 0
.LBB118_3277:
	s_delay_alu instid0(SALU_CYCLE_1)
	s_and_not1_b32 vcc_lo, exec_lo, s1
	s_cbranch_vccnz .LBB118_3297
; %bb.3278:
	s_cmp_lt_i32 s0, 2
	s_cbranch_scc1 .LBB118_3282
; %bb.3279:
	s_cmp_lt_i32 s0, 3
	s_cbranch_scc1 .LBB118_3283
; %bb.3280:
	s_cmp_gt_i32 s0, 3
	s_cbranch_scc0 .LBB118_3284
; %bb.3281:
	s_wait_loadcnt 0x0
	global_load_b32 v12, v[8:9], off
	s_mov_b32 s1, 0
	s_branch .LBB118_3285
.LBB118_3282:
	s_mov_b32 s1, -1
                                        ; implicit-def: $vgpr12
	s_branch .LBB118_3291
.LBB118_3283:
	s_mov_b32 s1, -1
                                        ; implicit-def: $vgpr12
	s_branch .LBB118_3288
.LBB118_3284:
	s_mov_b32 s1, -1
                                        ; implicit-def: $vgpr12
.LBB118_3285:
	s_delay_alu instid0(SALU_CYCLE_1)
	s_and_not1_b32 vcc_lo, exec_lo, s1
	s_cbranch_vccnz .LBB118_3287
; %bb.3286:
	s_wait_loadcnt 0x0
	global_load_b32 v12, v[8:9], off
.LBB118_3287:
	s_mov_b32 s1, 0
.LBB118_3288:
	s_delay_alu instid0(SALU_CYCLE_1)
	s_and_not1_b32 vcc_lo, exec_lo, s1
	s_cbranch_vccnz .LBB118_3290
; %bb.3289:
	s_wait_loadcnt 0x0
	global_load_i16 v12, v[8:9], off
.LBB118_3290:
	s_mov_b32 s1, 0
.LBB118_3291:
	s_delay_alu instid0(SALU_CYCLE_1)
	s_and_not1_b32 vcc_lo, exec_lo, s1
	s_cbranch_vccnz .LBB118_3297
; %bb.3292:
	s_cmp_gt_i32 s0, 0
	s_mov_b32 s0, 0
	s_cbranch_scc0 .LBB118_3294
; %bb.3293:
	s_wait_loadcnt 0x0
	global_load_i8 v12, v[8:9], off
	s_branch .LBB118_3295
.LBB118_3294:
	s_mov_b32 s0, -1
                                        ; implicit-def: $vgpr12
.LBB118_3295:
	s_delay_alu instid0(SALU_CYCLE_1)
	s_and_not1_b32 vcc_lo, exec_lo, s0
	s_cbranch_vccnz .LBB118_3297
; %bb.3296:
	s_wait_loadcnt 0x0
	global_load_u8 v12, v[8:9], off
.LBB118_3297:
	s_mov_b32 s25, -1
.LBB118_3298:
	s_delay_alu instid0(SALU_CYCLE_1)
	s_and_not1_b32 vcc_lo, exec_lo, s25
	s_cbranch_vccnz .LBB118_3434
; %bb.3299:
	s_wait_xcnt 0x0
	v_mul_lo_u32 v8, s37, v22
	s_and_b32 s59, s21, 0xff
	s_delay_alu instid0(SALU_CYCLE_1) | instskip(NEXT) | instid1(VALU_DEP_1)
	s_cmp_lt_i32 s59, 11
	v_ashrrev_i32_e32 v9, 31, v8
	s_delay_alu instid0(VALU_DEP_1)
	v_add_nc_u64_e32 v[14:15], s[14:15], v[8:9]
	s_cbranch_scc1 .LBB118_3306
; %bb.3300:
	s_and_b32 s0, 0xffff, s59
	s_mov_b32 s3, 0
	s_cmp_gt_i32 s0, 25
	s_cbranch_scc0 .LBB118_3307
; %bb.3301:
	s_cmp_gt_i32 s0, 28
	s_cbranch_scc0 .LBB118_3308
; %bb.3302:
	;; [unrolled: 3-line block ×4, first 2 shown]
	s_cmp_eq_u32 s0, 46
	s_mov_b32 s25, 0
	s_cbranch_scc0 .LBB118_3312
; %bb.3305:
	global_load_b32 v5, v[14:15], off
	s_mov_b32 s1, 0
	s_mov_b32 s21, -1
	s_wait_loadcnt 0x0
	v_lshlrev_b32_e32 v5, 16, v5
	s_delay_alu instid0(VALU_DEP_1)
	v_cvt_i32_f32_e32 v16, v5
	s_branch .LBB118_3314
.LBB118_3306:
	s_mov_b32 s0, -1
	s_mov_b32 s21, 0
                                        ; implicit-def: $vgpr16
	s_branch .LBB118_3376
.LBB118_3307:
	s_mov_b32 s25, -1
	s_mov_b32 s21, 0
	s_mov_b32 s1, 0
                                        ; implicit-def: $vgpr16
	s_branch .LBB118_3341
.LBB118_3308:
	s_mov_b32 s25, -1
	s_mov_b32 s21, 0
	s_mov_b32 s1, 0
                                        ; implicit-def: $vgpr16
	s_branch .LBB118_3324
.LBB118_3309:
	s_mov_b32 s25, -1
	s_mov_b32 s21, 0
	s_mov_b32 s1, 0
                                        ; implicit-def: $vgpr16
	s_branch .LBB118_3319
.LBB118_3310:
	s_or_b32 s33, s33, exec_lo
	s_trap 2
	s_cbranch_execz .LBB118_3247
	s_branch .LBB118_3248
.LBB118_3311:
	s_mov_b32 s25, -1
	s_mov_b32 s21, 0
	s_mov_b32 s1, 0
	s_branch .LBB118_3313
.LBB118_3312:
	s_mov_b32 s1, -1
	s_mov_b32 s21, 0
.LBB118_3313:
                                        ; implicit-def: $vgpr16
.LBB118_3314:
	s_and_b32 vcc_lo, exec_lo, s25
	s_cbranch_vccz .LBB118_3318
; %bb.3315:
	s_cmp_eq_u32 s0, 44
	s_cbranch_scc0 .LBB118_3317
; %bb.3316:
	global_load_u8 v5, v[14:15], off
	s_mov_b32 s1, 0
	s_mov_b32 s21, -1
	s_wait_loadcnt 0x0
	v_lshlrev_b32_e32 v7, 23, v5
	v_cmp_ne_u32_e32 vcc_lo, 0, v5
	s_delay_alu instid0(VALU_DEP_2) | instskip(NEXT) | instid1(VALU_DEP_1)
	v_cvt_i32_f32_e32 v7, v7
	v_cndmask_b32_e32 v16, 0, v7, vcc_lo
	s_branch .LBB118_3318
.LBB118_3317:
	s_mov_b32 s1, -1
                                        ; implicit-def: $vgpr16
.LBB118_3318:
	s_mov_b32 s25, 0
.LBB118_3319:
	s_delay_alu instid0(SALU_CYCLE_1)
	s_and_b32 vcc_lo, exec_lo, s25
	s_cbranch_vccz .LBB118_3323
; %bb.3320:
	s_cmp_eq_u32 s0, 29
	s_cbranch_scc0 .LBB118_3322
; %bb.3321:
	global_load_b32 v16, v[14:15], off
	s_mov_b32 s1, 0
	s_mov_b32 s21, -1
	s_branch .LBB118_3323
.LBB118_3322:
	s_mov_b32 s1, -1
                                        ; implicit-def: $vgpr16
.LBB118_3323:
	s_mov_b32 s25, 0
.LBB118_3324:
	s_delay_alu instid0(SALU_CYCLE_1)
	s_and_b32 vcc_lo, exec_lo, s25
	s_cbranch_vccz .LBB118_3340
; %bb.3325:
	s_cmp_lt_i32 s0, 27
	s_cbranch_scc1 .LBB118_3328
; %bb.3326:
	s_cmp_gt_i32 s0, 27
	s_cbranch_scc0 .LBB118_3329
; %bb.3327:
	s_wait_loadcnt 0x0
	global_load_b32 v16, v[14:15], off
	s_mov_b32 s21, 0
	s_branch .LBB118_3330
.LBB118_3328:
	s_mov_b32 s21, -1
                                        ; implicit-def: $vgpr16
	s_branch .LBB118_3333
.LBB118_3329:
	s_mov_b32 s21, -1
                                        ; implicit-def: $vgpr16
.LBB118_3330:
	s_delay_alu instid0(SALU_CYCLE_1)
	s_and_not1_b32 vcc_lo, exec_lo, s21
	s_cbranch_vccnz .LBB118_3332
; %bb.3331:
	s_wait_loadcnt 0x0
	global_load_u16 v16, v[14:15], off
.LBB118_3332:
	s_mov_b32 s21, 0
.LBB118_3333:
	s_delay_alu instid0(SALU_CYCLE_1)
	s_and_not1_b32 vcc_lo, exec_lo, s21
	s_cbranch_vccnz .LBB118_3339
; %bb.3334:
	global_load_u8 v5, v[14:15], off
	s_mov_b32 s25, 0
	s_mov_b32 s21, exec_lo
	s_wait_loadcnt 0x0
	v_cmpx_lt_i16_e32 0x7f, v5
	s_xor_b32 s21, exec_lo, s21
	s_cbranch_execz .LBB118_3351
; %bb.3335:
	v_cmp_ne_u16_e32 vcc_lo, 0x80, v5
	s_and_b32 s25, vcc_lo, exec_lo
	s_and_not1_saveexec_b32 s21, s21
	s_cbranch_execnz .LBB118_3352
.LBB118_3336:
	s_or_b32 exec_lo, exec_lo, s21
	v_mov_b32_e32 v16, 0
	s_and_saveexec_b32 s21, s25
	s_cbranch_execz .LBB118_3338
.LBB118_3337:
	v_and_b32_e32 v7, 0xffff, v5
	s_delay_alu instid0(VALU_DEP_1) | instskip(SKIP_1) | instid1(VALU_DEP_2)
	v_dual_lshlrev_b32 v5, 24, v5 :: v_dual_bitop2_b32 v9, 7, v7 bitop3:0x40
	v_bfe_u32 v16, v7, 3, 4
	v_and_b32_e32 v5, 0x80000000, v5
	s_delay_alu instid0(VALU_DEP_3) | instskip(NEXT) | instid1(VALU_DEP_3)
	v_clz_i32_u32_e32 v11, v9
	v_cmp_eq_u32_e32 vcc_lo, 0, v16
	s_delay_alu instid0(VALU_DEP_2) | instskip(NEXT) | instid1(VALU_DEP_1)
	v_min_u32_e32 v11, 32, v11
	v_subrev_nc_u32_e32 v13, 28, v11
	v_sub_nc_u32_e32 v11, 29, v11
	s_delay_alu instid0(VALU_DEP_2) | instskip(NEXT) | instid1(VALU_DEP_2)
	v_lshlrev_b32_e32 v7, v13, v7
	v_cndmask_b32_e32 v11, v16, v11, vcc_lo
	s_delay_alu instid0(VALU_DEP_2) | instskip(NEXT) | instid1(VALU_DEP_1)
	v_and_b32_e32 v7, 7, v7
	v_cndmask_b32_e32 v7, v9, v7, vcc_lo
	s_delay_alu instid0(VALU_DEP_3) | instskip(NEXT) | instid1(VALU_DEP_2)
	v_lshl_add_u32 v9, v11, 23, 0x3b800000
	v_lshlrev_b32_e32 v7, 20, v7
	s_delay_alu instid0(VALU_DEP_1) | instskip(NEXT) | instid1(VALU_DEP_1)
	v_or3_b32 v5, v5, v9, v7
	v_cvt_i32_f32_e32 v16, v5
.LBB118_3338:
	s_or_b32 exec_lo, exec_lo, s21
.LBB118_3339:
	s_mov_b32 s21, -1
.LBB118_3340:
	s_mov_b32 s25, 0
.LBB118_3341:
	s_delay_alu instid0(SALU_CYCLE_1)
	s_and_b32 vcc_lo, exec_lo, s25
	s_cbranch_vccz .LBB118_3372
; %bb.3342:
	s_cmp_gt_i32 s0, 22
	s_cbranch_scc0 .LBB118_3350
; %bb.3343:
	s_cmp_lt_i32 s0, 24
	s_cbranch_scc1 .LBB118_3353
; %bb.3344:
	s_cmp_gt_i32 s0, 24
	s_cbranch_scc0 .LBB118_3354
; %bb.3345:
	global_load_u8 v5, v[14:15], off
	s_mov_b32 s21, 0
	s_mov_b32 s3, exec_lo
	s_wait_loadcnt 0x0
	v_cmpx_lt_i16_e32 0x7f, v5
	s_xor_b32 s3, exec_lo, s3
	s_cbranch_execz .LBB118_3366
; %bb.3346:
	v_cmp_ne_u16_e32 vcc_lo, 0x80, v5
	s_and_b32 s21, vcc_lo, exec_lo
	s_and_not1_saveexec_b32 s3, s3
	s_cbranch_execnz .LBB118_3367
.LBB118_3347:
	s_or_b32 exec_lo, exec_lo, s3
	v_mov_b32_e32 v16, 0
	s_and_saveexec_b32 s3, s21
	s_cbranch_execz .LBB118_3349
.LBB118_3348:
	v_and_b32_e32 v7, 0xffff, v5
	s_delay_alu instid0(VALU_DEP_1) | instskip(SKIP_1) | instid1(VALU_DEP_2)
	v_dual_lshlrev_b32 v5, 24, v5 :: v_dual_bitop2_b32 v9, 3, v7 bitop3:0x40
	v_bfe_u32 v16, v7, 2, 5
	v_and_b32_e32 v5, 0x80000000, v5
	s_delay_alu instid0(VALU_DEP_3) | instskip(NEXT) | instid1(VALU_DEP_3)
	v_clz_i32_u32_e32 v11, v9
	v_cmp_eq_u32_e32 vcc_lo, 0, v16
	s_delay_alu instid0(VALU_DEP_2) | instskip(NEXT) | instid1(VALU_DEP_1)
	v_min_u32_e32 v11, 32, v11
	v_subrev_nc_u32_e32 v13, 29, v11
	v_sub_nc_u32_e32 v11, 30, v11
	s_delay_alu instid0(VALU_DEP_2) | instskip(NEXT) | instid1(VALU_DEP_2)
	v_lshlrev_b32_e32 v7, v13, v7
	v_cndmask_b32_e32 v11, v16, v11, vcc_lo
	s_delay_alu instid0(VALU_DEP_2) | instskip(NEXT) | instid1(VALU_DEP_1)
	v_and_b32_e32 v7, 3, v7
	v_cndmask_b32_e32 v7, v9, v7, vcc_lo
	s_delay_alu instid0(VALU_DEP_3) | instskip(NEXT) | instid1(VALU_DEP_2)
	v_lshl_add_u32 v9, v11, 23, 0x37800000
	v_lshlrev_b32_e32 v7, 21, v7
	s_delay_alu instid0(VALU_DEP_1) | instskip(NEXT) | instid1(VALU_DEP_1)
	v_or3_b32 v5, v5, v9, v7
	v_cvt_i32_f32_e32 v16, v5
.LBB118_3349:
	s_or_b32 exec_lo, exec_lo, s3
	s_mov_b32 s3, 0
	s_branch .LBB118_3355
.LBB118_3350:
	s_mov_b32 s3, -1
                                        ; implicit-def: $vgpr16
	s_branch .LBB118_3361
.LBB118_3351:
	s_and_not1_saveexec_b32 s21, s21
	s_cbranch_execz .LBB118_3336
.LBB118_3352:
	v_cmp_ne_u16_e32 vcc_lo, 0, v5
	s_and_not1_b32 s25, s25, exec_lo
	s_and_b32 s34, vcc_lo, exec_lo
	s_delay_alu instid0(SALU_CYCLE_1)
	s_or_b32 s25, s25, s34
	s_or_b32 exec_lo, exec_lo, s21
	v_mov_b32_e32 v16, 0
	s_and_saveexec_b32 s21, s25
	s_cbranch_execnz .LBB118_3337
	s_branch .LBB118_3338
.LBB118_3353:
	s_mov_b32 s3, -1
                                        ; implicit-def: $vgpr16
	s_branch .LBB118_3358
.LBB118_3354:
	s_mov_b32 s3, -1
                                        ; implicit-def: $vgpr16
.LBB118_3355:
	s_delay_alu instid0(SALU_CYCLE_1)
	s_and_b32 vcc_lo, exec_lo, s3
	s_cbranch_vccz .LBB118_3357
; %bb.3356:
	global_load_u8 v5, v[14:15], off
	s_wait_loadcnt 0x0
	v_lshlrev_b32_e32 v5, 24, v5
	s_delay_alu instid0(VALU_DEP_1) | instskip(NEXT) | instid1(VALU_DEP_1)
	v_and_b32_e32 v7, 0x7f000000, v5
	v_clz_i32_u32_e32 v9, v7
	v_add_nc_u32_e32 v13, 0x1000000, v7
	v_cmp_ne_u32_e32 vcc_lo, 0, v7
	s_delay_alu instid0(VALU_DEP_3) | instskip(NEXT) | instid1(VALU_DEP_1)
	v_min_u32_e32 v9, 32, v9
	v_sub_nc_u32_e64 v9, v9, 4 clamp
	s_delay_alu instid0(VALU_DEP_1) | instskip(NEXT) | instid1(VALU_DEP_1)
	v_dual_lshlrev_b32 v11, v9, v7 :: v_dual_lshlrev_b32 v9, 23, v9
	v_lshrrev_b32_e32 v11, 4, v11
	s_delay_alu instid0(VALU_DEP_1) | instskip(SKIP_1) | instid1(VALU_DEP_2)
	v_sub_nc_u32_e32 v9, v11, v9
	v_ashrrev_i32_e32 v11, 8, v13
	v_add_nc_u32_e32 v9, 0x3c000000, v9
	s_delay_alu instid0(VALU_DEP_1) | instskip(NEXT) | instid1(VALU_DEP_1)
	v_and_or_b32 v9, 0x7f800000, v11, v9
	v_cndmask_b32_e32 v7, 0, v9, vcc_lo
	s_delay_alu instid0(VALU_DEP_1) | instskip(NEXT) | instid1(VALU_DEP_1)
	v_and_or_b32 v5, 0x80000000, v5, v7
	v_cvt_i32_f32_e32 v16, v5
.LBB118_3357:
	s_mov_b32 s3, 0
.LBB118_3358:
	s_delay_alu instid0(SALU_CYCLE_1)
	s_and_not1_b32 vcc_lo, exec_lo, s3
	s_cbranch_vccnz .LBB118_3360
; %bb.3359:
	global_load_u8 v5, v[14:15], off
	s_wait_loadcnt 0x0
	v_lshlrev_b32_e32 v7, 25, v5
	v_lshlrev_b16 v5, 8, v5
	s_delay_alu instid0(VALU_DEP_1) | instskip(SKIP_1) | instid1(VALU_DEP_2)
	v_and_or_b32 v11, 0x7f00, v5, 0.5
	v_bfe_i32 v5, v5, 0, 16
	v_add_f32_e32 v11, -0.5, v11
	v_lshrrev_b32_e32 v9, 4, v7
	v_cmp_gt_u32_e32 vcc_lo, 0x8000000, v7
	s_delay_alu instid0(VALU_DEP_2) | instskip(NEXT) | instid1(VALU_DEP_1)
	v_or_b32_e32 v9, 0x70000000, v9
	v_mul_f32_e32 v9, 0x7800000, v9
	s_delay_alu instid0(VALU_DEP_1) | instskip(NEXT) | instid1(VALU_DEP_1)
	v_cndmask_b32_e32 v7, v9, v11, vcc_lo
	v_and_or_b32 v5, 0x80000000, v5, v7
	s_delay_alu instid0(VALU_DEP_1)
	v_cvt_i32_f32_e32 v16, v5
.LBB118_3360:
	s_mov_b32 s3, 0
	s_mov_b32 s21, -1
.LBB118_3361:
	s_and_not1_b32 vcc_lo, exec_lo, s3
	s_mov_b32 s3, 0
	s_cbranch_vccnz .LBB118_3372
; %bb.3362:
	s_cmp_gt_i32 s0, 14
	s_cbranch_scc0 .LBB118_3365
; %bb.3363:
	s_cmp_eq_u32 s0, 15
	s_cbranch_scc0 .LBB118_3368
; %bb.3364:
	global_load_u16 v5, v[14:15], off
	s_mov_b32 s1, 0
	s_mov_b32 s21, -1
	s_wait_loadcnt 0x0
	v_lshlrev_b32_e32 v5, 16, v5
	s_delay_alu instid0(VALU_DEP_1)
	v_cvt_i32_f32_e32 v16, v5
	s_branch .LBB118_3370
.LBB118_3365:
	s_mov_b32 s3, -1
	s_branch .LBB118_3369
.LBB118_3366:
	s_and_not1_saveexec_b32 s3, s3
	s_cbranch_execz .LBB118_3347
.LBB118_3367:
	v_cmp_ne_u16_e32 vcc_lo, 0, v5
	s_and_not1_b32 s21, s21, exec_lo
	s_and_b32 s25, vcc_lo, exec_lo
	s_delay_alu instid0(SALU_CYCLE_1)
	s_or_b32 s21, s21, s25
	s_or_b32 exec_lo, exec_lo, s3
	v_mov_b32_e32 v16, 0
	s_and_saveexec_b32 s3, s21
	s_cbranch_execnz .LBB118_3348
	s_branch .LBB118_3349
.LBB118_3368:
	s_mov_b32 s1, -1
.LBB118_3369:
                                        ; implicit-def: $vgpr16
.LBB118_3370:
	s_and_b32 vcc_lo, exec_lo, s3
	s_mov_b32 s3, 0
	s_cbranch_vccz .LBB118_3372
; %bb.3371:
	s_cmp_lg_u32 s0, 11
	s_mov_b32 s3, -1
	s_cselect_b32 s1, -1, 0
.LBB118_3372:
	s_delay_alu instid0(SALU_CYCLE_1)
	s_and_b32 vcc_lo, exec_lo, s1
	s_cbranch_vccnz .LBB118_3499
; %bb.3373:
	s_and_not1_b32 vcc_lo, exec_lo, s3
	s_cbranch_vccnz .LBB118_3375
.LBB118_3374:
	global_load_u8 v5, v[14:15], off
	s_mov_b32 s21, -1
	s_wait_loadcnt 0x0
	v_cmp_ne_u16_e32 vcc_lo, 0, v5
	v_cndmask_b32_e64 v16, 0, 1, vcc_lo
.LBB118_3375:
	s_mov_b32 s0, 0
.LBB118_3376:
	s_delay_alu instid0(SALU_CYCLE_1)
	s_and_b32 vcc_lo, exec_lo, s0
	s_cbranch_vccz .LBB118_3425
; %bb.3377:
	s_and_b32 s0, 0xffff, s59
	s_delay_alu instid0(SALU_CYCLE_1)
	s_cmp_lt_i32 s0, 5
	s_cbranch_scc1 .LBB118_3382
; %bb.3378:
	s_cmp_lt_i32 s0, 8
	s_cbranch_scc1 .LBB118_3383
; %bb.3379:
	;; [unrolled: 3-line block ×3, first 2 shown]
	s_cmp_gt_i32 s0, 9
	s_cbranch_scc0 .LBB118_3385
; %bb.3381:
	s_wait_loadcnt 0x0
	global_load_b64 v[16:17], v[14:15], off
	s_mov_b32 s1, 0
	s_wait_loadcnt 0x0
	v_cvt_i32_f64_e32 v16, v[16:17]
	s_branch .LBB118_3386
.LBB118_3382:
	s_mov_b32 s1, -1
                                        ; implicit-def: $vgpr16
	s_branch .LBB118_3404
.LBB118_3383:
	s_mov_b32 s1, -1
                                        ; implicit-def: $vgpr16
	s_branch .LBB118_3392
.LBB118_3384:
	s_mov_b32 s1, -1
                                        ; implicit-def: $vgpr16
	s_branch .LBB118_3389
.LBB118_3385:
	s_mov_b32 s1, -1
                                        ; implicit-def: $vgpr16
.LBB118_3386:
	s_delay_alu instid0(SALU_CYCLE_1)
	s_and_not1_b32 vcc_lo, exec_lo, s1
	s_cbranch_vccnz .LBB118_3388
; %bb.3387:
	global_load_b32 v5, v[14:15], off
	s_wait_loadcnt 0x0
	v_cvt_i32_f32_e32 v16, v5
.LBB118_3388:
	s_mov_b32 s1, 0
.LBB118_3389:
	s_delay_alu instid0(SALU_CYCLE_1)
	s_and_not1_b32 vcc_lo, exec_lo, s1
	s_cbranch_vccnz .LBB118_3391
; %bb.3390:
	global_load_b32 v5, v[14:15], off
	s_wait_loadcnt 0x0
	v_cvt_f32_f16_e32 v5, v5
	s_delay_alu instid0(VALU_DEP_1)
	v_cvt_i32_f32_e32 v16, v5
.LBB118_3391:
	s_mov_b32 s1, 0
.LBB118_3392:
	s_delay_alu instid0(SALU_CYCLE_1)
	s_and_not1_b32 vcc_lo, exec_lo, s1
	s_cbranch_vccnz .LBB118_3403
; %bb.3393:
	s_cmp_lt_i32 s0, 6
	s_cbranch_scc1 .LBB118_3396
; %bb.3394:
	s_cmp_gt_i32 s0, 6
	s_cbranch_scc0 .LBB118_3397
; %bb.3395:
	s_wait_loadcnt 0x0
	global_load_b64 v[16:17], v[14:15], off
	s_mov_b32 s1, 0
	s_wait_loadcnt 0x0
	v_cvt_i32_f64_e32 v16, v[16:17]
	s_branch .LBB118_3398
.LBB118_3396:
	s_mov_b32 s1, -1
                                        ; implicit-def: $vgpr16
	s_branch .LBB118_3401
.LBB118_3397:
	s_mov_b32 s1, -1
                                        ; implicit-def: $vgpr16
.LBB118_3398:
	s_delay_alu instid0(SALU_CYCLE_1)
	s_and_not1_b32 vcc_lo, exec_lo, s1
	s_cbranch_vccnz .LBB118_3400
; %bb.3399:
	global_load_b32 v5, v[14:15], off
	s_wait_loadcnt 0x0
	v_cvt_i32_f32_e32 v16, v5
.LBB118_3400:
	s_mov_b32 s1, 0
.LBB118_3401:
	s_delay_alu instid0(SALU_CYCLE_1)
	s_and_not1_b32 vcc_lo, exec_lo, s1
	s_cbranch_vccnz .LBB118_3403
; %bb.3402:
	global_load_u16 v5, v[14:15], off
	s_wait_loadcnt 0x0
	v_cvt_f32_f16_e32 v5, v5
	s_delay_alu instid0(VALU_DEP_1)
	v_cvt_i32_f32_e32 v16, v5
.LBB118_3403:
	s_mov_b32 s1, 0
.LBB118_3404:
	s_delay_alu instid0(SALU_CYCLE_1)
	s_and_not1_b32 vcc_lo, exec_lo, s1
	s_cbranch_vccnz .LBB118_3424
; %bb.3405:
	s_cmp_lt_i32 s0, 2
	s_cbranch_scc1 .LBB118_3409
; %bb.3406:
	s_cmp_lt_i32 s0, 3
	s_cbranch_scc1 .LBB118_3410
; %bb.3407:
	s_cmp_gt_i32 s0, 3
	s_cbranch_scc0 .LBB118_3411
; %bb.3408:
	s_wait_loadcnt 0x0
	global_load_b32 v16, v[14:15], off
	s_mov_b32 s1, 0
	s_branch .LBB118_3412
.LBB118_3409:
	s_mov_b32 s1, -1
                                        ; implicit-def: $vgpr16
	s_branch .LBB118_3418
.LBB118_3410:
	s_mov_b32 s1, -1
                                        ; implicit-def: $vgpr16
	s_branch .LBB118_3415
.LBB118_3411:
	s_mov_b32 s1, -1
                                        ; implicit-def: $vgpr16
.LBB118_3412:
	s_delay_alu instid0(SALU_CYCLE_1)
	s_and_not1_b32 vcc_lo, exec_lo, s1
	s_cbranch_vccnz .LBB118_3414
; %bb.3413:
	s_wait_loadcnt 0x0
	global_load_b32 v16, v[14:15], off
.LBB118_3414:
	s_mov_b32 s1, 0
.LBB118_3415:
	s_delay_alu instid0(SALU_CYCLE_1)
	s_and_not1_b32 vcc_lo, exec_lo, s1
	s_cbranch_vccnz .LBB118_3417
; %bb.3416:
	s_wait_loadcnt 0x0
	global_load_i16 v16, v[14:15], off
.LBB118_3417:
	s_mov_b32 s1, 0
.LBB118_3418:
	s_delay_alu instid0(SALU_CYCLE_1)
	s_and_not1_b32 vcc_lo, exec_lo, s1
	s_cbranch_vccnz .LBB118_3424
; %bb.3419:
	s_cmp_gt_i32 s0, 0
	s_mov_b32 s0, 0
	s_cbranch_scc0 .LBB118_3421
; %bb.3420:
	s_wait_loadcnt 0x0
	global_load_i8 v16, v[14:15], off
	s_branch .LBB118_3422
.LBB118_3421:
	s_mov_b32 s0, -1
                                        ; implicit-def: $vgpr16
.LBB118_3422:
	s_delay_alu instid0(SALU_CYCLE_1)
	s_and_not1_b32 vcc_lo, exec_lo, s0
	s_cbranch_vccnz .LBB118_3424
; %bb.3423:
	s_wait_loadcnt 0x0
	global_load_u8 v16, v[14:15], off
.LBB118_3424:
	s_mov_b32 s21, -1
.LBB118_3425:
	s_delay_alu instid0(SALU_CYCLE_1)
	s_and_not1_b32 vcc_lo, exec_lo, s21
	s_cbranch_vccnz .LBB118_3434
; %bb.3426:
	s_get_pc_i64 s[0:1]
	s_add_nc_u64 s[0:1], s[0:1], .str.6@rel64+4
	s_wait_loadcnt 0x0
	v_cmp_ne_u32_e32 vcc_lo, s38, v1
	s_cmp_eq_u64 s[0:1], 0
	s_cselect_b32 s0, -1, 0
	s_delay_alu instid0(SALU_CYCLE_1) | instskip(SKIP_2) | instid1(SALU_CYCLE_1)
	s_or_b32 s0, s0, vcc_lo
	s_wait_xcnt 0x0
	s_and_saveexec_b32 s1, s0
	s_xor_b32 s0, exec_lo, s1
	s_cbranch_execnz .LBB118_3809
.LBB118_3427:
	s_or_saveexec_b32 s3, s0
	s_mov_b32 s1, 0
	s_mov_b32 s25, 0
                                        ; implicit-def: $sgpr0
                                        ; implicit-def: $vgpr14_vgpr15
	s_xor_b32 exec_lo, exec_lo, s3
	s_cbranch_execz .LBB118_4323
; %bb.3428:
	s_get_pc_i64 s[0:1]
	s_add_nc_u64 s[0:1], s[0:1], .str.7@rel64+4
	v_cmp_ne_u32_e32 vcc_lo, s22, v3
	s_cmp_eq_u64 s[0:1], 0
	s_mov_b32 s21, s33
	s_cselect_b32 s0, -1, 0
	s_delay_alu instid0(SALU_CYCLE_1) | instskip(NEXT) | instid1(SALU_CYCLE_1)
	s_or_b32 s0, s0, vcc_lo
	s_and_saveexec_b32 s1, s0
	s_delay_alu instid0(SALU_CYCLE_1)
	s_xor_b32 s0, exec_lo, s1
	s_cbranch_execnz .LBB118_3938
.LBB118_3429:
	s_or_saveexec_b32 s25, s0
	s_mov_b32 s1, 0
	s_mov_b32 s34, 0
                                        ; implicit-def: $sgpr0
                                        ; implicit-def: $vgpr14_vgpr15
	s_xor_b32 exec_lo, exec_lo, s25
	s_cbranch_execz .LBB118_4322
; %bb.3430:
	v_sub_nc_u32_e32 v1, v12, v10
	s_get_pc_i64 s[34:35]
	s_add_nc_u64 s[34:35], s[34:35], .str.8@rel64+4
	s_mov_b32 s39, s21
	s_delay_alu instid0(VALU_DEP_1) | instskip(SKIP_4) | instid1(SALU_CYCLE_1)
	v_cmp_gt_i32_e32 vcc_lo, s38, v1
	v_cmp_lt_i32_e64 s0, s20, v1
	s_or_b32 s0, vcc_lo, s0
	s_cmp_eq_u64 s[34:35], 0
	s_cselect_b32 s1, -1, 0
	s_or_b32 s0, s1, s0
	s_delay_alu instid0(SALU_CYCLE_1) | instskip(NEXT) | instid1(SALU_CYCLE_1)
	s_and_saveexec_b32 s1, s0
	s_xor_b32 s0, exec_lo, s1
	s_cbranch_execnz .LBB118_4067
.LBB118_3431:
	s_or_saveexec_b32 s54, s0
	s_mov_b32 s1, 0
	s_mov_b32 s34, 0
                                        ; implicit-def: $sgpr0
                                        ; implicit-def: $vgpr14_vgpr15
	s_xor_b32 exec_lo, exec_lo, s54
	s_cbranch_execz .LBB118_4321
; %bb.3432:
	v_cmp_gt_i64_e64 s0, s[22:23], 0
	s_add_co_i32 s34, s24, -1
	v_mov_b64_e32 v[14:15], 0
	s_cmp_gt_i32 s34, -1
	s_cselect_b32 s1, -1, 0
	s_delay_alu instid0(SALU_CYCLE_1) | instskip(NEXT) | instid1(SALU_CYCLE_1)
	s_and_b32 s0, s0, s1
	v_cndmask_b32_e64 v23, 0, 1, s0
	s_delay_alu instid0(VALU_DEP_1)
	v_cmp_ne_u32_e32 vcc_lo, 1, v23
	s_cbranch_vccnz .LBB118_3484
; %bb.3433:
	v_ashrrev_i32_e32 v17, 31, v16
	s_mov_b32 s1, 0
	v_mov_b64_e32 v[14:15], 0
	s_mov_b32 s35, s1
	s_mov_b64 s[40:41], 0xffffffff
	v_mul_u64_e32 v[18:19], s[22:23], v[16:17]
	v_mov_b32_e32 v16, 0
	s_lshl_b64 s[44:45], s[34:35], 3
	s_mov_b32 s35, s24
	s_add_nc_u64 s[42:43], s[26:27], s[44:45]
	s_add_nc_u64 s[44:45], s[28:29], s[44:45]
	s_branch .LBB118_3480
.LBB118_3434:
	s_mov_b32 s1, 0
	s_mov_b32 s25, 0
                                        ; implicit-def: $sgpr0
                                        ; implicit-def: $vgpr14_vgpr15
.LBB118_3435:
	s_and_not1_b32 s2, s52, exec_lo
	s_and_b32 s3, s33, exec_lo
	s_and_b32 s35, s25, exec_lo
	;; [unrolled: 1-line block ×3, first 2 shown]
	s_or_b32 s52, s2, s3
.LBB118_3436:
	s_wait_xcnt 0x0
	s_or_b32 exec_lo, exec_lo, s53
	s_and_saveexec_b32 s1, s52
	s_cbranch_execz .LBB118_3439
; %bb.3437:
	; divergent unreachable
	s_or_b32 exec_lo, exec_lo, s1
	s_and_saveexec_b32 s1, s33
	s_delay_alu instid0(SALU_CYCLE_1)
	s_xor_b32 s1, exec_lo, s1
	s_cbranch_execnz .LBB118_3440
.LBB118_3438:
	s_or_b32 exec_lo, exec_lo, s1
	s_and_saveexec_b32 s1, s35
	s_cbranch_execnz .LBB118_3441
	s_branch .LBB118_3478
.LBB118_3439:
	s_or_b32 exec_lo, exec_lo, s1
	s_and_saveexec_b32 s1, s33
	s_delay_alu instid0(SALU_CYCLE_1)
	s_xor_b32 s1, exec_lo, s1
	s_cbranch_execz .LBB118_3438
.LBB118_3440:
	s_wait_loadcnt 0x0
	v_mov_b32_e32 v0, 0
	global_store_b8 v[14:15], v0, off
	s_wait_xcnt 0x0
	s_or_b32 exec_lo, exec_lo, s1
	s_and_saveexec_b32 s1, s35
	s_cbranch_execz .LBB118_3478
.LBB118_3441:
	s_sext_i32_i16 s2, s0
	s_mov_b32 s1, -1
	s_cmp_lt_i32 s2, 5
	s_cbranch_scc1 .LBB118_3462
; %bb.3442:
	s_cmp_lt_i32 s2, 8
	s_cbranch_scc1 .LBB118_3452
; %bb.3443:
	;; [unrolled: 3-line block ×3, first 2 shown]
	s_cmp_gt_i32 s2, 9
	s_cbranch_scc0 .LBB118_3446
; %bb.3445:
	s_wait_loadcnt 0x0
	v_mov_b32_e32 v0, 0
	s_mov_b32 s1, 0
	s_delay_alu instid0(VALU_DEP_1)
	v_dual_mov_b32 v1, v0 :: v_dual_mov_b32 v2, v0
	v_mov_b32_e32 v3, v0
	global_store_b128 v[14:15], v[0:3], off
.LBB118_3446:
	s_and_not1_b32 vcc_lo, exec_lo, s1
	s_cbranch_vccnz .LBB118_3448
; %bb.3447:
	s_wait_loadcnt 0x0
	v_mov_b64_e32 v[0:1], 0
	global_store_b64 v[14:15], v[0:1], off
.LBB118_3448:
	s_mov_b32 s1, 0
.LBB118_3449:
	s_delay_alu instid0(SALU_CYCLE_1)
	s_and_not1_b32 vcc_lo, exec_lo, s1
	s_cbranch_vccnz .LBB118_3451
; %bb.3450:
	s_wait_loadcnt 0x0
	v_mov_b32_e32 v0, 0
	global_store_b32 v[14:15], v0, off
.LBB118_3451:
	s_mov_b32 s1, 0
.LBB118_3452:
	s_delay_alu instid0(SALU_CYCLE_1)
	s_and_not1_b32 vcc_lo, exec_lo, s1
	s_cbranch_vccnz .LBB118_3461
; %bb.3453:
	s_sext_i32_i16 s2, s0
	s_mov_b32 s1, -1
	s_cmp_lt_i32 s2, 6
	s_cbranch_scc1 .LBB118_3459
; %bb.3454:
	s_cmp_gt_i32 s2, 6
	s_cbranch_scc0 .LBB118_3456
; %bb.3455:
	s_wait_loadcnt 0x0
	v_mov_b64_e32 v[0:1], 0
	s_mov_b32 s1, 0
	global_store_b64 v[14:15], v[0:1], off
.LBB118_3456:
	s_and_not1_b32 vcc_lo, exec_lo, s1
	s_cbranch_vccnz .LBB118_3458
; %bb.3457:
	s_wait_loadcnt 0x0
	v_mov_b32_e32 v0, 0
	global_store_b32 v[14:15], v0, off
.LBB118_3458:
	s_mov_b32 s1, 0
.LBB118_3459:
	s_delay_alu instid0(SALU_CYCLE_1)
	s_and_not1_b32 vcc_lo, exec_lo, s1
	s_cbranch_vccnz .LBB118_3461
; %bb.3460:
	s_wait_loadcnt 0x0
	v_mov_b32_e32 v0, 0
	global_store_b16 v[14:15], v0, off
.LBB118_3461:
	s_mov_b32 s1, 0
.LBB118_3462:
	s_delay_alu instid0(SALU_CYCLE_1)
	s_and_not1_b32 vcc_lo, exec_lo, s1
	s_cbranch_vccnz .LBB118_3478
; %bb.3463:
	s_sext_i32_i16 s2, s0
	s_mov_b32 s1, -1
	s_cmp_lt_i32 s2, 2
	s_cbranch_scc1 .LBB118_3473
; %bb.3464:
	s_cmp_lt_i32 s2, 3
	s_cbranch_scc1 .LBB118_3470
; %bb.3465:
	s_cmp_gt_i32 s2, 3
	s_cbranch_scc0 .LBB118_3467
; %bb.3466:
	s_wait_loadcnt 0x0
	v_mov_b64_e32 v[0:1], 0
	s_mov_b32 s1, 0
	global_store_b64 v[14:15], v[0:1], off
.LBB118_3467:
	s_and_not1_b32 vcc_lo, exec_lo, s1
	s_cbranch_vccnz .LBB118_3469
; %bb.3468:
	s_wait_loadcnt 0x0
	v_mov_b32_e32 v0, 0
	global_store_b32 v[14:15], v0, off
.LBB118_3469:
	s_mov_b32 s1, 0
.LBB118_3470:
	s_delay_alu instid0(SALU_CYCLE_1)
	s_and_not1_b32 vcc_lo, exec_lo, s1
	s_cbranch_vccnz .LBB118_3472
; %bb.3471:
	s_wait_loadcnt 0x0
	v_mov_b32_e32 v0, 0
	global_store_b16 v[14:15], v0, off
.LBB118_3472:
	s_mov_b32 s1, 0
.LBB118_3473:
	s_delay_alu instid0(SALU_CYCLE_1)
	s_and_not1_b32 vcc_lo, exec_lo, s1
	s_cbranch_vccnz .LBB118_3478
; %bb.3474:
	s_sext_i32_i16 s0, s0
	s_delay_alu instid0(SALU_CYCLE_1)
	s_cmp_gt_i32 s0, 0
	s_mov_b32 s0, -1
	s_cbranch_scc0 .LBB118_3476
; %bb.3475:
	s_wait_loadcnt 0x0
	v_mov_b32_e32 v0, 0
	s_mov_b32 s0, 0
	global_store_b8 v[14:15], v0, off
.LBB118_3476:
	s_and_not1_b32 vcc_lo, exec_lo, s0
	s_cbranch_vccnz .LBB118_3478
; %bb.3477:
	s_wait_loadcnt 0x0
	v_mov_b32_e32 v0, 0
	global_store_b8 v[14:15], v0, off
	s_endpgm
.LBB118_3478:
	s_endpgm
.LBB118_3479:                           ;   in Loop: Header=BB118_3480 Depth=1
	s_or_b32 exec_lo, exec_lo, s0
	global_load_b64 v[24:25], v16, s[44:45]
	v_mul_u64_e32 v[26:27], s[46:47], v[20:21]
	s_add_co_i32 s35, s35, -1
	s_add_nc_u64 s[42:43], s[42:43], -8
	s_cmp_eq_u32 s35, 0
	s_wait_xcnt 0x0
	s_add_nc_u64 s[44:45], s[44:45], -8
	s_delay_alu instid0(VALU_DEP_1) | instskip(SKIP_1) | instid1(VALU_DEP_1)
	v_sub_nc_u64_e32 v[18:19], v[18:19], v[26:27]
	s_wait_loadcnt 0x0
	v_mad_nc_u64_u32 v[14:15], v18, v24, v[14:15]
	s_delay_alu instid0(VALU_DEP_1) | instskip(NEXT) | instid1(VALU_DEP_1)
	v_mad_u32 v1, v19, v24, v15
	v_mad_u32 v15, v18, v25, v1
	v_mov_b64_e32 v[18:19], v[20:21]
	s_cbranch_scc1 .LBB118_3484
.LBB118_3480:                           ; =>This Inner Loop Header: Depth=1
	global_load_b64 v[20:21], v16, s[42:43]
	s_mov_b32 s0, exec_lo
	s_wait_loadcnt 0x0
	v_or_b32_e32 v17, v19, v21
	v_readfirstlane_b32 s46, v20
	v_readfirstlane_b32 s47, v21
                                        ; implicit-def: $vgpr20_vgpr21
	s_wait_xcnt 0x0
	s_delay_alu instid0(VALU_DEP_3)
	v_cmpx_ne_u64_e32 0, v[16:17]
	s_xor_b32 s60, exec_lo, s0
	s_cbranch_execz .LBB118_3482
; %bb.3481:                             ;   in Loop: Header=BB118_3480 Depth=1
	s_ashr_i32 s48, s47, 31
	v_dual_mov_b32 v27, v16 :: v_dual_ashrrev_i32 v20, 31, v19
	s_mov_b32 s49, s48
	v_mov_b32_e32 v31, v16
	s_add_nc_u64 s[50:51], s[46:47], s[48:49]
	s_delay_alu instid0(VALU_DEP_2)
	v_mov_b32_e32 v21, v20
	s_xor_b64 s[50:51], s[50:51], s[48:49]
	v_mov_b32_e32 v35, v16
	s_cvt_f32_u32 s0, s50
	s_cvt_f32_u32 s49, s51
	s_sub_nc_u64 s[64:65], 0, s[50:51]
	v_add_nc_u64_e32 v[24:25], v[18:19], v[20:21]
	s_delay_alu instid0(SALU_CYCLE_1) | instskip(NEXT) | instid1(SALU_CYCLE_3)
	s_fmamk_f32 s0, s49, 0x4f800000, s0
	v_s_rcp_f32 s0, s0
	s_delay_alu instid0(VALU_DEP_1) | instskip(NEXT) | instid1(VALU_DEP_2)
	v_xor_b32_e32 v30, v25, v20
	v_xor_b32_e32 v26, v24, v20
	s_delay_alu instid0(TRANS32_DEP_1) | instskip(NEXT) | instid1(SALU_CYCLE_3)
	s_mul_f32 s0, s0, 0x5f7ffffc
	s_mul_f32 s49, s0, 0x2f800000
	s_delay_alu instid0(SALU_CYCLE_3) | instskip(NEXT) | instid1(SALU_CYCLE_3)
	s_trunc_f32 s49, s49
	s_fmamk_f32 s0, s49, 0xcf800000, s0
	s_cvt_u32_f32 s63, s49
	s_delay_alu instid0(SALU_CYCLE_2) | instskip(NEXT) | instid1(SALU_CYCLE_3)
	s_cvt_u32_f32 s62, s0
	s_mul_u64 s[66:67], s[64:65], s[62:63]
	s_delay_alu instid0(SALU_CYCLE_1)
	s_mul_hi_u32 s69, s62, s67
	s_mul_i32 s68, s62, s67
	s_mul_hi_u32 s0, s62, s66
	s_mul_i32 s61, s63, s66
	s_add_nc_u64 s[68:69], s[0:1], s[68:69]
	s_mul_hi_u32 s49, s63, s66
	s_mul_hi_u32 s70, s63, s67
	s_add_co_u32 s0, s68, s61
	s_add_co_ci_u32 s0, s69, s49
	s_mul_i32 s66, s63, s67
	s_add_co_ci_u32 s67, s70, 0
	s_delay_alu instid0(SALU_CYCLE_1) | instskip(NEXT) | instid1(SALU_CYCLE_1)
	s_add_nc_u64 s[66:67], s[0:1], s[66:67]
	s_add_co_u32 s62, s62, s66
	s_cselect_b32 s0, -1, 0
	s_delay_alu instid0(SALU_CYCLE_1) | instskip(SKIP_1) | instid1(SALU_CYCLE_1)
	s_cmp_lg_u32 s0, 0
	s_add_co_ci_u32 s63, s63, s67
	s_mul_u64 s[64:65], s[64:65], s[62:63]
	s_delay_alu instid0(SALU_CYCLE_1)
	s_mul_hi_u32 s67, s62, s65
	s_mul_i32 s66, s62, s65
	s_mul_hi_u32 s0, s62, s64
	s_mul_i32 s61, s63, s64
	s_add_nc_u64 s[66:67], s[0:1], s[66:67]
	s_mul_hi_u32 s49, s63, s64
	s_mul_hi_u32 s68, s63, s65
	s_add_co_u32 s0, s66, s61
	s_add_co_ci_u32 s0, s67, s49
	s_mul_i32 s64, s63, s65
	s_add_co_ci_u32 s65, s68, 0
	s_delay_alu instid0(SALU_CYCLE_1) | instskip(NEXT) | instid1(SALU_CYCLE_1)
	s_add_nc_u64 s[64:65], s[0:1], s[64:65]
	s_add_co_u32 s62, s62, s64
	s_cselect_b32 s0, -1, 0
	v_mul_hi_u32 v34, v26, s62
	s_cmp_lg_u32 s0, 0
	s_add_co_ci_u32 s0, s63, s65
	s_and_b64 s[64:65], s[62:63], s[40:41]
	v_mul_u64_e32 v[28:29], s[0:1], v[26:27]
	v_mul_u64_e32 v[24:25], s[64:65], v[30:31]
	;; [unrolled: 1-line block ×3, first 2 shown]
	s_delay_alu instid0(VALU_DEP_3) | instskip(NEXT) | instid1(VALU_DEP_1)
	v_add_nc_u64_e32 v[28:29], v[34:35], v[28:29]
	v_add_co_u32 v1, vcc_lo, v28, v24
	s_delay_alu instid0(VALU_DEP_2) | instskip(NEXT) | instid1(VALU_DEP_4)
	v_add_co_ci_u32_e32 v34, vcc_lo, v29, v25, vcc_lo
	v_add_co_ci_u32_e32 v33, vcc_lo, 0, v33, vcc_lo
	s_delay_alu instid0(VALU_DEP_1) | instskip(NEXT) | instid1(VALU_DEP_1)
	v_add_nc_u64_e32 v[24:25], v[34:35], v[32:33]
	v_mul_u64_e32 v[28:29], s[50:51], v[24:25]
	s_delay_alu instid0(VALU_DEP_1) | instskip(NEXT) | instid1(VALU_DEP_2)
	v_sub_nc_u32_e32 v1, v30, v29
	v_sub_co_u32 v3, vcc_lo, v26, v28
	s_delay_alu instid0(VALU_DEP_1) | instskip(NEXT) | instid1(VALU_DEP_3)
	v_sub_co_ci_u32_e64 v7, null, v30, v29, vcc_lo
	v_subrev_co_ci_u32_e64 v1, null, s51, v1, vcc_lo
	s_delay_alu instid0(VALU_DEP_3) | instskip(SKIP_1) | instid1(VALU_DEP_3)
	v_sub_co_u32 v5, s0, v3, s50
	v_add_nc_u64_e32 v[26:27], 2, v[24:25]
	v_subrev_co_ci_u32_e64 v1, null, 0, v1, s0
	s_delay_alu instid0(VALU_DEP_3) | instskip(SKIP_2) | instid1(VALU_DEP_4)
	v_cmp_le_u32_e32 vcc_lo, s50, v5
	v_add_nc_u64_e32 v[28:29], 1, v[24:25]
	v_cndmask_b32_e64 v5, 0, -1, vcc_lo
	v_cmp_le_u32_e32 vcc_lo, s51, v1
	v_cndmask_b32_e64 v9, 0, -1, vcc_lo
	v_cmp_le_u32_e32 vcc_lo, s50, v3
	;; [unrolled: 2-line block ×3, first 2 shown]
	v_cndmask_b32_e64 v11, 0, -1, vcc_lo
	v_cmp_eq_u32_e32 vcc_lo, s51, v1
	v_cndmask_b32_e32 v1, v9, v5, vcc_lo
	v_cmp_eq_u32_e32 vcc_lo, s51, v7
	s_delay_alu instid0(VALU_DEP_4) | instskip(NEXT) | instid1(VALU_DEP_3)
	v_cndmask_b32_e32 v3, v11, v3, vcc_lo
	v_cmp_ne_u32_e32 vcc_lo, 0, v1
	s_delay_alu instid0(VALU_DEP_2) | instskip(SKIP_1) | instid1(VALU_DEP_1)
	v_cmp_ne_u32_e64 s0, 0, v3
	v_dual_cndmask_b32 v1, v29, v27, vcc_lo :: v_dual_cndmask_b32 v3, v28, v26, vcc_lo
	v_dual_cndmask_b32 v1, v25, v1, s0 :: v_dual_bitop2_b32 v20, s48, v20 bitop3:0x14
	s_delay_alu instid0(VALU_DEP_1) | instskip(NEXT) | instid1(VALU_DEP_1)
	v_dual_cndmask_b32 v3, v24, v3, s0 :: v_dual_bitop2_b32 v25, v1, v20 bitop3:0x14
	v_dual_mov_b32 v21, v20 :: v_dual_bitop2_b32 v24, v3, v20 bitop3:0x14
	s_delay_alu instid0(VALU_DEP_1)
	v_sub_nc_u64_e32 v[20:21], v[24:25], v[20:21]
.LBB118_3482:                           ;   in Loop: Header=BB118_3480 Depth=1
	s_and_not1_saveexec_b32 s0, s60
	s_cbranch_execz .LBB118_3479
; %bb.3483:                             ;   in Loop: Header=BB118_3480 Depth=1
	v_cvt_f32_u32_e32 v1, s46
	s_sub_co_i32 s48, 0, s46
	v_mov_b32_e32 v21, v16
	s_delay_alu instid0(VALU_DEP_2) | instskip(SKIP_1) | instid1(TRANS32_DEP_1)
	v_rcp_iflag_f32_e32 v1, v1
	v_nop
	v_mul_f32_e32 v1, 0x4f7ffffe, v1
	s_delay_alu instid0(VALU_DEP_1) | instskip(NEXT) | instid1(VALU_DEP_1)
	v_cvt_u32_f32_e32 v1, v1
	v_mul_lo_u32 v3, s48, v1
	s_delay_alu instid0(VALU_DEP_1) | instskip(NEXT) | instid1(VALU_DEP_1)
	v_mul_hi_u32 v3, v1, v3
	v_add_nc_u32_e32 v1, v1, v3
	s_delay_alu instid0(VALU_DEP_1) | instskip(NEXT) | instid1(VALU_DEP_1)
	v_mul_hi_u32 v1, v18, v1
	v_mul_lo_u32 v3, v1, s46
	s_delay_alu instid0(VALU_DEP_1) | instskip(NEXT) | instid1(VALU_DEP_1)
	v_sub_nc_u32_e32 v3, v18, v3
	v_subrev_nc_u32_e32 v7, s46, v3
	v_cmp_le_u32_e32 vcc_lo, s46, v3
	s_delay_alu instid0(VALU_DEP_2) | instskip(NEXT) | instid1(VALU_DEP_1)
	v_dual_add_nc_u32 v5, 1, v1 :: v_dual_cndmask_b32 v3, v3, v7, vcc_lo
	v_cndmask_b32_e32 v1, v1, v5, vcc_lo
	s_delay_alu instid0(VALU_DEP_2) | instskip(NEXT) | instid1(VALU_DEP_2)
	v_cmp_le_u32_e32 vcc_lo, s46, v3
	v_add_nc_u32_e32 v5, 1, v1
	s_delay_alu instid0(VALU_DEP_1)
	v_cndmask_b32_e32 v20, v1, v5, vcc_lo
	s_branch .LBB118_3479
.LBB118_3484:
	s_get_pc_i64 s[0:1]
	s_add_nc_u64 s[0:1], s[0:1], .str.9@rel64+4
	s_mov_b32 s40, -1
	s_cmp_lg_u64 s[0:1], 0
	s_mov_b32 s48, s39
	s_cselect_b32 s50, -1, 0
	s_mov_b32 s0, exec_lo
	v_cmpx_gt_i32_e64 v12, v10
	s_cbranch_execz .LBB118_3491
; %bb.3485:
	v_lshlrev_b64_e32 v[14:15], 2, v[14:15]
	v_dual_ashrrev_i32 v11, 31, v10 :: v_dual_ashrrev_i32 v13, 31, v12
	s_mov_b32 s35, 0
	s_xor_b32 s40, s50, -1
                                        ; implicit-def: $sgpr1
                                        ; implicit-def: $sgpr42
                                        ; implicit-def: $sgpr41
	s_delay_alu instid0(VALU_DEP_1) | instskip(SKIP_1) | instid1(VALU_DEP_2)
	v_lshl_add_u64 v[10:11], v[10:11], 2, v[14:15]
	v_add_nc_u64_e32 v[14:15], s[30:31], v[14:15]
	v_add_nc_u64_e32 v[10:11], s[30:31], v[10:11]
	s_delay_alu instid0(VALU_DEP_2) | instskip(NEXT) | instid1(VALU_DEP_2)
	v_lshl_add_u64 v[12:13], v[12:13], 2, v[14:15]
	v_add_nc_u64_e32 v[10:11], 4, v[10:11]
	s_branch .LBB118_3487
.LBB118_3486:                           ;   in Loop: Header=BB118_3487 Depth=1
	s_or_b32 exec_lo, exec_lo, s43
	s_xor_b32 s43, s41, -1
	s_and_b32 s44, exec_lo, s42
	s_delay_alu instid0(SALU_CYCLE_1) | instskip(SKIP_2) | instid1(SALU_CYCLE_1)
	s_or_b32 s35, s44, s35
	s_and_not1_b32 s1, s1, exec_lo
	s_and_b32 s43, s43, exec_lo
	s_or_b32 s1, s1, s43
	s_and_not1_b32 exec_lo, exec_lo, s35
	s_cbranch_execz .LBB118_3489
.LBB118_3487:                           ; =>This Inner Loop Header: Depth=1
	s_or_b32 s41, s41, exec_lo
	s_or_b32 s42, s42, exec_lo
	s_mov_b32 s43, exec_lo
	s_delay_alu instid0(VALU_DEP_1)
	v_cmpx_lt_u64_e64 v[10:11], v[12:13]
	s_cbranch_execz .LBB118_3486
; %bb.3488:                             ;   in Loop: Header=BB118_3487 Depth=1
	global_load_b64 v[14:15], v[10:11], off offset:-4
	s_wait_xcnt 0x0
	v_add_nc_u64_e32 v[10:11], 4, v[10:11]
	s_and_not1_b32 s42, s42, exec_lo
	s_and_not1_b32 s41, s41, exec_lo
	s_wait_loadcnt 0x0
	v_cmp_ge_i32_e32 vcc_lo, v14, v15
	s_or_b32 s44, s40, vcc_lo
	s_delay_alu instid0(SALU_CYCLE_1) | instskip(NEXT) | instid1(SALU_CYCLE_1)
	s_and_b32 s44, s44, exec_lo
	s_or_b32 s42, s42, s44
	s_branch .LBB118_3486
.LBB118_3489:
	s_or_b32 exec_lo, exec_lo, s35
	s_mov_b32 s35, -1
	s_mov_b32 s40, s39
	s_and_saveexec_b32 s41, s1
	s_delay_alu instid0(SALU_CYCLE_1)
	s_xor_b32 s1, exec_lo, s41
	s_cbranch_execnz .LBB118_3594
.LBB118_3490:
	s_or_b32 exec_lo, exec_lo, s1
	s_delay_alu instid0(SALU_CYCLE_1) | instskip(SKIP_1) | instid1(SALU_CYCLE_1)
	s_and_not1_b32 s1, s39, exec_lo
	s_and_b32 s40, s40, exec_lo
	s_or_b32 s48, s1, s40
	s_or_not1_b32 s40, s35, exec_lo
.LBB118_3491:
	s_or_b32 exec_lo, exec_lo, s0
	s_mov_b32 s1, 0
	s_mov_b32 s35, 0
                                        ; implicit-def: $sgpr0
                                        ; implicit-def: $vgpr14_vgpr15
	s_and_saveexec_b32 s49, s40
	s_cbranch_execz .LBB118_4320
; %bb.3492:
	s_lshl_b32 s67, s17, 7
	s_cmp_lt_i32 s55, 11
	v_add_nc_u32_e32 v0, s67, v0
	s_delay_alu instid0(VALU_DEP_1) | instskip(NEXT) | instid1(VALU_DEP_1)
	v_ashrrev_i32_e32 v1, 31, v0
	v_add_nc_u64_e32 v[10:11], s[6:7], v[0:1]
	s_cbranch_scc1 .LBB118_3500
; %bb.3493:
	s_and_b32 s0, 0xffff, s55
	s_delay_alu instid0(SALU_CYCLE_1)
	s_cmp_gt_i32 s0, 25
	s_cbranch_scc0 .LBB118_3502
; %bb.3494:
	s_cmp_gt_i32 s0, 28
	s_cbranch_scc0 .LBB118_3504
; %bb.3495:
	;; [unrolled: 3-line block ×4, first 2 shown]
	s_cmp_eq_u32 s0, 46
	s_mov_b32 s17, 0
	s_cbranch_scc0 .LBB118_3682
; %bb.3498:
	global_load_b32 v1, v[10:11], off
	s_mov_b32 s40, -1
	s_wait_loadcnt 0x0
	v_lshlrev_b32_e32 v1, 16, v1
	s_delay_alu instid0(VALU_DEP_1)
	v_cvt_i32_f32_e32 v1, v1
	s_branch .LBB118_3684
.LBB118_3499:
	s_or_b32 s33, s33, exec_lo
	s_trap 2
	s_cbranch_execz .LBB118_3374
	s_branch .LBB118_3375
.LBB118_3500:
	s_mov_b32 s0, -1
	s_mov_b32 s40, 0
	s_mov_b32 s17, s48
                                        ; implicit-def: $vgpr1
	s_branch .LBB118_3746
.LBB118_3501:
	s_mov_b32 s43, -1
	s_mov_b32 s44, 0
	s_mov_b32 s41, s78
	s_branch .LBB118_3636
.LBB118_3502:
	s_mov_b32 s17, -1
	s_mov_b32 s40, 0
                                        ; implicit-def: $vgpr1
	s_branch .LBB118_3711
.LBB118_3503:
	s_mov_b32 s45, -1
	s_mov_b32 s44, 0
	s_mov_b32 s41, s78
	s_branch .LBB118_3616
.LBB118_3504:
	s_mov_b32 s17, -1
	s_mov_b32 s40, 0
                                        ; implicit-def: $vgpr1
	s_branch .LBB118_3694
.LBB118_3505:
	s_mov_b32 s45, -1
	s_mov_b32 s44, 0
	s_mov_b32 s41, s78
	s_branch .LBB118_3605
.LBB118_3506:
	s_mov_b32 s17, -1
	s_mov_b32 s40, 0
                                        ; implicit-def: $vgpr1
	s_branch .LBB118_3689
.LBB118_3507:
	s_mov_b32 s45, -1
	s_mov_b32 s44, 0
	s_mov_b32 s41, s59
.LBB118_3508:
	s_and_b32 vcc_lo, exec_lo, s45
	s_cbranch_vccz .LBB118_3511
; %bb.3509:
	s_cmp_eq_u32 s43, 44
	s_mov_b32 s41, -1
	s_cbranch_scc0 .LBB118_3511
; %bb.3510:
	s_wait_xcnt 0x0
	v_mov_b32_e32 v2, 0
	s_mov_b32 s44, -1
	s_mov_b32 s41, 0
	global_store_b8 v[0:1], v2, off
.LBB118_3511:
	s_mov_b32 s45, 0
.LBB118_3512:
	s_delay_alu instid0(SALU_CYCLE_1)
	s_and_b32 vcc_lo, exec_lo, s45
	s_cbranch_vccz .LBB118_3515
; %bb.3513:
	s_cmp_eq_u32 s43, 29
	s_mov_b32 s41, -1
	s_cbranch_scc0 .LBB118_3515
; %bb.3514:
	s_wait_xcnt 0x0
	v_mov_b64_e32 v[2:3], 0
	s_mov_b32 s44, -1
	s_mov_b32 s41, 0
	s_mov_b32 s45, 0
	global_store_b64 v[0:1], v[2:3], off
	s_branch .LBB118_3516
.LBB118_3515:
	s_mov_b32 s45, 0
.LBB118_3516:
	s_delay_alu instid0(SALU_CYCLE_1)
	s_and_b32 vcc_lo, exec_lo, s45
	s_cbranch_vccz .LBB118_3526
; %bb.3517:
	s_cmp_lt_i32 s43, 27
	s_mov_b32 s44, -1
	s_cbranch_scc1 .LBB118_3523
; %bb.3518:
	s_cmp_gt_i32 s43, 27
	s_cbranch_scc0 .LBB118_3520
; %bb.3519:
	s_wait_xcnt 0x0
	v_mov_b32_e32 v2, 0
	s_mov_b32 s44, 0
	global_store_b32 v[0:1], v2, off
.LBB118_3520:
	s_and_not1_b32 vcc_lo, exec_lo, s44
	s_cbranch_vccnz .LBB118_3522
; %bb.3521:
	s_wait_xcnt 0x0
	v_mov_b32_e32 v2, 0
	global_store_b16 v[0:1], v2, off
.LBB118_3522:
	s_mov_b32 s44, 0
.LBB118_3523:
	s_delay_alu instid0(SALU_CYCLE_1)
	s_and_not1_b32 vcc_lo, exec_lo, s44
	s_cbranch_vccnz .LBB118_3525
; %bb.3524:
	s_wait_xcnt 0x0
	v_mov_b32_e32 v2, 0
	global_store_b8 v[0:1], v2, off
.LBB118_3525:
	s_mov_b32 s44, -1
.LBB118_3526:
	s_mov_b32 s45, 0
.LBB118_3527:
	s_delay_alu instid0(SALU_CYCLE_1)
	s_and_b32 vcc_lo, exec_lo, s45
	s_cbranch_vccz .LBB118_3546
; %bb.3528:
	s_cmp_gt_i32 s43, 22
	s_mov_b32 s45, -1
	s_cbranch_scc0 .LBB118_3538
; %bb.3529:
	s_cmp_lt_i32 s43, 24
	s_mov_b32 s44, -1
	s_cbranch_scc1 .LBB118_3535
; %bb.3530:
	s_cmp_gt_i32 s43, 24
	s_cbranch_scc0 .LBB118_3532
; %bb.3531:
	s_wait_xcnt 0x0
	v_mov_b32_e32 v2, 0
	s_mov_b32 s44, 0
	global_store_b8 v[0:1], v2, off
.LBB118_3532:
	s_and_not1_b32 vcc_lo, exec_lo, s44
	s_cbranch_vccnz .LBB118_3534
; %bb.3533:
	s_wait_xcnt 0x0
	v_mov_b32_e32 v2, 0
	global_store_b8 v[0:1], v2, off
.LBB118_3534:
	s_mov_b32 s44, 0
.LBB118_3535:
	s_delay_alu instid0(SALU_CYCLE_1)
	s_and_not1_b32 vcc_lo, exec_lo, s44
	s_cbranch_vccnz .LBB118_3537
; %bb.3536:
	s_wait_xcnt 0x0
	v_mov_b32_e32 v2, 0
	global_store_b8 v[0:1], v2, off
.LBB118_3537:
	s_mov_b32 s45, 0
	s_mov_b32 s44, -1
.LBB118_3538:
	s_and_not1_b32 vcc_lo, exec_lo, s45
	s_cbranch_vccnz .LBB118_3546
; %bb.3539:
	s_cmp_gt_i32 s43, 14
	s_mov_b32 s45, -1
	s_cbranch_scc0 .LBB118_3543
; %bb.3540:
	s_cmp_eq_u32 s43, 15
	s_mov_b32 s41, -1
	s_cbranch_scc0 .LBB118_3542
; %bb.3541:
	s_wait_xcnt 0x0
	v_mov_b32_e32 v2, 0
	s_mov_b32 s44, -1
	s_mov_b32 s41, 0
	global_store_b16 v[0:1], v2, off
.LBB118_3542:
	s_mov_b32 s45, 0
.LBB118_3543:
	s_delay_alu instid0(SALU_CYCLE_1)
	s_and_b32 vcc_lo, exec_lo, s45
	s_cbranch_vccz .LBB118_3546
; %bb.3544:
	s_cmp_eq_u32 s43, 11
	s_mov_b32 s41, -1
	s_cbranch_scc0 .LBB118_3546
; %bb.3545:
	s_wait_xcnt 0x0
	v_mov_b32_e32 v2, 0
	s_mov_b32 s44, -1
	s_mov_b32 s41, 0
	global_store_b8 v[0:1], v2, off
.LBB118_3546:
	s_mov_b32 s43, 0
.LBB118_3547:
	s_delay_alu instid0(SALU_CYCLE_1)
	s_and_b32 vcc_lo, exec_lo, s43
	s_cbranch_vccz .LBB118_3586
; %bb.3548:
	s_and_b32 s42, 0xffff, s42
	s_mov_b32 s43, -1
	s_cmp_lt_i32 s42, 5
	s_cbranch_scc1 .LBB118_3569
; %bb.3549:
	s_cmp_lt_i32 s42, 8
	s_cbranch_scc1 .LBB118_3559
; %bb.3550:
	;; [unrolled: 3-line block ×3, first 2 shown]
	s_cmp_gt_i32 s42, 9
	s_cbranch_scc0 .LBB118_3553
; %bb.3552:
	s_wait_xcnt 0x0
	v_mov_b32_e32 v2, 0
	s_mov_b32 s43, 0
	s_delay_alu instid0(VALU_DEP_1)
	v_dual_mov_b32 v3, v2 :: v_dual_mov_b32 v4, v2
	v_mov_b32_e32 v5, v2
	global_store_b128 v[0:1], v[2:5], off
.LBB118_3553:
	s_and_not1_b32 vcc_lo, exec_lo, s43
	s_cbranch_vccnz .LBB118_3555
; %bb.3554:
	s_wait_xcnt 0x0
	v_mov_b64_e32 v[2:3], 0
	global_store_b64 v[0:1], v[2:3], off
.LBB118_3555:
	s_mov_b32 s43, 0
.LBB118_3556:
	s_delay_alu instid0(SALU_CYCLE_1)
	s_and_not1_b32 vcc_lo, exec_lo, s43
	s_cbranch_vccnz .LBB118_3558
; %bb.3557:
	s_wait_xcnt 0x0
	v_mov_b32_e32 v2, 0
	global_store_b32 v[0:1], v2, off
.LBB118_3558:
	s_mov_b32 s43, 0
.LBB118_3559:
	s_delay_alu instid0(SALU_CYCLE_1)
	s_and_not1_b32 vcc_lo, exec_lo, s43
	s_cbranch_vccnz .LBB118_3568
; %bb.3560:
	s_cmp_lt_i32 s42, 6
	s_mov_b32 s43, -1
	s_cbranch_scc1 .LBB118_3566
; %bb.3561:
	s_cmp_gt_i32 s42, 6
	s_cbranch_scc0 .LBB118_3563
; %bb.3562:
	s_wait_xcnt 0x0
	v_mov_b64_e32 v[2:3], 0
	s_mov_b32 s43, 0
	global_store_b64 v[0:1], v[2:3], off
.LBB118_3563:
	s_and_not1_b32 vcc_lo, exec_lo, s43
	s_cbranch_vccnz .LBB118_3565
; %bb.3564:
	s_wait_xcnt 0x0
	v_mov_b32_e32 v2, 0
	global_store_b32 v[0:1], v2, off
.LBB118_3565:
	s_mov_b32 s43, 0
.LBB118_3566:
	s_delay_alu instid0(SALU_CYCLE_1)
	s_and_not1_b32 vcc_lo, exec_lo, s43
	s_cbranch_vccnz .LBB118_3568
; %bb.3567:
	s_wait_xcnt 0x0
	v_mov_b32_e32 v2, 0
	global_store_b16 v[0:1], v2, off
.LBB118_3568:
	s_mov_b32 s43, 0
.LBB118_3569:
	s_delay_alu instid0(SALU_CYCLE_1)
	s_and_not1_b32 vcc_lo, exec_lo, s43
	s_cbranch_vccnz .LBB118_3585
; %bb.3570:
	s_cmp_lt_i32 s42, 2
	s_mov_b32 s43, -1
	s_cbranch_scc1 .LBB118_3580
; %bb.3571:
	s_cmp_lt_i32 s42, 3
	s_cbranch_scc1 .LBB118_3577
; %bb.3572:
	s_cmp_gt_i32 s42, 3
	s_cbranch_scc0 .LBB118_3574
; %bb.3573:
	s_wait_xcnt 0x0
	v_mov_b64_e32 v[2:3], 0
	s_mov_b32 s43, 0
	global_store_b64 v[0:1], v[2:3], off
.LBB118_3574:
	s_and_not1_b32 vcc_lo, exec_lo, s43
	s_cbranch_vccnz .LBB118_3576
; %bb.3575:
	s_wait_xcnt 0x0
	v_mov_b32_e32 v2, 0
	global_store_b32 v[0:1], v2, off
.LBB118_3576:
	s_mov_b32 s43, 0
.LBB118_3577:
	s_delay_alu instid0(SALU_CYCLE_1)
	s_and_not1_b32 vcc_lo, exec_lo, s43
	s_cbranch_vccnz .LBB118_3579
; %bb.3578:
	s_wait_xcnt 0x0
	v_mov_b32_e32 v2, 0
	global_store_b16 v[0:1], v2, off
.LBB118_3579:
	s_mov_b32 s43, 0
.LBB118_3580:
	s_delay_alu instid0(SALU_CYCLE_1)
	s_and_not1_b32 vcc_lo, exec_lo, s43
	s_cbranch_vccnz .LBB118_3585
; %bb.3581:
	s_cmp_gt_i32 s42, 0
	s_mov_b32 s42, -1
	s_cbranch_scc0 .LBB118_3583
; %bb.3582:
	s_wait_xcnt 0x0
	v_mov_b32_e32 v2, 0
	s_mov_b32 s42, 0
	global_store_b8 v[0:1], v2, off
.LBB118_3583:
	s_and_not1_b32 vcc_lo, exec_lo, s42
	s_cbranch_vccnz .LBB118_3585
; %bb.3584:
	s_wait_xcnt 0x0
	v_mov_b32_e32 v2, 0
	global_store_b8 v[0:1], v2, off
.LBB118_3585:
	s_mov_b32 s44, -1
.LBB118_3586:
	s_delay_alu instid0(SALU_CYCLE_1)
	s_and_not1_b32 vcc_lo, exec_lo, s44
	s_cbranch_vccnz .LBB118_3588
; %bb.3587:
	v_add_nc_u32_e32 v22, 0x80, v22
	s_mov_b32 s42, -1
	s_branch .LBB118_3589
.LBB118_3588:
	s_mov_b32 s42, 0
                                        ; implicit-def: $vgpr22
.LBB118_3589:
	s_and_not1_b32 s43, s59, exec_lo
	s_and_b32 s41, s41, exec_lo
	s_and_not1_b32 s0, s0, exec_lo
	s_or_b32 s41, s43, s41
	s_and_b32 s42, s42, exec_lo
.LBB118_3590:
	s_wait_xcnt 0x0
	s_or_b32 exec_lo, exec_lo, s1
	s_delay_alu instid0(SALU_CYCLE_1)
	s_and_not1_b32 s1, s59, exec_lo
	s_and_b32 s41, s41, exec_lo
	s_and_not1_b32 s44, s61, exec_lo
	s_and_b32 s0, s0, exec_lo
	s_or_b32 s43, s1, s41
	s_or_b32 s0, s44, s0
	s_xor_b32 s41, exec_lo, -1
	s_and_b32 s1, s42, exec_lo
.LBB118_3591:
	s_or_b32 exec_lo, exec_lo, s78
	s_delay_alu instid0(SALU_CYCLE_1)
	s_and_not1_b32 s42, s59, exec_lo
	s_and_b32 s43, s43, exec_lo
	s_and_b32 s0, s0, exec_lo
	s_or_b32 s44, s42, s43
	s_and_not1_b32 s42, s61, exec_lo
	s_and_not1_b32 s43, s62, exec_lo
	s_and_b32 s45, s41, exec_lo
	s_or_b32 s41, s42, s0
	s_or_b32 s43, s43, s45
	s_xor_b32 s42, exec_lo, -1
	s_and_b32 s0, s1, exec_lo
.LBB118_3592:
	s_or_b32 exec_lo, exec_lo, s77
	s_delay_alu instid0(SALU_CYCLE_1)
	s_and_not1_b32 s1, s59, exec_lo
	s_and_b32 s44, s44, exec_lo
	s_and_not1_b32 s45, s61, exec_lo
	s_and_b32 s41, s41, exec_lo
	s_or_b32 s1, s1, s44
	s_or_b32 s41, s45, s41
	s_and_not1_b32 s44, s62, exec_lo
	s_and_b32 s43, s43, exec_lo
	s_and_not1_b32 s45, s63, exec_lo
	s_and_b32 s46, s42, exec_lo
	s_or_b32 s42, s44, s43
	s_or_b32 s44, s45, s46
	s_xor_b32 s43, exec_lo, -1
	s_and_b32 s0, s0, exec_lo
	s_or_b32 exec_lo, exec_lo, s76
	s_branch .LBB118_1298
.LBB118_3593:
	s_mov_b32 s45, -1
	s_mov_b32 s44, 0
	s_mov_b32 s41, s78
	s_branch .LBB118_3601
.LBB118_3594:
	s_or_b32 s40, s39, exec_lo
	s_xor_b32 s35, exec_lo, -1
	s_trap 2
	s_branch .LBB118_3490
.LBB118_3595:
	s_mov_b32 s17, -1
	s_branch .LBB118_3683
.LBB118_3596:
	s_mov_b32 s45, -1
	s_mov_b32 s44, 0
	s_mov_b32 s41, s78
.LBB118_3597:
	s_and_b32 vcc_lo, exec_lo, s45
	s_cbranch_vccz .LBB118_3600
; %bb.3598:
	s_cmp_eq_u32 s43, 44
	s_mov_b32 s41, -1
	s_cbranch_scc0 .LBB118_3600
; %bb.3599:
	s_wait_xcnt 0x0
	v_mov_b32_e32 v2, 0
	s_mov_b32 s44, -1
	s_mov_b32 s41, 0
	global_store_b8 v[0:1], v2, off
.LBB118_3600:
	s_mov_b32 s45, 0
.LBB118_3601:
	s_delay_alu instid0(SALU_CYCLE_1)
	s_and_b32 vcc_lo, exec_lo, s45
	s_cbranch_vccz .LBB118_3604
; %bb.3602:
	s_cmp_eq_u32 s43, 29
	s_mov_b32 s41, -1
	s_cbranch_scc0 .LBB118_3604
; %bb.3603:
	s_wait_xcnt 0x0
	v_mov_b64_e32 v[2:3], 0
	s_mov_b32 s44, -1
	s_mov_b32 s41, 0
	s_mov_b32 s45, 0
	global_store_b64 v[0:1], v[2:3], off
	s_branch .LBB118_3605
.LBB118_3604:
	s_mov_b32 s45, 0
.LBB118_3605:
	s_delay_alu instid0(SALU_CYCLE_1)
	s_and_b32 vcc_lo, exec_lo, s45
	s_cbranch_vccz .LBB118_3615
; %bb.3606:
	s_cmp_lt_i32 s43, 27
	s_mov_b32 s44, -1
	s_cbranch_scc1 .LBB118_3612
; %bb.3607:
	s_cmp_gt_i32 s43, 27
	s_cbranch_scc0 .LBB118_3609
; %bb.3608:
	s_wait_xcnt 0x0
	v_mov_b32_e32 v2, 0
	s_mov_b32 s44, 0
	global_store_b32 v[0:1], v2, off
.LBB118_3609:
	s_and_not1_b32 vcc_lo, exec_lo, s44
	s_cbranch_vccnz .LBB118_3611
; %bb.3610:
	s_wait_xcnt 0x0
	v_mov_b32_e32 v2, 0
	global_store_b16 v[0:1], v2, off
.LBB118_3611:
	s_mov_b32 s44, 0
.LBB118_3612:
	s_delay_alu instid0(SALU_CYCLE_1)
	s_and_not1_b32 vcc_lo, exec_lo, s44
	s_cbranch_vccnz .LBB118_3614
; %bb.3613:
	s_wait_xcnt 0x0
	v_mov_b32_e32 v2, 0
	global_store_b8 v[0:1], v2, off
.LBB118_3614:
	s_mov_b32 s44, -1
.LBB118_3615:
	s_mov_b32 s45, 0
.LBB118_3616:
	s_delay_alu instid0(SALU_CYCLE_1)
	s_and_b32 vcc_lo, exec_lo, s45
	s_cbranch_vccz .LBB118_3635
; %bb.3617:
	s_cmp_gt_i32 s43, 22
	s_mov_b32 s45, -1
	s_cbranch_scc0 .LBB118_3627
; %bb.3618:
	s_cmp_lt_i32 s43, 24
	s_mov_b32 s44, -1
	s_cbranch_scc1 .LBB118_3624
; %bb.3619:
	s_cmp_gt_i32 s43, 24
	s_cbranch_scc0 .LBB118_3621
; %bb.3620:
	s_wait_xcnt 0x0
	v_mov_b32_e32 v2, 0
	s_mov_b32 s44, 0
	global_store_b8 v[0:1], v2, off
.LBB118_3621:
	s_and_not1_b32 vcc_lo, exec_lo, s44
	s_cbranch_vccnz .LBB118_3623
; %bb.3622:
	s_wait_xcnt 0x0
	v_mov_b32_e32 v2, 0
	global_store_b8 v[0:1], v2, off
.LBB118_3623:
	s_mov_b32 s44, 0
.LBB118_3624:
	s_delay_alu instid0(SALU_CYCLE_1)
	s_and_not1_b32 vcc_lo, exec_lo, s44
	s_cbranch_vccnz .LBB118_3626
; %bb.3625:
	s_wait_xcnt 0x0
	v_mov_b32_e32 v2, 0
	global_store_b8 v[0:1], v2, off
.LBB118_3626:
	s_mov_b32 s45, 0
	s_mov_b32 s44, -1
.LBB118_3627:
	s_and_not1_b32 vcc_lo, exec_lo, s45
	s_cbranch_vccnz .LBB118_3635
; %bb.3628:
	s_cmp_gt_i32 s43, 14
	s_mov_b32 s45, -1
	s_cbranch_scc0 .LBB118_3632
; %bb.3629:
	s_cmp_eq_u32 s43, 15
	s_mov_b32 s41, -1
	s_cbranch_scc0 .LBB118_3631
; %bb.3630:
	s_wait_xcnt 0x0
	v_mov_b32_e32 v2, 0
	s_mov_b32 s44, -1
	s_mov_b32 s41, 0
	global_store_b16 v[0:1], v2, off
.LBB118_3631:
	s_mov_b32 s45, 0
.LBB118_3632:
	s_delay_alu instid0(SALU_CYCLE_1)
	s_and_b32 vcc_lo, exec_lo, s45
	s_cbranch_vccz .LBB118_3635
; %bb.3633:
	s_cmp_eq_u32 s43, 11
	s_mov_b32 s41, -1
	s_cbranch_scc0 .LBB118_3635
; %bb.3634:
	s_wait_xcnt 0x0
	v_mov_b32_e32 v2, 0
	s_mov_b32 s44, -1
	s_mov_b32 s41, 0
	global_store_b8 v[0:1], v2, off
.LBB118_3635:
	s_mov_b32 s43, 0
.LBB118_3636:
	s_delay_alu instid0(SALU_CYCLE_1)
	s_and_b32 vcc_lo, exec_lo, s43
	s_cbranch_vccz .LBB118_3675
; %bb.3637:
	s_and_b32 s42, 0xffff, s42
	s_mov_b32 s43, -1
	s_cmp_lt_i32 s42, 5
	s_cbranch_scc1 .LBB118_3658
; %bb.3638:
	s_cmp_lt_i32 s42, 8
	s_cbranch_scc1 .LBB118_3648
; %bb.3639:
	s_cmp_lt_i32 s42, 9
	s_cbranch_scc1 .LBB118_3645
; %bb.3640:
	s_cmp_gt_i32 s42, 9
	s_cbranch_scc0 .LBB118_3642
; %bb.3641:
	s_wait_xcnt 0x0
	v_mov_b32_e32 v2, 0
	s_mov_b32 s43, 0
	s_delay_alu instid0(VALU_DEP_1)
	v_dual_mov_b32 v3, v2 :: v_dual_mov_b32 v4, v2
	v_mov_b32_e32 v5, v2
	global_store_b128 v[0:1], v[2:5], off
.LBB118_3642:
	s_and_not1_b32 vcc_lo, exec_lo, s43
	s_cbranch_vccnz .LBB118_3644
; %bb.3643:
	s_wait_xcnt 0x0
	v_mov_b64_e32 v[2:3], 0
	global_store_b64 v[0:1], v[2:3], off
.LBB118_3644:
	s_mov_b32 s43, 0
.LBB118_3645:
	s_delay_alu instid0(SALU_CYCLE_1)
	s_and_not1_b32 vcc_lo, exec_lo, s43
	s_cbranch_vccnz .LBB118_3647
; %bb.3646:
	s_wait_xcnt 0x0
	v_mov_b32_e32 v2, 0
	global_store_b32 v[0:1], v2, off
.LBB118_3647:
	s_mov_b32 s43, 0
.LBB118_3648:
	s_delay_alu instid0(SALU_CYCLE_1)
	s_and_not1_b32 vcc_lo, exec_lo, s43
	s_cbranch_vccnz .LBB118_3657
; %bb.3649:
	s_cmp_lt_i32 s42, 6
	s_mov_b32 s43, -1
	s_cbranch_scc1 .LBB118_3655
; %bb.3650:
	s_cmp_gt_i32 s42, 6
	s_cbranch_scc0 .LBB118_3652
; %bb.3651:
	s_wait_xcnt 0x0
	v_mov_b64_e32 v[2:3], 0
	s_mov_b32 s43, 0
	global_store_b64 v[0:1], v[2:3], off
.LBB118_3652:
	s_and_not1_b32 vcc_lo, exec_lo, s43
	s_cbranch_vccnz .LBB118_3654
; %bb.3653:
	s_wait_xcnt 0x0
	v_mov_b32_e32 v2, 0
	global_store_b32 v[0:1], v2, off
.LBB118_3654:
	s_mov_b32 s43, 0
.LBB118_3655:
	s_delay_alu instid0(SALU_CYCLE_1)
	s_and_not1_b32 vcc_lo, exec_lo, s43
	s_cbranch_vccnz .LBB118_3657
; %bb.3656:
	s_wait_xcnt 0x0
	v_mov_b32_e32 v2, 0
	global_store_b16 v[0:1], v2, off
.LBB118_3657:
	s_mov_b32 s43, 0
.LBB118_3658:
	s_delay_alu instid0(SALU_CYCLE_1)
	s_and_not1_b32 vcc_lo, exec_lo, s43
	s_cbranch_vccnz .LBB118_3674
; %bb.3659:
	s_cmp_lt_i32 s42, 2
	s_mov_b32 s43, -1
	s_cbranch_scc1 .LBB118_3669
; %bb.3660:
	s_cmp_lt_i32 s42, 3
	s_cbranch_scc1 .LBB118_3666
; %bb.3661:
	s_cmp_gt_i32 s42, 3
	s_cbranch_scc0 .LBB118_3663
; %bb.3662:
	s_wait_xcnt 0x0
	v_mov_b64_e32 v[2:3], 0
	s_mov_b32 s43, 0
	global_store_b64 v[0:1], v[2:3], off
.LBB118_3663:
	s_and_not1_b32 vcc_lo, exec_lo, s43
	s_cbranch_vccnz .LBB118_3665
; %bb.3664:
	s_wait_xcnt 0x0
	v_mov_b32_e32 v2, 0
	global_store_b32 v[0:1], v2, off
.LBB118_3665:
	s_mov_b32 s43, 0
.LBB118_3666:
	s_delay_alu instid0(SALU_CYCLE_1)
	s_and_not1_b32 vcc_lo, exec_lo, s43
	s_cbranch_vccnz .LBB118_3668
; %bb.3667:
	s_wait_xcnt 0x0
	v_mov_b32_e32 v2, 0
	global_store_b16 v[0:1], v2, off
.LBB118_3668:
	s_mov_b32 s43, 0
.LBB118_3669:
	s_delay_alu instid0(SALU_CYCLE_1)
	s_and_not1_b32 vcc_lo, exec_lo, s43
	s_cbranch_vccnz .LBB118_3674
; %bb.3670:
	s_cmp_gt_i32 s42, 0
	s_mov_b32 s42, -1
	s_cbranch_scc0 .LBB118_3672
; %bb.3671:
	s_wait_xcnt 0x0
	v_mov_b32_e32 v2, 0
	s_mov_b32 s42, 0
	global_store_b8 v[0:1], v2, off
.LBB118_3672:
	s_and_not1_b32 vcc_lo, exec_lo, s42
	s_cbranch_vccnz .LBB118_3674
; %bb.3673:
	s_wait_xcnt 0x0
	v_mov_b32_e32 v2, 0
	global_store_b8 v[0:1], v2, off
.LBB118_3674:
	s_mov_b32 s44, -1
.LBB118_3675:
	s_delay_alu instid0(SALU_CYCLE_1)
	s_and_not1_b32 vcc_lo, exec_lo, s44
	s_cbranch_vccnz .LBB118_3677
; %bb.3676:
	v_add_nc_u32_e32 v22, 0x80, v22
	s_mov_b32 s42, -1
	s_branch .LBB118_3678
.LBB118_3677:
	s_mov_b32 s42, 0
                                        ; implicit-def: $vgpr22
.LBB118_3678:
	s_and_not1_b32 s43, s78, exec_lo
	s_and_b32 s41, s41, exec_lo
	s_and_not1_b32 s0, s0, exec_lo
	s_or_b32 s41, s43, s41
	s_and_b32 s42, s42, exec_lo
.LBB118_3679:
	s_wait_xcnt 0x0
	s_or_b32 exec_lo, exec_lo, s1
	s_delay_alu instid0(SALU_CYCLE_1)
	s_and_not1_b32 s1, s78, exec_lo
	s_and_b32 s41, s41, exec_lo
	s_and_not1_b32 s44, s79, exec_lo
	s_and_b32 s0, s0, exec_lo
	s_or_b32 s43, s1, s41
	s_or_b32 s0, s44, s0
	s_xor_b32 s41, exec_lo, -1
	s_and_b32 s1, s42, exec_lo
.LBB118_3680:
	s_or_b32 exec_lo, exec_lo, s90
	s_delay_alu instid0(SALU_CYCLE_1)
	s_and_not1_b32 s42, s78, exec_lo
	s_and_b32 s43, s43, exec_lo
	s_and_b32 s0, s0, exec_lo
	s_or_b32 s44, s42, s43
	s_and_not1_b32 s42, s79, exec_lo
	s_and_not1_b32 s43, s80, exec_lo
	s_and_b32 s45, s41, exec_lo
	s_or_b32 s41, s42, s0
	s_or_b32 s43, s43, s45
	s_xor_b32 s42, exec_lo, -1
	s_and_b32 s0, s1, exec_lo
.LBB118_3681:
	s_or_b32 exec_lo, exec_lo, s89
	s_delay_alu instid0(SALU_CYCLE_1)
	s_and_not1_b32 s1, s78, exec_lo
	s_and_b32 s44, s44, exec_lo
	s_and_not1_b32 s45, s79, exec_lo
	s_and_b32 s41, s41, exec_lo
	s_or_b32 s1, s1, s44
	s_or_b32 s41, s45, s41
	s_and_not1_b32 s44, s80, exec_lo
	s_and_b32 s43, s43, exec_lo
	s_and_not1_b32 s45, s76, exec_lo
	s_and_b32 s46, s42, exec_lo
	s_or_b32 s42, s44, s43
	s_or_b32 s44, s45, s46
	s_xor_b32 s43, exec_lo, -1
	s_and_b32 s0, s0, exec_lo
	s_or_b32 exec_lo, exec_lo, s88
	s_branch .LBB118_2046
.LBB118_3682:
	s_mov_b32 s1, -1
.LBB118_3683:
	s_mov_b32 s40, 0
                                        ; implicit-def: $vgpr1
.LBB118_3684:
	s_and_b32 vcc_lo, exec_lo, s17
	s_cbranch_vccz .LBB118_3688
; %bb.3685:
	s_cmp_eq_u32 s0, 44
	s_cbranch_scc0 .LBB118_3687
; %bb.3686:
	global_load_u8 v1, v[10:11], off
	s_mov_b32 s1, 0
	s_mov_b32 s40, -1
	s_wait_loadcnt 0x0
	v_lshlrev_b32_e32 v3, 23, v1
	v_cmp_ne_u32_e32 vcc_lo, 0, v1
	s_delay_alu instid0(VALU_DEP_2) | instskip(NEXT) | instid1(VALU_DEP_1)
	v_cvt_i32_f32_e32 v3, v3
	v_cndmask_b32_e32 v1, 0, v3, vcc_lo
	s_branch .LBB118_3688
.LBB118_3687:
	s_mov_b32 s1, -1
                                        ; implicit-def: $vgpr1
.LBB118_3688:
	s_mov_b32 s17, 0
.LBB118_3689:
	s_delay_alu instid0(SALU_CYCLE_1)
	s_and_b32 vcc_lo, exec_lo, s17
	s_cbranch_vccz .LBB118_3693
; %bb.3690:
	s_cmp_eq_u32 s0, 29
	s_cbranch_scc0 .LBB118_3692
; %bb.3691:
	global_load_b32 v1, v[10:11], off
	s_mov_b32 s1, 0
	s_mov_b32 s40, -1
	s_branch .LBB118_3693
.LBB118_3692:
	s_mov_b32 s1, -1
                                        ; implicit-def: $vgpr1
.LBB118_3693:
	s_mov_b32 s17, 0
.LBB118_3694:
	s_delay_alu instid0(SALU_CYCLE_1)
	s_and_b32 vcc_lo, exec_lo, s17
	s_cbranch_vccz .LBB118_3710
; %bb.3695:
	s_cmp_lt_i32 s0, 27
	s_cbranch_scc1 .LBB118_3698
; %bb.3696:
	s_cmp_gt_i32 s0, 27
	s_cbranch_scc0 .LBB118_3699
; %bb.3697:
	s_wait_loadcnt 0x0
	global_load_b32 v1, v[10:11], off
	s_mov_b32 s17, 0
	s_branch .LBB118_3700
.LBB118_3698:
	s_mov_b32 s17, -1
                                        ; implicit-def: $vgpr1
	s_branch .LBB118_3703
.LBB118_3699:
	s_mov_b32 s17, -1
                                        ; implicit-def: $vgpr1
.LBB118_3700:
	s_delay_alu instid0(SALU_CYCLE_1)
	s_and_not1_b32 vcc_lo, exec_lo, s17
	s_cbranch_vccnz .LBB118_3702
; %bb.3701:
	s_wait_loadcnt 0x0
	global_load_u16 v1, v[10:11], off
.LBB118_3702:
	s_mov_b32 s17, 0
.LBB118_3703:
	s_delay_alu instid0(SALU_CYCLE_1)
	s_and_not1_b32 vcc_lo, exec_lo, s17
	s_cbranch_vccnz .LBB118_3709
; %bb.3704:
	global_load_u8 v3, v[10:11], off
	s_mov_b32 s40, 0
	s_mov_b32 s17, exec_lo
	s_wait_loadcnt 0x0
	v_cmpx_lt_i16_e32 0x7f, v3
	s_xor_b32 s17, exec_lo, s17
	s_cbranch_execz .LBB118_3721
; %bb.3705:
	v_cmp_ne_u16_e32 vcc_lo, 0x80, v3
	s_and_b32 s40, vcc_lo, exec_lo
	s_and_not1_saveexec_b32 s17, s17
	s_cbranch_execnz .LBB118_3722
.LBB118_3706:
	s_or_b32 exec_lo, exec_lo, s17
	v_mov_b32_e32 v1, 0
	s_and_saveexec_b32 s17, s40
	s_cbranch_execz .LBB118_3708
.LBB118_3707:
	v_and_b32_e32 v1, 0xffff, v3
	s_delay_alu instid0(VALU_DEP_1) | instskip(SKIP_1) | instid1(VALU_DEP_2)
	v_and_b32_e32 v5, 7, v1
	v_bfe_u32 v12, v1, 3, 4
	v_clz_i32_u32_e32 v7, v5
	s_delay_alu instid0(VALU_DEP_2) | instskip(NEXT) | instid1(VALU_DEP_2)
	v_cmp_eq_u32_e32 vcc_lo, 0, v12
	v_min_u32_e32 v7, 32, v7
	s_delay_alu instid0(VALU_DEP_1) | instskip(NEXT) | instid1(VALU_DEP_1)
	v_subrev_nc_u32_e32 v9, 28, v7
	v_dual_lshlrev_b32 v1, v9, v1 :: v_dual_sub_nc_u32 v7, 29, v7
	s_delay_alu instid0(VALU_DEP_1) | instskip(NEXT) | instid1(VALU_DEP_1)
	v_dual_lshlrev_b32 v3, 24, v3 :: v_dual_bitop2_b32 v1, 7, v1 bitop3:0x40
	v_dual_cndmask_b32 v1, v5, v1, vcc_lo :: v_dual_cndmask_b32 v7, v12, v7, vcc_lo
	s_delay_alu instid0(VALU_DEP_2) | instskip(NEXT) | instid1(VALU_DEP_2)
	v_and_b32_e32 v3, 0x80000000, v3
	v_lshlrev_b32_e32 v1, 20, v1
	s_delay_alu instid0(VALU_DEP_3) | instskip(NEXT) | instid1(VALU_DEP_1)
	v_lshl_add_u32 v5, v7, 23, 0x3b800000
	v_or3_b32 v1, v3, v5, v1
	s_delay_alu instid0(VALU_DEP_1)
	v_cvt_i32_f32_e32 v1, v1
.LBB118_3708:
	s_or_b32 exec_lo, exec_lo, s17
.LBB118_3709:
	s_mov_b32 s40, -1
.LBB118_3710:
	s_mov_b32 s17, 0
.LBB118_3711:
	s_delay_alu instid0(SALU_CYCLE_1)
	s_and_b32 vcc_lo, exec_lo, s17
	s_cbranch_vccz .LBB118_3742
; %bb.3712:
	s_cmp_gt_i32 s0, 22
	s_cbranch_scc0 .LBB118_3720
; %bb.3713:
	s_cmp_lt_i32 s0, 24
	s_cbranch_scc1 .LBB118_3723
; %bb.3714:
	s_cmp_gt_i32 s0, 24
	s_cbranch_scc0 .LBB118_3724
; %bb.3715:
	global_load_u8 v3, v[10:11], off
	s_mov_b32 s17, exec_lo
	s_wait_loadcnt 0x0
	v_cmpx_lt_i16_e32 0x7f, v3
	s_xor_b32 s17, exec_lo, s17
	s_cbranch_execz .LBB118_3736
; %bb.3716:
	v_cmp_ne_u16_e32 vcc_lo, 0x80, v3
	s_and_b32 s35, vcc_lo, exec_lo
	s_and_not1_saveexec_b32 s17, s17
	s_cbranch_execnz .LBB118_3737
.LBB118_3717:
	s_or_b32 exec_lo, exec_lo, s17
	v_mov_b32_e32 v1, 0
	s_and_saveexec_b32 s17, s35
	s_cbranch_execz .LBB118_3719
.LBB118_3718:
	v_and_b32_e32 v1, 0xffff, v3
	s_delay_alu instid0(VALU_DEP_1) | instskip(SKIP_1) | instid1(VALU_DEP_2)
	v_and_b32_e32 v5, 3, v1
	v_bfe_u32 v12, v1, 2, 5
	v_clz_i32_u32_e32 v7, v5
	s_delay_alu instid0(VALU_DEP_2) | instskip(NEXT) | instid1(VALU_DEP_2)
	v_cmp_eq_u32_e32 vcc_lo, 0, v12
	v_min_u32_e32 v7, 32, v7
	s_delay_alu instid0(VALU_DEP_1) | instskip(NEXT) | instid1(VALU_DEP_1)
	v_subrev_nc_u32_e32 v9, 29, v7
	v_dual_lshlrev_b32 v1, v9, v1 :: v_dual_sub_nc_u32 v7, 30, v7
	s_delay_alu instid0(VALU_DEP_1) | instskip(NEXT) | instid1(VALU_DEP_1)
	v_dual_lshlrev_b32 v3, 24, v3 :: v_dual_bitop2_b32 v1, 3, v1 bitop3:0x40
	v_dual_cndmask_b32 v1, v5, v1, vcc_lo :: v_dual_cndmask_b32 v7, v12, v7, vcc_lo
	s_delay_alu instid0(VALU_DEP_2) | instskip(NEXT) | instid1(VALU_DEP_2)
	v_and_b32_e32 v3, 0x80000000, v3
	v_lshlrev_b32_e32 v1, 21, v1
	s_delay_alu instid0(VALU_DEP_3) | instskip(NEXT) | instid1(VALU_DEP_1)
	v_lshl_add_u32 v5, v7, 23, 0x37800000
	v_or3_b32 v1, v3, v5, v1
	s_delay_alu instid0(VALU_DEP_1)
	v_cvt_i32_f32_e32 v1, v1
.LBB118_3719:
	s_or_b32 exec_lo, exec_lo, s17
	s_mov_b32 s17, 0
	s_branch .LBB118_3725
.LBB118_3720:
	s_mov_b32 s17, -1
                                        ; implicit-def: $vgpr1
	s_branch .LBB118_3731
.LBB118_3721:
	s_and_not1_saveexec_b32 s17, s17
	s_cbranch_execz .LBB118_3706
.LBB118_3722:
	v_cmp_ne_u16_e32 vcc_lo, 0, v3
	s_and_not1_b32 s40, s40, exec_lo
	s_and_b32 s41, vcc_lo, exec_lo
	s_delay_alu instid0(SALU_CYCLE_1)
	s_or_b32 s40, s40, s41
	s_or_b32 exec_lo, exec_lo, s17
	v_mov_b32_e32 v1, 0
	s_and_saveexec_b32 s17, s40
	s_cbranch_execnz .LBB118_3707
	s_branch .LBB118_3708
.LBB118_3723:
	s_mov_b32 s17, -1
                                        ; implicit-def: $vgpr1
	s_branch .LBB118_3728
.LBB118_3724:
	s_mov_b32 s17, -1
                                        ; implicit-def: $vgpr1
.LBB118_3725:
	s_delay_alu instid0(SALU_CYCLE_1)
	s_and_b32 vcc_lo, exec_lo, s17
	s_cbranch_vccz .LBB118_3727
; %bb.3726:
	s_wait_loadcnt 0x0
	global_load_u8 v1, v[10:11], off
	s_wait_loadcnt 0x0
	v_lshlrev_b32_e32 v1, 24, v1
	s_delay_alu instid0(VALU_DEP_1) | instskip(NEXT) | instid1(VALU_DEP_1)
	v_and_b32_e32 v3, 0x7f000000, v1
	v_clz_i32_u32_e32 v5, v3
	v_add_nc_u32_e32 v9, 0x1000000, v3
	v_cmp_ne_u32_e32 vcc_lo, 0, v3
	s_delay_alu instid0(VALU_DEP_3) | instskip(NEXT) | instid1(VALU_DEP_1)
	v_min_u32_e32 v5, 32, v5
	v_sub_nc_u32_e64 v5, v5, 4 clamp
	s_delay_alu instid0(VALU_DEP_1) | instskip(NEXT) | instid1(VALU_DEP_1)
	v_dual_lshlrev_b32 v7, v5, v3 :: v_dual_lshlrev_b32 v5, 23, v5
	v_lshrrev_b32_e32 v7, 4, v7
	s_delay_alu instid0(VALU_DEP_1) | instskip(SKIP_1) | instid1(VALU_DEP_2)
	v_sub_nc_u32_e32 v5, v7, v5
	v_ashrrev_i32_e32 v7, 8, v9
	v_add_nc_u32_e32 v5, 0x3c000000, v5
	s_delay_alu instid0(VALU_DEP_1) | instskip(NEXT) | instid1(VALU_DEP_1)
	v_and_or_b32 v5, 0x7f800000, v7, v5
	v_cndmask_b32_e32 v3, 0, v5, vcc_lo
	s_delay_alu instid0(VALU_DEP_1) | instskip(NEXT) | instid1(VALU_DEP_1)
	v_and_or_b32 v1, 0x80000000, v1, v3
	v_cvt_i32_f32_e32 v1, v1
.LBB118_3727:
	s_mov_b32 s17, 0
.LBB118_3728:
	s_delay_alu instid0(SALU_CYCLE_1)
	s_and_not1_b32 vcc_lo, exec_lo, s17
	s_cbranch_vccnz .LBB118_3730
; %bb.3729:
	s_wait_loadcnt 0x0
	global_load_u8 v1, v[10:11], off
	s_wait_loadcnt 0x0
	v_lshlrev_b32_e32 v3, 25, v1
	v_lshlrev_b16 v1, 8, v1
	s_delay_alu instid0(VALU_DEP_1) | instskip(SKIP_1) | instid1(VALU_DEP_2)
	v_and_or_b32 v7, 0x7f00, v1, 0.5
	v_bfe_i32 v1, v1, 0, 16
	v_add_f32_e32 v7, -0.5, v7
	v_lshrrev_b32_e32 v5, 4, v3
	v_cmp_gt_u32_e32 vcc_lo, 0x8000000, v3
	s_delay_alu instid0(VALU_DEP_2) | instskip(NEXT) | instid1(VALU_DEP_1)
	v_or_b32_e32 v5, 0x70000000, v5
	v_mul_f32_e32 v5, 0x7800000, v5
	s_delay_alu instid0(VALU_DEP_1) | instskip(NEXT) | instid1(VALU_DEP_1)
	v_cndmask_b32_e32 v3, v5, v7, vcc_lo
	v_and_or_b32 v1, 0x80000000, v1, v3
	s_delay_alu instid0(VALU_DEP_1)
	v_cvt_i32_f32_e32 v1, v1
.LBB118_3730:
	s_mov_b32 s17, 0
	s_mov_b32 s40, -1
.LBB118_3731:
	s_and_not1_b32 vcc_lo, exec_lo, s17
	s_mov_b32 s35, 0
	s_cbranch_vccnz .LBB118_3742
; %bb.3732:
	s_cmp_gt_i32 s0, 14
	s_cbranch_scc0 .LBB118_3735
; %bb.3733:
	s_cmp_eq_u32 s0, 15
	s_cbranch_scc0 .LBB118_3738
; %bb.3734:
	s_wait_loadcnt 0x0
	global_load_u16 v1, v[10:11], off
	s_mov_b32 s1, 0
	s_mov_b32 s40, -1
	s_wait_loadcnt 0x0
	v_lshlrev_b32_e32 v1, 16, v1
	s_delay_alu instid0(VALU_DEP_1)
	v_cvt_i32_f32_e32 v1, v1
	s_branch .LBB118_3739
.LBB118_3735:
	s_mov_b32 s17, -1
                                        ; implicit-def: $vgpr1
	s_branch .LBB118_3740
.LBB118_3736:
	s_and_not1_saveexec_b32 s17, s17
	s_cbranch_execz .LBB118_3717
.LBB118_3737:
	v_cmp_ne_u16_e32 vcc_lo, 0, v3
	s_and_not1_b32 s35, s35, exec_lo
	s_and_b32 s40, vcc_lo, exec_lo
	s_delay_alu instid0(SALU_CYCLE_1)
	s_or_b32 s35, s35, s40
	s_or_b32 exec_lo, exec_lo, s17
	v_mov_b32_e32 v1, 0
	s_and_saveexec_b32 s17, s35
	s_cbranch_execnz .LBB118_3718
	s_branch .LBB118_3719
.LBB118_3738:
	s_mov_b32 s1, -1
                                        ; implicit-def: $vgpr1
.LBB118_3739:
	s_mov_b32 s17, 0
.LBB118_3740:
	s_delay_alu instid0(SALU_CYCLE_1)
	s_and_b32 vcc_lo, exec_lo, s17
	s_cbranch_vccz .LBB118_3742
; %bb.3741:
	s_cmp_lg_u32 s0, 11
	s_mov_b32 s35, -1
	s_cselect_b32 s1, -1, 0
.LBB118_3742:
	s_delay_alu instid0(SALU_CYCLE_1)
	s_and_b32 vcc_lo, exec_lo, s1
	s_mov_b32 s17, s48
	s_cbranch_vccnz .LBB118_3807
; %bb.3743:
	s_and_not1_b32 vcc_lo, exec_lo, s35
	s_cbranch_vccnz .LBB118_3745
.LBB118_3744:
	s_wait_loadcnt 0x0
	global_load_u8 v1, v[10:11], off
	s_mov_b32 s40, -1
	s_wait_loadcnt 0x0
	v_cmp_ne_u16_e32 vcc_lo, 0, v1
	v_cndmask_b32_e64 v1, 0, 1, vcc_lo
.LBB118_3745:
	s_mov_b32 s0, 0
.LBB118_3746:
	s_delay_alu instid0(SALU_CYCLE_1)
	s_and_b32 vcc_lo, exec_lo, s0
	s_cbranch_vccz .LBB118_3795
; %bb.3747:
	s_and_b32 s0, 0xffff, s55
	s_delay_alu instid0(SALU_CYCLE_1)
	s_cmp_lt_i32 s0, 5
	s_cbranch_scc1 .LBB118_3752
; %bb.3748:
	s_cmp_lt_i32 s0, 8
	s_cbranch_scc1 .LBB118_3753
; %bb.3749:
	;; [unrolled: 3-line block ×3, first 2 shown]
	s_cmp_gt_i32 s0, 9
	s_cbranch_scc0 .LBB118_3755
; %bb.3751:
	global_load_b64 v[12:13], v[10:11], off
	s_mov_b32 s1, 0
	s_wait_loadcnt 0x0
	v_cvt_i32_f64_e32 v1, v[12:13]
	s_branch .LBB118_3756
.LBB118_3752:
	s_mov_b32 s1, -1
                                        ; implicit-def: $vgpr1
	s_branch .LBB118_3774
.LBB118_3753:
	s_mov_b32 s1, -1
                                        ; implicit-def: $vgpr1
	s_branch .LBB118_3762
.LBB118_3754:
	s_mov_b32 s1, -1
                                        ; implicit-def: $vgpr1
	s_branch .LBB118_3759
.LBB118_3755:
	s_mov_b32 s1, -1
                                        ; implicit-def: $vgpr1
.LBB118_3756:
	s_delay_alu instid0(SALU_CYCLE_1)
	s_and_not1_b32 vcc_lo, exec_lo, s1
	s_cbranch_vccnz .LBB118_3758
; %bb.3757:
	s_wait_loadcnt 0x0
	global_load_b32 v1, v[10:11], off
	s_wait_loadcnt 0x0
	v_cvt_i32_f32_e32 v1, v1
.LBB118_3758:
	s_mov_b32 s1, 0
.LBB118_3759:
	s_delay_alu instid0(SALU_CYCLE_1)
	s_and_not1_b32 vcc_lo, exec_lo, s1
	s_cbranch_vccnz .LBB118_3761
; %bb.3760:
	s_wait_loadcnt 0x0
	global_load_b32 v1, v[10:11], off
	s_wait_loadcnt 0x0
	v_cvt_f32_f16_e32 v1, v1
	s_delay_alu instid0(VALU_DEP_1)
	v_cvt_i32_f32_e32 v1, v1
.LBB118_3761:
	s_mov_b32 s1, 0
.LBB118_3762:
	s_delay_alu instid0(SALU_CYCLE_1)
	s_and_not1_b32 vcc_lo, exec_lo, s1
	s_cbranch_vccnz .LBB118_3773
; %bb.3763:
	s_cmp_lt_i32 s0, 6
	s_cbranch_scc1 .LBB118_3766
; %bb.3764:
	s_cmp_gt_i32 s0, 6
	s_cbranch_scc0 .LBB118_3767
; %bb.3765:
	global_load_b64 v[12:13], v[10:11], off
	s_mov_b32 s1, 0
	s_wait_loadcnt 0x0
	v_cvt_i32_f64_e32 v1, v[12:13]
	s_branch .LBB118_3768
.LBB118_3766:
	s_mov_b32 s1, -1
                                        ; implicit-def: $vgpr1
	s_branch .LBB118_3771
.LBB118_3767:
	s_mov_b32 s1, -1
                                        ; implicit-def: $vgpr1
.LBB118_3768:
	s_delay_alu instid0(SALU_CYCLE_1)
	s_and_not1_b32 vcc_lo, exec_lo, s1
	s_cbranch_vccnz .LBB118_3770
; %bb.3769:
	s_wait_loadcnt 0x0
	global_load_b32 v1, v[10:11], off
	s_wait_loadcnt 0x0
	v_cvt_i32_f32_e32 v1, v1
.LBB118_3770:
	s_mov_b32 s1, 0
.LBB118_3771:
	s_delay_alu instid0(SALU_CYCLE_1)
	s_and_not1_b32 vcc_lo, exec_lo, s1
	s_cbranch_vccnz .LBB118_3773
; %bb.3772:
	s_wait_loadcnt 0x0
	global_load_u16 v1, v[10:11], off
	s_wait_loadcnt 0x0
	v_cvt_f32_f16_e32 v1, v1
	s_delay_alu instid0(VALU_DEP_1)
	v_cvt_i32_f32_e32 v1, v1
.LBB118_3773:
	s_mov_b32 s1, 0
.LBB118_3774:
	s_delay_alu instid0(SALU_CYCLE_1)
	s_and_not1_b32 vcc_lo, exec_lo, s1
	s_cbranch_vccnz .LBB118_3794
; %bb.3775:
	s_cmp_lt_i32 s0, 2
	s_cbranch_scc1 .LBB118_3779
; %bb.3776:
	s_cmp_lt_i32 s0, 3
	s_cbranch_scc1 .LBB118_3780
; %bb.3777:
	s_cmp_gt_i32 s0, 3
	s_cbranch_scc0 .LBB118_3781
; %bb.3778:
	s_wait_loadcnt 0x0
	global_load_b32 v1, v[10:11], off
	s_mov_b32 s1, 0
	s_branch .LBB118_3782
.LBB118_3779:
	s_mov_b32 s1, -1
                                        ; implicit-def: $vgpr1
	s_branch .LBB118_3788
.LBB118_3780:
	s_mov_b32 s1, -1
                                        ; implicit-def: $vgpr1
	s_branch .LBB118_3785
.LBB118_3781:
	s_mov_b32 s1, -1
                                        ; implicit-def: $vgpr1
.LBB118_3782:
	s_delay_alu instid0(SALU_CYCLE_1)
	s_and_not1_b32 vcc_lo, exec_lo, s1
	s_cbranch_vccnz .LBB118_3784
; %bb.3783:
	s_wait_loadcnt 0x0
	global_load_b32 v1, v[10:11], off
.LBB118_3784:
	s_mov_b32 s1, 0
.LBB118_3785:
	s_delay_alu instid0(SALU_CYCLE_1)
	s_and_not1_b32 vcc_lo, exec_lo, s1
	s_cbranch_vccnz .LBB118_3787
; %bb.3786:
	s_wait_loadcnt 0x0
	global_load_i16 v1, v[10:11], off
.LBB118_3787:
	s_mov_b32 s1, 0
.LBB118_3788:
	s_delay_alu instid0(SALU_CYCLE_1)
	s_and_not1_b32 vcc_lo, exec_lo, s1
	s_cbranch_vccnz .LBB118_3794
; %bb.3789:
	s_cmp_gt_i32 s0, 0
	s_mov_b32 s0, 0
	s_cbranch_scc0 .LBB118_3791
; %bb.3790:
	s_wait_loadcnt 0x0
	global_load_i8 v1, v[10:11], off
	s_branch .LBB118_3792
.LBB118_3791:
	s_mov_b32 s0, -1
                                        ; implicit-def: $vgpr1
.LBB118_3792:
	s_delay_alu instid0(SALU_CYCLE_1)
	s_and_not1_b32 vcc_lo, exec_lo, s0
	s_cbranch_vccnz .LBB118_3794
; %bb.3793:
	s_wait_loadcnt 0x0
	global_load_u8 v1, v[10:11], off
.LBB118_3794:
	s_mov_b32 s40, -1
.LBB118_3795:
	s_delay_alu instid0(SALU_CYCLE_1)
	s_and_not1_b32 vcc_lo, exec_lo, s40
	s_cbranch_vccnz .LBB118_4318
; %bb.3796:
	s_lshl_b32 s68, s18, 7
	s_cmp_lt_i32 s56, 11
	v_add_nc_u32_e32 v2, s68, v2
	s_delay_alu instid0(VALU_DEP_1) | instskip(SKIP_1) | instid1(VALU_DEP_1)
	v_ashrrev_i32_e32 v3, 31, v2
	s_wait_xcnt 0x0
	v_add_nc_u64_e32 v[10:11], s[8:9], v[2:3]
	s_cbranch_scc1 .LBB118_3803
; %bb.3797:
	s_and_b32 s0, 0xffff, s56
	s_mov_b32 s18, 0
	s_cmp_gt_i32 s0, 25
	s_cbranch_scc0 .LBB118_3804
; %bb.3798:
	s_cmp_gt_i32 s0, 28
	s_cbranch_scc0 .LBB118_3805
; %bb.3799:
	;; [unrolled: 3-line block ×4, first 2 shown]
	s_cmp_eq_u32 s0, 46
	s_mov_b32 s40, 0
	s_cbranch_scc0 .LBB118_3810
; %bb.3802:
	global_load_b32 v3, v[10:11], off
	s_mov_b32 s1, 0
	s_mov_b32 s35, -1
	s_wait_loadcnt 0x0
	v_lshlrev_b32_e32 v3, 16, v3
	s_delay_alu instid0(VALU_DEP_1)
	v_cvt_i32_f32_e32 v3, v3
	s_branch .LBB118_3812
.LBB118_3803:
	s_mov_b32 s0, -1
	s_mov_b32 s35, 0
                                        ; implicit-def: $vgpr3
	s_branch .LBB118_3874
.LBB118_3804:
	s_mov_b32 s40, -1
	s_mov_b32 s35, 0
	s_mov_b32 s1, 0
                                        ; implicit-def: $vgpr3
	s_branch .LBB118_3839
.LBB118_3805:
	s_mov_b32 s40, -1
	s_mov_b32 s35, 0
	s_mov_b32 s1, 0
                                        ; implicit-def: $vgpr3
	s_branch .LBB118_3822
.LBB118_3806:
	s_mov_b32 s40, -1
	s_mov_b32 s35, 0
	s_mov_b32 s1, 0
                                        ; implicit-def: $vgpr3
	s_branch .LBB118_3817
.LBB118_3807:
	s_or_b32 s17, s48, exec_lo
	s_trap 2
	s_cbranch_execz .LBB118_3744
	s_branch .LBB118_3745
.LBB118_3808:
	s_mov_b32 s40, -1
	s_mov_b32 s35, 0
	s_mov_b32 s1, 0
	s_branch .LBB118_3811
.LBB118_3809:
	s_or_b32 s33, s33, exec_lo
	s_trap 2
                                        ; implicit-def: $vgpr0
                                        ; implicit-def: $vgpr2
                                        ; implicit-def: $vgpr3
                                        ; implicit-def: $vgpr4
                                        ; implicit-def: $vgpr10
                                        ; implicit-def: $vgpr6
                                        ; implicit-def: $vgpr12
                                        ; implicit-def: $vgpr8
                                        ; implicit-def: $vgpr16
                                        ; implicit-def: $vgpr22
	s_branch .LBB118_3427
.LBB118_3810:
	s_mov_b32 s1, -1
	s_mov_b32 s35, 0
.LBB118_3811:
                                        ; implicit-def: $vgpr3
.LBB118_3812:
	s_and_b32 vcc_lo, exec_lo, s40
	s_cbranch_vccz .LBB118_3816
; %bb.3813:
	s_cmp_eq_u32 s0, 44
	s_cbranch_scc0 .LBB118_3815
; %bb.3814:
	global_load_u8 v3, v[10:11], off
	s_mov_b32 s1, 0
	s_mov_b32 s35, -1
	s_wait_loadcnt 0x0
	v_lshlrev_b32_e32 v5, 23, v3
	v_cmp_ne_u32_e32 vcc_lo, 0, v3
	s_delay_alu instid0(VALU_DEP_2) | instskip(NEXT) | instid1(VALU_DEP_1)
	v_cvt_i32_f32_e32 v5, v5
	v_cndmask_b32_e32 v3, 0, v5, vcc_lo
	s_branch .LBB118_3816
.LBB118_3815:
	s_mov_b32 s1, -1
                                        ; implicit-def: $vgpr3
.LBB118_3816:
	s_mov_b32 s40, 0
.LBB118_3817:
	s_delay_alu instid0(SALU_CYCLE_1)
	s_and_b32 vcc_lo, exec_lo, s40
	s_cbranch_vccz .LBB118_3821
; %bb.3818:
	s_cmp_eq_u32 s0, 29
	s_cbranch_scc0 .LBB118_3820
; %bb.3819:
	global_load_b32 v3, v[10:11], off
	s_mov_b32 s1, 0
	s_mov_b32 s35, -1
	s_branch .LBB118_3821
.LBB118_3820:
	s_mov_b32 s1, -1
                                        ; implicit-def: $vgpr3
.LBB118_3821:
	s_mov_b32 s40, 0
.LBB118_3822:
	s_delay_alu instid0(SALU_CYCLE_1)
	s_and_b32 vcc_lo, exec_lo, s40
	s_cbranch_vccz .LBB118_3838
; %bb.3823:
	s_cmp_lt_i32 s0, 27
	s_cbranch_scc1 .LBB118_3826
; %bb.3824:
	s_cmp_gt_i32 s0, 27
	s_cbranch_scc0 .LBB118_3827
; %bb.3825:
	s_wait_loadcnt 0x0
	global_load_b32 v3, v[10:11], off
	s_mov_b32 s35, 0
	s_branch .LBB118_3828
.LBB118_3826:
	s_mov_b32 s35, -1
                                        ; implicit-def: $vgpr3
	s_branch .LBB118_3831
.LBB118_3827:
	s_mov_b32 s35, -1
                                        ; implicit-def: $vgpr3
.LBB118_3828:
	s_delay_alu instid0(SALU_CYCLE_1)
	s_and_not1_b32 vcc_lo, exec_lo, s35
	s_cbranch_vccnz .LBB118_3830
; %bb.3829:
	s_wait_loadcnt 0x0
	global_load_u16 v3, v[10:11], off
.LBB118_3830:
	s_mov_b32 s35, 0
.LBB118_3831:
	s_delay_alu instid0(SALU_CYCLE_1)
	s_and_not1_b32 vcc_lo, exec_lo, s35
	s_cbranch_vccnz .LBB118_3837
; %bb.3832:
	global_load_u8 v5, v[10:11], off
	s_mov_b32 s40, 0
	s_mov_b32 s35, exec_lo
	s_wait_loadcnt 0x0
	v_cmpx_lt_i16_e32 0x7f, v5
	s_xor_b32 s35, exec_lo, s35
	s_cbranch_execz .LBB118_3849
; %bb.3833:
	v_cmp_ne_u16_e32 vcc_lo, 0x80, v5
	s_and_b32 s40, vcc_lo, exec_lo
	s_and_not1_saveexec_b32 s35, s35
	s_cbranch_execnz .LBB118_3850
.LBB118_3834:
	s_or_b32 exec_lo, exec_lo, s35
	v_mov_b32_e32 v3, 0
	s_and_saveexec_b32 s35, s40
	s_cbranch_execz .LBB118_3836
.LBB118_3835:
	v_and_b32_e32 v3, 0xffff, v5
	s_delay_alu instid0(VALU_DEP_1) | instskip(SKIP_1) | instid1(VALU_DEP_2)
	v_and_b32_e32 v7, 7, v3
	v_bfe_u32 v13, v3, 3, 4
	v_clz_i32_u32_e32 v9, v7
	s_delay_alu instid0(VALU_DEP_2) | instskip(NEXT) | instid1(VALU_DEP_2)
	v_cmp_eq_u32_e32 vcc_lo, 0, v13
	v_min_u32_e32 v9, 32, v9
	s_delay_alu instid0(VALU_DEP_1) | instskip(NEXT) | instid1(VALU_DEP_1)
	v_subrev_nc_u32_e32 v12, 28, v9
	v_dual_lshlrev_b32 v3, v12, v3 :: v_dual_sub_nc_u32 v9, 29, v9
	s_delay_alu instid0(VALU_DEP_1) | instskip(NEXT) | instid1(VALU_DEP_1)
	v_dual_lshlrev_b32 v5, 24, v5 :: v_dual_bitop2_b32 v3, 7, v3 bitop3:0x40
	v_dual_cndmask_b32 v3, v7, v3, vcc_lo :: v_dual_cndmask_b32 v9, v13, v9, vcc_lo
	s_delay_alu instid0(VALU_DEP_2) | instskip(NEXT) | instid1(VALU_DEP_2)
	v_and_b32_e32 v5, 0x80000000, v5
	v_lshlrev_b32_e32 v3, 20, v3
	s_delay_alu instid0(VALU_DEP_3) | instskip(NEXT) | instid1(VALU_DEP_1)
	v_lshl_add_u32 v7, v9, 23, 0x3b800000
	v_or3_b32 v3, v5, v7, v3
	s_delay_alu instid0(VALU_DEP_1)
	v_cvt_i32_f32_e32 v3, v3
.LBB118_3836:
	s_or_b32 exec_lo, exec_lo, s35
.LBB118_3837:
	s_mov_b32 s35, -1
.LBB118_3838:
	s_mov_b32 s40, 0
.LBB118_3839:
	s_delay_alu instid0(SALU_CYCLE_1)
	s_and_b32 vcc_lo, exec_lo, s40
	s_cbranch_vccz .LBB118_3870
; %bb.3840:
	s_cmp_gt_i32 s0, 22
	s_cbranch_scc0 .LBB118_3848
; %bb.3841:
	s_cmp_lt_i32 s0, 24
	s_cbranch_scc1 .LBB118_3851
; %bb.3842:
	s_cmp_gt_i32 s0, 24
	s_cbranch_scc0 .LBB118_3852
; %bb.3843:
	global_load_u8 v5, v[10:11], off
	s_mov_b32 s35, 0
	s_mov_b32 s18, exec_lo
	s_wait_loadcnt 0x0
	v_cmpx_lt_i16_e32 0x7f, v5
	s_xor_b32 s18, exec_lo, s18
	s_cbranch_execz .LBB118_3864
; %bb.3844:
	v_cmp_ne_u16_e32 vcc_lo, 0x80, v5
	s_and_b32 s35, vcc_lo, exec_lo
	s_and_not1_saveexec_b32 s18, s18
	s_cbranch_execnz .LBB118_3865
.LBB118_3845:
	s_or_b32 exec_lo, exec_lo, s18
	v_mov_b32_e32 v3, 0
	s_and_saveexec_b32 s18, s35
	s_cbranch_execz .LBB118_3847
.LBB118_3846:
	v_and_b32_e32 v3, 0xffff, v5
	s_delay_alu instid0(VALU_DEP_1) | instskip(SKIP_1) | instid1(VALU_DEP_2)
	v_and_b32_e32 v7, 3, v3
	v_bfe_u32 v13, v3, 2, 5
	v_clz_i32_u32_e32 v9, v7
	s_delay_alu instid0(VALU_DEP_2) | instskip(NEXT) | instid1(VALU_DEP_2)
	v_cmp_eq_u32_e32 vcc_lo, 0, v13
	v_min_u32_e32 v9, 32, v9
	s_delay_alu instid0(VALU_DEP_1) | instskip(NEXT) | instid1(VALU_DEP_1)
	v_subrev_nc_u32_e32 v12, 29, v9
	v_dual_lshlrev_b32 v3, v12, v3 :: v_dual_sub_nc_u32 v9, 30, v9
	s_delay_alu instid0(VALU_DEP_1) | instskip(NEXT) | instid1(VALU_DEP_1)
	v_dual_lshlrev_b32 v5, 24, v5 :: v_dual_bitop2_b32 v3, 3, v3 bitop3:0x40
	v_dual_cndmask_b32 v3, v7, v3, vcc_lo :: v_dual_cndmask_b32 v9, v13, v9, vcc_lo
	s_delay_alu instid0(VALU_DEP_2) | instskip(NEXT) | instid1(VALU_DEP_2)
	v_and_b32_e32 v5, 0x80000000, v5
	v_lshlrev_b32_e32 v3, 21, v3
	s_delay_alu instid0(VALU_DEP_3) | instskip(NEXT) | instid1(VALU_DEP_1)
	v_lshl_add_u32 v7, v9, 23, 0x37800000
	v_or3_b32 v3, v5, v7, v3
	s_delay_alu instid0(VALU_DEP_1)
	v_cvt_i32_f32_e32 v3, v3
.LBB118_3847:
	s_or_b32 exec_lo, exec_lo, s18
	s_mov_b32 s18, 0
	s_branch .LBB118_3853
.LBB118_3848:
	s_mov_b32 s18, -1
                                        ; implicit-def: $vgpr3
	s_branch .LBB118_3859
.LBB118_3849:
	s_and_not1_saveexec_b32 s35, s35
	s_cbranch_execz .LBB118_3834
.LBB118_3850:
	v_cmp_ne_u16_e32 vcc_lo, 0, v5
	s_and_not1_b32 s40, s40, exec_lo
	s_and_b32 s41, vcc_lo, exec_lo
	s_delay_alu instid0(SALU_CYCLE_1)
	s_or_b32 s40, s40, s41
	s_or_b32 exec_lo, exec_lo, s35
	v_mov_b32_e32 v3, 0
	s_and_saveexec_b32 s35, s40
	s_cbranch_execnz .LBB118_3835
	s_branch .LBB118_3836
.LBB118_3851:
	s_mov_b32 s18, -1
                                        ; implicit-def: $vgpr3
	s_branch .LBB118_3856
.LBB118_3852:
	s_mov_b32 s18, -1
                                        ; implicit-def: $vgpr3
.LBB118_3853:
	s_delay_alu instid0(SALU_CYCLE_1)
	s_and_b32 vcc_lo, exec_lo, s18
	s_cbranch_vccz .LBB118_3855
; %bb.3854:
	s_wait_loadcnt 0x0
	global_load_u8 v3, v[10:11], off
	s_wait_loadcnt 0x0
	v_lshlrev_b32_e32 v3, 24, v3
	s_delay_alu instid0(VALU_DEP_1) | instskip(NEXT) | instid1(VALU_DEP_1)
	v_and_b32_e32 v5, 0x7f000000, v3
	v_clz_i32_u32_e32 v7, v5
	v_cmp_ne_u32_e32 vcc_lo, 0, v5
	v_add_nc_u32_e32 v12, 0x1000000, v5
	s_delay_alu instid0(VALU_DEP_3) | instskip(NEXT) | instid1(VALU_DEP_1)
	v_min_u32_e32 v7, 32, v7
	v_sub_nc_u32_e64 v7, v7, 4 clamp
	s_delay_alu instid0(VALU_DEP_1) | instskip(NEXT) | instid1(VALU_DEP_1)
	v_dual_lshlrev_b32 v9, v7, v5 :: v_dual_lshlrev_b32 v7, 23, v7
	v_lshrrev_b32_e32 v9, 4, v9
	s_delay_alu instid0(VALU_DEP_1) | instskip(NEXT) | instid1(VALU_DEP_1)
	v_dual_sub_nc_u32 v7, v9, v7 :: v_dual_ashrrev_i32 v9, 8, v12
	v_add_nc_u32_e32 v7, 0x3c000000, v7
	s_delay_alu instid0(VALU_DEP_1) | instskip(NEXT) | instid1(VALU_DEP_1)
	v_and_or_b32 v7, 0x7f800000, v9, v7
	v_cndmask_b32_e32 v5, 0, v7, vcc_lo
	s_delay_alu instid0(VALU_DEP_1) | instskip(NEXT) | instid1(VALU_DEP_1)
	v_and_or_b32 v3, 0x80000000, v3, v5
	v_cvt_i32_f32_e32 v3, v3
.LBB118_3855:
	s_mov_b32 s18, 0
.LBB118_3856:
	s_delay_alu instid0(SALU_CYCLE_1)
	s_and_not1_b32 vcc_lo, exec_lo, s18
	s_cbranch_vccnz .LBB118_3858
; %bb.3857:
	s_wait_loadcnt 0x0
	global_load_u8 v3, v[10:11], off
	s_wait_loadcnt 0x0
	v_lshlrev_b32_e32 v5, 25, v3
	v_lshlrev_b16 v3, 8, v3
	s_delay_alu instid0(VALU_DEP_1) | instskip(SKIP_1) | instid1(VALU_DEP_2)
	v_and_or_b32 v9, 0x7f00, v3, 0.5
	v_bfe_i32 v3, v3, 0, 16
	v_add_f32_e32 v9, -0.5, v9
	v_lshrrev_b32_e32 v7, 4, v5
	v_cmp_gt_u32_e32 vcc_lo, 0x8000000, v5
	s_delay_alu instid0(VALU_DEP_2) | instskip(NEXT) | instid1(VALU_DEP_1)
	v_or_b32_e32 v7, 0x70000000, v7
	v_mul_f32_e32 v7, 0x7800000, v7
	s_delay_alu instid0(VALU_DEP_1) | instskip(NEXT) | instid1(VALU_DEP_1)
	v_cndmask_b32_e32 v5, v7, v9, vcc_lo
	v_and_or_b32 v3, 0x80000000, v3, v5
	s_delay_alu instid0(VALU_DEP_1)
	v_cvt_i32_f32_e32 v3, v3
.LBB118_3858:
	s_mov_b32 s18, 0
	s_mov_b32 s35, -1
.LBB118_3859:
	s_and_not1_b32 vcc_lo, exec_lo, s18
	s_mov_b32 s18, 0
	s_cbranch_vccnz .LBB118_3870
; %bb.3860:
	s_cmp_gt_i32 s0, 14
	s_cbranch_scc0 .LBB118_3863
; %bb.3861:
	s_cmp_eq_u32 s0, 15
	s_cbranch_scc0 .LBB118_3866
; %bb.3862:
	s_wait_loadcnt 0x0
	global_load_u16 v3, v[10:11], off
	s_mov_b32 s1, 0
	s_mov_b32 s35, -1
	s_wait_loadcnt 0x0
	v_lshlrev_b32_e32 v3, 16, v3
	s_delay_alu instid0(VALU_DEP_1)
	v_cvt_i32_f32_e32 v3, v3
	s_branch .LBB118_3868
.LBB118_3863:
	s_mov_b32 s18, -1
	s_branch .LBB118_3867
.LBB118_3864:
	s_and_not1_saveexec_b32 s18, s18
	s_cbranch_execz .LBB118_3845
.LBB118_3865:
	v_cmp_ne_u16_e32 vcc_lo, 0, v5
	s_and_not1_b32 s35, s35, exec_lo
	s_and_b32 s40, vcc_lo, exec_lo
	s_delay_alu instid0(SALU_CYCLE_1)
	s_or_b32 s35, s35, s40
	s_or_b32 exec_lo, exec_lo, s18
	v_mov_b32_e32 v3, 0
	s_and_saveexec_b32 s18, s35
	s_cbranch_execnz .LBB118_3846
	s_branch .LBB118_3847
.LBB118_3866:
	s_mov_b32 s1, -1
.LBB118_3867:
                                        ; implicit-def: $vgpr3
.LBB118_3868:
	s_and_b32 vcc_lo, exec_lo, s18
	s_mov_b32 s18, 0
	s_cbranch_vccz .LBB118_3870
; %bb.3869:
	s_cmp_lg_u32 s0, 11
	s_mov_b32 s18, -1
	s_cselect_b32 s1, -1, 0
.LBB118_3870:
	s_delay_alu instid0(SALU_CYCLE_1)
	s_and_b32 vcc_lo, exec_lo, s1
	s_cbranch_vccnz .LBB118_3935
; %bb.3871:
	s_and_not1_b32 vcc_lo, exec_lo, s18
	s_cbranch_vccnz .LBB118_3873
.LBB118_3872:
	s_wait_loadcnt 0x0
	global_load_u8 v3, v[10:11], off
	s_mov_b32 s35, -1
	s_wait_loadcnt 0x0
	v_cmp_ne_u16_e32 vcc_lo, 0, v3
	v_cndmask_b32_e64 v3, 0, 1, vcc_lo
.LBB118_3873:
	s_mov_b32 s0, 0
.LBB118_3874:
	s_delay_alu instid0(SALU_CYCLE_1)
	s_and_b32 vcc_lo, exec_lo, s0
	s_cbranch_vccz .LBB118_3923
; %bb.3875:
	s_and_b32 s0, 0xffff, s56
	s_delay_alu instid0(SALU_CYCLE_1)
	s_cmp_lt_i32 s0, 5
	s_cbranch_scc1 .LBB118_3880
; %bb.3876:
	s_cmp_lt_i32 s0, 8
	s_cbranch_scc1 .LBB118_3881
; %bb.3877:
	;; [unrolled: 3-line block ×3, first 2 shown]
	s_cmp_gt_i32 s0, 9
	s_cbranch_scc0 .LBB118_3883
; %bb.3879:
	global_load_b64 v[12:13], v[10:11], off
	s_mov_b32 s1, 0
	s_wait_loadcnt 0x0
	v_cvt_i32_f64_e32 v3, v[12:13]
	s_branch .LBB118_3884
.LBB118_3880:
	s_mov_b32 s1, -1
                                        ; implicit-def: $vgpr3
	s_branch .LBB118_3902
.LBB118_3881:
	s_mov_b32 s1, -1
                                        ; implicit-def: $vgpr3
	s_branch .LBB118_3890
.LBB118_3882:
	s_mov_b32 s1, -1
                                        ; implicit-def: $vgpr3
	s_branch .LBB118_3887
.LBB118_3883:
	s_mov_b32 s1, -1
                                        ; implicit-def: $vgpr3
.LBB118_3884:
	s_delay_alu instid0(SALU_CYCLE_1)
	s_and_not1_b32 vcc_lo, exec_lo, s1
	s_cbranch_vccnz .LBB118_3886
; %bb.3885:
	s_wait_loadcnt 0x0
	global_load_b32 v3, v[10:11], off
	s_wait_loadcnt 0x0
	v_cvt_i32_f32_e32 v3, v3
.LBB118_3886:
	s_mov_b32 s1, 0
.LBB118_3887:
	s_delay_alu instid0(SALU_CYCLE_1)
	s_and_not1_b32 vcc_lo, exec_lo, s1
	s_cbranch_vccnz .LBB118_3889
; %bb.3888:
	s_wait_loadcnt 0x0
	global_load_b32 v3, v[10:11], off
	s_wait_loadcnt 0x0
	v_cvt_f32_f16_e32 v3, v3
	s_delay_alu instid0(VALU_DEP_1)
	v_cvt_i32_f32_e32 v3, v3
.LBB118_3889:
	s_mov_b32 s1, 0
.LBB118_3890:
	s_delay_alu instid0(SALU_CYCLE_1)
	s_and_not1_b32 vcc_lo, exec_lo, s1
	s_cbranch_vccnz .LBB118_3901
; %bb.3891:
	s_cmp_lt_i32 s0, 6
	s_cbranch_scc1 .LBB118_3894
; %bb.3892:
	s_cmp_gt_i32 s0, 6
	s_cbranch_scc0 .LBB118_3895
; %bb.3893:
	global_load_b64 v[12:13], v[10:11], off
	s_mov_b32 s1, 0
	s_wait_loadcnt 0x0
	v_cvt_i32_f64_e32 v3, v[12:13]
	s_branch .LBB118_3896
.LBB118_3894:
	s_mov_b32 s1, -1
                                        ; implicit-def: $vgpr3
	s_branch .LBB118_3899
.LBB118_3895:
	s_mov_b32 s1, -1
                                        ; implicit-def: $vgpr3
.LBB118_3896:
	s_delay_alu instid0(SALU_CYCLE_1)
	s_and_not1_b32 vcc_lo, exec_lo, s1
	s_cbranch_vccnz .LBB118_3898
; %bb.3897:
	s_wait_loadcnt 0x0
	global_load_b32 v3, v[10:11], off
	s_wait_loadcnt 0x0
	v_cvt_i32_f32_e32 v3, v3
.LBB118_3898:
	s_mov_b32 s1, 0
.LBB118_3899:
	s_delay_alu instid0(SALU_CYCLE_1)
	s_and_not1_b32 vcc_lo, exec_lo, s1
	s_cbranch_vccnz .LBB118_3901
; %bb.3900:
	s_wait_loadcnt 0x0
	global_load_u16 v3, v[10:11], off
	s_wait_loadcnt 0x0
	v_cvt_f32_f16_e32 v3, v3
	s_delay_alu instid0(VALU_DEP_1)
	v_cvt_i32_f32_e32 v3, v3
.LBB118_3901:
	s_mov_b32 s1, 0
.LBB118_3902:
	s_delay_alu instid0(SALU_CYCLE_1)
	s_and_not1_b32 vcc_lo, exec_lo, s1
	s_cbranch_vccnz .LBB118_3922
; %bb.3903:
	s_cmp_lt_i32 s0, 2
	s_cbranch_scc1 .LBB118_3907
; %bb.3904:
	s_cmp_lt_i32 s0, 3
	s_cbranch_scc1 .LBB118_3908
; %bb.3905:
	s_cmp_gt_i32 s0, 3
	s_cbranch_scc0 .LBB118_3909
; %bb.3906:
	s_wait_loadcnt 0x0
	global_load_b32 v3, v[10:11], off
	s_mov_b32 s1, 0
	s_branch .LBB118_3910
.LBB118_3907:
	s_mov_b32 s1, -1
                                        ; implicit-def: $vgpr3
	s_branch .LBB118_3916
.LBB118_3908:
	s_mov_b32 s1, -1
                                        ; implicit-def: $vgpr3
	s_branch .LBB118_3913
.LBB118_3909:
	s_mov_b32 s1, -1
                                        ; implicit-def: $vgpr3
.LBB118_3910:
	s_delay_alu instid0(SALU_CYCLE_1)
	s_and_not1_b32 vcc_lo, exec_lo, s1
	s_cbranch_vccnz .LBB118_3912
; %bb.3911:
	s_wait_loadcnt 0x0
	global_load_b32 v3, v[10:11], off
.LBB118_3912:
	s_mov_b32 s1, 0
.LBB118_3913:
	s_delay_alu instid0(SALU_CYCLE_1)
	s_and_not1_b32 vcc_lo, exec_lo, s1
	s_cbranch_vccnz .LBB118_3915
; %bb.3914:
	s_wait_loadcnt 0x0
	global_load_i16 v3, v[10:11], off
.LBB118_3915:
	s_mov_b32 s1, 0
.LBB118_3916:
	s_delay_alu instid0(SALU_CYCLE_1)
	s_and_not1_b32 vcc_lo, exec_lo, s1
	s_cbranch_vccnz .LBB118_3922
; %bb.3917:
	s_cmp_gt_i32 s0, 0
	s_mov_b32 s0, 0
	s_cbranch_scc0 .LBB118_3919
; %bb.3918:
	s_wait_loadcnt 0x0
	global_load_i8 v3, v[10:11], off
	s_branch .LBB118_3920
.LBB118_3919:
	s_mov_b32 s0, -1
                                        ; implicit-def: $vgpr3
.LBB118_3920:
	s_delay_alu instid0(SALU_CYCLE_1)
	s_and_not1_b32 vcc_lo, exec_lo, s0
	s_cbranch_vccnz .LBB118_3922
; %bb.3921:
	s_wait_loadcnt 0x0
	global_load_u8 v3, v[10:11], off
.LBB118_3922:
	s_mov_b32 s35, -1
.LBB118_3923:
	s_delay_alu instid0(SALU_CYCLE_1)
	s_and_not1_b32 vcc_lo, exec_lo, s35
	s_cbranch_vccnz .LBB118_4318
; %bb.3924:
	s_lshl_b32 s69, s19, 7
	s_cmp_lt_i32 s57, 11
	v_add_nc_u32_e32 v4, s69, v4
	s_delay_alu instid0(VALU_DEP_1) | instskip(NEXT) | instid1(VALU_DEP_1)
	v_ashrrev_i32_e32 v5, 31, v4
	v_add_nc_u64_e32 v[12:13], s[10:11], v[4:5]
	s_cbranch_scc1 .LBB118_3931
; %bb.3925:
	s_and_b32 s0, 0xffff, s57
	s_mov_b32 s18, 0
	s_cmp_gt_i32 s0, 25
	s_cbranch_scc0 .LBB118_3932
; %bb.3926:
	s_cmp_gt_i32 s0, 28
	s_cbranch_scc0 .LBB118_3933
; %bb.3927:
	;; [unrolled: 3-line block ×4, first 2 shown]
	s_cmp_eq_u32 s0, 46
	s_mov_b32 s35, 0
	s_cbranch_scc0 .LBB118_3939
; %bb.3930:
	global_load_b32 v5, v[12:13], off
	s_mov_b32 s1, 0
	s_mov_b32 s19, -1
	s_wait_loadcnt 0x0
	v_lshlrev_b32_e32 v5, 16, v5
	s_wait_xcnt 0x1
	s_delay_alu instid0(VALU_DEP_1)
	v_cvt_i32_f32_e32 v10, v5
	s_branch .LBB118_3941
.LBB118_3931:
	s_mov_b32 s0, -1
	s_mov_b32 s19, 0
                                        ; implicit-def: $vgpr10
	s_branch .LBB118_4003
.LBB118_3932:
	s_mov_b32 s35, -1
	s_mov_b32 s19, 0
	s_mov_b32 s1, 0
                                        ; implicit-def: $vgpr10
	s_branch .LBB118_3968
.LBB118_3933:
	s_mov_b32 s35, -1
	s_mov_b32 s19, 0
	s_mov_b32 s1, 0
                                        ; implicit-def: $vgpr10
	s_branch .LBB118_3951
.LBB118_3934:
	s_mov_b32 s35, -1
	s_mov_b32 s19, 0
	s_mov_b32 s1, 0
                                        ; implicit-def: $vgpr10
	s_branch .LBB118_3946
.LBB118_3935:
	s_or_b32 s17, s17, exec_lo
	s_trap 2
	s_cbranch_execz .LBB118_3872
	s_branch .LBB118_3873
.LBB118_3936:
	s_mov_b32 s35, -1
	s_mov_b32 s19, 0
	s_mov_b32 s1, 0
	s_branch .LBB118_3940
.LBB118_3937:
	s_or_b32 exec_lo, exec_lo, s59
	s_branch .LBB118_629
.LBB118_3938:
	s_or_b32 s21, s33, exec_lo
	s_trap 2
                                        ; implicit-def: $vgpr0
                                        ; implicit-def: $vgpr2
                                        ; implicit-def: $vgpr4
                                        ; implicit-def: $vgpr10
                                        ; implicit-def: $vgpr6
                                        ; implicit-def: $vgpr12
                                        ; implicit-def: $vgpr8
                                        ; implicit-def: $vgpr16
                                        ; implicit-def: $vgpr22
	s_branch .LBB118_3429
.LBB118_3939:
	s_mov_b32 s1, -1
	s_mov_b32 s19, 0
.LBB118_3940:
                                        ; implicit-def: $vgpr10
.LBB118_3941:
	s_and_b32 vcc_lo, exec_lo, s35
	s_cbranch_vccz .LBB118_3945
; %bb.3942:
	s_cmp_eq_u32 s0, 44
	s_cbranch_scc0 .LBB118_3944
; %bb.3943:
	global_load_u8 v5, v[12:13], off
	s_mov_b32 s1, 0
	s_mov_b32 s19, -1
	s_wait_loadcnt 0x0
	v_lshlrev_b32_e32 v7, 23, v5
	v_cmp_ne_u32_e32 vcc_lo, 0, v5
	s_delay_alu instid0(VALU_DEP_2) | instskip(SKIP_1) | instid1(VALU_DEP_1)
	v_cvt_i32_f32_e32 v7, v7
	s_wait_xcnt 0x1
	v_cndmask_b32_e32 v10, 0, v7, vcc_lo
	s_branch .LBB118_3945
.LBB118_3944:
	s_mov_b32 s1, -1
                                        ; implicit-def: $vgpr10
.LBB118_3945:
	s_mov_b32 s35, 0
.LBB118_3946:
	s_delay_alu instid0(SALU_CYCLE_1)
	s_and_b32 vcc_lo, exec_lo, s35
	s_cbranch_vccz .LBB118_3950
; %bb.3947:
	s_cmp_eq_u32 s0, 29
	s_cbranch_scc0 .LBB118_3949
; %bb.3948:
	global_load_b32 v10, v[12:13], off
	s_mov_b32 s1, 0
	s_mov_b32 s19, -1
	s_branch .LBB118_3950
.LBB118_3949:
	s_mov_b32 s1, -1
                                        ; implicit-def: $vgpr10
.LBB118_3950:
	s_mov_b32 s35, 0
.LBB118_3951:
	s_delay_alu instid0(SALU_CYCLE_1)
	s_and_b32 vcc_lo, exec_lo, s35
	s_cbranch_vccz .LBB118_3967
; %bb.3952:
	s_cmp_lt_i32 s0, 27
	s_cbranch_scc1 .LBB118_3955
; %bb.3953:
	s_cmp_gt_i32 s0, 27
	s_cbranch_scc0 .LBB118_3956
; %bb.3954:
	s_wait_loadcnt 0x0
	global_load_b32 v10, v[12:13], off
	s_mov_b32 s19, 0
	s_branch .LBB118_3957
.LBB118_3955:
	s_mov_b32 s19, -1
                                        ; implicit-def: $vgpr10
	s_branch .LBB118_3960
.LBB118_3956:
	s_mov_b32 s19, -1
                                        ; implicit-def: $vgpr10
.LBB118_3957:
	s_delay_alu instid0(SALU_CYCLE_1)
	s_and_not1_b32 vcc_lo, exec_lo, s19
	s_cbranch_vccnz .LBB118_3959
; %bb.3958:
	s_wait_loadcnt 0x0
	global_load_u16 v10, v[12:13], off
.LBB118_3959:
	s_mov_b32 s19, 0
.LBB118_3960:
	s_delay_alu instid0(SALU_CYCLE_1)
	s_and_not1_b32 vcc_lo, exec_lo, s19
	s_cbranch_vccnz .LBB118_3966
; %bb.3961:
	global_load_u8 v5, v[12:13], off
	s_mov_b32 s35, 0
	s_mov_b32 s19, exec_lo
	s_wait_loadcnt 0x0
	v_cmpx_lt_i16_e32 0x7f, v5
	s_xor_b32 s19, exec_lo, s19
	s_cbranch_execz .LBB118_3978
; %bb.3962:
	v_cmp_ne_u16_e32 vcc_lo, 0x80, v5
	s_and_b32 s35, vcc_lo, exec_lo
	s_and_not1_saveexec_b32 s19, s19
	s_cbranch_execnz .LBB118_3979
.LBB118_3963:
	s_or_b32 exec_lo, exec_lo, s19
	v_mov_b32_e32 v10, 0
	s_and_saveexec_b32 s19, s35
	s_cbranch_execz .LBB118_3965
.LBB118_3964:
	v_and_b32_e32 v7, 0xffff, v5
	s_delay_alu instid0(VALU_DEP_1) | instskip(SKIP_1) | instid1(VALU_DEP_2)
	v_and_b32_e32 v9, 7, v7
	v_bfe_u32 v14, v7, 3, 4
	v_clz_i32_u32_e32 v10, v9
	s_delay_alu instid0(VALU_DEP_2) | instskip(NEXT) | instid1(VALU_DEP_2)
	v_cmp_eq_u32_e32 vcc_lo, 0, v14
	v_min_u32_e32 v10, 32, v10
	s_delay_alu instid0(VALU_DEP_1) | instskip(NEXT) | instid1(VALU_DEP_1)
	v_subrev_nc_u32_e32 v11, 28, v10
	v_dual_lshlrev_b32 v7, v11, v7 :: v_dual_sub_nc_u32 v10, 29, v10
	s_delay_alu instid0(VALU_DEP_1) | instskip(NEXT) | instid1(VALU_DEP_1)
	v_dual_lshlrev_b32 v5, 24, v5 :: v_dual_bitop2_b32 v7, 7, v7 bitop3:0x40
	v_dual_cndmask_b32 v10, v14, v10 :: v_dual_cndmask_b32 v7, v9, v7
	s_delay_alu instid0(VALU_DEP_2) | instskip(NEXT) | instid1(VALU_DEP_2)
	v_and_b32_e32 v5, 0x80000000, v5
	v_lshl_add_u32 v9, v10, 23, 0x3b800000
	s_delay_alu instid0(VALU_DEP_3) | instskip(NEXT) | instid1(VALU_DEP_1)
	v_lshlrev_b32_e32 v7, 20, v7
	v_or3_b32 v5, v5, v9, v7
	s_delay_alu instid0(VALU_DEP_1)
	v_cvt_i32_f32_e32 v10, v5
.LBB118_3965:
	s_or_b32 exec_lo, exec_lo, s19
.LBB118_3966:
	s_mov_b32 s19, -1
.LBB118_3967:
	s_mov_b32 s35, 0
.LBB118_3968:
	s_delay_alu instid0(SALU_CYCLE_1)
	s_and_b32 vcc_lo, exec_lo, s35
	s_cbranch_vccz .LBB118_3999
; %bb.3969:
	s_cmp_gt_i32 s0, 22
	s_cbranch_scc0 .LBB118_3977
; %bb.3970:
	s_cmp_lt_i32 s0, 24
	s_cbranch_scc1 .LBB118_3980
; %bb.3971:
	s_cmp_gt_i32 s0, 24
	s_cbranch_scc0 .LBB118_3981
; %bb.3972:
	global_load_u8 v5, v[12:13], off
	s_mov_b32 s19, 0
	s_mov_b32 s18, exec_lo
	s_wait_loadcnt 0x0
	v_cmpx_lt_i16_e32 0x7f, v5
	s_xor_b32 s18, exec_lo, s18
	s_cbranch_execz .LBB118_3993
; %bb.3973:
	v_cmp_ne_u16_e32 vcc_lo, 0x80, v5
	s_and_b32 s19, vcc_lo, exec_lo
	s_and_not1_saveexec_b32 s18, s18
	s_cbranch_execnz .LBB118_3994
.LBB118_3974:
	s_or_b32 exec_lo, exec_lo, s18
	v_mov_b32_e32 v10, 0
	s_and_saveexec_b32 s18, s19
	s_cbranch_execz .LBB118_3976
.LBB118_3975:
	v_and_b32_e32 v7, 0xffff, v5
	s_delay_alu instid0(VALU_DEP_1) | instskip(SKIP_1) | instid1(VALU_DEP_2)
	v_and_b32_e32 v9, 3, v7
	v_bfe_u32 v14, v7, 2, 5
	v_clz_i32_u32_e32 v10, v9
	s_delay_alu instid0(VALU_DEP_2) | instskip(NEXT) | instid1(VALU_DEP_2)
	v_cmp_eq_u32_e32 vcc_lo, 0, v14
	v_min_u32_e32 v10, 32, v10
	s_delay_alu instid0(VALU_DEP_1) | instskip(NEXT) | instid1(VALU_DEP_1)
	v_subrev_nc_u32_e32 v11, 29, v10
	v_dual_lshlrev_b32 v7, v11, v7 :: v_dual_sub_nc_u32 v10, 30, v10
	s_delay_alu instid0(VALU_DEP_1) | instskip(NEXT) | instid1(VALU_DEP_1)
	v_dual_lshlrev_b32 v5, 24, v5 :: v_dual_bitop2_b32 v7, 3, v7 bitop3:0x40
	v_dual_cndmask_b32 v10, v14, v10 :: v_dual_cndmask_b32 v7, v9, v7
	s_delay_alu instid0(VALU_DEP_2) | instskip(NEXT) | instid1(VALU_DEP_2)
	v_and_b32_e32 v5, 0x80000000, v5
	v_lshl_add_u32 v9, v10, 23, 0x37800000
	s_delay_alu instid0(VALU_DEP_3) | instskip(NEXT) | instid1(VALU_DEP_1)
	v_lshlrev_b32_e32 v7, 21, v7
	v_or3_b32 v5, v5, v9, v7
	s_delay_alu instid0(VALU_DEP_1)
	v_cvt_i32_f32_e32 v10, v5
.LBB118_3976:
	s_or_b32 exec_lo, exec_lo, s18
	s_mov_b32 s18, 0
	s_branch .LBB118_3982
.LBB118_3977:
	s_mov_b32 s18, -1
                                        ; implicit-def: $vgpr10
	s_branch .LBB118_3988
.LBB118_3978:
	s_and_not1_saveexec_b32 s19, s19
	s_cbranch_execz .LBB118_3963
.LBB118_3979:
	v_cmp_ne_u16_e32 vcc_lo, 0, v5
	s_and_not1_b32 s35, s35, exec_lo
	s_and_b32 s40, vcc_lo, exec_lo
	s_delay_alu instid0(SALU_CYCLE_1)
	s_or_b32 s35, s35, s40
	s_or_b32 exec_lo, exec_lo, s19
	v_mov_b32_e32 v10, 0
	s_and_saveexec_b32 s19, s35
	s_cbranch_execnz .LBB118_3964
	s_branch .LBB118_3965
.LBB118_3980:
	s_mov_b32 s18, -1
                                        ; implicit-def: $vgpr10
	s_branch .LBB118_3985
.LBB118_3981:
	s_mov_b32 s18, -1
                                        ; implicit-def: $vgpr10
.LBB118_3982:
	s_delay_alu instid0(SALU_CYCLE_1)
	s_and_b32 vcc_lo, exec_lo, s18
	s_cbranch_vccz .LBB118_3984
; %bb.3983:
	global_load_u8 v5, v[12:13], off
	s_wait_loadcnt 0x0
	v_lshlrev_b32_e32 v5, 24, v5
	s_delay_alu instid0(VALU_DEP_1) | instskip(NEXT) | instid1(VALU_DEP_1)
	v_and_b32_e32 v7, 0x7f000000, v5
	v_clz_i32_u32_e32 v9, v7
	s_wait_xcnt 0x1
	v_add_nc_u32_e32 v11, 0x1000000, v7
	v_cmp_ne_u32_e32 vcc_lo, 0, v7
	s_delay_alu instid0(VALU_DEP_3) | instskip(NEXT) | instid1(VALU_DEP_1)
	v_min_u32_e32 v9, 32, v9
	v_sub_nc_u32_e64 v9, v9, 4 clamp
	s_delay_alu instid0(VALU_DEP_1) | instskip(NEXT) | instid1(VALU_DEP_1)
	v_dual_lshlrev_b32 v10, v9, v7 :: v_dual_lshlrev_b32 v9, 23, v9
	v_lshrrev_b32_e32 v10, 4, v10
	s_delay_alu instid0(VALU_DEP_1) | instskip(NEXT) | instid1(VALU_DEP_1)
	v_dual_sub_nc_u32 v9, v10, v9 :: v_dual_ashrrev_i32 v10, 8, v11
	v_add_nc_u32_e32 v9, 0x3c000000, v9
	s_delay_alu instid0(VALU_DEP_1) | instskip(NEXT) | instid1(VALU_DEP_1)
	v_and_or_b32 v9, 0x7f800000, v10, v9
	v_cndmask_b32_e32 v7, 0, v9, vcc_lo
	s_delay_alu instid0(VALU_DEP_1) | instskip(NEXT) | instid1(VALU_DEP_1)
	v_and_or_b32 v5, 0x80000000, v5, v7
	v_cvt_i32_f32_e32 v10, v5
.LBB118_3984:
	s_mov_b32 s18, 0
.LBB118_3985:
	s_delay_alu instid0(SALU_CYCLE_1)
	s_and_not1_b32 vcc_lo, exec_lo, s18
	s_cbranch_vccnz .LBB118_3987
; %bb.3986:
	global_load_u8 v5, v[12:13], off
	s_wait_loadcnt 0x0
	v_lshlrev_b32_e32 v7, 25, v5
	v_lshlrev_b16 v5, 8, v5
	s_wait_xcnt 0x1
	s_delay_alu instid0(VALU_DEP_1) | instskip(SKIP_1) | instid1(VALU_DEP_2)
	v_and_or_b32 v10, 0x7f00, v5, 0.5
	v_bfe_i32 v5, v5, 0, 16
	v_dual_add_f32 v10, -0.5, v10 :: v_dual_lshrrev_b32 v9, 4, v7
	v_cmp_gt_u32_e32 vcc_lo, 0x8000000, v7
	s_delay_alu instid0(VALU_DEP_2) | instskip(NEXT) | instid1(VALU_DEP_1)
	v_or_b32_e32 v9, 0x70000000, v9
	v_mul_f32_e32 v9, 0x7800000, v9
	s_delay_alu instid0(VALU_DEP_1) | instskip(NEXT) | instid1(VALU_DEP_1)
	v_cndmask_b32_e32 v7, v9, v10, vcc_lo
	v_and_or_b32 v5, 0x80000000, v5, v7
	s_delay_alu instid0(VALU_DEP_1)
	v_cvt_i32_f32_e32 v10, v5
.LBB118_3987:
	s_mov_b32 s18, 0
	s_mov_b32 s19, -1
.LBB118_3988:
	s_and_not1_b32 vcc_lo, exec_lo, s18
	s_mov_b32 s18, 0
	s_cbranch_vccnz .LBB118_3999
; %bb.3989:
	s_cmp_gt_i32 s0, 14
	s_cbranch_scc0 .LBB118_3992
; %bb.3990:
	s_cmp_eq_u32 s0, 15
	s_cbranch_scc0 .LBB118_3995
; %bb.3991:
	global_load_u16 v5, v[12:13], off
	s_mov_b32 s1, 0
	s_mov_b32 s19, -1
	s_wait_loadcnt 0x0
	v_lshlrev_b32_e32 v5, 16, v5
	s_wait_xcnt 0x1
	s_delay_alu instid0(VALU_DEP_1)
	v_cvt_i32_f32_e32 v10, v5
	s_branch .LBB118_3997
.LBB118_3992:
	s_mov_b32 s18, -1
	s_branch .LBB118_3996
.LBB118_3993:
	s_and_not1_saveexec_b32 s18, s18
	s_cbranch_execz .LBB118_3974
.LBB118_3994:
	v_cmp_ne_u16_e32 vcc_lo, 0, v5
	s_and_not1_b32 s19, s19, exec_lo
	s_and_b32 s35, vcc_lo, exec_lo
	s_delay_alu instid0(SALU_CYCLE_1)
	s_or_b32 s19, s19, s35
	s_or_b32 exec_lo, exec_lo, s18
	v_mov_b32_e32 v10, 0
	s_and_saveexec_b32 s18, s19
	s_cbranch_execnz .LBB118_3975
	s_branch .LBB118_3976
.LBB118_3995:
	s_mov_b32 s1, -1
.LBB118_3996:
                                        ; implicit-def: $vgpr10
.LBB118_3997:
	s_and_b32 vcc_lo, exec_lo, s18
	s_mov_b32 s18, 0
	s_cbranch_vccz .LBB118_3999
; %bb.3998:
	s_cmp_lg_u32 s0, 11
	s_mov_b32 s18, -1
	s_cselect_b32 s1, -1, 0
.LBB118_3999:
	s_delay_alu instid0(SALU_CYCLE_1)
	s_and_b32 vcc_lo, exec_lo, s1
	s_cbranch_vccnz .LBB118_4064
; %bb.4000:
	s_and_not1_b32 vcc_lo, exec_lo, s18
	s_cbranch_vccnz .LBB118_4002
.LBB118_4001:
	global_load_u8 v5, v[12:13], off
	s_mov_b32 s19, -1
	s_wait_loadcnt 0x0
	v_cmp_ne_u16_e32 vcc_lo, 0, v5
	s_wait_xcnt 0x1
	v_cndmask_b32_e64 v10, 0, 1, vcc_lo
.LBB118_4002:
	s_mov_b32 s0, 0
.LBB118_4003:
	s_delay_alu instid0(SALU_CYCLE_1)
	s_and_b32 vcc_lo, exec_lo, s0
	s_cbranch_vccz .LBB118_4052
; %bb.4004:
	s_and_b32 s0, 0xffff, s57
	s_delay_alu instid0(SALU_CYCLE_1)
	s_cmp_lt_i32 s0, 5
	s_cbranch_scc1 .LBB118_4009
; %bb.4005:
	s_cmp_lt_i32 s0, 8
	s_cbranch_scc1 .LBB118_4010
; %bb.4006:
	;; [unrolled: 3-line block ×3, first 2 shown]
	s_cmp_gt_i32 s0, 9
	s_cbranch_scc0 .LBB118_4012
; %bb.4008:
	s_wait_loadcnt 0x0
	global_load_b64 v[10:11], v[12:13], off
	s_mov_b32 s1, 0
	s_wait_loadcnt 0x0
	v_cvt_i32_f64_e32 v10, v[10:11]
	s_branch .LBB118_4013
.LBB118_4009:
	s_mov_b32 s1, -1
                                        ; implicit-def: $vgpr10
	s_branch .LBB118_4031
.LBB118_4010:
	s_mov_b32 s1, -1
                                        ; implicit-def: $vgpr10
	s_branch .LBB118_4019
.LBB118_4011:
	s_mov_b32 s1, -1
                                        ; implicit-def: $vgpr10
	s_branch .LBB118_4016
.LBB118_4012:
	s_mov_b32 s1, -1
                                        ; implicit-def: $vgpr10
.LBB118_4013:
	s_delay_alu instid0(SALU_CYCLE_1)
	s_and_not1_b32 vcc_lo, exec_lo, s1
	s_cbranch_vccnz .LBB118_4015
; %bb.4014:
	global_load_b32 v5, v[12:13], off
	s_wait_loadcnt 0x0
	s_wait_xcnt 0x1
	v_cvt_i32_f32_e32 v10, v5
.LBB118_4015:
	s_mov_b32 s1, 0
.LBB118_4016:
	s_delay_alu instid0(SALU_CYCLE_1)
	s_and_not1_b32 vcc_lo, exec_lo, s1
	s_cbranch_vccnz .LBB118_4018
; %bb.4017:
	global_load_b32 v5, v[12:13], off
	s_wait_loadcnt 0x0
	v_cvt_f32_f16_e32 v5, v5
	s_wait_xcnt 0x1
	s_delay_alu instid0(VALU_DEP_1)
	v_cvt_i32_f32_e32 v10, v5
.LBB118_4018:
	s_mov_b32 s1, 0
.LBB118_4019:
	s_delay_alu instid0(SALU_CYCLE_1)
	s_and_not1_b32 vcc_lo, exec_lo, s1
	s_cbranch_vccnz .LBB118_4030
; %bb.4020:
	s_cmp_lt_i32 s0, 6
	s_cbranch_scc1 .LBB118_4023
; %bb.4021:
	s_cmp_gt_i32 s0, 6
	s_cbranch_scc0 .LBB118_4024
; %bb.4022:
	s_wait_loadcnt 0x0
	global_load_b64 v[10:11], v[12:13], off
	s_mov_b32 s1, 0
	s_wait_loadcnt 0x0
	v_cvt_i32_f64_e32 v10, v[10:11]
	s_branch .LBB118_4025
.LBB118_4023:
	s_mov_b32 s1, -1
                                        ; implicit-def: $vgpr10
	s_branch .LBB118_4028
.LBB118_4024:
	s_mov_b32 s1, -1
                                        ; implicit-def: $vgpr10
.LBB118_4025:
	s_delay_alu instid0(SALU_CYCLE_1)
	s_and_not1_b32 vcc_lo, exec_lo, s1
	s_cbranch_vccnz .LBB118_4027
; %bb.4026:
	global_load_b32 v5, v[12:13], off
	s_wait_loadcnt 0x0
	s_wait_xcnt 0x1
	v_cvt_i32_f32_e32 v10, v5
.LBB118_4027:
	s_mov_b32 s1, 0
.LBB118_4028:
	s_delay_alu instid0(SALU_CYCLE_1)
	s_and_not1_b32 vcc_lo, exec_lo, s1
	s_cbranch_vccnz .LBB118_4030
; %bb.4029:
	global_load_u16 v5, v[12:13], off
	s_wait_loadcnt 0x0
	v_cvt_f32_f16_e32 v5, v5
	s_wait_xcnt 0x1
	s_delay_alu instid0(VALU_DEP_1)
	v_cvt_i32_f32_e32 v10, v5
.LBB118_4030:
	s_mov_b32 s1, 0
.LBB118_4031:
	s_delay_alu instid0(SALU_CYCLE_1)
	s_and_not1_b32 vcc_lo, exec_lo, s1
	s_cbranch_vccnz .LBB118_4051
; %bb.4032:
	s_cmp_lt_i32 s0, 2
	s_cbranch_scc1 .LBB118_4036
; %bb.4033:
	s_cmp_lt_i32 s0, 3
	s_cbranch_scc1 .LBB118_4037
; %bb.4034:
	s_cmp_gt_i32 s0, 3
	s_cbranch_scc0 .LBB118_4038
; %bb.4035:
	s_wait_loadcnt 0x0
	global_load_b32 v10, v[12:13], off
	s_mov_b32 s1, 0
	s_branch .LBB118_4039
.LBB118_4036:
	s_mov_b32 s1, -1
                                        ; implicit-def: $vgpr10
	s_branch .LBB118_4045
.LBB118_4037:
	s_mov_b32 s1, -1
                                        ; implicit-def: $vgpr10
	s_branch .LBB118_4042
.LBB118_4038:
	s_mov_b32 s1, -1
                                        ; implicit-def: $vgpr10
.LBB118_4039:
	s_delay_alu instid0(SALU_CYCLE_1)
	s_and_not1_b32 vcc_lo, exec_lo, s1
	s_cbranch_vccnz .LBB118_4041
; %bb.4040:
	s_wait_loadcnt 0x0
	global_load_b32 v10, v[12:13], off
.LBB118_4041:
	s_mov_b32 s1, 0
.LBB118_4042:
	s_delay_alu instid0(SALU_CYCLE_1)
	s_and_not1_b32 vcc_lo, exec_lo, s1
	s_cbranch_vccnz .LBB118_4044
; %bb.4043:
	s_wait_loadcnt 0x0
	global_load_i16 v10, v[12:13], off
.LBB118_4044:
	s_mov_b32 s1, 0
.LBB118_4045:
	s_delay_alu instid0(SALU_CYCLE_1)
	s_and_not1_b32 vcc_lo, exec_lo, s1
	s_cbranch_vccnz .LBB118_4051
; %bb.4046:
	s_cmp_gt_i32 s0, 0
	s_mov_b32 s0, 0
	s_cbranch_scc0 .LBB118_4048
; %bb.4047:
	s_wait_loadcnt 0x0
	global_load_i8 v10, v[12:13], off
	s_branch .LBB118_4049
.LBB118_4048:
	s_mov_b32 s0, -1
                                        ; implicit-def: $vgpr10
.LBB118_4049:
	s_delay_alu instid0(SALU_CYCLE_1)
	s_and_not1_b32 vcc_lo, exec_lo, s0
	s_cbranch_vccnz .LBB118_4051
; %bb.4050:
	s_wait_loadcnt 0x0
	global_load_u8 v10, v[12:13], off
.LBB118_4051:
	s_mov_b32 s19, -1
.LBB118_4052:
	s_delay_alu instid0(SALU_CYCLE_1)
	s_and_not1_b32 vcc_lo, exec_lo, s19
	s_cbranch_vccnz .LBB118_4318
; %bb.4053:
	s_lshl_b32 s70, s36, 7
	s_cmp_lt_i32 s58, 11
	v_add_nc_u32_e32 v6, s70, v6
	s_delay_alu instid0(VALU_DEP_1) | instskip(NEXT) | instid1(VALU_DEP_1)
	v_ashrrev_i32_e32 v7, 31, v6
	v_add_nc_u64_e32 v[14:15], s[12:13], v[6:7]
	s_cbranch_scc1 .LBB118_4060
; %bb.4054:
	s_and_b32 s0, 0xffff, s58
	s_mov_b32 s18, 0
	s_cmp_gt_i32 s0, 25
	s_cbranch_scc0 .LBB118_4061
; %bb.4055:
	s_cmp_gt_i32 s0, 28
	s_cbranch_scc0 .LBB118_4062
; %bb.4056:
	;; [unrolled: 3-line block ×4, first 2 shown]
	s_cmp_eq_u32 s0, 46
	s_mov_b32 s35, 0
	s_cbranch_scc0 .LBB118_4068
; %bb.4059:
	global_load_b32 v5, v[14:15], off
	s_mov_b32 s1, 0
	s_mov_b32 s19, -1
	s_wait_loadcnt 0x0
	v_lshlrev_b32_e32 v5, 16, v5
	s_wait_xcnt 0x1
	s_delay_alu instid0(VALU_DEP_1)
	v_cvt_i32_f32_e32 v12, v5
	s_branch .LBB118_4070
.LBB118_4060:
	s_mov_b32 s0, -1
	s_mov_b32 s19, 0
                                        ; implicit-def: $vgpr12
	s_branch .LBB118_4132
.LBB118_4061:
	s_mov_b32 s35, -1
	s_mov_b32 s19, 0
	s_mov_b32 s1, 0
                                        ; implicit-def: $vgpr12
	s_branch .LBB118_4097
.LBB118_4062:
	s_mov_b32 s35, -1
	s_mov_b32 s19, 0
	s_mov_b32 s1, 0
                                        ; implicit-def: $vgpr12
	s_branch .LBB118_4080
.LBB118_4063:
	s_mov_b32 s35, -1
	s_mov_b32 s19, 0
	s_mov_b32 s1, 0
                                        ; implicit-def: $vgpr12
	s_branch .LBB118_4075
.LBB118_4064:
	s_or_b32 s17, s17, exec_lo
	s_trap 2
	s_cbranch_execz .LBB118_4001
	s_branch .LBB118_4002
.LBB118_4065:
	s_mov_b32 s35, -1
	s_mov_b32 s19, 0
	s_mov_b32 s1, 0
	s_branch .LBB118_4069
.LBB118_4066:
	s_or_b32 exec_lo, exec_lo, s76
	s_branch .LBB118_1298
.LBB118_4067:
	s_or_b32 s39, s21, exec_lo
	s_trap 2
                                        ; implicit-def: $vgpr0
                                        ; implicit-def: $vgpr2
                                        ; implicit-def: $vgpr4
                                        ; implicit-def: $vgpr10
                                        ; implicit-def: $vgpr6
                                        ; implicit-def: $vgpr12
                                        ; implicit-def: $vgpr8
                                        ; implicit-def: $vgpr16
                                        ; implicit-def: $vgpr22
	s_branch .LBB118_3431
.LBB118_4068:
	s_mov_b32 s1, -1
	s_mov_b32 s19, 0
.LBB118_4069:
                                        ; implicit-def: $vgpr12
.LBB118_4070:
	s_and_b32 vcc_lo, exec_lo, s35
	s_cbranch_vccz .LBB118_4074
; %bb.4071:
	s_cmp_eq_u32 s0, 44
	s_cbranch_scc0 .LBB118_4073
; %bb.4072:
	global_load_u8 v5, v[14:15], off
	s_mov_b32 s1, 0
	s_mov_b32 s19, -1
	s_wait_loadcnt 0x0
	v_lshlrev_b32_e32 v7, 23, v5
	v_cmp_ne_u32_e32 vcc_lo, 0, v5
	s_delay_alu instid0(VALU_DEP_2) | instskip(SKIP_1) | instid1(VALU_DEP_1)
	v_cvt_i32_f32_e32 v7, v7
	s_wait_xcnt 0x1
	v_cndmask_b32_e32 v12, 0, v7, vcc_lo
	s_branch .LBB118_4074
.LBB118_4073:
	s_mov_b32 s1, -1
                                        ; implicit-def: $vgpr12
.LBB118_4074:
	s_mov_b32 s35, 0
.LBB118_4075:
	s_delay_alu instid0(SALU_CYCLE_1)
	s_and_b32 vcc_lo, exec_lo, s35
	s_cbranch_vccz .LBB118_4079
; %bb.4076:
	s_cmp_eq_u32 s0, 29
	s_cbranch_scc0 .LBB118_4078
; %bb.4077:
	global_load_b32 v12, v[14:15], off
	s_mov_b32 s1, 0
	s_mov_b32 s19, -1
	s_branch .LBB118_4079
.LBB118_4078:
	s_mov_b32 s1, -1
                                        ; implicit-def: $vgpr12
.LBB118_4079:
	s_mov_b32 s35, 0
.LBB118_4080:
	s_delay_alu instid0(SALU_CYCLE_1)
	s_and_b32 vcc_lo, exec_lo, s35
	s_cbranch_vccz .LBB118_4096
; %bb.4081:
	s_cmp_lt_i32 s0, 27
	s_cbranch_scc1 .LBB118_4084
; %bb.4082:
	s_cmp_gt_i32 s0, 27
	s_cbranch_scc0 .LBB118_4085
; %bb.4083:
	s_wait_loadcnt 0x0
	global_load_b32 v12, v[14:15], off
	s_mov_b32 s19, 0
	s_branch .LBB118_4086
.LBB118_4084:
	s_mov_b32 s19, -1
                                        ; implicit-def: $vgpr12
	s_branch .LBB118_4089
.LBB118_4085:
	s_mov_b32 s19, -1
                                        ; implicit-def: $vgpr12
.LBB118_4086:
	s_delay_alu instid0(SALU_CYCLE_1)
	s_and_not1_b32 vcc_lo, exec_lo, s19
	s_cbranch_vccnz .LBB118_4088
; %bb.4087:
	s_wait_loadcnt 0x0
	global_load_u16 v12, v[14:15], off
.LBB118_4088:
	s_mov_b32 s19, 0
.LBB118_4089:
	s_delay_alu instid0(SALU_CYCLE_1)
	s_and_not1_b32 vcc_lo, exec_lo, s19
	s_cbranch_vccnz .LBB118_4095
; %bb.4090:
	global_load_u8 v5, v[14:15], off
	s_mov_b32 s35, 0
	s_mov_b32 s19, exec_lo
	s_wait_loadcnt 0x0
	v_cmpx_lt_i16_e32 0x7f, v5
	s_xor_b32 s19, exec_lo, s19
	s_cbranch_execz .LBB118_4107
; %bb.4091:
	v_cmp_ne_u16_e32 vcc_lo, 0x80, v5
	s_and_b32 s35, vcc_lo, exec_lo
	s_and_not1_saveexec_b32 s19, s19
	s_cbranch_execnz .LBB118_4108
.LBB118_4092:
	s_or_b32 exec_lo, exec_lo, s19
	v_mov_b32_e32 v12, 0
	s_and_saveexec_b32 s19, s35
	s_cbranch_execz .LBB118_4094
.LBB118_4093:
	v_and_b32_e32 v7, 0xffff, v5
	s_delay_alu instid0(VALU_DEP_1) | instskip(SKIP_1) | instid1(VALU_DEP_2)
	v_dual_lshlrev_b32 v5, 24, v5 :: v_dual_bitop2_b32 v9, 7, v7 bitop3:0x40
	v_bfe_u32 v13, v7, 3, 4
	v_and_b32_e32 v5, 0x80000000, v5
	s_delay_alu instid0(VALU_DEP_3) | instskip(NEXT) | instid1(VALU_DEP_3)
	v_clz_i32_u32_e32 v11, v9
	v_cmp_eq_u32_e32 vcc_lo, 0, v13
	s_delay_alu instid0(VALU_DEP_2) | instskip(NEXT) | instid1(VALU_DEP_1)
	v_min_u32_e32 v11, 32, v11
	v_subrev_nc_u32_e32 v12, 28, v11
	v_sub_nc_u32_e32 v11, 29, v11
	s_delay_alu instid0(VALU_DEP_2) | instskip(NEXT) | instid1(VALU_DEP_2)
	v_lshlrev_b32_e32 v7, v12, v7
	v_cndmask_b32_e32 v11, v13, v11, vcc_lo
	s_delay_alu instid0(VALU_DEP_2) | instskip(NEXT) | instid1(VALU_DEP_1)
	v_and_b32_e32 v7, 7, v7
	v_cndmask_b32_e32 v7, v9, v7, vcc_lo
	s_delay_alu instid0(VALU_DEP_3) | instskip(NEXT) | instid1(VALU_DEP_2)
	v_lshl_add_u32 v9, v11, 23, 0x3b800000
	v_lshlrev_b32_e32 v7, 20, v7
	s_delay_alu instid0(VALU_DEP_1) | instskip(NEXT) | instid1(VALU_DEP_1)
	v_or3_b32 v5, v5, v9, v7
	v_cvt_i32_f32_e32 v12, v5
.LBB118_4094:
	s_or_b32 exec_lo, exec_lo, s19
.LBB118_4095:
	s_mov_b32 s19, -1
.LBB118_4096:
	s_mov_b32 s35, 0
.LBB118_4097:
	s_delay_alu instid0(SALU_CYCLE_1)
	s_and_b32 vcc_lo, exec_lo, s35
	s_cbranch_vccz .LBB118_4128
; %bb.4098:
	s_cmp_gt_i32 s0, 22
	s_cbranch_scc0 .LBB118_4106
; %bb.4099:
	s_cmp_lt_i32 s0, 24
	s_cbranch_scc1 .LBB118_4109
; %bb.4100:
	s_cmp_gt_i32 s0, 24
	s_cbranch_scc0 .LBB118_4110
; %bb.4101:
	global_load_u8 v5, v[14:15], off
	s_mov_b32 s19, 0
	s_mov_b32 s18, exec_lo
	s_wait_loadcnt 0x0
	v_cmpx_lt_i16_e32 0x7f, v5
	s_xor_b32 s18, exec_lo, s18
	s_cbranch_execz .LBB118_4122
; %bb.4102:
	v_cmp_ne_u16_e32 vcc_lo, 0x80, v5
	s_and_b32 s19, vcc_lo, exec_lo
	s_and_not1_saveexec_b32 s18, s18
	s_cbranch_execnz .LBB118_4123
.LBB118_4103:
	s_or_b32 exec_lo, exec_lo, s18
	v_mov_b32_e32 v12, 0
	s_and_saveexec_b32 s18, s19
	s_cbranch_execz .LBB118_4105
.LBB118_4104:
	v_and_b32_e32 v7, 0xffff, v5
	s_delay_alu instid0(VALU_DEP_1) | instskip(SKIP_1) | instid1(VALU_DEP_2)
	v_dual_lshlrev_b32 v5, 24, v5 :: v_dual_bitop2_b32 v9, 3, v7 bitop3:0x40
	v_bfe_u32 v13, v7, 2, 5
	v_and_b32_e32 v5, 0x80000000, v5
	s_delay_alu instid0(VALU_DEP_3) | instskip(NEXT) | instid1(VALU_DEP_3)
	v_clz_i32_u32_e32 v11, v9
	v_cmp_eq_u32_e32 vcc_lo, 0, v13
	s_delay_alu instid0(VALU_DEP_2) | instskip(NEXT) | instid1(VALU_DEP_1)
	v_min_u32_e32 v11, 32, v11
	v_subrev_nc_u32_e32 v12, 29, v11
	v_sub_nc_u32_e32 v11, 30, v11
	s_delay_alu instid0(VALU_DEP_2) | instskip(NEXT) | instid1(VALU_DEP_2)
	v_lshlrev_b32_e32 v7, v12, v7
	v_cndmask_b32_e32 v11, v13, v11, vcc_lo
	s_delay_alu instid0(VALU_DEP_2) | instskip(NEXT) | instid1(VALU_DEP_1)
	v_and_b32_e32 v7, 3, v7
	v_cndmask_b32_e32 v7, v9, v7, vcc_lo
	s_delay_alu instid0(VALU_DEP_3) | instskip(NEXT) | instid1(VALU_DEP_2)
	v_lshl_add_u32 v9, v11, 23, 0x37800000
	v_lshlrev_b32_e32 v7, 21, v7
	s_delay_alu instid0(VALU_DEP_1) | instskip(NEXT) | instid1(VALU_DEP_1)
	v_or3_b32 v5, v5, v9, v7
	v_cvt_i32_f32_e32 v12, v5
.LBB118_4105:
	s_or_b32 exec_lo, exec_lo, s18
	s_mov_b32 s18, 0
	s_branch .LBB118_4111
.LBB118_4106:
	s_mov_b32 s18, -1
                                        ; implicit-def: $vgpr12
	s_branch .LBB118_4117
.LBB118_4107:
	s_and_not1_saveexec_b32 s19, s19
	s_cbranch_execz .LBB118_4092
.LBB118_4108:
	v_cmp_ne_u16_e32 vcc_lo, 0, v5
	s_and_not1_b32 s35, s35, exec_lo
	s_and_b32 s36, vcc_lo, exec_lo
	s_delay_alu instid0(SALU_CYCLE_1)
	s_or_b32 s35, s35, s36
	s_or_b32 exec_lo, exec_lo, s19
	v_mov_b32_e32 v12, 0
	s_and_saveexec_b32 s19, s35
	s_cbranch_execnz .LBB118_4093
	s_branch .LBB118_4094
.LBB118_4109:
	s_mov_b32 s18, -1
                                        ; implicit-def: $vgpr12
	s_branch .LBB118_4114
.LBB118_4110:
	s_mov_b32 s18, -1
                                        ; implicit-def: $vgpr12
.LBB118_4111:
	s_delay_alu instid0(SALU_CYCLE_1)
	s_and_b32 vcc_lo, exec_lo, s18
	s_cbranch_vccz .LBB118_4113
; %bb.4112:
	global_load_u8 v5, v[14:15], off
	s_wait_loadcnt 0x0
	v_lshlrev_b32_e32 v5, 24, v5
	s_delay_alu instid0(VALU_DEP_1) | instskip(NEXT) | instid1(VALU_DEP_1)
	v_and_b32_e32 v7, 0x7f000000, v5
	v_clz_i32_u32_e32 v9, v7
	v_cmp_ne_u32_e32 vcc_lo, 0, v7
	s_wait_xcnt 0x1
	v_add_nc_u32_e32 v12, 0x1000000, v7
	s_delay_alu instid0(VALU_DEP_3) | instskip(NEXT) | instid1(VALU_DEP_1)
	v_min_u32_e32 v9, 32, v9
	v_sub_nc_u32_e64 v9, v9, 4 clamp
	s_delay_alu instid0(VALU_DEP_1) | instskip(NEXT) | instid1(VALU_DEP_1)
	v_dual_lshlrev_b32 v11, v9, v7 :: v_dual_lshlrev_b32 v9, 23, v9
	v_lshrrev_b32_e32 v11, 4, v11
	s_delay_alu instid0(VALU_DEP_1) | instskip(NEXT) | instid1(VALU_DEP_1)
	v_dual_sub_nc_u32 v9, v11, v9 :: v_dual_ashrrev_i32 v11, 8, v12
	v_add_nc_u32_e32 v9, 0x3c000000, v9
	s_delay_alu instid0(VALU_DEP_1) | instskip(NEXT) | instid1(VALU_DEP_1)
	v_and_or_b32 v9, 0x7f800000, v11, v9
	v_cndmask_b32_e32 v7, 0, v9, vcc_lo
	s_delay_alu instid0(VALU_DEP_1) | instskip(NEXT) | instid1(VALU_DEP_1)
	v_and_or_b32 v5, 0x80000000, v5, v7
	v_cvt_i32_f32_e32 v12, v5
.LBB118_4113:
	s_mov_b32 s18, 0
.LBB118_4114:
	s_delay_alu instid0(SALU_CYCLE_1)
	s_and_not1_b32 vcc_lo, exec_lo, s18
	s_cbranch_vccnz .LBB118_4116
; %bb.4115:
	global_load_u8 v5, v[14:15], off
	s_wait_loadcnt 0x0
	v_lshlrev_b32_e32 v7, 25, v5
	v_lshlrev_b16 v5, 8, v5
	s_wait_xcnt 0x1
	s_delay_alu instid0(VALU_DEP_1) | instskip(SKIP_1) | instid1(VALU_DEP_2)
	v_and_or_b32 v11, 0x7f00, v5, 0.5
	v_bfe_i32 v5, v5, 0, 16
	v_add_f32_e32 v11, -0.5, v11
	v_lshrrev_b32_e32 v9, 4, v7
	v_cmp_gt_u32_e32 vcc_lo, 0x8000000, v7
	s_delay_alu instid0(VALU_DEP_2) | instskip(NEXT) | instid1(VALU_DEP_1)
	v_or_b32_e32 v9, 0x70000000, v9
	v_mul_f32_e32 v9, 0x7800000, v9
	s_delay_alu instid0(VALU_DEP_1) | instskip(NEXT) | instid1(VALU_DEP_1)
	v_cndmask_b32_e32 v7, v9, v11, vcc_lo
	v_and_or_b32 v5, 0x80000000, v5, v7
	s_delay_alu instid0(VALU_DEP_1)
	v_cvt_i32_f32_e32 v12, v5
.LBB118_4116:
	s_mov_b32 s18, 0
	s_mov_b32 s19, -1
.LBB118_4117:
	s_and_not1_b32 vcc_lo, exec_lo, s18
	s_mov_b32 s18, 0
	s_cbranch_vccnz .LBB118_4128
; %bb.4118:
	s_cmp_gt_i32 s0, 14
	s_cbranch_scc0 .LBB118_4121
; %bb.4119:
	s_cmp_eq_u32 s0, 15
	s_cbranch_scc0 .LBB118_4124
; %bb.4120:
	global_load_u16 v5, v[14:15], off
	s_mov_b32 s1, 0
	s_mov_b32 s19, -1
	s_wait_loadcnt 0x0
	v_lshlrev_b32_e32 v5, 16, v5
	s_wait_xcnt 0x1
	s_delay_alu instid0(VALU_DEP_1)
	v_cvt_i32_f32_e32 v12, v5
	s_branch .LBB118_4126
.LBB118_4121:
	s_mov_b32 s18, -1
	s_branch .LBB118_4125
.LBB118_4122:
	s_and_not1_saveexec_b32 s18, s18
	s_cbranch_execz .LBB118_4103
.LBB118_4123:
	v_cmp_ne_u16_e32 vcc_lo, 0, v5
	s_and_not1_b32 s19, s19, exec_lo
	s_and_b32 s35, vcc_lo, exec_lo
	s_delay_alu instid0(SALU_CYCLE_1)
	s_or_b32 s19, s19, s35
	s_or_b32 exec_lo, exec_lo, s18
	v_mov_b32_e32 v12, 0
	s_and_saveexec_b32 s18, s19
	s_cbranch_execnz .LBB118_4104
	s_branch .LBB118_4105
.LBB118_4124:
	s_mov_b32 s1, -1
.LBB118_4125:
                                        ; implicit-def: $vgpr12
.LBB118_4126:
	s_and_b32 vcc_lo, exec_lo, s18
	s_mov_b32 s18, 0
	s_cbranch_vccz .LBB118_4128
; %bb.4127:
	s_cmp_lg_u32 s0, 11
	s_mov_b32 s18, -1
	s_cselect_b32 s1, -1, 0
.LBB118_4128:
	s_delay_alu instid0(SALU_CYCLE_1)
	s_and_b32 vcc_lo, exec_lo, s1
	s_cbranch_vccnz .LBB118_4193
; %bb.4129:
	s_and_not1_b32 vcc_lo, exec_lo, s18
	s_cbranch_vccnz .LBB118_4131
.LBB118_4130:
	global_load_u8 v5, v[14:15], off
	s_mov_b32 s19, -1
	s_wait_loadcnt 0x0
	v_cmp_ne_u16_e32 vcc_lo, 0, v5
	s_wait_xcnt 0x1
	v_cndmask_b32_e64 v12, 0, 1, vcc_lo
.LBB118_4131:
	s_mov_b32 s0, 0
.LBB118_4132:
	s_delay_alu instid0(SALU_CYCLE_1)
	s_and_b32 vcc_lo, exec_lo, s0
	s_cbranch_vccz .LBB118_4181
; %bb.4133:
	s_and_b32 s0, 0xffff, s58
	s_delay_alu instid0(SALU_CYCLE_1)
	s_cmp_lt_i32 s0, 5
	s_cbranch_scc1 .LBB118_4138
; %bb.4134:
	s_cmp_lt_i32 s0, 8
	s_cbranch_scc1 .LBB118_4139
; %bb.4135:
	;; [unrolled: 3-line block ×3, first 2 shown]
	s_cmp_gt_i32 s0, 9
	s_cbranch_scc0 .LBB118_4141
; %bb.4137:
	s_wait_loadcnt 0x0
	global_load_b64 v[12:13], v[14:15], off
	s_mov_b32 s1, 0
	s_wait_loadcnt 0x0
	v_cvt_i32_f64_e32 v12, v[12:13]
	s_branch .LBB118_4142
.LBB118_4138:
	s_mov_b32 s1, -1
                                        ; implicit-def: $vgpr12
	s_branch .LBB118_4160
.LBB118_4139:
	s_mov_b32 s1, -1
                                        ; implicit-def: $vgpr12
	s_branch .LBB118_4148
.LBB118_4140:
	s_mov_b32 s1, -1
                                        ; implicit-def: $vgpr12
	s_branch .LBB118_4145
.LBB118_4141:
	s_mov_b32 s1, -1
                                        ; implicit-def: $vgpr12
.LBB118_4142:
	s_delay_alu instid0(SALU_CYCLE_1)
	s_and_not1_b32 vcc_lo, exec_lo, s1
	s_cbranch_vccnz .LBB118_4144
; %bb.4143:
	global_load_b32 v5, v[14:15], off
	s_wait_loadcnt 0x0
	s_wait_xcnt 0x1
	v_cvt_i32_f32_e32 v12, v5
.LBB118_4144:
	s_mov_b32 s1, 0
.LBB118_4145:
	s_delay_alu instid0(SALU_CYCLE_1)
	s_and_not1_b32 vcc_lo, exec_lo, s1
	s_cbranch_vccnz .LBB118_4147
; %bb.4146:
	global_load_b32 v5, v[14:15], off
	s_wait_loadcnt 0x0
	v_cvt_f32_f16_e32 v5, v5
	s_wait_xcnt 0x1
	s_delay_alu instid0(VALU_DEP_1)
	v_cvt_i32_f32_e32 v12, v5
.LBB118_4147:
	s_mov_b32 s1, 0
.LBB118_4148:
	s_delay_alu instid0(SALU_CYCLE_1)
	s_and_not1_b32 vcc_lo, exec_lo, s1
	s_cbranch_vccnz .LBB118_4159
; %bb.4149:
	s_cmp_lt_i32 s0, 6
	s_cbranch_scc1 .LBB118_4152
; %bb.4150:
	s_cmp_gt_i32 s0, 6
	s_cbranch_scc0 .LBB118_4153
; %bb.4151:
	s_wait_loadcnt 0x0
	global_load_b64 v[12:13], v[14:15], off
	s_mov_b32 s1, 0
	s_wait_loadcnt 0x0
	v_cvt_i32_f64_e32 v12, v[12:13]
	s_branch .LBB118_4154
.LBB118_4152:
	s_mov_b32 s1, -1
                                        ; implicit-def: $vgpr12
	s_branch .LBB118_4157
.LBB118_4153:
	s_mov_b32 s1, -1
                                        ; implicit-def: $vgpr12
.LBB118_4154:
	s_delay_alu instid0(SALU_CYCLE_1)
	s_and_not1_b32 vcc_lo, exec_lo, s1
	s_cbranch_vccnz .LBB118_4156
; %bb.4155:
	global_load_b32 v5, v[14:15], off
	s_wait_loadcnt 0x0
	s_wait_xcnt 0x1
	v_cvt_i32_f32_e32 v12, v5
.LBB118_4156:
	s_mov_b32 s1, 0
.LBB118_4157:
	s_delay_alu instid0(SALU_CYCLE_1)
	s_and_not1_b32 vcc_lo, exec_lo, s1
	s_cbranch_vccnz .LBB118_4159
; %bb.4158:
	global_load_u16 v5, v[14:15], off
	s_wait_loadcnt 0x0
	v_cvt_f32_f16_e32 v5, v5
	s_wait_xcnt 0x1
	s_delay_alu instid0(VALU_DEP_1)
	v_cvt_i32_f32_e32 v12, v5
.LBB118_4159:
	s_mov_b32 s1, 0
.LBB118_4160:
	s_delay_alu instid0(SALU_CYCLE_1)
	s_and_not1_b32 vcc_lo, exec_lo, s1
	s_cbranch_vccnz .LBB118_4180
; %bb.4161:
	s_cmp_lt_i32 s0, 2
	s_cbranch_scc1 .LBB118_4165
; %bb.4162:
	s_cmp_lt_i32 s0, 3
	s_cbranch_scc1 .LBB118_4166
; %bb.4163:
	s_cmp_gt_i32 s0, 3
	s_cbranch_scc0 .LBB118_4167
; %bb.4164:
	s_wait_loadcnt 0x0
	global_load_b32 v12, v[14:15], off
	s_mov_b32 s1, 0
	s_branch .LBB118_4168
.LBB118_4165:
	s_mov_b32 s1, -1
                                        ; implicit-def: $vgpr12
	s_branch .LBB118_4174
.LBB118_4166:
	s_mov_b32 s1, -1
                                        ; implicit-def: $vgpr12
	s_branch .LBB118_4171
.LBB118_4167:
	s_mov_b32 s1, -1
                                        ; implicit-def: $vgpr12
.LBB118_4168:
	s_delay_alu instid0(SALU_CYCLE_1)
	s_and_not1_b32 vcc_lo, exec_lo, s1
	s_cbranch_vccnz .LBB118_4170
; %bb.4169:
	s_wait_loadcnt 0x0
	global_load_b32 v12, v[14:15], off
.LBB118_4170:
	s_mov_b32 s1, 0
.LBB118_4171:
	s_delay_alu instid0(SALU_CYCLE_1)
	s_and_not1_b32 vcc_lo, exec_lo, s1
	s_cbranch_vccnz .LBB118_4173
; %bb.4172:
	s_wait_loadcnt 0x0
	global_load_i16 v12, v[14:15], off
.LBB118_4173:
	s_mov_b32 s1, 0
.LBB118_4174:
	s_delay_alu instid0(SALU_CYCLE_1)
	s_and_not1_b32 vcc_lo, exec_lo, s1
	s_cbranch_vccnz .LBB118_4180
; %bb.4175:
	s_cmp_gt_i32 s0, 0
	s_mov_b32 s0, 0
	s_cbranch_scc0 .LBB118_4177
; %bb.4176:
	s_wait_loadcnt 0x0
	global_load_i8 v12, v[14:15], off
	s_branch .LBB118_4178
.LBB118_4177:
	s_mov_b32 s0, -1
                                        ; implicit-def: $vgpr12
.LBB118_4178:
	s_delay_alu instid0(SALU_CYCLE_1)
	s_and_not1_b32 vcc_lo, exec_lo, s0
	s_cbranch_vccnz .LBB118_4180
; %bb.4179:
	s_wait_loadcnt 0x0
	global_load_u8 v12, v[14:15], off
.LBB118_4180:
	s_mov_b32 s19, -1
.LBB118_4181:
	s_delay_alu instid0(SALU_CYCLE_1)
	s_and_not1_b32 vcc_lo, exec_lo, s19
	s_cbranch_vccnz .LBB118_4318
; %bb.4182:
	s_lshl_b32 s71, s37, 7
	s_cmp_lt_i32 s59, 11
	v_add_nc_u32_e32 v8, s71, v8
	s_delay_alu instid0(VALU_DEP_1) | instskip(SKIP_1) | instid1(VALU_DEP_1)
	v_ashrrev_i32_e32 v9, 31, v8
	s_wait_xcnt 0x0
	v_add_nc_u64_e32 v[14:15], s[14:15], v[8:9]
	s_cbranch_scc1 .LBB118_4189
; %bb.4183:
	s_and_b32 s0, 0xffff, s59
	s_mov_b32 s18, 0
	s_cmp_gt_i32 s0, 25
	s_cbranch_scc0 .LBB118_4190
; %bb.4184:
	s_cmp_gt_i32 s0, 28
	s_cbranch_scc0 .LBB118_4191
; %bb.4185:
	;; [unrolled: 3-line block ×4, first 2 shown]
	s_cmp_eq_u32 s0, 46
	s_mov_b32 s35, 0
	s_cbranch_scc0 .LBB118_4196
; %bb.4188:
	global_load_b32 v5, v[14:15], off
	s_mov_b32 s1, 0
	s_mov_b32 s19, -1
	s_wait_loadcnt 0x0
	v_lshlrev_b32_e32 v5, 16, v5
	s_delay_alu instid0(VALU_DEP_1)
	v_cvt_i32_f32_e32 v16, v5
	s_branch .LBB118_4198
.LBB118_4189:
	s_mov_b32 s0, -1
	s_mov_b32 s19, 0
                                        ; implicit-def: $vgpr16
	s_branch .LBB118_4260
.LBB118_4190:
	s_mov_b32 s35, -1
	s_mov_b32 s19, 0
	s_mov_b32 s1, 0
                                        ; implicit-def: $vgpr16
	s_branch .LBB118_4225
.LBB118_4191:
	s_mov_b32 s35, -1
	s_mov_b32 s19, 0
	s_mov_b32 s1, 0
                                        ; implicit-def: $vgpr16
	s_branch .LBB118_4208
.LBB118_4192:
	s_mov_b32 s35, -1
	s_mov_b32 s19, 0
	s_mov_b32 s1, 0
                                        ; implicit-def: $vgpr16
	s_branch .LBB118_4203
.LBB118_4193:
	s_or_b32 s17, s17, exec_lo
	s_trap 2
	s_cbranch_execz .LBB118_4130
	s_branch .LBB118_4131
.LBB118_4194:
	s_mov_b32 s35, -1
	s_mov_b32 s19, 0
	s_mov_b32 s1, 0
	s_branch .LBB118_4197
.LBB118_4195:
	s_or_b32 exec_lo, exec_lo, s88
	s_branch .LBB118_2046
.LBB118_4196:
	s_mov_b32 s1, -1
	s_mov_b32 s19, 0
.LBB118_4197:
                                        ; implicit-def: $vgpr16
.LBB118_4198:
	s_and_b32 vcc_lo, exec_lo, s35
	s_cbranch_vccz .LBB118_4202
; %bb.4199:
	s_cmp_eq_u32 s0, 44
	s_cbranch_scc0 .LBB118_4201
; %bb.4200:
	global_load_u8 v5, v[14:15], off
	s_mov_b32 s1, 0
	s_mov_b32 s19, -1
	s_wait_loadcnt 0x0
	v_lshlrev_b32_e32 v7, 23, v5
	v_cmp_ne_u32_e32 vcc_lo, 0, v5
	s_delay_alu instid0(VALU_DEP_2) | instskip(NEXT) | instid1(VALU_DEP_1)
	v_cvt_i32_f32_e32 v7, v7
	v_cndmask_b32_e32 v16, 0, v7, vcc_lo
	s_branch .LBB118_4202
.LBB118_4201:
	s_mov_b32 s1, -1
                                        ; implicit-def: $vgpr16
.LBB118_4202:
	s_mov_b32 s35, 0
.LBB118_4203:
	s_delay_alu instid0(SALU_CYCLE_1)
	s_and_b32 vcc_lo, exec_lo, s35
	s_cbranch_vccz .LBB118_4207
; %bb.4204:
	s_cmp_eq_u32 s0, 29
	s_cbranch_scc0 .LBB118_4206
; %bb.4205:
	global_load_b32 v16, v[14:15], off
	s_mov_b32 s1, 0
	s_mov_b32 s19, -1
	s_branch .LBB118_4207
.LBB118_4206:
	s_mov_b32 s1, -1
                                        ; implicit-def: $vgpr16
.LBB118_4207:
	s_mov_b32 s35, 0
.LBB118_4208:
	s_delay_alu instid0(SALU_CYCLE_1)
	s_and_b32 vcc_lo, exec_lo, s35
	s_cbranch_vccz .LBB118_4224
; %bb.4209:
	s_cmp_lt_i32 s0, 27
	s_cbranch_scc1 .LBB118_4212
; %bb.4210:
	s_cmp_gt_i32 s0, 27
	s_cbranch_scc0 .LBB118_4213
; %bb.4211:
	s_wait_loadcnt 0x0
	global_load_b32 v16, v[14:15], off
	s_mov_b32 s19, 0
	s_branch .LBB118_4214
.LBB118_4212:
	s_mov_b32 s19, -1
                                        ; implicit-def: $vgpr16
	s_branch .LBB118_4217
.LBB118_4213:
	s_mov_b32 s19, -1
                                        ; implicit-def: $vgpr16
.LBB118_4214:
	s_delay_alu instid0(SALU_CYCLE_1)
	s_and_not1_b32 vcc_lo, exec_lo, s19
	s_cbranch_vccnz .LBB118_4216
; %bb.4215:
	s_wait_loadcnt 0x0
	global_load_u16 v16, v[14:15], off
.LBB118_4216:
	s_mov_b32 s19, 0
.LBB118_4217:
	s_delay_alu instid0(SALU_CYCLE_1)
	s_and_not1_b32 vcc_lo, exec_lo, s19
	s_cbranch_vccnz .LBB118_4223
; %bb.4218:
	global_load_u8 v5, v[14:15], off
	s_mov_b32 s35, 0
	s_mov_b32 s19, exec_lo
	s_wait_loadcnt 0x0
	v_cmpx_lt_i16_e32 0x7f, v5
	s_xor_b32 s19, exec_lo, s19
	s_cbranch_execz .LBB118_4235
; %bb.4219:
	v_cmp_ne_u16_e32 vcc_lo, 0x80, v5
	s_and_b32 s35, vcc_lo, exec_lo
	s_and_not1_saveexec_b32 s19, s19
	s_cbranch_execnz .LBB118_4236
.LBB118_4220:
	s_or_b32 exec_lo, exec_lo, s19
	v_mov_b32_e32 v16, 0
	s_and_saveexec_b32 s19, s35
	s_cbranch_execz .LBB118_4222
.LBB118_4221:
	v_and_b32_e32 v7, 0xffff, v5
	s_delay_alu instid0(VALU_DEP_1) | instskip(SKIP_1) | instid1(VALU_DEP_2)
	v_dual_lshlrev_b32 v5, 24, v5 :: v_dual_bitop2_b32 v9, 7, v7 bitop3:0x40
	v_bfe_u32 v16, v7, 3, 4
	v_and_b32_e32 v5, 0x80000000, v5
	s_delay_alu instid0(VALU_DEP_3) | instskip(NEXT) | instid1(VALU_DEP_3)
	v_clz_i32_u32_e32 v11, v9
	v_cmp_eq_u32_e32 vcc_lo, 0, v16
	s_delay_alu instid0(VALU_DEP_2) | instskip(NEXT) | instid1(VALU_DEP_1)
	v_min_u32_e32 v11, 32, v11
	v_subrev_nc_u32_e32 v13, 28, v11
	v_sub_nc_u32_e32 v11, 29, v11
	s_delay_alu instid0(VALU_DEP_2) | instskip(NEXT) | instid1(VALU_DEP_2)
	v_lshlrev_b32_e32 v7, v13, v7
	v_cndmask_b32_e32 v11, v16, v11, vcc_lo
	s_delay_alu instid0(VALU_DEP_2) | instskip(NEXT) | instid1(VALU_DEP_1)
	v_and_b32_e32 v7, 7, v7
	v_cndmask_b32_e32 v7, v9, v7, vcc_lo
	s_delay_alu instid0(VALU_DEP_3) | instskip(NEXT) | instid1(VALU_DEP_2)
	v_lshl_add_u32 v9, v11, 23, 0x3b800000
	v_lshlrev_b32_e32 v7, 20, v7
	s_delay_alu instid0(VALU_DEP_1) | instskip(NEXT) | instid1(VALU_DEP_1)
	v_or3_b32 v5, v5, v9, v7
	v_cvt_i32_f32_e32 v16, v5
.LBB118_4222:
	s_or_b32 exec_lo, exec_lo, s19
.LBB118_4223:
	s_mov_b32 s19, -1
.LBB118_4224:
	s_mov_b32 s35, 0
.LBB118_4225:
	s_delay_alu instid0(SALU_CYCLE_1)
	s_and_b32 vcc_lo, exec_lo, s35
	s_cbranch_vccz .LBB118_4256
; %bb.4226:
	s_cmp_gt_i32 s0, 22
	s_cbranch_scc0 .LBB118_4234
; %bb.4227:
	s_cmp_lt_i32 s0, 24
	s_cbranch_scc1 .LBB118_4237
; %bb.4228:
	s_cmp_gt_i32 s0, 24
	s_cbranch_scc0 .LBB118_4238
; %bb.4229:
	global_load_u8 v5, v[14:15], off
	s_mov_b32 s19, 0
	s_mov_b32 s18, exec_lo
	s_wait_loadcnt 0x0
	v_cmpx_lt_i16_e32 0x7f, v5
	s_xor_b32 s18, exec_lo, s18
	s_cbranch_execz .LBB118_4250
; %bb.4230:
	v_cmp_ne_u16_e32 vcc_lo, 0x80, v5
	s_and_b32 s19, vcc_lo, exec_lo
	s_and_not1_saveexec_b32 s18, s18
	s_cbranch_execnz .LBB118_4251
.LBB118_4231:
	s_or_b32 exec_lo, exec_lo, s18
	v_mov_b32_e32 v16, 0
	s_and_saveexec_b32 s18, s19
	s_cbranch_execz .LBB118_4233
.LBB118_4232:
	v_and_b32_e32 v7, 0xffff, v5
	s_delay_alu instid0(VALU_DEP_1) | instskip(SKIP_1) | instid1(VALU_DEP_2)
	v_dual_lshlrev_b32 v5, 24, v5 :: v_dual_bitop2_b32 v9, 3, v7 bitop3:0x40
	v_bfe_u32 v16, v7, 2, 5
	v_and_b32_e32 v5, 0x80000000, v5
	s_delay_alu instid0(VALU_DEP_3) | instskip(NEXT) | instid1(VALU_DEP_3)
	v_clz_i32_u32_e32 v11, v9
	v_cmp_eq_u32_e32 vcc_lo, 0, v16
	s_delay_alu instid0(VALU_DEP_2) | instskip(NEXT) | instid1(VALU_DEP_1)
	v_min_u32_e32 v11, 32, v11
	v_subrev_nc_u32_e32 v13, 29, v11
	v_sub_nc_u32_e32 v11, 30, v11
	s_delay_alu instid0(VALU_DEP_2) | instskip(NEXT) | instid1(VALU_DEP_2)
	v_lshlrev_b32_e32 v7, v13, v7
	v_cndmask_b32_e32 v11, v16, v11, vcc_lo
	s_delay_alu instid0(VALU_DEP_2) | instskip(NEXT) | instid1(VALU_DEP_1)
	v_and_b32_e32 v7, 3, v7
	v_cndmask_b32_e32 v7, v9, v7, vcc_lo
	s_delay_alu instid0(VALU_DEP_3) | instskip(NEXT) | instid1(VALU_DEP_2)
	v_lshl_add_u32 v9, v11, 23, 0x37800000
	v_lshlrev_b32_e32 v7, 21, v7
	s_delay_alu instid0(VALU_DEP_1) | instskip(NEXT) | instid1(VALU_DEP_1)
	v_or3_b32 v5, v5, v9, v7
	v_cvt_i32_f32_e32 v16, v5
.LBB118_4233:
	s_or_b32 exec_lo, exec_lo, s18
	s_mov_b32 s18, 0
	s_branch .LBB118_4239
.LBB118_4234:
	s_mov_b32 s18, -1
                                        ; implicit-def: $vgpr16
	s_branch .LBB118_4245
.LBB118_4235:
	s_and_not1_saveexec_b32 s19, s19
	s_cbranch_execz .LBB118_4220
.LBB118_4236:
	v_cmp_ne_u16_e32 vcc_lo, 0, v5
	s_and_not1_b32 s35, s35, exec_lo
	s_and_b32 s36, vcc_lo, exec_lo
	s_delay_alu instid0(SALU_CYCLE_1)
	s_or_b32 s35, s35, s36
	s_or_b32 exec_lo, exec_lo, s19
	v_mov_b32_e32 v16, 0
	s_and_saveexec_b32 s19, s35
	s_cbranch_execnz .LBB118_4221
	s_branch .LBB118_4222
.LBB118_4237:
	s_mov_b32 s18, -1
                                        ; implicit-def: $vgpr16
	s_branch .LBB118_4242
.LBB118_4238:
	s_mov_b32 s18, -1
                                        ; implicit-def: $vgpr16
.LBB118_4239:
	s_delay_alu instid0(SALU_CYCLE_1)
	s_and_b32 vcc_lo, exec_lo, s18
	s_cbranch_vccz .LBB118_4241
; %bb.4240:
	global_load_u8 v5, v[14:15], off
	s_wait_loadcnt 0x0
	v_lshlrev_b32_e32 v5, 24, v5
	s_delay_alu instid0(VALU_DEP_1) | instskip(NEXT) | instid1(VALU_DEP_1)
	v_and_b32_e32 v7, 0x7f000000, v5
	v_clz_i32_u32_e32 v9, v7
	v_add_nc_u32_e32 v13, 0x1000000, v7
	v_cmp_ne_u32_e32 vcc_lo, 0, v7
	s_delay_alu instid0(VALU_DEP_3) | instskip(NEXT) | instid1(VALU_DEP_1)
	v_min_u32_e32 v9, 32, v9
	v_sub_nc_u32_e64 v9, v9, 4 clamp
	s_delay_alu instid0(VALU_DEP_1) | instskip(NEXT) | instid1(VALU_DEP_1)
	v_dual_lshlrev_b32 v11, v9, v7 :: v_dual_lshlrev_b32 v9, 23, v9
	v_lshrrev_b32_e32 v11, 4, v11
	s_delay_alu instid0(VALU_DEP_1) | instskip(SKIP_1) | instid1(VALU_DEP_2)
	v_sub_nc_u32_e32 v9, v11, v9
	v_ashrrev_i32_e32 v11, 8, v13
	v_add_nc_u32_e32 v9, 0x3c000000, v9
	s_delay_alu instid0(VALU_DEP_1) | instskip(NEXT) | instid1(VALU_DEP_1)
	v_and_or_b32 v9, 0x7f800000, v11, v9
	v_cndmask_b32_e32 v7, 0, v9, vcc_lo
	s_delay_alu instid0(VALU_DEP_1) | instskip(NEXT) | instid1(VALU_DEP_1)
	v_and_or_b32 v5, 0x80000000, v5, v7
	v_cvt_i32_f32_e32 v16, v5
.LBB118_4241:
	s_mov_b32 s18, 0
.LBB118_4242:
	s_delay_alu instid0(SALU_CYCLE_1)
	s_and_not1_b32 vcc_lo, exec_lo, s18
	s_cbranch_vccnz .LBB118_4244
; %bb.4243:
	global_load_u8 v5, v[14:15], off
	s_wait_loadcnt 0x0
	v_lshlrev_b32_e32 v7, 25, v5
	v_lshlrev_b16 v5, 8, v5
	s_delay_alu instid0(VALU_DEP_1) | instskip(SKIP_1) | instid1(VALU_DEP_2)
	v_and_or_b32 v11, 0x7f00, v5, 0.5
	v_bfe_i32 v5, v5, 0, 16
	v_add_f32_e32 v11, -0.5, v11
	v_lshrrev_b32_e32 v9, 4, v7
	v_cmp_gt_u32_e32 vcc_lo, 0x8000000, v7
	s_delay_alu instid0(VALU_DEP_2) | instskip(NEXT) | instid1(VALU_DEP_1)
	v_or_b32_e32 v9, 0x70000000, v9
	v_mul_f32_e32 v9, 0x7800000, v9
	s_delay_alu instid0(VALU_DEP_1) | instskip(NEXT) | instid1(VALU_DEP_1)
	v_cndmask_b32_e32 v7, v9, v11, vcc_lo
	v_and_or_b32 v5, 0x80000000, v5, v7
	s_delay_alu instid0(VALU_DEP_1)
	v_cvt_i32_f32_e32 v16, v5
.LBB118_4244:
	s_mov_b32 s18, 0
	s_mov_b32 s19, -1
.LBB118_4245:
	s_and_not1_b32 vcc_lo, exec_lo, s18
	s_mov_b32 s18, 0
	s_cbranch_vccnz .LBB118_4256
; %bb.4246:
	s_cmp_gt_i32 s0, 14
	s_cbranch_scc0 .LBB118_4249
; %bb.4247:
	s_cmp_eq_u32 s0, 15
	s_cbranch_scc0 .LBB118_4252
; %bb.4248:
	global_load_u16 v5, v[14:15], off
	s_mov_b32 s1, 0
	s_mov_b32 s19, -1
	s_wait_loadcnt 0x0
	v_lshlrev_b32_e32 v5, 16, v5
	s_delay_alu instid0(VALU_DEP_1)
	v_cvt_i32_f32_e32 v16, v5
	s_branch .LBB118_4254
.LBB118_4249:
	s_mov_b32 s18, -1
	s_branch .LBB118_4253
.LBB118_4250:
	s_and_not1_saveexec_b32 s18, s18
	s_cbranch_execz .LBB118_4231
.LBB118_4251:
	v_cmp_ne_u16_e32 vcc_lo, 0, v5
	s_and_not1_b32 s19, s19, exec_lo
	s_and_b32 s35, vcc_lo, exec_lo
	s_delay_alu instid0(SALU_CYCLE_1)
	s_or_b32 s19, s19, s35
	s_or_b32 exec_lo, exec_lo, s18
	v_mov_b32_e32 v16, 0
	s_and_saveexec_b32 s18, s19
	s_cbranch_execnz .LBB118_4232
	s_branch .LBB118_4233
.LBB118_4252:
	s_mov_b32 s1, -1
.LBB118_4253:
                                        ; implicit-def: $vgpr16
.LBB118_4254:
	s_and_b32 vcc_lo, exec_lo, s18
	s_mov_b32 s18, 0
	s_cbranch_vccz .LBB118_4256
; %bb.4255:
	s_cmp_lg_u32 s0, 11
	s_mov_b32 s18, -1
	s_cselect_b32 s1, -1, 0
.LBB118_4256:
	s_delay_alu instid0(SALU_CYCLE_1)
	s_and_b32 vcc_lo, exec_lo, s1
	s_cbranch_vccnz .LBB118_4344
; %bb.4257:
	s_and_not1_b32 vcc_lo, exec_lo, s18
	s_cbranch_vccnz .LBB118_4259
.LBB118_4258:
	global_load_u8 v5, v[14:15], off
	s_mov_b32 s19, -1
	s_wait_loadcnt 0x0
	v_cmp_ne_u16_e32 vcc_lo, 0, v5
	v_cndmask_b32_e64 v16, 0, 1, vcc_lo
.LBB118_4259:
	s_mov_b32 s0, 0
.LBB118_4260:
	s_delay_alu instid0(SALU_CYCLE_1)
	s_and_b32 vcc_lo, exec_lo, s0
	s_cbranch_vccz .LBB118_4309
; %bb.4261:
	s_and_b32 s0, 0xffff, s59
	s_delay_alu instid0(SALU_CYCLE_1)
	s_cmp_lt_i32 s0, 5
	s_cbranch_scc1 .LBB118_4266
; %bb.4262:
	s_cmp_lt_i32 s0, 8
	s_cbranch_scc1 .LBB118_4267
; %bb.4263:
	;; [unrolled: 3-line block ×3, first 2 shown]
	s_cmp_gt_i32 s0, 9
	s_cbranch_scc0 .LBB118_4269
; %bb.4265:
	s_wait_loadcnt 0x0
	global_load_b64 v[16:17], v[14:15], off
	s_mov_b32 s1, 0
	s_wait_loadcnt 0x0
	v_cvt_i32_f64_e32 v16, v[16:17]
	s_branch .LBB118_4270
.LBB118_4266:
	s_mov_b32 s1, -1
                                        ; implicit-def: $vgpr16
	s_branch .LBB118_4288
.LBB118_4267:
	s_mov_b32 s1, -1
                                        ; implicit-def: $vgpr16
	s_branch .LBB118_4276
.LBB118_4268:
	s_mov_b32 s1, -1
                                        ; implicit-def: $vgpr16
	s_branch .LBB118_4273
.LBB118_4269:
	s_mov_b32 s1, -1
                                        ; implicit-def: $vgpr16
.LBB118_4270:
	s_delay_alu instid0(SALU_CYCLE_1)
	s_and_not1_b32 vcc_lo, exec_lo, s1
	s_cbranch_vccnz .LBB118_4272
; %bb.4271:
	global_load_b32 v5, v[14:15], off
	s_wait_loadcnt 0x0
	v_cvt_i32_f32_e32 v16, v5
.LBB118_4272:
	s_mov_b32 s1, 0
.LBB118_4273:
	s_delay_alu instid0(SALU_CYCLE_1)
	s_and_not1_b32 vcc_lo, exec_lo, s1
	s_cbranch_vccnz .LBB118_4275
; %bb.4274:
	global_load_b32 v5, v[14:15], off
	s_wait_loadcnt 0x0
	v_cvt_f32_f16_e32 v5, v5
	s_delay_alu instid0(VALU_DEP_1)
	v_cvt_i32_f32_e32 v16, v5
.LBB118_4275:
	s_mov_b32 s1, 0
.LBB118_4276:
	s_delay_alu instid0(SALU_CYCLE_1)
	s_and_not1_b32 vcc_lo, exec_lo, s1
	s_cbranch_vccnz .LBB118_4287
; %bb.4277:
	s_cmp_lt_i32 s0, 6
	s_cbranch_scc1 .LBB118_4280
; %bb.4278:
	s_cmp_gt_i32 s0, 6
	s_cbranch_scc0 .LBB118_4281
; %bb.4279:
	s_wait_loadcnt 0x0
	global_load_b64 v[16:17], v[14:15], off
	s_mov_b32 s1, 0
	s_wait_loadcnt 0x0
	v_cvt_i32_f64_e32 v16, v[16:17]
	s_branch .LBB118_4282
.LBB118_4280:
	s_mov_b32 s1, -1
                                        ; implicit-def: $vgpr16
	s_branch .LBB118_4285
.LBB118_4281:
	s_mov_b32 s1, -1
                                        ; implicit-def: $vgpr16
.LBB118_4282:
	s_delay_alu instid0(SALU_CYCLE_1)
	s_and_not1_b32 vcc_lo, exec_lo, s1
	s_cbranch_vccnz .LBB118_4284
; %bb.4283:
	global_load_b32 v5, v[14:15], off
	s_wait_loadcnt 0x0
	v_cvt_i32_f32_e32 v16, v5
.LBB118_4284:
	s_mov_b32 s1, 0
.LBB118_4285:
	s_delay_alu instid0(SALU_CYCLE_1)
	s_and_not1_b32 vcc_lo, exec_lo, s1
	s_cbranch_vccnz .LBB118_4287
; %bb.4286:
	global_load_u16 v5, v[14:15], off
	s_wait_loadcnt 0x0
	v_cvt_f32_f16_e32 v5, v5
	s_delay_alu instid0(VALU_DEP_1)
	v_cvt_i32_f32_e32 v16, v5
.LBB118_4287:
	s_mov_b32 s1, 0
.LBB118_4288:
	s_delay_alu instid0(SALU_CYCLE_1)
	s_and_not1_b32 vcc_lo, exec_lo, s1
	s_cbranch_vccnz .LBB118_4308
; %bb.4289:
	s_cmp_lt_i32 s0, 2
	s_cbranch_scc1 .LBB118_4293
; %bb.4290:
	s_cmp_lt_i32 s0, 3
	s_cbranch_scc1 .LBB118_4294
; %bb.4291:
	s_cmp_gt_i32 s0, 3
	s_cbranch_scc0 .LBB118_4295
; %bb.4292:
	s_wait_loadcnt 0x0
	global_load_b32 v16, v[14:15], off
	s_mov_b32 s1, 0
	s_branch .LBB118_4296
.LBB118_4293:
	s_mov_b32 s1, -1
                                        ; implicit-def: $vgpr16
	s_branch .LBB118_4302
.LBB118_4294:
	s_mov_b32 s1, -1
                                        ; implicit-def: $vgpr16
	s_branch .LBB118_4299
.LBB118_4295:
	s_mov_b32 s1, -1
                                        ; implicit-def: $vgpr16
.LBB118_4296:
	s_delay_alu instid0(SALU_CYCLE_1)
	s_and_not1_b32 vcc_lo, exec_lo, s1
	s_cbranch_vccnz .LBB118_4298
; %bb.4297:
	s_wait_loadcnt 0x0
	global_load_b32 v16, v[14:15], off
.LBB118_4298:
	s_mov_b32 s1, 0
.LBB118_4299:
	s_delay_alu instid0(SALU_CYCLE_1)
	s_and_not1_b32 vcc_lo, exec_lo, s1
	s_cbranch_vccnz .LBB118_4301
; %bb.4300:
	s_wait_loadcnt 0x0
	global_load_i16 v16, v[14:15], off
.LBB118_4301:
	s_mov_b32 s1, 0
.LBB118_4302:
	s_delay_alu instid0(SALU_CYCLE_1)
	s_and_not1_b32 vcc_lo, exec_lo, s1
	s_cbranch_vccnz .LBB118_4308
; %bb.4303:
	s_cmp_gt_i32 s0, 0
	s_mov_b32 s0, 0
	s_cbranch_scc0 .LBB118_4305
; %bb.4304:
	s_wait_loadcnt 0x0
	global_load_i8 v16, v[14:15], off
	s_branch .LBB118_4306
.LBB118_4305:
	s_mov_b32 s0, -1
                                        ; implicit-def: $vgpr16
.LBB118_4306:
	s_delay_alu instid0(SALU_CYCLE_1)
	s_and_not1_b32 vcc_lo, exec_lo, s0
	s_cbranch_vccnz .LBB118_4308
; %bb.4307:
	s_wait_loadcnt 0x0
	global_load_u8 v16, v[14:15], off
.LBB118_4308:
	s_mov_b32 s19, -1
.LBB118_4309:
	s_delay_alu instid0(SALU_CYCLE_1)
	s_and_not1_b32 vcc_lo, exec_lo, s19
	s_cbranch_vccnz .LBB118_4318
; %bb.4310:
	s_mov_b32 s0, exec_lo
	s_wait_loadcnt 0x0
	v_cmpx_ne_u32_e64 s38, v1
	s_xor_b32 s0, exec_lo, s0
	s_cbranch_execnz .LBB118_4478
.LBB118_4311:
	s_or_saveexec_b32 s51, s0
	s_mov_b32 s1, 0
	s_mov_b32 s18, 0
                                        ; implicit-def: $sgpr0
                                        ; implicit-def: $vgpr14_vgpr15
	s_xor_b32 exec_lo, exec_lo, s51
	s_cbranch_execz .LBB118_4989
; %bb.4312:
	s_mov_b32 s60, s17
	s_mov_b32 s0, exec_lo
	v_cmpx_ne_u32_e64 s22, v3
	s_xor_b32 s0, exec_lo, s0
	s_cbranch_execnz .LBB118_4606
; %bb.4313:
	s_or_saveexec_b32 s61, s0
                                        ; implicit-def: $sgpr0
                                        ; implicit-def: $vgpr14_vgpr15
	s_delay_alu instid0(SALU_CYCLE_1)
	s_xor_b32 exec_lo, exec_lo, s61
	s_cbranch_execz .LBB118_4988
.LBB118_4314:
	v_sub_nc_u32_e32 v1, v12, v10
	s_mov_b32 s62, s60
	s_delay_alu instid0(VALU_DEP_1) | instskip(SKIP_2) | instid1(SALU_CYCLE_1)
	v_cmp_gt_i32_e32 vcc_lo, s38, v1
	v_cmp_lt_i32_e64 s0, s20, v1
	s_or_b32 s0, vcc_lo, s0
	s_and_saveexec_b32 s1, s0
	s_delay_alu instid0(SALU_CYCLE_1)
	s_xor_b32 s0, exec_lo, s1
	s_cbranch_execnz .LBB118_4734
; %bb.4315:
	s_or_saveexec_b32 s63, s0
	s_mov_b32 s1, 0
                                        ; implicit-def: $sgpr0
                                        ; implicit-def: $vgpr14_vgpr15
	s_xor_b32 exec_lo, exec_lo, s63
	s_cbranch_execz .LBB118_4987
.LBB118_4316:
	v_cmp_ne_u32_e32 vcc_lo, 1, v23
	v_mov_b64_e32 v[14:15], 0
	s_cbranch_vccnz .LBB118_4329
; %bb.4317:
	v_ashrrev_i32_e32 v17, 31, v16
	v_mov_b64_e32 v[14:15], 0
	s_mov_b32 s35, s1
	s_mov_b64 s[18:19], 0xffffffff
	s_lshl_b64 s[40:41], s[34:35], 3
	v_mul_u64_e32 v[18:19], s[22:23], v[16:17]
	v_mov_b32_e32 v16, 0
	s_add_nc_u64 s[36:37], s[26:27], s[40:41]
	s_add_nc_u64 s[40:41], s[28:29], s[40:41]
	s_mov_b32 s35, s24
	s_branch .LBB118_4325
.LBB118_4318:
	s_mov_b32 s1, 0
	s_mov_b32 s18, 0
                                        ; implicit-def: $sgpr0
                                        ; implicit-def: $vgpr14_vgpr15
.LBB118_4319:
	s_and_not1_b32 s2, s48, exec_lo
	s_and_b32 s4, s17, exec_lo
	s_and_b32 s35, s18, exec_lo
	;; [unrolled: 1-line block ×3, first 2 shown]
	s_or_b32 s48, s2, s4
.LBB118_4320:
	s_wait_xcnt 0x0
	s_or_b32 exec_lo, exec_lo, s49
	s_delay_alu instid0(SALU_CYCLE_1)
	s_and_not1_b32 s2, s39, exec_lo
	s_and_b32 s4, s48, exec_lo
	s_and_b32 s34, s35, exec_lo
	;; [unrolled: 1-line block ×3, first 2 shown]
	s_or_b32 s39, s2, s4
.LBB118_4321:
	s_or_b32 exec_lo, exec_lo, s54
	s_delay_alu instid0(SALU_CYCLE_1)
	s_and_not1_b32 s2, s21, exec_lo
	s_and_b32 s4, s39, exec_lo
	s_and_b32 s34, s34, exec_lo
	s_and_b32 s1, s1, exec_lo
	s_or_b32 s21, s2, s4
.LBB118_4322:
	s_or_b32 exec_lo, exec_lo, s25
	s_delay_alu instid0(SALU_CYCLE_1)
	s_and_not1_b32 s2, s33, exec_lo
	s_and_b32 s4, s21, exec_lo
	s_and_b32 s25, s34, exec_lo
	;; [unrolled: 1-line block ×3, first 2 shown]
	s_or_b32 s33, s2, s4
.LBB118_4323:
	s_or_b32 exec_lo, exec_lo, s3
	s_branch .LBB118_3435
.LBB118_4324:                           ;   in Loop: Header=BB118_4325 Depth=1
	s_or_b32 exec_lo, exec_lo, s0
	global_load_b64 v[24:25], v16, s[40:41]
	v_mul_u64_e32 v[26:27], s[42:43], v[20:21]
	s_add_co_i32 s35, s35, -1
	s_add_nc_u64 s[36:37], s[36:37], -8
	s_cmp_eq_u32 s35, 0
	s_wait_xcnt 0x0
	s_add_nc_u64 s[40:41], s[40:41], -8
	s_delay_alu instid0(VALU_DEP_1) | instskip(SKIP_1) | instid1(VALU_DEP_1)
	v_sub_nc_u64_e32 v[18:19], v[18:19], v[26:27]
	s_wait_loadcnt 0x0
	v_mad_nc_u64_u32 v[14:15], v18, v24, v[14:15]
	s_delay_alu instid0(VALU_DEP_1) | instskip(NEXT) | instid1(VALU_DEP_1)
	v_mad_u32 v1, v19, v24, v15
	v_mad_u32 v15, v18, v25, v1
	v_mov_b64_e32 v[18:19], v[20:21]
	s_cbranch_scc1 .LBB118_4329
.LBB118_4325:                           ; =>This Inner Loop Header: Depth=1
	global_load_b64 v[20:21], v16, s[36:37]
	s_mov_b32 s0, exec_lo
	s_wait_loadcnt 0x0
	v_or_b32_e32 v17, v19, v21
	v_readfirstlane_b32 s42, v20
	v_readfirstlane_b32 s43, v21
                                        ; implicit-def: $vgpr20_vgpr21
	s_wait_xcnt 0x0
	s_delay_alu instid0(VALU_DEP_3)
	v_cmpx_ne_u64_e32 0, v[16:17]
	s_xor_b32 s64, exec_lo, s0
	s_cbranch_execz .LBB118_4327
; %bb.4326:                             ;   in Loop: Header=BB118_4325 Depth=1
	s_ashr_i32 s44, s43, 31
	v_dual_mov_b32 v27, v16 :: v_dual_ashrrev_i32 v20, 31, v19
	s_mov_b32 s45, s44
	v_mov_b32_e32 v31, v16
	s_add_nc_u64 s[46:47], s[42:43], s[44:45]
	s_delay_alu instid0(VALU_DEP_2)
	v_mov_b32_e32 v21, v20
	s_xor_b64 s[46:47], s[46:47], s[44:45]
	v_mov_b32_e32 v35, v16
	s_cvt_f32_u32 s0, s46
	s_cvt_f32_u32 s45, s47
	s_sub_nc_u64 s[74:75], 0, s[46:47]
	v_add_nc_u64_e32 v[24:25], v[18:19], v[20:21]
	s_delay_alu instid0(SALU_CYCLE_1) | instskip(NEXT) | instid1(SALU_CYCLE_3)
	s_fmamk_f32 s0, s45, 0x4f800000, s0
	v_s_rcp_f32 s0, s0
	s_delay_alu instid0(VALU_DEP_1) | instskip(NEXT) | instid1(VALU_DEP_2)
	v_xor_b32_e32 v30, v25, v20
	v_xor_b32_e32 v26, v24, v20
	s_delay_alu instid0(TRANS32_DEP_1) | instskip(NEXT) | instid1(SALU_CYCLE_3)
	s_mul_f32 s0, s0, 0x5f7ffffc
	s_mul_f32 s45, s0, 0x2f800000
	s_delay_alu instid0(SALU_CYCLE_3) | instskip(NEXT) | instid1(SALU_CYCLE_3)
	s_trunc_f32 s45, s45
	s_fmamk_f32 s0, s45, 0xcf800000, s0
	s_cvt_u32_f32 s73, s45
	s_delay_alu instid0(SALU_CYCLE_2) | instskip(NEXT) | instid1(SALU_CYCLE_3)
	s_cvt_u32_f32 s72, s0
	s_mul_u64 s[76:77], s[74:75], s[72:73]
	s_delay_alu instid0(SALU_CYCLE_1)
	s_mul_hi_u32 s79, s72, s77
	s_mul_i32 s78, s72, s77
	s_mul_hi_u32 s0, s72, s76
	s_mul_i32 s65, s73, s76
	s_add_nc_u64 s[78:79], s[0:1], s[78:79]
	s_mul_hi_u32 s45, s73, s76
	s_mul_hi_u32 s66, s73, s77
	s_add_co_u32 s0, s78, s65
	s_add_co_ci_u32 s0, s79, s45
	s_mul_i32 s76, s73, s77
	s_add_co_ci_u32 s77, s66, 0
	s_delay_alu instid0(SALU_CYCLE_1) | instskip(NEXT) | instid1(SALU_CYCLE_1)
	s_add_nc_u64 s[76:77], s[0:1], s[76:77]
	s_add_co_u32 s72, s72, s76
	s_cselect_b32 s0, -1, 0
	s_delay_alu instid0(SALU_CYCLE_1) | instskip(SKIP_1) | instid1(SALU_CYCLE_1)
	s_cmp_lg_u32 s0, 0
	s_add_co_ci_u32 s73, s73, s77
	s_mul_u64 s[74:75], s[74:75], s[72:73]
	s_delay_alu instid0(SALU_CYCLE_1)
	s_mul_hi_u32 s77, s72, s75
	s_mul_i32 s76, s72, s75
	s_mul_hi_u32 s0, s72, s74
	s_mul_i32 s65, s73, s74
	s_add_nc_u64 s[76:77], s[0:1], s[76:77]
	s_mul_hi_u32 s45, s73, s74
	s_mul_hi_u32 s66, s73, s75
	s_add_co_u32 s0, s76, s65
	s_add_co_ci_u32 s0, s77, s45
	s_mul_i32 s74, s73, s75
	s_add_co_ci_u32 s75, s66, 0
	s_delay_alu instid0(SALU_CYCLE_1) | instskip(NEXT) | instid1(SALU_CYCLE_1)
	s_add_nc_u64 s[74:75], s[0:1], s[74:75]
	s_add_co_u32 s66, s72, s74
	s_cselect_b32 s0, -1, 0
	v_mul_hi_u32 v34, v26, s66
	s_cmp_lg_u32 s0, 0
	s_add_co_ci_u32 s0, s73, s75
	s_and_b64 s[72:73], s[66:67], s[18:19]
	v_mul_u64_e32 v[28:29], s[0:1], v[26:27]
	v_mul_u64_e32 v[24:25], s[72:73], v[30:31]
	;; [unrolled: 1-line block ×3, first 2 shown]
	s_delay_alu instid0(VALU_DEP_3) | instskip(NEXT) | instid1(VALU_DEP_1)
	v_add_nc_u64_e32 v[28:29], v[34:35], v[28:29]
	v_add_co_u32 v1, vcc_lo, v28, v24
	s_delay_alu instid0(VALU_DEP_2) | instskip(NEXT) | instid1(VALU_DEP_4)
	v_add_co_ci_u32_e32 v34, vcc_lo, v29, v25, vcc_lo
	v_add_co_ci_u32_e32 v33, vcc_lo, 0, v33, vcc_lo
	s_delay_alu instid0(VALU_DEP_1) | instskip(NEXT) | instid1(VALU_DEP_1)
	v_add_nc_u64_e32 v[24:25], v[34:35], v[32:33]
	v_mul_u64_e32 v[28:29], s[46:47], v[24:25]
	s_delay_alu instid0(VALU_DEP_1) | instskip(NEXT) | instid1(VALU_DEP_2)
	v_sub_nc_u32_e32 v1, v30, v29
	v_sub_co_u32 v3, vcc_lo, v26, v28
	s_delay_alu instid0(VALU_DEP_1) | instskip(NEXT) | instid1(VALU_DEP_3)
	v_sub_co_ci_u32_e64 v7, null, v30, v29, vcc_lo
	v_subrev_co_ci_u32_e64 v1, null, s47, v1, vcc_lo
	s_delay_alu instid0(VALU_DEP_3) | instskip(SKIP_1) | instid1(VALU_DEP_3)
	v_sub_co_u32 v5, s0, v3, s46
	v_add_nc_u64_e32 v[26:27], 2, v[24:25]
	v_subrev_co_ci_u32_e64 v1, null, 0, v1, s0
	s_delay_alu instid0(VALU_DEP_3) | instskip(SKIP_2) | instid1(VALU_DEP_4)
	v_cmp_le_u32_e32 vcc_lo, s46, v5
	v_add_nc_u64_e32 v[28:29], 1, v[24:25]
	v_cndmask_b32_e64 v5, 0, -1, vcc_lo
	v_cmp_le_u32_e32 vcc_lo, s47, v1
	v_cndmask_b32_e64 v9, 0, -1, vcc_lo
	v_cmp_le_u32_e32 vcc_lo, s46, v3
	;; [unrolled: 2-line block ×3, first 2 shown]
	v_cndmask_b32_e64 v11, 0, -1, vcc_lo
	v_cmp_eq_u32_e32 vcc_lo, s47, v1
	v_cndmask_b32_e32 v1, v9, v5, vcc_lo
	v_cmp_eq_u32_e32 vcc_lo, s47, v7
	s_delay_alu instid0(VALU_DEP_4) | instskip(NEXT) | instid1(VALU_DEP_3)
	v_cndmask_b32_e32 v3, v11, v3, vcc_lo
	v_cmp_ne_u32_e32 vcc_lo, 0, v1
	s_delay_alu instid0(VALU_DEP_2) | instskip(SKIP_1) | instid1(VALU_DEP_1)
	v_cmp_ne_u32_e64 s0, 0, v3
	v_dual_cndmask_b32 v1, v29, v27, vcc_lo :: v_dual_cndmask_b32 v3, v28, v26, vcc_lo
	v_dual_cndmask_b32 v1, v25, v1, s0 :: v_dual_bitop2_b32 v20, s44, v20 bitop3:0x14
	s_delay_alu instid0(VALU_DEP_1) | instskip(NEXT) | instid1(VALU_DEP_1)
	v_dual_cndmask_b32 v3, v24, v3, s0 :: v_dual_bitop2_b32 v25, v1, v20 bitop3:0x14
	v_dual_mov_b32 v21, v20 :: v_dual_bitop2_b32 v24, v3, v20 bitop3:0x14
	s_delay_alu instid0(VALU_DEP_1)
	v_sub_nc_u64_e32 v[20:21], v[24:25], v[20:21]
.LBB118_4327:                           ;   in Loop: Header=BB118_4325 Depth=1
	s_and_not1_saveexec_b32 s0, s64
	s_cbranch_execz .LBB118_4324
; %bb.4328:                             ;   in Loop: Header=BB118_4325 Depth=1
	v_cvt_f32_u32_e32 v1, s42
	s_sub_co_i32 s44, 0, s42
	v_mov_b32_e32 v21, v16
	s_delay_alu instid0(VALU_DEP_2) | instskip(SKIP_1) | instid1(TRANS32_DEP_1)
	v_rcp_iflag_f32_e32 v1, v1
	v_nop
	v_mul_f32_e32 v1, 0x4f7ffffe, v1
	s_delay_alu instid0(VALU_DEP_1) | instskip(NEXT) | instid1(VALU_DEP_1)
	v_cvt_u32_f32_e32 v1, v1
	v_mul_lo_u32 v3, s44, v1
	s_delay_alu instid0(VALU_DEP_1) | instskip(NEXT) | instid1(VALU_DEP_1)
	v_mul_hi_u32 v3, v1, v3
	v_add_nc_u32_e32 v1, v1, v3
	s_delay_alu instid0(VALU_DEP_1) | instskip(NEXT) | instid1(VALU_DEP_1)
	v_mul_hi_u32 v1, v18, v1
	v_mul_lo_u32 v3, v1, s42
	s_delay_alu instid0(VALU_DEP_1) | instskip(NEXT) | instid1(VALU_DEP_1)
	v_sub_nc_u32_e32 v3, v18, v3
	v_subrev_nc_u32_e32 v7, s42, v3
	v_cmp_le_u32_e32 vcc_lo, s42, v3
	s_delay_alu instid0(VALU_DEP_2) | instskip(NEXT) | instid1(VALU_DEP_1)
	v_dual_add_nc_u32 v5, 1, v1 :: v_dual_cndmask_b32 v3, v3, v7, vcc_lo
	v_cndmask_b32_e32 v1, v1, v5, vcc_lo
	s_delay_alu instid0(VALU_DEP_2) | instskip(NEXT) | instid1(VALU_DEP_2)
	v_cmp_le_u32_e32 vcc_lo, s42, v3
	v_add_nc_u32_e32 v5, 1, v1
	s_delay_alu instid0(VALU_DEP_1)
	v_cndmask_b32_e32 v20, v1, v5, vcc_lo
	s_branch .LBB118_4324
.LBB118_4329:
	s_mov_b32 s19, -1
	s_mov_b32 s64, s62
	s_mov_b32 s0, exec_lo
	v_cmpx_gt_i32_e64 v12, v10
	s_cbranch_execz .LBB118_4336
; %bb.4330:
	s_delay_alu instid0(VALU_DEP_2) | instskip(SKIP_3) | instid1(VALU_DEP_1)
	v_lshlrev_b64_e32 v[14:15], 2, v[14:15]
	v_dual_ashrrev_i32 v11, 31, v10 :: v_dual_ashrrev_i32 v13, 31, v12
	s_mov_b32 s18, 0
	s_xor_b32 s19, s50, -1
                                        ; implicit-def: $sgpr1
                                        ; implicit-def: $sgpr36
                                        ; implicit-def: $sgpr35
	v_lshl_add_u64 v[10:11], v[10:11], 2, v[14:15]
	v_add_nc_u64_e32 v[14:15], s[30:31], v[14:15]
	s_delay_alu instid0(VALU_DEP_2) | instskip(NEXT) | instid1(VALU_DEP_2)
	v_add_nc_u64_e32 v[10:11], s[30:31], v[10:11]
	v_lshl_add_u64 v[12:13], v[12:13], 2, v[14:15]
	s_delay_alu instid0(VALU_DEP_2)
	v_add_nc_u64_e32 v[10:11], 4, v[10:11]
	s_branch .LBB118_4332
.LBB118_4331:                           ;   in Loop: Header=BB118_4332 Depth=1
	s_or_b32 exec_lo, exec_lo, s37
	s_xor_b32 s37, s35, -1
	s_and_b32 s40, exec_lo, s36
	s_delay_alu instid0(SALU_CYCLE_1) | instskip(SKIP_2) | instid1(SALU_CYCLE_1)
	s_or_b32 s18, s40, s18
	s_and_not1_b32 s1, s1, exec_lo
	s_and_b32 s37, s37, exec_lo
	s_or_b32 s1, s1, s37
	s_and_not1_b32 exec_lo, exec_lo, s18
	s_cbranch_execz .LBB118_4334
.LBB118_4332:                           ; =>This Inner Loop Header: Depth=1
	s_or_b32 s35, s35, exec_lo
	s_or_b32 s36, s36, exec_lo
	s_mov_b32 s37, exec_lo
	s_delay_alu instid0(VALU_DEP_1)
	v_cmpx_lt_u64_e64 v[10:11], v[12:13]
	s_cbranch_execz .LBB118_4331
; %bb.4333:                             ;   in Loop: Header=BB118_4332 Depth=1
	global_load_b64 v[14:15], v[10:11], off offset:-4
	s_wait_xcnt 0x0
	v_add_nc_u64_e32 v[10:11], 4, v[10:11]
	s_and_not1_b32 s36, s36, exec_lo
	s_and_not1_b32 s35, s35, exec_lo
	s_wait_loadcnt 0x0
	v_cmp_ge_i32_e32 vcc_lo, v14, v15
	s_or_b32 s40, s19, vcc_lo
	s_delay_alu instid0(SALU_CYCLE_1) | instskip(NEXT) | instid1(SALU_CYCLE_1)
	s_and_b32 s40, s40, exec_lo
	s_or_b32 s36, s36, s40
	s_branch .LBB118_4331
.LBB118_4334:
	s_or_b32 exec_lo, exec_lo, s18
	s_mov_b32 s18, -1
	s_mov_b32 s19, s62
	s_and_saveexec_b32 s35, s1
	s_delay_alu instid0(SALU_CYCLE_1)
	s_xor_b32 s1, exec_lo, s35
	s_cbranch_execnz .LBB118_4349
.LBB118_4335:
	s_or_b32 exec_lo, exec_lo, s1
	s_delay_alu instid0(SALU_CYCLE_1) | instskip(SKIP_1) | instid1(SALU_CYCLE_1)
	s_and_not1_b32 s1, s62, exec_lo
	s_and_b32 s19, s19, exec_lo
	s_or_b32 s64, s1, s19
	s_or_not1_b32 s19, s18, exec_lo
.LBB118_4336:
	s_or_b32 exec_lo, exec_lo, s0
	s_mov_b32 s1, 0
	s_mov_b32 s18, 0
                                        ; implicit-def: $sgpr0
                                        ; implicit-def: $vgpr14_vgpr15
	s_and_saveexec_b32 s65, s19
	s_cbranch_execz .LBB118_4986
; %bb.4337:
	v_add_nc_u32_e32 v0, s67, v0
	s_cmp_lt_i32 s55, 11
	s_delay_alu instid0(VALU_DEP_1) | instskip(NEXT) | instid1(VALU_DEP_1)
	v_ashrrev_i32_e32 v1, 31, v0
	v_add_nc_u64_e32 v[10:11], s[6:7], v[0:1]
	s_cbranch_scc1 .LBB118_4345
; %bb.4338:
	s_and_b32 s0, 0xffff, s55
	s_delay_alu instid0(SALU_CYCLE_1)
	s_cmp_gt_i32 s0, 25
	s_cbranch_scc0 .LBB118_4346
; %bb.4339:
	s_cmp_gt_i32 s0, 28
	s_cbranch_scc0 .LBB118_4347
; %bb.4340:
	;; [unrolled: 3-line block ×4, first 2 shown]
	s_cmp_eq_u32 s0, 46
	s_mov_b32 s35, 0
	s_cbranch_scc0 .LBB118_4351
; %bb.4343:
	global_load_b32 v1, v[10:11], off
	s_mov_b32 s19, -1
	s_wait_loadcnt 0x0
	v_lshlrev_b32_e32 v1, 16, v1
	s_delay_alu instid0(VALU_DEP_1)
	v_cvt_i32_f32_e32 v1, v1
	s_branch .LBB118_4353
.LBB118_4344:
	s_or_b32 s17, s17, exec_lo
	s_trap 2
	s_cbranch_execz .LBB118_4258
	s_branch .LBB118_4259
.LBB118_4345:
	s_mov_b32 s0, -1
	s_mov_b32 s19, 0
	s_mov_b32 s66, s64
                                        ; implicit-def: $vgpr1
	s_branch .LBB118_4415
.LBB118_4346:
	s_mov_b32 s35, -1
	s_mov_b32 s19, 0
                                        ; implicit-def: $vgpr1
	s_branch .LBB118_4380
.LBB118_4347:
	s_mov_b32 s35, -1
	s_mov_b32 s19, 0
                                        ; implicit-def: $vgpr1
	s_branch .LBB118_4363
.LBB118_4348:
	s_mov_b32 s35, -1
	s_mov_b32 s19, 0
                                        ; implicit-def: $vgpr1
	s_branch .LBB118_4358
.LBB118_4349:
	s_or_b32 s19, s62, exec_lo
	s_xor_b32 s18, exec_lo, -1
	s_trap 2
	s_branch .LBB118_4335
.LBB118_4350:
	s_mov_b32 s35, -1
	s_branch .LBB118_4352
.LBB118_4351:
	s_mov_b32 s1, -1
.LBB118_4352:
	s_mov_b32 s19, 0
                                        ; implicit-def: $vgpr1
.LBB118_4353:
	s_and_b32 vcc_lo, exec_lo, s35
	s_cbranch_vccz .LBB118_4357
; %bb.4354:
	s_cmp_eq_u32 s0, 44
	s_cbranch_scc0 .LBB118_4356
; %bb.4355:
	global_load_u8 v1, v[10:11], off
	s_mov_b32 s1, 0
	s_mov_b32 s19, -1
	s_wait_loadcnt 0x0
	v_lshlrev_b32_e32 v3, 23, v1
	v_cmp_ne_u32_e32 vcc_lo, 0, v1
	s_delay_alu instid0(VALU_DEP_2) | instskip(NEXT) | instid1(VALU_DEP_1)
	v_cvt_i32_f32_e32 v3, v3
	v_cndmask_b32_e32 v1, 0, v3, vcc_lo
	s_branch .LBB118_4357
.LBB118_4356:
	s_mov_b32 s1, -1
                                        ; implicit-def: $vgpr1
.LBB118_4357:
	s_mov_b32 s35, 0
.LBB118_4358:
	s_delay_alu instid0(SALU_CYCLE_1)
	s_and_b32 vcc_lo, exec_lo, s35
	s_cbranch_vccz .LBB118_4362
; %bb.4359:
	s_cmp_eq_u32 s0, 29
	s_cbranch_scc0 .LBB118_4361
; %bb.4360:
	global_load_b32 v1, v[10:11], off
	s_mov_b32 s1, 0
	s_mov_b32 s19, -1
	s_branch .LBB118_4362
.LBB118_4361:
	s_mov_b32 s1, -1
                                        ; implicit-def: $vgpr1
.LBB118_4362:
	s_mov_b32 s35, 0
.LBB118_4363:
	s_delay_alu instid0(SALU_CYCLE_1)
	s_and_b32 vcc_lo, exec_lo, s35
	s_cbranch_vccz .LBB118_4379
; %bb.4364:
	s_cmp_lt_i32 s0, 27
	s_cbranch_scc1 .LBB118_4367
; %bb.4365:
	s_cmp_gt_i32 s0, 27
	s_cbranch_scc0 .LBB118_4368
; %bb.4366:
	s_wait_loadcnt 0x0
	global_load_b32 v1, v[10:11], off
	s_mov_b32 s19, 0
	s_branch .LBB118_4369
.LBB118_4367:
	s_mov_b32 s19, -1
                                        ; implicit-def: $vgpr1
	s_branch .LBB118_4372
.LBB118_4368:
	s_mov_b32 s19, -1
                                        ; implicit-def: $vgpr1
.LBB118_4369:
	s_delay_alu instid0(SALU_CYCLE_1)
	s_and_not1_b32 vcc_lo, exec_lo, s19
	s_cbranch_vccnz .LBB118_4371
; %bb.4370:
	s_wait_loadcnt 0x0
	global_load_u16 v1, v[10:11], off
.LBB118_4371:
	s_mov_b32 s19, 0
.LBB118_4372:
	s_delay_alu instid0(SALU_CYCLE_1)
	s_and_not1_b32 vcc_lo, exec_lo, s19
	s_cbranch_vccnz .LBB118_4378
; %bb.4373:
	global_load_u8 v3, v[10:11], off
	s_mov_b32 s35, 0
	s_mov_b32 s19, exec_lo
	s_wait_loadcnt 0x0
	v_cmpx_lt_i16_e32 0x7f, v3
	s_xor_b32 s19, exec_lo, s19
	s_cbranch_execz .LBB118_4390
; %bb.4374:
	v_cmp_ne_u16_e32 vcc_lo, 0x80, v3
	s_and_b32 s35, vcc_lo, exec_lo
	s_and_not1_saveexec_b32 s19, s19
	s_cbranch_execnz .LBB118_4391
.LBB118_4375:
	s_or_b32 exec_lo, exec_lo, s19
	v_mov_b32_e32 v1, 0
	s_and_saveexec_b32 s19, s35
	s_cbranch_execz .LBB118_4377
.LBB118_4376:
	v_and_b32_e32 v1, 0xffff, v3
	s_delay_alu instid0(VALU_DEP_1) | instskip(SKIP_1) | instid1(VALU_DEP_2)
	v_and_b32_e32 v5, 7, v1
	v_bfe_u32 v12, v1, 3, 4
	v_clz_i32_u32_e32 v7, v5
	s_delay_alu instid0(VALU_DEP_2) | instskip(NEXT) | instid1(VALU_DEP_2)
	v_cmp_eq_u32_e32 vcc_lo, 0, v12
	v_min_u32_e32 v7, 32, v7
	s_delay_alu instid0(VALU_DEP_1) | instskip(NEXT) | instid1(VALU_DEP_1)
	v_subrev_nc_u32_e32 v9, 28, v7
	v_dual_lshlrev_b32 v1, v9, v1 :: v_dual_sub_nc_u32 v7, 29, v7
	s_delay_alu instid0(VALU_DEP_1) | instskip(NEXT) | instid1(VALU_DEP_1)
	v_dual_lshlrev_b32 v3, 24, v3 :: v_dual_bitop2_b32 v1, 7, v1 bitop3:0x40
	v_dual_cndmask_b32 v1, v5, v1, vcc_lo :: v_dual_cndmask_b32 v7, v12, v7, vcc_lo
	s_delay_alu instid0(VALU_DEP_2) | instskip(NEXT) | instid1(VALU_DEP_2)
	v_and_b32_e32 v3, 0x80000000, v3
	v_lshlrev_b32_e32 v1, 20, v1
	s_delay_alu instid0(VALU_DEP_3) | instskip(NEXT) | instid1(VALU_DEP_1)
	v_lshl_add_u32 v5, v7, 23, 0x3b800000
	v_or3_b32 v1, v3, v5, v1
	s_delay_alu instid0(VALU_DEP_1)
	v_cvt_i32_f32_e32 v1, v1
.LBB118_4377:
	s_or_b32 exec_lo, exec_lo, s19
.LBB118_4378:
	s_mov_b32 s19, -1
.LBB118_4379:
	s_mov_b32 s35, 0
.LBB118_4380:
	s_delay_alu instid0(SALU_CYCLE_1)
	s_and_b32 vcc_lo, exec_lo, s35
	s_cbranch_vccz .LBB118_4411
; %bb.4381:
	s_cmp_gt_i32 s0, 22
	s_cbranch_scc0 .LBB118_4389
; %bb.4382:
	s_cmp_lt_i32 s0, 24
	s_cbranch_scc1 .LBB118_4392
; %bb.4383:
	s_cmp_gt_i32 s0, 24
	s_cbranch_scc0 .LBB118_4393
; %bb.4384:
	global_load_u8 v3, v[10:11], off
	s_mov_b32 s19, 0
	s_mov_b32 s18, exec_lo
	s_wait_loadcnt 0x0
	v_cmpx_lt_i16_e32 0x7f, v3
	s_xor_b32 s18, exec_lo, s18
	s_cbranch_execz .LBB118_4405
; %bb.4385:
	v_cmp_ne_u16_e32 vcc_lo, 0x80, v3
	s_and_b32 s19, vcc_lo, exec_lo
	s_and_not1_saveexec_b32 s18, s18
	s_cbranch_execnz .LBB118_4406
.LBB118_4386:
	s_or_b32 exec_lo, exec_lo, s18
	v_mov_b32_e32 v1, 0
	s_and_saveexec_b32 s18, s19
	s_cbranch_execz .LBB118_4388
.LBB118_4387:
	v_and_b32_e32 v1, 0xffff, v3
	s_delay_alu instid0(VALU_DEP_1) | instskip(SKIP_1) | instid1(VALU_DEP_2)
	v_and_b32_e32 v5, 3, v1
	v_bfe_u32 v12, v1, 2, 5
	v_clz_i32_u32_e32 v7, v5
	s_delay_alu instid0(VALU_DEP_2) | instskip(NEXT) | instid1(VALU_DEP_2)
	v_cmp_eq_u32_e32 vcc_lo, 0, v12
	v_min_u32_e32 v7, 32, v7
	s_delay_alu instid0(VALU_DEP_1) | instskip(NEXT) | instid1(VALU_DEP_1)
	v_subrev_nc_u32_e32 v9, 29, v7
	v_dual_lshlrev_b32 v1, v9, v1 :: v_dual_sub_nc_u32 v7, 30, v7
	s_delay_alu instid0(VALU_DEP_1) | instskip(NEXT) | instid1(VALU_DEP_1)
	v_dual_lshlrev_b32 v3, 24, v3 :: v_dual_bitop2_b32 v1, 3, v1 bitop3:0x40
	v_dual_cndmask_b32 v1, v5, v1, vcc_lo :: v_dual_cndmask_b32 v7, v12, v7, vcc_lo
	s_delay_alu instid0(VALU_DEP_2) | instskip(NEXT) | instid1(VALU_DEP_2)
	v_and_b32_e32 v3, 0x80000000, v3
	v_lshlrev_b32_e32 v1, 21, v1
	s_delay_alu instid0(VALU_DEP_3) | instskip(NEXT) | instid1(VALU_DEP_1)
	v_lshl_add_u32 v5, v7, 23, 0x37800000
	v_or3_b32 v1, v3, v5, v1
	s_delay_alu instid0(VALU_DEP_1)
	v_cvt_i32_f32_e32 v1, v1
.LBB118_4388:
	s_or_b32 exec_lo, exec_lo, s18
	s_mov_b32 s18, 0
	s_branch .LBB118_4394
.LBB118_4389:
	s_mov_b32 s18, -1
                                        ; implicit-def: $vgpr1
	s_branch .LBB118_4400
.LBB118_4390:
	s_and_not1_saveexec_b32 s19, s19
	s_cbranch_execz .LBB118_4375
.LBB118_4391:
	v_cmp_ne_u16_e32 vcc_lo, 0, v3
	s_and_not1_b32 s35, s35, exec_lo
	s_and_b32 s36, vcc_lo, exec_lo
	s_delay_alu instid0(SALU_CYCLE_1)
	s_or_b32 s35, s35, s36
	s_or_b32 exec_lo, exec_lo, s19
	v_mov_b32_e32 v1, 0
	s_and_saveexec_b32 s19, s35
	s_cbranch_execnz .LBB118_4376
	s_branch .LBB118_4377
.LBB118_4392:
	s_mov_b32 s18, -1
                                        ; implicit-def: $vgpr1
	s_branch .LBB118_4397
.LBB118_4393:
	s_mov_b32 s18, -1
                                        ; implicit-def: $vgpr1
.LBB118_4394:
	s_delay_alu instid0(SALU_CYCLE_1)
	s_and_b32 vcc_lo, exec_lo, s18
	s_cbranch_vccz .LBB118_4396
; %bb.4395:
	s_wait_loadcnt 0x0
	global_load_u8 v1, v[10:11], off
	s_wait_loadcnt 0x0
	v_lshlrev_b32_e32 v1, 24, v1
	s_delay_alu instid0(VALU_DEP_1) | instskip(NEXT) | instid1(VALU_DEP_1)
	v_and_b32_e32 v3, 0x7f000000, v1
	v_clz_i32_u32_e32 v5, v3
	v_add_nc_u32_e32 v9, 0x1000000, v3
	v_cmp_ne_u32_e32 vcc_lo, 0, v3
	s_delay_alu instid0(VALU_DEP_3) | instskip(NEXT) | instid1(VALU_DEP_1)
	v_min_u32_e32 v5, 32, v5
	v_sub_nc_u32_e64 v5, v5, 4 clamp
	s_delay_alu instid0(VALU_DEP_1) | instskip(NEXT) | instid1(VALU_DEP_1)
	v_dual_lshlrev_b32 v7, v5, v3 :: v_dual_lshlrev_b32 v5, 23, v5
	v_lshrrev_b32_e32 v7, 4, v7
	s_delay_alu instid0(VALU_DEP_1) | instskip(SKIP_1) | instid1(VALU_DEP_2)
	v_sub_nc_u32_e32 v5, v7, v5
	v_ashrrev_i32_e32 v7, 8, v9
	v_add_nc_u32_e32 v5, 0x3c000000, v5
	s_delay_alu instid0(VALU_DEP_1) | instskip(NEXT) | instid1(VALU_DEP_1)
	v_and_or_b32 v5, 0x7f800000, v7, v5
	v_cndmask_b32_e32 v3, 0, v5, vcc_lo
	s_delay_alu instid0(VALU_DEP_1) | instskip(NEXT) | instid1(VALU_DEP_1)
	v_and_or_b32 v1, 0x80000000, v1, v3
	v_cvt_i32_f32_e32 v1, v1
.LBB118_4396:
	s_mov_b32 s18, 0
.LBB118_4397:
	s_delay_alu instid0(SALU_CYCLE_1)
	s_and_not1_b32 vcc_lo, exec_lo, s18
	s_cbranch_vccnz .LBB118_4399
; %bb.4398:
	s_wait_loadcnt 0x0
	global_load_u8 v1, v[10:11], off
	s_wait_loadcnt 0x0
	v_lshlrev_b32_e32 v3, 25, v1
	v_lshlrev_b16 v1, 8, v1
	s_delay_alu instid0(VALU_DEP_1) | instskip(SKIP_1) | instid1(VALU_DEP_2)
	v_and_or_b32 v7, 0x7f00, v1, 0.5
	v_bfe_i32 v1, v1, 0, 16
	v_add_f32_e32 v7, -0.5, v7
	v_lshrrev_b32_e32 v5, 4, v3
	v_cmp_gt_u32_e32 vcc_lo, 0x8000000, v3
	s_delay_alu instid0(VALU_DEP_2) | instskip(NEXT) | instid1(VALU_DEP_1)
	v_or_b32_e32 v5, 0x70000000, v5
	v_mul_f32_e32 v5, 0x7800000, v5
	s_delay_alu instid0(VALU_DEP_1) | instskip(NEXT) | instid1(VALU_DEP_1)
	v_cndmask_b32_e32 v3, v5, v7, vcc_lo
	v_and_or_b32 v1, 0x80000000, v1, v3
	s_delay_alu instid0(VALU_DEP_1)
	v_cvt_i32_f32_e32 v1, v1
.LBB118_4399:
	s_mov_b32 s18, 0
	s_mov_b32 s19, -1
.LBB118_4400:
	s_and_not1_b32 vcc_lo, exec_lo, s18
	s_mov_b32 s18, 0
	s_cbranch_vccnz .LBB118_4411
; %bb.4401:
	s_cmp_gt_i32 s0, 14
	s_cbranch_scc0 .LBB118_4404
; %bb.4402:
	s_cmp_eq_u32 s0, 15
	s_cbranch_scc0 .LBB118_4407
; %bb.4403:
	s_wait_loadcnt 0x0
	global_load_u16 v1, v[10:11], off
	s_mov_b32 s1, 0
	s_mov_b32 s19, -1
	s_wait_loadcnt 0x0
	v_lshlrev_b32_e32 v1, 16, v1
	s_delay_alu instid0(VALU_DEP_1)
	v_cvt_i32_f32_e32 v1, v1
	s_branch .LBB118_4409
.LBB118_4404:
	s_mov_b32 s18, -1
	s_branch .LBB118_4408
.LBB118_4405:
	s_and_not1_saveexec_b32 s18, s18
	s_cbranch_execz .LBB118_4386
.LBB118_4406:
	v_cmp_ne_u16_e32 vcc_lo, 0, v3
	s_and_not1_b32 s19, s19, exec_lo
	s_and_b32 s35, vcc_lo, exec_lo
	s_delay_alu instid0(SALU_CYCLE_1)
	s_or_b32 s19, s19, s35
	s_or_b32 exec_lo, exec_lo, s18
	v_mov_b32_e32 v1, 0
	s_and_saveexec_b32 s18, s19
	s_cbranch_execnz .LBB118_4387
	s_branch .LBB118_4388
.LBB118_4407:
	s_mov_b32 s1, -1
.LBB118_4408:
                                        ; implicit-def: $vgpr1
.LBB118_4409:
	s_and_b32 vcc_lo, exec_lo, s18
	s_mov_b32 s18, 0
	s_cbranch_vccz .LBB118_4411
; %bb.4410:
	s_cmp_lg_u32 s0, 11
	s_mov_b32 s18, -1
	s_cselect_b32 s1, -1, 0
.LBB118_4411:
	s_delay_alu instid0(SALU_CYCLE_1)
	s_and_b32 vcc_lo, exec_lo, s1
	s_mov_b32 s66, s64
	s_cbranch_vccnz .LBB118_4476
; %bb.4412:
	s_and_not1_b32 vcc_lo, exec_lo, s18
	s_cbranch_vccnz .LBB118_4414
.LBB118_4413:
	s_wait_loadcnt 0x0
	global_load_u8 v1, v[10:11], off
	s_mov_b32 s19, -1
	s_wait_loadcnt 0x0
	v_cmp_ne_u16_e32 vcc_lo, 0, v1
	v_cndmask_b32_e64 v1, 0, 1, vcc_lo
.LBB118_4414:
	s_mov_b32 s0, 0
.LBB118_4415:
	s_delay_alu instid0(SALU_CYCLE_1)
	s_and_b32 vcc_lo, exec_lo, s0
	s_cbranch_vccz .LBB118_4464
; %bb.4416:
	s_and_b32 s0, 0xffff, s55
	s_delay_alu instid0(SALU_CYCLE_1)
	s_cmp_lt_i32 s0, 5
	s_cbranch_scc1 .LBB118_4421
; %bb.4417:
	s_cmp_lt_i32 s0, 8
	s_cbranch_scc1 .LBB118_4422
; %bb.4418:
	;; [unrolled: 3-line block ×3, first 2 shown]
	s_cmp_gt_i32 s0, 9
	s_cbranch_scc0 .LBB118_4424
; %bb.4420:
	global_load_b64 v[12:13], v[10:11], off
	s_mov_b32 s1, 0
	s_wait_loadcnt 0x0
	v_cvt_i32_f64_e32 v1, v[12:13]
	s_branch .LBB118_4425
.LBB118_4421:
	s_mov_b32 s1, -1
                                        ; implicit-def: $vgpr1
	s_branch .LBB118_4443
.LBB118_4422:
	s_mov_b32 s1, -1
                                        ; implicit-def: $vgpr1
	s_branch .LBB118_4431
.LBB118_4423:
	s_mov_b32 s1, -1
                                        ; implicit-def: $vgpr1
	s_branch .LBB118_4428
.LBB118_4424:
	s_mov_b32 s1, -1
                                        ; implicit-def: $vgpr1
.LBB118_4425:
	s_delay_alu instid0(SALU_CYCLE_1)
	s_and_not1_b32 vcc_lo, exec_lo, s1
	s_cbranch_vccnz .LBB118_4427
; %bb.4426:
	s_wait_loadcnt 0x0
	global_load_b32 v1, v[10:11], off
	s_wait_loadcnt 0x0
	v_cvt_i32_f32_e32 v1, v1
.LBB118_4427:
	s_mov_b32 s1, 0
.LBB118_4428:
	s_delay_alu instid0(SALU_CYCLE_1)
	s_and_not1_b32 vcc_lo, exec_lo, s1
	s_cbranch_vccnz .LBB118_4430
; %bb.4429:
	s_wait_loadcnt 0x0
	global_load_b32 v1, v[10:11], off
	s_wait_loadcnt 0x0
	v_cvt_f32_f16_e32 v1, v1
	s_delay_alu instid0(VALU_DEP_1)
	v_cvt_i32_f32_e32 v1, v1
.LBB118_4430:
	s_mov_b32 s1, 0
.LBB118_4431:
	s_delay_alu instid0(SALU_CYCLE_1)
	s_and_not1_b32 vcc_lo, exec_lo, s1
	s_cbranch_vccnz .LBB118_4442
; %bb.4432:
	s_cmp_lt_i32 s0, 6
	s_cbranch_scc1 .LBB118_4435
; %bb.4433:
	s_cmp_gt_i32 s0, 6
	s_cbranch_scc0 .LBB118_4436
; %bb.4434:
	global_load_b64 v[12:13], v[10:11], off
	s_mov_b32 s1, 0
	s_wait_loadcnt 0x0
	v_cvt_i32_f64_e32 v1, v[12:13]
	s_branch .LBB118_4437
.LBB118_4435:
	s_mov_b32 s1, -1
                                        ; implicit-def: $vgpr1
	s_branch .LBB118_4440
.LBB118_4436:
	s_mov_b32 s1, -1
                                        ; implicit-def: $vgpr1
.LBB118_4437:
	s_delay_alu instid0(SALU_CYCLE_1)
	s_and_not1_b32 vcc_lo, exec_lo, s1
	s_cbranch_vccnz .LBB118_4439
; %bb.4438:
	s_wait_loadcnt 0x0
	global_load_b32 v1, v[10:11], off
	s_wait_loadcnt 0x0
	v_cvt_i32_f32_e32 v1, v1
.LBB118_4439:
	s_mov_b32 s1, 0
.LBB118_4440:
	s_delay_alu instid0(SALU_CYCLE_1)
	s_and_not1_b32 vcc_lo, exec_lo, s1
	s_cbranch_vccnz .LBB118_4442
; %bb.4441:
	s_wait_loadcnt 0x0
	global_load_u16 v1, v[10:11], off
	s_wait_loadcnt 0x0
	v_cvt_f32_f16_e32 v1, v1
	s_delay_alu instid0(VALU_DEP_1)
	v_cvt_i32_f32_e32 v1, v1
.LBB118_4442:
	s_mov_b32 s1, 0
.LBB118_4443:
	s_delay_alu instid0(SALU_CYCLE_1)
	s_and_not1_b32 vcc_lo, exec_lo, s1
	s_cbranch_vccnz .LBB118_4463
; %bb.4444:
	s_cmp_lt_i32 s0, 2
	s_cbranch_scc1 .LBB118_4448
; %bb.4445:
	s_cmp_lt_i32 s0, 3
	s_cbranch_scc1 .LBB118_4449
; %bb.4446:
	s_cmp_gt_i32 s0, 3
	s_cbranch_scc0 .LBB118_4450
; %bb.4447:
	s_wait_loadcnt 0x0
	global_load_b32 v1, v[10:11], off
	s_mov_b32 s1, 0
	s_branch .LBB118_4451
.LBB118_4448:
	s_mov_b32 s1, -1
                                        ; implicit-def: $vgpr1
	s_branch .LBB118_4457
.LBB118_4449:
	s_mov_b32 s1, -1
                                        ; implicit-def: $vgpr1
	s_branch .LBB118_4454
.LBB118_4450:
	s_mov_b32 s1, -1
                                        ; implicit-def: $vgpr1
.LBB118_4451:
	s_delay_alu instid0(SALU_CYCLE_1)
	s_and_not1_b32 vcc_lo, exec_lo, s1
	s_cbranch_vccnz .LBB118_4453
; %bb.4452:
	s_wait_loadcnt 0x0
	global_load_b32 v1, v[10:11], off
.LBB118_4453:
	s_mov_b32 s1, 0
.LBB118_4454:
	s_delay_alu instid0(SALU_CYCLE_1)
	s_and_not1_b32 vcc_lo, exec_lo, s1
	s_cbranch_vccnz .LBB118_4456
; %bb.4455:
	s_wait_loadcnt 0x0
	global_load_i16 v1, v[10:11], off
.LBB118_4456:
	s_mov_b32 s1, 0
.LBB118_4457:
	s_delay_alu instid0(SALU_CYCLE_1)
	s_and_not1_b32 vcc_lo, exec_lo, s1
	s_cbranch_vccnz .LBB118_4463
; %bb.4458:
	s_cmp_gt_i32 s0, 0
	s_mov_b32 s0, 0
	s_cbranch_scc0 .LBB118_4460
; %bb.4459:
	s_wait_loadcnt 0x0
	global_load_i8 v1, v[10:11], off
	s_branch .LBB118_4461
.LBB118_4460:
	s_mov_b32 s0, -1
                                        ; implicit-def: $vgpr1
.LBB118_4461:
	s_delay_alu instid0(SALU_CYCLE_1)
	s_and_not1_b32 vcc_lo, exec_lo, s0
	s_cbranch_vccnz .LBB118_4463
; %bb.4462:
	s_wait_loadcnt 0x0
	global_load_u8 v1, v[10:11], off
.LBB118_4463:
	s_mov_b32 s19, -1
.LBB118_4464:
	s_delay_alu instid0(SALU_CYCLE_1)
	s_and_not1_b32 vcc_lo, exec_lo, s19
	s_cbranch_vccnz .LBB118_4984
; %bb.4465:
	v_add_nc_u32_e32 v2, s68, v2
	s_cmp_lt_i32 s56, 11
	s_delay_alu instid0(VALU_DEP_1) | instskip(SKIP_1) | instid1(VALU_DEP_1)
	v_ashrrev_i32_e32 v3, 31, v2
	s_wait_xcnt 0x0
	v_add_nc_u64_e32 v[10:11], s[8:9], v[2:3]
	s_cbranch_scc1 .LBB118_4472
; %bb.4466:
	s_and_b32 s0, 0xffff, s56
	s_mov_b32 s18, 0
	s_cmp_gt_i32 s0, 25
	s_cbranch_scc0 .LBB118_4473
; %bb.4467:
	s_cmp_gt_i32 s0, 28
	s_cbranch_scc0 .LBB118_4474
; %bb.4468:
	;; [unrolled: 3-line block ×4, first 2 shown]
	s_cmp_eq_u32 s0, 46
	s_mov_b32 s35, 0
	s_cbranch_scc0 .LBB118_4479
; %bb.4471:
	global_load_b32 v3, v[10:11], off
	s_mov_b32 s1, 0
	s_mov_b32 s19, -1
	s_wait_loadcnt 0x0
	v_lshlrev_b32_e32 v3, 16, v3
	s_delay_alu instid0(VALU_DEP_1)
	v_cvt_i32_f32_e32 v3, v3
	s_branch .LBB118_4481
.LBB118_4472:
	s_mov_b32 s0, -1
	s_mov_b32 s19, 0
                                        ; implicit-def: $vgpr3
	s_branch .LBB118_4543
.LBB118_4473:
	s_mov_b32 s35, -1
	s_mov_b32 s19, 0
	s_mov_b32 s1, 0
                                        ; implicit-def: $vgpr3
	s_branch .LBB118_4508
.LBB118_4474:
	s_mov_b32 s35, -1
	s_mov_b32 s19, 0
	s_mov_b32 s1, 0
                                        ; implicit-def: $vgpr3
	s_branch .LBB118_4491
.LBB118_4475:
	s_mov_b32 s35, -1
	s_mov_b32 s19, 0
	s_mov_b32 s1, 0
                                        ; implicit-def: $vgpr3
	s_branch .LBB118_4486
.LBB118_4476:
	s_or_b32 s66, s64, exec_lo
	s_trap 2
	s_cbranch_execz .LBB118_4413
	s_branch .LBB118_4414
.LBB118_4477:
	s_mov_b32 s35, -1
	s_mov_b32 s19, 0
	s_mov_b32 s1, 0
	s_branch .LBB118_4480
.LBB118_4478:
	s_or_b32 s17, s17, exec_lo
	s_trap 2
                                        ; implicit-def: $vgpr0
                                        ; implicit-def: $vgpr2
                                        ; implicit-def: $vgpr3
                                        ; implicit-def: $vgpr4
                                        ; implicit-def: $vgpr10
                                        ; implicit-def: $vgpr6
                                        ; implicit-def: $vgpr12
                                        ; implicit-def: $vgpr8
                                        ; implicit-def: $vgpr16
                                        ; implicit-def: $vgpr23
                                        ; implicit-def: $vgpr22
	s_branch .LBB118_4311
.LBB118_4479:
	s_mov_b32 s1, -1
	s_mov_b32 s19, 0
.LBB118_4480:
                                        ; implicit-def: $vgpr3
.LBB118_4481:
	s_and_b32 vcc_lo, exec_lo, s35
	s_cbranch_vccz .LBB118_4485
; %bb.4482:
	s_cmp_eq_u32 s0, 44
	s_cbranch_scc0 .LBB118_4484
; %bb.4483:
	global_load_u8 v3, v[10:11], off
	s_mov_b32 s1, 0
	s_mov_b32 s19, -1
	s_wait_loadcnt 0x0
	v_lshlrev_b32_e32 v5, 23, v3
	v_cmp_ne_u32_e32 vcc_lo, 0, v3
	s_delay_alu instid0(VALU_DEP_2) | instskip(NEXT) | instid1(VALU_DEP_1)
	v_cvt_i32_f32_e32 v5, v5
	v_cndmask_b32_e32 v3, 0, v5, vcc_lo
	s_branch .LBB118_4485
.LBB118_4484:
	s_mov_b32 s1, -1
                                        ; implicit-def: $vgpr3
.LBB118_4485:
	s_mov_b32 s35, 0
.LBB118_4486:
	s_delay_alu instid0(SALU_CYCLE_1)
	s_and_b32 vcc_lo, exec_lo, s35
	s_cbranch_vccz .LBB118_4490
; %bb.4487:
	s_cmp_eq_u32 s0, 29
	s_cbranch_scc0 .LBB118_4489
; %bb.4488:
	global_load_b32 v3, v[10:11], off
	s_mov_b32 s1, 0
	s_mov_b32 s19, -1
	s_branch .LBB118_4490
.LBB118_4489:
	s_mov_b32 s1, -1
                                        ; implicit-def: $vgpr3
.LBB118_4490:
	s_mov_b32 s35, 0
.LBB118_4491:
	s_delay_alu instid0(SALU_CYCLE_1)
	s_and_b32 vcc_lo, exec_lo, s35
	s_cbranch_vccz .LBB118_4507
; %bb.4492:
	s_cmp_lt_i32 s0, 27
	s_cbranch_scc1 .LBB118_4495
; %bb.4493:
	s_cmp_gt_i32 s0, 27
	s_cbranch_scc0 .LBB118_4496
; %bb.4494:
	s_wait_loadcnt 0x0
	global_load_b32 v3, v[10:11], off
	s_mov_b32 s19, 0
	s_branch .LBB118_4497
.LBB118_4495:
	s_mov_b32 s19, -1
                                        ; implicit-def: $vgpr3
	s_branch .LBB118_4500
.LBB118_4496:
	s_mov_b32 s19, -1
                                        ; implicit-def: $vgpr3
.LBB118_4497:
	s_delay_alu instid0(SALU_CYCLE_1)
	s_and_not1_b32 vcc_lo, exec_lo, s19
	s_cbranch_vccnz .LBB118_4499
; %bb.4498:
	s_wait_loadcnt 0x0
	global_load_u16 v3, v[10:11], off
.LBB118_4499:
	s_mov_b32 s19, 0
.LBB118_4500:
	s_delay_alu instid0(SALU_CYCLE_1)
	s_and_not1_b32 vcc_lo, exec_lo, s19
	s_cbranch_vccnz .LBB118_4506
; %bb.4501:
	global_load_u8 v5, v[10:11], off
	s_mov_b32 s35, 0
	s_mov_b32 s19, exec_lo
	s_wait_loadcnt 0x0
	v_cmpx_lt_i16_e32 0x7f, v5
	s_xor_b32 s19, exec_lo, s19
	s_cbranch_execz .LBB118_4518
; %bb.4502:
	v_cmp_ne_u16_e32 vcc_lo, 0x80, v5
	s_and_b32 s35, vcc_lo, exec_lo
	s_and_not1_saveexec_b32 s19, s19
	s_cbranch_execnz .LBB118_4519
.LBB118_4503:
	s_or_b32 exec_lo, exec_lo, s19
	v_mov_b32_e32 v3, 0
	s_and_saveexec_b32 s19, s35
	s_cbranch_execz .LBB118_4505
.LBB118_4504:
	v_and_b32_e32 v3, 0xffff, v5
	s_delay_alu instid0(VALU_DEP_1) | instskip(SKIP_1) | instid1(VALU_DEP_2)
	v_and_b32_e32 v7, 7, v3
	v_bfe_u32 v13, v3, 3, 4
	v_clz_i32_u32_e32 v9, v7
	s_delay_alu instid0(VALU_DEP_2) | instskip(NEXT) | instid1(VALU_DEP_2)
	v_cmp_eq_u32_e32 vcc_lo, 0, v13
	v_min_u32_e32 v9, 32, v9
	s_delay_alu instid0(VALU_DEP_1) | instskip(NEXT) | instid1(VALU_DEP_1)
	v_subrev_nc_u32_e32 v12, 28, v9
	v_dual_lshlrev_b32 v3, v12, v3 :: v_dual_sub_nc_u32 v9, 29, v9
	s_delay_alu instid0(VALU_DEP_1) | instskip(NEXT) | instid1(VALU_DEP_1)
	v_dual_lshlrev_b32 v5, 24, v5 :: v_dual_bitop2_b32 v3, 7, v3 bitop3:0x40
	v_dual_cndmask_b32 v3, v7, v3, vcc_lo :: v_dual_cndmask_b32 v9, v13, v9, vcc_lo
	s_delay_alu instid0(VALU_DEP_2) | instskip(NEXT) | instid1(VALU_DEP_2)
	v_and_b32_e32 v5, 0x80000000, v5
	v_lshlrev_b32_e32 v3, 20, v3
	s_delay_alu instid0(VALU_DEP_3) | instskip(NEXT) | instid1(VALU_DEP_1)
	v_lshl_add_u32 v7, v9, 23, 0x3b800000
	v_or3_b32 v3, v5, v7, v3
	s_delay_alu instid0(VALU_DEP_1)
	v_cvt_i32_f32_e32 v3, v3
.LBB118_4505:
	s_or_b32 exec_lo, exec_lo, s19
.LBB118_4506:
	s_mov_b32 s19, -1
.LBB118_4507:
	s_mov_b32 s35, 0
.LBB118_4508:
	s_delay_alu instid0(SALU_CYCLE_1)
	s_and_b32 vcc_lo, exec_lo, s35
	s_cbranch_vccz .LBB118_4539
; %bb.4509:
	s_cmp_gt_i32 s0, 22
	s_cbranch_scc0 .LBB118_4517
; %bb.4510:
	s_cmp_lt_i32 s0, 24
	s_cbranch_scc1 .LBB118_4520
; %bb.4511:
	s_cmp_gt_i32 s0, 24
	s_cbranch_scc0 .LBB118_4521
; %bb.4512:
	global_load_u8 v5, v[10:11], off
	s_mov_b32 s19, 0
	s_mov_b32 s18, exec_lo
	s_wait_loadcnt 0x0
	v_cmpx_lt_i16_e32 0x7f, v5
	s_xor_b32 s18, exec_lo, s18
	s_cbranch_execz .LBB118_4533
; %bb.4513:
	v_cmp_ne_u16_e32 vcc_lo, 0x80, v5
	s_and_b32 s19, vcc_lo, exec_lo
	s_and_not1_saveexec_b32 s18, s18
	s_cbranch_execnz .LBB118_4534
.LBB118_4514:
	s_or_b32 exec_lo, exec_lo, s18
	v_mov_b32_e32 v3, 0
	s_and_saveexec_b32 s18, s19
	s_cbranch_execz .LBB118_4516
.LBB118_4515:
	v_and_b32_e32 v3, 0xffff, v5
	s_delay_alu instid0(VALU_DEP_1) | instskip(SKIP_1) | instid1(VALU_DEP_2)
	v_and_b32_e32 v7, 3, v3
	v_bfe_u32 v13, v3, 2, 5
	v_clz_i32_u32_e32 v9, v7
	s_delay_alu instid0(VALU_DEP_2) | instskip(NEXT) | instid1(VALU_DEP_2)
	v_cmp_eq_u32_e32 vcc_lo, 0, v13
	v_min_u32_e32 v9, 32, v9
	s_delay_alu instid0(VALU_DEP_1) | instskip(NEXT) | instid1(VALU_DEP_1)
	v_subrev_nc_u32_e32 v12, 29, v9
	v_dual_lshlrev_b32 v3, v12, v3 :: v_dual_sub_nc_u32 v9, 30, v9
	s_delay_alu instid0(VALU_DEP_1) | instskip(NEXT) | instid1(VALU_DEP_1)
	v_dual_lshlrev_b32 v5, 24, v5 :: v_dual_bitop2_b32 v3, 3, v3 bitop3:0x40
	v_dual_cndmask_b32 v3, v7, v3, vcc_lo :: v_dual_cndmask_b32 v9, v13, v9, vcc_lo
	s_delay_alu instid0(VALU_DEP_2) | instskip(NEXT) | instid1(VALU_DEP_2)
	v_and_b32_e32 v5, 0x80000000, v5
	v_lshlrev_b32_e32 v3, 21, v3
	s_delay_alu instid0(VALU_DEP_3) | instskip(NEXT) | instid1(VALU_DEP_1)
	v_lshl_add_u32 v7, v9, 23, 0x37800000
	v_or3_b32 v3, v5, v7, v3
	s_delay_alu instid0(VALU_DEP_1)
	v_cvt_i32_f32_e32 v3, v3
.LBB118_4516:
	s_or_b32 exec_lo, exec_lo, s18
	s_mov_b32 s18, 0
	s_branch .LBB118_4522
.LBB118_4517:
	s_mov_b32 s18, -1
                                        ; implicit-def: $vgpr3
	s_branch .LBB118_4528
.LBB118_4518:
	s_and_not1_saveexec_b32 s19, s19
	s_cbranch_execz .LBB118_4503
.LBB118_4519:
	v_cmp_ne_u16_e32 vcc_lo, 0, v5
	s_and_not1_b32 s35, s35, exec_lo
	s_and_b32 s36, vcc_lo, exec_lo
	s_delay_alu instid0(SALU_CYCLE_1)
	s_or_b32 s35, s35, s36
	s_or_b32 exec_lo, exec_lo, s19
	v_mov_b32_e32 v3, 0
	s_and_saveexec_b32 s19, s35
	s_cbranch_execnz .LBB118_4504
	s_branch .LBB118_4505
.LBB118_4520:
	s_mov_b32 s18, -1
                                        ; implicit-def: $vgpr3
	s_branch .LBB118_4525
.LBB118_4521:
	s_mov_b32 s18, -1
                                        ; implicit-def: $vgpr3
.LBB118_4522:
	s_delay_alu instid0(SALU_CYCLE_1)
	s_and_b32 vcc_lo, exec_lo, s18
	s_cbranch_vccz .LBB118_4524
; %bb.4523:
	s_wait_loadcnt 0x0
	global_load_u8 v3, v[10:11], off
	s_wait_loadcnt 0x0
	v_lshlrev_b32_e32 v3, 24, v3
	s_delay_alu instid0(VALU_DEP_1) | instskip(NEXT) | instid1(VALU_DEP_1)
	v_and_b32_e32 v5, 0x7f000000, v3
	v_clz_i32_u32_e32 v7, v5
	v_cmp_ne_u32_e32 vcc_lo, 0, v5
	v_add_nc_u32_e32 v12, 0x1000000, v5
	s_delay_alu instid0(VALU_DEP_3) | instskip(NEXT) | instid1(VALU_DEP_1)
	v_min_u32_e32 v7, 32, v7
	v_sub_nc_u32_e64 v7, v7, 4 clamp
	s_delay_alu instid0(VALU_DEP_1) | instskip(NEXT) | instid1(VALU_DEP_1)
	v_dual_lshlrev_b32 v9, v7, v5 :: v_dual_lshlrev_b32 v7, 23, v7
	v_lshrrev_b32_e32 v9, 4, v9
	s_delay_alu instid0(VALU_DEP_1) | instskip(NEXT) | instid1(VALU_DEP_1)
	v_dual_sub_nc_u32 v7, v9, v7 :: v_dual_ashrrev_i32 v9, 8, v12
	v_add_nc_u32_e32 v7, 0x3c000000, v7
	s_delay_alu instid0(VALU_DEP_1) | instskip(NEXT) | instid1(VALU_DEP_1)
	v_and_or_b32 v7, 0x7f800000, v9, v7
	v_cndmask_b32_e32 v5, 0, v7, vcc_lo
	s_delay_alu instid0(VALU_DEP_1) | instskip(NEXT) | instid1(VALU_DEP_1)
	v_and_or_b32 v3, 0x80000000, v3, v5
	v_cvt_i32_f32_e32 v3, v3
.LBB118_4524:
	s_mov_b32 s18, 0
.LBB118_4525:
	s_delay_alu instid0(SALU_CYCLE_1)
	s_and_not1_b32 vcc_lo, exec_lo, s18
	s_cbranch_vccnz .LBB118_4527
; %bb.4526:
	s_wait_loadcnt 0x0
	global_load_u8 v3, v[10:11], off
	s_wait_loadcnt 0x0
	v_lshlrev_b32_e32 v5, 25, v3
	v_lshlrev_b16 v3, 8, v3
	s_delay_alu instid0(VALU_DEP_1) | instskip(SKIP_1) | instid1(VALU_DEP_2)
	v_and_or_b32 v9, 0x7f00, v3, 0.5
	v_bfe_i32 v3, v3, 0, 16
	v_add_f32_e32 v9, -0.5, v9
	v_lshrrev_b32_e32 v7, 4, v5
	v_cmp_gt_u32_e32 vcc_lo, 0x8000000, v5
	s_delay_alu instid0(VALU_DEP_2) | instskip(NEXT) | instid1(VALU_DEP_1)
	v_or_b32_e32 v7, 0x70000000, v7
	v_mul_f32_e32 v7, 0x7800000, v7
	s_delay_alu instid0(VALU_DEP_1) | instskip(NEXT) | instid1(VALU_DEP_1)
	v_cndmask_b32_e32 v5, v7, v9, vcc_lo
	v_and_or_b32 v3, 0x80000000, v3, v5
	s_delay_alu instid0(VALU_DEP_1)
	v_cvt_i32_f32_e32 v3, v3
.LBB118_4527:
	s_mov_b32 s18, 0
	s_mov_b32 s19, -1
.LBB118_4528:
	s_and_not1_b32 vcc_lo, exec_lo, s18
	s_mov_b32 s18, 0
	s_cbranch_vccnz .LBB118_4539
; %bb.4529:
	s_cmp_gt_i32 s0, 14
	s_cbranch_scc0 .LBB118_4532
; %bb.4530:
	s_cmp_eq_u32 s0, 15
	s_cbranch_scc0 .LBB118_4535
; %bb.4531:
	s_wait_loadcnt 0x0
	global_load_u16 v3, v[10:11], off
	s_mov_b32 s1, 0
	s_mov_b32 s19, -1
	s_wait_loadcnt 0x0
	v_lshlrev_b32_e32 v3, 16, v3
	s_delay_alu instid0(VALU_DEP_1)
	v_cvt_i32_f32_e32 v3, v3
	s_branch .LBB118_4537
.LBB118_4532:
	s_mov_b32 s18, -1
	s_branch .LBB118_4536
.LBB118_4533:
	s_and_not1_saveexec_b32 s18, s18
	s_cbranch_execz .LBB118_4514
.LBB118_4534:
	v_cmp_ne_u16_e32 vcc_lo, 0, v5
	s_and_not1_b32 s19, s19, exec_lo
	s_and_b32 s35, vcc_lo, exec_lo
	s_delay_alu instid0(SALU_CYCLE_1)
	s_or_b32 s19, s19, s35
	s_or_b32 exec_lo, exec_lo, s18
	v_mov_b32_e32 v3, 0
	s_and_saveexec_b32 s18, s19
	s_cbranch_execnz .LBB118_4515
	s_branch .LBB118_4516
.LBB118_4535:
	s_mov_b32 s1, -1
.LBB118_4536:
                                        ; implicit-def: $vgpr3
.LBB118_4537:
	s_and_b32 vcc_lo, exec_lo, s18
	s_mov_b32 s18, 0
	s_cbranch_vccz .LBB118_4539
; %bb.4538:
	s_cmp_lg_u32 s0, 11
	s_mov_b32 s18, -1
	s_cselect_b32 s1, -1, 0
.LBB118_4539:
	s_delay_alu instid0(SALU_CYCLE_1)
	s_and_b32 vcc_lo, exec_lo, s1
	s_cbranch_vccnz .LBB118_4604
; %bb.4540:
	s_and_not1_b32 vcc_lo, exec_lo, s18
	s_cbranch_vccnz .LBB118_4542
.LBB118_4541:
	s_wait_loadcnt 0x0
	global_load_u8 v3, v[10:11], off
	s_mov_b32 s19, -1
	s_wait_loadcnt 0x0
	v_cmp_ne_u16_e32 vcc_lo, 0, v3
	v_cndmask_b32_e64 v3, 0, 1, vcc_lo
.LBB118_4542:
	s_mov_b32 s0, 0
.LBB118_4543:
	s_delay_alu instid0(SALU_CYCLE_1)
	s_and_b32 vcc_lo, exec_lo, s0
	s_cbranch_vccz .LBB118_4592
; %bb.4544:
	s_and_b32 s0, 0xffff, s56
	s_delay_alu instid0(SALU_CYCLE_1)
	s_cmp_lt_i32 s0, 5
	s_cbranch_scc1 .LBB118_4549
; %bb.4545:
	s_cmp_lt_i32 s0, 8
	s_cbranch_scc1 .LBB118_4550
; %bb.4546:
	;; [unrolled: 3-line block ×3, first 2 shown]
	s_cmp_gt_i32 s0, 9
	s_cbranch_scc0 .LBB118_4552
; %bb.4548:
	global_load_b64 v[12:13], v[10:11], off
	s_mov_b32 s1, 0
	s_wait_loadcnt 0x0
	v_cvt_i32_f64_e32 v3, v[12:13]
	s_branch .LBB118_4553
.LBB118_4549:
	s_mov_b32 s1, -1
                                        ; implicit-def: $vgpr3
	s_branch .LBB118_4571
.LBB118_4550:
	s_mov_b32 s1, -1
                                        ; implicit-def: $vgpr3
	s_branch .LBB118_4559
.LBB118_4551:
	s_mov_b32 s1, -1
                                        ; implicit-def: $vgpr3
	s_branch .LBB118_4556
.LBB118_4552:
	s_mov_b32 s1, -1
                                        ; implicit-def: $vgpr3
.LBB118_4553:
	s_delay_alu instid0(SALU_CYCLE_1)
	s_and_not1_b32 vcc_lo, exec_lo, s1
	s_cbranch_vccnz .LBB118_4555
; %bb.4554:
	s_wait_loadcnt 0x0
	global_load_b32 v3, v[10:11], off
	s_wait_loadcnt 0x0
	v_cvt_i32_f32_e32 v3, v3
.LBB118_4555:
	s_mov_b32 s1, 0
.LBB118_4556:
	s_delay_alu instid0(SALU_CYCLE_1)
	s_and_not1_b32 vcc_lo, exec_lo, s1
	s_cbranch_vccnz .LBB118_4558
; %bb.4557:
	s_wait_loadcnt 0x0
	global_load_b32 v3, v[10:11], off
	s_wait_loadcnt 0x0
	v_cvt_f32_f16_e32 v3, v3
	s_delay_alu instid0(VALU_DEP_1)
	v_cvt_i32_f32_e32 v3, v3
.LBB118_4558:
	s_mov_b32 s1, 0
.LBB118_4559:
	s_delay_alu instid0(SALU_CYCLE_1)
	s_and_not1_b32 vcc_lo, exec_lo, s1
	s_cbranch_vccnz .LBB118_4570
; %bb.4560:
	s_cmp_lt_i32 s0, 6
	s_cbranch_scc1 .LBB118_4563
; %bb.4561:
	s_cmp_gt_i32 s0, 6
	s_cbranch_scc0 .LBB118_4564
; %bb.4562:
	global_load_b64 v[12:13], v[10:11], off
	s_mov_b32 s1, 0
	s_wait_loadcnt 0x0
	v_cvt_i32_f64_e32 v3, v[12:13]
	s_branch .LBB118_4565
.LBB118_4563:
	s_mov_b32 s1, -1
                                        ; implicit-def: $vgpr3
	s_branch .LBB118_4568
.LBB118_4564:
	s_mov_b32 s1, -1
                                        ; implicit-def: $vgpr3
.LBB118_4565:
	s_delay_alu instid0(SALU_CYCLE_1)
	s_and_not1_b32 vcc_lo, exec_lo, s1
	s_cbranch_vccnz .LBB118_4567
; %bb.4566:
	s_wait_loadcnt 0x0
	global_load_b32 v3, v[10:11], off
	s_wait_loadcnt 0x0
	v_cvt_i32_f32_e32 v3, v3
.LBB118_4567:
	s_mov_b32 s1, 0
.LBB118_4568:
	s_delay_alu instid0(SALU_CYCLE_1)
	s_and_not1_b32 vcc_lo, exec_lo, s1
	s_cbranch_vccnz .LBB118_4570
; %bb.4569:
	s_wait_loadcnt 0x0
	global_load_u16 v3, v[10:11], off
	s_wait_loadcnt 0x0
	v_cvt_f32_f16_e32 v3, v3
	s_delay_alu instid0(VALU_DEP_1)
	v_cvt_i32_f32_e32 v3, v3
.LBB118_4570:
	s_mov_b32 s1, 0
.LBB118_4571:
	s_delay_alu instid0(SALU_CYCLE_1)
	s_and_not1_b32 vcc_lo, exec_lo, s1
	s_cbranch_vccnz .LBB118_4591
; %bb.4572:
	s_cmp_lt_i32 s0, 2
	s_cbranch_scc1 .LBB118_4576
; %bb.4573:
	s_cmp_lt_i32 s0, 3
	s_cbranch_scc1 .LBB118_4577
; %bb.4574:
	s_cmp_gt_i32 s0, 3
	s_cbranch_scc0 .LBB118_4578
; %bb.4575:
	s_wait_loadcnt 0x0
	global_load_b32 v3, v[10:11], off
	s_mov_b32 s1, 0
	s_branch .LBB118_4579
.LBB118_4576:
	s_mov_b32 s1, -1
                                        ; implicit-def: $vgpr3
	s_branch .LBB118_4585
.LBB118_4577:
	s_mov_b32 s1, -1
                                        ; implicit-def: $vgpr3
	s_branch .LBB118_4582
.LBB118_4578:
	s_mov_b32 s1, -1
                                        ; implicit-def: $vgpr3
.LBB118_4579:
	s_delay_alu instid0(SALU_CYCLE_1)
	s_and_not1_b32 vcc_lo, exec_lo, s1
	s_cbranch_vccnz .LBB118_4581
; %bb.4580:
	s_wait_loadcnt 0x0
	global_load_b32 v3, v[10:11], off
.LBB118_4581:
	s_mov_b32 s1, 0
.LBB118_4582:
	s_delay_alu instid0(SALU_CYCLE_1)
	s_and_not1_b32 vcc_lo, exec_lo, s1
	s_cbranch_vccnz .LBB118_4584
; %bb.4583:
	s_wait_loadcnt 0x0
	global_load_i16 v3, v[10:11], off
.LBB118_4584:
	s_mov_b32 s1, 0
.LBB118_4585:
	s_delay_alu instid0(SALU_CYCLE_1)
	s_and_not1_b32 vcc_lo, exec_lo, s1
	s_cbranch_vccnz .LBB118_4591
; %bb.4586:
	s_cmp_gt_i32 s0, 0
	s_mov_b32 s0, 0
	s_cbranch_scc0 .LBB118_4588
; %bb.4587:
	s_wait_loadcnt 0x0
	global_load_i8 v3, v[10:11], off
	s_branch .LBB118_4589
.LBB118_4588:
	s_mov_b32 s0, -1
                                        ; implicit-def: $vgpr3
.LBB118_4589:
	s_delay_alu instid0(SALU_CYCLE_1)
	s_and_not1_b32 vcc_lo, exec_lo, s0
	s_cbranch_vccnz .LBB118_4591
; %bb.4590:
	s_wait_loadcnt 0x0
	global_load_u8 v3, v[10:11], off
.LBB118_4591:
	s_mov_b32 s19, -1
.LBB118_4592:
	s_delay_alu instid0(SALU_CYCLE_1)
	s_and_not1_b32 vcc_lo, exec_lo, s19
	s_cbranch_vccnz .LBB118_4984
; %bb.4593:
	v_add_nc_u32_e32 v4, s69, v4
	s_cmp_lt_i32 s57, 11
	s_delay_alu instid0(VALU_DEP_1) | instskip(NEXT) | instid1(VALU_DEP_1)
	v_ashrrev_i32_e32 v5, 31, v4
	v_add_nc_u64_e32 v[12:13], s[10:11], v[4:5]
	s_cbranch_scc1 .LBB118_4600
; %bb.4594:
	s_and_b32 s0, 0xffff, s57
	s_mov_b32 s18, 0
	s_cmp_gt_i32 s0, 25
	s_cbranch_scc0 .LBB118_4601
; %bb.4595:
	s_cmp_gt_i32 s0, 28
	s_cbranch_scc0 .LBB118_4602
; %bb.4596:
	;; [unrolled: 3-line block ×4, first 2 shown]
	s_cmp_eq_u32 s0, 46
	s_mov_b32 s35, 0
	s_cbranch_scc0 .LBB118_4607
; %bb.4599:
	global_load_b32 v5, v[12:13], off
	s_mov_b32 s1, 0
	s_mov_b32 s19, -1
	s_wait_loadcnt 0x0
	v_lshlrev_b32_e32 v5, 16, v5
	s_wait_xcnt 0x1
	s_delay_alu instid0(VALU_DEP_1)
	v_cvt_i32_f32_e32 v10, v5
	s_branch .LBB118_4609
.LBB118_4600:
	s_mov_b32 s0, -1
	s_mov_b32 s19, 0
                                        ; implicit-def: $vgpr10
	s_branch .LBB118_4671
.LBB118_4601:
	s_mov_b32 s35, -1
	s_mov_b32 s19, 0
	s_mov_b32 s1, 0
                                        ; implicit-def: $vgpr10
	s_branch .LBB118_4636
.LBB118_4602:
	s_mov_b32 s35, -1
	s_mov_b32 s19, 0
	s_mov_b32 s1, 0
                                        ; implicit-def: $vgpr10
	s_branch .LBB118_4619
.LBB118_4603:
	s_mov_b32 s35, -1
	s_mov_b32 s19, 0
	s_mov_b32 s1, 0
                                        ; implicit-def: $vgpr10
	s_branch .LBB118_4614
.LBB118_4604:
	s_or_b32 s66, s66, exec_lo
	s_trap 2
	s_cbranch_execz .LBB118_4541
	s_branch .LBB118_4542
.LBB118_4605:
	s_mov_b32 s35, -1
	s_mov_b32 s19, 0
	s_mov_b32 s1, 0
	s_branch .LBB118_4608
.LBB118_4606:
	s_or_b32 s60, s17, exec_lo
	s_trap 2
                                        ; implicit-def: $vgpr0
                                        ; implicit-def: $vgpr2
                                        ; implicit-def: $vgpr4
                                        ; implicit-def: $vgpr10
                                        ; implicit-def: $vgpr6
                                        ; implicit-def: $vgpr12
                                        ; implicit-def: $vgpr8
                                        ; implicit-def: $vgpr16
                                        ; implicit-def: $vgpr23
                                        ; implicit-def: $vgpr22
	s_or_saveexec_b32 s61, s0
                                        ; implicit-def: $sgpr0
                                        ; implicit-def: $vgpr14_vgpr15
	s_delay_alu instid0(SALU_CYCLE_1)
	s_xor_b32 exec_lo, exec_lo, s61
	s_cbranch_execz .LBB118_4988
	s_branch .LBB118_4314
.LBB118_4607:
	s_mov_b32 s1, -1
	s_mov_b32 s19, 0
.LBB118_4608:
                                        ; implicit-def: $vgpr10
.LBB118_4609:
	s_and_b32 vcc_lo, exec_lo, s35
	s_cbranch_vccz .LBB118_4613
; %bb.4610:
	s_cmp_eq_u32 s0, 44
	s_cbranch_scc0 .LBB118_4612
; %bb.4611:
	global_load_u8 v5, v[12:13], off
	s_mov_b32 s1, 0
	s_mov_b32 s19, -1
	s_wait_loadcnt 0x0
	v_lshlrev_b32_e32 v7, 23, v5
	v_cmp_ne_u32_e32 vcc_lo, 0, v5
	s_delay_alu instid0(VALU_DEP_2) | instskip(SKIP_1) | instid1(VALU_DEP_1)
	v_cvt_i32_f32_e32 v7, v7
	s_wait_xcnt 0x1
	v_cndmask_b32_e32 v10, 0, v7, vcc_lo
	s_branch .LBB118_4613
.LBB118_4612:
	s_mov_b32 s1, -1
                                        ; implicit-def: $vgpr10
.LBB118_4613:
	s_mov_b32 s35, 0
.LBB118_4614:
	s_delay_alu instid0(SALU_CYCLE_1)
	s_and_b32 vcc_lo, exec_lo, s35
	s_cbranch_vccz .LBB118_4618
; %bb.4615:
	s_cmp_eq_u32 s0, 29
	s_cbranch_scc0 .LBB118_4617
; %bb.4616:
	global_load_b32 v10, v[12:13], off
	s_mov_b32 s1, 0
	s_mov_b32 s19, -1
	s_branch .LBB118_4618
.LBB118_4617:
	s_mov_b32 s1, -1
                                        ; implicit-def: $vgpr10
.LBB118_4618:
	s_mov_b32 s35, 0
.LBB118_4619:
	s_delay_alu instid0(SALU_CYCLE_1)
	s_and_b32 vcc_lo, exec_lo, s35
	s_cbranch_vccz .LBB118_4635
; %bb.4620:
	s_cmp_lt_i32 s0, 27
	s_cbranch_scc1 .LBB118_4623
; %bb.4621:
	s_cmp_gt_i32 s0, 27
	s_cbranch_scc0 .LBB118_4624
; %bb.4622:
	s_wait_loadcnt 0x0
	global_load_b32 v10, v[12:13], off
	s_mov_b32 s19, 0
	s_branch .LBB118_4625
.LBB118_4623:
	s_mov_b32 s19, -1
                                        ; implicit-def: $vgpr10
	s_branch .LBB118_4628
.LBB118_4624:
	s_mov_b32 s19, -1
                                        ; implicit-def: $vgpr10
.LBB118_4625:
	s_delay_alu instid0(SALU_CYCLE_1)
	s_and_not1_b32 vcc_lo, exec_lo, s19
	s_cbranch_vccnz .LBB118_4627
; %bb.4626:
	s_wait_loadcnt 0x0
	global_load_u16 v10, v[12:13], off
.LBB118_4627:
	s_mov_b32 s19, 0
.LBB118_4628:
	s_delay_alu instid0(SALU_CYCLE_1)
	s_and_not1_b32 vcc_lo, exec_lo, s19
	s_cbranch_vccnz .LBB118_4634
; %bb.4629:
	global_load_u8 v5, v[12:13], off
	s_mov_b32 s35, 0
	s_mov_b32 s19, exec_lo
	s_wait_loadcnt 0x0
	v_cmpx_lt_i16_e32 0x7f, v5
	s_xor_b32 s19, exec_lo, s19
	s_cbranch_execz .LBB118_4646
; %bb.4630:
	v_cmp_ne_u16_e32 vcc_lo, 0x80, v5
	s_and_b32 s35, vcc_lo, exec_lo
	s_and_not1_saveexec_b32 s19, s19
	s_cbranch_execnz .LBB118_4647
.LBB118_4631:
	s_or_b32 exec_lo, exec_lo, s19
	v_mov_b32_e32 v10, 0
	s_and_saveexec_b32 s19, s35
	s_cbranch_execz .LBB118_4633
.LBB118_4632:
	v_and_b32_e32 v7, 0xffff, v5
	s_delay_alu instid0(VALU_DEP_1) | instskip(SKIP_1) | instid1(VALU_DEP_2)
	v_and_b32_e32 v9, 7, v7
	v_bfe_u32 v14, v7, 3, 4
	v_clz_i32_u32_e32 v10, v9
	s_delay_alu instid0(VALU_DEP_2) | instskip(NEXT) | instid1(VALU_DEP_2)
	v_cmp_eq_u32_e32 vcc_lo, 0, v14
	v_min_u32_e32 v10, 32, v10
	s_delay_alu instid0(VALU_DEP_1) | instskip(NEXT) | instid1(VALU_DEP_1)
	v_subrev_nc_u32_e32 v11, 28, v10
	v_dual_lshlrev_b32 v7, v11, v7 :: v_dual_sub_nc_u32 v10, 29, v10
	s_delay_alu instid0(VALU_DEP_1) | instskip(NEXT) | instid1(VALU_DEP_1)
	v_dual_lshlrev_b32 v5, 24, v5 :: v_dual_bitop2_b32 v7, 7, v7 bitop3:0x40
	v_dual_cndmask_b32 v10, v14, v10 :: v_dual_cndmask_b32 v7, v9, v7
	s_delay_alu instid0(VALU_DEP_2) | instskip(NEXT) | instid1(VALU_DEP_2)
	v_and_b32_e32 v5, 0x80000000, v5
	v_lshl_add_u32 v9, v10, 23, 0x3b800000
	s_delay_alu instid0(VALU_DEP_3) | instskip(NEXT) | instid1(VALU_DEP_1)
	v_lshlrev_b32_e32 v7, 20, v7
	v_or3_b32 v5, v5, v9, v7
	s_delay_alu instid0(VALU_DEP_1)
	v_cvt_i32_f32_e32 v10, v5
.LBB118_4633:
	s_or_b32 exec_lo, exec_lo, s19
.LBB118_4634:
	s_mov_b32 s19, -1
.LBB118_4635:
	s_mov_b32 s35, 0
.LBB118_4636:
	s_delay_alu instid0(SALU_CYCLE_1)
	s_and_b32 vcc_lo, exec_lo, s35
	s_cbranch_vccz .LBB118_4667
; %bb.4637:
	s_cmp_gt_i32 s0, 22
	s_cbranch_scc0 .LBB118_4645
; %bb.4638:
	s_cmp_lt_i32 s0, 24
	s_cbranch_scc1 .LBB118_4648
; %bb.4639:
	s_cmp_gt_i32 s0, 24
	s_cbranch_scc0 .LBB118_4649
; %bb.4640:
	global_load_u8 v5, v[12:13], off
	s_mov_b32 s19, 0
	s_mov_b32 s18, exec_lo
	s_wait_loadcnt 0x0
	v_cmpx_lt_i16_e32 0x7f, v5
	s_xor_b32 s18, exec_lo, s18
	s_cbranch_execz .LBB118_4661
; %bb.4641:
	v_cmp_ne_u16_e32 vcc_lo, 0x80, v5
	s_and_b32 s19, vcc_lo, exec_lo
	s_and_not1_saveexec_b32 s18, s18
	s_cbranch_execnz .LBB118_4662
.LBB118_4642:
	s_or_b32 exec_lo, exec_lo, s18
	v_mov_b32_e32 v10, 0
	s_and_saveexec_b32 s18, s19
	s_cbranch_execz .LBB118_4644
.LBB118_4643:
	v_and_b32_e32 v7, 0xffff, v5
	s_delay_alu instid0(VALU_DEP_1) | instskip(SKIP_1) | instid1(VALU_DEP_2)
	v_and_b32_e32 v9, 3, v7
	v_bfe_u32 v14, v7, 2, 5
	v_clz_i32_u32_e32 v10, v9
	s_delay_alu instid0(VALU_DEP_2) | instskip(NEXT) | instid1(VALU_DEP_2)
	v_cmp_eq_u32_e32 vcc_lo, 0, v14
	v_min_u32_e32 v10, 32, v10
	s_delay_alu instid0(VALU_DEP_1) | instskip(NEXT) | instid1(VALU_DEP_1)
	v_subrev_nc_u32_e32 v11, 29, v10
	v_dual_lshlrev_b32 v7, v11, v7 :: v_dual_sub_nc_u32 v10, 30, v10
	s_delay_alu instid0(VALU_DEP_1) | instskip(NEXT) | instid1(VALU_DEP_1)
	v_dual_lshlrev_b32 v5, 24, v5 :: v_dual_bitop2_b32 v7, 3, v7 bitop3:0x40
	v_dual_cndmask_b32 v10, v14, v10 :: v_dual_cndmask_b32 v7, v9, v7
	s_delay_alu instid0(VALU_DEP_2) | instskip(NEXT) | instid1(VALU_DEP_2)
	v_and_b32_e32 v5, 0x80000000, v5
	v_lshl_add_u32 v9, v10, 23, 0x37800000
	s_delay_alu instid0(VALU_DEP_3) | instskip(NEXT) | instid1(VALU_DEP_1)
	v_lshlrev_b32_e32 v7, 21, v7
	v_or3_b32 v5, v5, v9, v7
	s_delay_alu instid0(VALU_DEP_1)
	v_cvt_i32_f32_e32 v10, v5
.LBB118_4644:
	s_or_b32 exec_lo, exec_lo, s18
	s_mov_b32 s18, 0
	s_branch .LBB118_4650
.LBB118_4645:
	s_mov_b32 s18, -1
                                        ; implicit-def: $vgpr10
	s_branch .LBB118_4656
.LBB118_4646:
	s_and_not1_saveexec_b32 s19, s19
	s_cbranch_execz .LBB118_4631
.LBB118_4647:
	v_cmp_ne_u16_e32 vcc_lo, 0, v5
	s_and_not1_b32 s35, s35, exec_lo
	s_and_b32 s36, vcc_lo, exec_lo
	s_delay_alu instid0(SALU_CYCLE_1)
	s_or_b32 s35, s35, s36
	s_or_b32 exec_lo, exec_lo, s19
	v_mov_b32_e32 v10, 0
	s_and_saveexec_b32 s19, s35
	s_cbranch_execnz .LBB118_4632
	s_branch .LBB118_4633
.LBB118_4648:
	s_mov_b32 s18, -1
                                        ; implicit-def: $vgpr10
	s_branch .LBB118_4653
.LBB118_4649:
	s_mov_b32 s18, -1
                                        ; implicit-def: $vgpr10
.LBB118_4650:
	s_delay_alu instid0(SALU_CYCLE_1)
	s_and_b32 vcc_lo, exec_lo, s18
	s_cbranch_vccz .LBB118_4652
; %bb.4651:
	global_load_u8 v5, v[12:13], off
	s_wait_loadcnt 0x0
	v_lshlrev_b32_e32 v5, 24, v5
	s_delay_alu instid0(VALU_DEP_1) | instskip(NEXT) | instid1(VALU_DEP_1)
	v_and_b32_e32 v7, 0x7f000000, v5
	v_clz_i32_u32_e32 v9, v7
	s_wait_xcnt 0x1
	v_add_nc_u32_e32 v11, 0x1000000, v7
	v_cmp_ne_u32_e32 vcc_lo, 0, v7
	s_delay_alu instid0(VALU_DEP_3) | instskip(NEXT) | instid1(VALU_DEP_1)
	v_min_u32_e32 v9, 32, v9
	v_sub_nc_u32_e64 v9, v9, 4 clamp
	s_delay_alu instid0(VALU_DEP_1) | instskip(NEXT) | instid1(VALU_DEP_1)
	v_dual_lshlrev_b32 v10, v9, v7 :: v_dual_lshlrev_b32 v9, 23, v9
	v_lshrrev_b32_e32 v10, 4, v10
	s_delay_alu instid0(VALU_DEP_1) | instskip(NEXT) | instid1(VALU_DEP_1)
	v_dual_sub_nc_u32 v9, v10, v9 :: v_dual_ashrrev_i32 v10, 8, v11
	v_add_nc_u32_e32 v9, 0x3c000000, v9
	s_delay_alu instid0(VALU_DEP_1) | instskip(NEXT) | instid1(VALU_DEP_1)
	v_and_or_b32 v9, 0x7f800000, v10, v9
	v_cndmask_b32_e32 v7, 0, v9, vcc_lo
	s_delay_alu instid0(VALU_DEP_1) | instskip(NEXT) | instid1(VALU_DEP_1)
	v_and_or_b32 v5, 0x80000000, v5, v7
	v_cvt_i32_f32_e32 v10, v5
.LBB118_4652:
	s_mov_b32 s18, 0
.LBB118_4653:
	s_delay_alu instid0(SALU_CYCLE_1)
	s_and_not1_b32 vcc_lo, exec_lo, s18
	s_cbranch_vccnz .LBB118_4655
; %bb.4654:
	global_load_u8 v5, v[12:13], off
	s_wait_loadcnt 0x0
	v_lshlrev_b32_e32 v7, 25, v5
	v_lshlrev_b16 v5, 8, v5
	s_wait_xcnt 0x1
	s_delay_alu instid0(VALU_DEP_1) | instskip(SKIP_1) | instid1(VALU_DEP_2)
	v_and_or_b32 v10, 0x7f00, v5, 0.5
	v_bfe_i32 v5, v5, 0, 16
	v_dual_add_f32 v10, -0.5, v10 :: v_dual_lshrrev_b32 v9, 4, v7
	v_cmp_gt_u32_e32 vcc_lo, 0x8000000, v7
	s_delay_alu instid0(VALU_DEP_2) | instskip(NEXT) | instid1(VALU_DEP_1)
	v_or_b32_e32 v9, 0x70000000, v9
	v_mul_f32_e32 v9, 0x7800000, v9
	s_delay_alu instid0(VALU_DEP_1) | instskip(NEXT) | instid1(VALU_DEP_1)
	v_cndmask_b32_e32 v7, v9, v10, vcc_lo
	v_and_or_b32 v5, 0x80000000, v5, v7
	s_delay_alu instid0(VALU_DEP_1)
	v_cvt_i32_f32_e32 v10, v5
.LBB118_4655:
	s_mov_b32 s18, 0
	s_mov_b32 s19, -1
.LBB118_4656:
	s_and_not1_b32 vcc_lo, exec_lo, s18
	s_mov_b32 s18, 0
	s_cbranch_vccnz .LBB118_4667
; %bb.4657:
	s_cmp_gt_i32 s0, 14
	s_cbranch_scc0 .LBB118_4660
; %bb.4658:
	s_cmp_eq_u32 s0, 15
	s_cbranch_scc0 .LBB118_4663
; %bb.4659:
	global_load_u16 v5, v[12:13], off
	s_mov_b32 s1, 0
	s_mov_b32 s19, -1
	s_wait_loadcnt 0x0
	v_lshlrev_b32_e32 v5, 16, v5
	s_wait_xcnt 0x1
	s_delay_alu instid0(VALU_DEP_1)
	v_cvt_i32_f32_e32 v10, v5
	s_branch .LBB118_4665
.LBB118_4660:
	s_mov_b32 s18, -1
	s_branch .LBB118_4664
.LBB118_4661:
	s_and_not1_saveexec_b32 s18, s18
	s_cbranch_execz .LBB118_4642
.LBB118_4662:
	v_cmp_ne_u16_e32 vcc_lo, 0, v5
	s_and_not1_b32 s19, s19, exec_lo
	s_and_b32 s35, vcc_lo, exec_lo
	s_delay_alu instid0(SALU_CYCLE_1)
	s_or_b32 s19, s19, s35
	s_or_b32 exec_lo, exec_lo, s18
	v_mov_b32_e32 v10, 0
	s_and_saveexec_b32 s18, s19
	s_cbranch_execnz .LBB118_4643
	s_branch .LBB118_4644
.LBB118_4663:
	s_mov_b32 s1, -1
.LBB118_4664:
                                        ; implicit-def: $vgpr10
.LBB118_4665:
	s_and_b32 vcc_lo, exec_lo, s18
	s_mov_b32 s18, 0
	s_cbranch_vccz .LBB118_4667
; %bb.4666:
	s_cmp_lg_u32 s0, 11
	s_mov_b32 s18, -1
	s_cselect_b32 s1, -1, 0
.LBB118_4667:
	s_delay_alu instid0(SALU_CYCLE_1)
	s_and_b32 vcc_lo, exec_lo, s1
	s_cbranch_vccnz .LBB118_4732
; %bb.4668:
	s_and_not1_b32 vcc_lo, exec_lo, s18
	s_cbranch_vccnz .LBB118_4670
.LBB118_4669:
	global_load_u8 v5, v[12:13], off
	s_mov_b32 s19, -1
	s_wait_loadcnt 0x0
	v_cmp_ne_u16_e32 vcc_lo, 0, v5
	s_wait_xcnt 0x1
	v_cndmask_b32_e64 v10, 0, 1, vcc_lo
.LBB118_4670:
	s_mov_b32 s0, 0
.LBB118_4671:
	s_delay_alu instid0(SALU_CYCLE_1)
	s_and_b32 vcc_lo, exec_lo, s0
	s_cbranch_vccz .LBB118_4720
; %bb.4672:
	s_and_b32 s0, 0xffff, s57
	s_delay_alu instid0(SALU_CYCLE_1)
	s_cmp_lt_i32 s0, 5
	s_cbranch_scc1 .LBB118_4677
; %bb.4673:
	s_cmp_lt_i32 s0, 8
	s_cbranch_scc1 .LBB118_4678
; %bb.4674:
	;; [unrolled: 3-line block ×3, first 2 shown]
	s_cmp_gt_i32 s0, 9
	s_cbranch_scc0 .LBB118_4680
; %bb.4676:
	s_wait_loadcnt 0x0
	global_load_b64 v[10:11], v[12:13], off
	s_mov_b32 s1, 0
	s_wait_loadcnt 0x0
	v_cvt_i32_f64_e32 v10, v[10:11]
	s_branch .LBB118_4681
.LBB118_4677:
	s_mov_b32 s1, -1
                                        ; implicit-def: $vgpr10
	s_branch .LBB118_4699
.LBB118_4678:
	s_mov_b32 s1, -1
                                        ; implicit-def: $vgpr10
	s_branch .LBB118_4687
.LBB118_4679:
	s_mov_b32 s1, -1
                                        ; implicit-def: $vgpr10
	s_branch .LBB118_4684
.LBB118_4680:
	s_mov_b32 s1, -1
                                        ; implicit-def: $vgpr10
.LBB118_4681:
	s_delay_alu instid0(SALU_CYCLE_1)
	s_and_not1_b32 vcc_lo, exec_lo, s1
	s_cbranch_vccnz .LBB118_4683
; %bb.4682:
	global_load_b32 v5, v[12:13], off
	s_wait_loadcnt 0x0
	s_wait_xcnt 0x1
	v_cvt_i32_f32_e32 v10, v5
.LBB118_4683:
	s_mov_b32 s1, 0
.LBB118_4684:
	s_delay_alu instid0(SALU_CYCLE_1)
	s_and_not1_b32 vcc_lo, exec_lo, s1
	s_cbranch_vccnz .LBB118_4686
; %bb.4685:
	global_load_b32 v5, v[12:13], off
	s_wait_loadcnt 0x0
	v_cvt_f32_f16_e32 v5, v5
	s_wait_xcnt 0x1
	s_delay_alu instid0(VALU_DEP_1)
	v_cvt_i32_f32_e32 v10, v5
.LBB118_4686:
	s_mov_b32 s1, 0
.LBB118_4687:
	s_delay_alu instid0(SALU_CYCLE_1)
	s_and_not1_b32 vcc_lo, exec_lo, s1
	s_cbranch_vccnz .LBB118_4698
; %bb.4688:
	s_cmp_lt_i32 s0, 6
	s_cbranch_scc1 .LBB118_4691
; %bb.4689:
	s_cmp_gt_i32 s0, 6
	s_cbranch_scc0 .LBB118_4692
; %bb.4690:
	s_wait_loadcnt 0x0
	global_load_b64 v[10:11], v[12:13], off
	s_mov_b32 s1, 0
	s_wait_loadcnt 0x0
	v_cvt_i32_f64_e32 v10, v[10:11]
	s_branch .LBB118_4693
.LBB118_4691:
	s_mov_b32 s1, -1
                                        ; implicit-def: $vgpr10
	s_branch .LBB118_4696
.LBB118_4692:
	s_mov_b32 s1, -1
                                        ; implicit-def: $vgpr10
.LBB118_4693:
	s_delay_alu instid0(SALU_CYCLE_1)
	s_and_not1_b32 vcc_lo, exec_lo, s1
	s_cbranch_vccnz .LBB118_4695
; %bb.4694:
	global_load_b32 v5, v[12:13], off
	s_wait_loadcnt 0x0
	s_wait_xcnt 0x1
	v_cvt_i32_f32_e32 v10, v5
.LBB118_4695:
	s_mov_b32 s1, 0
.LBB118_4696:
	s_delay_alu instid0(SALU_CYCLE_1)
	s_and_not1_b32 vcc_lo, exec_lo, s1
	s_cbranch_vccnz .LBB118_4698
; %bb.4697:
	global_load_u16 v5, v[12:13], off
	s_wait_loadcnt 0x0
	v_cvt_f32_f16_e32 v5, v5
	s_wait_xcnt 0x1
	s_delay_alu instid0(VALU_DEP_1)
	v_cvt_i32_f32_e32 v10, v5
.LBB118_4698:
	s_mov_b32 s1, 0
.LBB118_4699:
	s_delay_alu instid0(SALU_CYCLE_1)
	s_and_not1_b32 vcc_lo, exec_lo, s1
	s_cbranch_vccnz .LBB118_4719
; %bb.4700:
	s_cmp_lt_i32 s0, 2
	s_cbranch_scc1 .LBB118_4704
; %bb.4701:
	s_cmp_lt_i32 s0, 3
	s_cbranch_scc1 .LBB118_4705
; %bb.4702:
	s_cmp_gt_i32 s0, 3
	s_cbranch_scc0 .LBB118_4706
; %bb.4703:
	s_wait_loadcnt 0x0
	global_load_b32 v10, v[12:13], off
	s_mov_b32 s1, 0
	s_branch .LBB118_4707
.LBB118_4704:
	s_mov_b32 s1, -1
                                        ; implicit-def: $vgpr10
	s_branch .LBB118_4713
.LBB118_4705:
	s_mov_b32 s1, -1
                                        ; implicit-def: $vgpr10
	s_branch .LBB118_4710
.LBB118_4706:
	s_mov_b32 s1, -1
                                        ; implicit-def: $vgpr10
.LBB118_4707:
	s_delay_alu instid0(SALU_CYCLE_1)
	s_and_not1_b32 vcc_lo, exec_lo, s1
	s_cbranch_vccnz .LBB118_4709
; %bb.4708:
	s_wait_loadcnt 0x0
	global_load_b32 v10, v[12:13], off
.LBB118_4709:
	s_mov_b32 s1, 0
.LBB118_4710:
	s_delay_alu instid0(SALU_CYCLE_1)
	s_and_not1_b32 vcc_lo, exec_lo, s1
	s_cbranch_vccnz .LBB118_4712
; %bb.4711:
	s_wait_loadcnt 0x0
	global_load_i16 v10, v[12:13], off
.LBB118_4712:
	s_mov_b32 s1, 0
.LBB118_4713:
	s_delay_alu instid0(SALU_CYCLE_1)
	s_and_not1_b32 vcc_lo, exec_lo, s1
	s_cbranch_vccnz .LBB118_4719
; %bb.4714:
	s_cmp_gt_i32 s0, 0
	s_mov_b32 s0, 0
	s_cbranch_scc0 .LBB118_4716
; %bb.4715:
	s_wait_loadcnt 0x0
	global_load_i8 v10, v[12:13], off
	s_branch .LBB118_4717
.LBB118_4716:
	s_mov_b32 s0, -1
                                        ; implicit-def: $vgpr10
.LBB118_4717:
	s_delay_alu instid0(SALU_CYCLE_1)
	s_and_not1_b32 vcc_lo, exec_lo, s0
	s_cbranch_vccnz .LBB118_4719
; %bb.4718:
	s_wait_loadcnt 0x0
	global_load_u8 v10, v[12:13], off
.LBB118_4719:
	s_mov_b32 s19, -1
.LBB118_4720:
	s_delay_alu instid0(SALU_CYCLE_1)
	s_and_not1_b32 vcc_lo, exec_lo, s19
	s_cbranch_vccnz .LBB118_4984
; %bb.4721:
	v_add_nc_u32_e32 v6, s70, v6
	s_cmp_lt_i32 s58, 11
	s_delay_alu instid0(VALU_DEP_1) | instskip(NEXT) | instid1(VALU_DEP_1)
	v_ashrrev_i32_e32 v7, 31, v6
	v_add_nc_u64_e32 v[14:15], s[12:13], v[6:7]
	s_cbranch_scc1 .LBB118_4728
; %bb.4722:
	s_and_b32 s0, 0xffff, s58
	s_mov_b32 s18, 0
	s_cmp_gt_i32 s0, 25
	s_cbranch_scc0 .LBB118_4729
; %bb.4723:
	s_cmp_gt_i32 s0, 28
	s_cbranch_scc0 .LBB118_4730
; %bb.4724:
	;; [unrolled: 3-line block ×4, first 2 shown]
	s_cmp_eq_u32 s0, 46
	s_mov_b32 s35, 0
	s_cbranch_scc0 .LBB118_4735
; %bb.4727:
	global_load_b32 v5, v[14:15], off
	s_mov_b32 s1, 0
	s_mov_b32 s19, -1
	s_wait_loadcnt 0x0
	v_lshlrev_b32_e32 v5, 16, v5
	s_wait_xcnt 0x1
	s_delay_alu instid0(VALU_DEP_1)
	v_cvt_i32_f32_e32 v12, v5
	s_branch .LBB118_4737
.LBB118_4728:
	s_mov_b32 s0, -1
	s_mov_b32 s19, 0
                                        ; implicit-def: $vgpr12
	s_branch .LBB118_4799
.LBB118_4729:
	s_mov_b32 s35, -1
	s_mov_b32 s19, 0
	s_mov_b32 s1, 0
                                        ; implicit-def: $vgpr12
	s_branch .LBB118_4764
.LBB118_4730:
	s_mov_b32 s35, -1
	s_mov_b32 s19, 0
	s_mov_b32 s1, 0
                                        ; implicit-def: $vgpr12
	s_branch .LBB118_4747
.LBB118_4731:
	s_mov_b32 s35, -1
	s_mov_b32 s19, 0
	s_mov_b32 s1, 0
                                        ; implicit-def: $vgpr12
	s_branch .LBB118_4742
.LBB118_4732:
	s_or_b32 s66, s66, exec_lo
	s_trap 2
	s_cbranch_execz .LBB118_4669
	s_branch .LBB118_4670
.LBB118_4733:
	s_mov_b32 s35, -1
	s_mov_b32 s19, 0
	s_mov_b32 s1, 0
	s_branch .LBB118_4736
.LBB118_4734:
	s_or_b32 s62, s60, exec_lo
	s_trap 2
                                        ; implicit-def: $vgpr0
                                        ; implicit-def: $vgpr2
                                        ; implicit-def: $vgpr4
                                        ; implicit-def: $vgpr10
                                        ; implicit-def: $vgpr6
                                        ; implicit-def: $vgpr12
                                        ; implicit-def: $vgpr8
                                        ; implicit-def: $vgpr16
                                        ; implicit-def: $vgpr23
                                        ; implicit-def: $vgpr22
	s_or_saveexec_b32 s63, s0
	s_mov_b32 s1, 0
                                        ; implicit-def: $sgpr0
                                        ; implicit-def: $vgpr14_vgpr15
	s_xor_b32 exec_lo, exec_lo, s63
	s_cbranch_execz .LBB118_4987
	s_branch .LBB118_4316
.LBB118_4735:
	s_mov_b32 s1, -1
	s_mov_b32 s19, 0
.LBB118_4736:
                                        ; implicit-def: $vgpr12
.LBB118_4737:
	s_and_b32 vcc_lo, exec_lo, s35
	s_cbranch_vccz .LBB118_4741
; %bb.4738:
	s_cmp_eq_u32 s0, 44
	s_cbranch_scc0 .LBB118_4740
; %bb.4739:
	global_load_u8 v5, v[14:15], off
	s_mov_b32 s1, 0
	s_mov_b32 s19, -1
	s_wait_loadcnt 0x0
	v_lshlrev_b32_e32 v7, 23, v5
	v_cmp_ne_u32_e32 vcc_lo, 0, v5
	s_delay_alu instid0(VALU_DEP_2) | instskip(SKIP_1) | instid1(VALU_DEP_1)
	v_cvt_i32_f32_e32 v7, v7
	s_wait_xcnt 0x1
	v_cndmask_b32_e32 v12, 0, v7, vcc_lo
	s_branch .LBB118_4741
.LBB118_4740:
	s_mov_b32 s1, -1
                                        ; implicit-def: $vgpr12
.LBB118_4741:
	s_mov_b32 s35, 0
.LBB118_4742:
	s_delay_alu instid0(SALU_CYCLE_1)
	s_and_b32 vcc_lo, exec_lo, s35
	s_cbranch_vccz .LBB118_4746
; %bb.4743:
	s_cmp_eq_u32 s0, 29
	s_cbranch_scc0 .LBB118_4745
; %bb.4744:
	global_load_b32 v12, v[14:15], off
	s_mov_b32 s1, 0
	s_mov_b32 s19, -1
	s_branch .LBB118_4746
.LBB118_4745:
	s_mov_b32 s1, -1
                                        ; implicit-def: $vgpr12
.LBB118_4746:
	s_mov_b32 s35, 0
.LBB118_4747:
	s_delay_alu instid0(SALU_CYCLE_1)
	s_and_b32 vcc_lo, exec_lo, s35
	s_cbranch_vccz .LBB118_4763
; %bb.4748:
	s_cmp_lt_i32 s0, 27
	s_cbranch_scc1 .LBB118_4751
; %bb.4749:
	s_cmp_gt_i32 s0, 27
	s_cbranch_scc0 .LBB118_4752
; %bb.4750:
	s_wait_loadcnt 0x0
	global_load_b32 v12, v[14:15], off
	s_mov_b32 s19, 0
	s_branch .LBB118_4753
.LBB118_4751:
	s_mov_b32 s19, -1
                                        ; implicit-def: $vgpr12
	s_branch .LBB118_4756
.LBB118_4752:
	s_mov_b32 s19, -1
                                        ; implicit-def: $vgpr12
.LBB118_4753:
	s_delay_alu instid0(SALU_CYCLE_1)
	s_and_not1_b32 vcc_lo, exec_lo, s19
	s_cbranch_vccnz .LBB118_4755
; %bb.4754:
	s_wait_loadcnt 0x0
	global_load_u16 v12, v[14:15], off
.LBB118_4755:
	s_mov_b32 s19, 0
.LBB118_4756:
	s_delay_alu instid0(SALU_CYCLE_1)
	s_and_not1_b32 vcc_lo, exec_lo, s19
	s_cbranch_vccnz .LBB118_4762
; %bb.4757:
	global_load_u8 v5, v[14:15], off
	s_mov_b32 s35, 0
	s_mov_b32 s19, exec_lo
	s_wait_loadcnt 0x0
	v_cmpx_lt_i16_e32 0x7f, v5
	s_xor_b32 s19, exec_lo, s19
	s_cbranch_execz .LBB118_4774
; %bb.4758:
	v_cmp_ne_u16_e32 vcc_lo, 0x80, v5
	s_and_b32 s35, vcc_lo, exec_lo
	s_and_not1_saveexec_b32 s19, s19
	s_cbranch_execnz .LBB118_4775
.LBB118_4759:
	s_or_b32 exec_lo, exec_lo, s19
	v_mov_b32_e32 v12, 0
	s_and_saveexec_b32 s19, s35
	s_cbranch_execz .LBB118_4761
.LBB118_4760:
	v_and_b32_e32 v7, 0xffff, v5
	s_delay_alu instid0(VALU_DEP_1) | instskip(SKIP_1) | instid1(VALU_DEP_2)
	v_dual_lshlrev_b32 v5, 24, v5 :: v_dual_bitop2_b32 v9, 7, v7 bitop3:0x40
	v_bfe_u32 v13, v7, 3, 4
	v_and_b32_e32 v5, 0x80000000, v5
	s_delay_alu instid0(VALU_DEP_3) | instskip(NEXT) | instid1(VALU_DEP_3)
	v_clz_i32_u32_e32 v11, v9
	v_cmp_eq_u32_e32 vcc_lo, 0, v13
	s_delay_alu instid0(VALU_DEP_2) | instskip(NEXT) | instid1(VALU_DEP_1)
	v_min_u32_e32 v11, 32, v11
	v_subrev_nc_u32_e32 v12, 28, v11
	v_sub_nc_u32_e32 v11, 29, v11
	s_delay_alu instid0(VALU_DEP_2) | instskip(NEXT) | instid1(VALU_DEP_2)
	v_lshlrev_b32_e32 v7, v12, v7
	v_cndmask_b32_e32 v11, v13, v11, vcc_lo
	s_delay_alu instid0(VALU_DEP_2) | instskip(NEXT) | instid1(VALU_DEP_1)
	v_and_b32_e32 v7, 7, v7
	v_cndmask_b32_e32 v7, v9, v7, vcc_lo
	s_delay_alu instid0(VALU_DEP_3) | instskip(NEXT) | instid1(VALU_DEP_2)
	v_lshl_add_u32 v9, v11, 23, 0x3b800000
	v_lshlrev_b32_e32 v7, 20, v7
	s_delay_alu instid0(VALU_DEP_1) | instskip(NEXT) | instid1(VALU_DEP_1)
	v_or3_b32 v5, v5, v9, v7
	v_cvt_i32_f32_e32 v12, v5
.LBB118_4761:
	s_or_b32 exec_lo, exec_lo, s19
.LBB118_4762:
	s_mov_b32 s19, -1
.LBB118_4763:
	s_mov_b32 s35, 0
.LBB118_4764:
	s_delay_alu instid0(SALU_CYCLE_1)
	s_and_b32 vcc_lo, exec_lo, s35
	s_cbranch_vccz .LBB118_4795
; %bb.4765:
	s_cmp_gt_i32 s0, 22
	s_cbranch_scc0 .LBB118_4773
; %bb.4766:
	s_cmp_lt_i32 s0, 24
	s_cbranch_scc1 .LBB118_4776
; %bb.4767:
	s_cmp_gt_i32 s0, 24
	s_cbranch_scc0 .LBB118_4777
; %bb.4768:
	global_load_u8 v5, v[14:15], off
	s_mov_b32 s19, 0
	s_mov_b32 s18, exec_lo
	s_wait_loadcnt 0x0
	v_cmpx_lt_i16_e32 0x7f, v5
	s_xor_b32 s18, exec_lo, s18
	s_cbranch_execz .LBB118_4789
; %bb.4769:
	v_cmp_ne_u16_e32 vcc_lo, 0x80, v5
	s_and_b32 s19, vcc_lo, exec_lo
	s_and_not1_saveexec_b32 s18, s18
	s_cbranch_execnz .LBB118_4790
.LBB118_4770:
	s_or_b32 exec_lo, exec_lo, s18
	v_mov_b32_e32 v12, 0
	s_and_saveexec_b32 s18, s19
	s_cbranch_execz .LBB118_4772
.LBB118_4771:
	v_and_b32_e32 v7, 0xffff, v5
	s_delay_alu instid0(VALU_DEP_1) | instskip(SKIP_1) | instid1(VALU_DEP_2)
	v_dual_lshlrev_b32 v5, 24, v5 :: v_dual_bitop2_b32 v9, 3, v7 bitop3:0x40
	v_bfe_u32 v13, v7, 2, 5
	v_and_b32_e32 v5, 0x80000000, v5
	s_delay_alu instid0(VALU_DEP_3) | instskip(NEXT) | instid1(VALU_DEP_3)
	v_clz_i32_u32_e32 v11, v9
	v_cmp_eq_u32_e32 vcc_lo, 0, v13
	s_delay_alu instid0(VALU_DEP_2) | instskip(NEXT) | instid1(VALU_DEP_1)
	v_min_u32_e32 v11, 32, v11
	v_subrev_nc_u32_e32 v12, 29, v11
	v_sub_nc_u32_e32 v11, 30, v11
	s_delay_alu instid0(VALU_DEP_2) | instskip(NEXT) | instid1(VALU_DEP_2)
	v_lshlrev_b32_e32 v7, v12, v7
	v_cndmask_b32_e32 v11, v13, v11, vcc_lo
	s_delay_alu instid0(VALU_DEP_2) | instskip(NEXT) | instid1(VALU_DEP_1)
	v_and_b32_e32 v7, 3, v7
	v_cndmask_b32_e32 v7, v9, v7, vcc_lo
	s_delay_alu instid0(VALU_DEP_3) | instskip(NEXT) | instid1(VALU_DEP_2)
	v_lshl_add_u32 v9, v11, 23, 0x37800000
	v_lshlrev_b32_e32 v7, 21, v7
	s_delay_alu instid0(VALU_DEP_1) | instskip(NEXT) | instid1(VALU_DEP_1)
	v_or3_b32 v5, v5, v9, v7
	v_cvt_i32_f32_e32 v12, v5
.LBB118_4772:
	s_or_b32 exec_lo, exec_lo, s18
	s_mov_b32 s18, 0
	s_branch .LBB118_4778
.LBB118_4773:
	s_mov_b32 s18, -1
                                        ; implicit-def: $vgpr12
	s_branch .LBB118_4784
.LBB118_4774:
	s_and_not1_saveexec_b32 s19, s19
	s_cbranch_execz .LBB118_4759
.LBB118_4775:
	v_cmp_ne_u16_e32 vcc_lo, 0, v5
	s_and_not1_b32 s35, s35, exec_lo
	s_and_b32 s36, vcc_lo, exec_lo
	s_delay_alu instid0(SALU_CYCLE_1)
	s_or_b32 s35, s35, s36
	s_or_b32 exec_lo, exec_lo, s19
	v_mov_b32_e32 v12, 0
	s_and_saveexec_b32 s19, s35
	s_cbranch_execnz .LBB118_4760
	s_branch .LBB118_4761
.LBB118_4776:
	s_mov_b32 s18, -1
                                        ; implicit-def: $vgpr12
	s_branch .LBB118_4781
.LBB118_4777:
	s_mov_b32 s18, -1
                                        ; implicit-def: $vgpr12
.LBB118_4778:
	s_delay_alu instid0(SALU_CYCLE_1)
	s_and_b32 vcc_lo, exec_lo, s18
	s_cbranch_vccz .LBB118_4780
; %bb.4779:
	global_load_u8 v5, v[14:15], off
	s_wait_loadcnt 0x0
	v_lshlrev_b32_e32 v5, 24, v5
	s_delay_alu instid0(VALU_DEP_1) | instskip(NEXT) | instid1(VALU_DEP_1)
	v_and_b32_e32 v7, 0x7f000000, v5
	v_clz_i32_u32_e32 v9, v7
	v_cmp_ne_u32_e32 vcc_lo, 0, v7
	s_wait_xcnt 0x1
	v_add_nc_u32_e32 v12, 0x1000000, v7
	s_delay_alu instid0(VALU_DEP_3) | instskip(NEXT) | instid1(VALU_DEP_1)
	v_min_u32_e32 v9, 32, v9
	v_sub_nc_u32_e64 v9, v9, 4 clamp
	s_delay_alu instid0(VALU_DEP_1) | instskip(NEXT) | instid1(VALU_DEP_1)
	v_dual_lshlrev_b32 v11, v9, v7 :: v_dual_lshlrev_b32 v9, 23, v9
	v_lshrrev_b32_e32 v11, 4, v11
	s_delay_alu instid0(VALU_DEP_1) | instskip(NEXT) | instid1(VALU_DEP_1)
	v_dual_sub_nc_u32 v9, v11, v9 :: v_dual_ashrrev_i32 v11, 8, v12
	v_add_nc_u32_e32 v9, 0x3c000000, v9
	s_delay_alu instid0(VALU_DEP_1) | instskip(NEXT) | instid1(VALU_DEP_1)
	v_and_or_b32 v9, 0x7f800000, v11, v9
	v_cndmask_b32_e32 v7, 0, v9, vcc_lo
	s_delay_alu instid0(VALU_DEP_1) | instskip(NEXT) | instid1(VALU_DEP_1)
	v_and_or_b32 v5, 0x80000000, v5, v7
	v_cvt_i32_f32_e32 v12, v5
.LBB118_4780:
	s_mov_b32 s18, 0
.LBB118_4781:
	s_delay_alu instid0(SALU_CYCLE_1)
	s_and_not1_b32 vcc_lo, exec_lo, s18
	s_cbranch_vccnz .LBB118_4783
; %bb.4782:
	global_load_u8 v5, v[14:15], off
	s_wait_loadcnt 0x0
	v_lshlrev_b32_e32 v7, 25, v5
	v_lshlrev_b16 v5, 8, v5
	s_wait_xcnt 0x1
	s_delay_alu instid0(VALU_DEP_1) | instskip(SKIP_1) | instid1(VALU_DEP_2)
	v_and_or_b32 v11, 0x7f00, v5, 0.5
	v_bfe_i32 v5, v5, 0, 16
	v_add_f32_e32 v11, -0.5, v11
	v_lshrrev_b32_e32 v9, 4, v7
	v_cmp_gt_u32_e32 vcc_lo, 0x8000000, v7
	s_delay_alu instid0(VALU_DEP_2) | instskip(NEXT) | instid1(VALU_DEP_1)
	v_or_b32_e32 v9, 0x70000000, v9
	v_mul_f32_e32 v9, 0x7800000, v9
	s_delay_alu instid0(VALU_DEP_1) | instskip(NEXT) | instid1(VALU_DEP_1)
	v_cndmask_b32_e32 v7, v9, v11, vcc_lo
	v_and_or_b32 v5, 0x80000000, v5, v7
	s_delay_alu instid0(VALU_DEP_1)
	v_cvt_i32_f32_e32 v12, v5
.LBB118_4783:
	s_mov_b32 s18, 0
	s_mov_b32 s19, -1
.LBB118_4784:
	s_and_not1_b32 vcc_lo, exec_lo, s18
	s_mov_b32 s18, 0
	s_cbranch_vccnz .LBB118_4795
; %bb.4785:
	s_cmp_gt_i32 s0, 14
	s_cbranch_scc0 .LBB118_4788
; %bb.4786:
	s_cmp_eq_u32 s0, 15
	s_cbranch_scc0 .LBB118_4791
; %bb.4787:
	global_load_u16 v5, v[14:15], off
	s_mov_b32 s1, 0
	s_mov_b32 s19, -1
	s_wait_loadcnt 0x0
	v_lshlrev_b32_e32 v5, 16, v5
	s_wait_xcnt 0x1
	s_delay_alu instid0(VALU_DEP_1)
	v_cvt_i32_f32_e32 v12, v5
	s_branch .LBB118_4793
.LBB118_4788:
	s_mov_b32 s18, -1
	s_branch .LBB118_4792
.LBB118_4789:
	s_and_not1_saveexec_b32 s18, s18
	s_cbranch_execz .LBB118_4770
.LBB118_4790:
	v_cmp_ne_u16_e32 vcc_lo, 0, v5
	s_and_not1_b32 s19, s19, exec_lo
	s_and_b32 s35, vcc_lo, exec_lo
	s_delay_alu instid0(SALU_CYCLE_1)
	s_or_b32 s19, s19, s35
	s_or_b32 exec_lo, exec_lo, s18
	v_mov_b32_e32 v12, 0
	s_and_saveexec_b32 s18, s19
	s_cbranch_execnz .LBB118_4771
	s_branch .LBB118_4772
.LBB118_4791:
	s_mov_b32 s1, -1
.LBB118_4792:
                                        ; implicit-def: $vgpr12
.LBB118_4793:
	s_and_b32 vcc_lo, exec_lo, s18
	s_mov_b32 s18, 0
	s_cbranch_vccz .LBB118_4795
; %bb.4794:
	s_cmp_lg_u32 s0, 11
	s_mov_b32 s18, -1
	s_cselect_b32 s1, -1, 0
.LBB118_4795:
	s_delay_alu instid0(SALU_CYCLE_1)
	s_and_b32 vcc_lo, exec_lo, s1
	s_cbranch_vccnz .LBB118_4860
; %bb.4796:
	s_and_not1_b32 vcc_lo, exec_lo, s18
	s_cbranch_vccnz .LBB118_4798
.LBB118_4797:
	global_load_u8 v5, v[14:15], off
	s_mov_b32 s19, -1
	s_wait_loadcnt 0x0
	v_cmp_ne_u16_e32 vcc_lo, 0, v5
	s_wait_xcnt 0x1
	v_cndmask_b32_e64 v12, 0, 1, vcc_lo
.LBB118_4798:
	s_mov_b32 s0, 0
.LBB118_4799:
	s_delay_alu instid0(SALU_CYCLE_1)
	s_and_b32 vcc_lo, exec_lo, s0
	s_cbranch_vccz .LBB118_4848
; %bb.4800:
	s_and_b32 s0, 0xffff, s58
	s_delay_alu instid0(SALU_CYCLE_1)
	s_cmp_lt_i32 s0, 5
	s_cbranch_scc1 .LBB118_4805
; %bb.4801:
	s_cmp_lt_i32 s0, 8
	s_cbranch_scc1 .LBB118_4806
; %bb.4802:
	;; [unrolled: 3-line block ×3, first 2 shown]
	s_cmp_gt_i32 s0, 9
	s_cbranch_scc0 .LBB118_4808
; %bb.4804:
	s_wait_loadcnt 0x0
	global_load_b64 v[12:13], v[14:15], off
	s_mov_b32 s1, 0
	s_wait_loadcnt 0x0
	v_cvt_i32_f64_e32 v12, v[12:13]
	s_branch .LBB118_4809
.LBB118_4805:
	s_mov_b32 s1, -1
                                        ; implicit-def: $vgpr12
	s_branch .LBB118_4827
.LBB118_4806:
	s_mov_b32 s1, -1
                                        ; implicit-def: $vgpr12
	s_branch .LBB118_4815
.LBB118_4807:
	s_mov_b32 s1, -1
                                        ; implicit-def: $vgpr12
	s_branch .LBB118_4812
.LBB118_4808:
	s_mov_b32 s1, -1
                                        ; implicit-def: $vgpr12
.LBB118_4809:
	s_delay_alu instid0(SALU_CYCLE_1)
	s_and_not1_b32 vcc_lo, exec_lo, s1
	s_cbranch_vccnz .LBB118_4811
; %bb.4810:
	global_load_b32 v5, v[14:15], off
	s_wait_loadcnt 0x0
	s_wait_xcnt 0x1
	v_cvt_i32_f32_e32 v12, v5
.LBB118_4811:
	s_mov_b32 s1, 0
.LBB118_4812:
	s_delay_alu instid0(SALU_CYCLE_1)
	s_and_not1_b32 vcc_lo, exec_lo, s1
	s_cbranch_vccnz .LBB118_4814
; %bb.4813:
	global_load_b32 v5, v[14:15], off
	s_wait_loadcnt 0x0
	v_cvt_f32_f16_e32 v5, v5
	s_wait_xcnt 0x1
	s_delay_alu instid0(VALU_DEP_1)
	v_cvt_i32_f32_e32 v12, v5
.LBB118_4814:
	s_mov_b32 s1, 0
.LBB118_4815:
	s_delay_alu instid0(SALU_CYCLE_1)
	s_and_not1_b32 vcc_lo, exec_lo, s1
	s_cbranch_vccnz .LBB118_4826
; %bb.4816:
	s_cmp_lt_i32 s0, 6
	s_cbranch_scc1 .LBB118_4819
; %bb.4817:
	s_cmp_gt_i32 s0, 6
	s_cbranch_scc0 .LBB118_4820
; %bb.4818:
	s_wait_loadcnt 0x0
	global_load_b64 v[12:13], v[14:15], off
	s_mov_b32 s1, 0
	s_wait_loadcnt 0x0
	v_cvt_i32_f64_e32 v12, v[12:13]
	s_branch .LBB118_4821
.LBB118_4819:
	s_mov_b32 s1, -1
                                        ; implicit-def: $vgpr12
	s_branch .LBB118_4824
.LBB118_4820:
	s_mov_b32 s1, -1
                                        ; implicit-def: $vgpr12
.LBB118_4821:
	s_delay_alu instid0(SALU_CYCLE_1)
	s_and_not1_b32 vcc_lo, exec_lo, s1
	s_cbranch_vccnz .LBB118_4823
; %bb.4822:
	global_load_b32 v5, v[14:15], off
	s_wait_loadcnt 0x0
	s_wait_xcnt 0x1
	v_cvt_i32_f32_e32 v12, v5
.LBB118_4823:
	s_mov_b32 s1, 0
.LBB118_4824:
	s_delay_alu instid0(SALU_CYCLE_1)
	s_and_not1_b32 vcc_lo, exec_lo, s1
	s_cbranch_vccnz .LBB118_4826
; %bb.4825:
	global_load_u16 v5, v[14:15], off
	s_wait_loadcnt 0x0
	v_cvt_f32_f16_e32 v5, v5
	s_wait_xcnt 0x1
	s_delay_alu instid0(VALU_DEP_1)
	v_cvt_i32_f32_e32 v12, v5
.LBB118_4826:
	s_mov_b32 s1, 0
.LBB118_4827:
	s_delay_alu instid0(SALU_CYCLE_1)
	s_and_not1_b32 vcc_lo, exec_lo, s1
	s_cbranch_vccnz .LBB118_4847
; %bb.4828:
	s_cmp_lt_i32 s0, 2
	s_cbranch_scc1 .LBB118_4832
; %bb.4829:
	s_cmp_lt_i32 s0, 3
	s_cbranch_scc1 .LBB118_4833
; %bb.4830:
	s_cmp_gt_i32 s0, 3
	s_cbranch_scc0 .LBB118_4834
; %bb.4831:
	s_wait_loadcnt 0x0
	global_load_b32 v12, v[14:15], off
	s_mov_b32 s1, 0
	s_branch .LBB118_4835
.LBB118_4832:
	s_mov_b32 s1, -1
                                        ; implicit-def: $vgpr12
	s_branch .LBB118_4841
.LBB118_4833:
	s_mov_b32 s1, -1
                                        ; implicit-def: $vgpr12
	s_branch .LBB118_4838
.LBB118_4834:
	s_mov_b32 s1, -1
                                        ; implicit-def: $vgpr12
.LBB118_4835:
	s_delay_alu instid0(SALU_CYCLE_1)
	s_and_not1_b32 vcc_lo, exec_lo, s1
	s_cbranch_vccnz .LBB118_4837
; %bb.4836:
	s_wait_loadcnt 0x0
	global_load_b32 v12, v[14:15], off
.LBB118_4837:
	s_mov_b32 s1, 0
.LBB118_4838:
	s_delay_alu instid0(SALU_CYCLE_1)
	s_and_not1_b32 vcc_lo, exec_lo, s1
	s_cbranch_vccnz .LBB118_4840
; %bb.4839:
	s_wait_loadcnt 0x0
	global_load_i16 v12, v[14:15], off
.LBB118_4840:
	s_mov_b32 s1, 0
.LBB118_4841:
	s_delay_alu instid0(SALU_CYCLE_1)
	s_and_not1_b32 vcc_lo, exec_lo, s1
	s_cbranch_vccnz .LBB118_4847
; %bb.4842:
	s_cmp_gt_i32 s0, 0
	s_mov_b32 s0, 0
	s_cbranch_scc0 .LBB118_4844
; %bb.4843:
	s_wait_loadcnt 0x0
	global_load_i8 v12, v[14:15], off
	s_branch .LBB118_4845
.LBB118_4844:
	s_mov_b32 s0, -1
                                        ; implicit-def: $vgpr12
.LBB118_4845:
	s_delay_alu instid0(SALU_CYCLE_1)
	s_and_not1_b32 vcc_lo, exec_lo, s0
	s_cbranch_vccnz .LBB118_4847
; %bb.4846:
	s_wait_loadcnt 0x0
	global_load_u8 v12, v[14:15], off
.LBB118_4847:
	s_mov_b32 s19, -1
.LBB118_4848:
	s_delay_alu instid0(SALU_CYCLE_1)
	s_and_not1_b32 vcc_lo, exec_lo, s19
	s_cbranch_vccnz .LBB118_4984
; %bb.4849:
	v_add_nc_u32_e32 v8, s71, v8
	s_cmp_lt_i32 s59, 11
	s_delay_alu instid0(VALU_DEP_1) | instskip(SKIP_1) | instid1(VALU_DEP_1)
	v_ashrrev_i32_e32 v9, 31, v8
	s_wait_xcnt 0x0
	v_add_nc_u64_e32 v[14:15], s[14:15], v[8:9]
	s_cbranch_scc1 .LBB118_4856
; %bb.4850:
	s_and_b32 s0, 0xffff, s59
	s_mov_b32 s18, 0
	s_cmp_gt_i32 s0, 25
	s_cbranch_scc0 .LBB118_4857
; %bb.4851:
	s_cmp_gt_i32 s0, 28
	s_cbranch_scc0 .LBB118_4858
; %bb.4852:
	;; [unrolled: 3-line block ×4, first 2 shown]
	s_cmp_eq_u32 s0, 46
	s_mov_b32 s35, 0
	s_cbranch_scc0 .LBB118_4862
; %bb.4855:
	global_load_b32 v5, v[14:15], off
	s_mov_b32 s1, 0
	s_mov_b32 s19, -1
	s_wait_loadcnt 0x0
	v_lshlrev_b32_e32 v5, 16, v5
	s_delay_alu instid0(VALU_DEP_1)
	v_cvt_i32_f32_e32 v16, v5
	s_branch .LBB118_4864
.LBB118_4856:
	s_mov_b32 s0, -1
	s_mov_b32 s19, 0
                                        ; implicit-def: $vgpr16
	s_branch .LBB118_4926
.LBB118_4857:
	s_mov_b32 s35, -1
	s_mov_b32 s19, 0
	s_mov_b32 s1, 0
                                        ; implicit-def: $vgpr16
	s_branch .LBB118_4891
.LBB118_4858:
	s_mov_b32 s35, -1
	s_mov_b32 s19, 0
	s_mov_b32 s1, 0
                                        ; implicit-def: $vgpr16
	s_branch .LBB118_4874
.LBB118_4859:
	s_mov_b32 s35, -1
	s_mov_b32 s19, 0
	s_mov_b32 s1, 0
                                        ; implicit-def: $vgpr16
	s_branch .LBB118_4869
.LBB118_4860:
	s_or_b32 s66, s66, exec_lo
	s_trap 2
	s_cbranch_execz .LBB118_4797
	s_branch .LBB118_4798
.LBB118_4861:
	s_mov_b32 s35, -1
	s_mov_b32 s19, 0
	s_mov_b32 s1, 0
	s_branch .LBB118_4863
.LBB118_4862:
	s_mov_b32 s1, -1
	s_mov_b32 s19, 0
.LBB118_4863:
                                        ; implicit-def: $vgpr16
.LBB118_4864:
	s_and_b32 vcc_lo, exec_lo, s35
	s_cbranch_vccz .LBB118_4868
; %bb.4865:
	s_cmp_eq_u32 s0, 44
	s_cbranch_scc0 .LBB118_4867
; %bb.4866:
	global_load_u8 v5, v[14:15], off
	s_mov_b32 s1, 0
	s_mov_b32 s19, -1
	s_wait_loadcnt 0x0
	v_lshlrev_b32_e32 v7, 23, v5
	v_cmp_ne_u32_e32 vcc_lo, 0, v5
	s_delay_alu instid0(VALU_DEP_2) | instskip(NEXT) | instid1(VALU_DEP_1)
	v_cvt_i32_f32_e32 v7, v7
	v_cndmask_b32_e32 v16, 0, v7, vcc_lo
	s_branch .LBB118_4868
.LBB118_4867:
	s_mov_b32 s1, -1
                                        ; implicit-def: $vgpr16
.LBB118_4868:
	s_mov_b32 s35, 0
.LBB118_4869:
	s_delay_alu instid0(SALU_CYCLE_1)
	s_and_b32 vcc_lo, exec_lo, s35
	s_cbranch_vccz .LBB118_4873
; %bb.4870:
	s_cmp_eq_u32 s0, 29
	s_cbranch_scc0 .LBB118_4872
; %bb.4871:
	global_load_b32 v16, v[14:15], off
	s_mov_b32 s1, 0
	s_mov_b32 s19, -1
	s_branch .LBB118_4873
.LBB118_4872:
	s_mov_b32 s1, -1
                                        ; implicit-def: $vgpr16
.LBB118_4873:
	s_mov_b32 s35, 0
.LBB118_4874:
	s_delay_alu instid0(SALU_CYCLE_1)
	s_and_b32 vcc_lo, exec_lo, s35
	s_cbranch_vccz .LBB118_4890
; %bb.4875:
	s_cmp_lt_i32 s0, 27
	s_cbranch_scc1 .LBB118_4878
; %bb.4876:
	s_cmp_gt_i32 s0, 27
	s_cbranch_scc0 .LBB118_4879
; %bb.4877:
	s_wait_loadcnt 0x0
	global_load_b32 v16, v[14:15], off
	s_mov_b32 s19, 0
	s_branch .LBB118_4880
.LBB118_4878:
	s_mov_b32 s19, -1
                                        ; implicit-def: $vgpr16
	s_branch .LBB118_4883
.LBB118_4879:
	s_mov_b32 s19, -1
                                        ; implicit-def: $vgpr16
.LBB118_4880:
	s_delay_alu instid0(SALU_CYCLE_1)
	s_and_not1_b32 vcc_lo, exec_lo, s19
	s_cbranch_vccnz .LBB118_4882
; %bb.4881:
	s_wait_loadcnt 0x0
	global_load_u16 v16, v[14:15], off
.LBB118_4882:
	s_mov_b32 s19, 0
.LBB118_4883:
	s_delay_alu instid0(SALU_CYCLE_1)
	s_and_not1_b32 vcc_lo, exec_lo, s19
	s_cbranch_vccnz .LBB118_4889
; %bb.4884:
	global_load_u8 v5, v[14:15], off
	s_mov_b32 s35, 0
	s_mov_b32 s19, exec_lo
	s_wait_loadcnt 0x0
	v_cmpx_lt_i16_e32 0x7f, v5
	s_xor_b32 s19, exec_lo, s19
	s_cbranch_execz .LBB118_4901
; %bb.4885:
	v_cmp_ne_u16_e32 vcc_lo, 0x80, v5
	s_and_b32 s35, vcc_lo, exec_lo
	s_and_not1_saveexec_b32 s19, s19
	s_cbranch_execnz .LBB118_4902
.LBB118_4886:
	s_or_b32 exec_lo, exec_lo, s19
	v_mov_b32_e32 v16, 0
	s_and_saveexec_b32 s19, s35
	s_cbranch_execz .LBB118_4888
.LBB118_4887:
	v_and_b32_e32 v7, 0xffff, v5
	s_delay_alu instid0(VALU_DEP_1) | instskip(SKIP_1) | instid1(VALU_DEP_2)
	v_dual_lshlrev_b32 v5, 24, v5 :: v_dual_bitop2_b32 v9, 7, v7 bitop3:0x40
	v_bfe_u32 v16, v7, 3, 4
	v_and_b32_e32 v5, 0x80000000, v5
	s_delay_alu instid0(VALU_DEP_3) | instskip(NEXT) | instid1(VALU_DEP_3)
	v_clz_i32_u32_e32 v11, v9
	v_cmp_eq_u32_e32 vcc_lo, 0, v16
	s_delay_alu instid0(VALU_DEP_2) | instskip(NEXT) | instid1(VALU_DEP_1)
	v_min_u32_e32 v11, 32, v11
	v_subrev_nc_u32_e32 v13, 28, v11
	v_sub_nc_u32_e32 v11, 29, v11
	s_delay_alu instid0(VALU_DEP_2) | instskip(NEXT) | instid1(VALU_DEP_2)
	v_lshlrev_b32_e32 v7, v13, v7
	v_cndmask_b32_e32 v11, v16, v11, vcc_lo
	s_delay_alu instid0(VALU_DEP_2) | instskip(NEXT) | instid1(VALU_DEP_1)
	v_and_b32_e32 v7, 7, v7
	v_cndmask_b32_e32 v7, v9, v7, vcc_lo
	s_delay_alu instid0(VALU_DEP_3) | instskip(NEXT) | instid1(VALU_DEP_2)
	v_lshl_add_u32 v9, v11, 23, 0x3b800000
	v_lshlrev_b32_e32 v7, 20, v7
	s_delay_alu instid0(VALU_DEP_1) | instskip(NEXT) | instid1(VALU_DEP_1)
	v_or3_b32 v5, v5, v9, v7
	v_cvt_i32_f32_e32 v16, v5
.LBB118_4888:
	s_or_b32 exec_lo, exec_lo, s19
.LBB118_4889:
	s_mov_b32 s19, -1
.LBB118_4890:
	s_mov_b32 s35, 0
.LBB118_4891:
	s_delay_alu instid0(SALU_CYCLE_1)
	s_and_b32 vcc_lo, exec_lo, s35
	s_cbranch_vccz .LBB118_4922
; %bb.4892:
	s_cmp_gt_i32 s0, 22
	s_cbranch_scc0 .LBB118_4900
; %bb.4893:
	s_cmp_lt_i32 s0, 24
	s_cbranch_scc1 .LBB118_4903
; %bb.4894:
	s_cmp_gt_i32 s0, 24
	s_cbranch_scc0 .LBB118_4904
; %bb.4895:
	global_load_u8 v5, v[14:15], off
	s_mov_b32 s19, 0
	s_mov_b32 s18, exec_lo
	s_wait_loadcnt 0x0
	v_cmpx_lt_i16_e32 0x7f, v5
	s_xor_b32 s18, exec_lo, s18
	s_cbranch_execz .LBB118_4916
; %bb.4896:
	v_cmp_ne_u16_e32 vcc_lo, 0x80, v5
	s_and_b32 s19, vcc_lo, exec_lo
	s_and_not1_saveexec_b32 s18, s18
	s_cbranch_execnz .LBB118_4917
.LBB118_4897:
	s_or_b32 exec_lo, exec_lo, s18
	v_mov_b32_e32 v16, 0
	s_and_saveexec_b32 s18, s19
	s_cbranch_execz .LBB118_4899
.LBB118_4898:
	v_and_b32_e32 v7, 0xffff, v5
	s_delay_alu instid0(VALU_DEP_1) | instskip(SKIP_1) | instid1(VALU_DEP_2)
	v_dual_lshlrev_b32 v5, 24, v5 :: v_dual_bitop2_b32 v9, 3, v7 bitop3:0x40
	v_bfe_u32 v16, v7, 2, 5
	v_and_b32_e32 v5, 0x80000000, v5
	s_delay_alu instid0(VALU_DEP_3) | instskip(NEXT) | instid1(VALU_DEP_3)
	v_clz_i32_u32_e32 v11, v9
	v_cmp_eq_u32_e32 vcc_lo, 0, v16
	s_delay_alu instid0(VALU_DEP_2) | instskip(NEXT) | instid1(VALU_DEP_1)
	v_min_u32_e32 v11, 32, v11
	v_subrev_nc_u32_e32 v13, 29, v11
	v_sub_nc_u32_e32 v11, 30, v11
	s_delay_alu instid0(VALU_DEP_2) | instskip(NEXT) | instid1(VALU_DEP_2)
	v_lshlrev_b32_e32 v7, v13, v7
	v_cndmask_b32_e32 v11, v16, v11, vcc_lo
	s_delay_alu instid0(VALU_DEP_2) | instskip(NEXT) | instid1(VALU_DEP_1)
	v_and_b32_e32 v7, 3, v7
	v_cndmask_b32_e32 v7, v9, v7, vcc_lo
	s_delay_alu instid0(VALU_DEP_3) | instskip(NEXT) | instid1(VALU_DEP_2)
	v_lshl_add_u32 v9, v11, 23, 0x37800000
	v_lshlrev_b32_e32 v7, 21, v7
	s_delay_alu instid0(VALU_DEP_1) | instskip(NEXT) | instid1(VALU_DEP_1)
	v_or3_b32 v5, v5, v9, v7
	v_cvt_i32_f32_e32 v16, v5
.LBB118_4899:
	s_or_b32 exec_lo, exec_lo, s18
	s_mov_b32 s18, 0
	s_branch .LBB118_4905
.LBB118_4900:
	s_mov_b32 s18, -1
                                        ; implicit-def: $vgpr16
	s_branch .LBB118_4911
.LBB118_4901:
	s_and_not1_saveexec_b32 s19, s19
	s_cbranch_execz .LBB118_4886
.LBB118_4902:
	v_cmp_ne_u16_e32 vcc_lo, 0, v5
	s_and_not1_b32 s35, s35, exec_lo
	s_and_b32 s36, vcc_lo, exec_lo
	s_delay_alu instid0(SALU_CYCLE_1)
	s_or_b32 s35, s35, s36
	s_or_b32 exec_lo, exec_lo, s19
	v_mov_b32_e32 v16, 0
	s_and_saveexec_b32 s19, s35
	s_cbranch_execnz .LBB118_4887
	s_branch .LBB118_4888
.LBB118_4903:
	s_mov_b32 s18, -1
                                        ; implicit-def: $vgpr16
	s_branch .LBB118_4908
.LBB118_4904:
	s_mov_b32 s18, -1
                                        ; implicit-def: $vgpr16
.LBB118_4905:
	s_delay_alu instid0(SALU_CYCLE_1)
	s_and_b32 vcc_lo, exec_lo, s18
	s_cbranch_vccz .LBB118_4907
; %bb.4906:
	global_load_u8 v5, v[14:15], off
	s_wait_loadcnt 0x0
	v_lshlrev_b32_e32 v5, 24, v5
	s_delay_alu instid0(VALU_DEP_1) | instskip(NEXT) | instid1(VALU_DEP_1)
	v_and_b32_e32 v7, 0x7f000000, v5
	v_clz_i32_u32_e32 v9, v7
	v_add_nc_u32_e32 v13, 0x1000000, v7
	v_cmp_ne_u32_e32 vcc_lo, 0, v7
	s_delay_alu instid0(VALU_DEP_3) | instskip(NEXT) | instid1(VALU_DEP_1)
	v_min_u32_e32 v9, 32, v9
	v_sub_nc_u32_e64 v9, v9, 4 clamp
	s_delay_alu instid0(VALU_DEP_1) | instskip(NEXT) | instid1(VALU_DEP_1)
	v_dual_lshlrev_b32 v11, v9, v7 :: v_dual_lshlrev_b32 v9, 23, v9
	v_lshrrev_b32_e32 v11, 4, v11
	s_delay_alu instid0(VALU_DEP_1) | instskip(SKIP_1) | instid1(VALU_DEP_2)
	v_sub_nc_u32_e32 v9, v11, v9
	v_ashrrev_i32_e32 v11, 8, v13
	v_add_nc_u32_e32 v9, 0x3c000000, v9
	s_delay_alu instid0(VALU_DEP_1) | instskip(NEXT) | instid1(VALU_DEP_1)
	v_and_or_b32 v9, 0x7f800000, v11, v9
	v_cndmask_b32_e32 v7, 0, v9, vcc_lo
	s_delay_alu instid0(VALU_DEP_1) | instskip(NEXT) | instid1(VALU_DEP_1)
	v_and_or_b32 v5, 0x80000000, v5, v7
	v_cvt_i32_f32_e32 v16, v5
.LBB118_4907:
	s_mov_b32 s18, 0
.LBB118_4908:
	s_delay_alu instid0(SALU_CYCLE_1)
	s_and_not1_b32 vcc_lo, exec_lo, s18
	s_cbranch_vccnz .LBB118_4910
; %bb.4909:
	global_load_u8 v5, v[14:15], off
	s_wait_loadcnt 0x0
	v_lshlrev_b32_e32 v7, 25, v5
	v_lshlrev_b16 v5, 8, v5
	s_delay_alu instid0(VALU_DEP_1) | instskip(SKIP_1) | instid1(VALU_DEP_2)
	v_and_or_b32 v11, 0x7f00, v5, 0.5
	v_bfe_i32 v5, v5, 0, 16
	v_add_f32_e32 v11, -0.5, v11
	v_lshrrev_b32_e32 v9, 4, v7
	v_cmp_gt_u32_e32 vcc_lo, 0x8000000, v7
	s_delay_alu instid0(VALU_DEP_2) | instskip(NEXT) | instid1(VALU_DEP_1)
	v_or_b32_e32 v9, 0x70000000, v9
	v_mul_f32_e32 v9, 0x7800000, v9
	s_delay_alu instid0(VALU_DEP_1) | instskip(NEXT) | instid1(VALU_DEP_1)
	v_cndmask_b32_e32 v7, v9, v11, vcc_lo
	v_and_or_b32 v5, 0x80000000, v5, v7
	s_delay_alu instid0(VALU_DEP_1)
	v_cvt_i32_f32_e32 v16, v5
.LBB118_4910:
	s_mov_b32 s18, 0
	s_mov_b32 s19, -1
.LBB118_4911:
	s_and_not1_b32 vcc_lo, exec_lo, s18
	s_mov_b32 s18, 0
	s_cbranch_vccnz .LBB118_4922
; %bb.4912:
	s_cmp_gt_i32 s0, 14
	s_cbranch_scc0 .LBB118_4915
; %bb.4913:
	s_cmp_eq_u32 s0, 15
	s_cbranch_scc0 .LBB118_4918
; %bb.4914:
	global_load_u16 v5, v[14:15], off
	s_mov_b32 s1, 0
	s_mov_b32 s19, -1
	s_wait_loadcnt 0x0
	v_lshlrev_b32_e32 v5, 16, v5
	s_delay_alu instid0(VALU_DEP_1)
	v_cvt_i32_f32_e32 v16, v5
	s_branch .LBB118_4920
.LBB118_4915:
	s_mov_b32 s18, -1
	s_branch .LBB118_4919
.LBB118_4916:
	s_and_not1_saveexec_b32 s18, s18
	s_cbranch_execz .LBB118_4897
.LBB118_4917:
	v_cmp_ne_u16_e32 vcc_lo, 0, v5
	s_and_not1_b32 s19, s19, exec_lo
	s_and_b32 s35, vcc_lo, exec_lo
	s_delay_alu instid0(SALU_CYCLE_1)
	s_or_b32 s19, s19, s35
	s_or_b32 exec_lo, exec_lo, s18
	v_mov_b32_e32 v16, 0
	s_and_saveexec_b32 s18, s19
	s_cbranch_execnz .LBB118_4898
	s_branch .LBB118_4899
.LBB118_4918:
	s_mov_b32 s1, -1
.LBB118_4919:
                                        ; implicit-def: $vgpr16
.LBB118_4920:
	s_and_b32 vcc_lo, exec_lo, s18
	s_mov_b32 s18, 0
	s_cbranch_vccz .LBB118_4922
; %bb.4921:
	s_cmp_lg_u32 s0, 11
	s_mov_b32 s18, -1
	s_cselect_b32 s1, -1, 0
.LBB118_4922:
	s_delay_alu instid0(SALU_CYCLE_1)
	s_and_b32 vcc_lo, exec_lo, s1
	s_cbranch_vccnz .LBB118_5010
; %bb.4923:
	s_and_not1_b32 vcc_lo, exec_lo, s18
	s_cbranch_vccnz .LBB118_4925
.LBB118_4924:
	global_load_u8 v5, v[14:15], off
	s_mov_b32 s19, -1
	s_wait_loadcnt 0x0
	v_cmp_ne_u16_e32 vcc_lo, 0, v5
	v_cndmask_b32_e64 v16, 0, 1, vcc_lo
.LBB118_4925:
	s_mov_b32 s0, 0
.LBB118_4926:
	s_delay_alu instid0(SALU_CYCLE_1)
	s_and_b32 vcc_lo, exec_lo, s0
	s_cbranch_vccz .LBB118_4975
; %bb.4927:
	s_and_b32 s0, 0xffff, s59
	s_delay_alu instid0(SALU_CYCLE_1)
	s_cmp_lt_i32 s0, 5
	s_cbranch_scc1 .LBB118_4932
; %bb.4928:
	s_cmp_lt_i32 s0, 8
	s_cbranch_scc1 .LBB118_4933
; %bb.4929:
	;; [unrolled: 3-line block ×3, first 2 shown]
	s_cmp_gt_i32 s0, 9
	s_cbranch_scc0 .LBB118_4935
; %bb.4931:
	s_wait_loadcnt 0x0
	global_load_b64 v[16:17], v[14:15], off
	s_mov_b32 s1, 0
	s_wait_loadcnt 0x0
	v_cvt_i32_f64_e32 v16, v[16:17]
	s_branch .LBB118_4936
.LBB118_4932:
	s_mov_b32 s1, -1
                                        ; implicit-def: $vgpr16
	s_branch .LBB118_4954
.LBB118_4933:
	s_mov_b32 s1, -1
                                        ; implicit-def: $vgpr16
	s_branch .LBB118_4942
.LBB118_4934:
	s_mov_b32 s1, -1
                                        ; implicit-def: $vgpr16
	s_branch .LBB118_4939
.LBB118_4935:
	s_mov_b32 s1, -1
                                        ; implicit-def: $vgpr16
.LBB118_4936:
	s_delay_alu instid0(SALU_CYCLE_1)
	s_and_not1_b32 vcc_lo, exec_lo, s1
	s_cbranch_vccnz .LBB118_4938
; %bb.4937:
	global_load_b32 v5, v[14:15], off
	s_wait_loadcnt 0x0
	v_cvt_i32_f32_e32 v16, v5
.LBB118_4938:
	s_mov_b32 s1, 0
.LBB118_4939:
	s_delay_alu instid0(SALU_CYCLE_1)
	s_and_not1_b32 vcc_lo, exec_lo, s1
	s_cbranch_vccnz .LBB118_4941
; %bb.4940:
	global_load_b32 v5, v[14:15], off
	s_wait_loadcnt 0x0
	v_cvt_f32_f16_e32 v5, v5
	s_delay_alu instid0(VALU_DEP_1)
	v_cvt_i32_f32_e32 v16, v5
.LBB118_4941:
	s_mov_b32 s1, 0
.LBB118_4942:
	s_delay_alu instid0(SALU_CYCLE_1)
	s_and_not1_b32 vcc_lo, exec_lo, s1
	s_cbranch_vccnz .LBB118_4953
; %bb.4943:
	s_cmp_lt_i32 s0, 6
	s_cbranch_scc1 .LBB118_4946
; %bb.4944:
	s_cmp_gt_i32 s0, 6
	s_cbranch_scc0 .LBB118_4947
; %bb.4945:
	s_wait_loadcnt 0x0
	global_load_b64 v[16:17], v[14:15], off
	s_mov_b32 s1, 0
	s_wait_loadcnt 0x0
	v_cvt_i32_f64_e32 v16, v[16:17]
	s_branch .LBB118_4948
.LBB118_4946:
	s_mov_b32 s1, -1
                                        ; implicit-def: $vgpr16
	s_branch .LBB118_4951
.LBB118_4947:
	s_mov_b32 s1, -1
                                        ; implicit-def: $vgpr16
.LBB118_4948:
	s_delay_alu instid0(SALU_CYCLE_1)
	s_and_not1_b32 vcc_lo, exec_lo, s1
	s_cbranch_vccnz .LBB118_4950
; %bb.4949:
	global_load_b32 v5, v[14:15], off
	s_wait_loadcnt 0x0
	v_cvt_i32_f32_e32 v16, v5
.LBB118_4950:
	s_mov_b32 s1, 0
.LBB118_4951:
	s_delay_alu instid0(SALU_CYCLE_1)
	s_and_not1_b32 vcc_lo, exec_lo, s1
	s_cbranch_vccnz .LBB118_4953
; %bb.4952:
	global_load_u16 v5, v[14:15], off
	s_wait_loadcnt 0x0
	v_cvt_f32_f16_e32 v5, v5
	s_delay_alu instid0(VALU_DEP_1)
	v_cvt_i32_f32_e32 v16, v5
.LBB118_4953:
	s_mov_b32 s1, 0
.LBB118_4954:
	s_delay_alu instid0(SALU_CYCLE_1)
	s_and_not1_b32 vcc_lo, exec_lo, s1
	s_cbranch_vccnz .LBB118_4974
; %bb.4955:
	s_cmp_lt_i32 s0, 2
	s_cbranch_scc1 .LBB118_4959
; %bb.4956:
	s_cmp_lt_i32 s0, 3
	s_cbranch_scc1 .LBB118_4960
; %bb.4957:
	s_cmp_gt_i32 s0, 3
	s_cbranch_scc0 .LBB118_4961
; %bb.4958:
	s_wait_loadcnt 0x0
	global_load_b32 v16, v[14:15], off
	s_mov_b32 s1, 0
	s_branch .LBB118_4962
.LBB118_4959:
	s_mov_b32 s1, -1
                                        ; implicit-def: $vgpr16
	s_branch .LBB118_4968
.LBB118_4960:
	s_mov_b32 s1, -1
                                        ; implicit-def: $vgpr16
	s_branch .LBB118_4965
.LBB118_4961:
	s_mov_b32 s1, -1
                                        ; implicit-def: $vgpr16
.LBB118_4962:
	s_delay_alu instid0(SALU_CYCLE_1)
	s_and_not1_b32 vcc_lo, exec_lo, s1
	s_cbranch_vccnz .LBB118_4964
; %bb.4963:
	s_wait_loadcnt 0x0
	global_load_b32 v16, v[14:15], off
.LBB118_4964:
	s_mov_b32 s1, 0
.LBB118_4965:
	s_delay_alu instid0(SALU_CYCLE_1)
	s_and_not1_b32 vcc_lo, exec_lo, s1
	s_cbranch_vccnz .LBB118_4967
; %bb.4966:
	s_wait_loadcnt 0x0
	global_load_i16 v16, v[14:15], off
.LBB118_4967:
	s_mov_b32 s1, 0
.LBB118_4968:
	s_delay_alu instid0(SALU_CYCLE_1)
	s_and_not1_b32 vcc_lo, exec_lo, s1
	s_cbranch_vccnz .LBB118_4974
; %bb.4969:
	s_cmp_gt_i32 s0, 0
	s_mov_b32 s0, 0
	s_cbranch_scc0 .LBB118_4971
; %bb.4970:
	s_wait_loadcnt 0x0
	global_load_i8 v16, v[14:15], off
	s_branch .LBB118_4972
.LBB118_4971:
	s_mov_b32 s0, -1
                                        ; implicit-def: $vgpr16
.LBB118_4972:
	s_delay_alu instid0(SALU_CYCLE_1)
	s_and_not1_b32 vcc_lo, exec_lo, s0
	s_cbranch_vccnz .LBB118_4974
; %bb.4973:
	s_wait_loadcnt 0x0
	global_load_u8 v16, v[14:15], off
.LBB118_4974:
	s_mov_b32 s19, -1
.LBB118_4975:
	s_delay_alu instid0(SALU_CYCLE_1)
	s_and_not1_b32 vcc_lo, exec_lo, s19
	s_cbranch_vccnz .LBB118_4984
; %bb.4976:
	s_mov_b32 s0, exec_lo
	s_wait_loadcnt 0x0
	v_cmpx_ne_u32_e64 s38, v1
	s_xor_b32 s0, exec_lo, s0
	s_cbranch_execnz .LBB118_5144
.LBB118_4977:
	s_or_saveexec_b32 s72, s0
	s_mov_b32 s1, 0
	s_mov_b32 s18, 0
                                        ; implicit-def: $sgpr0
                                        ; implicit-def: $vgpr14_vgpr15
	s_xor_b32 exec_lo, exec_lo, s72
	s_cbranch_execz .LBB118_5655
; %bb.4978:
	s_mov_b32 s73, s66
	s_mov_b32 s0, exec_lo
	v_cmpx_ne_u32_e64 s22, v3
	s_xor_b32 s0, exec_lo, s0
	s_cbranch_execnz .LBB118_5272
; %bb.4979:
	s_or_saveexec_b32 s74, s0
                                        ; implicit-def: $sgpr0
                                        ; implicit-def: $vgpr14_vgpr15
	s_delay_alu instid0(SALU_CYCLE_1)
	s_xor_b32 exec_lo, exec_lo, s74
	s_cbranch_execz .LBB118_5654
.LBB118_4980:
	v_sub_nc_u32_e32 v1, v12, v10
	s_mov_b32 s75, s73
	s_delay_alu instid0(VALU_DEP_1) | instskip(SKIP_2) | instid1(SALU_CYCLE_1)
	v_cmp_gt_i32_e32 vcc_lo, s38, v1
	v_cmp_lt_i32_e64 s0, s20, v1
	s_or_b32 s0, vcc_lo, s0
	s_and_saveexec_b32 s1, s0
	s_delay_alu instid0(SALU_CYCLE_1)
	s_xor_b32 s0, exec_lo, s1
	s_cbranch_execnz .LBB118_5400
.LBB118_4981:
	s_or_saveexec_b32 s76, s0
	s_mov_b32 s1, 0
	s_mov_b32 s19, 0
                                        ; implicit-def: $sgpr0
                                        ; implicit-def: $vgpr14_vgpr15
	s_xor_b32 exec_lo, exec_lo, s76
	s_cbranch_execz .LBB118_5653
; %bb.4982:
	v_cmp_ne_u32_e32 vcc_lo, 1, v23
	v_mov_b64_e32 v[14:15], 0
	s_cbranch_vccnz .LBB118_4995
; %bb.4983:
	v_ashrrev_i32_e32 v17, 31, v16
	v_mov_b64_e32 v[14:15], 0
	s_mov_b32 s35, s1
	s_mov_b64 s[18:19], 0xffffffff
	s_lshl_b64 s[40:41], s[34:35], 3
	v_mul_u64_e32 v[18:19], s[22:23], v[16:17]
	v_mov_b32_e32 v16, 0
	s_add_nc_u64 s[36:37], s[26:27], s[40:41]
	s_add_nc_u64 s[40:41], s[28:29], s[40:41]
	s_mov_b32 s35, s24
	s_branch .LBB118_4991
.LBB118_4984:
	s_mov_b32 s1, 0
	s_mov_b32 s18, 0
                                        ; implicit-def: $sgpr0
                                        ; implicit-def: $vgpr14_vgpr15
.LBB118_4985:
	s_and_not1_b32 s2, s64, exec_lo
	s_and_b32 s4, s66, exec_lo
	s_and_b32 s18, s18, exec_lo
	;; [unrolled: 1-line block ×3, first 2 shown]
	s_or_b32 s64, s2, s4
.LBB118_4986:
	s_wait_xcnt 0x0
	s_or_b32 exec_lo, exec_lo, s65
	s_delay_alu instid0(SALU_CYCLE_1)
	s_and_not1_b32 s2, s62, exec_lo
	s_and_b32 s4, s64, exec_lo
	s_and_b32 s18, s18, exec_lo
	;; [unrolled: 1-line block ×3, first 2 shown]
	s_or_b32 s62, s2, s4
.LBB118_4987:
	s_or_b32 exec_lo, exec_lo, s63
	s_delay_alu instid0(SALU_CYCLE_1)
	s_and_not1_b32 s2, s60, exec_lo
	s_and_b32 s4, s62, exec_lo
	s_and_b32 s18, s18, exec_lo
	;; [unrolled: 1-line block ×3, first 2 shown]
	s_or_b32 s60, s2, s4
.LBB118_4988:
	s_or_b32 exec_lo, exec_lo, s61
	s_delay_alu instid0(SALU_CYCLE_1)
	s_and_not1_b32 s2, s17, exec_lo
	s_and_b32 s4, s60, exec_lo
	s_and_b32 s18, s18, exec_lo
	;; [unrolled: 1-line block ×3, first 2 shown]
	s_or_b32 s17, s2, s4
.LBB118_4989:
	s_or_b32 exec_lo, exec_lo, s51
	s_branch .LBB118_4319
.LBB118_4990:                           ;   in Loop: Header=BB118_4991 Depth=1
	s_or_b32 exec_lo, exec_lo, s0
	global_load_b64 v[24:25], v16, s[40:41]
	v_mul_u64_e32 v[26:27], s[42:43], v[20:21]
	s_add_co_i32 s35, s35, -1
	s_add_nc_u64 s[36:37], s[36:37], -8
	s_cmp_eq_u32 s35, 0
	s_wait_xcnt 0x0
	s_add_nc_u64 s[40:41], s[40:41], -8
	s_delay_alu instid0(VALU_DEP_1) | instskip(SKIP_1) | instid1(VALU_DEP_1)
	v_sub_nc_u64_e32 v[18:19], v[18:19], v[26:27]
	s_wait_loadcnt 0x0
	v_mad_nc_u64_u32 v[14:15], v18, v24, v[14:15]
	s_delay_alu instid0(VALU_DEP_1) | instskip(NEXT) | instid1(VALU_DEP_1)
	v_mad_u32 v1, v19, v24, v15
	v_mad_u32 v15, v18, v25, v1
	v_mov_b64_e32 v[18:19], v[20:21]
	s_cbranch_scc1 .LBB118_4995
.LBB118_4991:                           ; =>This Inner Loop Header: Depth=1
	global_load_b64 v[20:21], v16, s[36:37]
	s_mov_b32 s0, exec_lo
	s_wait_loadcnt 0x0
	v_or_b32_e32 v17, v19, v21
	v_readfirstlane_b32 s42, v20
	v_readfirstlane_b32 s43, v21
                                        ; implicit-def: $vgpr20_vgpr21
	s_wait_xcnt 0x0
	s_delay_alu instid0(VALU_DEP_3)
	v_cmpx_ne_u64_e32 0, v[16:17]
	s_xor_b32 s77, exec_lo, s0
	s_cbranch_execz .LBB118_4993
; %bb.4992:                             ;   in Loop: Header=BB118_4991 Depth=1
	s_ashr_i32 s44, s43, 31
	v_dual_mov_b32 v27, v16 :: v_dual_ashrrev_i32 v20, 31, v19
	s_mov_b32 s45, s44
	v_mov_b32_e32 v31, v16
	s_add_nc_u64 s[46:47], s[42:43], s[44:45]
	s_delay_alu instid0(VALU_DEP_2)
	v_mov_b32_e32 v21, v20
	s_xor_b64 s[46:47], s[46:47], s[44:45]
	v_mov_b32_e32 v35, v16
	s_cvt_f32_u32 s0, s46
	s_cvt_f32_u32 s45, s47
	s_sub_nc_u64 s[80:81], 0, s[46:47]
	v_add_nc_u64_e32 v[24:25], v[18:19], v[20:21]
	s_delay_alu instid0(SALU_CYCLE_1) | instskip(NEXT) | instid1(SALU_CYCLE_3)
	s_fmamk_f32 s0, s45, 0x4f800000, s0
	v_s_rcp_f32 s0, s0
	s_delay_alu instid0(VALU_DEP_1) | instskip(NEXT) | instid1(VALU_DEP_2)
	v_xor_b32_e32 v30, v25, v20
	v_xor_b32_e32 v26, v24, v20
	s_delay_alu instid0(TRANS32_DEP_1) | instskip(NEXT) | instid1(SALU_CYCLE_3)
	s_mul_f32 s0, s0, 0x5f7ffffc
	s_mul_f32 s45, s0, 0x2f800000
	s_delay_alu instid0(SALU_CYCLE_3) | instskip(NEXT) | instid1(SALU_CYCLE_3)
	s_trunc_f32 s45, s45
	s_fmamk_f32 s0, s45, 0xcf800000, s0
	s_cvt_u32_f32 s79, s45
	s_delay_alu instid0(SALU_CYCLE_2) | instskip(NEXT) | instid1(SALU_CYCLE_3)
	s_cvt_u32_f32 s78, s0
	s_mul_u64 s[82:83], s[80:81], s[78:79]
	s_delay_alu instid0(SALU_CYCLE_1)
	s_mul_hi_u32 s85, s78, s83
	s_mul_i32 s84, s78, s83
	s_mul_hi_u32 s0, s78, s82
	s_mul_i32 s86, s79, s82
	s_add_nc_u64 s[84:85], s[0:1], s[84:85]
	s_mul_hi_u32 s45, s79, s82
	s_mul_hi_u32 s87, s79, s83
	s_add_co_u32 s0, s84, s86
	s_add_co_ci_u32 s0, s85, s45
	s_mul_i32 s82, s79, s83
	s_add_co_ci_u32 s83, s87, 0
	s_delay_alu instid0(SALU_CYCLE_1) | instskip(NEXT) | instid1(SALU_CYCLE_1)
	s_add_nc_u64 s[82:83], s[0:1], s[82:83]
	s_add_co_u32 s78, s78, s82
	s_cselect_b32 s0, -1, 0
	s_delay_alu instid0(SALU_CYCLE_1) | instskip(SKIP_1) | instid1(SALU_CYCLE_1)
	s_cmp_lg_u32 s0, 0
	s_add_co_ci_u32 s79, s79, s83
	s_mul_u64 s[80:81], s[80:81], s[78:79]
	s_delay_alu instid0(SALU_CYCLE_1)
	s_mul_hi_u32 s83, s78, s81
	s_mul_i32 s82, s78, s81
	s_mul_hi_u32 s0, s78, s80
	s_mul_i32 s84, s79, s80
	s_add_nc_u64 s[82:83], s[0:1], s[82:83]
	s_mul_hi_u32 s45, s79, s80
	s_mul_hi_u32 s85, s79, s81
	s_add_co_u32 s0, s82, s84
	s_add_co_ci_u32 s0, s83, s45
	s_mul_i32 s80, s79, s81
	s_add_co_ci_u32 s81, s85, 0
	s_delay_alu instid0(SALU_CYCLE_1) | instskip(NEXT) | instid1(SALU_CYCLE_1)
	s_add_nc_u64 s[80:81], s[0:1], s[80:81]
	s_add_co_u32 s78, s78, s80
	s_cselect_b32 s0, -1, 0
	v_mul_hi_u32 v34, v26, s78
	s_cmp_lg_u32 s0, 0
	s_add_co_ci_u32 s0, s79, s81
	s_and_b64 s[80:81], s[78:79], s[18:19]
	v_mul_u64_e32 v[28:29], s[0:1], v[26:27]
	v_mul_u64_e32 v[24:25], s[80:81], v[30:31]
	;; [unrolled: 1-line block ×3, first 2 shown]
	s_delay_alu instid0(VALU_DEP_3) | instskip(NEXT) | instid1(VALU_DEP_1)
	v_add_nc_u64_e32 v[28:29], v[34:35], v[28:29]
	v_add_co_u32 v1, vcc_lo, v28, v24
	s_delay_alu instid0(VALU_DEP_2) | instskip(NEXT) | instid1(VALU_DEP_4)
	v_add_co_ci_u32_e32 v34, vcc_lo, v29, v25, vcc_lo
	v_add_co_ci_u32_e32 v33, vcc_lo, 0, v33, vcc_lo
	s_delay_alu instid0(VALU_DEP_1) | instskip(NEXT) | instid1(VALU_DEP_1)
	v_add_nc_u64_e32 v[24:25], v[34:35], v[32:33]
	v_mul_u64_e32 v[28:29], s[46:47], v[24:25]
	s_delay_alu instid0(VALU_DEP_1) | instskip(NEXT) | instid1(VALU_DEP_2)
	v_sub_nc_u32_e32 v1, v30, v29
	v_sub_co_u32 v3, vcc_lo, v26, v28
	s_delay_alu instid0(VALU_DEP_1) | instskip(NEXT) | instid1(VALU_DEP_3)
	v_sub_co_ci_u32_e64 v7, null, v30, v29, vcc_lo
	v_subrev_co_ci_u32_e64 v1, null, s47, v1, vcc_lo
	s_delay_alu instid0(VALU_DEP_3) | instskip(SKIP_1) | instid1(VALU_DEP_3)
	v_sub_co_u32 v5, s0, v3, s46
	v_add_nc_u64_e32 v[26:27], 2, v[24:25]
	v_subrev_co_ci_u32_e64 v1, null, 0, v1, s0
	s_delay_alu instid0(VALU_DEP_3) | instskip(SKIP_2) | instid1(VALU_DEP_4)
	v_cmp_le_u32_e32 vcc_lo, s46, v5
	v_add_nc_u64_e32 v[28:29], 1, v[24:25]
	v_cndmask_b32_e64 v5, 0, -1, vcc_lo
	v_cmp_le_u32_e32 vcc_lo, s47, v1
	v_cndmask_b32_e64 v9, 0, -1, vcc_lo
	v_cmp_le_u32_e32 vcc_lo, s46, v3
	;; [unrolled: 2-line block ×3, first 2 shown]
	v_cndmask_b32_e64 v11, 0, -1, vcc_lo
	v_cmp_eq_u32_e32 vcc_lo, s47, v1
	v_cndmask_b32_e32 v1, v9, v5, vcc_lo
	v_cmp_eq_u32_e32 vcc_lo, s47, v7
	s_delay_alu instid0(VALU_DEP_4) | instskip(NEXT) | instid1(VALU_DEP_3)
	v_cndmask_b32_e32 v3, v11, v3, vcc_lo
	v_cmp_ne_u32_e32 vcc_lo, 0, v1
	s_delay_alu instid0(VALU_DEP_2) | instskip(SKIP_1) | instid1(VALU_DEP_1)
	v_cmp_ne_u32_e64 s0, 0, v3
	v_dual_cndmask_b32 v1, v29, v27, vcc_lo :: v_dual_cndmask_b32 v3, v28, v26, vcc_lo
	v_dual_cndmask_b32 v1, v25, v1, s0 :: v_dual_bitop2_b32 v20, s44, v20 bitop3:0x14
	s_delay_alu instid0(VALU_DEP_1) | instskip(NEXT) | instid1(VALU_DEP_1)
	v_dual_cndmask_b32 v3, v24, v3, s0 :: v_dual_bitop2_b32 v25, v1, v20 bitop3:0x14
	v_dual_mov_b32 v21, v20 :: v_dual_bitop2_b32 v24, v3, v20 bitop3:0x14
	s_delay_alu instid0(VALU_DEP_1)
	v_sub_nc_u64_e32 v[20:21], v[24:25], v[20:21]
.LBB118_4993:                           ;   in Loop: Header=BB118_4991 Depth=1
	s_and_not1_saveexec_b32 s0, s77
	s_cbranch_execz .LBB118_4990
; %bb.4994:                             ;   in Loop: Header=BB118_4991 Depth=1
	v_cvt_f32_u32_e32 v1, s42
	s_sub_co_i32 s44, 0, s42
	v_mov_b32_e32 v21, v16
	s_delay_alu instid0(VALU_DEP_2) | instskip(SKIP_1) | instid1(TRANS32_DEP_1)
	v_rcp_iflag_f32_e32 v1, v1
	v_nop
	v_mul_f32_e32 v1, 0x4f7ffffe, v1
	s_delay_alu instid0(VALU_DEP_1) | instskip(NEXT) | instid1(VALU_DEP_1)
	v_cvt_u32_f32_e32 v1, v1
	v_mul_lo_u32 v3, s44, v1
	s_delay_alu instid0(VALU_DEP_1) | instskip(NEXT) | instid1(VALU_DEP_1)
	v_mul_hi_u32 v3, v1, v3
	v_add_nc_u32_e32 v1, v1, v3
	s_delay_alu instid0(VALU_DEP_1) | instskip(NEXT) | instid1(VALU_DEP_1)
	v_mul_hi_u32 v1, v18, v1
	v_mul_lo_u32 v3, v1, s42
	s_delay_alu instid0(VALU_DEP_1) | instskip(NEXT) | instid1(VALU_DEP_1)
	v_sub_nc_u32_e32 v3, v18, v3
	v_subrev_nc_u32_e32 v7, s42, v3
	v_cmp_le_u32_e32 vcc_lo, s42, v3
	s_delay_alu instid0(VALU_DEP_2) | instskip(NEXT) | instid1(VALU_DEP_1)
	v_dual_add_nc_u32 v5, 1, v1 :: v_dual_cndmask_b32 v3, v3, v7, vcc_lo
	v_cndmask_b32_e32 v1, v1, v5, vcc_lo
	s_delay_alu instid0(VALU_DEP_2) | instskip(NEXT) | instid1(VALU_DEP_2)
	v_cmp_le_u32_e32 vcc_lo, s42, v3
	v_add_nc_u32_e32 v5, 1, v1
	s_delay_alu instid0(VALU_DEP_1)
	v_cndmask_b32_e32 v20, v1, v5, vcc_lo
	s_branch .LBB118_4990
.LBB118_4995:
	s_mov_b32 s35, -1
	s_mov_b32 s1, s75
	s_mov_b32 s0, exec_lo
	v_cmpx_gt_i32_e64 v12, v10
	s_cbranch_execz .LBB118_5002
; %bb.4996:
	s_delay_alu instid0(VALU_DEP_2) | instskip(SKIP_3) | instid1(VALU_DEP_1)
	v_lshlrev_b64_e32 v[14:15], 2, v[14:15]
	v_dual_ashrrev_i32 v11, 31, v10 :: v_dual_ashrrev_i32 v13, 31, v12
	s_mov_b32 s18, 0
	s_xor_b32 s19, s50, -1
                                        ; implicit-def: $sgpr1
                                        ; implicit-def: $sgpr36
                                        ; implicit-def: $sgpr35
	v_lshl_add_u64 v[10:11], v[10:11], 2, v[14:15]
	v_add_nc_u64_e32 v[14:15], s[30:31], v[14:15]
	s_delay_alu instid0(VALU_DEP_2) | instskip(NEXT) | instid1(VALU_DEP_2)
	v_add_nc_u64_e32 v[10:11], s[30:31], v[10:11]
	v_lshl_add_u64 v[12:13], v[12:13], 2, v[14:15]
	s_delay_alu instid0(VALU_DEP_2)
	v_add_nc_u64_e32 v[10:11], 4, v[10:11]
	s_branch .LBB118_4998
.LBB118_4997:                           ;   in Loop: Header=BB118_4998 Depth=1
	s_or_b32 exec_lo, exec_lo, s37
	s_xor_b32 s37, s35, -1
	s_and_b32 s40, exec_lo, s36
	s_delay_alu instid0(SALU_CYCLE_1) | instskip(SKIP_2) | instid1(SALU_CYCLE_1)
	s_or_b32 s18, s40, s18
	s_and_not1_b32 s1, s1, exec_lo
	s_and_b32 s37, s37, exec_lo
	s_or_b32 s1, s1, s37
	s_and_not1_b32 exec_lo, exec_lo, s18
	s_cbranch_execz .LBB118_5000
.LBB118_4998:                           ; =>This Inner Loop Header: Depth=1
	s_or_b32 s35, s35, exec_lo
	s_or_b32 s36, s36, exec_lo
	s_mov_b32 s37, exec_lo
	s_delay_alu instid0(VALU_DEP_1)
	v_cmpx_lt_u64_e64 v[10:11], v[12:13]
	s_cbranch_execz .LBB118_4997
; %bb.4999:                             ;   in Loop: Header=BB118_4998 Depth=1
	global_load_b64 v[14:15], v[10:11], off offset:-4
	s_wait_xcnt 0x0
	v_add_nc_u64_e32 v[10:11], 4, v[10:11]
	s_and_not1_b32 s36, s36, exec_lo
	s_and_not1_b32 s35, s35, exec_lo
	s_wait_loadcnt 0x0
	v_cmp_ge_i32_e32 vcc_lo, v14, v15
	s_or_b32 s40, s19, vcc_lo
	s_delay_alu instid0(SALU_CYCLE_1) | instskip(NEXT) | instid1(SALU_CYCLE_1)
	s_and_b32 s40, s40, exec_lo
	s_or_b32 s36, s36, s40
	s_branch .LBB118_4997
.LBB118_5000:
	s_or_b32 exec_lo, exec_lo, s18
	s_mov_b32 s18, -1
	s_mov_b32 s19, s75
	s_and_saveexec_b32 s35, s1
	s_delay_alu instid0(SALU_CYCLE_1)
	s_xor_b32 s1, exec_lo, s35
	s_cbranch_execnz .LBB118_5015
.LBB118_5001:
	s_or_b32 exec_lo, exec_lo, s1
	s_delay_alu instid0(SALU_CYCLE_1)
	s_and_not1_b32 s1, s75, exec_lo
	s_and_b32 s19, s19, exec_lo
	s_or_not1_b32 s35, s18, exec_lo
	s_or_b32 s1, s1, s19
.LBB118_5002:
	s_or_b32 exec_lo, exec_lo, s0
	s_mov_b32 s18, 0
	s_mov_b32 s19, 0
                                        ; implicit-def: $sgpr0
                                        ; implicit-def: $vgpr14_vgpr15
	s_and_saveexec_b32 s36, s35
	s_cbranch_execz .LBB118_5652
; %bb.5003:
	v_add_nc_u32_e32 v0, s67, v0
	s_cmp_lt_i32 s55, 11
	s_delay_alu instid0(VALU_DEP_1) | instskip(NEXT) | instid1(VALU_DEP_1)
	v_ashrrev_i32_e32 v1, 31, v0
	v_add_nc_u64_e32 v[0:1], s[6:7], v[0:1]
	s_cbranch_scc1 .LBB118_5011
; %bb.5004:
	s_and_b32 s0, 0xffff, s55
	s_mov_b32 s7, 0
	s_cmp_gt_i32 s0, 25
	s_cbranch_scc0 .LBB118_5012
; %bb.5005:
	s_cmp_gt_i32 s0, 28
	s_cbranch_scc0 .LBB118_5013
; %bb.5006:
	;; [unrolled: 3-line block ×4, first 2 shown]
	s_cmp_eq_u32 s0, 46
	s_cbranch_scc0 .LBB118_5017
; %bb.5009:
	global_load_b32 v3, v[0:1], off
	s_mov_b32 s6, 0
	s_mov_b32 s18, -1
	s_wait_loadcnt 0x0
	v_lshlrev_b32_e32 v3, 16, v3
	s_delay_alu instid0(VALU_DEP_1)
	v_cvt_i32_f32_e32 v7, v3
	s_branch .LBB118_5019
.LBB118_5010:
	s_or_b32 s66, s66, exec_lo
	s_trap 2
	s_cbranch_execz .LBB118_4924
	s_branch .LBB118_4925
.LBB118_5011:
	s_mov_b32 s0, -1
	s_mov_b32 s37, s1
                                        ; implicit-def: $vgpr7
	s_branch .LBB118_5081
.LBB118_5012:
	s_mov_b32 s19, -1
	s_mov_b32 s6, 0
                                        ; implicit-def: $vgpr7
	s_branch .LBB118_5046
.LBB118_5013:
	s_mov_b32 s19, -1
	s_mov_b32 s6, 0
                                        ; implicit-def: $vgpr7
	s_branch .LBB118_5029
.LBB118_5014:
	s_mov_b32 s19, -1
	s_mov_b32 s6, 0
                                        ; implicit-def: $vgpr7
	s_branch .LBB118_5024
.LBB118_5015:
	s_or_b32 s19, s75, exec_lo
	s_xor_b32 s18, exec_lo, -1
	s_trap 2
	s_branch .LBB118_5001
.LBB118_5016:
	s_mov_b32 s19, -1
	s_mov_b32 s6, 0
	s_branch .LBB118_5018
.LBB118_5017:
	s_mov_b32 s6, -1
.LBB118_5018:
                                        ; implicit-def: $vgpr7
.LBB118_5019:
	s_and_b32 vcc_lo, exec_lo, s19
	s_cbranch_vccz .LBB118_5023
; %bb.5020:
	s_cmp_eq_u32 s0, 44
	s_cbranch_scc0 .LBB118_5022
; %bb.5021:
	global_load_u8 v3, v[0:1], off
	s_mov_b32 s6, 0
	s_mov_b32 s18, -1
	s_wait_loadcnt 0x0
	v_lshlrev_b32_e32 v5, 23, v3
	v_cmp_ne_u32_e32 vcc_lo, 0, v3
	s_delay_alu instid0(VALU_DEP_2) | instskip(NEXT) | instid1(VALU_DEP_1)
	v_cvt_i32_f32_e32 v5, v5
	v_cndmask_b32_e32 v7, 0, v5, vcc_lo
	s_branch .LBB118_5023
.LBB118_5022:
	s_mov_b32 s6, -1
                                        ; implicit-def: $vgpr7
.LBB118_5023:
	s_mov_b32 s19, 0
.LBB118_5024:
	s_delay_alu instid0(SALU_CYCLE_1)
	s_and_b32 vcc_lo, exec_lo, s19
	s_cbranch_vccz .LBB118_5028
; %bb.5025:
	s_cmp_eq_u32 s0, 29
	s_cbranch_scc0 .LBB118_5027
; %bb.5026:
	global_load_b32 v7, v[0:1], off
	s_mov_b32 s6, 0
	s_mov_b32 s18, -1
	s_branch .LBB118_5028
.LBB118_5027:
	s_mov_b32 s6, -1
                                        ; implicit-def: $vgpr7
.LBB118_5028:
	s_mov_b32 s19, 0
.LBB118_5029:
	s_delay_alu instid0(SALU_CYCLE_1)
	s_and_b32 vcc_lo, exec_lo, s19
	s_cbranch_vccz .LBB118_5045
; %bb.5030:
	s_cmp_lt_i32 s0, 27
	s_cbranch_scc1 .LBB118_5033
; %bb.5031:
	s_cmp_gt_i32 s0, 27
	s_cbranch_scc0 .LBB118_5034
; %bb.5032:
	s_wait_loadcnt 0x0
	global_load_b32 v7, v[0:1], off
	s_mov_b32 s18, 0
	s_branch .LBB118_5035
.LBB118_5033:
	s_mov_b32 s18, -1
                                        ; implicit-def: $vgpr7
	s_branch .LBB118_5038
.LBB118_5034:
	s_mov_b32 s18, -1
                                        ; implicit-def: $vgpr7
.LBB118_5035:
	s_delay_alu instid0(SALU_CYCLE_1)
	s_and_not1_b32 vcc_lo, exec_lo, s18
	s_cbranch_vccnz .LBB118_5037
; %bb.5036:
	s_wait_loadcnt 0x0
	global_load_u16 v7, v[0:1], off
.LBB118_5037:
	s_mov_b32 s18, 0
.LBB118_5038:
	s_delay_alu instid0(SALU_CYCLE_1)
	s_and_not1_b32 vcc_lo, exec_lo, s18
	s_cbranch_vccnz .LBB118_5044
; %bb.5039:
	global_load_u8 v3, v[0:1], off
	s_mov_b32 s19, 0
	s_mov_b32 s18, exec_lo
	s_wait_loadcnt 0x0
	v_cmpx_lt_i16_e32 0x7f, v3
	s_xor_b32 s18, exec_lo, s18
	s_cbranch_execz .LBB118_5056
; %bb.5040:
	v_cmp_ne_u16_e32 vcc_lo, 0x80, v3
	s_and_b32 s19, vcc_lo, exec_lo
	s_and_not1_saveexec_b32 s18, s18
	s_cbranch_execnz .LBB118_5057
.LBB118_5041:
	s_or_b32 exec_lo, exec_lo, s18
	v_mov_b32_e32 v7, 0
	s_and_saveexec_b32 s18, s19
	s_cbranch_execz .LBB118_5043
.LBB118_5042:
	v_and_b32_e32 v5, 0xffff, v3
	s_delay_alu instid0(VALU_DEP_1) | instskip(SKIP_1) | instid1(VALU_DEP_2)
	v_dual_lshlrev_b32 v3, 24, v3 :: v_dual_bitop2_b32 v7, 7, v5 bitop3:0x40
	v_bfe_u32 v11, v5, 3, 4
	v_and_b32_e32 v3, 0x80000000, v3
	s_delay_alu instid0(VALU_DEP_3) | instskip(NEXT) | instid1(VALU_DEP_3)
	v_clz_i32_u32_e32 v9, v7
	v_cmp_eq_u32_e32 vcc_lo, 0, v11
	s_delay_alu instid0(VALU_DEP_2) | instskip(NEXT) | instid1(VALU_DEP_1)
	v_min_u32_e32 v9, 32, v9
	v_subrev_nc_u32_e32 v10, 28, v9
	v_sub_nc_u32_e32 v9, 29, v9
	s_delay_alu instid0(VALU_DEP_2) | instskip(NEXT) | instid1(VALU_DEP_2)
	v_lshlrev_b32_e32 v5, v10, v5
	v_cndmask_b32_e32 v9, v11, v9, vcc_lo
	s_delay_alu instid0(VALU_DEP_2) | instskip(NEXT) | instid1(VALU_DEP_1)
	v_and_b32_e32 v5, 7, v5
	v_cndmask_b32_e32 v5, v7, v5, vcc_lo
	s_delay_alu instid0(VALU_DEP_3) | instskip(NEXT) | instid1(VALU_DEP_2)
	v_lshl_add_u32 v7, v9, 23, 0x3b800000
	v_lshlrev_b32_e32 v5, 20, v5
	s_delay_alu instid0(VALU_DEP_1) | instskip(NEXT) | instid1(VALU_DEP_1)
	v_or3_b32 v3, v3, v7, v5
	v_cvt_i32_f32_e32 v7, v3
.LBB118_5043:
	s_or_b32 exec_lo, exec_lo, s18
.LBB118_5044:
	s_mov_b32 s18, -1
.LBB118_5045:
	s_mov_b32 s19, 0
.LBB118_5046:
	s_delay_alu instid0(SALU_CYCLE_1)
	s_and_b32 vcc_lo, exec_lo, s19
	s_cbranch_vccz .LBB118_5077
; %bb.5047:
	s_cmp_gt_i32 s0, 22
	s_cbranch_scc0 .LBB118_5055
; %bb.5048:
	s_cmp_lt_i32 s0, 24
	s_cbranch_scc1 .LBB118_5058
; %bb.5049:
	s_cmp_gt_i32 s0, 24
	s_cbranch_scc0 .LBB118_5059
; %bb.5050:
	global_load_u8 v3, v[0:1], off
	s_mov_b32 s18, 0
	s_mov_b32 s7, exec_lo
	s_wait_loadcnt 0x0
	v_cmpx_lt_i16_e32 0x7f, v3
	s_xor_b32 s7, exec_lo, s7
	s_cbranch_execz .LBB118_5071
; %bb.5051:
	v_cmp_ne_u16_e32 vcc_lo, 0x80, v3
	s_and_b32 s18, vcc_lo, exec_lo
	s_and_not1_saveexec_b32 s7, s7
	s_cbranch_execnz .LBB118_5072
.LBB118_5052:
	s_or_b32 exec_lo, exec_lo, s7
	v_mov_b32_e32 v7, 0
	s_and_saveexec_b32 s7, s18
	s_cbranch_execz .LBB118_5054
.LBB118_5053:
	v_and_b32_e32 v5, 0xffff, v3
	s_delay_alu instid0(VALU_DEP_1) | instskip(SKIP_1) | instid1(VALU_DEP_2)
	v_dual_lshlrev_b32 v3, 24, v3 :: v_dual_bitop2_b32 v7, 3, v5 bitop3:0x40
	v_bfe_u32 v11, v5, 2, 5
	v_and_b32_e32 v3, 0x80000000, v3
	s_delay_alu instid0(VALU_DEP_3) | instskip(NEXT) | instid1(VALU_DEP_3)
	v_clz_i32_u32_e32 v9, v7
	v_cmp_eq_u32_e32 vcc_lo, 0, v11
	s_delay_alu instid0(VALU_DEP_2) | instskip(NEXT) | instid1(VALU_DEP_1)
	v_min_u32_e32 v9, 32, v9
	v_subrev_nc_u32_e32 v10, 29, v9
	v_sub_nc_u32_e32 v9, 30, v9
	s_delay_alu instid0(VALU_DEP_2) | instskip(NEXT) | instid1(VALU_DEP_2)
	v_lshlrev_b32_e32 v5, v10, v5
	v_cndmask_b32_e32 v9, v11, v9, vcc_lo
	s_delay_alu instid0(VALU_DEP_2) | instskip(NEXT) | instid1(VALU_DEP_1)
	v_and_b32_e32 v5, 3, v5
	v_cndmask_b32_e32 v5, v7, v5, vcc_lo
	s_delay_alu instid0(VALU_DEP_3) | instskip(NEXT) | instid1(VALU_DEP_2)
	v_lshl_add_u32 v7, v9, 23, 0x37800000
	v_lshlrev_b32_e32 v5, 21, v5
	s_delay_alu instid0(VALU_DEP_1) | instskip(NEXT) | instid1(VALU_DEP_1)
	v_or3_b32 v3, v3, v7, v5
	v_cvt_i32_f32_e32 v7, v3
.LBB118_5054:
	s_or_b32 exec_lo, exec_lo, s7
	s_mov_b32 s7, 0
	s_branch .LBB118_5060
.LBB118_5055:
	s_mov_b32 s7, -1
                                        ; implicit-def: $vgpr7
	s_branch .LBB118_5066
.LBB118_5056:
	s_and_not1_saveexec_b32 s18, s18
	s_cbranch_execz .LBB118_5041
.LBB118_5057:
	v_cmp_ne_u16_e32 vcc_lo, 0, v3
	s_and_not1_b32 s19, s19, exec_lo
	s_and_b32 s35, vcc_lo, exec_lo
	s_delay_alu instid0(SALU_CYCLE_1)
	s_or_b32 s19, s19, s35
	s_or_b32 exec_lo, exec_lo, s18
	v_mov_b32_e32 v7, 0
	s_and_saveexec_b32 s18, s19
	s_cbranch_execnz .LBB118_5042
	s_branch .LBB118_5043
.LBB118_5058:
	s_mov_b32 s7, -1
                                        ; implicit-def: $vgpr7
	s_branch .LBB118_5063
.LBB118_5059:
	s_mov_b32 s7, -1
                                        ; implicit-def: $vgpr7
.LBB118_5060:
	s_delay_alu instid0(SALU_CYCLE_1)
	s_and_b32 vcc_lo, exec_lo, s7
	s_cbranch_vccz .LBB118_5062
; %bb.5061:
	global_load_u8 v3, v[0:1], off
	s_wait_loadcnt 0x0
	v_lshlrev_b32_e32 v3, 24, v3
	s_delay_alu instid0(VALU_DEP_1) | instskip(NEXT) | instid1(VALU_DEP_1)
	v_and_b32_e32 v5, 0x7f000000, v3
	v_clz_i32_u32_e32 v7, v5
	v_cmp_ne_u32_e32 vcc_lo, 0, v5
	v_add_nc_u32_e32 v10, 0x1000000, v5
	s_delay_alu instid0(VALU_DEP_3) | instskip(NEXT) | instid1(VALU_DEP_1)
	v_min_u32_e32 v7, 32, v7
	v_sub_nc_u32_e64 v7, v7, 4 clamp
	s_delay_alu instid0(VALU_DEP_1) | instskip(NEXT) | instid1(VALU_DEP_1)
	v_dual_lshlrev_b32 v9, v7, v5 :: v_dual_lshlrev_b32 v7, 23, v7
	v_lshrrev_b32_e32 v9, 4, v9
	s_delay_alu instid0(VALU_DEP_1) | instskip(NEXT) | instid1(VALU_DEP_1)
	v_dual_sub_nc_u32 v7, v9, v7 :: v_dual_ashrrev_i32 v9, 8, v10
	v_add_nc_u32_e32 v7, 0x3c000000, v7
	s_delay_alu instid0(VALU_DEP_1) | instskip(NEXT) | instid1(VALU_DEP_1)
	v_and_or_b32 v7, 0x7f800000, v9, v7
	v_cndmask_b32_e32 v5, 0, v7, vcc_lo
	s_delay_alu instid0(VALU_DEP_1) | instskip(NEXT) | instid1(VALU_DEP_1)
	v_and_or_b32 v3, 0x80000000, v3, v5
	v_cvt_i32_f32_e32 v7, v3
.LBB118_5062:
	s_mov_b32 s7, 0
.LBB118_5063:
	s_delay_alu instid0(SALU_CYCLE_1)
	s_and_not1_b32 vcc_lo, exec_lo, s7
	s_cbranch_vccnz .LBB118_5065
; %bb.5064:
	global_load_u8 v3, v[0:1], off
	s_wait_loadcnt 0x0
	v_lshlrev_b32_e32 v5, 25, v3
	v_lshlrev_b16 v3, 8, v3
	s_delay_alu instid0(VALU_DEP_1) | instskip(SKIP_1) | instid1(VALU_DEP_2)
	v_and_or_b32 v9, 0x7f00, v3, 0.5
	v_bfe_i32 v3, v3, 0, 16
	v_add_f32_e32 v9, -0.5, v9
	v_lshrrev_b32_e32 v7, 4, v5
	v_cmp_gt_u32_e32 vcc_lo, 0x8000000, v5
	s_delay_alu instid0(VALU_DEP_2) | instskip(NEXT) | instid1(VALU_DEP_1)
	v_or_b32_e32 v7, 0x70000000, v7
	v_mul_f32_e32 v7, 0x7800000, v7
	s_delay_alu instid0(VALU_DEP_1) | instskip(NEXT) | instid1(VALU_DEP_1)
	v_cndmask_b32_e32 v5, v7, v9, vcc_lo
	v_and_or_b32 v3, 0x80000000, v3, v5
	s_delay_alu instid0(VALU_DEP_1)
	v_cvt_i32_f32_e32 v7, v3
.LBB118_5065:
	s_mov_b32 s7, 0
	s_mov_b32 s18, -1
.LBB118_5066:
	s_and_not1_b32 vcc_lo, exec_lo, s7
	s_mov_b32 s7, 0
	s_cbranch_vccnz .LBB118_5077
; %bb.5067:
	s_cmp_gt_i32 s0, 14
	s_cbranch_scc0 .LBB118_5070
; %bb.5068:
	s_cmp_eq_u32 s0, 15
	s_cbranch_scc0 .LBB118_5073
; %bb.5069:
	global_load_u16 v3, v[0:1], off
	s_mov_b32 s6, 0
	s_mov_b32 s18, -1
	s_wait_loadcnt 0x0
	v_lshlrev_b32_e32 v3, 16, v3
	s_delay_alu instid0(VALU_DEP_1)
	v_cvt_i32_f32_e32 v7, v3
	s_branch .LBB118_5075
.LBB118_5070:
	s_mov_b32 s7, -1
	s_branch .LBB118_5074
.LBB118_5071:
	s_and_not1_saveexec_b32 s7, s7
	s_cbranch_execz .LBB118_5052
.LBB118_5072:
	v_cmp_ne_u16_e32 vcc_lo, 0, v3
	s_and_not1_b32 s18, s18, exec_lo
	s_and_b32 s19, vcc_lo, exec_lo
	s_delay_alu instid0(SALU_CYCLE_1)
	s_or_b32 s18, s18, s19
	s_or_b32 exec_lo, exec_lo, s7
	v_mov_b32_e32 v7, 0
	s_and_saveexec_b32 s7, s18
	s_cbranch_execnz .LBB118_5053
	s_branch .LBB118_5054
.LBB118_5073:
	s_mov_b32 s6, -1
.LBB118_5074:
                                        ; implicit-def: $vgpr7
.LBB118_5075:
	s_and_b32 vcc_lo, exec_lo, s7
	s_mov_b32 s7, 0
	s_cbranch_vccz .LBB118_5077
; %bb.5076:
	s_cmp_lg_u32 s0, 11
	s_mov_b32 s7, -1
	s_cselect_b32 s6, -1, 0
.LBB118_5077:
	s_delay_alu instid0(SALU_CYCLE_1)
	s_and_b32 vcc_lo, exec_lo, s6
	s_mov_b32 s37, s1
	s_cbranch_vccnz .LBB118_5142
; %bb.5078:
	s_and_not1_b32 vcc_lo, exec_lo, s7
	s_cbranch_vccnz .LBB118_5080
.LBB118_5079:
	global_load_u8 v3, v[0:1], off
	s_mov_b32 s18, -1
	s_wait_loadcnt 0x0
	v_cmp_ne_u16_e32 vcc_lo, 0, v3
	v_cndmask_b32_e64 v7, 0, 1, vcc_lo
.LBB118_5080:
	s_mov_b32 s0, 0
.LBB118_5081:
	s_delay_alu instid0(SALU_CYCLE_1)
	s_and_b32 vcc_lo, exec_lo, s0
	s_cbranch_vccz .LBB118_5130
; %bb.5082:
	s_and_b32 s0, 0xffff, s55
	s_delay_alu instid0(SALU_CYCLE_1)
	s_cmp_lt_i32 s0, 5
	s_cbranch_scc1 .LBB118_5087
; %bb.5083:
	s_cmp_lt_i32 s0, 8
	s_cbranch_scc1 .LBB118_5088
; %bb.5084:
	;; [unrolled: 3-line block ×3, first 2 shown]
	s_cmp_gt_i32 s0, 9
	s_cbranch_scc0 .LBB118_5090
; %bb.5086:
	global_load_b64 v[10:11], v[0:1], off
	s_mov_b32 s6, 0
	s_wait_loadcnt 0x0
	v_cvt_i32_f64_e32 v7, v[10:11]
	s_branch .LBB118_5091
.LBB118_5087:
	s_mov_b32 s6, -1
                                        ; implicit-def: $vgpr7
	s_branch .LBB118_5109
.LBB118_5088:
	s_mov_b32 s6, -1
                                        ; implicit-def: $vgpr7
	s_branch .LBB118_5097
.LBB118_5089:
	s_mov_b32 s6, -1
                                        ; implicit-def: $vgpr7
	s_branch .LBB118_5094
.LBB118_5090:
	s_mov_b32 s6, -1
                                        ; implicit-def: $vgpr7
.LBB118_5091:
	s_delay_alu instid0(SALU_CYCLE_1)
	s_and_not1_b32 vcc_lo, exec_lo, s6
	s_cbranch_vccnz .LBB118_5093
; %bb.5092:
	global_load_b32 v3, v[0:1], off
	s_wait_loadcnt 0x0
	v_cvt_i32_f32_e32 v7, v3
.LBB118_5093:
	s_mov_b32 s6, 0
.LBB118_5094:
	s_delay_alu instid0(SALU_CYCLE_1)
	s_and_not1_b32 vcc_lo, exec_lo, s6
	s_cbranch_vccnz .LBB118_5096
; %bb.5095:
	global_load_b32 v3, v[0:1], off
	s_wait_loadcnt 0x0
	v_cvt_f32_f16_e32 v3, v3
	s_delay_alu instid0(VALU_DEP_1)
	v_cvt_i32_f32_e32 v7, v3
.LBB118_5096:
	s_mov_b32 s6, 0
.LBB118_5097:
	s_delay_alu instid0(SALU_CYCLE_1)
	s_and_not1_b32 vcc_lo, exec_lo, s6
	s_cbranch_vccnz .LBB118_5108
; %bb.5098:
	s_cmp_lt_i32 s0, 6
	s_cbranch_scc1 .LBB118_5101
; %bb.5099:
	s_cmp_gt_i32 s0, 6
	s_cbranch_scc0 .LBB118_5102
; %bb.5100:
	global_load_b64 v[10:11], v[0:1], off
	s_mov_b32 s6, 0
	s_wait_loadcnt 0x0
	v_cvt_i32_f64_e32 v7, v[10:11]
	s_branch .LBB118_5103
.LBB118_5101:
	s_mov_b32 s6, -1
                                        ; implicit-def: $vgpr7
	s_branch .LBB118_5106
.LBB118_5102:
	s_mov_b32 s6, -1
                                        ; implicit-def: $vgpr7
.LBB118_5103:
	s_delay_alu instid0(SALU_CYCLE_1)
	s_and_not1_b32 vcc_lo, exec_lo, s6
	s_cbranch_vccnz .LBB118_5105
; %bb.5104:
	global_load_b32 v3, v[0:1], off
	s_wait_loadcnt 0x0
	v_cvt_i32_f32_e32 v7, v3
.LBB118_5105:
	s_mov_b32 s6, 0
.LBB118_5106:
	s_delay_alu instid0(SALU_CYCLE_1)
	s_and_not1_b32 vcc_lo, exec_lo, s6
	s_cbranch_vccnz .LBB118_5108
; %bb.5107:
	global_load_u16 v3, v[0:1], off
	s_wait_loadcnt 0x0
	v_cvt_f32_f16_e32 v3, v3
	s_delay_alu instid0(VALU_DEP_1)
	v_cvt_i32_f32_e32 v7, v3
.LBB118_5108:
	s_mov_b32 s6, 0
.LBB118_5109:
	s_delay_alu instid0(SALU_CYCLE_1)
	s_and_not1_b32 vcc_lo, exec_lo, s6
	s_cbranch_vccnz .LBB118_5129
; %bb.5110:
	s_cmp_lt_i32 s0, 2
	s_cbranch_scc1 .LBB118_5114
; %bb.5111:
	s_cmp_lt_i32 s0, 3
	s_cbranch_scc1 .LBB118_5115
; %bb.5112:
	s_cmp_gt_i32 s0, 3
	s_cbranch_scc0 .LBB118_5116
; %bb.5113:
	s_wait_loadcnt 0x0
	global_load_b32 v7, v[0:1], off
	s_mov_b32 s6, 0
	s_branch .LBB118_5117
.LBB118_5114:
	s_mov_b32 s6, -1
                                        ; implicit-def: $vgpr7
	s_branch .LBB118_5123
.LBB118_5115:
	s_mov_b32 s6, -1
                                        ; implicit-def: $vgpr7
	s_branch .LBB118_5120
.LBB118_5116:
	s_mov_b32 s6, -1
                                        ; implicit-def: $vgpr7
.LBB118_5117:
	s_delay_alu instid0(SALU_CYCLE_1)
	s_and_not1_b32 vcc_lo, exec_lo, s6
	s_cbranch_vccnz .LBB118_5119
; %bb.5118:
	s_wait_loadcnt 0x0
	global_load_b32 v7, v[0:1], off
.LBB118_5119:
	s_mov_b32 s6, 0
.LBB118_5120:
	s_delay_alu instid0(SALU_CYCLE_1)
	s_and_not1_b32 vcc_lo, exec_lo, s6
	s_cbranch_vccnz .LBB118_5122
; %bb.5121:
	s_wait_loadcnt 0x0
	global_load_i16 v7, v[0:1], off
.LBB118_5122:
	s_mov_b32 s6, 0
.LBB118_5123:
	s_delay_alu instid0(SALU_CYCLE_1)
	s_and_not1_b32 vcc_lo, exec_lo, s6
	s_cbranch_vccnz .LBB118_5129
; %bb.5124:
	s_cmp_gt_i32 s0, 0
	s_mov_b32 s0, 0
	s_cbranch_scc0 .LBB118_5126
; %bb.5125:
	s_wait_loadcnt 0x0
	global_load_i8 v7, v[0:1], off
	s_branch .LBB118_5127
.LBB118_5126:
	s_mov_b32 s0, -1
                                        ; implicit-def: $vgpr7
.LBB118_5127:
	s_delay_alu instid0(SALU_CYCLE_1)
	s_and_not1_b32 vcc_lo, exec_lo, s0
	s_cbranch_vccnz .LBB118_5129
; %bb.5128:
	s_wait_loadcnt 0x0
	global_load_u8 v7, v[0:1], off
.LBB118_5129:
	s_mov_b32 s18, -1
.LBB118_5130:
	s_delay_alu instid0(SALU_CYCLE_1)
	s_and_not1_b32 vcc_lo, exec_lo, s18
	s_cbranch_vccnz .LBB118_5650
; %bb.5131:
	s_wait_xcnt 0x0
	v_add_nc_u32_e32 v0, s68, v2
	s_cmp_lt_i32 s56, 11
	s_delay_alu instid0(VALU_DEP_1) | instskip(NEXT) | instid1(VALU_DEP_1)
	v_ashrrev_i32_e32 v1, 31, v0
	v_add_nc_u64_e32 v[0:1], s[8:9], v[0:1]
	s_cbranch_scc1 .LBB118_5138
; %bb.5132:
	s_and_b32 s0, 0xffff, s56
	s_mov_b32 s7, 0
	s_cmp_gt_i32 s0, 25
	s_cbranch_scc0 .LBB118_5139
; %bb.5133:
	s_cmp_gt_i32 s0, 28
	s_cbranch_scc0 .LBB118_5140
; %bb.5134:
	;; [unrolled: 3-line block ×4, first 2 shown]
	s_cmp_eq_u32 s0, 46
	s_mov_b32 s9, 0
	s_cbranch_scc0 .LBB118_5145
; %bb.5137:
	global_load_b32 v2, v[0:1], off
	s_mov_b32 s6, 0
	s_mov_b32 s8, -1
	s_wait_loadcnt 0x0
	v_lshlrev_b32_e32 v2, 16, v2
	s_delay_alu instid0(VALU_DEP_1)
	v_cvt_i32_f32_e32 v9, v2
	s_branch .LBB118_5147
.LBB118_5138:
	s_mov_b32 s0, -1
	s_mov_b32 s8, 0
                                        ; implicit-def: $vgpr9
	s_branch .LBB118_5209
.LBB118_5139:
	s_mov_b32 s9, -1
	s_mov_b32 s8, 0
	s_mov_b32 s6, 0
                                        ; implicit-def: $vgpr9
	s_branch .LBB118_5174
.LBB118_5140:
	s_mov_b32 s9, -1
	s_mov_b32 s8, 0
	s_mov_b32 s6, 0
                                        ; implicit-def: $vgpr9
	s_branch .LBB118_5157
.LBB118_5141:
	s_mov_b32 s9, -1
	s_mov_b32 s8, 0
	s_mov_b32 s6, 0
                                        ; implicit-def: $vgpr9
	s_branch .LBB118_5152
.LBB118_5142:
	s_or_b32 s37, s1, exec_lo
	s_trap 2
	s_cbranch_execz .LBB118_5079
	s_branch .LBB118_5080
.LBB118_5143:
	s_mov_b32 s9, -1
	s_mov_b32 s8, 0
	s_mov_b32 s6, 0
	s_branch .LBB118_5146
.LBB118_5144:
	s_or_b32 s66, s66, exec_lo
	s_trap 2
                                        ; implicit-def: $vgpr0
                                        ; implicit-def: $vgpr2
                                        ; implicit-def: $vgpr3
                                        ; implicit-def: $vgpr4
                                        ; implicit-def: $vgpr10
                                        ; implicit-def: $vgpr6
                                        ; implicit-def: $vgpr12
                                        ; implicit-def: $vgpr8
                                        ; implicit-def: $vgpr16
                                        ; implicit-def: $vgpr23
                                        ; implicit-def: $vgpr22
	s_branch .LBB118_4977
.LBB118_5145:
	s_mov_b32 s6, -1
	s_mov_b32 s8, 0
.LBB118_5146:
                                        ; implicit-def: $vgpr9
.LBB118_5147:
	s_and_b32 vcc_lo, exec_lo, s9
	s_cbranch_vccz .LBB118_5151
; %bb.5148:
	s_cmp_eq_u32 s0, 44
	s_cbranch_scc0 .LBB118_5150
; %bb.5149:
	global_load_u8 v2, v[0:1], off
	s_mov_b32 s6, 0
	s_mov_b32 s8, -1
	s_wait_loadcnt 0x0
	v_lshlrev_b32_e32 v3, 23, v2
	v_cmp_ne_u32_e32 vcc_lo, 0, v2
	s_delay_alu instid0(VALU_DEP_2) | instskip(NEXT) | instid1(VALU_DEP_1)
	v_cvt_i32_f32_e32 v3, v3
	v_cndmask_b32_e32 v9, 0, v3, vcc_lo
	s_branch .LBB118_5151
.LBB118_5150:
	s_mov_b32 s6, -1
                                        ; implicit-def: $vgpr9
.LBB118_5151:
	s_mov_b32 s9, 0
.LBB118_5152:
	s_delay_alu instid0(SALU_CYCLE_1)
	s_and_b32 vcc_lo, exec_lo, s9
	s_cbranch_vccz .LBB118_5156
; %bb.5153:
	s_cmp_eq_u32 s0, 29
	s_cbranch_scc0 .LBB118_5155
; %bb.5154:
	global_load_b32 v9, v[0:1], off
	s_mov_b32 s6, 0
	s_mov_b32 s8, -1
	s_branch .LBB118_5156
.LBB118_5155:
	s_mov_b32 s6, -1
                                        ; implicit-def: $vgpr9
.LBB118_5156:
	s_mov_b32 s9, 0
.LBB118_5157:
	s_delay_alu instid0(SALU_CYCLE_1)
	s_and_b32 vcc_lo, exec_lo, s9
	s_cbranch_vccz .LBB118_5173
; %bb.5158:
	s_cmp_lt_i32 s0, 27
	s_cbranch_scc1 .LBB118_5161
; %bb.5159:
	s_cmp_gt_i32 s0, 27
	s_cbranch_scc0 .LBB118_5162
; %bb.5160:
	s_wait_loadcnt 0x0
	global_load_b32 v9, v[0:1], off
	s_mov_b32 s8, 0
	s_branch .LBB118_5163
.LBB118_5161:
	s_mov_b32 s8, -1
                                        ; implicit-def: $vgpr9
	s_branch .LBB118_5166
.LBB118_5162:
	s_mov_b32 s8, -1
                                        ; implicit-def: $vgpr9
.LBB118_5163:
	s_delay_alu instid0(SALU_CYCLE_1)
	s_and_not1_b32 vcc_lo, exec_lo, s8
	s_cbranch_vccnz .LBB118_5165
; %bb.5164:
	s_wait_loadcnt 0x0
	global_load_u16 v9, v[0:1], off
.LBB118_5165:
	s_mov_b32 s8, 0
.LBB118_5166:
	s_delay_alu instid0(SALU_CYCLE_1)
	s_and_not1_b32 vcc_lo, exec_lo, s8
	s_cbranch_vccnz .LBB118_5172
; %bb.5167:
	global_load_u8 v2, v[0:1], off
	s_mov_b32 s9, 0
	s_mov_b32 s8, exec_lo
	s_wait_loadcnt 0x0
	v_cmpx_lt_i16_e32 0x7f, v2
	s_xor_b32 s8, exec_lo, s8
	s_cbranch_execz .LBB118_5184
; %bb.5168:
	v_cmp_ne_u16_e32 vcc_lo, 0x80, v2
	s_and_b32 s9, vcc_lo, exec_lo
	s_and_not1_saveexec_b32 s8, s8
	s_cbranch_execnz .LBB118_5185
.LBB118_5169:
	s_or_b32 exec_lo, exec_lo, s8
	v_mov_b32_e32 v9, 0
	s_and_saveexec_b32 s8, s9
	s_cbranch_execz .LBB118_5171
.LBB118_5170:
	v_and_b32_e32 v3, 0xffff, v2
	s_delay_alu instid0(VALU_DEP_1) | instskip(SKIP_1) | instid1(VALU_DEP_2)
	v_and_b32_e32 v5, 7, v3
	v_bfe_u32 v11, v3, 3, 4
	v_clz_i32_u32_e32 v9, v5
	s_delay_alu instid0(VALU_DEP_2) | instskip(NEXT) | instid1(VALU_DEP_2)
	v_cmp_eq_u32_e32 vcc_lo, 0, v11
	v_min_u32_e32 v9, 32, v9
	s_delay_alu instid0(VALU_DEP_1) | instskip(NEXT) | instid1(VALU_DEP_1)
	v_subrev_nc_u32_e32 v10, 28, v9
	v_dual_lshlrev_b32 v3, v10, v3 :: v_dual_sub_nc_u32 v9, 29, v9
	s_delay_alu instid0(VALU_DEP_1) | instskip(NEXT) | instid1(VALU_DEP_1)
	v_dual_lshlrev_b32 v2, 24, v2 :: v_dual_bitop2_b32 v3, 7, v3 bitop3:0x40
	v_dual_cndmask_b32 v9, v11, v9, vcc_lo :: v_dual_cndmask_b32 v3, v5, v3, vcc_lo
	s_delay_alu instid0(VALU_DEP_2) | instskip(NEXT) | instid1(VALU_DEP_2)
	v_and_b32_e32 v2, 0x80000000, v2
	v_lshl_add_u32 v5, v9, 23, 0x3b800000
	s_delay_alu instid0(VALU_DEP_3) | instskip(NEXT) | instid1(VALU_DEP_1)
	v_lshlrev_b32_e32 v3, 20, v3
	v_or3_b32 v2, v2, v5, v3
	s_delay_alu instid0(VALU_DEP_1)
	v_cvt_i32_f32_e32 v9, v2
.LBB118_5171:
	s_or_b32 exec_lo, exec_lo, s8
.LBB118_5172:
	s_mov_b32 s8, -1
.LBB118_5173:
	s_mov_b32 s9, 0
.LBB118_5174:
	s_delay_alu instid0(SALU_CYCLE_1)
	s_and_b32 vcc_lo, exec_lo, s9
	s_cbranch_vccz .LBB118_5205
; %bb.5175:
	s_cmp_gt_i32 s0, 22
	s_cbranch_scc0 .LBB118_5183
; %bb.5176:
	s_cmp_lt_i32 s0, 24
	s_cbranch_scc1 .LBB118_5186
; %bb.5177:
	s_cmp_gt_i32 s0, 24
	s_cbranch_scc0 .LBB118_5187
; %bb.5178:
	global_load_u8 v2, v[0:1], off
	s_mov_b32 s8, 0
	s_mov_b32 s7, exec_lo
	s_wait_loadcnt 0x0
	v_cmpx_lt_i16_e32 0x7f, v2
	s_xor_b32 s7, exec_lo, s7
	s_cbranch_execz .LBB118_5199
; %bb.5179:
	v_cmp_ne_u16_e32 vcc_lo, 0x80, v2
	s_and_b32 s8, vcc_lo, exec_lo
	s_and_not1_saveexec_b32 s7, s7
	s_cbranch_execnz .LBB118_5200
.LBB118_5180:
	s_or_b32 exec_lo, exec_lo, s7
	v_mov_b32_e32 v9, 0
	s_and_saveexec_b32 s7, s8
	s_cbranch_execz .LBB118_5182
.LBB118_5181:
	v_and_b32_e32 v3, 0xffff, v2
	s_delay_alu instid0(VALU_DEP_1) | instskip(SKIP_1) | instid1(VALU_DEP_2)
	v_and_b32_e32 v5, 3, v3
	v_bfe_u32 v11, v3, 2, 5
	v_clz_i32_u32_e32 v9, v5
	s_delay_alu instid0(VALU_DEP_2) | instskip(NEXT) | instid1(VALU_DEP_2)
	v_cmp_eq_u32_e32 vcc_lo, 0, v11
	v_min_u32_e32 v9, 32, v9
	s_delay_alu instid0(VALU_DEP_1) | instskip(NEXT) | instid1(VALU_DEP_1)
	v_subrev_nc_u32_e32 v10, 29, v9
	v_dual_lshlrev_b32 v3, v10, v3 :: v_dual_sub_nc_u32 v9, 30, v9
	s_delay_alu instid0(VALU_DEP_1) | instskip(NEXT) | instid1(VALU_DEP_1)
	v_dual_lshlrev_b32 v2, 24, v2 :: v_dual_bitop2_b32 v3, 3, v3 bitop3:0x40
	v_dual_cndmask_b32 v9, v11, v9, vcc_lo :: v_dual_cndmask_b32 v3, v5, v3, vcc_lo
	s_delay_alu instid0(VALU_DEP_2) | instskip(NEXT) | instid1(VALU_DEP_2)
	v_and_b32_e32 v2, 0x80000000, v2
	v_lshl_add_u32 v5, v9, 23, 0x37800000
	s_delay_alu instid0(VALU_DEP_3) | instskip(NEXT) | instid1(VALU_DEP_1)
	v_lshlrev_b32_e32 v3, 21, v3
	v_or3_b32 v2, v2, v5, v3
	s_delay_alu instid0(VALU_DEP_1)
	v_cvt_i32_f32_e32 v9, v2
.LBB118_5182:
	s_or_b32 exec_lo, exec_lo, s7
	s_mov_b32 s7, 0
	s_branch .LBB118_5188
.LBB118_5183:
	s_mov_b32 s7, -1
                                        ; implicit-def: $vgpr9
	s_branch .LBB118_5194
.LBB118_5184:
	s_and_not1_saveexec_b32 s8, s8
	s_cbranch_execz .LBB118_5169
.LBB118_5185:
	v_cmp_ne_u16_e32 vcc_lo, 0, v2
	s_and_not1_b32 s9, s9, exec_lo
	s_and_b32 s18, vcc_lo, exec_lo
	s_delay_alu instid0(SALU_CYCLE_1)
	s_or_b32 s9, s9, s18
	s_or_b32 exec_lo, exec_lo, s8
	v_mov_b32_e32 v9, 0
	s_and_saveexec_b32 s8, s9
	s_cbranch_execnz .LBB118_5170
	s_branch .LBB118_5171
.LBB118_5186:
	s_mov_b32 s7, -1
                                        ; implicit-def: $vgpr9
	s_branch .LBB118_5191
.LBB118_5187:
	s_mov_b32 s7, -1
                                        ; implicit-def: $vgpr9
.LBB118_5188:
	s_delay_alu instid0(SALU_CYCLE_1)
	s_and_b32 vcc_lo, exec_lo, s7
	s_cbranch_vccz .LBB118_5190
; %bb.5189:
	global_load_u8 v2, v[0:1], off
	s_wait_loadcnt 0x0
	v_lshlrev_b32_e32 v2, 24, v2
	s_delay_alu instid0(VALU_DEP_1) | instskip(NEXT) | instid1(VALU_DEP_1)
	v_and_b32_e32 v3, 0x7f000000, v2
	v_clz_i32_u32_e32 v5, v3
	v_cmp_ne_u32_e32 vcc_lo, 0, v3
	v_add_nc_u32_e32 v10, 0x1000000, v3
	s_delay_alu instid0(VALU_DEP_3) | instskip(NEXT) | instid1(VALU_DEP_1)
	v_min_u32_e32 v5, 32, v5
	v_sub_nc_u32_e64 v5, v5, 4 clamp
	s_delay_alu instid0(VALU_DEP_1) | instskip(NEXT) | instid1(VALU_DEP_1)
	v_dual_lshlrev_b32 v9, v5, v3 :: v_dual_lshlrev_b32 v5, 23, v5
	v_lshrrev_b32_e32 v9, 4, v9
	s_delay_alu instid0(VALU_DEP_1) | instskip(NEXT) | instid1(VALU_DEP_1)
	v_dual_sub_nc_u32 v5, v9, v5 :: v_dual_ashrrev_i32 v9, 8, v10
	v_add_nc_u32_e32 v5, 0x3c000000, v5
	s_delay_alu instid0(VALU_DEP_1) | instskip(NEXT) | instid1(VALU_DEP_1)
	v_and_or_b32 v5, 0x7f800000, v9, v5
	v_cndmask_b32_e32 v3, 0, v5, vcc_lo
	s_delay_alu instid0(VALU_DEP_1) | instskip(NEXT) | instid1(VALU_DEP_1)
	v_and_or_b32 v2, 0x80000000, v2, v3
	v_cvt_i32_f32_e32 v9, v2
.LBB118_5190:
	s_mov_b32 s7, 0
.LBB118_5191:
	s_delay_alu instid0(SALU_CYCLE_1)
	s_and_not1_b32 vcc_lo, exec_lo, s7
	s_cbranch_vccnz .LBB118_5193
; %bb.5192:
	global_load_u8 v2, v[0:1], off
	s_wait_loadcnt 0x0
	v_lshlrev_b32_e32 v3, 25, v2
	v_lshlrev_b16 v2, 8, v2
	s_delay_alu instid0(VALU_DEP_1) | instskip(SKIP_1) | instid1(VALU_DEP_2)
	v_and_or_b32 v9, 0x7f00, v2, 0.5
	v_bfe_i32 v2, v2, 0, 16
	v_dual_add_f32 v9, -0.5, v9 :: v_dual_lshrrev_b32 v5, 4, v3
	v_cmp_gt_u32_e32 vcc_lo, 0x8000000, v3
	s_delay_alu instid0(VALU_DEP_2) | instskip(NEXT) | instid1(VALU_DEP_1)
	v_or_b32_e32 v5, 0x70000000, v5
	v_mul_f32_e32 v5, 0x7800000, v5
	s_delay_alu instid0(VALU_DEP_1) | instskip(NEXT) | instid1(VALU_DEP_1)
	v_cndmask_b32_e32 v3, v5, v9, vcc_lo
	v_and_or_b32 v2, 0x80000000, v2, v3
	s_delay_alu instid0(VALU_DEP_1)
	v_cvt_i32_f32_e32 v9, v2
.LBB118_5193:
	s_mov_b32 s7, 0
	s_mov_b32 s8, -1
.LBB118_5194:
	s_and_not1_b32 vcc_lo, exec_lo, s7
	s_mov_b32 s7, 0
	s_cbranch_vccnz .LBB118_5205
; %bb.5195:
	s_cmp_gt_i32 s0, 14
	s_cbranch_scc0 .LBB118_5198
; %bb.5196:
	s_cmp_eq_u32 s0, 15
	s_cbranch_scc0 .LBB118_5201
; %bb.5197:
	global_load_u16 v2, v[0:1], off
	s_mov_b32 s6, 0
	s_mov_b32 s8, -1
	s_wait_loadcnt 0x0
	v_lshlrev_b32_e32 v2, 16, v2
	s_delay_alu instid0(VALU_DEP_1)
	v_cvt_i32_f32_e32 v9, v2
	s_branch .LBB118_5203
.LBB118_5198:
	s_mov_b32 s7, -1
	s_branch .LBB118_5202
.LBB118_5199:
	s_and_not1_saveexec_b32 s7, s7
	s_cbranch_execz .LBB118_5180
.LBB118_5200:
	v_cmp_ne_u16_e32 vcc_lo, 0, v2
	s_and_not1_b32 s8, s8, exec_lo
	s_and_b32 s9, vcc_lo, exec_lo
	s_delay_alu instid0(SALU_CYCLE_1)
	s_or_b32 s8, s8, s9
	s_or_b32 exec_lo, exec_lo, s7
	v_mov_b32_e32 v9, 0
	s_and_saveexec_b32 s7, s8
	s_cbranch_execnz .LBB118_5181
	s_branch .LBB118_5182
.LBB118_5201:
	s_mov_b32 s6, -1
.LBB118_5202:
                                        ; implicit-def: $vgpr9
.LBB118_5203:
	s_and_b32 vcc_lo, exec_lo, s7
	s_mov_b32 s7, 0
	s_cbranch_vccz .LBB118_5205
; %bb.5204:
	s_cmp_lg_u32 s0, 11
	s_mov_b32 s7, -1
	s_cselect_b32 s6, -1, 0
.LBB118_5205:
	s_delay_alu instid0(SALU_CYCLE_1)
	s_and_b32 vcc_lo, exec_lo, s6
	s_cbranch_vccnz .LBB118_5270
; %bb.5206:
	s_and_not1_b32 vcc_lo, exec_lo, s7
	s_cbranch_vccnz .LBB118_5208
.LBB118_5207:
	global_load_u8 v2, v[0:1], off
	s_mov_b32 s8, -1
	s_wait_loadcnt 0x0
	v_cmp_ne_u16_e32 vcc_lo, 0, v2
	v_cndmask_b32_e64 v9, 0, 1, vcc_lo
.LBB118_5208:
	s_mov_b32 s0, 0
.LBB118_5209:
	s_delay_alu instid0(SALU_CYCLE_1)
	s_and_b32 vcc_lo, exec_lo, s0
	s_cbranch_vccz .LBB118_5258
; %bb.5210:
	s_and_b32 s0, 0xffff, s56
	s_delay_alu instid0(SALU_CYCLE_1)
	s_cmp_lt_i32 s0, 5
	s_cbranch_scc1 .LBB118_5215
; %bb.5211:
	s_cmp_lt_i32 s0, 8
	s_cbranch_scc1 .LBB118_5216
; %bb.5212:
	;; [unrolled: 3-line block ×3, first 2 shown]
	s_cmp_gt_i32 s0, 9
	s_cbranch_scc0 .LBB118_5218
; %bb.5214:
	global_load_b64 v[2:3], v[0:1], off
	s_mov_b32 s6, 0
	s_wait_loadcnt 0x0
	v_cvt_i32_f64_e32 v9, v[2:3]
	s_branch .LBB118_5219
.LBB118_5215:
	s_mov_b32 s6, -1
                                        ; implicit-def: $vgpr9
	s_branch .LBB118_5237
.LBB118_5216:
	s_mov_b32 s6, -1
                                        ; implicit-def: $vgpr9
	s_branch .LBB118_5225
.LBB118_5217:
	s_mov_b32 s6, -1
                                        ; implicit-def: $vgpr9
	s_branch .LBB118_5222
.LBB118_5218:
	s_mov_b32 s6, -1
                                        ; implicit-def: $vgpr9
.LBB118_5219:
	s_delay_alu instid0(SALU_CYCLE_1)
	s_and_not1_b32 vcc_lo, exec_lo, s6
	s_cbranch_vccnz .LBB118_5221
; %bb.5220:
	global_load_b32 v2, v[0:1], off
	s_wait_loadcnt 0x0
	v_cvt_i32_f32_e32 v9, v2
.LBB118_5221:
	s_mov_b32 s6, 0
.LBB118_5222:
	s_delay_alu instid0(SALU_CYCLE_1)
	s_and_not1_b32 vcc_lo, exec_lo, s6
	s_cbranch_vccnz .LBB118_5224
; %bb.5223:
	global_load_b32 v2, v[0:1], off
	s_wait_loadcnt 0x0
	v_cvt_f32_f16_e32 v2, v2
	s_delay_alu instid0(VALU_DEP_1)
	v_cvt_i32_f32_e32 v9, v2
.LBB118_5224:
	s_mov_b32 s6, 0
.LBB118_5225:
	s_delay_alu instid0(SALU_CYCLE_1)
	s_and_not1_b32 vcc_lo, exec_lo, s6
	s_cbranch_vccnz .LBB118_5236
; %bb.5226:
	s_cmp_lt_i32 s0, 6
	s_cbranch_scc1 .LBB118_5229
; %bb.5227:
	s_cmp_gt_i32 s0, 6
	s_cbranch_scc0 .LBB118_5230
; %bb.5228:
	global_load_b64 v[2:3], v[0:1], off
	s_mov_b32 s6, 0
	s_wait_loadcnt 0x0
	v_cvt_i32_f64_e32 v9, v[2:3]
	s_branch .LBB118_5231
.LBB118_5229:
	s_mov_b32 s6, -1
                                        ; implicit-def: $vgpr9
	s_branch .LBB118_5234
.LBB118_5230:
	s_mov_b32 s6, -1
                                        ; implicit-def: $vgpr9
.LBB118_5231:
	s_delay_alu instid0(SALU_CYCLE_1)
	s_and_not1_b32 vcc_lo, exec_lo, s6
	s_cbranch_vccnz .LBB118_5233
; %bb.5232:
	global_load_b32 v2, v[0:1], off
	s_wait_loadcnt 0x0
	v_cvt_i32_f32_e32 v9, v2
.LBB118_5233:
	s_mov_b32 s6, 0
.LBB118_5234:
	s_delay_alu instid0(SALU_CYCLE_1)
	s_and_not1_b32 vcc_lo, exec_lo, s6
	s_cbranch_vccnz .LBB118_5236
; %bb.5235:
	global_load_u16 v2, v[0:1], off
	s_wait_loadcnt 0x0
	v_cvt_f32_f16_e32 v2, v2
	s_delay_alu instid0(VALU_DEP_1)
	v_cvt_i32_f32_e32 v9, v2
.LBB118_5236:
	s_mov_b32 s6, 0
.LBB118_5237:
	s_delay_alu instid0(SALU_CYCLE_1)
	s_and_not1_b32 vcc_lo, exec_lo, s6
	s_cbranch_vccnz .LBB118_5257
; %bb.5238:
	s_cmp_lt_i32 s0, 2
	s_cbranch_scc1 .LBB118_5242
; %bb.5239:
	s_cmp_lt_i32 s0, 3
	s_cbranch_scc1 .LBB118_5243
; %bb.5240:
	s_cmp_gt_i32 s0, 3
	s_cbranch_scc0 .LBB118_5244
; %bb.5241:
	s_wait_loadcnt 0x0
	global_load_b32 v9, v[0:1], off
	s_mov_b32 s6, 0
	s_branch .LBB118_5245
.LBB118_5242:
	s_mov_b32 s6, -1
                                        ; implicit-def: $vgpr9
	s_branch .LBB118_5251
.LBB118_5243:
	s_mov_b32 s6, -1
                                        ; implicit-def: $vgpr9
	s_branch .LBB118_5248
.LBB118_5244:
	s_mov_b32 s6, -1
                                        ; implicit-def: $vgpr9
.LBB118_5245:
	s_delay_alu instid0(SALU_CYCLE_1)
	s_and_not1_b32 vcc_lo, exec_lo, s6
	s_cbranch_vccnz .LBB118_5247
; %bb.5246:
	s_wait_loadcnt 0x0
	global_load_b32 v9, v[0:1], off
.LBB118_5247:
	s_mov_b32 s6, 0
.LBB118_5248:
	s_delay_alu instid0(SALU_CYCLE_1)
	s_and_not1_b32 vcc_lo, exec_lo, s6
	s_cbranch_vccnz .LBB118_5250
; %bb.5249:
	s_wait_loadcnt 0x0
	global_load_i16 v9, v[0:1], off
.LBB118_5250:
	s_mov_b32 s6, 0
.LBB118_5251:
	s_delay_alu instid0(SALU_CYCLE_1)
	s_and_not1_b32 vcc_lo, exec_lo, s6
	s_cbranch_vccnz .LBB118_5257
; %bb.5252:
	s_cmp_gt_i32 s0, 0
	s_mov_b32 s0, 0
	s_cbranch_scc0 .LBB118_5254
; %bb.5253:
	s_wait_loadcnt 0x0
	global_load_i8 v9, v[0:1], off
	s_branch .LBB118_5255
.LBB118_5254:
	s_mov_b32 s0, -1
                                        ; implicit-def: $vgpr9
.LBB118_5255:
	s_delay_alu instid0(SALU_CYCLE_1)
	s_and_not1_b32 vcc_lo, exec_lo, s0
	s_cbranch_vccnz .LBB118_5257
; %bb.5256:
	s_wait_loadcnt 0x0
	global_load_u8 v9, v[0:1], off
.LBB118_5257:
	s_mov_b32 s8, -1
.LBB118_5258:
	s_delay_alu instid0(SALU_CYCLE_1)
	s_and_not1_b32 vcc_lo, exec_lo, s8
	s_cbranch_vccnz .LBB118_5650
; %bb.5259:
	s_wait_xcnt 0x0
	v_add_nc_u32_e32 v0, s69, v4
	s_cmp_lt_i32 s57, 11
	s_delay_alu instid0(VALU_DEP_1) | instskip(NEXT) | instid1(VALU_DEP_1)
	v_ashrrev_i32_e32 v1, 31, v0
	v_add_nc_u64_e32 v[2:3], s[10:11], v[0:1]
	s_cbranch_scc1 .LBB118_5266
; %bb.5260:
	s_and_b32 s0, 0xffff, s57
	s_mov_b32 s7, 0
	s_cmp_gt_i32 s0, 25
	s_cbranch_scc0 .LBB118_5267
; %bb.5261:
	s_cmp_gt_i32 s0, 28
	s_cbranch_scc0 .LBB118_5268
; %bb.5262:
	;; [unrolled: 3-line block ×4, first 2 shown]
	s_cmp_eq_u32 s0, 46
	s_mov_b32 s9, 0
	s_cbranch_scc0 .LBB118_5273
; %bb.5265:
	global_load_b32 v0, v[2:3], off
	s_mov_b32 s6, 0
	s_mov_b32 s8, -1
	s_wait_loadcnt 0x0
	v_lshlrev_b32_e32 v0, 16, v0
	s_delay_alu instid0(VALU_DEP_1)
	v_cvt_i32_f32_e32 v0, v0
	s_branch .LBB118_5275
.LBB118_5266:
	s_mov_b32 s0, -1
	s_mov_b32 s8, 0
                                        ; implicit-def: $vgpr0
	s_branch .LBB118_5337
.LBB118_5267:
	s_mov_b32 s9, -1
	s_mov_b32 s8, 0
	s_mov_b32 s6, 0
                                        ; implicit-def: $vgpr0
	s_branch .LBB118_5302
.LBB118_5268:
	s_mov_b32 s9, -1
	s_mov_b32 s8, 0
	s_mov_b32 s6, 0
                                        ; implicit-def: $vgpr0
	s_branch .LBB118_5285
.LBB118_5269:
	s_mov_b32 s9, -1
	s_mov_b32 s8, 0
	s_mov_b32 s6, 0
                                        ; implicit-def: $vgpr0
	s_branch .LBB118_5280
.LBB118_5270:
	s_or_b32 s37, s37, exec_lo
	s_trap 2
	s_cbranch_execz .LBB118_5207
	s_branch .LBB118_5208
.LBB118_5271:
	s_mov_b32 s9, -1
	s_mov_b32 s8, 0
	s_mov_b32 s6, 0
	s_branch .LBB118_5274
.LBB118_5272:
	s_or_b32 s73, s66, exec_lo
	s_trap 2
                                        ; implicit-def: $vgpr0
                                        ; implicit-def: $vgpr2
                                        ; implicit-def: $vgpr4
                                        ; implicit-def: $vgpr10
                                        ; implicit-def: $vgpr6
                                        ; implicit-def: $vgpr12
                                        ; implicit-def: $vgpr8
                                        ; implicit-def: $vgpr16
                                        ; implicit-def: $vgpr23
                                        ; implicit-def: $vgpr22
	s_or_saveexec_b32 s74, s0
                                        ; implicit-def: $sgpr0
                                        ; implicit-def: $vgpr14_vgpr15
	s_delay_alu instid0(SALU_CYCLE_1)
	s_xor_b32 exec_lo, exec_lo, s74
	s_cbranch_execz .LBB118_5654
	s_branch .LBB118_4980
.LBB118_5273:
	s_mov_b32 s6, -1
	s_mov_b32 s8, 0
.LBB118_5274:
                                        ; implicit-def: $vgpr0
.LBB118_5275:
	s_and_b32 vcc_lo, exec_lo, s9
	s_cbranch_vccz .LBB118_5279
; %bb.5276:
	s_cmp_eq_u32 s0, 44
	s_cbranch_scc0 .LBB118_5278
; %bb.5277:
	global_load_u8 v0, v[2:3], off
	s_mov_b32 s6, 0
	s_mov_b32 s8, -1
	s_wait_loadcnt 0x0
	v_lshlrev_b32_e32 v1, 23, v0
	v_cmp_ne_u32_e32 vcc_lo, 0, v0
	s_delay_alu instid0(VALU_DEP_2) | instskip(NEXT) | instid1(VALU_DEP_1)
	v_cvt_i32_f32_e32 v1, v1
	v_cndmask_b32_e32 v0, 0, v1, vcc_lo
	s_branch .LBB118_5279
.LBB118_5278:
	s_mov_b32 s6, -1
                                        ; implicit-def: $vgpr0
.LBB118_5279:
	s_mov_b32 s9, 0
.LBB118_5280:
	s_delay_alu instid0(SALU_CYCLE_1)
	s_and_b32 vcc_lo, exec_lo, s9
	s_cbranch_vccz .LBB118_5284
; %bb.5281:
	s_cmp_eq_u32 s0, 29
	s_cbranch_scc0 .LBB118_5283
; %bb.5282:
	global_load_b32 v0, v[2:3], off
	s_mov_b32 s6, 0
	s_mov_b32 s8, -1
	s_branch .LBB118_5284
.LBB118_5283:
	s_mov_b32 s6, -1
                                        ; implicit-def: $vgpr0
.LBB118_5284:
	s_mov_b32 s9, 0
.LBB118_5285:
	s_delay_alu instid0(SALU_CYCLE_1)
	s_and_b32 vcc_lo, exec_lo, s9
	s_cbranch_vccz .LBB118_5301
; %bb.5286:
	s_cmp_lt_i32 s0, 27
	s_cbranch_scc1 .LBB118_5289
; %bb.5287:
	s_cmp_gt_i32 s0, 27
	s_cbranch_scc0 .LBB118_5290
; %bb.5288:
	s_wait_loadcnt 0x0
	global_load_b32 v0, v[2:3], off
	s_mov_b32 s8, 0
	s_branch .LBB118_5291
.LBB118_5289:
	s_mov_b32 s8, -1
                                        ; implicit-def: $vgpr0
	s_branch .LBB118_5294
.LBB118_5290:
	s_mov_b32 s8, -1
                                        ; implicit-def: $vgpr0
.LBB118_5291:
	s_delay_alu instid0(SALU_CYCLE_1)
	s_and_not1_b32 vcc_lo, exec_lo, s8
	s_cbranch_vccnz .LBB118_5293
; %bb.5292:
	s_wait_loadcnt 0x0
	global_load_u16 v0, v[2:3], off
.LBB118_5293:
	s_mov_b32 s8, 0
.LBB118_5294:
	s_delay_alu instid0(SALU_CYCLE_1)
	s_and_not1_b32 vcc_lo, exec_lo, s8
	s_cbranch_vccnz .LBB118_5300
; %bb.5295:
	global_load_u8 v1, v[2:3], off
	s_mov_b32 s9, 0
	s_mov_b32 s8, exec_lo
	s_wait_loadcnt 0x0
	v_cmpx_lt_i16_e32 0x7f, v1
	s_xor_b32 s8, exec_lo, s8
	s_cbranch_execz .LBB118_5312
; %bb.5296:
	v_cmp_ne_u16_e32 vcc_lo, 0x80, v1
	s_and_b32 s9, vcc_lo, exec_lo
	s_and_not1_saveexec_b32 s8, s8
	s_cbranch_execnz .LBB118_5313
.LBB118_5297:
	s_or_b32 exec_lo, exec_lo, s8
	v_mov_b32_e32 v0, 0
	s_and_saveexec_b32 s8, s9
	s_cbranch_execz .LBB118_5299
.LBB118_5298:
	v_and_b32_e32 v0, 0xffff, v1
	s_delay_alu instid0(VALU_DEP_1) | instskip(SKIP_1) | instid1(VALU_DEP_2)
	v_and_b32_e32 v4, 7, v0
	v_bfe_u32 v11, v0, 3, 4
	v_clz_i32_u32_e32 v5, v4
	s_delay_alu instid0(VALU_DEP_2) | instskip(NEXT) | instid1(VALU_DEP_2)
	v_cmp_eq_u32_e32 vcc_lo, 0, v11
	v_min_u32_e32 v5, 32, v5
	s_delay_alu instid0(VALU_DEP_1) | instskip(NEXT) | instid1(VALU_DEP_1)
	v_subrev_nc_u32_e32 v10, 28, v5
	v_dual_lshlrev_b32 v0, v10, v0 :: v_dual_sub_nc_u32 v5, 29, v5
	s_delay_alu instid0(VALU_DEP_1) | instskip(NEXT) | instid1(VALU_DEP_1)
	v_dual_lshlrev_b32 v1, 24, v1 :: v_dual_bitop2_b32 v0, 7, v0 bitop3:0x40
	v_dual_cndmask_b32 v0, v4, v0 :: v_dual_cndmask_b32 v5, v11, v5
	s_delay_alu instid0(VALU_DEP_2) | instskip(NEXT) | instid1(VALU_DEP_2)
	v_and_b32_e32 v1, 0x80000000, v1
	v_lshlrev_b32_e32 v0, 20, v0
	s_delay_alu instid0(VALU_DEP_3) | instskip(NEXT) | instid1(VALU_DEP_1)
	v_lshl_add_u32 v4, v5, 23, 0x3b800000
	v_or3_b32 v0, v1, v4, v0
	s_delay_alu instid0(VALU_DEP_1)
	v_cvt_i32_f32_e32 v0, v0
.LBB118_5299:
	s_or_b32 exec_lo, exec_lo, s8
.LBB118_5300:
	s_mov_b32 s8, -1
.LBB118_5301:
	s_mov_b32 s9, 0
.LBB118_5302:
	s_delay_alu instid0(SALU_CYCLE_1)
	s_and_b32 vcc_lo, exec_lo, s9
	s_cbranch_vccz .LBB118_5333
; %bb.5303:
	s_cmp_gt_i32 s0, 22
	s_cbranch_scc0 .LBB118_5311
; %bb.5304:
	s_cmp_lt_i32 s0, 24
	s_cbranch_scc1 .LBB118_5314
; %bb.5305:
	s_cmp_gt_i32 s0, 24
	s_cbranch_scc0 .LBB118_5315
; %bb.5306:
	global_load_u8 v1, v[2:3], off
	s_mov_b32 s8, 0
	s_mov_b32 s7, exec_lo
	s_wait_loadcnt 0x0
	v_cmpx_lt_i16_e32 0x7f, v1
	s_xor_b32 s7, exec_lo, s7
	s_cbranch_execz .LBB118_5327
; %bb.5307:
	v_cmp_ne_u16_e32 vcc_lo, 0x80, v1
	s_and_b32 s8, vcc_lo, exec_lo
	s_and_not1_saveexec_b32 s7, s7
	s_cbranch_execnz .LBB118_5328
.LBB118_5308:
	s_or_b32 exec_lo, exec_lo, s7
	v_mov_b32_e32 v0, 0
	s_and_saveexec_b32 s7, s8
	s_cbranch_execz .LBB118_5310
.LBB118_5309:
	v_and_b32_e32 v0, 0xffff, v1
	s_delay_alu instid0(VALU_DEP_1) | instskip(SKIP_1) | instid1(VALU_DEP_2)
	v_and_b32_e32 v4, 3, v0
	v_bfe_u32 v11, v0, 2, 5
	v_clz_i32_u32_e32 v5, v4
	s_delay_alu instid0(VALU_DEP_2) | instskip(NEXT) | instid1(VALU_DEP_2)
	v_cmp_eq_u32_e32 vcc_lo, 0, v11
	v_min_u32_e32 v5, 32, v5
	s_delay_alu instid0(VALU_DEP_1) | instskip(NEXT) | instid1(VALU_DEP_1)
	v_subrev_nc_u32_e32 v10, 29, v5
	v_dual_lshlrev_b32 v0, v10, v0 :: v_dual_sub_nc_u32 v5, 30, v5
	s_delay_alu instid0(VALU_DEP_1) | instskip(NEXT) | instid1(VALU_DEP_1)
	v_dual_lshlrev_b32 v1, 24, v1 :: v_dual_bitop2_b32 v0, 3, v0 bitop3:0x40
	v_dual_cndmask_b32 v0, v4, v0 :: v_dual_cndmask_b32 v5, v11, v5
	s_delay_alu instid0(VALU_DEP_2) | instskip(NEXT) | instid1(VALU_DEP_2)
	v_and_b32_e32 v1, 0x80000000, v1
	v_lshlrev_b32_e32 v0, 21, v0
	s_delay_alu instid0(VALU_DEP_3) | instskip(NEXT) | instid1(VALU_DEP_1)
	v_lshl_add_u32 v4, v5, 23, 0x37800000
	v_or3_b32 v0, v1, v4, v0
	s_delay_alu instid0(VALU_DEP_1)
	v_cvt_i32_f32_e32 v0, v0
.LBB118_5310:
	s_or_b32 exec_lo, exec_lo, s7
	s_mov_b32 s7, 0
	s_branch .LBB118_5316
.LBB118_5311:
	s_mov_b32 s7, -1
                                        ; implicit-def: $vgpr0
	s_branch .LBB118_5322
.LBB118_5312:
	s_and_not1_saveexec_b32 s8, s8
	s_cbranch_execz .LBB118_5297
.LBB118_5313:
	v_cmp_ne_u16_e32 vcc_lo, 0, v1
	s_and_not1_b32 s9, s9, exec_lo
	s_and_b32 s10, vcc_lo, exec_lo
	s_delay_alu instid0(SALU_CYCLE_1)
	s_or_b32 s9, s9, s10
	s_or_b32 exec_lo, exec_lo, s8
	v_mov_b32_e32 v0, 0
	s_and_saveexec_b32 s8, s9
	s_cbranch_execnz .LBB118_5298
	s_branch .LBB118_5299
.LBB118_5314:
	s_mov_b32 s7, -1
                                        ; implicit-def: $vgpr0
	s_branch .LBB118_5319
.LBB118_5315:
	s_mov_b32 s7, -1
                                        ; implicit-def: $vgpr0
.LBB118_5316:
	s_delay_alu instid0(SALU_CYCLE_1)
	s_and_b32 vcc_lo, exec_lo, s7
	s_cbranch_vccz .LBB118_5318
; %bb.5317:
	s_wait_loadcnt 0x0
	global_load_u8 v0, v[2:3], off
	s_wait_loadcnt 0x0
	v_lshlrev_b32_e32 v0, 24, v0
	s_delay_alu instid0(VALU_DEP_1) | instskip(NEXT) | instid1(VALU_DEP_1)
	v_and_b32_e32 v1, 0x7f000000, v0
	v_clz_i32_u32_e32 v4, v1
	v_cmp_ne_u32_e32 vcc_lo, 0, v1
	v_add_nc_u32_e32 v10, 0x1000000, v1
	s_delay_alu instid0(VALU_DEP_3) | instskip(NEXT) | instid1(VALU_DEP_1)
	v_min_u32_e32 v4, 32, v4
	v_sub_nc_u32_e64 v4, v4, 4 clamp
	s_delay_alu instid0(VALU_DEP_1) | instskip(NEXT) | instid1(VALU_DEP_1)
	v_dual_lshlrev_b32 v5, v4, v1 :: v_dual_lshlrev_b32 v4, 23, v4
	v_lshrrev_b32_e32 v5, 4, v5
	s_delay_alu instid0(VALU_DEP_1) | instskip(NEXT) | instid1(VALU_DEP_1)
	v_dual_sub_nc_u32 v4, v5, v4 :: v_dual_ashrrev_i32 v5, 8, v10
	v_add_nc_u32_e32 v4, 0x3c000000, v4
	s_delay_alu instid0(VALU_DEP_1) | instskip(NEXT) | instid1(VALU_DEP_1)
	v_and_or_b32 v4, 0x7f800000, v5, v4
	v_cndmask_b32_e32 v1, 0, v4, vcc_lo
	s_delay_alu instid0(VALU_DEP_1) | instskip(NEXT) | instid1(VALU_DEP_1)
	v_and_or_b32 v0, 0x80000000, v0, v1
	v_cvt_i32_f32_e32 v0, v0
.LBB118_5318:
	s_mov_b32 s7, 0
.LBB118_5319:
	s_delay_alu instid0(SALU_CYCLE_1)
	s_and_not1_b32 vcc_lo, exec_lo, s7
	s_cbranch_vccnz .LBB118_5321
; %bb.5320:
	s_wait_loadcnt 0x0
	global_load_u8 v0, v[2:3], off
	s_wait_loadcnt 0x0
	v_lshlrev_b32_e32 v1, 25, v0
	v_lshlrev_b16 v0, 8, v0
	s_delay_alu instid0(VALU_DEP_1) | instskip(SKIP_1) | instid1(VALU_DEP_2)
	v_and_or_b32 v5, 0x7f00, v0, 0.5
	v_bfe_i32 v0, v0, 0, 16
	v_add_f32_e32 v5, -0.5, v5
	v_lshrrev_b32_e32 v4, 4, v1
	v_cmp_gt_u32_e32 vcc_lo, 0x8000000, v1
	s_delay_alu instid0(VALU_DEP_2) | instskip(NEXT) | instid1(VALU_DEP_1)
	v_or_b32_e32 v4, 0x70000000, v4
	v_mul_f32_e32 v4, 0x7800000, v4
	s_delay_alu instid0(VALU_DEP_1) | instskip(NEXT) | instid1(VALU_DEP_1)
	v_cndmask_b32_e32 v1, v4, v5, vcc_lo
	v_and_or_b32 v0, 0x80000000, v0, v1
	s_delay_alu instid0(VALU_DEP_1)
	v_cvt_i32_f32_e32 v0, v0
.LBB118_5321:
	s_mov_b32 s7, 0
	s_mov_b32 s8, -1
.LBB118_5322:
	s_and_not1_b32 vcc_lo, exec_lo, s7
	s_mov_b32 s7, 0
	s_cbranch_vccnz .LBB118_5333
; %bb.5323:
	s_cmp_gt_i32 s0, 14
	s_cbranch_scc0 .LBB118_5326
; %bb.5324:
	s_cmp_eq_u32 s0, 15
	s_cbranch_scc0 .LBB118_5329
; %bb.5325:
	s_wait_loadcnt 0x0
	global_load_u16 v0, v[2:3], off
	s_mov_b32 s6, 0
	s_mov_b32 s8, -1
	s_wait_loadcnt 0x0
	v_lshlrev_b32_e32 v0, 16, v0
	s_delay_alu instid0(VALU_DEP_1)
	v_cvt_i32_f32_e32 v0, v0
	s_branch .LBB118_5331
.LBB118_5326:
	s_mov_b32 s7, -1
	s_branch .LBB118_5330
.LBB118_5327:
	s_and_not1_saveexec_b32 s7, s7
	s_cbranch_execz .LBB118_5308
.LBB118_5328:
	v_cmp_ne_u16_e32 vcc_lo, 0, v1
	s_and_not1_b32 s8, s8, exec_lo
	s_and_b32 s9, vcc_lo, exec_lo
	s_delay_alu instid0(SALU_CYCLE_1)
	s_or_b32 s8, s8, s9
	s_or_b32 exec_lo, exec_lo, s7
	v_mov_b32_e32 v0, 0
	s_and_saveexec_b32 s7, s8
	s_cbranch_execnz .LBB118_5309
	s_branch .LBB118_5310
.LBB118_5329:
	s_mov_b32 s6, -1
.LBB118_5330:
                                        ; implicit-def: $vgpr0
.LBB118_5331:
	s_and_b32 vcc_lo, exec_lo, s7
	s_mov_b32 s7, 0
	s_cbranch_vccz .LBB118_5333
; %bb.5332:
	s_cmp_lg_u32 s0, 11
	s_mov_b32 s7, -1
	s_cselect_b32 s6, -1, 0
.LBB118_5333:
	s_delay_alu instid0(SALU_CYCLE_1)
	s_and_b32 vcc_lo, exec_lo, s6
	s_cbranch_vccnz .LBB118_5398
; %bb.5334:
	s_and_not1_b32 vcc_lo, exec_lo, s7
	s_cbranch_vccnz .LBB118_5336
.LBB118_5335:
	s_wait_loadcnt 0x0
	global_load_u8 v0, v[2:3], off
	s_mov_b32 s8, -1
	s_wait_loadcnt 0x0
	v_cmp_ne_u16_e32 vcc_lo, 0, v0
	v_cndmask_b32_e64 v0, 0, 1, vcc_lo
.LBB118_5336:
	s_mov_b32 s0, 0
.LBB118_5337:
	s_delay_alu instid0(SALU_CYCLE_1)
	s_and_b32 vcc_lo, exec_lo, s0
	s_cbranch_vccz .LBB118_5386
; %bb.5338:
	s_and_b32 s0, 0xffff, s57
	s_delay_alu instid0(SALU_CYCLE_1)
	s_cmp_lt_i32 s0, 5
	s_cbranch_scc1 .LBB118_5343
; %bb.5339:
	s_cmp_lt_i32 s0, 8
	s_cbranch_scc1 .LBB118_5344
; %bb.5340:
	;; [unrolled: 3-line block ×3, first 2 shown]
	s_cmp_gt_i32 s0, 9
	s_cbranch_scc0 .LBB118_5346
; %bb.5342:
	s_wait_loadcnt 0x0
	global_load_b64 v[0:1], v[2:3], off
	s_mov_b32 s6, 0
	s_wait_loadcnt 0x0
	v_cvt_i32_f64_e32 v0, v[0:1]
	s_branch .LBB118_5347
.LBB118_5343:
	s_mov_b32 s6, -1
                                        ; implicit-def: $vgpr0
	s_branch .LBB118_5365
.LBB118_5344:
	s_mov_b32 s6, -1
                                        ; implicit-def: $vgpr0
	s_branch .LBB118_5353
.LBB118_5345:
	s_mov_b32 s6, -1
                                        ; implicit-def: $vgpr0
	s_branch .LBB118_5350
.LBB118_5346:
	s_mov_b32 s6, -1
                                        ; implicit-def: $vgpr0
.LBB118_5347:
	s_delay_alu instid0(SALU_CYCLE_1)
	s_and_not1_b32 vcc_lo, exec_lo, s6
	s_cbranch_vccnz .LBB118_5349
; %bb.5348:
	s_wait_loadcnt 0x0
	global_load_b32 v0, v[2:3], off
	s_wait_loadcnt 0x0
	v_cvt_i32_f32_e32 v0, v0
.LBB118_5349:
	s_mov_b32 s6, 0
.LBB118_5350:
	s_delay_alu instid0(SALU_CYCLE_1)
	s_and_not1_b32 vcc_lo, exec_lo, s6
	s_cbranch_vccnz .LBB118_5352
; %bb.5351:
	s_wait_loadcnt 0x0
	global_load_b32 v0, v[2:3], off
	s_wait_loadcnt 0x0
	v_cvt_f32_f16_e32 v0, v0
	s_delay_alu instid0(VALU_DEP_1)
	v_cvt_i32_f32_e32 v0, v0
.LBB118_5352:
	s_mov_b32 s6, 0
.LBB118_5353:
	s_delay_alu instid0(SALU_CYCLE_1)
	s_and_not1_b32 vcc_lo, exec_lo, s6
	s_cbranch_vccnz .LBB118_5364
; %bb.5354:
	s_cmp_lt_i32 s0, 6
	s_cbranch_scc1 .LBB118_5357
; %bb.5355:
	s_cmp_gt_i32 s0, 6
	s_cbranch_scc0 .LBB118_5358
; %bb.5356:
	s_wait_loadcnt 0x0
	global_load_b64 v[0:1], v[2:3], off
	s_mov_b32 s6, 0
	s_wait_loadcnt 0x0
	v_cvt_i32_f64_e32 v0, v[0:1]
	s_branch .LBB118_5359
.LBB118_5357:
	s_mov_b32 s6, -1
                                        ; implicit-def: $vgpr0
	s_branch .LBB118_5362
.LBB118_5358:
	s_mov_b32 s6, -1
                                        ; implicit-def: $vgpr0
.LBB118_5359:
	s_delay_alu instid0(SALU_CYCLE_1)
	s_and_not1_b32 vcc_lo, exec_lo, s6
	s_cbranch_vccnz .LBB118_5361
; %bb.5360:
	s_wait_loadcnt 0x0
	global_load_b32 v0, v[2:3], off
	s_wait_loadcnt 0x0
	v_cvt_i32_f32_e32 v0, v0
.LBB118_5361:
	s_mov_b32 s6, 0
.LBB118_5362:
	s_delay_alu instid0(SALU_CYCLE_1)
	s_and_not1_b32 vcc_lo, exec_lo, s6
	s_cbranch_vccnz .LBB118_5364
; %bb.5363:
	s_wait_loadcnt 0x0
	global_load_u16 v0, v[2:3], off
	s_wait_loadcnt 0x0
	v_cvt_f32_f16_e32 v0, v0
	s_delay_alu instid0(VALU_DEP_1)
	v_cvt_i32_f32_e32 v0, v0
.LBB118_5364:
	s_mov_b32 s6, 0
.LBB118_5365:
	s_delay_alu instid0(SALU_CYCLE_1)
	s_and_not1_b32 vcc_lo, exec_lo, s6
	s_cbranch_vccnz .LBB118_5385
; %bb.5366:
	s_cmp_lt_i32 s0, 2
	s_cbranch_scc1 .LBB118_5370
; %bb.5367:
	s_cmp_lt_i32 s0, 3
	s_cbranch_scc1 .LBB118_5371
; %bb.5368:
	s_cmp_gt_i32 s0, 3
	s_cbranch_scc0 .LBB118_5372
; %bb.5369:
	s_wait_loadcnt 0x0
	global_load_b32 v0, v[2:3], off
	s_mov_b32 s6, 0
	s_branch .LBB118_5373
.LBB118_5370:
	s_mov_b32 s6, -1
                                        ; implicit-def: $vgpr0
	s_branch .LBB118_5379
.LBB118_5371:
	s_mov_b32 s6, -1
                                        ; implicit-def: $vgpr0
	s_branch .LBB118_5376
.LBB118_5372:
	s_mov_b32 s6, -1
                                        ; implicit-def: $vgpr0
.LBB118_5373:
	s_delay_alu instid0(SALU_CYCLE_1)
	s_and_not1_b32 vcc_lo, exec_lo, s6
	s_cbranch_vccnz .LBB118_5375
; %bb.5374:
	s_wait_loadcnt 0x0
	global_load_b32 v0, v[2:3], off
.LBB118_5375:
	s_mov_b32 s6, 0
.LBB118_5376:
	s_delay_alu instid0(SALU_CYCLE_1)
	s_and_not1_b32 vcc_lo, exec_lo, s6
	s_cbranch_vccnz .LBB118_5378
; %bb.5377:
	s_wait_loadcnt 0x0
	global_load_i16 v0, v[2:3], off
.LBB118_5378:
	s_mov_b32 s6, 0
.LBB118_5379:
	s_delay_alu instid0(SALU_CYCLE_1)
	s_and_not1_b32 vcc_lo, exec_lo, s6
	s_cbranch_vccnz .LBB118_5385
; %bb.5380:
	s_cmp_gt_i32 s0, 0
	s_mov_b32 s0, 0
	s_cbranch_scc0 .LBB118_5382
; %bb.5381:
	s_wait_loadcnt 0x0
	global_load_i8 v0, v[2:3], off
	s_branch .LBB118_5383
.LBB118_5382:
	s_mov_b32 s0, -1
                                        ; implicit-def: $vgpr0
.LBB118_5383:
	s_delay_alu instid0(SALU_CYCLE_1)
	s_and_not1_b32 vcc_lo, exec_lo, s0
	s_cbranch_vccnz .LBB118_5385
; %bb.5384:
	s_wait_loadcnt 0x0
	global_load_u8 v0, v[2:3], off
.LBB118_5385:
	s_mov_b32 s8, -1
.LBB118_5386:
	s_delay_alu instid0(SALU_CYCLE_1)
	s_and_not1_b32 vcc_lo, exec_lo, s8
	s_cbranch_vccnz .LBB118_5650
; %bb.5387:
	s_wait_xcnt 0x0
	v_add_nc_u32_e32 v2, s70, v6
	s_cmp_lt_i32 s58, 11
	s_delay_alu instid0(VALU_DEP_1) | instskip(NEXT) | instid1(VALU_DEP_1)
	v_ashrrev_i32_e32 v3, 31, v2
	v_add_nc_u64_e32 v[4:5], s[12:13], v[2:3]
	s_cbranch_scc1 .LBB118_5394
; %bb.5388:
	s_and_b32 s0, 0xffff, s58
	s_mov_b32 s7, 0
	s_cmp_gt_i32 s0, 25
	s_cbranch_scc0 .LBB118_5395
; %bb.5389:
	s_cmp_gt_i32 s0, 28
	s_cbranch_scc0 .LBB118_5396
; %bb.5390:
	;; [unrolled: 3-line block ×4, first 2 shown]
	s_cmp_eq_u32 s0, 46
	s_mov_b32 s9, 0
	s_cbranch_scc0 .LBB118_5401
; %bb.5393:
	global_load_b32 v1, v[4:5], off
	s_mov_b32 s6, 0
	s_mov_b32 s8, -1
	s_wait_loadcnt 0x0
	v_lshlrev_b32_e32 v1, 16, v1
	s_delay_alu instid0(VALU_DEP_1)
	v_cvt_i32_f32_e32 v2, v1
	s_branch .LBB118_5403
.LBB118_5394:
	s_mov_b32 s0, -1
	s_mov_b32 s8, 0
                                        ; implicit-def: $vgpr2
	s_branch .LBB118_5465
.LBB118_5395:
	s_mov_b32 s9, -1
	s_mov_b32 s8, 0
	s_mov_b32 s6, 0
                                        ; implicit-def: $vgpr2
	s_branch .LBB118_5430
.LBB118_5396:
	s_mov_b32 s9, -1
	s_mov_b32 s8, 0
	s_mov_b32 s6, 0
                                        ; implicit-def: $vgpr2
	s_branch .LBB118_5413
.LBB118_5397:
	s_mov_b32 s9, -1
	s_mov_b32 s8, 0
	s_mov_b32 s6, 0
                                        ; implicit-def: $vgpr2
	s_branch .LBB118_5408
.LBB118_5398:
	s_or_b32 s37, s37, exec_lo
	s_trap 2
	s_cbranch_execz .LBB118_5335
	s_branch .LBB118_5336
.LBB118_5399:
	s_mov_b32 s9, -1
	s_mov_b32 s8, 0
	s_mov_b32 s6, 0
	s_branch .LBB118_5402
.LBB118_5400:
	s_or_b32 s75, s73, exec_lo
	s_trap 2
                                        ; implicit-def: $vgpr0
                                        ; implicit-def: $vgpr2
                                        ; implicit-def: $vgpr4
                                        ; implicit-def: $vgpr10
                                        ; implicit-def: $vgpr6
                                        ; implicit-def: $vgpr12
                                        ; implicit-def: $vgpr8
                                        ; implicit-def: $vgpr16
                                        ; implicit-def: $vgpr23
                                        ; implicit-def: $vgpr22
	s_branch .LBB118_4981
.LBB118_5401:
	s_mov_b32 s6, -1
	s_mov_b32 s8, 0
.LBB118_5402:
                                        ; implicit-def: $vgpr2
.LBB118_5403:
	s_and_b32 vcc_lo, exec_lo, s9
	s_cbranch_vccz .LBB118_5407
; %bb.5404:
	s_cmp_eq_u32 s0, 44
	s_cbranch_scc0 .LBB118_5406
; %bb.5405:
	global_load_u8 v1, v[4:5], off
	s_mov_b32 s6, 0
	s_mov_b32 s8, -1
	s_wait_loadcnt 0x0
	v_lshlrev_b32_e32 v2, 23, v1
	v_cmp_ne_u32_e32 vcc_lo, 0, v1
	s_delay_alu instid0(VALU_DEP_2) | instskip(NEXT) | instid1(VALU_DEP_1)
	v_cvt_i32_f32_e32 v2, v2
	v_cndmask_b32_e32 v2, 0, v2, vcc_lo
	s_branch .LBB118_5407
.LBB118_5406:
	s_mov_b32 s6, -1
                                        ; implicit-def: $vgpr2
.LBB118_5407:
	s_mov_b32 s9, 0
.LBB118_5408:
	s_delay_alu instid0(SALU_CYCLE_1)
	s_and_b32 vcc_lo, exec_lo, s9
	s_cbranch_vccz .LBB118_5412
; %bb.5409:
	s_cmp_eq_u32 s0, 29
	s_cbranch_scc0 .LBB118_5411
; %bb.5410:
	global_load_b32 v2, v[4:5], off
	s_mov_b32 s6, 0
	s_mov_b32 s8, -1
	s_branch .LBB118_5412
.LBB118_5411:
	s_mov_b32 s6, -1
                                        ; implicit-def: $vgpr2
.LBB118_5412:
	s_mov_b32 s9, 0
.LBB118_5413:
	s_delay_alu instid0(SALU_CYCLE_1)
	s_and_b32 vcc_lo, exec_lo, s9
	s_cbranch_vccz .LBB118_5429
; %bb.5414:
	s_cmp_lt_i32 s0, 27
	s_cbranch_scc1 .LBB118_5417
; %bb.5415:
	s_cmp_gt_i32 s0, 27
	s_cbranch_scc0 .LBB118_5418
; %bb.5416:
	s_wait_loadcnt 0x0
	global_load_b32 v2, v[4:5], off
	s_mov_b32 s8, 0
	s_branch .LBB118_5419
.LBB118_5417:
	s_mov_b32 s8, -1
                                        ; implicit-def: $vgpr2
	s_branch .LBB118_5422
.LBB118_5418:
	s_mov_b32 s8, -1
                                        ; implicit-def: $vgpr2
.LBB118_5419:
	s_delay_alu instid0(SALU_CYCLE_1)
	s_and_not1_b32 vcc_lo, exec_lo, s8
	s_cbranch_vccnz .LBB118_5421
; %bb.5420:
	s_wait_loadcnt 0x0
	global_load_u16 v2, v[4:5], off
.LBB118_5421:
	s_mov_b32 s8, 0
.LBB118_5422:
	s_delay_alu instid0(SALU_CYCLE_1)
	s_and_not1_b32 vcc_lo, exec_lo, s8
	s_cbranch_vccnz .LBB118_5428
; %bb.5423:
	global_load_u8 v1, v[4:5], off
	s_mov_b32 s9, 0
	s_mov_b32 s8, exec_lo
	s_wait_loadcnt 0x0
	v_cmpx_lt_i16_e32 0x7f, v1
	s_xor_b32 s8, exec_lo, s8
	s_cbranch_execz .LBB118_5440
; %bb.5424:
	v_cmp_ne_u16_e32 vcc_lo, 0x80, v1
	s_and_b32 s9, vcc_lo, exec_lo
	s_and_not1_saveexec_b32 s8, s8
	s_cbranch_execnz .LBB118_5441
.LBB118_5425:
	s_or_b32 exec_lo, exec_lo, s8
	v_mov_b32_e32 v2, 0
	s_and_saveexec_b32 s8, s9
	s_cbranch_execz .LBB118_5427
.LBB118_5426:
	v_and_b32_e32 v2, 0xffff, v1
	s_delay_alu instid0(VALU_DEP_1) | instskip(SKIP_1) | instid1(VALU_DEP_2)
	v_dual_lshlrev_b32 v1, 24, v1 :: v_dual_bitop2_b32 v3, 7, v2 bitop3:0x40
	v_bfe_u32 v11, v2, 3, 4
	v_and_b32_e32 v1, 0x80000000, v1
	s_delay_alu instid0(VALU_DEP_3) | instskip(NEXT) | instid1(VALU_DEP_3)
	v_clz_i32_u32_e32 v6, v3
	v_cmp_eq_u32_e32 vcc_lo, 0, v11
	s_delay_alu instid0(VALU_DEP_2) | instskip(NEXT) | instid1(VALU_DEP_1)
	v_min_u32_e32 v6, 32, v6
	v_subrev_nc_u32_e32 v10, 28, v6
	v_sub_nc_u32_e32 v6, 29, v6
	s_delay_alu instid0(VALU_DEP_2) | instskip(NEXT) | instid1(VALU_DEP_2)
	v_lshlrev_b32_e32 v2, v10, v2
	v_cndmask_b32_e32 v6, v11, v6, vcc_lo
	s_delay_alu instid0(VALU_DEP_2) | instskip(NEXT) | instid1(VALU_DEP_1)
	v_and_b32_e32 v2, 7, v2
	v_cndmask_b32_e32 v2, v3, v2, vcc_lo
	s_delay_alu instid0(VALU_DEP_3) | instskip(NEXT) | instid1(VALU_DEP_2)
	v_lshl_add_u32 v3, v6, 23, 0x3b800000
	v_lshlrev_b32_e32 v2, 20, v2
	s_delay_alu instid0(VALU_DEP_1) | instskip(NEXT) | instid1(VALU_DEP_1)
	v_or3_b32 v1, v1, v3, v2
	v_cvt_i32_f32_e32 v2, v1
.LBB118_5427:
	s_or_b32 exec_lo, exec_lo, s8
.LBB118_5428:
	s_mov_b32 s8, -1
.LBB118_5429:
	s_mov_b32 s9, 0
.LBB118_5430:
	s_delay_alu instid0(SALU_CYCLE_1)
	s_and_b32 vcc_lo, exec_lo, s9
	s_cbranch_vccz .LBB118_5461
; %bb.5431:
	s_cmp_gt_i32 s0, 22
	s_cbranch_scc0 .LBB118_5439
; %bb.5432:
	s_cmp_lt_i32 s0, 24
	s_cbranch_scc1 .LBB118_5442
; %bb.5433:
	s_cmp_gt_i32 s0, 24
	s_cbranch_scc0 .LBB118_5443
; %bb.5434:
	global_load_u8 v1, v[4:5], off
	s_mov_b32 s8, 0
	s_mov_b32 s7, exec_lo
	s_wait_loadcnt 0x0
	v_cmpx_lt_i16_e32 0x7f, v1
	s_xor_b32 s7, exec_lo, s7
	s_cbranch_execz .LBB118_5455
; %bb.5435:
	v_cmp_ne_u16_e32 vcc_lo, 0x80, v1
	s_and_b32 s8, vcc_lo, exec_lo
	s_and_not1_saveexec_b32 s7, s7
	s_cbranch_execnz .LBB118_5456
.LBB118_5436:
	s_or_b32 exec_lo, exec_lo, s7
	v_mov_b32_e32 v2, 0
	s_and_saveexec_b32 s7, s8
	s_cbranch_execz .LBB118_5438
.LBB118_5437:
	v_and_b32_e32 v2, 0xffff, v1
	s_delay_alu instid0(VALU_DEP_1) | instskip(SKIP_1) | instid1(VALU_DEP_2)
	v_dual_lshlrev_b32 v1, 24, v1 :: v_dual_bitop2_b32 v3, 3, v2 bitop3:0x40
	v_bfe_u32 v11, v2, 2, 5
	v_and_b32_e32 v1, 0x80000000, v1
	s_delay_alu instid0(VALU_DEP_3) | instskip(NEXT) | instid1(VALU_DEP_3)
	v_clz_i32_u32_e32 v6, v3
	v_cmp_eq_u32_e32 vcc_lo, 0, v11
	s_delay_alu instid0(VALU_DEP_2) | instskip(NEXT) | instid1(VALU_DEP_1)
	v_min_u32_e32 v6, 32, v6
	v_subrev_nc_u32_e32 v10, 29, v6
	v_sub_nc_u32_e32 v6, 30, v6
	s_delay_alu instid0(VALU_DEP_2) | instskip(NEXT) | instid1(VALU_DEP_2)
	v_lshlrev_b32_e32 v2, v10, v2
	v_cndmask_b32_e32 v6, v11, v6, vcc_lo
	s_delay_alu instid0(VALU_DEP_2) | instskip(NEXT) | instid1(VALU_DEP_1)
	v_and_b32_e32 v2, 3, v2
	v_cndmask_b32_e32 v2, v3, v2, vcc_lo
	s_delay_alu instid0(VALU_DEP_3) | instskip(NEXT) | instid1(VALU_DEP_2)
	v_lshl_add_u32 v3, v6, 23, 0x37800000
	v_lshlrev_b32_e32 v2, 21, v2
	s_delay_alu instid0(VALU_DEP_1) | instskip(NEXT) | instid1(VALU_DEP_1)
	v_or3_b32 v1, v1, v3, v2
	v_cvt_i32_f32_e32 v2, v1
.LBB118_5438:
	s_or_b32 exec_lo, exec_lo, s7
	s_mov_b32 s7, 0
	s_branch .LBB118_5444
.LBB118_5439:
	s_mov_b32 s7, -1
                                        ; implicit-def: $vgpr2
	s_branch .LBB118_5450
.LBB118_5440:
	s_and_not1_saveexec_b32 s8, s8
	s_cbranch_execz .LBB118_5425
.LBB118_5441:
	v_cmp_ne_u16_e32 vcc_lo, 0, v1
	s_and_not1_b32 s9, s9, exec_lo
	s_and_b32 s10, vcc_lo, exec_lo
	s_delay_alu instid0(SALU_CYCLE_1)
	s_or_b32 s9, s9, s10
	s_or_b32 exec_lo, exec_lo, s8
	v_mov_b32_e32 v2, 0
	s_and_saveexec_b32 s8, s9
	s_cbranch_execnz .LBB118_5426
	s_branch .LBB118_5427
.LBB118_5442:
	s_mov_b32 s7, -1
                                        ; implicit-def: $vgpr2
	s_branch .LBB118_5447
.LBB118_5443:
	s_mov_b32 s7, -1
                                        ; implicit-def: $vgpr2
.LBB118_5444:
	s_delay_alu instid0(SALU_CYCLE_1)
	s_and_b32 vcc_lo, exec_lo, s7
	s_cbranch_vccz .LBB118_5446
; %bb.5445:
	global_load_u8 v1, v[4:5], off
	s_wait_loadcnt 0x0
	v_lshlrev_b32_e32 v1, 24, v1
	s_delay_alu instid0(VALU_DEP_1) | instskip(NEXT) | instid1(VALU_DEP_1)
	v_and_b32_e32 v2, 0x7f000000, v1
	v_clz_i32_u32_e32 v3, v2
	v_add_nc_u32_e32 v10, 0x1000000, v2
	v_cmp_ne_u32_e32 vcc_lo, 0, v2
	s_delay_alu instid0(VALU_DEP_3) | instskip(NEXT) | instid1(VALU_DEP_1)
	v_min_u32_e32 v3, 32, v3
	v_sub_nc_u32_e64 v3, v3, 4 clamp
	s_delay_alu instid0(VALU_DEP_1) | instskip(NEXT) | instid1(VALU_DEP_1)
	v_dual_lshlrev_b32 v6, v3, v2 :: v_dual_lshlrev_b32 v3, 23, v3
	v_lshrrev_b32_e32 v6, 4, v6
	s_delay_alu instid0(VALU_DEP_1) | instskip(NEXT) | instid1(VALU_DEP_1)
	v_dual_sub_nc_u32 v3, v6, v3 :: v_dual_ashrrev_i32 v6, 8, v10
	v_add_nc_u32_e32 v3, 0x3c000000, v3
	s_delay_alu instid0(VALU_DEP_1) | instskip(NEXT) | instid1(VALU_DEP_1)
	v_and_or_b32 v3, 0x7f800000, v6, v3
	v_cndmask_b32_e32 v2, 0, v3, vcc_lo
	s_delay_alu instid0(VALU_DEP_1) | instskip(NEXT) | instid1(VALU_DEP_1)
	v_and_or_b32 v1, 0x80000000, v1, v2
	v_cvt_i32_f32_e32 v2, v1
.LBB118_5446:
	s_mov_b32 s7, 0
.LBB118_5447:
	s_delay_alu instid0(SALU_CYCLE_1)
	s_and_not1_b32 vcc_lo, exec_lo, s7
	s_cbranch_vccnz .LBB118_5449
; %bb.5448:
	global_load_u8 v1, v[4:5], off
	s_wait_loadcnt 0x0
	v_lshlrev_b32_e32 v2, 25, v1
	v_lshlrev_b16 v1, 8, v1
	s_delay_alu instid0(VALU_DEP_1) | instskip(SKIP_1) | instid1(VALU_DEP_2)
	v_and_or_b32 v6, 0x7f00, v1, 0.5
	v_bfe_i32 v1, v1, 0, 16
	v_add_f32_e32 v6, -0.5, v6
	v_lshrrev_b32_e32 v3, 4, v2
	v_cmp_gt_u32_e32 vcc_lo, 0x8000000, v2
	s_delay_alu instid0(VALU_DEP_2) | instskip(NEXT) | instid1(VALU_DEP_1)
	v_or_b32_e32 v3, 0x70000000, v3
	v_mul_f32_e32 v3, 0x7800000, v3
	s_delay_alu instid0(VALU_DEP_1) | instskip(NEXT) | instid1(VALU_DEP_1)
	v_cndmask_b32_e32 v2, v3, v6, vcc_lo
	v_and_or_b32 v1, 0x80000000, v1, v2
	s_delay_alu instid0(VALU_DEP_1)
	v_cvt_i32_f32_e32 v2, v1
.LBB118_5449:
	s_mov_b32 s7, 0
	s_mov_b32 s8, -1
.LBB118_5450:
	s_and_not1_b32 vcc_lo, exec_lo, s7
	s_mov_b32 s7, 0
	s_cbranch_vccnz .LBB118_5461
; %bb.5451:
	s_cmp_gt_i32 s0, 14
	s_cbranch_scc0 .LBB118_5454
; %bb.5452:
	s_cmp_eq_u32 s0, 15
	s_cbranch_scc0 .LBB118_5457
; %bb.5453:
	global_load_u16 v1, v[4:5], off
	s_mov_b32 s6, 0
	s_mov_b32 s8, -1
	s_wait_loadcnt 0x0
	v_lshlrev_b32_e32 v1, 16, v1
	s_delay_alu instid0(VALU_DEP_1)
	v_cvt_i32_f32_e32 v2, v1
	s_branch .LBB118_5459
.LBB118_5454:
	s_mov_b32 s7, -1
	s_branch .LBB118_5458
.LBB118_5455:
	s_and_not1_saveexec_b32 s7, s7
	s_cbranch_execz .LBB118_5436
.LBB118_5456:
	v_cmp_ne_u16_e32 vcc_lo, 0, v1
	s_and_not1_b32 s8, s8, exec_lo
	s_and_b32 s9, vcc_lo, exec_lo
	s_delay_alu instid0(SALU_CYCLE_1)
	s_or_b32 s8, s8, s9
	s_or_b32 exec_lo, exec_lo, s7
	v_mov_b32_e32 v2, 0
	s_and_saveexec_b32 s7, s8
	s_cbranch_execnz .LBB118_5437
	s_branch .LBB118_5438
.LBB118_5457:
	s_mov_b32 s6, -1
.LBB118_5458:
                                        ; implicit-def: $vgpr2
.LBB118_5459:
	s_and_b32 vcc_lo, exec_lo, s7
	s_mov_b32 s7, 0
	s_cbranch_vccz .LBB118_5461
; %bb.5460:
	s_cmp_lg_u32 s0, 11
	s_mov_b32 s7, -1
	s_cselect_b32 s6, -1, 0
.LBB118_5461:
	s_delay_alu instid0(SALU_CYCLE_1)
	s_and_b32 vcc_lo, exec_lo, s6
	s_cbranch_vccnz .LBB118_5526
; %bb.5462:
	s_and_not1_b32 vcc_lo, exec_lo, s7
	s_cbranch_vccnz .LBB118_5464
.LBB118_5463:
	global_load_u8 v1, v[4:5], off
	s_mov_b32 s8, -1
	s_wait_loadcnt 0x0
	v_cmp_ne_u16_e32 vcc_lo, 0, v1
	v_cndmask_b32_e64 v2, 0, 1, vcc_lo
.LBB118_5464:
	s_mov_b32 s0, 0
.LBB118_5465:
	s_delay_alu instid0(SALU_CYCLE_1)
	s_and_b32 vcc_lo, exec_lo, s0
	s_cbranch_vccz .LBB118_5514
; %bb.5466:
	s_and_b32 s0, 0xffff, s58
	s_delay_alu instid0(SALU_CYCLE_1)
	s_cmp_lt_i32 s0, 5
	s_cbranch_scc1 .LBB118_5471
; %bb.5467:
	s_cmp_lt_i32 s0, 8
	s_cbranch_scc1 .LBB118_5472
; %bb.5468:
	;; [unrolled: 3-line block ×3, first 2 shown]
	s_cmp_gt_i32 s0, 9
	s_cbranch_scc0 .LBB118_5474
; %bb.5470:
	s_wait_loadcnt 0x0
	global_load_b64 v[2:3], v[4:5], off
	s_mov_b32 s6, 0
	s_wait_loadcnt 0x0
	v_cvt_i32_f64_e32 v2, v[2:3]
	s_branch .LBB118_5475
.LBB118_5471:
	s_mov_b32 s6, -1
                                        ; implicit-def: $vgpr2
	s_branch .LBB118_5493
.LBB118_5472:
	s_mov_b32 s6, -1
                                        ; implicit-def: $vgpr2
	s_branch .LBB118_5481
.LBB118_5473:
	s_mov_b32 s6, -1
                                        ; implicit-def: $vgpr2
	s_branch .LBB118_5478
.LBB118_5474:
	s_mov_b32 s6, -1
                                        ; implicit-def: $vgpr2
.LBB118_5475:
	s_delay_alu instid0(SALU_CYCLE_1)
	s_and_not1_b32 vcc_lo, exec_lo, s6
	s_cbranch_vccnz .LBB118_5477
; %bb.5476:
	global_load_b32 v1, v[4:5], off
	s_wait_loadcnt 0x0
	v_cvt_i32_f32_e32 v2, v1
.LBB118_5477:
	s_mov_b32 s6, 0
.LBB118_5478:
	s_delay_alu instid0(SALU_CYCLE_1)
	s_and_not1_b32 vcc_lo, exec_lo, s6
	s_cbranch_vccnz .LBB118_5480
; %bb.5479:
	global_load_b32 v1, v[4:5], off
	s_wait_loadcnt 0x0
	v_cvt_f32_f16_e32 v1, v1
	s_delay_alu instid0(VALU_DEP_1)
	v_cvt_i32_f32_e32 v2, v1
.LBB118_5480:
	s_mov_b32 s6, 0
.LBB118_5481:
	s_delay_alu instid0(SALU_CYCLE_1)
	s_and_not1_b32 vcc_lo, exec_lo, s6
	s_cbranch_vccnz .LBB118_5492
; %bb.5482:
	s_cmp_lt_i32 s0, 6
	s_cbranch_scc1 .LBB118_5485
; %bb.5483:
	s_cmp_gt_i32 s0, 6
	s_cbranch_scc0 .LBB118_5486
; %bb.5484:
	s_wait_loadcnt 0x0
	global_load_b64 v[2:3], v[4:5], off
	s_mov_b32 s6, 0
	s_wait_loadcnt 0x0
	v_cvt_i32_f64_e32 v2, v[2:3]
	s_branch .LBB118_5487
.LBB118_5485:
	s_mov_b32 s6, -1
                                        ; implicit-def: $vgpr2
	s_branch .LBB118_5490
.LBB118_5486:
	s_mov_b32 s6, -1
                                        ; implicit-def: $vgpr2
.LBB118_5487:
	s_delay_alu instid0(SALU_CYCLE_1)
	s_and_not1_b32 vcc_lo, exec_lo, s6
	s_cbranch_vccnz .LBB118_5489
; %bb.5488:
	global_load_b32 v1, v[4:5], off
	s_wait_loadcnt 0x0
	v_cvt_i32_f32_e32 v2, v1
.LBB118_5489:
	s_mov_b32 s6, 0
.LBB118_5490:
	s_delay_alu instid0(SALU_CYCLE_1)
	s_and_not1_b32 vcc_lo, exec_lo, s6
	s_cbranch_vccnz .LBB118_5492
; %bb.5491:
	global_load_u16 v1, v[4:5], off
	s_wait_loadcnt 0x0
	v_cvt_f32_f16_e32 v1, v1
	s_delay_alu instid0(VALU_DEP_1)
	v_cvt_i32_f32_e32 v2, v1
.LBB118_5492:
	s_mov_b32 s6, 0
.LBB118_5493:
	s_delay_alu instid0(SALU_CYCLE_1)
	s_and_not1_b32 vcc_lo, exec_lo, s6
	s_cbranch_vccnz .LBB118_5513
; %bb.5494:
	s_cmp_lt_i32 s0, 2
	s_cbranch_scc1 .LBB118_5498
; %bb.5495:
	s_cmp_lt_i32 s0, 3
	s_cbranch_scc1 .LBB118_5499
; %bb.5496:
	s_cmp_gt_i32 s0, 3
	s_cbranch_scc0 .LBB118_5500
; %bb.5497:
	s_wait_loadcnt 0x0
	global_load_b32 v2, v[4:5], off
	s_mov_b32 s6, 0
	s_branch .LBB118_5501
.LBB118_5498:
	s_mov_b32 s6, -1
                                        ; implicit-def: $vgpr2
	s_branch .LBB118_5507
.LBB118_5499:
	s_mov_b32 s6, -1
                                        ; implicit-def: $vgpr2
	s_branch .LBB118_5504
.LBB118_5500:
	s_mov_b32 s6, -1
                                        ; implicit-def: $vgpr2
.LBB118_5501:
	s_delay_alu instid0(SALU_CYCLE_1)
	s_and_not1_b32 vcc_lo, exec_lo, s6
	s_cbranch_vccnz .LBB118_5503
; %bb.5502:
	s_wait_loadcnt 0x0
	global_load_b32 v2, v[4:5], off
.LBB118_5503:
	s_mov_b32 s6, 0
.LBB118_5504:
	s_delay_alu instid0(SALU_CYCLE_1)
	s_and_not1_b32 vcc_lo, exec_lo, s6
	s_cbranch_vccnz .LBB118_5506
; %bb.5505:
	s_wait_loadcnt 0x0
	global_load_i16 v2, v[4:5], off
.LBB118_5506:
	s_mov_b32 s6, 0
.LBB118_5507:
	s_delay_alu instid0(SALU_CYCLE_1)
	s_and_not1_b32 vcc_lo, exec_lo, s6
	s_cbranch_vccnz .LBB118_5513
; %bb.5508:
	s_cmp_gt_i32 s0, 0
	s_mov_b32 s0, 0
	s_cbranch_scc0 .LBB118_5510
; %bb.5509:
	s_wait_loadcnt 0x0
	global_load_i8 v2, v[4:5], off
	s_branch .LBB118_5511
.LBB118_5510:
	s_mov_b32 s0, -1
                                        ; implicit-def: $vgpr2
.LBB118_5511:
	s_delay_alu instid0(SALU_CYCLE_1)
	s_and_not1_b32 vcc_lo, exec_lo, s0
	s_cbranch_vccnz .LBB118_5513
; %bb.5512:
	s_wait_loadcnt 0x0
	global_load_u8 v2, v[4:5], off
.LBB118_5513:
	s_mov_b32 s8, -1
.LBB118_5514:
	s_delay_alu instid0(SALU_CYCLE_1)
	s_and_not1_b32 vcc_lo, exec_lo, s8
	s_cbranch_vccnz .LBB118_5650
; %bb.5515:
	s_wait_xcnt 0x0
	v_add_nc_u32_e32 v4, s71, v8
	s_cmp_lt_i32 s59, 11
	s_delay_alu instid0(VALU_DEP_1) | instskip(NEXT) | instid1(VALU_DEP_1)
	v_ashrrev_i32_e32 v5, 31, v4
	v_add_nc_u64_e32 v[4:5], s[14:15], v[4:5]
	s_cbranch_scc1 .LBB118_5522
; %bb.5516:
	s_and_b32 s0, 0xffff, s59
	s_mov_b32 s7, 0
	s_cmp_gt_i32 s0, 25
	s_cbranch_scc0 .LBB118_5523
; %bb.5517:
	s_cmp_gt_i32 s0, 28
	s_cbranch_scc0 .LBB118_5524
; %bb.5518:
	;; [unrolled: 3-line block ×4, first 2 shown]
	s_cmp_eq_u32 s0, 46
	s_mov_b32 s9, 0
	s_cbranch_scc0 .LBB118_5528
; %bb.5521:
	global_load_b32 v1, v[4:5], off
	s_mov_b32 s6, 0
	s_mov_b32 s8, -1
	s_wait_loadcnt 0x0
	v_lshlrev_b32_e32 v1, 16, v1
	s_delay_alu instid0(VALU_DEP_1)
	v_cvt_i32_f32_e32 v6, v1
	s_branch .LBB118_5530
.LBB118_5522:
	s_mov_b32 s0, -1
	s_mov_b32 s8, 0
                                        ; implicit-def: $vgpr6
	s_branch .LBB118_5592
.LBB118_5523:
	s_mov_b32 s9, -1
	s_mov_b32 s8, 0
	s_mov_b32 s6, 0
                                        ; implicit-def: $vgpr6
	s_branch .LBB118_5557
.LBB118_5524:
	s_mov_b32 s9, -1
	s_mov_b32 s8, 0
	s_mov_b32 s6, 0
                                        ; implicit-def: $vgpr6
	s_branch .LBB118_5540
.LBB118_5525:
	s_mov_b32 s9, -1
	s_mov_b32 s8, 0
	s_mov_b32 s6, 0
                                        ; implicit-def: $vgpr6
	s_branch .LBB118_5535
.LBB118_5526:
	s_or_b32 s37, s37, exec_lo
	s_trap 2
	s_cbranch_execz .LBB118_5463
	s_branch .LBB118_5464
.LBB118_5527:
	s_mov_b32 s9, -1
	s_mov_b32 s8, 0
	s_mov_b32 s6, 0
	s_branch .LBB118_5529
.LBB118_5528:
	s_mov_b32 s6, -1
	s_mov_b32 s8, 0
.LBB118_5529:
                                        ; implicit-def: $vgpr6
.LBB118_5530:
	s_and_b32 vcc_lo, exec_lo, s9
	s_cbranch_vccz .LBB118_5534
; %bb.5531:
	s_cmp_eq_u32 s0, 44
	s_cbranch_scc0 .LBB118_5533
; %bb.5532:
	global_load_u8 v1, v[4:5], off
	s_mov_b32 s6, 0
	s_mov_b32 s8, -1
	s_wait_loadcnt 0x0
	v_lshlrev_b32_e32 v3, 23, v1
	v_cmp_ne_u32_e32 vcc_lo, 0, v1
	s_delay_alu instid0(VALU_DEP_2) | instskip(NEXT) | instid1(VALU_DEP_1)
	v_cvt_i32_f32_e32 v3, v3
	v_cndmask_b32_e32 v6, 0, v3, vcc_lo
	s_branch .LBB118_5534
.LBB118_5533:
	s_mov_b32 s6, -1
                                        ; implicit-def: $vgpr6
.LBB118_5534:
	s_mov_b32 s9, 0
.LBB118_5535:
	s_delay_alu instid0(SALU_CYCLE_1)
	s_and_b32 vcc_lo, exec_lo, s9
	s_cbranch_vccz .LBB118_5539
; %bb.5536:
	s_cmp_eq_u32 s0, 29
	s_cbranch_scc0 .LBB118_5538
; %bb.5537:
	global_load_b32 v6, v[4:5], off
	s_mov_b32 s6, 0
	s_mov_b32 s8, -1
	s_branch .LBB118_5539
.LBB118_5538:
	s_mov_b32 s6, -1
                                        ; implicit-def: $vgpr6
.LBB118_5539:
	s_mov_b32 s9, 0
.LBB118_5540:
	s_delay_alu instid0(SALU_CYCLE_1)
	s_and_b32 vcc_lo, exec_lo, s9
	s_cbranch_vccz .LBB118_5556
; %bb.5541:
	s_cmp_lt_i32 s0, 27
	s_cbranch_scc1 .LBB118_5544
; %bb.5542:
	s_cmp_gt_i32 s0, 27
	s_cbranch_scc0 .LBB118_5545
; %bb.5543:
	s_wait_loadcnt 0x0
	global_load_b32 v6, v[4:5], off
	s_mov_b32 s8, 0
	s_branch .LBB118_5546
.LBB118_5544:
	s_mov_b32 s8, -1
                                        ; implicit-def: $vgpr6
	s_branch .LBB118_5549
.LBB118_5545:
	s_mov_b32 s8, -1
                                        ; implicit-def: $vgpr6
.LBB118_5546:
	s_delay_alu instid0(SALU_CYCLE_1)
	s_and_not1_b32 vcc_lo, exec_lo, s8
	s_cbranch_vccnz .LBB118_5548
; %bb.5547:
	s_wait_loadcnt 0x0
	global_load_u16 v6, v[4:5], off
.LBB118_5548:
	s_mov_b32 s8, 0
.LBB118_5549:
	s_delay_alu instid0(SALU_CYCLE_1)
	s_and_not1_b32 vcc_lo, exec_lo, s8
	s_cbranch_vccnz .LBB118_5555
; %bb.5550:
	global_load_u8 v1, v[4:5], off
	s_mov_b32 s9, 0
	s_mov_b32 s8, exec_lo
	s_wait_loadcnt 0x0
	v_cmpx_lt_i16_e32 0x7f, v1
	s_xor_b32 s8, exec_lo, s8
	s_cbranch_execz .LBB118_5567
; %bb.5551:
	v_cmp_ne_u16_e32 vcc_lo, 0x80, v1
	s_and_b32 s9, vcc_lo, exec_lo
	s_and_not1_saveexec_b32 s8, s8
	s_cbranch_execnz .LBB118_5568
.LBB118_5552:
	s_or_b32 exec_lo, exec_lo, s8
	v_mov_b32_e32 v6, 0
	s_and_saveexec_b32 s8, s9
	s_cbranch_execz .LBB118_5554
.LBB118_5553:
	v_and_b32_e32 v3, 0xffff, v1
	s_delay_alu instid0(VALU_DEP_1) | instskip(SKIP_1) | instid1(VALU_DEP_2)
	v_and_b32_e32 v6, 7, v3
	v_bfe_u32 v11, v3, 3, 4
	v_clz_i32_u32_e32 v8, v6
	s_delay_alu instid0(VALU_DEP_2) | instskip(NEXT) | instid1(VALU_DEP_2)
	v_cmp_eq_u32_e32 vcc_lo, 0, v11
	v_min_u32_e32 v8, 32, v8
	s_delay_alu instid0(VALU_DEP_1) | instskip(NEXT) | instid1(VALU_DEP_1)
	v_subrev_nc_u32_e32 v10, 28, v8
	v_dual_lshlrev_b32 v3, v10, v3 :: v_dual_sub_nc_u32 v8, 29, v8
	s_delay_alu instid0(VALU_DEP_1) | instskip(NEXT) | instid1(VALU_DEP_1)
	v_dual_lshlrev_b32 v1, 24, v1 :: v_dual_bitop2_b32 v3, 7, v3 bitop3:0x40
	v_dual_cndmask_b32 v8, v11, v8 :: v_dual_cndmask_b32 v3, v6, v3
	s_delay_alu instid0(VALU_DEP_2) | instskip(NEXT) | instid1(VALU_DEP_2)
	v_and_b32_e32 v1, 0x80000000, v1
	v_lshl_add_u32 v6, v8, 23, 0x3b800000
	s_delay_alu instid0(VALU_DEP_3) | instskip(NEXT) | instid1(VALU_DEP_1)
	v_lshlrev_b32_e32 v3, 20, v3
	v_or3_b32 v1, v1, v6, v3
	s_delay_alu instid0(VALU_DEP_1)
	v_cvt_i32_f32_e32 v6, v1
.LBB118_5554:
	s_or_b32 exec_lo, exec_lo, s8
.LBB118_5555:
	s_mov_b32 s8, -1
.LBB118_5556:
	s_mov_b32 s9, 0
.LBB118_5557:
	s_delay_alu instid0(SALU_CYCLE_1)
	s_and_b32 vcc_lo, exec_lo, s9
	s_cbranch_vccz .LBB118_5588
; %bb.5558:
	s_cmp_gt_i32 s0, 22
	s_cbranch_scc0 .LBB118_5566
; %bb.5559:
	s_cmp_lt_i32 s0, 24
	s_cbranch_scc1 .LBB118_5569
; %bb.5560:
	s_cmp_gt_i32 s0, 24
	s_cbranch_scc0 .LBB118_5570
; %bb.5561:
	global_load_u8 v1, v[4:5], off
	s_mov_b32 s8, 0
	s_mov_b32 s7, exec_lo
	s_wait_loadcnt 0x0
	v_cmpx_lt_i16_e32 0x7f, v1
	s_xor_b32 s7, exec_lo, s7
	s_cbranch_execz .LBB118_5582
; %bb.5562:
	v_cmp_ne_u16_e32 vcc_lo, 0x80, v1
	s_and_b32 s8, vcc_lo, exec_lo
	s_and_not1_saveexec_b32 s7, s7
	s_cbranch_execnz .LBB118_5583
.LBB118_5563:
	s_or_b32 exec_lo, exec_lo, s7
	v_mov_b32_e32 v6, 0
	s_and_saveexec_b32 s7, s8
	s_cbranch_execz .LBB118_5565
.LBB118_5564:
	v_and_b32_e32 v3, 0xffff, v1
	s_delay_alu instid0(VALU_DEP_1) | instskip(SKIP_1) | instid1(VALU_DEP_2)
	v_and_b32_e32 v6, 3, v3
	v_bfe_u32 v11, v3, 2, 5
	v_clz_i32_u32_e32 v8, v6
	s_delay_alu instid0(VALU_DEP_2) | instskip(NEXT) | instid1(VALU_DEP_2)
	v_cmp_eq_u32_e32 vcc_lo, 0, v11
	v_min_u32_e32 v8, 32, v8
	s_delay_alu instid0(VALU_DEP_1) | instskip(NEXT) | instid1(VALU_DEP_1)
	v_subrev_nc_u32_e32 v10, 29, v8
	v_dual_lshlrev_b32 v3, v10, v3 :: v_dual_sub_nc_u32 v8, 30, v8
	s_delay_alu instid0(VALU_DEP_1) | instskip(NEXT) | instid1(VALU_DEP_1)
	v_dual_lshlrev_b32 v1, 24, v1 :: v_dual_bitop2_b32 v3, 3, v3 bitop3:0x40
	v_dual_cndmask_b32 v8, v11, v8 :: v_dual_cndmask_b32 v3, v6, v3
	s_delay_alu instid0(VALU_DEP_2) | instskip(NEXT) | instid1(VALU_DEP_2)
	v_and_b32_e32 v1, 0x80000000, v1
	v_lshl_add_u32 v6, v8, 23, 0x37800000
	s_delay_alu instid0(VALU_DEP_3) | instskip(NEXT) | instid1(VALU_DEP_1)
	v_lshlrev_b32_e32 v3, 21, v3
	v_or3_b32 v1, v1, v6, v3
	s_delay_alu instid0(VALU_DEP_1)
	v_cvt_i32_f32_e32 v6, v1
.LBB118_5565:
	s_or_b32 exec_lo, exec_lo, s7
	s_mov_b32 s7, 0
	s_branch .LBB118_5571
.LBB118_5566:
	s_mov_b32 s7, -1
                                        ; implicit-def: $vgpr6
	s_branch .LBB118_5577
.LBB118_5567:
	s_and_not1_saveexec_b32 s8, s8
	s_cbranch_execz .LBB118_5552
.LBB118_5568:
	v_cmp_ne_u16_e32 vcc_lo, 0, v1
	s_and_not1_b32 s9, s9, exec_lo
	s_and_b32 s10, vcc_lo, exec_lo
	s_delay_alu instid0(SALU_CYCLE_1)
	s_or_b32 s9, s9, s10
	s_or_b32 exec_lo, exec_lo, s8
	v_mov_b32_e32 v6, 0
	s_and_saveexec_b32 s8, s9
	s_cbranch_execnz .LBB118_5553
	s_branch .LBB118_5554
.LBB118_5569:
	s_mov_b32 s7, -1
                                        ; implicit-def: $vgpr6
	s_branch .LBB118_5574
.LBB118_5570:
	s_mov_b32 s7, -1
                                        ; implicit-def: $vgpr6
.LBB118_5571:
	s_delay_alu instid0(SALU_CYCLE_1)
	s_and_b32 vcc_lo, exec_lo, s7
	s_cbranch_vccz .LBB118_5573
; %bb.5572:
	global_load_u8 v1, v[4:5], off
	s_wait_loadcnt 0x0
	v_lshlrev_b32_e32 v1, 24, v1
	s_delay_alu instid0(VALU_DEP_1) | instskip(NEXT) | instid1(VALU_DEP_1)
	v_and_b32_e32 v3, 0x7f000000, v1
	v_clz_i32_u32_e32 v6, v3
	v_cmp_ne_u32_e32 vcc_lo, 0, v3
	v_add_nc_u32_e32 v10, 0x1000000, v3
	s_delay_alu instid0(VALU_DEP_3) | instskip(NEXT) | instid1(VALU_DEP_1)
	v_min_u32_e32 v6, 32, v6
	v_sub_nc_u32_e64 v6, v6, 4 clamp
	s_delay_alu instid0(VALU_DEP_1) | instskip(NEXT) | instid1(VALU_DEP_1)
	v_dual_lshlrev_b32 v8, v6, v3 :: v_dual_lshlrev_b32 v6, 23, v6
	v_lshrrev_b32_e32 v8, 4, v8
	s_delay_alu instid0(VALU_DEP_1) | instskip(SKIP_1) | instid1(VALU_DEP_2)
	v_sub_nc_u32_e32 v6, v8, v6
	v_ashrrev_i32_e32 v8, 8, v10
	v_add_nc_u32_e32 v6, 0x3c000000, v6
	s_delay_alu instid0(VALU_DEP_1) | instskip(NEXT) | instid1(VALU_DEP_1)
	v_and_or_b32 v6, 0x7f800000, v8, v6
	v_cndmask_b32_e32 v3, 0, v6, vcc_lo
	s_delay_alu instid0(VALU_DEP_1) | instskip(NEXT) | instid1(VALU_DEP_1)
	v_and_or_b32 v1, 0x80000000, v1, v3
	v_cvt_i32_f32_e32 v6, v1
.LBB118_5573:
	s_mov_b32 s7, 0
.LBB118_5574:
	s_delay_alu instid0(SALU_CYCLE_1)
	s_and_not1_b32 vcc_lo, exec_lo, s7
	s_cbranch_vccnz .LBB118_5576
; %bb.5575:
	global_load_u8 v1, v[4:5], off
	s_wait_loadcnt 0x0
	v_lshlrev_b32_e32 v3, 25, v1
	v_lshlrev_b16 v1, 8, v1
	s_delay_alu instid0(VALU_DEP_1) | instskip(SKIP_1) | instid1(VALU_DEP_2)
	v_and_or_b32 v8, 0x7f00, v1, 0.5
	v_bfe_i32 v1, v1, 0, 16
	v_dual_add_f32 v8, -0.5, v8 :: v_dual_lshrrev_b32 v6, 4, v3
	v_cmp_gt_u32_e32 vcc_lo, 0x8000000, v3
	s_delay_alu instid0(VALU_DEP_2) | instskip(NEXT) | instid1(VALU_DEP_1)
	v_or_b32_e32 v6, 0x70000000, v6
	v_mul_f32_e32 v6, 0x7800000, v6
	s_delay_alu instid0(VALU_DEP_1) | instskip(NEXT) | instid1(VALU_DEP_1)
	v_cndmask_b32_e32 v3, v6, v8, vcc_lo
	v_and_or_b32 v1, 0x80000000, v1, v3
	s_delay_alu instid0(VALU_DEP_1)
	v_cvt_i32_f32_e32 v6, v1
.LBB118_5576:
	s_mov_b32 s7, 0
	s_mov_b32 s8, -1
.LBB118_5577:
	s_and_not1_b32 vcc_lo, exec_lo, s7
	s_mov_b32 s7, 0
	s_cbranch_vccnz .LBB118_5588
; %bb.5578:
	s_cmp_gt_i32 s0, 14
	s_cbranch_scc0 .LBB118_5581
; %bb.5579:
	s_cmp_eq_u32 s0, 15
	s_cbranch_scc0 .LBB118_5584
; %bb.5580:
	global_load_u16 v1, v[4:5], off
	s_mov_b32 s6, 0
	s_mov_b32 s8, -1
	s_wait_loadcnt 0x0
	v_lshlrev_b32_e32 v1, 16, v1
	s_delay_alu instid0(VALU_DEP_1)
	v_cvt_i32_f32_e32 v6, v1
	s_branch .LBB118_5586
.LBB118_5581:
	s_mov_b32 s7, -1
	s_branch .LBB118_5585
.LBB118_5582:
	s_and_not1_saveexec_b32 s7, s7
	s_cbranch_execz .LBB118_5563
.LBB118_5583:
	v_cmp_ne_u16_e32 vcc_lo, 0, v1
	s_and_not1_b32 s8, s8, exec_lo
	s_and_b32 s9, vcc_lo, exec_lo
	s_delay_alu instid0(SALU_CYCLE_1)
	s_or_b32 s8, s8, s9
	s_or_b32 exec_lo, exec_lo, s7
	v_mov_b32_e32 v6, 0
	s_and_saveexec_b32 s7, s8
	s_cbranch_execnz .LBB118_5564
	s_branch .LBB118_5565
.LBB118_5584:
	s_mov_b32 s6, -1
.LBB118_5585:
                                        ; implicit-def: $vgpr6
.LBB118_5586:
	s_and_b32 vcc_lo, exec_lo, s7
	s_mov_b32 s7, 0
	s_cbranch_vccz .LBB118_5588
; %bb.5587:
	s_cmp_lg_u32 s0, 11
	s_mov_b32 s7, -1
	s_cselect_b32 s6, -1, 0
.LBB118_5588:
	s_delay_alu instid0(SALU_CYCLE_1)
	s_and_b32 vcc_lo, exec_lo, s6
	s_cbranch_vccnz .LBB118_5717
; %bb.5589:
	s_and_not1_b32 vcc_lo, exec_lo, s7
	s_cbranch_vccnz .LBB118_5591
.LBB118_5590:
	global_load_u8 v1, v[4:5], off
	s_mov_b32 s8, -1
	s_wait_loadcnt 0x0
	v_cmp_ne_u16_e32 vcc_lo, 0, v1
	v_cndmask_b32_e64 v6, 0, 1, vcc_lo
.LBB118_5591:
	s_mov_b32 s0, 0
.LBB118_5592:
	s_delay_alu instid0(SALU_CYCLE_1)
	s_and_b32 vcc_lo, exec_lo, s0
	s_cbranch_vccz .LBB118_5641
; %bb.5593:
	s_and_b32 s0, 0xffff, s59
	s_delay_alu instid0(SALU_CYCLE_1)
	s_cmp_lt_i32 s0, 5
	s_cbranch_scc1 .LBB118_5598
; %bb.5594:
	s_cmp_lt_i32 s0, 8
	s_cbranch_scc1 .LBB118_5599
; %bb.5595:
	;; [unrolled: 3-line block ×3, first 2 shown]
	s_cmp_gt_i32 s0, 9
	s_cbranch_scc0 .LBB118_5601
; %bb.5597:
	global_load_b64 v[10:11], v[4:5], off
	s_mov_b32 s6, 0
	s_wait_loadcnt 0x0
	v_cvt_i32_f64_e32 v6, v[10:11]
	s_branch .LBB118_5602
.LBB118_5598:
	s_mov_b32 s6, -1
                                        ; implicit-def: $vgpr6
	s_branch .LBB118_5620
.LBB118_5599:
	s_mov_b32 s6, -1
                                        ; implicit-def: $vgpr6
	s_branch .LBB118_5608
.LBB118_5600:
	s_mov_b32 s6, -1
                                        ; implicit-def: $vgpr6
	s_branch .LBB118_5605
.LBB118_5601:
	s_mov_b32 s6, -1
                                        ; implicit-def: $vgpr6
.LBB118_5602:
	s_delay_alu instid0(SALU_CYCLE_1)
	s_and_not1_b32 vcc_lo, exec_lo, s6
	s_cbranch_vccnz .LBB118_5604
; %bb.5603:
	global_load_b32 v1, v[4:5], off
	s_wait_loadcnt 0x0
	v_cvt_i32_f32_e32 v6, v1
.LBB118_5604:
	s_mov_b32 s6, 0
.LBB118_5605:
	s_delay_alu instid0(SALU_CYCLE_1)
	s_and_not1_b32 vcc_lo, exec_lo, s6
	s_cbranch_vccnz .LBB118_5607
; %bb.5606:
	global_load_b32 v1, v[4:5], off
	s_wait_loadcnt 0x0
	v_cvt_f32_f16_e32 v1, v1
	s_delay_alu instid0(VALU_DEP_1)
	v_cvt_i32_f32_e32 v6, v1
.LBB118_5607:
	s_mov_b32 s6, 0
.LBB118_5608:
	s_delay_alu instid0(SALU_CYCLE_1)
	s_and_not1_b32 vcc_lo, exec_lo, s6
	s_cbranch_vccnz .LBB118_5619
; %bb.5609:
	s_cmp_lt_i32 s0, 6
	s_cbranch_scc1 .LBB118_5612
; %bb.5610:
	s_cmp_gt_i32 s0, 6
	s_cbranch_scc0 .LBB118_5613
; %bb.5611:
	global_load_b64 v[10:11], v[4:5], off
	s_mov_b32 s6, 0
	s_wait_loadcnt 0x0
	v_cvt_i32_f64_e32 v6, v[10:11]
	s_branch .LBB118_5614
.LBB118_5612:
	s_mov_b32 s6, -1
                                        ; implicit-def: $vgpr6
	s_branch .LBB118_5617
.LBB118_5613:
	s_mov_b32 s6, -1
                                        ; implicit-def: $vgpr6
.LBB118_5614:
	s_delay_alu instid0(SALU_CYCLE_1)
	s_and_not1_b32 vcc_lo, exec_lo, s6
	s_cbranch_vccnz .LBB118_5616
; %bb.5615:
	global_load_b32 v1, v[4:5], off
	s_wait_loadcnt 0x0
	v_cvt_i32_f32_e32 v6, v1
.LBB118_5616:
	s_mov_b32 s6, 0
.LBB118_5617:
	s_delay_alu instid0(SALU_CYCLE_1)
	s_and_not1_b32 vcc_lo, exec_lo, s6
	s_cbranch_vccnz .LBB118_5619
; %bb.5618:
	global_load_u16 v1, v[4:5], off
	s_wait_loadcnt 0x0
	v_cvt_f32_f16_e32 v1, v1
	s_delay_alu instid0(VALU_DEP_1)
	v_cvt_i32_f32_e32 v6, v1
.LBB118_5619:
	s_mov_b32 s6, 0
.LBB118_5620:
	s_delay_alu instid0(SALU_CYCLE_1)
	s_and_not1_b32 vcc_lo, exec_lo, s6
	s_cbranch_vccnz .LBB118_5640
; %bb.5621:
	s_cmp_lt_i32 s0, 2
	s_cbranch_scc1 .LBB118_5625
; %bb.5622:
	s_cmp_lt_i32 s0, 3
	s_cbranch_scc1 .LBB118_5626
; %bb.5623:
	s_cmp_gt_i32 s0, 3
	s_cbranch_scc0 .LBB118_5627
; %bb.5624:
	s_wait_loadcnt 0x0
	global_load_b32 v6, v[4:5], off
	s_mov_b32 s6, 0
	s_branch .LBB118_5628
.LBB118_5625:
	s_mov_b32 s6, -1
                                        ; implicit-def: $vgpr6
	s_branch .LBB118_5634
.LBB118_5626:
	s_mov_b32 s6, -1
                                        ; implicit-def: $vgpr6
	s_branch .LBB118_5631
.LBB118_5627:
	s_mov_b32 s6, -1
                                        ; implicit-def: $vgpr6
.LBB118_5628:
	s_delay_alu instid0(SALU_CYCLE_1)
	s_and_not1_b32 vcc_lo, exec_lo, s6
	s_cbranch_vccnz .LBB118_5630
; %bb.5629:
	s_wait_loadcnt 0x0
	global_load_b32 v6, v[4:5], off
.LBB118_5630:
	s_mov_b32 s6, 0
.LBB118_5631:
	s_delay_alu instid0(SALU_CYCLE_1)
	s_and_not1_b32 vcc_lo, exec_lo, s6
	s_cbranch_vccnz .LBB118_5633
; %bb.5632:
	s_wait_loadcnt 0x0
	global_load_i16 v6, v[4:5], off
.LBB118_5633:
	s_mov_b32 s6, 0
.LBB118_5634:
	s_delay_alu instid0(SALU_CYCLE_1)
	s_and_not1_b32 vcc_lo, exec_lo, s6
	s_cbranch_vccnz .LBB118_5640
; %bb.5635:
	s_cmp_gt_i32 s0, 0
	s_mov_b32 s0, 0
	s_cbranch_scc0 .LBB118_5637
; %bb.5636:
	s_wait_loadcnt 0x0
	global_load_i8 v6, v[4:5], off
	s_branch .LBB118_5638
.LBB118_5637:
	s_mov_b32 s0, -1
                                        ; implicit-def: $vgpr6
.LBB118_5638:
	s_delay_alu instid0(SALU_CYCLE_1)
	s_and_not1_b32 vcc_lo, exec_lo, s0
	s_cbranch_vccnz .LBB118_5640
; %bb.5639:
	s_wait_loadcnt 0x0
	global_load_u8 v6, v[4:5], off
.LBB118_5640:
	s_mov_b32 s8, -1
.LBB118_5641:
	s_delay_alu instid0(SALU_CYCLE_1)
	s_and_not1_b32 vcc_lo, exec_lo, s8
	s_cbranch_vccnz .LBB118_5650
; %bb.5642:
	s_mov_b32 s0, exec_lo
	s_wait_loadcnt 0x0
	v_cmpx_ne_u32_e64 s38, v7
	s_xor_b32 s0, exec_lo, s0
	s_cbranch_execnz .LBB118_5993
.LBB118_5643:
	s_or_saveexec_b32 s40, s0
	s_mov_b32 s6, 0
	s_mov_b32 s7, 0
                                        ; implicit-def: $sgpr0
                                        ; implicit-def: $vgpr14_vgpr15
	s_xor_b32 exec_lo, exec_lo, s40
	s_cbranch_execz .LBB118_5988
; %bb.5644:
	s_mov_b32 s41, s37
	s_mov_b32 s0, exec_lo
	v_cmpx_ne_u32_e64 s22, v9
	s_xor_b32 s0, exec_lo, s0
	s_cbranch_execnz .LBB118_5995
; %bb.5645:
	s_or_saveexec_b32 s42, s0
                                        ; implicit-def: $sgpr0
                                        ; implicit-def: $vgpr14_vgpr15
	s_delay_alu instid0(SALU_CYCLE_1)
	s_xor_b32 exec_lo, exec_lo, s42
	s_cbranch_execz .LBB118_5987
.LBB118_5646:
	v_sub_nc_u32_e32 v1, v2, v0
	s_delay_alu instid0(VALU_DEP_1) | instskip(SKIP_3) | instid1(SALU_CYCLE_1)
	v_cmp_gt_i32_e32 vcc_lo, s38, v1
	v_cmp_lt_i32_e64 s0, s20, v1
	s_mov_b32 s20, s41
	s_or_b32 s0, vcc_lo, s0
	s_and_saveexec_b32 s6, s0
	s_delay_alu instid0(SALU_CYCLE_1)
	s_xor_b32 s0, exec_lo, s6
	s_cbranch_execnz .LBB118_5997
; %bb.5647:
	s_or_saveexec_b32 s38, s0
	s_mov_b32 s6, 0
                                        ; implicit-def: $sgpr0
                                        ; implicit-def: $vgpr14_vgpr15
	s_xor_b32 exec_lo, exec_lo, s38
	s_cbranch_execz .LBB118_5986
.LBB118_5648:
	v_cmp_ne_u32_e32 vcc_lo, 1, v23
	v_mov_b64_e32 v[4:5], 0
	s_cbranch_vccnz .LBB118_5661
; %bb.5649:
	v_ashrrev_i32_e32 v7, 31, v6
	v_mov_b64_e32 v[4:5], 0
	s_mov_b32 s35, 0
	s_mov_b64 s[6:7], 0xffffffff
	s_lshl_b64 s[10:11], s[34:35], 3
	v_mul_u64_e32 v[8:9], s[22:23], v[6:7]
	v_mov_b32_e32 v6, 0
	s_add_nc_u64 s[8:9], s[26:27], s[10:11]
	s_add_nc_u64 s[10:11], s[28:29], s[10:11]
	s_branch .LBB118_5657
.LBB118_5650:
	s_mov_b32 s6, 0
	s_mov_b32 s7, 0
                                        ; implicit-def: $sgpr0
                                        ; implicit-def: $vgpr14_vgpr15
.LBB118_5651:
	s_and_not1_b32 s1, s1, exec_lo
	s_and_b32 s2, s37, exec_lo
	s_and_b32 s19, s7, exec_lo
	;; [unrolled: 1-line block ×3, first 2 shown]
	s_or_b32 s1, s1, s2
.LBB118_5652:
	s_wait_xcnt 0x0
	s_or_b32 exec_lo, exec_lo, s36
	s_delay_alu instid0(SALU_CYCLE_1)
	s_and_not1_b32 s2, s75, exec_lo
	s_and_b32 s4, s1, exec_lo
	s_and_b32 s19, s19, exec_lo
	;; [unrolled: 1-line block ×3, first 2 shown]
	s_or_b32 s75, s2, s4
.LBB118_5653:
	s_or_b32 exec_lo, exec_lo, s76
	s_delay_alu instid0(SALU_CYCLE_1)
	s_and_not1_b32 s2, s73, exec_lo
	s_and_b32 s4, s75, exec_lo
	s_and_b32 s18, s19, exec_lo
	;; [unrolled: 1-line block ×3, first 2 shown]
	s_or_b32 s73, s2, s4
.LBB118_5654:
	s_or_b32 exec_lo, exec_lo, s74
	s_delay_alu instid0(SALU_CYCLE_1)
	s_and_not1_b32 s2, s66, exec_lo
	s_and_b32 s4, s73, exec_lo
	s_and_b32 s18, s18, exec_lo
	;; [unrolled: 1-line block ×3, first 2 shown]
	s_or_b32 s66, s2, s4
.LBB118_5655:
	s_or_b32 exec_lo, exec_lo, s72
	s_branch .LBB118_4985
.LBB118_5656:                           ;   in Loop: Header=BB118_5657 Depth=1
	s_or_b32 exec_lo, exec_lo, s0
	global_load_b64 v[12:13], v6, s[10:11]
	v_mul_u64_e32 v[14:15], s[12:13], v[10:11]
	s_add_co_i32 s24, s24, -1
	s_add_nc_u64 s[8:9], s[8:9], -8
	s_cmp_eq_u32 s24, 0
	s_wait_xcnt 0x0
	s_add_nc_u64 s[10:11], s[10:11], -8
	s_delay_alu instid0(VALU_DEP_1) | instskip(SKIP_1) | instid1(VALU_DEP_1)
	v_sub_nc_u64_e32 v[8:9], v[8:9], v[14:15]
	s_wait_loadcnt 0x0
	v_mad_nc_u64_u32 v[4:5], v8, v12, v[4:5]
	s_delay_alu instid0(VALU_DEP_1) | instskip(NEXT) | instid1(VALU_DEP_1)
	v_mad_u32 v1, v9, v12, v5
	v_mad_u32 v5, v8, v13, v1
	v_mov_b64_e32 v[8:9], v[10:11]
	s_cbranch_scc1 .LBB118_5661
.LBB118_5657:                           ; =>This Inner Loop Header: Depth=1
	global_load_b64 v[10:11], v6, s[8:9]
	s_mov_b32 s0, exec_lo
	s_wait_loadcnt 0x0
	v_or_b32_e32 v7, v9, v11
	v_readfirstlane_b32 s12, v10
	v_readfirstlane_b32 s13, v11
                                        ; implicit-def: $vgpr10_vgpr11
	s_wait_xcnt 0x0
	s_delay_alu instid0(VALU_DEP_3)
	v_cmpx_ne_u64_e32 0, v[6:7]
	s_xor_b32 s22, exec_lo, s0
	s_cbranch_execz .LBB118_5659
; %bb.5658:                             ;   in Loop: Header=BB118_5657 Depth=1
	s_ashr_i32 s14, s13, 31
	v_dual_mov_b32 v15, v6 :: v_dual_ashrrev_i32 v10, 31, v9
	s_mov_b32 s15, s14
	v_mov_b32_e32 v25, v6
	s_add_nc_u64 s[18:19], s[12:13], s[14:15]
	s_delay_alu instid0(VALU_DEP_2) | instskip(SKIP_1) | instid1(SALU_CYCLE_1)
	v_mov_b32_e32 v11, v10
	s_xor_b64 s[18:19], s[18:19], s[14:15]
	s_cvt_f32_u32 s0, s18
	s_cvt_f32_u32 s15, s19
	s_sub_nc_u64 s[28:29], 0, s[18:19]
	v_add_nc_u64_e32 v[12:13], v[8:9], v[10:11]
	v_mov_b32_e32 v19, v6
	s_fmamk_f32 s0, s15, 0x4f800000, s0
	s_delay_alu instid0(SALU_CYCLE_3) | instskip(NEXT) | instid1(VALU_DEP_2)
	v_s_rcp_f32 s0, s0
	v_xor_b32_e32 v14, v12, v10
	s_delay_alu instid0(VALU_DEP_3) | instskip(NEXT) | instid1(TRANS32_DEP_1)
	v_xor_b32_e32 v18, v13, v10
	s_mul_f32 s0, s0, 0x5f7ffffc
	s_delay_alu instid0(SALU_CYCLE_3) | instskip(NEXT) | instid1(SALU_CYCLE_3)
	s_mul_f32 s15, s0, 0x2f800000
	s_trunc_f32 s15, s15
	s_delay_alu instid0(SALU_CYCLE_3) | instskip(SKIP_1) | instid1(SALU_CYCLE_2)
	s_fmamk_f32 s0, s15, 0xcf800000, s0
	s_cvt_u32_f32 s27, s15
	s_cvt_u32_f32 s26, s0
	s_delay_alu instid0(SALU_CYCLE_3) | instskip(NEXT) | instid1(SALU_CYCLE_1)
	s_mul_u64 s[44:45], s[28:29], s[26:27]
	s_mul_hi_u32 s47, s26, s45
	s_mul_i32 s46, s26, s45
	s_mul_hi_u32 s34, s26, s44
	s_mul_i32 s15, s27, s44
	s_add_nc_u64 s[46:47], s[34:35], s[46:47]
	s_mul_hi_u32 s0, s27, s44
	s_mul_hi_u32 s23, s27, s45
	s_add_co_u32 s15, s46, s15
	s_add_co_ci_u32 s34, s47, s0
	s_mul_i32 s44, s27, s45
	s_add_co_ci_u32 s45, s23, 0
	s_delay_alu instid0(SALU_CYCLE_1) | instskip(NEXT) | instid1(SALU_CYCLE_1)
	s_add_nc_u64 s[44:45], s[34:35], s[44:45]
	s_add_co_u32 s26, s26, s44
	s_cselect_b32 s0, -1, 0
	s_delay_alu instid0(SALU_CYCLE_1) | instskip(SKIP_1) | instid1(SALU_CYCLE_1)
	s_cmp_lg_u32 s0, 0
	s_add_co_ci_u32 s27, s27, s45
	s_mul_u64 s[28:29], s[28:29], s[26:27]
	s_delay_alu instid0(SALU_CYCLE_1)
	s_mul_hi_u32 s45, s26, s29
	s_mul_i32 s44, s26, s29
	s_mul_hi_u32 s34, s26, s28
	s_mul_i32 s15, s27, s28
	s_add_nc_u64 s[44:45], s[34:35], s[44:45]
	s_mul_hi_u32 s0, s27, s28
	s_mul_hi_u32 s23, s27, s29
	s_add_co_u32 s15, s44, s15
	s_add_co_ci_u32 s34, s45, s0
	s_mul_i32 s28, s27, s29
	s_add_co_ci_u32 s29, s23, 0
	s_delay_alu instid0(SALU_CYCLE_1) | instskip(NEXT) | instid1(SALU_CYCLE_1)
	s_add_nc_u64 s[28:29], s[34:35], s[28:29]
	s_add_co_u32 s0, s26, s28
	s_cselect_b32 s15, -1, 0
	v_mul_hi_u32 v24, v14, s0
	s_cmp_lg_u32 s15, 0
	s_add_co_ci_u32 s34, s27, s29
	s_and_b64 s[26:27], s[0:1], s[6:7]
	v_mul_u64_e32 v[16:17], s[34:35], v[14:15]
	v_mul_u64_e32 v[12:13], s[26:27], v[18:19]
	;; [unrolled: 1-line block ×3, first 2 shown]
	s_delay_alu instid0(VALU_DEP_3) | instskip(NEXT) | instid1(VALU_DEP_1)
	v_add_nc_u64_e32 v[16:17], v[24:25], v[16:17]
	v_add_co_u32 v1, vcc_lo, v16, v12
	s_delay_alu instid0(VALU_DEP_2) | instskip(NEXT) | instid1(VALU_DEP_4)
	v_add_co_ci_u32_e32 v24, vcc_lo, v17, v13, vcc_lo
	v_add_co_ci_u32_e32 v21, vcc_lo, 0, v21, vcc_lo
	s_delay_alu instid0(VALU_DEP_1) | instskip(NEXT) | instid1(VALU_DEP_1)
	v_add_nc_u64_e32 v[12:13], v[24:25], v[20:21]
	v_mul_u64_e32 v[16:17], s[18:19], v[12:13]
	s_delay_alu instid0(VALU_DEP_1) | instskip(NEXT) | instid1(VALU_DEP_2)
	v_sub_nc_u32_e32 v1, v18, v17
	v_sub_co_u32 v3, vcc_lo, v14, v16
	s_delay_alu instid0(VALU_DEP_1) | instskip(NEXT) | instid1(VALU_DEP_3)
	v_sub_co_ci_u32_e64 v11, null, v18, v17, vcc_lo
	v_subrev_co_ci_u32_e64 v1, null, s19, v1, vcc_lo
	s_delay_alu instid0(VALU_DEP_3) | instskip(SKIP_1) | instid1(VALU_DEP_3)
	v_sub_co_u32 v7, s0, v3, s18
	v_add_nc_u64_e32 v[16:17], 1, v[12:13]
	v_subrev_co_ci_u32_e64 v1, null, 0, v1, s0
	s_delay_alu instid0(VALU_DEP_3) | instskip(SKIP_1) | instid1(VALU_DEP_3)
	v_cmp_le_u32_e32 vcc_lo, s18, v7
	v_cndmask_b32_e64 v7, 0, -1, vcc_lo
	v_cmp_le_u32_e32 vcc_lo, s19, v1
	v_cndmask_b32_e64 v14, 0, -1, vcc_lo
	;; [unrolled: 2-line block ×4, first 2 shown]
	v_cmp_eq_u32_e32 vcc_lo, s19, v1
	v_cndmask_b32_e32 v1, v14, v7, vcc_lo
	v_cmp_eq_u32_e32 vcc_lo, s19, v11
	v_add_nc_u64_e32 v[14:15], 2, v[12:13]
	v_cndmask_b32_e32 v3, v18, v3, vcc_lo
	s_delay_alu instid0(VALU_DEP_4) | instskip(NEXT) | instid1(VALU_DEP_2)
	v_cmp_ne_u32_e32 vcc_lo, 0, v1
	v_cmp_ne_u32_e64 s0, 0, v3
	s_delay_alu instid0(VALU_DEP_4) | instskip(NEXT) | instid1(VALU_DEP_1)
	v_dual_cndmask_b32 v1, v17, v15, vcc_lo :: v_dual_cndmask_b32 v3, v16, v14, vcc_lo
	v_dual_cndmask_b32 v1, v13, v1, s0 :: v_dual_bitop2_b32 v10, s14, v10 bitop3:0x14
	s_delay_alu instid0(VALU_DEP_1) | instskip(NEXT) | instid1(VALU_DEP_2)
	v_dual_cndmask_b32 v3, v12, v3, s0 :: v_dual_mov_b32 v11, v10
	v_xor_b32_e32 v13, v1, v10
	s_delay_alu instid0(VALU_DEP_2) | instskip(NEXT) | instid1(VALU_DEP_1)
	v_xor_b32_e32 v12, v3, v10
	v_sub_nc_u64_e32 v[10:11], v[12:13], v[10:11]
.LBB118_5659:                           ;   in Loop: Header=BB118_5657 Depth=1
	s_and_not1_saveexec_b32 s0, s22
	s_cbranch_execz .LBB118_5656
; %bb.5660:                             ;   in Loop: Header=BB118_5657 Depth=1
	v_cvt_f32_u32_e32 v1, s12
	s_sub_co_i32 s14, 0, s12
	v_mov_b32_e32 v11, v6
	s_delay_alu instid0(VALU_DEP_2) | instskip(SKIP_1) | instid1(TRANS32_DEP_1)
	v_rcp_iflag_f32_e32 v1, v1
	v_nop
	v_mul_f32_e32 v1, 0x4f7ffffe, v1
	s_delay_alu instid0(VALU_DEP_1) | instskip(NEXT) | instid1(VALU_DEP_1)
	v_cvt_u32_f32_e32 v1, v1
	v_mul_lo_u32 v3, s14, v1
	s_delay_alu instid0(VALU_DEP_1) | instskip(NEXT) | instid1(VALU_DEP_1)
	v_mul_hi_u32 v3, v1, v3
	v_add_nc_u32_e32 v1, v1, v3
	s_delay_alu instid0(VALU_DEP_1) | instskip(NEXT) | instid1(VALU_DEP_1)
	v_mul_hi_u32 v1, v8, v1
	v_mul_lo_u32 v3, v1, s12
	s_delay_alu instid0(VALU_DEP_1) | instskip(NEXT) | instid1(VALU_DEP_1)
	v_sub_nc_u32_e32 v3, v8, v3
	v_subrev_nc_u32_e32 v10, s12, v3
	v_cmp_le_u32_e32 vcc_lo, s12, v3
	s_delay_alu instid0(VALU_DEP_2) | instskip(NEXT) | instid1(VALU_DEP_1)
	v_dual_add_nc_u32 v7, 1, v1 :: v_dual_cndmask_b32 v3, v3, v10, vcc_lo
	v_cndmask_b32_e32 v1, v1, v7, vcc_lo
	s_delay_alu instid0(VALU_DEP_2) | instskip(NEXT) | instid1(VALU_DEP_2)
	v_cmp_le_u32_e32 vcc_lo, s12, v3
	v_add_nc_u32_e32 v7, 1, v1
	s_delay_alu instid0(VALU_DEP_1)
	v_cndmask_b32_e32 v10, v1, v7, vcc_lo
	s_branch .LBB118_5656
.LBB118_5661:
	s_mov_b32 s10, -1
	s_mov_b32 s6, s20
	s_mov_b32 s0, exec_lo
	v_cmpx_gt_i32_e64 v2, v0
	s_cbranch_execz .LBB118_5668
; %bb.5662:
	s_delay_alu instid0(VALU_DEP_2) | instskip(SKIP_3) | instid1(VALU_DEP_1)
	v_lshlrev_b64_e32 v[4:5], 2, v[4:5]
	v_dual_ashrrev_i32 v1, 31, v0 :: v_dual_ashrrev_i32 v3, 31, v2
	s_mov_b32 s7, 0
	s_xor_b32 s8, s50, -1
                                        ; implicit-def: $sgpr6
                                        ; implicit-def: $sgpr10
                                        ; implicit-def: $sgpr9
	v_lshl_add_u64 v[0:1], v[0:1], 2, v[4:5]
	v_add_nc_u64_e32 v[4:5], s[30:31], v[4:5]
	s_delay_alu instid0(VALU_DEP_2) | instskip(NEXT) | instid1(VALU_DEP_2)
	v_add_nc_u64_e32 v[0:1], s[30:31], v[0:1]
	v_lshl_add_u64 v[2:3], v[2:3], 2, v[4:5]
	s_delay_alu instid0(VALU_DEP_2)
	v_add_nc_u64_e32 v[0:1], 4, v[0:1]
	s_branch .LBB118_5664
.LBB118_5663:                           ;   in Loop: Header=BB118_5664 Depth=1
	s_or_b32 exec_lo, exec_lo, s11
	s_xor_b32 s11, s9, -1
	s_and_b32 s12, exec_lo, s10
	s_delay_alu instid0(SALU_CYCLE_1) | instskip(SKIP_2) | instid1(SALU_CYCLE_1)
	s_or_b32 s7, s12, s7
	s_and_not1_b32 s6, s6, exec_lo
	s_and_b32 s11, s11, exec_lo
	s_or_b32 s6, s6, s11
	s_and_not1_b32 exec_lo, exec_lo, s7
	s_cbranch_execz .LBB118_5666
.LBB118_5664:                           ; =>This Inner Loop Header: Depth=1
	s_or_b32 s9, s9, exec_lo
	s_or_b32 s10, s10, exec_lo
	s_mov_b32 s11, exec_lo
	s_delay_alu instid0(VALU_DEP_1)
	v_cmpx_lt_u64_e64 v[0:1], v[2:3]
	s_cbranch_execz .LBB118_5663
; %bb.5665:                             ;   in Loop: Header=BB118_5664 Depth=1
	global_load_b64 v[4:5], v[0:1], off offset:-4
	s_wait_xcnt 0x0
	v_add_nc_u64_e32 v[0:1], 4, v[0:1]
	s_and_not1_b32 s10, s10, exec_lo
	s_and_not1_b32 s9, s9, exec_lo
	s_wait_loadcnt 0x0
	v_cmp_ge_i32_e32 vcc_lo, v4, v5
	s_or_b32 s12, s8, vcc_lo
	s_delay_alu instid0(SALU_CYCLE_1) | instskip(NEXT) | instid1(SALU_CYCLE_1)
	s_and_b32 s12, s12, exec_lo
	s_or_b32 s10, s10, s12
	s_branch .LBB118_5663
.LBB118_5666:
	s_or_b32 exec_lo, exec_lo, s7
	s_mov_b32 s7, -1
	s_mov_b32 s8, s20
	s_and_saveexec_b32 s9, s6
	s_delay_alu instid0(SALU_CYCLE_1)
	s_xor_b32 s6, exec_lo, s9
	s_cbranch_execnz .LBB118_5990
.LBB118_5667:
	s_or_b32 exec_lo, exec_lo, s6
	s_delay_alu instid0(SALU_CYCLE_1)
	s_and_not1_b32 s6, s20, exec_lo
	s_and_b32 s8, s8, exec_lo
	s_or_not1_b32 s10, s7, exec_lo
	s_or_b32 s6, s6, s8
.LBB118_5668:
	s_or_b32 exec_lo, exec_lo, s0
	s_mov_b32 s8, 0
	s_mov_b32 s9, 0
                                        ; implicit-def: $sgpr0
                                        ; implicit-def: $vgpr14_vgpr15
	s_and_saveexec_b32 s7, s10
	s_cbranch_execz .LBB118_5985
; %bb.5669:
	v_mul_lo_u32 v0, s16, v22
	s_and_b32 s0, s2, 0xff
	s_delay_alu instid0(SALU_CYCLE_1) | instskip(NEXT) | instid1(VALU_DEP_1)
	s_cmp_lt_i32 s0, 11
	v_ashrrev_i32_e32 v1, 31, v0
	s_delay_alu instid0(VALU_DEP_1)
	v_add_nc_u64_e32 v[2:3], s[4:5], v[0:1]
	s_cbranch_scc1 .LBB118_5718
; %bb.5670:
	s_and_b32 s2, 0xffff, s0
	s_mov_b32 s11, -1
	s_mov_b32 s10, 0
	s_cmp_gt_i32 s2, 25
	s_cbranch_scc0 .LBB118_5695
; %bb.5671:
	s_cmp_gt_i32 s2, 28
	s_cbranch_scc0 .LBB118_5684
; %bb.5672:
	;; [unrolled: 3-line block ×4, first 2 shown]
	s_mov_b32 s8, -1
	s_mov_b32 s11, 0
	s_cmp_eq_u32 s2, 46
	s_cbranch_scc0 .LBB118_5676
; %bb.5675:
	v_mov_b32_e32 v1, 0
	s_mov_b32 s8, 0
	s_mov_b32 s9, -1
	global_store_b32 v[2:3], v1, off
.LBB118_5676:
	s_and_b32 vcc_lo, exec_lo, s11
	s_cbranch_vccz .LBB118_5679
; %bb.5677:
	s_cmp_eq_u32 s2, 44
	s_mov_b32 s8, -1
	s_cbranch_scc0 .LBB118_5679
; %bb.5678:
	s_wait_xcnt 0x0
	v_mov_b32_e32 v1, 0
	s_mov_b32 s8, 0
	s_mov_b32 s9, -1
	global_store_b8 v[2:3], v1, off
.LBB118_5679:
	s_mov_b32 s11, 0
.LBB118_5680:
	s_delay_alu instid0(SALU_CYCLE_1)
	s_and_b32 vcc_lo, exec_lo, s11
	s_cbranch_vccz .LBB118_5683
; %bb.5681:
	s_cmp_eq_u32 s2, 29
	s_mov_b32 s8, -1
	s_cbranch_scc0 .LBB118_5683
; %bb.5682:
	v_mov_b64_e32 v[4:5], 0
	s_mov_b32 s8, 0
	s_mov_b32 s9, -1
	global_store_b64 v[2:3], v[4:5], off
.LBB118_5683:
	s_mov_b32 s11, 0
.LBB118_5684:
	s_delay_alu instid0(SALU_CYCLE_1)
	s_and_b32 vcc_lo, exec_lo, s11
	s_cbranch_vccz .LBB118_5694
; %bb.5685:
	s_cmp_lt_i32 s2, 27
	s_mov_b32 s9, -1
	s_cbranch_scc1 .LBB118_5691
; %bb.5686:
	s_cmp_gt_i32 s2, 27
	s_cbranch_scc0 .LBB118_5688
; %bb.5687:
	s_wait_xcnt 0x0
	v_mov_b32_e32 v1, 0
	s_mov_b32 s9, 0
	global_store_b32 v[2:3], v1, off
.LBB118_5688:
	s_and_not1_b32 vcc_lo, exec_lo, s9
	s_cbranch_vccnz .LBB118_5690
; %bb.5689:
	s_wait_xcnt 0x0
	v_mov_b32_e32 v1, 0
	global_store_b16 v[2:3], v1, off
.LBB118_5690:
	s_mov_b32 s9, 0
.LBB118_5691:
	s_delay_alu instid0(SALU_CYCLE_1)
	s_and_not1_b32 vcc_lo, exec_lo, s9
	s_cbranch_vccnz .LBB118_5693
; %bb.5692:
	s_wait_xcnt 0x0
	v_mov_b32_e32 v1, 0
	global_store_b8 v[2:3], v1, off
.LBB118_5693:
	s_mov_b32 s9, -1
.LBB118_5694:
	s_mov_b32 s11, 0
.LBB118_5695:
	s_delay_alu instid0(SALU_CYCLE_1)
	s_and_b32 vcc_lo, exec_lo, s11
	s_cbranch_vccz .LBB118_5713
; %bb.5696:
	s_cmp_gt_i32 s2, 22
	s_mov_b32 s10, -1
	s_cbranch_scc0 .LBB118_5706
; %bb.5697:
	s_cmp_lt_i32 s2, 24
	s_mov_b32 s9, -1
	s_cbranch_scc1 .LBB118_5703
; %bb.5698:
	s_cmp_gt_i32 s2, 24
	s_cbranch_scc0 .LBB118_5700
; %bb.5699:
	s_wait_xcnt 0x0
	v_mov_b32_e32 v1, 0
	s_mov_b32 s9, 0
	global_store_b8 v[2:3], v1, off
.LBB118_5700:
	s_and_not1_b32 vcc_lo, exec_lo, s9
	s_cbranch_vccnz .LBB118_5702
; %bb.5701:
	s_wait_xcnt 0x0
	v_mov_b32_e32 v1, 0
	global_store_b8 v[2:3], v1, off
.LBB118_5702:
	s_mov_b32 s9, 0
.LBB118_5703:
	s_delay_alu instid0(SALU_CYCLE_1)
	s_and_not1_b32 vcc_lo, exec_lo, s9
	s_cbranch_vccnz .LBB118_5705
; %bb.5704:
	s_wait_xcnt 0x0
	v_mov_b32_e32 v1, 0
	global_store_b8 v[2:3], v1, off
.LBB118_5705:
	s_mov_b32 s10, 0
	s_mov_b32 s9, -1
.LBB118_5706:
	s_and_not1_b32 vcc_lo, exec_lo, s10
	s_mov_b32 s10, 0
	s_cbranch_vccnz .LBB118_5713
; %bb.5707:
	s_cmp_gt_i32 s2, 14
	s_mov_b32 s10, -1
	s_cbranch_scc0 .LBB118_5711
; %bb.5708:
	s_cmp_eq_u32 s2, 15
	s_mov_b32 s8, -1
	s_cbranch_scc0 .LBB118_5710
; %bb.5709:
	s_wait_xcnt 0x0
	v_mov_b32_e32 v1, 0
	s_mov_b32 s8, 0
	s_mov_b32 s9, -1
	global_store_b16 v[2:3], v1, off
.LBB118_5710:
	s_mov_b32 s10, 0
.LBB118_5711:
	s_delay_alu instid0(SALU_CYCLE_1)
	s_and_b32 vcc_lo, exec_lo, s10
	s_mov_b32 s10, 0
	s_cbranch_vccz .LBB118_5713
; %bb.5712:
	s_cmp_lg_u32 s2, 11
	s_mov_b32 s10, -1
	s_cselect_b32 s8, -1, 0
.LBB118_5713:
	s_delay_alu instid0(SALU_CYCLE_1)
	s_and_b32 vcc_lo, exec_lo, s8
	s_mov_b32 s2, s6
	s_cbranch_vccnz .LBB118_5991
; %bb.5714:
	s_and_not1_b32 vcc_lo, exec_lo, s10
	s_cbranch_vccnz .LBB118_5716
.LBB118_5715:
	s_wait_xcnt 0x0
	v_mov_b32_e32 v1, 0
	s_mov_b32 s9, -1
	global_store_b8 v[2:3], v1, off
.LBB118_5716:
	s_mov_b32 s8, 0
	s_branch .LBB118_5719
.LBB118_5717:
	s_or_b32 s37, s37, exec_lo
	s_trap 2
	s_cbranch_execz .LBB118_5590
	s_branch .LBB118_5591
.LBB118_5718:
	s_mov_b32 s8, -1
	s_mov_b32 s2, s6
.LBB118_5719:
	s_and_b32 vcc_lo, exec_lo, s8
	s_cbranch_vccz .LBB118_5758
; %bb.5720:
	s_and_b32 s8, 0xffff, s0
	s_mov_b32 s9, -1
	s_cmp_lt_i32 s8, 5
	s_cbranch_scc1 .LBB118_5741
; %bb.5721:
	s_cmp_lt_i32 s8, 8
	s_cbranch_scc1 .LBB118_5731
; %bb.5722:
	;; [unrolled: 3-line block ×3, first 2 shown]
	s_cmp_gt_i32 s8, 9
	s_cbranch_scc0 .LBB118_5725
; %bb.5724:
	s_wait_xcnt 0x0
	v_mov_b32_e32 v4, 0
	s_mov_b32 s9, 0
	s_delay_alu instid0(VALU_DEP_1)
	v_dual_mov_b32 v5, v4 :: v_dual_mov_b32 v6, v4
	v_mov_b32_e32 v7, v4
	global_store_b128 v[2:3], v[4:7], off
.LBB118_5725:
	s_and_not1_b32 vcc_lo, exec_lo, s9
	s_cbranch_vccnz .LBB118_5727
; %bb.5726:
	s_wait_xcnt 0x0
	v_mov_b64_e32 v[4:5], 0
	global_store_b64 v[2:3], v[4:5], off
.LBB118_5727:
	s_mov_b32 s9, 0
.LBB118_5728:
	s_delay_alu instid0(SALU_CYCLE_1)
	s_and_not1_b32 vcc_lo, exec_lo, s9
	s_cbranch_vccnz .LBB118_5730
; %bb.5729:
	s_wait_xcnt 0x0
	v_mov_b32_e32 v1, 0
	global_store_b32 v[2:3], v1, off
.LBB118_5730:
	s_mov_b32 s9, 0
.LBB118_5731:
	s_delay_alu instid0(SALU_CYCLE_1)
	s_and_not1_b32 vcc_lo, exec_lo, s9
	s_cbranch_vccnz .LBB118_5740
; %bb.5732:
	s_cmp_lt_i32 s8, 6
	s_mov_b32 s9, -1
	s_cbranch_scc1 .LBB118_5738
; %bb.5733:
	s_cmp_gt_i32 s8, 6
	s_cbranch_scc0 .LBB118_5735
; %bb.5734:
	s_wait_xcnt 0x0
	v_mov_b64_e32 v[4:5], 0
	s_mov_b32 s9, 0
	global_store_b64 v[2:3], v[4:5], off
.LBB118_5735:
	s_and_not1_b32 vcc_lo, exec_lo, s9
	s_cbranch_vccnz .LBB118_5737
; %bb.5736:
	s_wait_xcnt 0x0
	v_mov_b32_e32 v1, 0
	global_store_b32 v[2:3], v1, off
.LBB118_5737:
	s_mov_b32 s9, 0
.LBB118_5738:
	s_delay_alu instid0(SALU_CYCLE_1)
	s_and_not1_b32 vcc_lo, exec_lo, s9
	s_cbranch_vccnz .LBB118_5740
; %bb.5739:
	s_wait_xcnt 0x0
	v_mov_b32_e32 v1, 0
	global_store_b16 v[2:3], v1, off
.LBB118_5740:
	s_mov_b32 s9, 0
.LBB118_5741:
	s_delay_alu instid0(SALU_CYCLE_1)
	s_and_not1_b32 vcc_lo, exec_lo, s9
	s_cbranch_vccnz .LBB118_5757
; %bb.5742:
	s_cmp_lt_i32 s8, 2
	s_mov_b32 s9, -1
	s_cbranch_scc1 .LBB118_5752
; %bb.5743:
	s_cmp_lt_i32 s8, 3
	s_cbranch_scc1 .LBB118_5749
; %bb.5744:
	s_cmp_gt_i32 s8, 3
	s_cbranch_scc0 .LBB118_5746
; %bb.5745:
	s_wait_xcnt 0x0
	v_mov_b64_e32 v[4:5], 0
	s_mov_b32 s9, 0
	global_store_b64 v[2:3], v[4:5], off
.LBB118_5746:
	s_and_not1_b32 vcc_lo, exec_lo, s9
	s_cbranch_vccnz .LBB118_5748
; %bb.5747:
	s_wait_xcnt 0x0
	v_mov_b32_e32 v1, 0
	global_store_b32 v[2:3], v1, off
.LBB118_5748:
	s_mov_b32 s9, 0
.LBB118_5749:
	s_delay_alu instid0(SALU_CYCLE_1)
	s_and_not1_b32 vcc_lo, exec_lo, s9
	s_cbranch_vccnz .LBB118_5751
; %bb.5750:
	s_wait_xcnt 0x0
	v_mov_b32_e32 v1, 0
	global_store_b16 v[2:3], v1, off
.LBB118_5751:
	s_mov_b32 s9, 0
.LBB118_5752:
	s_delay_alu instid0(SALU_CYCLE_1)
	s_and_not1_b32 vcc_lo, exec_lo, s9
	s_cbranch_vccnz .LBB118_5757
; %bb.5753:
	s_cmp_gt_i32 s8, 0
	s_mov_b32 s8, -1
	s_cbranch_scc0 .LBB118_5755
; %bb.5754:
	s_wait_xcnt 0x0
	v_mov_b32_e32 v1, 0
	s_mov_b32 s8, 0
	global_store_b8 v[2:3], v1, off
.LBB118_5755:
	s_and_not1_b32 vcc_lo, exec_lo, s8
	s_cbranch_vccnz .LBB118_5757
; %bb.5756:
	s_wait_xcnt 0x0
	v_mov_b32_e32 v1, 0
	global_store_b8 v[2:3], v1, off
.LBB118_5757:
	s_mov_b32 s9, -1
.LBB118_5758:
	s_delay_alu instid0(SALU_CYCLE_1)
	s_and_not1_b32 vcc_lo, exec_lo, s9
	s_cbranch_vccnz .LBB118_5983
; %bb.5759:
	s_lshl_b32 s8, s16, 7
	s_cmp_lt_i32 s0, 11
	v_add_nc_u32_e32 v0, s8, v0
	s_wait_xcnt 0x0
	s_delay_alu instid0(VALU_DEP_1) | instskip(NEXT) | instid1(VALU_DEP_1)
	v_ashrrev_i32_e32 v1, 31, v0
	v_add_nc_u64_e32 v[2:3], s[4:5], v[0:1]
	s_cbranch_scc1 .LBB118_5807
; %bb.5760:
	s_and_b32 s9, 0xffff, s0
	s_mov_b32 s13, -1
	s_mov_b32 s12, 0
	s_cmp_gt_i32 s9, 25
	s_mov_b32 s11, 0
	s_mov_b32 s10, 0
	s_cbranch_scc0 .LBB118_5785
; %bb.5761:
	s_cmp_gt_i32 s9, 28
	s_cbranch_scc0 .LBB118_5774
; %bb.5762:
	s_cmp_gt_i32 s9, 43
	s_cbranch_scc0 .LBB118_5770
; %bb.5763:
	s_cmp_gt_i32 s9, 45
	s_cbranch_scc0 .LBB118_5766
; %bb.5764:
	s_mov_b32 s10, -1
	s_mov_b32 s13, 0
	s_cmp_eq_u32 s9, 46
	s_cbranch_scc0 .LBB118_5766
; %bb.5765:
	v_mov_b32_e32 v1, 0
	s_mov_b32 s10, 0
	s_mov_b32 s11, -1
	global_store_b32 v[2:3], v1, off
.LBB118_5766:
	s_and_b32 vcc_lo, exec_lo, s13
	s_cbranch_vccz .LBB118_5769
; %bb.5767:
	s_cmp_eq_u32 s9, 44
	s_mov_b32 s10, -1
	s_cbranch_scc0 .LBB118_5769
; %bb.5768:
	s_wait_xcnt 0x0
	v_mov_b32_e32 v1, 0
	s_mov_b32 s10, 0
	s_mov_b32 s11, -1
	global_store_b8 v[2:3], v1, off
.LBB118_5769:
	s_mov_b32 s13, 0
.LBB118_5770:
	s_delay_alu instid0(SALU_CYCLE_1)
	s_and_b32 vcc_lo, exec_lo, s13
	s_cbranch_vccz .LBB118_5773
; %bb.5771:
	s_cmp_eq_u32 s9, 29
	s_mov_b32 s10, -1
	s_cbranch_scc0 .LBB118_5773
; %bb.5772:
	v_mov_b64_e32 v[4:5], 0
	s_mov_b32 s10, 0
	s_mov_b32 s11, -1
	global_store_b64 v[2:3], v[4:5], off
.LBB118_5773:
	s_mov_b32 s13, 0
.LBB118_5774:
	s_delay_alu instid0(SALU_CYCLE_1)
	s_and_b32 vcc_lo, exec_lo, s13
	s_cbranch_vccz .LBB118_5784
; %bb.5775:
	s_cmp_lt_i32 s9, 27
	s_mov_b32 s11, -1
	s_cbranch_scc1 .LBB118_5781
; %bb.5776:
	s_cmp_gt_i32 s9, 27
	s_cbranch_scc0 .LBB118_5778
; %bb.5777:
	s_wait_xcnt 0x0
	v_mov_b32_e32 v1, 0
	s_mov_b32 s11, 0
	global_store_b32 v[2:3], v1, off
.LBB118_5778:
	s_and_not1_b32 vcc_lo, exec_lo, s11
	s_cbranch_vccnz .LBB118_5780
; %bb.5779:
	s_wait_xcnt 0x0
	v_mov_b32_e32 v1, 0
	global_store_b16 v[2:3], v1, off
.LBB118_5780:
	s_mov_b32 s11, 0
.LBB118_5781:
	s_delay_alu instid0(SALU_CYCLE_1)
	s_and_not1_b32 vcc_lo, exec_lo, s11
	s_cbranch_vccnz .LBB118_5783
; %bb.5782:
	s_wait_xcnt 0x0
	v_mov_b32_e32 v1, 0
	global_store_b8 v[2:3], v1, off
.LBB118_5783:
	s_mov_b32 s11, -1
.LBB118_5784:
	s_mov_b32 s13, 0
.LBB118_5785:
	s_delay_alu instid0(SALU_CYCLE_1)
	s_and_b32 vcc_lo, exec_lo, s13
	s_cbranch_vccz .LBB118_5803
; %bb.5786:
	s_cmp_gt_i32 s9, 22
	s_mov_b32 s12, -1
	s_cbranch_scc0 .LBB118_5796
; %bb.5787:
	s_cmp_lt_i32 s9, 24
	s_mov_b32 s11, -1
	s_cbranch_scc1 .LBB118_5793
; %bb.5788:
	s_cmp_gt_i32 s9, 24
	s_cbranch_scc0 .LBB118_5790
; %bb.5789:
	s_wait_xcnt 0x0
	v_mov_b32_e32 v1, 0
	s_mov_b32 s11, 0
	global_store_b8 v[2:3], v1, off
.LBB118_5790:
	s_and_not1_b32 vcc_lo, exec_lo, s11
	s_cbranch_vccnz .LBB118_5792
; %bb.5791:
	s_wait_xcnt 0x0
	v_mov_b32_e32 v1, 0
	global_store_b8 v[2:3], v1, off
.LBB118_5792:
	s_mov_b32 s11, 0
.LBB118_5793:
	s_delay_alu instid0(SALU_CYCLE_1)
	s_and_not1_b32 vcc_lo, exec_lo, s11
	s_cbranch_vccnz .LBB118_5795
; %bb.5794:
	s_wait_xcnt 0x0
	v_mov_b32_e32 v1, 0
	global_store_b8 v[2:3], v1, off
.LBB118_5795:
	s_mov_b32 s12, 0
	s_mov_b32 s11, -1
.LBB118_5796:
	s_and_not1_b32 vcc_lo, exec_lo, s12
	s_mov_b32 s12, 0
	s_cbranch_vccnz .LBB118_5803
; %bb.5797:
	s_cmp_gt_i32 s9, 14
	s_mov_b32 s12, -1
	s_cbranch_scc0 .LBB118_5801
; %bb.5798:
	s_cmp_eq_u32 s9, 15
	s_mov_b32 s10, -1
	s_cbranch_scc0 .LBB118_5800
; %bb.5799:
	s_wait_xcnt 0x0
	v_mov_b32_e32 v1, 0
	s_mov_b32 s10, 0
	s_mov_b32 s11, -1
	global_store_b16 v[2:3], v1, off
.LBB118_5800:
	s_mov_b32 s12, 0
.LBB118_5801:
	s_delay_alu instid0(SALU_CYCLE_1)
	s_and_b32 vcc_lo, exec_lo, s12
	s_mov_b32 s12, 0
	s_cbranch_vccz .LBB118_5803
; %bb.5802:
	s_cmp_lg_u32 s9, 11
	s_mov_b32 s12, -1
	s_cselect_b32 s10, -1, 0
.LBB118_5803:
	s_delay_alu instid0(SALU_CYCLE_1)
	s_and_b32 vcc_lo, exec_lo, s10
	s_cbranch_vccnz .LBB118_5992
; %bb.5804:
	s_and_not1_b32 vcc_lo, exec_lo, s12
	s_cbranch_vccnz .LBB118_5806
.LBB118_5805:
	s_wait_xcnt 0x0
	v_mov_b32_e32 v1, 0
	s_mov_b32 s11, -1
	global_store_b8 v[2:3], v1, off
.LBB118_5806:
	s_mov_b32 s9, 0
	s_branch .LBB118_5808
.LBB118_5807:
	s_mov_b32 s9, -1
	s_mov_b32 s11, 0
.LBB118_5808:
	s_and_b32 vcc_lo, exec_lo, s9
	s_cbranch_vccz .LBB118_5847
; %bb.5809:
	s_and_b32 s9, 0xffff, s0
	s_mov_b32 s10, -1
	s_cmp_lt_i32 s9, 5
	s_cbranch_scc1 .LBB118_5830
; %bb.5810:
	s_cmp_lt_i32 s9, 8
	s_cbranch_scc1 .LBB118_5820
; %bb.5811:
	;; [unrolled: 3-line block ×3, first 2 shown]
	s_cmp_gt_i32 s9, 9
	s_cbranch_scc0 .LBB118_5814
; %bb.5813:
	s_wait_xcnt 0x0
	v_mov_b32_e32 v4, 0
	s_mov_b32 s10, 0
	s_delay_alu instid0(VALU_DEP_1)
	v_dual_mov_b32 v5, v4 :: v_dual_mov_b32 v6, v4
	v_mov_b32_e32 v7, v4
	global_store_b128 v[2:3], v[4:7], off
.LBB118_5814:
	s_and_not1_b32 vcc_lo, exec_lo, s10
	s_cbranch_vccnz .LBB118_5816
; %bb.5815:
	s_wait_xcnt 0x0
	v_mov_b64_e32 v[4:5], 0
	global_store_b64 v[2:3], v[4:5], off
.LBB118_5816:
	s_mov_b32 s10, 0
.LBB118_5817:
	s_delay_alu instid0(SALU_CYCLE_1)
	s_and_not1_b32 vcc_lo, exec_lo, s10
	s_cbranch_vccnz .LBB118_5819
; %bb.5818:
	s_wait_xcnt 0x0
	v_mov_b32_e32 v1, 0
	global_store_b32 v[2:3], v1, off
.LBB118_5819:
	s_mov_b32 s10, 0
.LBB118_5820:
	s_delay_alu instid0(SALU_CYCLE_1)
	s_and_not1_b32 vcc_lo, exec_lo, s10
	s_cbranch_vccnz .LBB118_5829
; %bb.5821:
	s_cmp_lt_i32 s9, 6
	s_mov_b32 s10, -1
	s_cbranch_scc1 .LBB118_5827
; %bb.5822:
	s_cmp_gt_i32 s9, 6
	s_cbranch_scc0 .LBB118_5824
; %bb.5823:
	s_wait_xcnt 0x0
	v_mov_b64_e32 v[4:5], 0
	s_mov_b32 s10, 0
	global_store_b64 v[2:3], v[4:5], off
.LBB118_5824:
	s_and_not1_b32 vcc_lo, exec_lo, s10
	s_cbranch_vccnz .LBB118_5826
; %bb.5825:
	s_wait_xcnt 0x0
	v_mov_b32_e32 v1, 0
	global_store_b32 v[2:3], v1, off
.LBB118_5826:
	s_mov_b32 s10, 0
.LBB118_5827:
	s_delay_alu instid0(SALU_CYCLE_1)
	s_and_not1_b32 vcc_lo, exec_lo, s10
	s_cbranch_vccnz .LBB118_5829
; %bb.5828:
	s_wait_xcnt 0x0
	v_mov_b32_e32 v1, 0
	global_store_b16 v[2:3], v1, off
.LBB118_5829:
	s_mov_b32 s10, 0
.LBB118_5830:
	s_delay_alu instid0(SALU_CYCLE_1)
	s_and_not1_b32 vcc_lo, exec_lo, s10
	s_cbranch_vccnz .LBB118_5846
; %bb.5831:
	s_cmp_lt_i32 s9, 2
	s_mov_b32 s10, -1
	s_cbranch_scc1 .LBB118_5841
; %bb.5832:
	s_cmp_lt_i32 s9, 3
	s_cbranch_scc1 .LBB118_5838
; %bb.5833:
	s_cmp_gt_i32 s9, 3
	s_cbranch_scc0 .LBB118_5835
; %bb.5834:
	s_wait_xcnt 0x0
	v_mov_b64_e32 v[4:5], 0
	s_mov_b32 s10, 0
	global_store_b64 v[2:3], v[4:5], off
.LBB118_5835:
	s_and_not1_b32 vcc_lo, exec_lo, s10
	s_cbranch_vccnz .LBB118_5837
; %bb.5836:
	s_wait_xcnt 0x0
	v_mov_b32_e32 v1, 0
	global_store_b32 v[2:3], v1, off
.LBB118_5837:
	s_mov_b32 s10, 0
.LBB118_5838:
	s_delay_alu instid0(SALU_CYCLE_1)
	s_and_not1_b32 vcc_lo, exec_lo, s10
	s_cbranch_vccnz .LBB118_5840
; %bb.5839:
	s_wait_xcnt 0x0
	v_mov_b32_e32 v1, 0
	global_store_b16 v[2:3], v1, off
.LBB118_5840:
	s_mov_b32 s10, 0
.LBB118_5841:
	s_delay_alu instid0(SALU_CYCLE_1)
	s_and_not1_b32 vcc_lo, exec_lo, s10
	s_cbranch_vccnz .LBB118_5846
; %bb.5842:
	s_cmp_gt_i32 s9, 0
	s_mov_b32 s9, -1
	s_cbranch_scc0 .LBB118_5844
; %bb.5843:
	s_wait_xcnt 0x0
	v_mov_b32_e32 v1, 0
	s_mov_b32 s9, 0
	global_store_b8 v[2:3], v1, off
.LBB118_5844:
	s_and_not1_b32 vcc_lo, exec_lo, s9
	s_cbranch_vccnz .LBB118_5846
; %bb.5845:
	s_wait_xcnt 0x0
	v_mov_b32_e32 v1, 0
	global_store_b8 v[2:3], v1, off
.LBB118_5846:
	s_mov_b32 s11, -1
.LBB118_5847:
	s_delay_alu instid0(SALU_CYCLE_1)
	s_and_not1_b32 vcc_lo, exec_lo, s11
	s_cbranch_vccnz .LBB118_5983
; %bb.5848:
	v_add_nc_u32_e32 v0, s8, v0
	s_cmp_lt_i32 s0, 11
	s_wait_xcnt 0x0
	s_delay_alu instid0(VALU_DEP_1) | instskip(NEXT) | instid1(VALU_DEP_1)
	v_ashrrev_i32_e32 v1, 31, v0
	v_add_nc_u64_e32 v[2:3], s[4:5], v[0:1]
	s_cbranch_scc1 .LBB118_5896
; %bb.5849:
	s_and_b32 s9, 0xffff, s0
	s_mov_b32 s13, -1
	s_mov_b32 s12, 0
	s_cmp_gt_i32 s9, 25
	s_mov_b32 s11, 0
	s_mov_b32 s10, 0
	s_cbranch_scc0 .LBB118_5874
; %bb.5850:
	s_cmp_gt_i32 s9, 28
	s_cbranch_scc0 .LBB118_5863
; %bb.5851:
	s_cmp_gt_i32 s9, 43
	;; [unrolled: 3-line block ×3, first 2 shown]
	s_cbranch_scc0 .LBB118_5855
; %bb.5853:
	s_mov_b32 s10, -1
	s_mov_b32 s13, 0
	s_cmp_eq_u32 s9, 46
	s_cbranch_scc0 .LBB118_5855
; %bb.5854:
	v_mov_b32_e32 v1, 0
	s_mov_b32 s10, 0
	s_mov_b32 s11, -1
	global_store_b32 v[2:3], v1, off
.LBB118_5855:
	s_and_b32 vcc_lo, exec_lo, s13
	s_cbranch_vccz .LBB118_5858
; %bb.5856:
	s_cmp_eq_u32 s9, 44
	s_mov_b32 s10, -1
	s_cbranch_scc0 .LBB118_5858
; %bb.5857:
	s_wait_xcnt 0x0
	v_mov_b32_e32 v1, 0
	s_mov_b32 s10, 0
	s_mov_b32 s11, -1
	global_store_b8 v[2:3], v1, off
.LBB118_5858:
	s_mov_b32 s13, 0
.LBB118_5859:
	s_delay_alu instid0(SALU_CYCLE_1)
	s_and_b32 vcc_lo, exec_lo, s13
	s_cbranch_vccz .LBB118_5862
; %bb.5860:
	s_cmp_eq_u32 s9, 29
	s_mov_b32 s10, -1
	s_cbranch_scc0 .LBB118_5862
; %bb.5861:
	v_mov_b64_e32 v[4:5], 0
	s_mov_b32 s10, 0
	s_mov_b32 s11, -1
	global_store_b64 v[2:3], v[4:5], off
.LBB118_5862:
	s_mov_b32 s13, 0
.LBB118_5863:
	s_delay_alu instid0(SALU_CYCLE_1)
	s_and_b32 vcc_lo, exec_lo, s13
	s_cbranch_vccz .LBB118_5873
; %bb.5864:
	s_cmp_lt_i32 s9, 27
	s_mov_b32 s11, -1
	s_cbranch_scc1 .LBB118_5870
; %bb.5865:
	s_cmp_gt_i32 s9, 27
	s_cbranch_scc0 .LBB118_5867
; %bb.5866:
	s_wait_xcnt 0x0
	v_mov_b32_e32 v1, 0
	s_mov_b32 s11, 0
	global_store_b32 v[2:3], v1, off
.LBB118_5867:
	s_and_not1_b32 vcc_lo, exec_lo, s11
	s_cbranch_vccnz .LBB118_5869
; %bb.5868:
	s_wait_xcnt 0x0
	v_mov_b32_e32 v1, 0
	global_store_b16 v[2:3], v1, off
.LBB118_5869:
	s_mov_b32 s11, 0
.LBB118_5870:
	s_delay_alu instid0(SALU_CYCLE_1)
	s_and_not1_b32 vcc_lo, exec_lo, s11
	s_cbranch_vccnz .LBB118_5872
; %bb.5871:
	s_wait_xcnt 0x0
	v_mov_b32_e32 v1, 0
	global_store_b8 v[2:3], v1, off
.LBB118_5872:
	s_mov_b32 s11, -1
.LBB118_5873:
	s_mov_b32 s13, 0
.LBB118_5874:
	s_delay_alu instid0(SALU_CYCLE_1)
	s_and_b32 vcc_lo, exec_lo, s13
	s_cbranch_vccz .LBB118_5892
; %bb.5875:
	s_cmp_gt_i32 s9, 22
	s_mov_b32 s12, -1
	s_cbranch_scc0 .LBB118_5885
; %bb.5876:
	s_cmp_lt_i32 s9, 24
	s_mov_b32 s11, -1
	s_cbranch_scc1 .LBB118_5882
; %bb.5877:
	s_cmp_gt_i32 s9, 24
	s_cbranch_scc0 .LBB118_5879
; %bb.5878:
	s_wait_xcnt 0x0
	v_mov_b32_e32 v1, 0
	s_mov_b32 s11, 0
	global_store_b8 v[2:3], v1, off
.LBB118_5879:
	s_and_not1_b32 vcc_lo, exec_lo, s11
	s_cbranch_vccnz .LBB118_5881
; %bb.5880:
	s_wait_xcnt 0x0
	v_mov_b32_e32 v1, 0
	global_store_b8 v[2:3], v1, off
.LBB118_5881:
	s_mov_b32 s11, 0
.LBB118_5882:
	s_delay_alu instid0(SALU_CYCLE_1)
	s_and_not1_b32 vcc_lo, exec_lo, s11
	s_cbranch_vccnz .LBB118_5884
; %bb.5883:
	s_wait_xcnt 0x0
	v_mov_b32_e32 v1, 0
	global_store_b8 v[2:3], v1, off
.LBB118_5884:
	s_mov_b32 s12, 0
	s_mov_b32 s11, -1
.LBB118_5885:
	s_and_not1_b32 vcc_lo, exec_lo, s12
	s_mov_b32 s12, 0
	s_cbranch_vccnz .LBB118_5892
; %bb.5886:
	s_cmp_gt_i32 s9, 14
	s_mov_b32 s12, -1
	s_cbranch_scc0 .LBB118_5890
; %bb.5887:
	s_cmp_eq_u32 s9, 15
	s_mov_b32 s10, -1
	s_cbranch_scc0 .LBB118_5889
; %bb.5888:
	s_wait_xcnt 0x0
	v_mov_b32_e32 v1, 0
	s_mov_b32 s10, 0
	s_mov_b32 s11, -1
	global_store_b16 v[2:3], v1, off
.LBB118_5889:
	s_mov_b32 s12, 0
.LBB118_5890:
	s_delay_alu instid0(SALU_CYCLE_1)
	s_and_b32 vcc_lo, exec_lo, s12
	s_mov_b32 s12, 0
	s_cbranch_vccz .LBB118_5892
; %bb.5891:
	s_cmp_lg_u32 s9, 11
	s_mov_b32 s12, -1
	s_cselect_b32 s10, -1, 0
.LBB118_5892:
	s_delay_alu instid0(SALU_CYCLE_1)
	s_and_b32 vcc_lo, exec_lo, s10
	s_cbranch_vccnz .LBB118_5994
; %bb.5893:
	s_and_not1_b32 vcc_lo, exec_lo, s12
	s_cbranch_vccnz .LBB118_5895
.LBB118_5894:
	s_wait_xcnt 0x0
	v_mov_b32_e32 v1, 0
	s_mov_b32 s11, -1
	global_store_b8 v[2:3], v1, off
.LBB118_5895:
	s_mov_b32 s9, 0
	s_branch .LBB118_5897
.LBB118_5896:
	s_mov_b32 s9, -1
	s_mov_b32 s11, 0
.LBB118_5897:
	s_and_b32 vcc_lo, exec_lo, s9
	s_cbranch_vccz .LBB118_5936
; %bb.5898:
	s_and_b32 s9, 0xffff, s0
	s_mov_b32 s10, -1
	s_cmp_lt_i32 s9, 5
	s_cbranch_scc1 .LBB118_5919
; %bb.5899:
	s_cmp_lt_i32 s9, 8
	s_cbranch_scc1 .LBB118_5909
; %bb.5900:
	;; [unrolled: 3-line block ×3, first 2 shown]
	s_cmp_gt_i32 s9, 9
	s_cbranch_scc0 .LBB118_5903
; %bb.5902:
	s_wait_xcnt 0x0
	v_mov_b32_e32 v4, 0
	s_mov_b32 s10, 0
	s_delay_alu instid0(VALU_DEP_1)
	v_dual_mov_b32 v5, v4 :: v_dual_mov_b32 v6, v4
	v_mov_b32_e32 v7, v4
	global_store_b128 v[2:3], v[4:7], off
.LBB118_5903:
	s_and_not1_b32 vcc_lo, exec_lo, s10
	s_cbranch_vccnz .LBB118_5905
; %bb.5904:
	s_wait_xcnt 0x0
	v_mov_b64_e32 v[4:5], 0
	global_store_b64 v[2:3], v[4:5], off
.LBB118_5905:
	s_mov_b32 s10, 0
.LBB118_5906:
	s_delay_alu instid0(SALU_CYCLE_1)
	s_and_not1_b32 vcc_lo, exec_lo, s10
	s_cbranch_vccnz .LBB118_5908
; %bb.5907:
	s_wait_xcnt 0x0
	v_mov_b32_e32 v1, 0
	global_store_b32 v[2:3], v1, off
.LBB118_5908:
	s_mov_b32 s10, 0
.LBB118_5909:
	s_delay_alu instid0(SALU_CYCLE_1)
	s_and_not1_b32 vcc_lo, exec_lo, s10
	s_cbranch_vccnz .LBB118_5918
; %bb.5910:
	s_cmp_lt_i32 s9, 6
	s_mov_b32 s10, -1
	s_cbranch_scc1 .LBB118_5916
; %bb.5911:
	s_cmp_gt_i32 s9, 6
	s_cbranch_scc0 .LBB118_5913
; %bb.5912:
	s_wait_xcnt 0x0
	v_mov_b64_e32 v[4:5], 0
	s_mov_b32 s10, 0
	global_store_b64 v[2:3], v[4:5], off
.LBB118_5913:
	s_and_not1_b32 vcc_lo, exec_lo, s10
	s_cbranch_vccnz .LBB118_5915
; %bb.5914:
	s_wait_xcnt 0x0
	v_mov_b32_e32 v1, 0
	global_store_b32 v[2:3], v1, off
.LBB118_5915:
	s_mov_b32 s10, 0
.LBB118_5916:
	s_delay_alu instid0(SALU_CYCLE_1)
	s_and_not1_b32 vcc_lo, exec_lo, s10
	s_cbranch_vccnz .LBB118_5918
; %bb.5917:
	s_wait_xcnt 0x0
	v_mov_b32_e32 v1, 0
	global_store_b16 v[2:3], v1, off
.LBB118_5918:
	s_mov_b32 s10, 0
.LBB118_5919:
	s_delay_alu instid0(SALU_CYCLE_1)
	s_and_not1_b32 vcc_lo, exec_lo, s10
	s_cbranch_vccnz .LBB118_5935
; %bb.5920:
	s_cmp_lt_i32 s9, 2
	s_mov_b32 s10, -1
	s_cbranch_scc1 .LBB118_5930
; %bb.5921:
	s_cmp_lt_i32 s9, 3
	s_cbranch_scc1 .LBB118_5927
; %bb.5922:
	s_cmp_gt_i32 s9, 3
	s_cbranch_scc0 .LBB118_5924
; %bb.5923:
	s_wait_xcnt 0x0
	v_mov_b64_e32 v[4:5], 0
	s_mov_b32 s10, 0
	global_store_b64 v[2:3], v[4:5], off
.LBB118_5924:
	s_and_not1_b32 vcc_lo, exec_lo, s10
	s_cbranch_vccnz .LBB118_5926
; %bb.5925:
	s_wait_xcnt 0x0
	v_mov_b32_e32 v1, 0
	global_store_b32 v[2:3], v1, off
.LBB118_5926:
	s_mov_b32 s10, 0
.LBB118_5927:
	s_delay_alu instid0(SALU_CYCLE_1)
	s_and_not1_b32 vcc_lo, exec_lo, s10
	s_cbranch_vccnz .LBB118_5929
; %bb.5928:
	s_wait_xcnt 0x0
	v_mov_b32_e32 v1, 0
	global_store_b16 v[2:3], v1, off
.LBB118_5929:
	s_mov_b32 s10, 0
.LBB118_5930:
	s_delay_alu instid0(SALU_CYCLE_1)
	s_and_not1_b32 vcc_lo, exec_lo, s10
	s_cbranch_vccnz .LBB118_5935
; %bb.5931:
	s_cmp_gt_i32 s9, 0
	s_mov_b32 s9, -1
	s_cbranch_scc0 .LBB118_5933
; %bb.5932:
	s_wait_xcnt 0x0
	v_mov_b32_e32 v1, 0
	s_mov_b32 s9, 0
	global_store_b8 v[2:3], v1, off
.LBB118_5933:
	s_and_not1_b32 vcc_lo, exec_lo, s9
	s_cbranch_vccnz .LBB118_5935
; %bb.5934:
	s_wait_xcnt 0x0
	v_mov_b32_e32 v1, 0
	global_store_b8 v[2:3], v1, off
.LBB118_5935:
	s_mov_b32 s11, -1
.LBB118_5936:
	s_delay_alu instid0(SALU_CYCLE_1)
	s_and_not1_b32 vcc_lo, exec_lo, s11
	s_cbranch_vccnz .LBB118_5983
; %bb.5937:
	v_add_nc_u32_e32 v0, s8, v0
	s_cmp_lt_i32 s0, 11
	s_wait_xcnt 0x0
	s_delay_alu instid0(VALU_DEP_1) | instskip(NEXT) | instid1(VALU_DEP_1)
	v_ashrrev_i32_e32 v1, 31, v0
	v_add_nc_u64_e32 v[14:15], s[4:5], v[0:1]
	s_cbranch_scc1 .LBB118_5989
; %bb.5938:
	s_and_b32 s5, 0xffff, s0
	s_mov_b32 s9, -1
	s_mov_b32 s4, 0
	s_cmp_gt_i32 s5, 25
	s_mov_b32 s8, 0
	s_cbranch_scc0 .LBB118_5963
; %bb.5939:
	s_cmp_gt_i32 s5, 28
	s_cbranch_scc0 .LBB118_5953
; %bb.5940:
	s_cmp_gt_i32 s5, 43
	;; [unrolled: 3-line block ×3, first 2 shown]
	s_cbranch_scc0 .LBB118_5945
; %bb.5942:
	s_cmp_eq_u32 s5, 46
	s_mov_b32 s8, -1
	s_cbranch_scc0 .LBB118_5944
; %bb.5943:
	v_mov_b32_e32 v0, 0
	s_mov_b32 s8, 0
	global_store_b32 v[14:15], v0, off
.LBB118_5944:
	s_mov_b32 s9, 0
.LBB118_5945:
	s_delay_alu instid0(SALU_CYCLE_1)
	s_and_b32 vcc_lo, exec_lo, s9
	s_cbranch_vccz .LBB118_5948
; %bb.5946:
	s_cmp_eq_u32 s5, 44
	s_mov_b32 s8, -1
	s_cbranch_scc0 .LBB118_5948
; %bb.5947:
	s_wait_xcnt 0x0
	v_mov_b32_e32 v0, 0
	s_mov_b32 s8, 0
	global_store_b8 v[14:15], v0, off
.LBB118_5948:
	s_mov_b32 s9, 0
.LBB118_5949:
	s_delay_alu instid0(SALU_CYCLE_1)
	s_and_b32 vcc_lo, exec_lo, s9
	s_cbranch_vccz .LBB118_5952
; %bb.5950:
	s_cmp_eq_u32 s5, 29
	s_mov_b32 s8, -1
	s_cbranch_scc0 .LBB118_5952
; %bb.5951:
	s_wait_xcnt 0x0
	v_mov_b64_e32 v[0:1], 0
	s_mov_b32 s8, 0
	global_store_b64 v[14:15], v[0:1], off
.LBB118_5952:
	s_mov_b32 s9, 0
.LBB118_5953:
	s_delay_alu instid0(SALU_CYCLE_1)
	s_and_b32 vcc_lo, exec_lo, s9
	s_cbranch_vccz .LBB118_5962
; %bb.5954:
	s_cmp_lt_i32 s5, 27
	s_mov_b32 s9, -1
	s_cbranch_scc1 .LBB118_5960
; %bb.5955:
	s_cmp_gt_i32 s5, 27
	s_cbranch_scc0 .LBB118_5957
; %bb.5956:
	s_wait_xcnt 0x0
	v_mov_b32_e32 v0, 0
	s_mov_b32 s9, 0
	global_store_b32 v[14:15], v0, off
.LBB118_5957:
	s_and_not1_b32 vcc_lo, exec_lo, s9
	s_cbranch_vccnz .LBB118_5959
; %bb.5958:
	s_wait_xcnt 0x0
	v_mov_b32_e32 v0, 0
	global_store_b16 v[14:15], v0, off
.LBB118_5959:
	s_mov_b32 s9, 0
.LBB118_5960:
	s_delay_alu instid0(SALU_CYCLE_1)
	s_and_not1_b32 vcc_lo, exec_lo, s9
	s_cbranch_vccnz .LBB118_5962
; %bb.5961:
	s_wait_xcnt 0x0
	v_mov_b32_e32 v0, 0
	global_store_b8 v[14:15], v0, off
.LBB118_5962:
	s_mov_b32 s9, 0
.LBB118_5963:
	s_delay_alu instid0(SALU_CYCLE_1)
	s_and_b32 vcc_lo, exec_lo, s9
	s_cbranch_vccz .LBB118_5981
; %bb.5964:
	s_cmp_gt_i32 s5, 22
	s_mov_b32 s4, -1
	s_cbranch_scc0 .LBB118_5974
; %bb.5965:
	s_cmp_lt_i32 s5, 24
	s_cbranch_scc1 .LBB118_5971
; %bb.5966:
	s_cmp_gt_i32 s5, 24
	s_cbranch_scc0 .LBB118_5968
; %bb.5967:
	s_wait_xcnt 0x0
	v_mov_b32_e32 v0, 0
	s_mov_b32 s4, 0
	global_store_b8 v[14:15], v0, off
.LBB118_5968:
	s_and_not1_b32 vcc_lo, exec_lo, s4
	s_cbranch_vccnz .LBB118_5970
; %bb.5969:
	s_wait_xcnt 0x0
	v_mov_b32_e32 v0, 0
	global_store_b8 v[14:15], v0, off
.LBB118_5970:
	s_mov_b32 s4, 0
.LBB118_5971:
	s_delay_alu instid0(SALU_CYCLE_1)
	s_and_not1_b32 vcc_lo, exec_lo, s4
	s_cbranch_vccnz .LBB118_5973
; %bb.5972:
	s_wait_xcnt 0x0
	v_mov_b32_e32 v0, 0
	global_store_b8 v[14:15], v0, off
.LBB118_5973:
	s_mov_b32 s4, 0
.LBB118_5974:
	s_delay_alu instid0(SALU_CYCLE_1)
	s_and_not1_b32 vcc_lo, exec_lo, s4
	s_mov_b32 s4, 0
	s_cbranch_vccnz .LBB118_5981
; %bb.5975:
	s_cmp_gt_i32 s5, 14
	s_mov_b32 s4, -1
	s_cbranch_scc0 .LBB118_5979
; %bb.5976:
	s_cmp_eq_u32 s5, 15
	s_mov_b32 s8, -1
	s_cbranch_scc0 .LBB118_5978
; %bb.5977:
	s_wait_xcnt 0x0
	v_mov_b32_e32 v0, 0
	s_mov_b32 s8, 0
	global_store_b16 v[14:15], v0, off
.LBB118_5978:
	s_mov_b32 s4, 0
.LBB118_5979:
	s_delay_alu instid0(SALU_CYCLE_1)
	s_and_b32 vcc_lo, exec_lo, s4
	s_mov_b32 s4, 0
	s_cbranch_vccz .LBB118_5981
; %bb.5980:
	s_cmp_lg_u32 s5, 11
	s_mov_b32 s4, -1
	s_cselect_b32 s8, -1, 0
.LBB118_5981:
	s_delay_alu instid0(SALU_CYCLE_1)
	s_and_b32 vcc_lo, exec_lo, s8
	s_cbranch_vccnz .LBB118_5996
.LBB118_5982:
	s_mov_b32 s5, 0
	s_branch .LBB118_5984
.LBB118_5983:
	s_mov_b32 s5, 0
	s_mov_b32 s4, 0
                                        ; implicit-def: $sgpr0
                                        ; implicit-def: $vgpr14_vgpr15
.LBB118_5984:
	s_and_b32 s9, s5, exec_lo
	s_and_not1_b32 s5, s6, exec_lo
	s_and_b32 s2, s2, exec_lo
	s_and_b32 s8, s4, exec_lo
	s_or_b32 s6, s5, s2
.LBB118_5985:
	s_wait_xcnt 0x0
	s_or_b32 exec_lo, exec_lo, s7
	s_delay_alu instid0(SALU_CYCLE_1)
	s_and_not1_b32 s2, s20, exec_lo
	s_and_b32 s4, s6, exec_lo
	s_and_b32 s7, s9, exec_lo
	;; [unrolled: 1-line block ×3, first 2 shown]
	s_or_b32 s20, s2, s4
.LBB118_5986:
	s_or_b32 exec_lo, exec_lo, s38
	s_delay_alu instid0(SALU_CYCLE_1)
	s_and_not1_b32 s2, s41, exec_lo
	s_and_b32 s4, s20, exec_lo
	s_and_b32 s7, s7, exec_lo
	;; [unrolled: 1-line block ×3, first 2 shown]
	s_or_b32 s41, s2, s4
.LBB118_5987:
	s_or_b32 exec_lo, exec_lo, s42
	s_delay_alu instid0(SALU_CYCLE_1)
	s_and_not1_b32 s2, s37, exec_lo
	s_and_b32 s4, s41, exec_lo
	s_and_b32 s7, s7, exec_lo
	;; [unrolled: 1-line block ×3, first 2 shown]
	s_or_b32 s37, s2, s4
.LBB118_5988:
	s_or_b32 exec_lo, exec_lo, s40
	s_branch .LBB118_5651
.LBB118_5989:
	s_mov_b32 s4, 0
	s_mov_b32 s5, -1
	s_branch .LBB118_5984
.LBB118_5990:
	s_or_b32 s8, s20, exec_lo
	s_xor_b32 s7, exec_lo, -1
	s_trap 2
	s_branch .LBB118_5667
.LBB118_5991:
	s_or_b32 s2, s6, exec_lo
	s_trap 2
	s_cbranch_execz .LBB118_5715
	s_branch .LBB118_5716
.LBB118_5992:
	s_or_b32 s2, s2, exec_lo
	s_trap 2
	s_cbranch_execz .LBB118_5805
	s_branch .LBB118_5806
.LBB118_5993:
	s_or_b32 s37, s37, exec_lo
	s_trap 2
                                        ; implicit-def: $vgpr9
                                        ; implicit-def: $vgpr2
                                        ; implicit-def: $vgpr0
                                        ; implicit-def: $vgpr23
                                        ; implicit-def: $vgpr22
                                        ; implicit-def: $vgpr6
	s_branch .LBB118_5643
.LBB118_5994:
	s_or_b32 s2, s2, exec_lo
	s_trap 2
	s_cbranch_execz .LBB118_5894
	s_branch .LBB118_5895
.LBB118_5995:
	s_or_b32 s41, s37, exec_lo
	s_trap 2
                                        ; implicit-def: $vgpr2
                                        ; implicit-def: $vgpr0
                                        ; implicit-def: $vgpr23
                                        ; implicit-def: $vgpr22
                                        ; implicit-def: $vgpr6
	s_or_saveexec_b32 s42, s0
                                        ; implicit-def: $sgpr0
                                        ; implicit-def: $vgpr14_vgpr15
	s_delay_alu instid0(SALU_CYCLE_1)
	s_xor_b32 exec_lo, exec_lo, s42
	s_cbranch_execz .LBB118_5987
	s_branch .LBB118_5646
.LBB118_5996:
	s_mov_b32 s4, 0
	s_or_b32 s2, s2, exec_lo
	s_trap 2
	s_branch .LBB118_5982
.LBB118_5997:
	s_or_b32 s20, s41, exec_lo
	s_trap 2
                                        ; implicit-def: $vgpr2
                                        ; implicit-def: $vgpr0
                                        ; implicit-def: $vgpr23
                                        ; implicit-def: $vgpr22
                                        ; implicit-def: $vgpr6
	s_or_saveexec_b32 s38, s0
	s_mov_b32 s6, 0
                                        ; implicit-def: $sgpr0
                                        ; implicit-def: $vgpr14_vgpr15
	s_xor_b32 exec_lo, exec_lo, s38
	s_cbranch_execz .LBB118_5986
	s_branch .LBB118_5648
	.section	.rodata,"a",@progbits
	.p2align	6, 0x0
	.amdhsa_kernel _ZN2at6native32elementwise_kernel_manual_unrollILi128ELi4EZNS0_15gpu_kernel_implIZZZNS0_12_GLOBAL__N_142_validate_compressed_sparse_indices_kernelILNS3_8CDimNameE1ENS3_18CUDAKernelLauncherENS3_14EmptyVecKernelENS3_8DummyVecELm0EEEvRKNS_6TensorESB_lllENKUlvE1_clEvENKUlvE_clEvEUliiiiiE_EEvRNS_18TensorIteratorBaseERKT_EUlibE_EEviT1_
		.amdhsa_group_segment_fixed_size 0
		.amdhsa_private_segment_fixed_size 0
		.amdhsa_kernarg_size 144
		.amdhsa_user_sgpr_count 2
		.amdhsa_user_sgpr_dispatch_ptr 0
		.amdhsa_user_sgpr_queue_ptr 0
		.amdhsa_user_sgpr_kernarg_segment_ptr 1
		.amdhsa_user_sgpr_dispatch_id 0
		.amdhsa_user_sgpr_kernarg_preload_length 0
		.amdhsa_user_sgpr_kernarg_preload_offset 0
		.amdhsa_user_sgpr_private_segment_size 0
		.amdhsa_wavefront_size32 1
		.amdhsa_uses_dynamic_stack 0
		.amdhsa_enable_private_segment 0
		.amdhsa_system_sgpr_workgroup_id_x 1
		.amdhsa_system_sgpr_workgroup_id_y 0
		.amdhsa_system_sgpr_workgroup_id_z 0
		.amdhsa_system_sgpr_workgroup_info 0
		.amdhsa_system_vgpr_workitem_id 0
		.amdhsa_next_free_vgpr 36
		.amdhsa_next_free_sgpr 102
		.amdhsa_named_barrier_count 0
		.amdhsa_reserve_vcc 1
		.amdhsa_float_round_mode_32 0
		.amdhsa_float_round_mode_16_64 0
		.amdhsa_float_denorm_mode_32 3
		.amdhsa_float_denorm_mode_16_64 3
		.amdhsa_fp16_overflow 0
		.amdhsa_memory_ordered 1
		.amdhsa_forward_progress 1
		.amdhsa_inst_pref_size 255
		.amdhsa_round_robin_scheduling 0
		.amdhsa_exception_fp_ieee_invalid_op 0
		.amdhsa_exception_fp_denorm_src 0
		.amdhsa_exception_fp_ieee_div_zero 0
		.amdhsa_exception_fp_ieee_overflow 0
		.amdhsa_exception_fp_ieee_underflow 0
		.amdhsa_exception_fp_ieee_inexact 0
		.amdhsa_exception_int_div_zero 0
	.end_amdhsa_kernel
	.section	.text._ZN2at6native32elementwise_kernel_manual_unrollILi128ELi4EZNS0_15gpu_kernel_implIZZZNS0_12_GLOBAL__N_142_validate_compressed_sparse_indices_kernelILNS3_8CDimNameE1ENS3_18CUDAKernelLauncherENS3_14EmptyVecKernelENS3_8DummyVecELm0EEEvRKNS_6TensorESB_lllENKUlvE1_clEvENKUlvE_clEvEUliiiiiE_EEvRNS_18TensorIteratorBaseERKT_EUlibE_EEviT1_,"axG",@progbits,_ZN2at6native32elementwise_kernel_manual_unrollILi128ELi4EZNS0_15gpu_kernel_implIZZZNS0_12_GLOBAL__N_142_validate_compressed_sparse_indices_kernelILNS3_8CDimNameE1ENS3_18CUDAKernelLauncherENS3_14EmptyVecKernelENS3_8DummyVecELm0EEEvRKNS_6TensorESB_lllENKUlvE1_clEvENKUlvE_clEvEUliiiiiE_EEvRNS_18TensorIteratorBaseERKT_EUlibE_EEviT1_,comdat
.Lfunc_end118:
	.size	_ZN2at6native32elementwise_kernel_manual_unrollILi128ELi4EZNS0_15gpu_kernel_implIZZZNS0_12_GLOBAL__N_142_validate_compressed_sparse_indices_kernelILNS3_8CDimNameE1ENS3_18CUDAKernelLauncherENS3_14EmptyVecKernelENS3_8DummyVecELm0EEEvRKNS_6TensorESB_lllENKUlvE1_clEvENKUlvE_clEvEUliiiiiE_EEvRNS_18TensorIteratorBaseERKT_EUlibE_EEviT1_, .Lfunc_end118-_ZN2at6native32elementwise_kernel_manual_unrollILi128ELi4EZNS0_15gpu_kernel_implIZZZNS0_12_GLOBAL__N_142_validate_compressed_sparse_indices_kernelILNS3_8CDimNameE1ENS3_18CUDAKernelLauncherENS3_14EmptyVecKernelENS3_8DummyVecELm0EEEvRKNS_6TensorESB_lllENKUlvE1_clEvENKUlvE_clEvEUliiiiiE_EEvRNS_18TensorIteratorBaseERKT_EUlibE_EEviT1_
                                        ; -- End function
	.set _ZN2at6native32elementwise_kernel_manual_unrollILi128ELi4EZNS0_15gpu_kernel_implIZZZNS0_12_GLOBAL__N_142_validate_compressed_sparse_indices_kernelILNS3_8CDimNameE1ENS3_18CUDAKernelLauncherENS3_14EmptyVecKernelENS3_8DummyVecELm0EEEvRKNS_6TensorESB_lllENKUlvE1_clEvENKUlvE_clEvEUliiiiiE_EEvRNS_18TensorIteratorBaseERKT_EUlibE_EEviT1_.num_vgpr, 36
	.set _ZN2at6native32elementwise_kernel_manual_unrollILi128ELi4EZNS0_15gpu_kernel_implIZZZNS0_12_GLOBAL__N_142_validate_compressed_sparse_indices_kernelILNS3_8CDimNameE1ENS3_18CUDAKernelLauncherENS3_14EmptyVecKernelENS3_8DummyVecELm0EEEvRKNS_6TensorESB_lllENKUlvE1_clEvENKUlvE_clEvEUliiiiiE_EEvRNS_18TensorIteratorBaseERKT_EUlibE_EEviT1_.num_agpr, 0
	.set _ZN2at6native32elementwise_kernel_manual_unrollILi128ELi4EZNS0_15gpu_kernel_implIZZZNS0_12_GLOBAL__N_142_validate_compressed_sparse_indices_kernelILNS3_8CDimNameE1ENS3_18CUDAKernelLauncherENS3_14EmptyVecKernelENS3_8DummyVecELm0EEEvRKNS_6TensorESB_lllENKUlvE1_clEvENKUlvE_clEvEUliiiiiE_EEvRNS_18TensorIteratorBaseERKT_EUlibE_EEviT1_.numbered_sgpr, 102
	.set _ZN2at6native32elementwise_kernel_manual_unrollILi128ELi4EZNS0_15gpu_kernel_implIZZZNS0_12_GLOBAL__N_142_validate_compressed_sparse_indices_kernelILNS3_8CDimNameE1ENS3_18CUDAKernelLauncherENS3_14EmptyVecKernelENS3_8DummyVecELm0EEEvRKNS_6TensorESB_lllENKUlvE1_clEvENKUlvE_clEvEUliiiiiE_EEvRNS_18TensorIteratorBaseERKT_EUlibE_EEviT1_.num_named_barrier, 0
	.set _ZN2at6native32elementwise_kernel_manual_unrollILi128ELi4EZNS0_15gpu_kernel_implIZZZNS0_12_GLOBAL__N_142_validate_compressed_sparse_indices_kernelILNS3_8CDimNameE1ENS3_18CUDAKernelLauncherENS3_14EmptyVecKernelENS3_8DummyVecELm0EEEvRKNS_6TensorESB_lllENKUlvE1_clEvENKUlvE_clEvEUliiiiiE_EEvRNS_18TensorIteratorBaseERKT_EUlibE_EEviT1_.private_seg_size, 0
	.set _ZN2at6native32elementwise_kernel_manual_unrollILi128ELi4EZNS0_15gpu_kernel_implIZZZNS0_12_GLOBAL__N_142_validate_compressed_sparse_indices_kernelILNS3_8CDimNameE1ENS3_18CUDAKernelLauncherENS3_14EmptyVecKernelENS3_8DummyVecELm0EEEvRKNS_6TensorESB_lllENKUlvE1_clEvENKUlvE_clEvEUliiiiiE_EEvRNS_18TensorIteratorBaseERKT_EUlibE_EEviT1_.uses_vcc, 1
	.set _ZN2at6native32elementwise_kernel_manual_unrollILi128ELi4EZNS0_15gpu_kernel_implIZZZNS0_12_GLOBAL__N_142_validate_compressed_sparse_indices_kernelILNS3_8CDimNameE1ENS3_18CUDAKernelLauncherENS3_14EmptyVecKernelENS3_8DummyVecELm0EEEvRKNS_6TensorESB_lllENKUlvE1_clEvENKUlvE_clEvEUliiiiiE_EEvRNS_18TensorIteratorBaseERKT_EUlibE_EEviT1_.uses_flat_scratch, 0
	.set _ZN2at6native32elementwise_kernel_manual_unrollILi128ELi4EZNS0_15gpu_kernel_implIZZZNS0_12_GLOBAL__N_142_validate_compressed_sparse_indices_kernelILNS3_8CDimNameE1ENS3_18CUDAKernelLauncherENS3_14EmptyVecKernelENS3_8DummyVecELm0EEEvRKNS_6TensorESB_lllENKUlvE1_clEvENKUlvE_clEvEUliiiiiE_EEvRNS_18TensorIteratorBaseERKT_EUlibE_EEviT1_.has_dyn_sized_stack, 0
	.set _ZN2at6native32elementwise_kernel_manual_unrollILi128ELi4EZNS0_15gpu_kernel_implIZZZNS0_12_GLOBAL__N_142_validate_compressed_sparse_indices_kernelILNS3_8CDimNameE1ENS3_18CUDAKernelLauncherENS3_14EmptyVecKernelENS3_8DummyVecELm0EEEvRKNS_6TensorESB_lllENKUlvE1_clEvENKUlvE_clEvEUliiiiiE_EEvRNS_18TensorIteratorBaseERKT_EUlibE_EEviT1_.has_recursion, 0
	.set _ZN2at6native32elementwise_kernel_manual_unrollILi128ELi4EZNS0_15gpu_kernel_implIZZZNS0_12_GLOBAL__N_142_validate_compressed_sparse_indices_kernelILNS3_8CDimNameE1ENS3_18CUDAKernelLauncherENS3_14EmptyVecKernelENS3_8DummyVecELm0EEEvRKNS_6TensorESB_lllENKUlvE1_clEvENKUlvE_clEvEUliiiiiE_EEvRNS_18TensorIteratorBaseERKT_EUlibE_EEviT1_.has_indirect_call, 0
	.section	.AMDGPU.csdata,"",@progbits
; Kernel info:
; codeLenInByte = 107664
; TotalNumSgprs: 104
; NumVgprs: 36
; ScratchSize: 0
; MemoryBound: 1
; FloatMode: 240
; IeeeMode: 1
; LDSByteSize: 0 bytes/workgroup (compile time only)
; SGPRBlocks: 0
; VGPRBlocks: 2
; NumSGPRsForWavesPerEU: 104
; NumVGPRsForWavesPerEU: 36
; NamedBarCnt: 0
; Occupancy: 16
; WaveLimiterHint : 0
; COMPUTE_PGM_RSRC2:SCRATCH_EN: 0
; COMPUTE_PGM_RSRC2:USER_SGPR: 2
; COMPUTE_PGM_RSRC2:TRAP_HANDLER: 0
; COMPUTE_PGM_RSRC2:TGID_X_EN: 1
; COMPUTE_PGM_RSRC2:TGID_Y_EN: 0
; COMPUTE_PGM_RSRC2:TGID_Z_EN: 0
; COMPUTE_PGM_RSRC2:TIDIG_COMP_CNT: 0
	.section	.text._ZN2at6native32elementwise_kernel_manual_unrollILi128ELi4EZNS0_15gpu_kernel_implIZZZNS0_12_GLOBAL__N_142_validate_compressed_sparse_indices_kernelILNS3_8CDimNameE1ENS3_18CUDAKernelLauncherENS3_14EmptyVecKernelENS3_8DummyVecELm0EEEvRKNS_6TensorESB_lllENKUlvE1_clEvENKUlvE_clEvEUliiiiiE_EEvRNS_18TensorIteratorBaseERKT_EUlibE0_EEviT1_,"axG",@progbits,_ZN2at6native32elementwise_kernel_manual_unrollILi128ELi4EZNS0_15gpu_kernel_implIZZZNS0_12_GLOBAL__N_142_validate_compressed_sparse_indices_kernelILNS3_8CDimNameE1ENS3_18CUDAKernelLauncherENS3_14EmptyVecKernelENS3_8DummyVecELm0EEEvRKNS_6TensorESB_lllENKUlvE1_clEvENKUlvE_clEvEUliiiiiE_EEvRNS_18TensorIteratorBaseERKT_EUlibE0_EEviT1_,comdat
	.globl	_ZN2at6native32elementwise_kernel_manual_unrollILi128ELi4EZNS0_15gpu_kernel_implIZZZNS0_12_GLOBAL__N_142_validate_compressed_sparse_indices_kernelILNS3_8CDimNameE1ENS3_18CUDAKernelLauncherENS3_14EmptyVecKernelENS3_8DummyVecELm0EEEvRKNS_6TensorESB_lllENKUlvE1_clEvENKUlvE_clEvEUliiiiiE_EEvRNS_18TensorIteratorBaseERKT_EUlibE0_EEviT1_ ; -- Begin function _ZN2at6native32elementwise_kernel_manual_unrollILi128ELi4EZNS0_15gpu_kernel_implIZZZNS0_12_GLOBAL__N_142_validate_compressed_sparse_indices_kernelILNS3_8CDimNameE1ENS3_18CUDAKernelLauncherENS3_14EmptyVecKernelENS3_8DummyVecELm0EEEvRKNS_6TensorESB_lllENKUlvE1_clEvENKUlvE_clEvEUliiiiiE_EEvRNS_18TensorIteratorBaseERKT_EUlibE0_EEviT1_
	.p2align	8
	.type	_ZN2at6native32elementwise_kernel_manual_unrollILi128ELi4EZNS0_15gpu_kernel_implIZZZNS0_12_GLOBAL__N_142_validate_compressed_sparse_indices_kernelILNS3_8CDimNameE1ENS3_18CUDAKernelLauncherENS3_14EmptyVecKernelENS3_8DummyVecELm0EEEvRKNS_6TensorESB_lllENKUlvE1_clEvENKUlvE_clEvEUliiiiiE_EEvRNS_18TensorIteratorBaseERKT_EUlibE0_EEviT1_,@function
_ZN2at6native32elementwise_kernel_manual_unrollILi128ELi4EZNS0_15gpu_kernel_implIZZZNS0_12_GLOBAL__N_142_validate_compressed_sparse_indices_kernelILNS3_8CDimNameE1ENS3_18CUDAKernelLauncherENS3_14EmptyVecKernelENS3_8DummyVecELm0EEEvRKNS_6TensorESB_lllENKUlvE1_clEvENKUlvE_clEvEUliiiiiE_EEvRNS_18TensorIteratorBaseERKT_EUlibE0_EEviT1_: ; @_ZN2at6native32elementwise_kernel_manual_unrollILi128ELi4EZNS0_15gpu_kernel_implIZZZNS0_12_GLOBAL__N_142_validate_compressed_sparse_indices_kernelILNS3_8CDimNameE1ENS3_18CUDAKernelLauncherENS3_14EmptyVecKernelENS3_8DummyVecELm0EEEvRKNS_6TensorESB_lllENKUlvE1_clEvENKUlvE_clEvEUliiiiiE_EEvRNS_18TensorIteratorBaseERKT_EUlibE0_EEviT1_
; %bb.0:
	s_clause 0x1
	s_load_b32 s33, s[0:1], 0x8
	s_load_b32 s82, s[0:1], 0x0
	s_bfe_u32 s2, ttmp6, 0x4000c
	s_and_b32 s3, ttmp6, 15
	s_add_co_i32 s2, s2, 1
	s_getreg_b32 s4, hwreg(HW_REG_IB_STS2, 6, 4)
	s_mul_i32 s2, ttmp9, s2
	s_mov_b32 s71, 0
	s_add_co_i32 s3, s3, s2
	s_cmp_eq_u32 s4, 0
	s_mov_b32 s29, -1
	s_cselect_b32 s2, ttmp9, s3
	s_mov_b32 s38, 0
	v_lshl_or_b32 v0, s2, 9, v0
	s_add_nc_u64 s[2:3], s[0:1], 8
	s_wait_xcnt 0x0
	s_mov_b32 s0, exec_lo
	s_delay_alu instid0(VALU_DEP_1) | instskip(SKIP_2) | instid1(SALU_CYCLE_1)
	v_or_b32_e32 v1, 0x180, v0
	s_wait_kmcnt 0x0
	s_add_co_i32 s70, s33, -1
	s_cmp_gt_u32 s70, 1
	s_cselect_b32 s72, -1, 0
	v_cmpx_le_i32_e64 s82, v1
	s_xor_b32 s73, exec_lo, s0
	s_cbranch_execz .LBB119_2855
; %bb.1:
	s_clause 0x4
	s_load_b64 s[34:35], s[2:3], 0x2b0
	s_load_b128 s[20:23], s[2:3], 0x4
	s_load_b64 s[46:47], s[2:3], 0x14
	s_load_b128 s[8:11], s[2:3], 0xe4
	s_load_b256 s[12:19], s[2:3], 0x280
	s_cmp_lg_u32 s33, 0
	s_clause 0x1
	s_load_b128 s[40:43], s[2:3], 0x2a0
	s_load_b32 s79, s[2:3], 0x278
	s_cselect_b32 s83, -1, 0
	s_min_u32 s81, s70, 15
	s_cmp_gt_u32 s33, 1
	s_get_pc_i64 s[4:5]
	s_add_nc_u64 s[4:5], s[4:5], .str.6@rel64+4
	s_cselect_b32 s44, -1, 0
	s_get_pc_i64 s[6:7]
	s_add_nc_u64 s[6:7], s[6:7], .str.7@rel64+4
	s_mov_b32 s53, 0
	s_mov_b32 s91, exec_lo
	s_mov_b32 s55, s53
	s_mov_b32 s90, s53
	;; [unrolled: 1-line block ×5, first 2 shown]
	s_wait_kmcnt 0x0
	s_mov_b32 s52, s21
	s_mov_b32 s54, s46
	s_lshr_b32 s1, s34, 8
	s_lshr_b32 s75, s34, 16
	s_lshr_b64 s[50:51], s[34:35], 24
	s_lshr_b32 s80, s35, 8
	s_cmp_lg_u64 s[4:5], 0
	s_get_pc_i64 s[4:5]
	s_add_nc_u64 s[4:5], s[4:5], .str.8@rel64+4
	s_cselect_b32 s17, -1, 0
	s_cmp_lg_u64 s[6:7], 0
	v_cmp_gt_i64_e64 s6, s[14:15], 0
	s_cselect_b32 s51, -1, 0
	s_cmp_lg_u64 s[4:5], 0
	s_get_pc_i64 s[4:5]
	s_add_nc_u64 s[4:5], s[4:5], .str.9@rel64+4
	s_cselect_b32 s78, -1, 0
	s_add_co_i32 s48, s16, -1
	s_mov_b32 s86, s53
	s_cmp_gt_i32 s48, -1
	s_mov_b32 s85, s53
	s_cselect_b32 s7, -1, 0
	s_mov_b32 s84, s53
	s_and_b32 s77, s6, s7
	s_cmp_lg_u64 s[4:5], 0
	s_mov_b32 s69, s53
	s_cselect_b32 s76, -1, 0
	s_mov_b32 s68, s53
	s_mov_b32 s45, s53
	v_cmpx_gt_i32_e64 s82, v0
	s_cbranch_execz .LBB119_651
; %bb.2:
	s_and_not1_b32 vcc_lo, exec_lo, s72
	s_cbranch_vccnz .LBB119_8
; %bb.3:
	s_and_not1_b32 vcc_lo, exec_lo, s83
	s_cbranch_vccnz .LBB119_9
; %bb.4:
	v_dual_mov_b32 v6, 0 :: v_dual_mov_b32 v1, v0
	v_dual_mov_b32 v4, 0 :: v_dual_mov_b32 v10, 0
	;; [unrolled: 1-line block ×3, first 2 shown]
	v_mov_b32_e32 v12, 0
	s_add_co_i32 s0, s81, 1
	s_mov_b64 s[4:5], 0xffffffffffffffd0
	s_and_b32 s0, s0, 30
	s_add_nc_u64 s[56:57], s[2:3], s[4:5]
	s_mov_b64 s[58:59], s[2:3]
.LBB119_5:                              ; =>This Inner Loop Header: Depth=1
	s_clause 0x1
	s_load_b128 s[28:31], s[58:59], 0x4
	s_load_b64 s[4:5], s[58:59], 0x14
	s_clause 0x1
	s_load_b256 s[60:67], s[56:57], 0xf4
	s_load_b128 s[36:39], s[56:57], 0x114
	s_add_co_i32 s0, s0, -2
	s_wait_xcnt 0x0
	s_add_nc_u64 s[58:59], s[58:59], 24
	s_cmp_lg_u32 s0, 0
	s_add_nc_u64 s[56:57], s[56:57], 48
	s_wait_kmcnt 0x0
	v_mul_hi_u32 v3, s29, v1
	s_delay_alu instid0(VALU_DEP_1) | instskip(NEXT) | instid1(VALU_DEP_1)
	v_add_nc_u32_e32 v3, v1, v3
	v_lshrrev_b32_e32 v3, s30, v3
	s_delay_alu instid0(VALU_DEP_1) | instskip(SKIP_1) | instid1(VALU_DEP_1)
	v_mul_hi_u32 v5, s4, v3
	v_mul_lo_u32 v7, v3, s28
	v_dual_add_nc_u32 v5, v3, v5 :: v_dual_sub_nc_u32 v7, v1, v7
	s_delay_alu instid0(VALU_DEP_1) | instskip(NEXT) | instid1(VALU_DEP_2)
	v_lshrrev_b32_e32 v1, s5, v5
	v_mad_u32 v5, v7, s61, v12
	v_mad_u32 v2, v7, s60, v2
	;; [unrolled: 1-line block ×4, first 2 shown]
	v_mul_lo_u32 v9, v1, s31
	v_mad_u32 v4, s65, v7, v4
	v_mad_u32 v6, s64, v7, v6
	s_delay_alu instid0(VALU_DEP_3) | instskip(NEXT) | instid1(VALU_DEP_1)
	v_sub_nc_u32_e32 v3, v3, v9
	v_mad_u32 v12, v3, s67, v5
	v_mad_u32 v2, v3, s66, v2
	;; [unrolled: 1-line block ×6, first 2 shown]
	s_cbranch_scc1 .LBB119_5
; %bb.6:
	s_bitcmp1_b32 s81, 0
	s_cselect_b32 s0, -1, 0
	s_delay_alu instid0(SALU_CYCLE_1)
	s_and_b32 vcc_lo, exec_lo, s0
	s_cbranch_vccnz .LBB119_10
; %bb.7:
	s_load_b96 s[4:6], s[58:59], 0x4
	s_wait_kmcnt 0x0
	v_mul_hi_u32 v3, s5, v1
	s_delay_alu instid0(VALU_DEP_1) | instskip(NEXT) | instid1(VALU_DEP_1)
	v_add_nc_u32_e32 v3, v1, v3
	v_lshrrev_b32_e32 v3, s6, v3
	s_clause 0x1
	s_load_b128 s[28:31], s[56:57], 0xf4
	s_load_b64 s[6:7], s[56:57], 0x104
	s_delay_alu instid0(VALU_DEP_1) | instskip(NEXT) | instid1(VALU_DEP_1)
	v_mul_lo_u32 v3, v3, s4
	v_sub_nc_u32_e32 v1, v1, v3
	s_wait_kmcnt 0x0
	s_delay_alu instid0(VALU_DEP_1)
	v_mad_u32 v2, v1, s28, v2
	v_mad_u32 v12, v1, s29, v12
	;; [unrolled: 1-line block ×6, first 2 shown]
	s_cbranch_execz .LBB119_11
	s_branch .LBB119_13
.LBB119_8:
                                        ; implicit-def: $vgpr12
                                        ; implicit-def: $vgpr2
                                        ; implicit-def: $vgpr8
                                        ; implicit-def: $vgpr10
                                        ; implicit-def: $vgpr4
                                        ; implicit-def: $vgpr6
	s_branch .LBB119_11
.LBB119_9:
	v_dual_mov_b32 v12, 0 :: v_dual_mov_b32 v2, 0
	v_dual_mov_b32 v8, 0 :: v_dual_mov_b32 v10, 0
	;; [unrolled: 1-line block ×3, first 2 shown]
.LBB119_10:
	s_cbranch_execnz .LBB119_13
.LBB119_11:
	v_mov_b32_e32 v1, 0
	s_load_b256 s[24:31], s[2:3], 0xc4
	s_and_not1_b32 vcc_lo, exec_lo, s44
	s_delay_alu instid0(VALU_DEP_1) | instskip(NEXT) | instid1(VALU_DEP_1)
	v_mul_u64_e32 v[2:3], s[52:53], v[0:1]
	v_add_nc_u32_e32 v2, v0, v3
	s_delay_alu instid0(VALU_DEP_1) | instskip(NEXT) | instid1(VALU_DEP_1)
	v_lshrrev_b32_e32 v14, s22, v2
	v_mul_lo_u32 v2, v14, s20
	s_delay_alu instid0(VALU_DEP_1) | instskip(SKIP_1) | instid1(VALU_DEP_1)
	v_sub_nc_u32_e32 v3, v0, v2
	s_wait_kmcnt 0x0
	v_mul_lo_u32 v12, v3, s25
	v_mul_lo_u32 v2, v3, s24
	;; [unrolled: 1-line block ×6, first 2 shown]
	s_cbranch_vccnz .LBB119_13
; %bb.12:
	v_mov_b32_e32 v15, v1
	s_delay_alu instid0(VALU_DEP_1) | instskip(NEXT) | instid1(VALU_DEP_1)
	v_mul_u64_e32 v[16:17], s[54:55], v[14:15]
	v_add_nc_u32_e32 v1, v14, v17
	s_delay_alu instid0(VALU_DEP_1) | instskip(NEXT) | instid1(VALU_DEP_1)
	v_lshrrev_b32_e32 v1, s47, v1
	v_mul_lo_u32 v1, v1, s23
	s_delay_alu instid0(VALU_DEP_1) | instskip(NEXT) | instid1(VALU_DEP_1)
	v_sub_nc_u32_e32 v1, v14, v1
	v_mad_u32 v2, v1, s30, v2
	v_mad_u32 v12, v1, s31, v12
	;; [unrolled: 1-line block ×6, first 2 shown]
.LBB119_13:
	s_load_b256 s[4:11], s[2:3], 0x248
	v_mov_b32_e32 v13, 0
	s_and_b32 s0, s1, 0xff
	s_delay_alu instid0(SALU_CYCLE_1) | instskip(SKIP_1) | instid1(VALU_DEP_1)
	s_cmp_lt_i32 s0, 11
	s_wait_kmcnt 0x0
	v_add_nc_u64_e32 v[12:13], s[6:7], v[12:13]
	s_cbranch_scc1 .LBB119_20
; %bb.14:
	s_and_b32 s29, 0xffff, s0
	s_delay_alu instid0(SALU_CYCLE_1)
	s_cmp_gt_i32 s29, 25
	s_cbranch_scc0 .LBB119_29
; %bb.15:
	s_cmp_gt_i32 s29, 28
	s_cbranch_scc0 .LBB119_39
; %bb.16:
	;; [unrolled: 3-line block ×4, first 2 shown]
	s_cmp_eq_u32 s29, 46
	s_mov_b32 s31, 0
	s_cbranch_scc0 .LBB119_48
; %bb.19:
	global_load_b32 v1, v[12:13], off
	s_mov_b32 s30, -1
	s_mov_b32 s28, 0
	s_wait_loadcnt 0x0
	v_lshlrev_b32_e32 v1, 16, v1
	s_delay_alu instid0(VALU_DEP_1)
	v_cvt_i32_f32_e32 v1, v1
	s_branch .LBB119_50
.LBB119_20:
	s_mov_b32 s28, 0
	s_mov_b32 s30, 0
                                        ; implicit-def: $vgpr1
	s_cbranch_execnz .LBB119_112
.LBB119_21:
	s_and_not1_b32 vcc_lo, exec_lo, s30
	s_cbranch_vccnz .LBB119_159
.LBB119_22:
	s_load_b256 s[4:11], s[2:3], 0x248
	v_mov_b32_e32 v11, 0
	s_and_b32 s0, s75, 0xff
	s_delay_alu instid0(SALU_CYCLE_1) | instskip(SKIP_1) | instid1(VALU_DEP_1)
	s_cmp_lt_i32 s0, 11
	s_wait_kmcnt 0x0
	v_add_nc_u64_e32 v[10:11], s[8:9], v[10:11]
	s_cbranch_scc1 .LBB119_30
; %bb.23:
	s_and_b32 s30, 0xffff, s0
	s_delay_alu instid0(SALU_CYCLE_1)
	s_cmp_gt_i32 s30, 25
	s_cbranch_scc0 .LBB119_40
; %bb.24:
	s_cmp_gt_i32 s30, 28
	s_cbranch_scc0 .LBB119_43
; %bb.25:
	;; [unrolled: 3-line block ×4, first 2 shown]
	s_cmp_eq_u32 s30, 46
	s_mov_b32 s36, 0
	s_cbranch_scc0 .LBB119_160
; %bb.28:
	global_load_b32 v3, v[10:11], off
	s_mov_b32 s31, -1
	s_mov_b32 s29, 0
	s_wait_loadcnt 0x0
	v_lshlrev_b32_e32 v3, 16, v3
	s_delay_alu instid0(VALU_DEP_1)
	v_cvt_i32_f32_e32 v3, v3
	s_branch .LBB119_162
.LBB119_29:
	s_mov_b32 s28, 0
	s_mov_b32 s30, 0
                                        ; implicit-def: $vgpr1
	s_cbranch_execnz .LBB119_79
	s_branch .LBB119_111
.LBB119_30:
	s_mov_b32 s29, 0
	s_mov_b32 s31, 0
                                        ; implicit-def: $vgpr3
	s_cbranch_execnz .LBB119_224
.LBB119_31:
	s_and_not1_b32 vcc_lo, exec_lo, s31
	s_cbranch_vccnz .LBB119_272
.LBB119_32:
	s_load_b256 s[4:11], s[2:3], 0x248
	v_mov_b32_e32 v9, 0
	s_and_b32 s0, s50, 0xff
	s_delay_alu instid0(SALU_CYCLE_1) | instskip(SKIP_1) | instid1(VALU_DEP_1)
	s_cmp_lt_i32 s0, 11
	s_wait_kmcnt 0x0
	v_add_nc_u64_e32 v[10:11], s[10:11], v[8:9]
	s_cbranch_scc1 .LBB119_41
; %bb.33:
	s_and_b32 s31, 0xffff, s0
	s_delay_alu instid0(SALU_CYCLE_1)
	s_cmp_gt_i32 s31, 25
	s_cbranch_scc0 .LBB119_44
; %bb.34:
	s_cmp_gt_i32 s31, 28
	s_cbranch_scc0 .LBB119_47
; %bb.35:
	;; [unrolled: 3-line block ×4, first 2 shown]
	s_cmp_eq_u32 s31, 46
	s_mov_b32 s36, 0
	s_cbranch_scc0 .LBB119_273
; %bb.38:
	global_load_b32 v5, v[10:11], off
	s_mov_b32 s45, -1
	s_mov_b32 s30, 0
	s_wait_loadcnt 0x0
	v_lshlrev_b32_e32 v5, 16, v5
	s_delay_alu instid0(VALU_DEP_1)
	v_cvt_i32_f32_e32 v8, v5
	s_branch .LBB119_275
.LBB119_39:
	s_mov_b32 s31, -1
	s_mov_b32 s28, 0
	s_mov_b32 s30, 0
                                        ; implicit-def: $vgpr1
	s_branch .LBB119_62
.LBB119_40:
	s_mov_b32 s36, -1
	s_mov_b32 s29, 0
	s_mov_b32 s31, 0
                                        ; implicit-def: $vgpr3
	s_branch .LBB119_190
.LBB119_41:
	s_mov_b32 s31, -1
	s_mov_b32 s30, 0
	s_mov_b32 s45, 0
                                        ; implicit-def: $vgpr8
	s_branch .LBB119_336
.LBB119_42:
	s_mov_b32 s31, -1
	s_mov_b32 s28, 0
	s_mov_b32 s30, 0
                                        ; implicit-def: $vgpr1
	s_branch .LBB119_57
.LBB119_43:
	s_mov_b32 s36, -1
	s_mov_b32 s29, 0
	s_mov_b32 s31, 0
                                        ; implicit-def: $vgpr3
	s_branch .LBB119_173
.LBB119_44:
	s_mov_b32 s36, -1
	s_mov_b32 s30, 0
	s_mov_b32 s45, 0
                                        ; implicit-def: $vgpr8
	s_branch .LBB119_302
.LBB119_45:
	s_mov_b32 s31, -1
	s_mov_b32 s28, 0
	s_branch .LBB119_49
.LBB119_46:
	s_mov_b32 s36, -1
	s_mov_b32 s29, 0
	s_mov_b32 s31, 0
                                        ; implicit-def: $vgpr3
	s_branch .LBB119_168
.LBB119_47:
	s_mov_b32 s36, -1
	s_mov_b32 s30, 0
	s_mov_b32 s45, 0
                                        ; implicit-def: $vgpr8
	s_branch .LBB119_285
.LBB119_48:
	s_mov_b32 s28, -1
.LBB119_49:
	s_mov_b32 s30, 0
                                        ; implicit-def: $vgpr1
.LBB119_50:
	s_and_b32 vcc_lo, exec_lo, s31
	s_cbranch_vccz .LBB119_56
; %bb.51:
	s_cmp_eq_u32 s29, 44
	s_cbranch_scc0 .LBB119_55
; %bb.52:
	global_load_u8 v1, v[12:13], off
	s_mov_b32 s28, 0
	s_mov_b32 s30, -1
	s_wait_loadcnt 0x0
	v_lshlrev_b32_e32 v3, 23, v1
	v_cmp_ne_u32_e32 vcc_lo, 0, v1
	s_delay_alu instid0(VALU_DEP_2) | instskip(NEXT) | instid1(VALU_DEP_1)
	v_cvt_i32_f32_e32 v3, v3
	v_cndmask_b32_e32 v1, 0, v3, vcc_lo
	s_branch .LBB119_56
.LBB119_53:
	s_mov_b32 s36, -1
	s_mov_b32 s29, 0
	s_branch .LBB119_161
.LBB119_54:
	s_mov_b32 s36, -1
	s_mov_b32 s30, 0
	s_mov_b32 s45, 0
                                        ; implicit-def: $vgpr8
	s_branch .LBB119_280
.LBB119_55:
	s_mov_b32 s28, -1
                                        ; implicit-def: $vgpr1
.LBB119_56:
	s_mov_b32 s31, 0
.LBB119_57:
	s_delay_alu instid0(SALU_CYCLE_1)
	s_and_b32 vcc_lo, exec_lo, s31
	s_cbranch_vccz .LBB119_61
; %bb.58:
	s_cmp_eq_u32 s29, 29
	s_cbranch_scc0 .LBB119_60
; %bb.59:
	global_load_b32 v1, v[12:13], off
	s_mov_b32 s30, -1
	s_mov_b32 s28, 0
	s_branch .LBB119_61
.LBB119_60:
	s_mov_b32 s28, -1
                                        ; implicit-def: $vgpr1
.LBB119_61:
	s_mov_b32 s31, 0
.LBB119_62:
	s_delay_alu instid0(SALU_CYCLE_1)
	s_and_b32 vcc_lo, exec_lo, s31
	s_cbranch_vccz .LBB119_78
; %bb.63:
	s_cmp_lt_i32 s29, 27
	s_cbranch_scc1 .LBB119_66
; %bb.64:
	s_cmp_gt_i32 s29, 27
	s_cbranch_scc0 .LBB119_67
; %bb.65:
	s_wait_loadcnt 0x0
	global_load_b32 v1, v[12:13], off
	s_mov_b32 s30, 0
	s_branch .LBB119_68
.LBB119_66:
	s_mov_b32 s30, -1
                                        ; implicit-def: $vgpr1
	s_branch .LBB119_71
.LBB119_67:
	s_mov_b32 s30, -1
                                        ; implicit-def: $vgpr1
.LBB119_68:
	s_delay_alu instid0(SALU_CYCLE_1)
	s_and_not1_b32 vcc_lo, exec_lo, s30
	s_cbranch_vccnz .LBB119_70
; %bb.69:
	s_wait_loadcnt 0x0
	global_load_u16 v1, v[12:13], off
.LBB119_70:
	s_mov_b32 s30, 0
.LBB119_71:
	s_delay_alu instid0(SALU_CYCLE_1)
	s_and_not1_b32 vcc_lo, exec_lo, s30
	s_cbranch_vccnz .LBB119_77
; %bb.72:
	global_load_u8 v3, v[12:13], off
	s_mov_b32 s31, 0
	s_mov_b32 s4, exec_lo
	s_wait_loadcnt 0x0
	v_cmpx_lt_i16_e32 0x7f, v3
	s_xor_b32 s30, exec_lo, s4
	s_cbranch_execz .LBB119_88
; %bb.73:
	v_cmp_ne_u16_e32 vcc_lo, 0x80, v3
	s_and_b32 s31, vcc_lo, exec_lo
	s_and_not1_saveexec_b32 s30, s30
	s_cbranch_execnz .LBB119_89
.LBB119_74:
	s_or_b32 exec_lo, exec_lo, s30
	v_mov_b32_e32 v1, 0
	s_and_saveexec_b32 s30, s31
	s_cbranch_execz .LBB119_76
.LBB119_75:
	v_and_b32_e32 v1, 0xffff, v3
	s_delay_alu instid0(VALU_DEP_1) | instskip(SKIP_1) | instid1(VALU_DEP_2)
	v_and_b32_e32 v5, 7, v1
	v_bfe_u32 v11, v1, 3, 4
	v_clz_i32_u32_e32 v7, v5
	s_delay_alu instid0(VALU_DEP_2) | instskip(NEXT) | instid1(VALU_DEP_2)
	v_cmp_eq_u32_e32 vcc_lo, 0, v11
	v_min_u32_e32 v7, 32, v7
	s_delay_alu instid0(VALU_DEP_1) | instskip(NEXT) | instid1(VALU_DEP_1)
	v_subrev_nc_u32_e32 v9, 28, v7
	v_dual_lshlrev_b32 v1, v9, v1 :: v_dual_sub_nc_u32 v7, 29, v7
	s_delay_alu instid0(VALU_DEP_1) | instskip(NEXT) | instid1(VALU_DEP_1)
	v_dual_lshlrev_b32 v3, 24, v3 :: v_dual_bitop2_b32 v1, 7, v1 bitop3:0x40
	v_dual_cndmask_b32 v1, v5, v1, vcc_lo :: v_dual_cndmask_b32 v7, v11, v7, vcc_lo
	s_delay_alu instid0(VALU_DEP_2) | instskip(NEXT) | instid1(VALU_DEP_2)
	v_and_b32_e32 v3, 0x80000000, v3
	v_lshlrev_b32_e32 v1, 20, v1
	s_delay_alu instid0(VALU_DEP_3) | instskip(NEXT) | instid1(VALU_DEP_1)
	v_lshl_add_u32 v5, v7, 23, 0x3b800000
	v_or3_b32 v1, v3, v5, v1
	s_delay_alu instid0(VALU_DEP_1)
	v_cvt_i32_f32_e32 v1, v1
.LBB119_76:
	s_or_b32 exec_lo, exec_lo, s30
.LBB119_77:
	s_mov_b32 s30, -1
.LBB119_78:
	s_branch .LBB119_111
.LBB119_79:
	s_cmp_gt_i32 s29, 22
	s_cbranch_scc0 .LBB119_87
; %bb.80:
	s_cmp_lt_i32 s29, 24
	s_cbranch_scc1 .LBB119_90
; %bb.81:
	s_cmp_gt_i32 s29, 24
	s_cbranch_scc0 .LBB119_91
; %bb.82:
	global_load_u8 v3, v[12:13], off
	s_mov_b32 s31, 0
	s_mov_b32 s4, exec_lo
	s_wait_loadcnt 0x0
	v_cmpx_lt_i16_e32 0x7f, v3
	s_xor_b32 s30, exec_lo, s4
	s_cbranch_execz .LBB119_103
; %bb.83:
	v_cmp_ne_u16_e32 vcc_lo, 0x80, v3
	s_and_b32 s31, vcc_lo, exec_lo
	s_and_not1_saveexec_b32 s30, s30
	s_cbranch_execnz .LBB119_104
.LBB119_84:
	s_or_b32 exec_lo, exec_lo, s30
	v_mov_b32_e32 v1, 0
	s_and_saveexec_b32 s30, s31
	s_cbranch_execz .LBB119_86
.LBB119_85:
	v_and_b32_e32 v1, 0xffff, v3
	s_delay_alu instid0(VALU_DEP_1) | instskip(SKIP_1) | instid1(VALU_DEP_2)
	v_and_b32_e32 v5, 3, v1
	v_bfe_u32 v11, v1, 2, 5
	v_clz_i32_u32_e32 v7, v5
	s_delay_alu instid0(VALU_DEP_2) | instskip(NEXT) | instid1(VALU_DEP_2)
	v_cmp_eq_u32_e32 vcc_lo, 0, v11
	v_min_u32_e32 v7, 32, v7
	s_delay_alu instid0(VALU_DEP_1) | instskip(NEXT) | instid1(VALU_DEP_1)
	v_subrev_nc_u32_e32 v9, 29, v7
	v_dual_lshlrev_b32 v1, v9, v1 :: v_dual_sub_nc_u32 v7, 30, v7
	s_delay_alu instid0(VALU_DEP_1) | instskip(NEXT) | instid1(VALU_DEP_1)
	v_dual_lshlrev_b32 v3, 24, v3 :: v_dual_bitop2_b32 v1, 3, v1 bitop3:0x40
	v_dual_cndmask_b32 v1, v5, v1, vcc_lo :: v_dual_cndmask_b32 v7, v11, v7, vcc_lo
	s_delay_alu instid0(VALU_DEP_2) | instskip(NEXT) | instid1(VALU_DEP_2)
	v_and_b32_e32 v3, 0x80000000, v3
	v_lshlrev_b32_e32 v1, 21, v1
	s_delay_alu instid0(VALU_DEP_3) | instskip(NEXT) | instid1(VALU_DEP_1)
	v_lshl_add_u32 v5, v7, 23, 0x37800000
	v_or3_b32 v1, v3, v5, v1
	s_delay_alu instid0(VALU_DEP_1)
	v_cvt_i32_f32_e32 v1, v1
.LBB119_86:
	s_or_b32 exec_lo, exec_lo, s30
	s_mov_b32 s30, 0
	s_branch .LBB119_92
.LBB119_87:
	s_mov_b32 s31, -1
                                        ; implicit-def: $vgpr1
	s_branch .LBB119_98
.LBB119_88:
	s_and_not1_saveexec_b32 s30, s30
	s_cbranch_execz .LBB119_74
.LBB119_89:
	v_cmp_ne_u16_e32 vcc_lo, 0, v3
	s_and_not1_b32 s4, s31, exec_lo
	s_and_b32 s5, vcc_lo, exec_lo
	s_delay_alu instid0(SALU_CYCLE_1)
	s_or_b32 s31, s4, s5
	s_or_b32 exec_lo, exec_lo, s30
	v_mov_b32_e32 v1, 0
	s_and_saveexec_b32 s30, s31
	s_cbranch_execnz .LBB119_75
	s_branch .LBB119_76
.LBB119_90:
	s_mov_b32 s30, -1
                                        ; implicit-def: $vgpr1
	s_branch .LBB119_95
.LBB119_91:
	s_mov_b32 s30, -1
                                        ; implicit-def: $vgpr1
.LBB119_92:
	s_delay_alu instid0(SALU_CYCLE_1)
	s_and_b32 vcc_lo, exec_lo, s30
	s_cbranch_vccz .LBB119_94
; %bb.93:
	s_wait_loadcnt 0x0
	global_load_u8 v1, v[12:13], off
	s_wait_loadcnt 0x0
	v_lshlrev_b32_e32 v1, 24, v1
	s_delay_alu instid0(VALU_DEP_1) | instskip(NEXT) | instid1(VALU_DEP_1)
	v_and_b32_e32 v3, 0x7f000000, v1
	v_clz_i32_u32_e32 v5, v3
	v_add_nc_u32_e32 v9, 0x1000000, v3
	v_cmp_ne_u32_e32 vcc_lo, 0, v3
	s_delay_alu instid0(VALU_DEP_3) | instskip(NEXT) | instid1(VALU_DEP_1)
	v_min_u32_e32 v5, 32, v5
	v_sub_nc_u32_e64 v5, v5, 4 clamp
	s_delay_alu instid0(VALU_DEP_1) | instskip(NEXT) | instid1(VALU_DEP_1)
	v_dual_lshlrev_b32 v7, v5, v3 :: v_dual_lshlrev_b32 v5, 23, v5
	v_lshrrev_b32_e32 v7, 4, v7
	s_delay_alu instid0(VALU_DEP_1) | instskip(SKIP_1) | instid1(VALU_DEP_2)
	v_sub_nc_u32_e32 v5, v7, v5
	v_ashrrev_i32_e32 v7, 8, v9
	v_add_nc_u32_e32 v5, 0x3c000000, v5
	s_delay_alu instid0(VALU_DEP_1) | instskip(NEXT) | instid1(VALU_DEP_1)
	v_and_or_b32 v5, 0x7f800000, v7, v5
	v_cndmask_b32_e32 v3, 0, v5, vcc_lo
	s_delay_alu instid0(VALU_DEP_1) | instskip(NEXT) | instid1(VALU_DEP_1)
	v_and_or_b32 v1, 0x80000000, v1, v3
	v_cvt_i32_f32_e32 v1, v1
.LBB119_94:
	s_mov_b32 s30, 0
.LBB119_95:
	s_delay_alu instid0(SALU_CYCLE_1)
	s_and_not1_b32 vcc_lo, exec_lo, s30
	s_cbranch_vccnz .LBB119_97
; %bb.96:
	s_wait_loadcnt 0x0
	global_load_u8 v1, v[12:13], off
	s_wait_loadcnt 0x0
	v_lshlrev_b32_e32 v3, 25, v1
	v_lshlrev_b16 v1, 8, v1
	s_delay_alu instid0(VALU_DEP_1) | instskip(SKIP_1) | instid1(VALU_DEP_2)
	v_and_or_b32 v7, 0x7f00, v1, 0.5
	v_bfe_i32 v1, v1, 0, 16
	v_add_f32_e32 v7, -0.5, v7
	v_lshrrev_b32_e32 v5, 4, v3
	v_cmp_gt_u32_e32 vcc_lo, 0x8000000, v3
	s_delay_alu instid0(VALU_DEP_2) | instskip(NEXT) | instid1(VALU_DEP_1)
	v_or_b32_e32 v5, 0x70000000, v5
	v_mul_f32_e32 v5, 0x7800000, v5
	s_delay_alu instid0(VALU_DEP_1) | instskip(NEXT) | instid1(VALU_DEP_1)
	v_cndmask_b32_e32 v3, v5, v7, vcc_lo
	v_and_or_b32 v1, 0x80000000, v1, v3
	s_delay_alu instid0(VALU_DEP_1)
	v_cvt_i32_f32_e32 v1, v1
.LBB119_97:
	s_mov_b32 s31, 0
	s_mov_b32 s30, -1
.LBB119_98:
	s_and_not1_b32 vcc_lo, exec_lo, s31
	s_cbranch_vccnz .LBB119_111
; %bb.99:
	s_cmp_gt_i32 s29, 14
	s_cbranch_scc0 .LBB119_102
; %bb.100:
	s_cmp_eq_u32 s29, 15
	s_cbranch_scc0 .LBB119_105
; %bb.101:
	s_wait_loadcnt 0x0
	global_load_u16 v1, v[12:13], off
	s_mov_b32 s30, -1
	s_mov_b32 s28, 0
	s_wait_loadcnt 0x0
	v_lshlrev_b32_e32 v1, 16, v1
	s_delay_alu instid0(VALU_DEP_1)
	v_cvt_i32_f32_e32 v1, v1
	s_branch .LBB119_106
.LBB119_102:
	s_mov_b32 s31, -1
                                        ; implicit-def: $vgpr1
	s_branch .LBB119_107
.LBB119_103:
	s_and_not1_saveexec_b32 s30, s30
	s_cbranch_execz .LBB119_84
.LBB119_104:
	v_cmp_ne_u16_e32 vcc_lo, 0, v3
	s_and_not1_b32 s4, s31, exec_lo
	s_and_b32 s5, vcc_lo, exec_lo
	s_delay_alu instid0(SALU_CYCLE_1)
	s_or_b32 s31, s4, s5
	s_or_b32 exec_lo, exec_lo, s30
	v_mov_b32_e32 v1, 0
	s_and_saveexec_b32 s30, s31
	s_cbranch_execnz .LBB119_85
	s_branch .LBB119_86
.LBB119_105:
	s_mov_b32 s28, -1
                                        ; implicit-def: $vgpr1
.LBB119_106:
	s_mov_b32 s31, 0
.LBB119_107:
	s_delay_alu instid0(SALU_CYCLE_1)
	s_and_b32 vcc_lo, exec_lo, s31
	s_cbranch_vccz .LBB119_111
; %bb.108:
	s_cmp_eq_u32 s29, 11
	s_cbranch_scc0 .LBB119_110
; %bb.109:
	s_wait_loadcnt 0x0
	global_load_u8 v1, v[12:13], off
	s_mov_b32 s28, 0
	s_mov_b32 s30, -1
	s_wait_loadcnt 0x0
	v_cmp_ne_u16_e32 vcc_lo, 0, v1
	v_cndmask_b32_e64 v1, 0, 1, vcc_lo
	s_branch .LBB119_111
.LBB119_110:
	s_mov_b32 s28, -1
                                        ; implicit-def: $vgpr1
.LBB119_111:
	s_branch .LBB119_21
.LBB119_112:
	s_and_b32 s0, 0xffff, s0
	s_delay_alu instid0(SALU_CYCLE_1)
	s_cmp_lt_i32 s0, 5
	s_cbranch_scc1 .LBB119_117
; %bb.113:
	s_cmp_lt_i32 s0, 8
	s_cbranch_scc1 .LBB119_118
; %bb.114:
	;; [unrolled: 3-line block ×3, first 2 shown]
	s_cmp_gt_i32 s0, 9
	s_cbranch_scc0 .LBB119_120
; %bb.116:
	global_load_b64 v[14:15], v[12:13], off
	s_mov_b32 s29, 0
	s_wait_loadcnt 0x0
	v_cvt_i32_f64_e32 v1, v[14:15]
	s_branch .LBB119_121
.LBB119_117:
                                        ; implicit-def: $vgpr1
	s_branch .LBB119_139
.LBB119_118:
	s_mov_b32 s29, -1
                                        ; implicit-def: $vgpr1
	s_branch .LBB119_127
.LBB119_119:
	s_mov_b32 s29, -1
                                        ; implicit-def: $vgpr1
	s_branch .LBB119_124
.LBB119_120:
	s_mov_b32 s29, -1
                                        ; implicit-def: $vgpr1
.LBB119_121:
	s_delay_alu instid0(SALU_CYCLE_1)
	s_and_not1_b32 vcc_lo, exec_lo, s29
	s_cbranch_vccnz .LBB119_123
; %bb.122:
	s_wait_loadcnt 0x0
	global_load_b32 v1, v[12:13], off
	s_wait_loadcnt 0x0
	v_cvt_i32_f32_e32 v1, v1
.LBB119_123:
	s_mov_b32 s29, 0
.LBB119_124:
	s_delay_alu instid0(SALU_CYCLE_1)
	s_and_not1_b32 vcc_lo, exec_lo, s29
	s_cbranch_vccnz .LBB119_126
; %bb.125:
	s_wait_loadcnt 0x0
	global_load_b32 v1, v[12:13], off
	s_wait_loadcnt 0x0
	v_cvt_f32_f16_e32 v1, v1
	s_delay_alu instid0(VALU_DEP_1)
	v_cvt_i32_f32_e32 v1, v1
.LBB119_126:
	s_mov_b32 s29, 0
.LBB119_127:
	s_delay_alu instid0(SALU_CYCLE_1)
	s_and_not1_b32 vcc_lo, exec_lo, s29
	s_cbranch_vccnz .LBB119_138
; %bb.128:
	s_cmp_lt_i32 s0, 6
	s_cbranch_scc1 .LBB119_131
; %bb.129:
	s_cmp_gt_i32 s0, 6
	s_cbranch_scc0 .LBB119_132
; %bb.130:
	global_load_b64 v[14:15], v[12:13], off
	s_mov_b32 s29, 0
	s_wait_loadcnt 0x0
	v_cvt_i32_f64_e32 v1, v[14:15]
	s_branch .LBB119_133
.LBB119_131:
	s_mov_b32 s29, -1
                                        ; implicit-def: $vgpr1
	s_branch .LBB119_136
.LBB119_132:
	s_mov_b32 s29, -1
                                        ; implicit-def: $vgpr1
.LBB119_133:
	s_delay_alu instid0(SALU_CYCLE_1)
	s_and_not1_b32 vcc_lo, exec_lo, s29
	s_cbranch_vccnz .LBB119_135
; %bb.134:
	s_wait_loadcnt 0x0
	global_load_b32 v1, v[12:13], off
	s_wait_loadcnt 0x0
	v_cvt_i32_f32_e32 v1, v1
.LBB119_135:
	s_mov_b32 s29, 0
.LBB119_136:
	s_delay_alu instid0(SALU_CYCLE_1)
	s_and_not1_b32 vcc_lo, exec_lo, s29
	s_cbranch_vccnz .LBB119_138
; %bb.137:
	s_wait_loadcnt 0x0
	global_load_u16 v1, v[12:13], off
	s_wait_loadcnt 0x0
	v_cvt_f32_f16_e32 v1, v1
	s_delay_alu instid0(VALU_DEP_1)
	v_cvt_i32_f32_e32 v1, v1
.LBB119_138:
	s_cbranch_execnz .LBB119_158
.LBB119_139:
	s_cmp_lt_i32 s0, 2
	s_cbranch_scc1 .LBB119_143
; %bb.140:
	s_cmp_lt_i32 s0, 3
	s_cbranch_scc1 .LBB119_144
; %bb.141:
	s_cmp_gt_i32 s0, 3
	s_cbranch_scc0 .LBB119_145
; %bb.142:
	s_wait_loadcnt 0x0
	global_load_b32 v1, v[12:13], off
	s_mov_b32 s29, 0
	s_branch .LBB119_146
.LBB119_143:
	s_mov_b32 s29, -1
                                        ; implicit-def: $vgpr1
	s_branch .LBB119_152
.LBB119_144:
	s_mov_b32 s29, -1
                                        ; implicit-def: $vgpr1
	s_branch .LBB119_149
.LBB119_145:
	s_mov_b32 s29, -1
                                        ; implicit-def: $vgpr1
.LBB119_146:
	s_delay_alu instid0(SALU_CYCLE_1)
	s_and_not1_b32 vcc_lo, exec_lo, s29
	s_cbranch_vccnz .LBB119_148
; %bb.147:
	s_wait_loadcnt 0x0
	global_load_b32 v1, v[12:13], off
.LBB119_148:
	s_mov_b32 s29, 0
.LBB119_149:
	s_delay_alu instid0(SALU_CYCLE_1)
	s_and_not1_b32 vcc_lo, exec_lo, s29
	s_cbranch_vccnz .LBB119_151
; %bb.150:
	s_wait_loadcnt 0x0
	global_load_i16 v1, v[12:13], off
.LBB119_151:
	s_mov_b32 s29, 0
.LBB119_152:
	s_delay_alu instid0(SALU_CYCLE_1)
	s_and_not1_b32 vcc_lo, exec_lo, s29
	s_cbranch_vccnz .LBB119_158
; %bb.153:
	s_cmp_gt_i32 s0, 0
	s_mov_b32 s0, 0
	s_cbranch_scc0 .LBB119_155
; %bb.154:
	s_wait_loadcnt 0x0
	global_load_i8 v1, v[12:13], off
	s_branch .LBB119_156
.LBB119_155:
	s_mov_b32 s0, -1
                                        ; implicit-def: $vgpr1
.LBB119_156:
	s_delay_alu instid0(SALU_CYCLE_1)
	s_and_not1_b32 vcc_lo, exec_lo, s0
	s_cbranch_vccnz .LBB119_158
; %bb.157:
	s_wait_loadcnt 0x0
	global_load_u8 v1, v[12:13], off
.LBB119_158:
	s_branch .LBB119_22
.LBB119_159:
	s_mov_b32 s0, 0
	s_mov_b32 s36, 0
	;; [unrolled: 1-line block ×10, first 2 shown]
	s_branch .LBB119_649
.LBB119_160:
	s_mov_b32 s29, -1
.LBB119_161:
	s_mov_b32 s31, 0
                                        ; implicit-def: $vgpr3
.LBB119_162:
	s_and_b32 vcc_lo, exec_lo, s36
	s_cbranch_vccz .LBB119_167
; %bb.163:
	s_cmp_eq_u32 s30, 44
	s_cbranch_scc0 .LBB119_166
; %bb.164:
	global_load_u8 v3, v[10:11], off
	s_mov_b32 s29, 0
	s_mov_b32 s31, -1
	s_wait_loadcnt 0x0
	v_lshlrev_b32_e32 v5, 23, v3
	v_cmp_ne_u32_e32 vcc_lo, 0, v3
	s_delay_alu instid0(VALU_DEP_2) | instskip(NEXT) | instid1(VALU_DEP_1)
	v_cvt_i32_f32_e32 v5, v5
	v_cndmask_b32_e32 v3, 0, v5, vcc_lo
	s_branch .LBB119_167
.LBB119_165:
	s_mov_b32 s36, -1
	s_mov_b32 s30, 0
	s_branch .LBB119_274
.LBB119_166:
	s_mov_b32 s29, -1
                                        ; implicit-def: $vgpr3
.LBB119_167:
	s_mov_b32 s36, 0
.LBB119_168:
	s_delay_alu instid0(SALU_CYCLE_1)
	s_and_b32 vcc_lo, exec_lo, s36
	s_cbranch_vccz .LBB119_172
; %bb.169:
	s_cmp_eq_u32 s30, 29
	s_cbranch_scc0 .LBB119_171
; %bb.170:
	global_load_b32 v3, v[10:11], off
	s_mov_b32 s31, -1
	s_mov_b32 s29, 0
	s_branch .LBB119_172
.LBB119_171:
	s_mov_b32 s29, -1
                                        ; implicit-def: $vgpr3
.LBB119_172:
	s_mov_b32 s36, 0
.LBB119_173:
	s_delay_alu instid0(SALU_CYCLE_1)
	s_and_b32 vcc_lo, exec_lo, s36
	s_cbranch_vccz .LBB119_189
; %bb.174:
	s_cmp_lt_i32 s30, 27
	s_cbranch_scc1 .LBB119_177
; %bb.175:
	s_cmp_gt_i32 s30, 27
	s_cbranch_scc0 .LBB119_178
; %bb.176:
	s_wait_loadcnt 0x0
	global_load_b32 v3, v[10:11], off
	s_mov_b32 s31, 0
	s_branch .LBB119_179
.LBB119_177:
	s_mov_b32 s31, -1
                                        ; implicit-def: $vgpr3
	s_branch .LBB119_182
.LBB119_178:
	s_mov_b32 s31, -1
                                        ; implicit-def: $vgpr3
.LBB119_179:
	s_delay_alu instid0(SALU_CYCLE_1)
	s_and_not1_b32 vcc_lo, exec_lo, s31
	s_cbranch_vccnz .LBB119_181
; %bb.180:
	s_wait_loadcnt 0x0
	global_load_u16 v3, v[10:11], off
.LBB119_181:
	s_mov_b32 s31, 0
.LBB119_182:
	s_delay_alu instid0(SALU_CYCLE_1)
	s_and_not1_b32 vcc_lo, exec_lo, s31
	s_cbranch_vccnz .LBB119_188
; %bb.183:
	global_load_u8 v5, v[10:11], off
	s_mov_b32 s36, 0
	s_mov_b32 s4, exec_lo
	s_wait_loadcnt 0x0
	v_cmpx_lt_i16_e32 0x7f, v5
	s_xor_b32 s31, exec_lo, s4
	s_cbranch_execz .LBB119_200
; %bb.184:
	v_cmp_ne_u16_e32 vcc_lo, 0x80, v5
	s_and_b32 s36, vcc_lo, exec_lo
	s_and_not1_saveexec_b32 s31, s31
	s_cbranch_execnz .LBB119_201
.LBB119_185:
	s_or_b32 exec_lo, exec_lo, s31
	v_mov_b32_e32 v3, 0
	s_and_saveexec_b32 s31, s36
	s_cbranch_execz .LBB119_187
.LBB119_186:
	v_and_b32_e32 v3, 0xffff, v5
	s_delay_alu instid0(VALU_DEP_1) | instskip(SKIP_1) | instid1(VALU_DEP_2)
	v_and_b32_e32 v7, 7, v3
	v_bfe_u32 v13, v3, 3, 4
	v_clz_i32_u32_e32 v9, v7
	s_delay_alu instid0(VALU_DEP_2) | instskip(NEXT) | instid1(VALU_DEP_2)
	v_cmp_eq_u32_e32 vcc_lo, 0, v13
	v_min_u32_e32 v9, 32, v9
	s_delay_alu instid0(VALU_DEP_1) | instskip(NEXT) | instid1(VALU_DEP_1)
	v_subrev_nc_u32_e32 v12, 28, v9
	v_dual_lshlrev_b32 v3, v12, v3 :: v_dual_sub_nc_u32 v9, 29, v9
	s_delay_alu instid0(VALU_DEP_1) | instskip(NEXT) | instid1(VALU_DEP_1)
	v_dual_lshlrev_b32 v5, 24, v5 :: v_dual_bitop2_b32 v3, 7, v3 bitop3:0x40
	v_dual_cndmask_b32 v3, v7, v3, vcc_lo :: v_dual_cndmask_b32 v9, v13, v9, vcc_lo
	s_delay_alu instid0(VALU_DEP_2) | instskip(NEXT) | instid1(VALU_DEP_2)
	v_and_b32_e32 v5, 0x80000000, v5
	v_lshlrev_b32_e32 v3, 20, v3
	s_delay_alu instid0(VALU_DEP_3) | instskip(NEXT) | instid1(VALU_DEP_1)
	v_lshl_add_u32 v7, v9, 23, 0x3b800000
	v_or3_b32 v3, v5, v7, v3
	s_delay_alu instid0(VALU_DEP_1)
	v_cvt_i32_f32_e32 v3, v3
.LBB119_187:
	s_or_b32 exec_lo, exec_lo, s31
.LBB119_188:
	s_mov_b32 s31, -1
.LBB119_189:
	s_mov_b32 s36, 0
.LBB119_190:
	s_delay_alu instid0(SALU_CYCLE_1)
	s_and_b32 vcc_lo, exec_lo, s36
	s_cbranch_vccz .LBB119_223
; %bb.191:
	s_cmp_gt_i32 s30, 22
	s_cbranch_scc0 .LBB119_199
; %bb.192:
	s_cmp_lt_i32 s30, 24
	s_cbranch_scc1 .LBB119_202
; %bb.193:
	s_cmp_gt_i32 s30, 24
	s_cbranch_scc0 .LBB119_203
; %bb.194:
	global_load_u8 v5, v[10:11], off
	s_mov_b32 s36, 0
	s_mov_b32 s4, exec_lo
	s_wait_loadcnt 0x0
	v_cmpx_lt_i16_e32 0x7f, v5
	s_xor_b32 s31, exec_lo, s4
	s_cbranch_execz .LBB119_215
; %bb.195:
	v_cmp_ne_u16_e32 vcc_lo, 0x80, v5
	s_and_b32 s36, vcc_lo, exec_lo
	s_and_not1_saveexec_b32 s31, s31
	s_cbranch_execnz .LBB119_216
.LBB119_196:
	s_or_b32 exec_lo, exec_lo, s31
	v_mov_b32_e32 v3, 0
	s_and_saveexec_b32 s31, s36
	s_cbranch_execz .LBB119_198
.LBB119_197:
	v_and_b32_e32 v3, 0xffff, v5
	s_delay_alu instid0(VALU_DEP_1) | instskip(SKIP_1) | instid1(VALU_DEP_2)
	v_and_b32_e32 v7, 3, v3
	v_bfe_u32 v13, v3, 2, 5
	v_clz_i32_u32_e32 v9, v7
	s_delay_alu instid0(VALU_DEP_2) | instskip(NEXT) | instid1(VALU_DEP_2)
	v_cmp_eq_u32_e32 vcc_lo, 0, v13
	v_min_u32_e32 v9, 32, v9
	s_delay_alu instid0(VALU_DEP_1) | instskip(NEXT) | instid1(VALU_DEP_1)
	v_subrev_nc_u32_e32 v12, 29, v9
	v_dual_lshlrev_b32 v3, v12, v3 :: v_dual_sub_nc_u32 v9, 30, v9
	s_delay_alu instid0(VALU_DEP_1) | instskip(NEXT) | instid1(VALU_DEP_1)
	v_dual_lshlrev_b32 v5, 24, v5 :: v_dual_bitop2_b32 v3, 3, v3 bitop3:0x40
	v_dual_cndmask_b32 v3, v7, v3, vcc_lo :: v_dual_cndmask_b32 v9, v13, v9, vcc_lo
	s_delay_alu instid0(VALU_DEP_2) | instskip(NEXT) | instid1(VALU_DEP_2)
	v_and_b32_e32 v5, 0x80000000, v5
	v_lshlrev_b32_e32 v3, 21, v3
	s_delay_alu instid0(VALU_DEP_3) | instskip(NEXT) | instid1(VALU_DEP_1)
	v_lshl_add_u32 v7, v9, 23, 0x37800000
	v_or3_b32 v3, v5, v7, v3
	s_delay_alu instid0(VALU_DEP_1)
	v_cvt_i32_f32_e32 v3, v3
.LBB119_198:
	s_or_b32 exec_lo, exec_lo, s31
	s_mov_b32 s31, 0
	s_branch .LBB119_204
.LBB119_199:
	s_mov_b32 s36, -1
                                        ; implicit-def: $vgpr3
	s_branch .LBB119_210
.LBB119_200:
	s_and_not1_saveexec_b32 s31, s31
	s_cbranch_execz .LBB119_185
.LBB119_201:
	v_cmp_ne_u16_e32 vcc_lo, 0, v5
	s_and_not1_b32 s4, s36, exec_lo
	s_and_b32 s5, vcc_lo, exec_lo
	s_delay_alu instid0(SALU_CYCLE_1)
	s_or_b32 s36, s4, s5
	s_or_b32 exec_lo, exec_lo, s31
	v_mov_b32_e32 v3, 0
	s_and_saveexec_b32 s31, s36
	s_cbranch_execnz .LBB119_186
	s_branch .LBB119_187
.LBB119_202:
	s_mov_b32 s31, -1
                                        ; implicit-def: $vgpr3
	s_branch .LBB119_207
.LBB119_203:
	s_mov_b32 s31, -1
                                        ; implicit-def: $vgpr3
.LBB119_204:
	s_delay_alu instid0(SALU_CYCLE_1)
	s_and_b32 vcc_lo, exec_lo, s31
	s_cbranch_vccz .LBB119_206
; %bb.205:
	s_wait_loadcnt 0x0
	global_load_u8 v3, v[10:11], off
	s_wait_loadcnt 0x0
	v_lshlrev_b32_e32 v3, 24, v3
	s_delay_alu instid0(VALU_DEP_1) | instskip(NEXT) | instid1(VALU_DEP_1)
	v_and_b32_e32 v5, 0x7f000000, v3
	v_clz_i32_u32_e32 v7, v5
	v_cmp_ne_u32_e32 vcc_lo, 0, v5
	v_add_nc_u32_e32 v12, 0x1000000, v5
	s_delay_alu instid0(VALU_DEP_3) | instskip(NEXT) | instid1(VALU_DEP_1)
	v_min_u32_e32 v7, 32, v7
	v_sub_nc_u32_e64 v7, v7, 4 clamp
	s_delay_alu instid0(VALU_DEP_1) | instskip(NEXT) | instid1(VALU_DEP_1)
	v_dual_lshlrev_b32 v9, v7, v5 :: v_dual_lshlrev_b32 v7, 23, v7
	v_lshrrev_b32_e32 v9, 4, v9
	s_delay_alu instid0(VALU_DEP_1) | instskip(NEXT) | instid1(VALU_DEP_1)
	v_dual_sub_nc_u32 v7, v9, v7 :: v_dual_ashrrev_i32 v9, 8, v12
	v_add_nc_u32_e32 v7, 0x3c000000, v7
	s_delay_alu instid0(VALU_DEP_1) | instskip(NEXT) | instid1(VALU_DEP_1)
	v_and_or_b32 v7, 0x7f800000, v9, v7
	v_cndmask_b32_e32 v5, 0, v7, vcc_lo
	s_delay_alu instid0(VALU_DEP_1) | instskip(NEXT) | instid1(VALU_DEP_1)
	v_and_or_b32 v3, 0x80000000, v3, v5
	v_cvt_i32_f32_e32 v3, v3
.LBB119_206:
	s_mov_b32 s31, 0
.LBB119_207:
	s_delay_alu instid0(SALU_CYCLE_1)
	s_and_not1_b32 vcc_lo, exec_lo, s31
	s_cbranch_vccnz .LBB119_209
; %bb.208:
	s_wait_loadcnt 0x0
	global_load_u8 v3, v[10:11], off
	s_wait_loadcnt 0x0
	v_lshlrev_b32_e32 v5, 25, v3
	v_lshlrev_b16 v3, 8, v3
	s_delay_alu instid0(VALU_DEP_1) | instskip(SKIP_1) | instid1(VALU_DEP_2)
	v_and_or_b32 v9, 0x7f00, v3, 0.5
	v_bfe_i32 v3, v3, 0, 16
	v_add_f32_e32 v9, -0.5, v9
	v_lshrrev_b32_e32 v7, 4, v5
	v_cmp_gt_u32_e32 vcc_lo, 0x8000000, v5
	s_delay_alu instid0(VALU_DEP_2) | instskip(NEXT) | instid1(VALU_DEP_1)
	v_or_b32_e32 v7, 0x70000000, v7
	v_mul_f32_e32 v7, 0x7800000, v7
	s_delay_alu instid0(VALU_DEP_1) | instskip(NEXT) | instid1(VALU_DEP_1)
	v_cndmask_b32_e32 v5, v7, v9, vcc_lo
	v_and_or_b32 v3, 0x80000000, v3, v5
	s_delay_alu instid0(VALU_DEP_1)
	v_cvt_i32_f32_e32 v3, v3
.LBB119_209:
	s_mov_b32 s36, 0
	s_mov_b32 s31, -1
.LBB119_210:
	s_and_not1_b32 vcc_lo, exec_lo, s36
	s_cbranch_vccnz .LBB119_223
; %bb.211:
	s_cmp_gt_i32 s30, 14
	s_cbranch_scc0 .LBB119_214
; %bb.212:
	s_cmp_eq_u32 s30, 15
	s_cbranch_scc0 .LBB119_217
; %bb.213:
	s_wait_loadcnt 0x0
	global_load_u16 v3, v[10:11], off
	s_mov_b32 s31, -1
	s_mov_b32 s29, 0
	s_wait_loadcnt 0x0
	v_lshlrev_b32_e32 v3, 16, v3
	s_delay_alu instid0(VALU_DEP_1)
	v_cvt_i32_f32_e32 v3, v3
	s_branch .LBB119_218
.LBB119_214:
	s_mov_b32 s36, -1
                                        ; implicit-def: $vgpr3
	s_branch .LBB119_219
.LBB119_215:
	s_and_not1_saveexec_b32 s31, s31
	s_cbranch_execz .LBB119_196
.LBB119_216:
	v_cmp_ne_u16_e32 vcc_lo, 0, v5
	s_and_not1_b32 s4, s36, exec_lo
	s_and_b32 s5, vcc_lo, exec_lo
	s_delay_alu instid0(SALU_CYCLE_1)
	s_or_b32 s36, s4, s5
	s_or_b32 exec_lo, exec_lo, s31
	v_mov_b32_e32 v3, 0
	s_and_saveexec_b32 s31, s36
	s_cbranch_execnz .LBB119_197
	s_branch .LBB119_198
.LBB119_217:
	s_mov_b32 s29, -1
                                        ; implicit-def: $vgpr3
.LBB119_218:
	s_mov_b32 s36, 0
.LBB119_219:
	s_delay_alu instid0(SALU_CYCLE_1)
	s_and_b32 vcc_lo, exec_lo, s36
	s_cbranch_vccz .LBB119_223
; %bb.220:
	s_cmp_eq_u32 s30, 11
	s_cbranch_scc0 .LBB119_222
; %bb.221:
	s_wait_loadcnt 0x0
	global_load_u8 v3, v[10:11], off
	s_mov_b32 s29, 0
	s_mov_b32 s31, -1
	s_wait_loadcnt 0x0
	v_cmp_ne_u16_e32 vcc_lo, 0, v3
	v_cndmask_b32_e64 v3, 0, 1, vcc_lo
	s_branch .LBB119_223
.LBB119_222:
	s_mov_b32 s29, -1
                                        ; implicit-def: $vgpr3
.LBB119_223:
	s_branch .LBB119_31
.LBB119_224:
	s_and_b32 s0, 0xffff, s0
	s_delay_alu instid0(SALU_CYCLE_1)
	s_cmp_lt_i32 s0, 5
	s_cbranch_scc1 .LBB119_229
; %bb.225:
	s_cmp_lt_i32 s0, 8
	s_cbranch_scc1 .LBB119_230
; %bb.226:
	;; [unrolled: 3-line block ×3, first 2 shown]
	s_cmp_gt_i32 s0, 9
	s_cbranch_scc0 .LBB119_232
; %bb.228:
	global_load_b64 v[12:13], v[10:11], off
	s_mov_b32 s30, 0
	s_wait_loadcnt 0x0
	v_cvt_i32_f64_e32 v3, v[12:13]
	s_branch .LBB119_233
.LBB119_229:
	s_mov_b32 s30, -1
                                        ; implicit-def: $vgpr3
	s_branch .LBB119_251
.LBB119_230:
	s_mov_b32 s30, -1
                                        ; implicit-def: $vgpr3
	s_branch .LBB119_239
.LBB119_231:
	s_mov_b32 s30, -1
                                        ; implicit-def: $vgpr3
	s_branch .LBB119_236
.LBB119_232:
	s_mov_b32 s30, -1
                                        ; implicit-def: $vgpr3
.LBB119_233:
	s_delay_alu instid0(SALU_CYCLE_1)
	s_and_not1_b32 vcc_lo, exec_lo, s30
	s_cbranch_vccnz .LBB119_235
; %bb.234:
	s_wait_loadcnt 0x0
	global_load_b32 v3, v[10:11], off
	s_wait_loadcnt 0x0
	v_cvt_i32_f32_e32 v3, v3
.LBB119_235:
	s_mov_b32 s30, 0
.LBB119_236:
	s_delay_alu instid0(SALU_CYCLE_1)
	s_and_not1_b32 vcc_lo, exec_lo, s30
	s_cbranch_vccnz .LBB119_238
; %bb.237:
	s_wait_loadcnt 0x0
	global_load_b32 v3, v[10:11], off
	s_wait_loadcnt 0x0
	v_cvt_f32_f16_e32 v3, v3
	s_delay_alu instid0(VALU_DEP_1)
	v_cvt_i32_f32_e32 v3, v3
.LBB119_238:
	s_mov_b32 s30, 0
.LBB119_239:
	s_delay_alu instid0(SALU_CYCLE_1)
	s_and_not1_b32 vcc_lo, exec_lo, s30
	s_cbranch_vccnz .LBB119_250
; %bb.240:
	s_cmp_lt_i32 s0, 6
	s_cbranch_scc1 .LBB119_243
; %bb.241:
	s_cmp_gt_i32 s0, 6
	s_cbranch_scc0 .LBB119_244
; %bb.242:
	global_load_b64 v[12:13], v[10:11], off
	s_mov_b32 s30, 0
	s_wait_loadcnt 0x0
	v_cvt_i32_f64_e32 v3, v[12:13]
	s_branch .LBB119_245
.LBB119_243:
	s_mov_b32 s30, -1
                                        ; implicit-def: $vgpr3
	s_branch .LBB119_248
.LBB119_244:
	s_mov_b32 s30, -1
                                        ; implicit-def: $vgpr3
.LBB119_245:
	s_delay_alu instid0(SALU_CYCLE_1)
	s_and_not1_b32 vcc_lo, exec_lo, s30
	s_cbranch_vccnz .LBB119_247
; %bb.246:
	s_wait_loadcnt 0x0
	global_load_b32 v3, v[10:11], off
	s_wait_loadcnt 0x0
	v_cvt_i32_f32_e32 v3, v3
.LBB119_247:
	s_mov_b32 s30, 0
.LBB119_248:
	s_delay_alu instid0(SALU_CYCLE_1)
	s_and_not1_b32 vcc_lo, exec_lo, s30
	s_cbranch_vccnz .LBB119_250
; %bb.249:
	s_wait_loadcnt 0x0
	global_load_u16 v3, v[10:11], off
	s_wait_loadcnt 0x0
	v_cvt_f32_f16_e32 v3, v3
	s_delay_alu instid0(VALU_DEP_1)
	v_cvt_i32_f32_e32 v3, v3
.LBB119_250:
	s_mov_b32 s30, 0
.LBB119_251:
	s_delay_alu instid0(SALU_CYCLE_1)
	s_and_not1_b32 vcc_lo, exec_lo, s30
	s_cbranch_vccnz .LBB119_271
; %bb.252:
	s_cmp_lt_i32 s0, 2
	s_cbranch_scc1 .LBB119_256
; %bb.253:
	s_cmp_lt_i32 s0, 3
	s_cbranch_scc1 .LBB119_257
; %bb.254:
	s_cmp_gt_i32 s0, 3
	s_cbranch_scc0 .LBB119_258
; %bb.255:
	s_wait_loadcnt 0x0
	global_load_b32 v3, v[10:11], off
	s_mov_b32 s30, 0
	s_branch .LBB119_259
.LBB119_256:
	s_mov_b32 s30, -1
                                        ; implicit-def: $vgpr3
	s_branch .LBB119_265
.LBB119_257:
	s_mov_b32 s30, -1
                                        ; implicit-def: $vgpr3
	s_branch .LBB119_262
.LBB119_258:
	s_mov_b32 s30, -1
                                        ; implicit-def: $vgpr3
.LBB119_259:
	s_delay_alu instid0(SALU_CYCLE_1)
	s_and_not1_b32 vcc_lo, exec_lo, s30
	s_cbranch_vccnz .LBB119_261
; %bb.260:
	s_wait_loadcnt 0x0
	global_load_b32 v3, v[10:11], off
.LBB119_261:
	s_mov_b32 s30, 0
.LBB119_262:
	s_delay_alu instid0(SALU_CYCLE_1)
	s_and_not1_b32 vcc_lo, exec_lo, s30
	s_cbranch_vccnz .LBB119_264
; %bb.263:
	s_wait_loadcnt 0x0
	global_load_i16 v3, v[10:11], off
.LBB119_264:
	s_mov_b32 s30, 0
.LBB119_265:
	s_delay_alu instid0(SALU_CYCLE_1)
	s_and_not1_b32 vcc_lo, exec_lo, s30
	s_cbranch_vccnz .LBB119_271
; %bb.266:
	s_cmp_gt_i32 s0, 0
	s_mov_b32 s0, 0
	s_cbranch_scc0 .LBB119_268
; %bb.267:
	s_wait_loadcnt 0x0
	global_load_i8 v3, v[10:11], off
	s_branch .LBB119_269
.LBB119_268:
	s_mov_b32 s0, -1
                                        ; implicit-def: $vgpr3
.LBB119_269:
	s_delay_alu instid0(SALU_CYCLE_1)
	s_and_not1_b32 vcc_lo, exec_lo, s0
	s_cbranch_vccnz .LBB119_271
; %bb.270:
	s_wait_loadcnt 0x0
	global_load_u8 v3, v[10:11], off
.LBB119_271:
	s_branch .LBB119_32
.LBB119_272:
	s_mov_b32 s0, 0
	s_mov_b32 s36, 0
	s_mov_b32 s37, 0
	s_mov_b32 s38, 0
	s_mov_b32 s39, 0
	s_mov_b32 s49, 0
	s_mov_b32 s74, 0
	s_mov_b32 s31, 0
	s_mov_b32 s30, 0
	s_branch .LBB119_649
.LBB119_273:
	s_mov_b32 s30, -1
.LBB119_274:
	s_mov_b32 s45, 0
                                        ; implicit-def: $vgpr8
.LBB119_275:
	s_and_b32 vcc_lo, exec_lo, s36
	s_cbranch_vccz .LBB119_279
; %bb.276:
	s_cmp_eq_u32 s31, 44
	s_cbranch_scc0 .LBB119_278
; %bb.277:
	global_load_u8 v5, v[10:11], off
	s_mov_b32 s30, 0
	s_mov_b32 s45, -1
	s_wait_loadcnt 0x0
	v_lshlrev_b32_e32 v7, 23, v5
	v_cmp_ne_u32_e32 vcc_lo, 0, v5
	s_delay_alu instid0(VALU_DEP_2) | instskip(NEXT) | instid1(VALU_DEP_1)
	v_cvt_i32_f32_e32 v7, v7
	v_cndmask_b32_e32 v8, 0, v7, vcc_lo
	s_branch .LBB119_279
.LBB119_278:
	s_mov_b32 s30, -1
                                        ; implicit-def: $vgpr8
.LBB119_279:
	s_mov_b32 s36, 0
.LBB119_280:
	s_delay_alu instid0(SALU_CYCLE_1)
	s_and_b32 vcc_lo, exec_lo, s36
	s_cbranch_vccz .LBB119_284
; %bb.281:
	s_cmp_eq_u32 s31, 29
	s_cbranch_scc0 .LBB119_283
; %bb.282:
	global_load_b32 v8, v[10:11], off
	s_mov_b32 s45, -1
	s_mov_b32 s30, 0
	s_branch .LBB119_284
.LBB119_283:
	s_mov_b32 s30, -1
                                        ; implicit-def: $vgpr8
.LBB119_284:
	s_mov_b32 s36, 0
.LBB119_285:
	s_delay_alu instid0(SALU_CYCLE_1)
	s_and_b32 vcc_lo, exec_lo, s36
	s_cbranch_vccz .LBB119_301
; %bb.286:
	s_cmp_lt_i32 s31, 27
	s_cbranch_scc1 .LBB119_289
; %bb.287:
	s_cmp_gt_i32 s31, 27
	s_cbranch_scc0 .LBB119_290
; %bb.288:
	s_wait_loadcnt 0x0
	global_load_b32 v8, v[10:11], off
	s_mov_b32 s36, 0
	s_branch .LBB119_291
.LBB119_289:
	s_mov_b32 s36, -1
                                        ; implicit-def: $vgpr8
	s_branch .LBB119_294
.LBB119_290:
	s_mov_b32 s36, -1
                                        ; implicit-def: $vgpr8
.LBB119_291:
	s_delay_alu instid0(SALU_CYCLE_1)
	s_and_not1_b32 vcc_lo, exec_lo, s36
	s_cbranch_vccnz .LBB119_293
; %bb.292:
	s_wait_loadcnt 0x0
	global_load_u16 v8, v[10:11], off
.LBB119_293:
	s_mov_b32 s36, 0
.LBB119_294:
	s_delay_alu instid0(SALU_CYCLE_1)
	s_and_not1_b32 vcc_lo, exec_lo, s36
	s_cbranch_vccnz .LBB119_300
; %bb.295:
	global_load_u8 v5, v[10:11], off
	s_mov_b32 s37, 0
	s_mov_b32 s4, exec_lo
	s_wait_loadcnt 0x0
	v_cmpx_lt_i16_e32 0x7f, v5
	s_xor_b32 s36, exec_lo, s4
	s_cbranch_execz .LBB119_312
; %bb.296:
	v_cmp_ne_u16_e32 vcc_lo, 0x80, v5
	s_and_b32 s37, vcc_lo, exec_lo
	s_and_not1_saveexec_b32 s36, s36
	s_cbranch_execnz .LBB119_313
.LBB119_297:
	s_or_b32 exec_lo, exec_lo, s36
	v_mov_b32_e32 v8, 0
	s_and_saveexec_b32 s36, s37
	s_cbranch_execz .LBB119_299
.LBB119_298:
	v_and_b32_e32 v7, 0xffff, v5
	s_delay_alu instid0(VALU_DEP_1) | instskip(SKIP_1) | instid1(VALU_DEP_2)
	v_and_b32_e32 v8, 7, v7
	v_bfe_u32 v13, v7, 3, 4
	v_clz_i32_u32_e32 v9, v8
	s_delay_alu instid0(VALU_DEP_2) | instskip(NEXT) | instid1(VALU_DEP_2)
	v_cmp_eq_u32_e32 vcc_lo, 0, v13
	v_min_u32_e32 v9, 32, v9
	s_delay_alu instid0(VALU_DEP_1) | instskip(NEXT) | instid1(VALU_DEP_1)
	v_subrev_nc_u32_e32 v12, 28, v9
	v_dual_lshlrev_b32 v7, v12, v7 :: v_dual_sub_nc_u32 v9, 29, v9
	s_delay_alu instid0(VALU_DEP_1) | instskip(NEXT) | instid1(VALU_DEP_1)
	v_dual_lshlrev_b32 v5, 24, v5 :: v_dual_bitop2_b32 v7, 7, v7 bitop3:0x40
	v_dual_cndmask_b32 v7, v8, v7, vcc_lo :: v_dual_cndmask_b32 v9, v13, v9, vcc_lo
	s_delay_alu instid0(VALU_DEP_2) | instskip(NEXT) | instid1(VALU_DEP_2)
	v_and_b32_e32 v5, 0x80000000, v5
	v_lshlrev_b32_e32 v7, 20, v7
	s_delay_alu instid0(VALU_DEP_3) | instskip(NEXT) | instid1(VALU_DEP_1)
	v_lshl_add_u32 v8, v9, 23, 0x3b800000
	v_or3_b32 v5, v5, v8, v7
	s_delay_alu instid0(VALU_DEP_1)
	v_cvt_i32_f32_e32 v8, v5
.LBB119_299:
	s_or_b32 exec_lo, exec_lo, s36
.LBB119_300:
	s_mov_b32 s45, -1
.LBB119_301:
	s_mov_b32 s36, 0
.LBB119_302:
	s_delay_alu instid0(SALU_CYCLE_1)
	s_and_b32 vcc_lo, exec_lo, s36
	s_cbranch_vccz .LBB119_335
; %bb.303:
	s_cmp_gt_i32 s31, 22
	s_cbranch_scc0 .LBB119_311
; %bb.304:
	s_cmp_lt_i32 s31, 24
	s_cbranch_scc1 .LBB119_314
; %bb.305:
	s_cmp_gt_i32 s31, 24
	s_cbranch_scc0 .LBB119_315
; %bb.306:
	global_load_u8 v5, v[10:11], off
	s_mov_b32 s37, 0
	s_mov_b32 s4, exec_lo
	s_wait_loadcnt 0x0
	v_cmpx_lt_i16_e32 0x7f, v5
	s_xor_b32 s36, exec_lo, s4
	s_cbranch_execz .LBB119_327
; %bb.307:
	v_cmp_ne_u16_e32 vcc_lo, 0x80, v5
	s_and_b32 s37, vcc_lo, exec_lo
	s_and_not1_saveexec_b32 s36, s36
	s_cbranch_execnz .LBB119_328
.LBB119_308:
	s_or_b32 exec_lo, exec_lo, s36
	v_mov_b32_e32 v8, 0
	s_and_saveexec_b32 s36, s37
	s_cbranch_execz .LBB119_310
.LBB119_309:
	v_and_b32_e32 v7, 0xffff, v5
	s_delay_alu instid0(VALU_DEP_1) | instskip(SKIP_1) | instid1(VALU_DEP_2)
	v_and_b32_e32 v8, 3, v7
	v_bfe_u32 v13, v7, 2, 5
	v_clz_i32_u32_e32 v9, v8
	s_delay_alu instid0(VALU_DEP_2) | instskip(NEXT) | instid1(VALU_DEP_2)
	v_cmp_eq_u32_e32 vcc_lo, 0, v13
	v_min_u32_e32 v9, 32, v9
	s_delay_alu instid0(VALU_DEP_1) | instskip(NEXT) | instid1(VALU_DEP_1)
	v_subrev_nc_u32_e32 v12, 29, v9
	v_dual_lshlrev_b32 v7, v12, v7 :: v_dual_sub_nc_u32 v9, 30, v9
	s_delay_alu instid0(VALU_DEP_1) | instskip(NEXT) | instid1(VALU_DEP_1)
	v_dual_lshlrev_b32 v5, 24, v5 :: v_dual_bitop2_b32 v7, 3, v7 bitop3:0x40
	v_dual_cndmask_b32 v7, v8, v7, vcc_lo :: v_dual_cndmask_b32 v9, v13, v9, vcc_lo
	s_delay_alu instid0(VALU_DEP_2) | instskip(NEXT) | instid1(VALU_DEP_2)
	v_and_b32_e32 v5, 0x80000000, v5
	v_lshlrev_b32_e32 v7, 21, v7
	s_delay_alu instid0(VALU_DEP_3) | instskip(NEXT) | instid1(VALU_DEP_1)
	v_lshl_add_u32 v8, v9, 23, 0x37800000
	v_or3_b32 v5, v5, v8, v7
	s_delay_alu instid0(VALU_DEP_1)
	v_cvt_i32_f32_e32 v8, v5
.LBB119_310:
	s_or_b32 exec_lo, exec_lo, s36
	s_mov_b32 s36, 0
	s_branch .LBB119_316
.LBB119_311:
	s_mov_b32 s36, -1
                                        ; implicit-def: $vgpr8
	s_branch .LBB119_322
.LBB119_312:
	s_and_not1_saveexec_b32 s36, s36
	s_cbranch_execz .LBB119_297
.LBB119_313:
	v_cmp_ne_u16_e32 vcc_lo, 0, v5
	s_and_not1_b32 s4, s37, exec_lo
	s_and_b32 s5, vcc_lo, exec_lo
	s_delay_alu instid0(SALU_CYCLE_1)
	s_or_b32 s37, s4, s5
	s_or_b32 exec_lo, exec_lo, s36
	v_mov_b32_e32 v8, 0
	s_and_saveexec_b32 s36, s37
	s_cbranch_execnz .LBB119_298
	s_branch .LBB119_299
.LBB119_314:
	s_mov_b32 s36, -1
                                        ; implicit-def: $vgpr8
	s_branch .LBB119_319
.LBB119_315:
	s_mov_b32 s36, -1
                                        ; implicit-def: $vgpr8
.LBB119_316:
	s_delay_alu instid0(SALU_CYCLE_1)
	s_and_b32 vcc_lo, exec_lo, s36
	s_cbranch_vccz .LBB119_318
; %bb.317:
	global_load_u8 v5, v[10:11], off
	s_wait_loadcnt 0x0
	v_lshlrev_b32_e32 v5, 24, v5
	s_delay_alu instid0(VALU_DEP_1) | instskip(NEXT) | instid1(VALU_DEP_1)
	v_and_b32_e32 v7, 0x7f000000, v5
	v_clz_i32_u32_e32 v8, v7
	v_cmp_ne_u32_e32 vcc_lo, 0, v7
	v_add_nc_u32_e32 v12, 0x1000000, v7
	s_delay_alu instid0(VALU_DEP_3) | instskip(NEXT) | instid1(VALU_DEP_1)
	v_min_u32_e32 v8, 32, v8
	v_sub_nc_u32_e64 v8, v8, 4 clamp
	s_delay_alu instid0(VALU_DEP_1) | instskip(NEXT) | instid1(VALU_DEP_1)
	v_dual_lshlrev_b32 v9, v8, v7 :: v_dual_lshlrev_b32 v8, 23, v8
	v_lshrrev_b32_e32 v9, 4, v9
	s_delay_alu instid0(VALU_DEP_1) | instskip(SKIP_1) | instid1(VALU_DEP_2)
	v_sub_nc_u32_e32 v8, v9, v8
	v_ashrrev_i32_e32 v9, 8, v12
	v_add_nc_u32_e32 v8, 0x3c000000, v8
	s_delay_alu instid0(VALU_DEP_1) | instskip(NEXT) | instid1(VALU_DEP_1)
	v_and_or_b32 v8, 0x7f800000, v9, v8
	v_cndmask_b32_e32 v7, 0, v8, vcc_lo
	s_delay_alu instid0(VALU_DEP_1) | instskip(NEXT) | instid1(VALU_DEP_1)
	v_and_or_b32 v5, 0x80000000, v5, v7
	v_cvt_i32_f32_e32 v8, v5
.LBB119_318:
	s_mov_b32 s36, 0
.LBB119_319:
	s_delay_alu instid0(SALU_CYCLE_1)
	s_and_not1_b32 vcc_lo, exec_lo, s36
	s_cbranch_vccnz .LBB119_321
; %bb.320:
	global_load_u8 v5, v[10:11], off
	s_wait_loadcnt 0x0
	v_lshlrev_b32_e32 v7, 25, v5
	v_lshlrev_b16 v5, 8, v5
	s_delay_alu instid0(VALU_DEP_1) | instskip(NEXT) | instid1(VALU_DEP_3)
	v_and_or_b32 v9, 0x7f00, v5, 0.5
	v_lshrrev_b32_e32 v8, 4, v7
	v_bfe_i32 v5, v5, 0, 16
	s_delay_alu instid0(VALU_DEP_3) | instskip(NEXT) | instid1(VALU_DEP_3)
	v_add_f32_e32 v9, -0.5, v9
	v_or_b32_e32 v8, 0x70000000, v8
	s_delay_alu instid0(VALU_DEP_1) | instskip(SKIP_1) | instid1(VALU_DEP_2)
	v_mul_f32_e32 v8, 0x7800000, v8
	v_cmp_gt_u32_e32 vcc_lo, 0x8000000, v7
	v_cndmask_b32_e32 v7, v8, v9, vcc_lo
	s_delay_alu instid0(VALU_DEP_1) | instskip(NEXT) | instid1(VALU_DEP_1)
	v_and_or_b32 v5, 0x80000000, v5, v7
	v_cvt_i32_f32_e32 v8, v5
.LBB119_321:
	s_mov_b32 s36, 0
	s_mov_b32 s45, -1
.LBB119_322:
	s_and_not1_b32 vcc_lo, exec_lo, s36
	s_cbranch_vccnz .LBB119_335
; %bb.323:
	s_cmp_gt_i32 s31, 14
	s_cbranch_scc0 .LBB119_326
; %bb.324:
	s_cmp_eq_u32 s31, 15
	s_cbranch_scc0 .LBB119_329
; %bb.325:
	global_load_u16 v5, v[10:11], off
	s_mov_b32 s45, -1
	s_mov_b32 s30, 0
	s_wait_loadcnt 0x0
	v_lshlrev_b32_e32 v5, 16, v5
	s_delay_alu instid0(VALU_DEP_1)
	v_cvt_i32_f32_e32 v8, v5
	s_branch .LBB119_330
.LBB119_326:
	s_mov_b32 s36, -1
                                        ; implicit-def: $vgpr8
	s_branch .LBB119_331
.LBB119_327:
	s_and_not1_saveexec_b32 s36, s36
	s_cbranch_execz .LBB119_308
.LBB119_328:
	v_cmp_ne_u16_e32 vcc_lo, 0, v5
	s_and_not1_b32 s4, s37, exec_lo
	s_and_b32 s5, vcc_lo, exec_lo
	s_delay_alu instid0(SALU_CYCLE_1)
	s_or_b32 s37, s4, s5
	s_or_b32 exec_lo, exec_lo, s36
	v_mov_b32_e32 v8, 0
	s_and_saveexec_b32 s36, s37
	s_cbranch_execnz .LBB119_309
	s_branch .LBB119_310
.LBB119_329:
	s_mov_b32 s30, -1
                                        ; implicit-def: $vgpr8
.LBB119_330:
	s_mov_b32 s36, 0
.LBB119_331:
	s_delay_alu instid0(SALU_CYCLE_1)
	s_and_b32 vcc_lo, exec_lo, s36
	s_cbranch_vccz .LBB119_335
; %bb.332:
	s_cmp_eq_u32 s31, 11
	s_cbranch_scc0 .LBB119_334
; %bb.333:
	global_load_u8 v5, v[10:11], off
	s_mov_b32 s30, 0
	s_mov_b32 s45, -1
	s_wait_loadcnt 0x0
	v_cmp_ne_u16_e32 vcc_lo, 0, v5
	v_cndmask_b32_e64 v8, 0, 1, vcc_lo
	s_branch .LBB119_335
.LBB119_334:
	s_mov_b32 s30, -1
                                        ; implicit-def: $vgpr8
.LBB119_335:
	s_mov_b32 s31, 0
.LBB119_336:
	s_delay_alu instid0(SALU_CYCLE_1)
	s_and_b32 vcc_lo, exec_lo, s31
	s_cbranch_vccz .LBB119_385
; %bb.337:
	s_and_b32 s0, 0xffff, s0
	s_delay_alu instid0(SALU_CYCLE_1)
	s_cmp_lt_i32 s0, 5
	s_cbranch_scc1 .LBB119_342
; %bb.338:
	s_cmp_lt_i32 s0, 8
	s_cbranch_scc1 .LBB119_343
; %bb.339:
	;; [unrolled: 3-line block ×3, first 2 shown]
	s_cmp_gt_i32 s0, 9
	s_cbranch_scc0 .LBB119_345
; %bb.341:
	s_wait_loadcnt 0x0
	global_load_b64 v[8:9], v[10:11], off
	s_mov_b32 s31, 0
	s_wait_loadcnt 0x0
	v_cvt_i32_f64_e32 v8, v[8:9]
	s_branch .LBB119_346
.LBB119_342:
	s_mov_b32 s31, -1
                                        ; implicit-def: $vgpr8
	s_branch .LBB119_364
.LBB119_343:
	s_mov_b32 s31, -1
                                        ; implicit-def: $vgpr8
	s_branch .LBB119_352
.LBB119_344:
	s_mov_b32 s31, -1
                                        ; implicit-def: $vgpr8
	s_branch .LBB119_349
.LBB119_345:
	s_mov_b32 s31, -1
                                        ; implicit-def: $vgpr8
.LBB119_346:
	s_delay_alu instid0(SALU_CYCLE_1)
	s_and_not1_b32 vcc_lo, exec_lo, s31
	s_cbranch_vccnz .LBB119_348
; %bb.347:
	global_load_b32 v5, v[10:11], off
	s_wait_loadcnt 0x0
	v_cvt_i32_f32_e32 v8, v5
.LBB119_348:
	s_mov_b32 s31, 0
.LBB119_349:
	s_delay_alu instid0(SALU_CYCLE_1)
	s_and_not1_b32 vcc_lo, exec_lo, s31
	s_cbranch_vccnz .LBB119_351
; %bb.350:
	global_load_b32 v5, v[10:11], off
	s_wait_loadcnt 0x0
	v_cvt_f32_f16_e32 v5, v5
	s_delay_alu instid0(VALU_DEP_1)
	v_cvt_i32_f32_e32 v8, v5
.LBB119_351:
	s_mov_b32 s31, 0
.LBB119_352:
	s_delay_alu instid0(SALU_CYCLE_1)
	s_and_not1_b32 vcc_lo, exec_lo, s31
	s_cbranch_vccnz .LBB119_363
; %bb.353:
	s_cmp_lt_i32 s0, 6
	s_cbranch_scc1 .LBB119_356
; %bb.354:
	s_cmp_gt_i32 s0, 6
	s_cbranch_scc0 .LBB119_357
; %bb.355:
	s_wait_loadcnt 0x0
	global_load_b64 v[8:9], v[10:11], off
	s_mov_b32 s31, 0
	s_wait_loadcnt 0x0
	v_cvt_i32_f64_e32 v8, v[8:9]
	s_branch .LBB119_358
.LBB119_356:
	s_mov_b32 s31, -1
                                        ; implicit-def: $vgpr8
	s_branch .LBB119_361
.LBB119_357:
	s_mov_b32 s31, -1
                                        ; implicit-def: $vgpr8
.LBB119_358:
	s_delay_alu instid0(SALU_CYCLE_1)
	s_and_not1_b32 vcc_lo, exec_lo, s31
	s_cbranch_vccnz .LBB119_360
; %bb.359:
	global_load_b32 v5, v[10:11], off
	s_wait_loadcnt 0x0
	v_cvt_i32_f32_e32 v8, v5
.LBB119_360:
	s_mov_b32 s31, 0
.LBB119_361:
	s_delay_alu instid0(SALU_CYCLE_1)
	s_and_not1_b32 vcc_lo, exec_lo, s31
	s_cbranch_vccnz .LBB119_363
; %bb.362:
	global_load_u16 v5, v[10:11], off
	s_wait_loadcnt 0x0
	v_cvt_f32_f16_e32 v5, v5
	s_delay_alu instid0(VALU_DEP_1)
	v_cvt_i32_f32_e32 v8, v5
.LBB119_363:
	s_mov_b32 s31, 0
.LBB119_364:
	s_delay_alu instid0(SALU_CYCLE_1)
	s_and_not1_b32 vcc_lo, exec_lo, s31
	s_cbranch_vccnz .LBB119_384
; %bb.365:
	s_cmp_lt_i32 s0, 2
	s_cbranch_scc1 .LBB119_369
; %bb.366:
	s_cmp_lt_i32 s0, 3
	s_cbranch_scc1 .LBB119_370
; %bb.367:
	s_cmp_gt_i32 s0, 3
	s_cbranch_scc0 .LBB119_371
; %bb.368:
	s_wait_loadcnt 0x0
	global_load_b32 v8, v[10:11], off
	s_mov_b32 s31, 0
	s_branch .LBB119_372
.LBB119_369:
	s_mov_b32 s31, -1
                                        ; implicit-def: $vgpr8
	s_branch .LBB119_378
.LBB119_370:
	s_mov_b32 s31, -1
                                        ; implicit-def: $vgpr8
	s_branch .LBB119_375
.LBB119_371:
	s_mov_b32 s31, -1
                                        ; implicit-def: $vgpr8
.LBB119_372:
	s_delay_alu instid0(SALU_CYCLE_1)
	s_and_not1_b32 vcc_lo, exec_lo, s31
	s_cbranch_vccnz .LBB119_374
; %bb.373:
	s_wait_loadcnt 0x0
	global_load_b32 v8, v[10:11], off
.LBB119_374:
	s_mov_b32 s31, 0
.LBB119_375:
	s_delay_alu instid0(SALU_CYCLE_1)
	s_and_not1_b32 vcc_lo, exec_lo, s31
	s_cbranch_vccnz .LBB119_377
; %bb.376:
	s_wait_loadcnt 0x0
	global_load_i16 v8, v[10:11], off
.LBB119_377:
	s_mov_b32 s31, 0
.LBB119_378:
	s_delay_alu instid0(SALU_CYCLE_1)
	s_and_not1_b32 vcc_lo, exec_lo, s31
	s_cbranch_vccnz .LBB119_384
; %bb.379:
	s_cmp_gt_i32 s0, 0
	s_mov_b32 s0, 0
	s_cbranch_scc0 .LBB119_381
; %bb.380:
	s_wait_loadcnt 0x0
	global_load_i8 v8, v[10:11], off
	s_branch .LBB119_382
.LBB119_381:
	s_mov_b32 s0, -1
                                        ; implicit-def: $vgpr8
.LBB119_382:
	s_delay_alu instid0(SALU_CYCLE_1)
	s_and_not1_b32 vcc_lo, exec_lo, s0
	s_cbranch_vccnz .LBB119_384
; %bb.383:
	s_wait_loadcnt 0x0
	global_load_u8 v8, v[10:11], off
.LBB119_384:
	s_mov_b32 s45, -1
.LBB119_385:
	s_delay_alu instid0(SALU_CYCLE_1)
	s_and_not1_b32 vcc_lo, exec_lo, s45
	s_cbranch_vccnz .LBB119_393
; %bb.386:
	s_load_b128 s[4:7], s[2:3], 0x268
	v_mov_b32_e32 v7, 0
	s_and_b32 s0, s35, 0xff
	s_delay_alu instid0(SALU_CYCLE_1) | instskip(SKIP_1) | instid1(VALU_DEP_1)
	s_cmp_lt_i32 s0, 11
	s_wait_kmcnt 0x0
	v_add_nc_u64_e32 v[10:11], s[4:5], v[6:7]
	s_cbranch_scc1 .LBB119_394
; %bb.387:
	s_and_b32 s45, 0xffff, s0
	s_delay_alu instid0(SALU_CYCLE_1)
	s_cmp_gt_i32 s45, 25
	s_cbranch_scc0 .LBB119_395
; %bb.388:
	s_cmp_gt_i32 s45, 28
	s_cbranch_scc0 .LBB119_396
; %bb.389:
	;; [unrolled: 3-line block ×4, first 2 shown]
	s_cmp_eq_u32 s45, 46
	s_mov_b32 s36, 0
	s_cbranch_scc0 .LBB119_399
; %bb.392:
	global_load_b32 v5, v[10:11], off
	s_mov_b32 s49, -1
	s_mov_b32 s31, 0
	s_wait_loadcnt 0x0
	v_lshlrev_b32_e32 v5, 16, v5
	s_delay_alu instid0(VALU_DEP_1)
	v_cvt_i32_f32_e32 v6, v5
	s_branch .LBB119_401
.LBB119_393:
	s_mov_b32 s0, 0
	s_mov_b32 s36, 0
	;; [unrolled: 1-line block ×8, first 2 shown]
	s_branch .LBB119_649
.LBB119_394:
	s_mov_b32 s36, -1
	s_mov_b32 s31, 0
	s_mov_b32 s49, 0
                                        ; implicit-def: $vgpr6
	s_branch .LBB119_462
.LBB119_395:
	s_mov_b32 s36, -1
	s_mov_b32 s31, 0
	s_mov_b32 s49, 0
                                        ; implicit-def: $vgpr6
	s_branch .LBB119_428
.LBB119_396:
	s_mov_b32 s36, -1
	s_mov_b32 s31, 0
	s_mov_b32 s49, 0
                                        ; implicit-def: $vgpr6
	s_branch .LBB119_411
.LBB119_397:
	s_mov_b32 s36, -1
	s_mov_b32 s31, 0
	s_mov_b32 s49, 0
                                        ; implicit-def: $vgpr6
	s_branch .LBB119_406
.LBB119_398:
	s_mov_b32 s36, -1
	s_mov_b32 s31, 0
	s_branch .LBB119_400
.LBB119_399:
	s_mov_b32 s31, -1
.LBB119_400:
	s_mov_b32 s49, 0
                                        ; implicit-def: $vgpr6
.LBB119_401:
	s_and_b32 vcc_lo, exec_lo, s36
	s_cbranch_vccz .LBB119_405
; %bb.402:
	s_cmp_eq_u32 s45, 44
	s_cbranch_scc0 .LBB119_404
; %bb.403:
	global_load_u8 v5, v[10:11], off
	s_mov_b32 s31, 0
	s_mov_b32 s49, -1
	s_wait_loadcnt 0x0
	v_lshlrev_b32_e32 v6, 23, v5
	v_cmp_ne_u32_e32 vcc_lo, 0, v5
	s_delay_alu instid0(VALU_DEP_2) | instskip(NEXT) | instid1(VALU_DEP_1)
	v_cvt_i32_f32_e32 v6, v6
	v_cndmask_b32_e32 v6, 0, v6, vcc_lo
	s_branch .LBB119_405
.LBB119_404:
	s_mov_b32 s31, -1
                                        ; implicit-def: $vgpr6
.LBB119_405:
	s_mov_b32 s36, 0
.LBB119_406:
	s_delay_alu instid0(SALU_CYCLE_1)
	s_and_b32 vcc_lo, exec_lo, s36
	s_cbranch_vccz .LBB119_410
; %bb.407:
	s_cmp_eq_u32 s45, 29
	s_cbranch_scc0 .LBB119_409
; %bb.408:
	global_load_b32 v6, v[10:11], off
	s_mov_b32 s49, -1
	s_mov_b32 s31, 0
	s_branch .LBB119_410
.LBB119_409:
	s_mov_b32 s31, -1
                                        ; implicit-def: $vgpr6
.LBB119_410:
	s_mov_b32 s36, 0
.LBB119_411:
	s_delay_alu instid0(SALU_CYCLE_1)
	s_and_b32 vcc_lo, exec_lo, s36
	s_cbranch_vccz .LBB119_427
; %bb.412:
	s_cmp_lt_i32 s45, 27
	s_cbranch_scc1 .LBB119_415
; %bb.413:
	s_cmp_gt_i32 s45, 27
	s_cbranch_scc0 .LBB119_416
; %bb.414:
	s_wait_loadcnt 0x0
	global_load_b32 v6, v[10:11], off
	s_mov_b32 s36, 0
	s_branch .LBB119_417
.LBB119_415:
	s_mov_b32 s36, -1
                                        ; implicit-def: $vgpr6
	s_branch .LBB119_420
.LBB119_416:
	s_mov_b32 s36, -1
                                        ; implicit-def: $vgpr6
.LBB119_417:
	s_delay_alu instid0(SALU_CYCLE_1)
	s_and_not1_b32 vcc_lo, exec_lo, s36
	s_cbranch_vccnz .LBB119_419
; %bb.418:
	s_wait_loadcnt 0x0
	global_load_u16 v6, v[10:11], off
.LBB119_419:
	s_mov_b32 s36, 0
.LBB119_420:
	s_delay_alu instid0(SALU_CYCLE_1)
	s_and_not1_b32 vcc_lo, exec_lo, s36
	s_cbranch_vccnz .LBB119_426
; %bb.421:
	global_load_u8 v5, v[10:11], off
	s_mov_b32 s37, 0
	s_mov_b32 s4, exec_lo
	s_wait_loadcnt 0x0
	v_cmpx_lt_i16_e32 0x7f, v5
	s_xor_b32 s36, exec_lo, s4
	s_cbranch_execz .LBB119_438
; %bb.422:
	v_cmp_ne_u16_e32 vcc_lo, 0x80, v5
	s_and_b32 s37, vcc_lo, exec_lo
	s_and_not1_saveexec_b32 s36, s36
	s_cbranch_execnz .LBB119_439
.LBB119_423:
	s_or_b32 exec_lo, exec_lo, s36
	v_mov_b32_e32 v6, 0
	s_and_saveexec_b32 s36, s37
	s_cbranch_execz .LBB119_425
.LBB119_424:
	v_and_b32_e32 v6, 0xffff, v5
	s_delay_alu instid0(VALU_DEP_1) | instskip(SKIP_1) | instid1(VALU_DEP_2)
	v_and_b32_e32 v7, 7, v6
	v_bfe_u32 v13, v6, 3, 4
	v_clz_i32_u32_e32 v9, v7
	s_delay_alu instid0(VALU_DEP_2) | instskip(NEXT) | instid1(VALU_DEP_2)
	v_cmp_eq_u32_e32 vcc_lo, 0, v13
	v_min_u32_e32 v9, 32, v9
	s_delay_alu instid0(VALU_DEP_1) | instskip(NEXT) | instid1(VALU_DEP_1)
	v_subrev_nc_u32_e32 v12, 28, v9
	v_dual_lshlrev_b32 v6, v12, v6 :: v_dual_sub_nc_u32 v9, 29, v9
	s_delay_alu instid0(VALU_DEP_1) | instskip(NEXT) | instid1(VALU_DEP_1)
	v_dual_lshlrev_b32 v5, 24, v5 :: v_dual_bitop2_b32 v6, 7, v6 bitop3:0x40
	v_dual_cndmask_b32 v6, v7, v6 :: v_dual_cndmask_b32 v9, v13, v9
	s_delay_alu instid0(VALU_DEP_2) | instskip(NEXT) | instid1(VALU_DEP_2)
	v_and_b32_e32 v5, 0x80000000, v5
	v_lshlrev_b32_e32 v6, 20, v6
	s_delay_alu instid0(VALU_DEP_3) | instskip(NEXT) | instid1(VALU_DEP_1)
	v_lshl_add_u32 v7, v9, 23, 0x3b800000
	v_or3_b32 v5, v5, v7, v6
	s_delay_alu instid0(VALU_DEP_1)
	v_cvt_i32_f32_e32 v6, v5
.LBB119_425:
	s_or_b32 exec_lo, exec_lo, s36
.LBB119_426:
	s_mov_b32 s49, -1
.LBB119_427:
	s_mov_b32 s36, 0
.LBB119_428:
	s_delay_alu instid0(SALU_CYCLE_1)
	s_and_b32 vcc_lo, exec_lo, s36
	s_cbranch_vccz .LBB119_461
; %bb.429:
	s_cmp_gt_i32 s45, 22
	s_cbranch_scc0 .LBB119_437
; %bb.430:
	s_cmp_lt_i32 s45, 24
	s_cbranch_scc1 .LBB119_440
; %bb.431:
	s_cmp_gt_i32 s45, 24
	s_cbranch_scc0 .LBB119_441
; %bb.432:
	global_load_u8 v5, v[10:11], off
	s_mov_b32 s37, 0
	s_mov_b32 s4, exec_lo
	s_wait_loadcnt 0x0
	v_cmpx_lt_i16_e32 0x7f, v5
	s_xor_b32 s36, exec_lo, s4
	s_cbranch_execz .LBB119_453
; %bb.433:
	v_cmp_ne_u16_e32 vcc_lo, 0x80, v5
	s_and_b32 s37, vcc_lo, exec_lo
	s_and_not1_saveexec_b32 s36, s36
	s_cbranch_execnz .LBB119_454
.LBB119_434:
	s_or_b32 exec_lo, exec_lo, s36
	v_mov_b32_e32 v6, 0
	s_and_saveexec_b32 s36, s37
	s_cbranch_execz .LBB119_436
.LBB119_435:
	v_and_b32_e32 v6, 0xffff, v5
	s_delay_alu instid0(VALU_DEP_1) | instskip(SKIP_1) | instid1(VALU_DEP_2)
	v_and_b32_e32 v7, 3, v6
	v_bfe_u32 v13, v6, 2, 5
	v_clz_i32_u32_e32 v9, v7
	s_delay_alu instid0(VALU_DEP_2) | instskip(NEXT) | instid1(VALU_DEP_2)
	v_cmp_eq_u32_e32 vcc_lo, 0, v13
	v_min_u32_e32 v9, 32, v9
	s_delay_alu instid0(VALU_DEP_1) | instskip(NEXT) | instid1(VALU_DEP_1)
	v_subrev_nc_u32_e32 v12, 29, v9
	v_dual_lshlrev_b32 v6, v12, v6 :: v_dual_sub_nc_u32 v9, 30, v9
	s_delay_alu instid0(VALU_DEP_1) | instskip(NEXT) | instid1(VALU_DEP_1)
	v_dual_lshlrev_b32 v5, 24, v5 :: v_dual_bitop2_b32 v6, 3, v6 bitop3:0x40
	v_dual_cndmask_b32 v6, v7, v6 :: v_dual_cndmask_b32 v9, v13, v9
	s_delay_alu instid0(VALU_DEP_2) | instskip(NEXT) | instid1(VALU_DEP_2)
	v_and_b32_e32 v5, 0x80000000, v5
	v_lshlrev_b32_e32 v6, 21, v6
	s_delay_alu instid0(VALU_DEP_3) | instskip(NEXT) | instid1(VALU_DEP_1)
	v_lshl_add_u32 v7, v9, 23, 0x37800000
	v_or3_b32 v5, v5, v7, v6
	s_delay_alu instid0(VALU_DEP_1)
	v_cvt_i32_f32_e32 v6, v5
.LBB119_436:
	s_or_b32 exec_lo, exec_lo, s36
	s_mov_b32 s36, 0
	s_branch .LBB119_442
.LBB119_437:
	s_mov_b32 s36, -1
                                        ; implicit-def: $vgpr6
	s_branch .LBB119_448
.LBB119_438:
	s_and_not1_saveexec_b32 s36, s36
	s_cbranch_execz .LBB119_423
.LBB119_439:
	v_cmp_ne_u16_e32 vcc_lo, 0, v5
	s_and_not1_b32 s4, s37, exec_lo
	s_and_b32 s5, vcc_lo, exec_lo
	s_delay_alu instid0(SALU_CYCLE_1)
	s_or_b32 s37, s4, s5
	s_or_b32 exec_lo, exec_lo, s36
	v_mov_b32_e32 v6, 0
	s_and_saveexec_b32 s36, s37
	s_cbranch_execnz .LBB119_424
	s_branch .LBB119_425
.LBB119_440:
	s_mov_b32 s36, -1
                                        ; implicit-def: $vgpr6
	s_branch .LBB119_445
.LBB119_441:
	s_mov_b32 s36, -1
                                        ; implicit-def: $vgpr6
.LBB119_442:
	s_delay_alu instid0(SALU_CYCLE_1)
	s_and_b32 vcc_lo, exec_lo, s36
	s_cbranch_vccz .LBB119_444
; %bb.443:
	global_load_u8 v5, v[10:11], off
	s_wait_loadcnt 0x0
	v_lshlrev_b32_e32 v5, 24, v5
	s_delay_alu instid0(VALU_DEP_1) | instskip(NEXT) | instid1(VALU_DEP_1)
	v_and_b32_e32 v6, 0x7f000000, v5
	v_clz_i32_u32_e32 v7, v6
	v_add_nc_u32_e32 v12, 0x1000000, v6
	v_cmp_ne_u32_e32 vcc_lo, 0, v6
	s_delay_alu instid0(VALU_DEP_3) | instskip(NEXT) | instid1(VALU_DEP_1)
	v_min_u32_e32 v7, 32, v7
	v_sub_nc_u32_e64 v7, v7, 4 clamp
	s_delay_alu instid0(VALU_DEP_1) | instskip(NEXT) | instid1(VALU_DEP_1)
	v_dual_lshlrev_b32 v9, v7, v6 :: v_dual_lshlrev_b32 v7, 23, v7
	v_lshrrev_b32_e32 v9, 4, v9
	s_delay_alu instid0(VALU_DEP_1) | instskip(NEXT) | instid1(VALU_DEP_1)
	v_dual_sub_nc_u32 v7, v9, v7 :: v_dual_ashrrev_i32 v9, 8, v12
	v_add_nc_u32_e32 v7, 0x3c000000, v7
	s_delay_alu instid0(VALU_DEP_1) | instskip(NEXT) | instid1(VALU_DEP_1)
	v_and_or_b32 v7, 0x7f800000, v9, v7
	v_cndmask_b32_e32 v6, 0, v7, vcc_lo
	s_delay_alu instid0(VALU_DEP_1) | instskip(NEXT) | instid1(VALU_DEP_1)
	v_and_or_b32 v5, 0x80000000, v5, v6
	v_cvt_i32_f32_e32 v6, v5
.LBB119_444:
	s_mov_b32 s36, 0
.LBB119_445:
	s_delay_alu instid0(SALU_CYCLE_1)
	s_and_not1_b32 vcc_lo, exec_lo, s36
	s_cbranch_vccnz .LBB119_447
; %bb.446:
	global_load_u8 v5, v[10:11], off
	s_wait_loadcnt 0x0
	v_lshlrev_b32_e32 v6, 25, v5
	v_lshlrev_b16 v5, 8, v5
	s_delay_alu instid0(VALU_DEP_1) | instskip(NEXT) | instid1(VALU_DEP_3)
	v_and_or_b32 v9, 0x7f00, v5, 0.5
	v_lshrrev_b32_e32 v7, 4, v6
	v_bfe_i32 v5, v5, 0, 16
	s_delay_alu instid0(VALU_DEP_3) | instskip(NEXT) | instid1(VALU_DEP_3)
	v_add_f32_e32 v9, -0.5, v9
	v_or_b32_e32 v7, 0x70000000, v7
	s_delay_alu instid0(VALU_DEP_1) | instskip(SKIP_1) | instid1(VALU_DEP_2)
	v_mul_f32_e32 v7, 0x7800000, v7
	v_cmp_gt_u32_e32 vcc_lo, 0x8000000, v6
	v_cndmask_b32_e32 v6, v7, v9, vcc_lo
	s_delay_alu instid0(VALU_DEP_1) | instskip(NEXT) | instid1(VALU_DEP_1)
	v_and_or_b32 v5, 0x80000000, v5, v6
	v_cvt_i32_f32_e32 v6, v5
.LBB119_447:
	s_mov_b32 s36, 0
	s_mov_b32 s49, -1
.LBB119_448:
	s_and_not1_b32 vcc_lo, exec_lo, s36
	s_cbranch_vccnz .LBB119_461
; %bb.449:
	s_cmp_gt_i32 s45, 14
	s_cbranch_scc0 .LBB119_452
; %bb.450:
	s_cmp_eq_u32 s45, 15
	s_cbranch_scc0 .LBB119_455
; %bb.451:
	global_load_u16 v5, v[10:11], off
	s_mov_b32 s49, -1
	s_mov_b32 s31, 0
	s_wait_loadcnt 0x0
	v_lshlrev_b32_e32 v5, 16, v5
	s_delay_alu instid0(VALU_DEP_1)
	v_cvt_i32_f32_e32 v6, v5
	s_branch .LBB119_456
.LBB119_452:
	s_mov_b32 s36, -1
                                        ; implicit-def: $vgpr6
	s_branch .LBB119_457
.LBB119_453:
	s_and_not1_saveexec_b32 s36, s36
	s_cbranch_execz .LBB119_434
.LBB119_454:
	v_cmp_ne_u16_e32 vcc_lo, 0, v5
	s_and_not1_b32 s4, s37, exec_lo
	s_and_b32 s5, vcc_lo, exec_lo
	s_delay_alu instid0(SALU_CYCLE_1)
	s_or_b32 s37, s4, s5
	s_or_b32 exec_lo, exec_lo, s36
	v_mov_b32_e32 v6, 0
	s_and_saveexec_b32 s36, s37
	s_cbranch_execnz .LBB119_435
	s_branch .LBB119_436
.LBB119_455:
	s_mov_b32 s31, -1
                                        ; implicit-def: $vgpr6
.LBB119_456:
	s_mov_b32 s36, 0
.LBB119_457:
	s_delay_alu instid0(SALU_CYCLE_1)
	s_and_b32 vcc_lo, exec_lo, s36
	s_cbranch_vccz .LBB119_461
; %bb.458:
	s_cmp_eq_u32 s45, 11
	s_cbranch_scc0 .LBB119_460
; %bb.459:
	global_load_u8 v5, v[10:11], off
	s_mov_b32 s31, 0
	s_mov_b32 s49, -1
	s_wait_loadcnt 0x0
	v_cmp_ne_u16_e32 vcc_lo, 0, v5
	v_cndmask_b32_e64 v6, 0, 1, vcc_lo
	s_branch .LBB119_461
.LBB119_460:
	s_mov_b32 s31, -1
                                        ; implicit-def: $vgpr6
.LBB119_461:
	s_mov_b32 s36, 0
.LBB119_462:
	s_delay_alu instid0(SALU_CYCLE_1)
	s_and_b32 vcc_lo, exec_lo, s36
	s_cbranch_vccz .LBB119_511
; %bb.463:
	s_and_b32 s0, 0xffff, s0
	s_delay_alu instid0(SALU_CYCLE_1)
	s_cmp_lt_i32 s0, 5
	s_cbranch_scc1 .LBB119_468
; %bb.464:
	s_cmp_lt_i32 s0, 8
	s_cbranch_scc1 .LBB119_469
; %bb.465:
	;; [unrolled: 3-line block ×3, first 2 shown]
	s_cmp_gt_i32 s0, 9
	s_cbranch_scc0 .LBB119_471
; %bb.467:
	s_wait_loadcnt 0x0
	global_load_b64 v[6:7], v[10:11], off
	s_mov_b32 s36, 0
	s_wait_loadcnt 0x0
	v_cvt_i32_f64_e32 v6, v[6:7]
	s_branch .LBB119_472
.LBB119_468:
	s_mov_b32 s36, -1
                                        ; implicit-def: $vgpr6
	s_branch .LBB119_490
.LBB119_469:
	s_mov_b32 s36, -1
                                        ; implicit-def: $vgpr6
	s_branch .LBB119_478
.LBB119_470:
	s_mov_b32 s36, -1
                                        ; implicit-def: $vgpr6
	s_branch .LBB119_475
.LBB119_471:
	s_mov_b32 s36, -1
                                        ; implicit-def: $vgpr6
.LBB119_472:
	s_delay_alu instid0(SALU_CYCLE_1)
	s_and_not1_b32 vcc_lo, exec_lo, s36
	s_cbranch_vccnz .LBB119_474
; %bb.473:
	global_load_b32 v5, v[10:11], off
	s_wait_loadcnt 0x0
	v_cvt_i32_f32_e32 v6, v5
.LBB119_474:
	s_mov_b32 s36, 0
.LBB119_475:
	s_delay_alu instid0(SALU_CYCLE_1)
	s_and_not1_b32 vcc_lo, exec_lo, s36
	s_cbranch_vccnz .LBB119_477
; %bb.476:
	global_load_b32 v5, v[10:11], off
	s_wait_loadcnt 0x0
	v_cvt_f32_f16_e32 v5, v5
	s_delay_alu instid0(VALU_DEP_1)
	v_cvt_i32_f32_e32 v6, v5
.LBB119_477:
	s_mov_b32 s36, 0
.LBB119_478:
	s_delay_alu instid0(SALU_CYCLE_1)
	s_and_not1_b32 vcc_lo, exec_lo, s36
	s_cbranch_vccnz .LBB119_489
; %bb.479:
	s_cmp_lt_i32 s0, 6
	s_cbranch_scc1 .LBB119_482
; %bb.480:
	s_cmp_gt_i32 s0, 6
	s_cbranch_scc0 .LBB119_483
; %bb.481:
	s_wait_loadcnt 0x0
	global_load_b64 v[6:7], v[10:11], off
	s_mov_b32 s36, 0
	s_wait_loadcnt 0x0
	v_cvt_i32_f64_e32 v6, v[6:7]
	s_branch .LBB119_484
.LBB119_482:
	s_mov_b32 s36, -1
                                        ; implicit-def: $vgpr6
	s_branch .LBB119_487
.LBB119_483:
	s_mov_b32 s36, -1
                                        ; implicit-def: $vgpr6
.LBB119_484:
	s_delay_alu instid0(SALU_CYCLE_1)
	s_and_not1_b32 vcc_lo, exec_lo, s36
	s_cbranch_vccnz .LBB119_486
; %bb.485:
	global_load_b32 v5, v[10:11], off
	s_wait_loadcnt 0x0
	v_cvt_i32_f32_e32 v6, v5
.LBB119_486:
	s_mov_b32 s36, 0
.LBB119_487:
	s_delay_alu instid0(SALU_CYCLE_1)
	s_and_not1_b32 vcc_lo, exec_lo, s36
	s_cbranch_vccnz .LBB119_489
; %bb.488:
	global_load_u16 v5, v[10:11], off
	s_wait_loadcnt 0x0
	v_cvt_f32_f16_e32 v5, v5
	s_delay_alu instid0(VALU_DEP_1)
	v_cvt_i32_f32_e32 v6, v5
.LBB119_489:
	s_mov_b32 s36, 0
.LBB119_490:
	s_delay_alu instid0(SALU_CYCLE_1)
	s_and_not1_b32 vcc_lo, exec_lo, s36
	s_cbranch_vccnz .LBB119_510
; %bb.491:
	s_cmp_lt_i32 s0, 2
	s_cbranch_scc1 .LBB119_495
; %bb.492:
	s_cmp_lt_i32 s0, 3
	s_cbranch_scc1 .LBB119_496
; %bb.493:
	s_cmp_gt_i32 s0, 3
	s_cbranch_scc0 .LBB119_497
; %bb.494:
	s_wait_loadcnt 0x0
	global_load_b32 v6, v[10:11], off
	s_mov_b32 s36, 0
	s_branch .LBB119_498
.LBB119_495:
	s_mov_b32 s36, -1
                                        ; implicit-def: $vgpr6
	s_branch .LBB119_504
.LBB119_496:
	s_mov_b32 s36, -1
                                        ; implicit-def: $vgpr6
	s_branch .LBB119_501
.LBB119_497:
	s_mov_b32 s36, -1
                                        ; implicit-def: $vgpr6
.LBB119_498:
	s_delay_alu instid0(SALU_CYCLE_1)
	s_and_not1_b32 vcc_lo, exec_lo, s36
	s_cbranch_vccnz .LBB119_500
; %bb.499:
	s_wait_loadcnt 0x0
	global_load_b32 v6, v[10:11], off
.LBB119_500:
	s_mov_b32 s36, 0
.LBB119_501:
	s_delay_alu instid0(SALU_CYCLE_1)
	s_and_not1_b32 vcc_lo, exec_lo, s36
	s_cbranch_vccnz .LBB119_503
; %bb.502:
	s_wait_loadcnt 0x0
	global_load_i16 v6, v[10:11], off
.LBB119_503:
	s_mov_b32 s36, 0
.LBB119_504:
	s_delay_alu instid0(SALU_CYCLE_1)
	s_and_not1_b32 vcc_lo, exec_lo, s36
	s_cbranch_vccnz .LBB119_510
; %bb.505:
	s_cmp_gt_i32 s0, 0
	s_mov_b32 s0, 0
	s_cbranch_scc0 .LBB119_507
; %bb.506:
	s_wait_loadcnt 0x0
	global_load_i8 v6, v[10:11], off
	s_branch .LBB119_508
.LBB119_507:
	s_mov_b32 s0, -1
                                        ; implicit-def: $vgpr6
.LBB119_508:
	s_delay_alu instid0(SALU_CYCLE_1)
	s_and_not1_b32 vcc_lo, exec_lo, s0
	s_cbranch_vccnz .LBB119_510
; %bb.509:
	s_wait_loadcnt 0x0
	global_load_u8 v6, v[10:11], off
.LBB119_510:
	s_mov_b32 s49, -1
.LBB119_511:
	s_delay_alu instid0(SALU_CYCLE_1)
	s_and_not1_b32 vcc_lo, exec_lo, s49
	s_cbranch_vccnz .LBB119_519
; %bb.512:
	s_load_b128 s[4:7], s[2:3], 0x268
	v_mov_b32_e32 v5, 0
	s_and_b32 s0, s80, 0xff
	s_delay_alu instid0(SALU_CYCLE_1) | instskip(SKIP_1) | instid1(VALU_DEP_1)
	s_cmp_lt_i32 s0, 11
	s_wait_kmcnt 0x0
	v_add_nc_u64_e32 v[4:5], s[6:7], v[4:5]
	s_cbranch_scc1 .LBB119_520
; %bb.513:
	s_and_b32 s45, 0xffff, s0
	s_delay_alu instid0(SALU_CYCLE_1)
	s_cmp_gt_i32 s45, 25
	s_cbranch_scc0 .LBB119_521
; %bb.514:
	s_cmp_gt_i32 s45, 28
	s_cbranch_scc0 .LBB119_522
; %bb.515:
	;; [unrolled: 3-line block ×4, first 2 shown]
	s_cmp_eq_u32 s45, 46
	s_mov_b32 s36, 0
	s_cbranch_scc0 .LBB119_525
; %bb.518:
	global_load_b32 v7, v[4:5], off
	s_mov_b32 s49, -1
	s_mov_b32 s74, 0
	s_wait_loadcnt 0x0
	v_lshlrev_b32_e32 v7, 16, v7
	s_delay_alu instid0(VALU_DEP_1)
	v_cvt_i32_f32_e32 v10, v7
	s_branch .LBB119_527
.LBB119_519:
	s_mov_b32 s0, 0
	s_mov_b32 s36, 0
	;; [unrolled: 1-line block ×7, first 2 shown]
	s_branch .LBB119_649
.LBB119_520:
	s_mov_b32 s36, -1
	s_mov_b32 s74, 0
	s_mov_b32 s49, 0
                                        ; implicit-def: $vgpr10
	s_branch .LBB119_588
.LBB119_521:
	s_mov_b32 s36, -1
	s_mov_b32 s74, 0
	s_mov_b32 s49, 0
                                        ; implicit-def: $vgpr10
	s_branch .LBB119_554
.LBB119_522:
	s_mov_b32 s36, -1
	s_mov_b32 s74, 0
	s_mov_b32 s49, 0
                                        ; implicit-def: $vgpr10
	s_branch .LBB119_537
.LBB119_523:
	s_mov_b32 s36, -1
	s_mov_b32 s74, 0
	s_mov_b32 s49, 0
                                        ; implicit-def: $vgpr10
	s_branch .LBB119_532
.LBB119_524:
	s_mov_b32 s36, -1
	s_mov_b32 s74, 0
	s_branch .LBB119_526
.LBB119_525:
	s_mov_b32 s74, -1
.LBB119_526:
	s_mov_b32 s49, 0
                                        ; implicit-def: $vgpr10
.LBB119_527:
	s_and_b32 vcc_lo, exec_lo, s36
	s_cbranch_vccz .LBB119_531
; %bb.528:
	s_cmp_eq_u32 s45, 44
	s_cbranch_scc0 .LBB119_530
; %bb.529:
	global_load_u8 v7, v[4:5], off
	s_mov_b32 s74, 0
	s_mov_b32 s49, -1
	s_wait_loadcnt 0x0
	v_lshlrev_b32_e32 v9, 23, v7
	v_cmp_ne_u32_e32 vcc_lo, 0, v7
	s_delay_alu instid0(VALU_DEP_2) | instskip(NEXT) | instid1(VALU_DEP_1)
	v_cvt_i32_f32_e32 v9, v9
	v_cndmask_b32_e32 v10, 0, v9, vcc_lo
	s_branch .LBB119_531
.LBB119_530:
	s_mov_b32 s74, -1
                                        ; implicit-def: $vgpr10
.LBB119_531:
	s_mov_b32 s36, 0
.LBB119_532:
	s_delay_alu instid0(SALU_CYCLE_1)
	s_and_b32 vcc_lo, exec_lo, s36
	s_cbranch_vccz .LBB119_536
; %bb.533:
	s_cmp_eq_u32 s45, 29
	s_cbranch_scc0 .LBB119_535
; %bb.534:
	global_load_b32 v10, v[4:5], off
	s_mov_b32 s49, -1
	s_mov_b32 s74, 0
	s_branch .LBB119_536
.LBB119_535:
	s_mov_b32 s74, -1
                                        ; implicit-def: $vgpr10
.LBB119_536:
	s_mov_b32 s36, 0
.LBB119_537:
	s_delay_alu instid0(SALU_CYCLE_1)
	s_and_b32 vcc_lo, exec_lo, s36
	s_cbranch_vccz .LBB119_553
; %bb.538:
	s_cmp_lt_i32 s45, 27
	s_cbranch_scc1 .LBB119_541
; %bb.539:
	s_cmp_gt_i32 s45, 27
	s_cbranch_scc0 .LBB119_542
; %bb.540:
	s_wait_loadcnt 0x0
	global_load_b32 v10, v[4:5], off
	s_mov_b32 s36, 0
	s_branch .LBB119_543
.LBB119_541:
	s_mov_b32 s36, -1
                                        ; implicit-def: $vgpr10
	s_branch .LBB119_546
.LBB119_542:
	s_mov_b32 s36, -1
                                        ; implicit-def: $vgpr10
.LBB119_543:
	s_delay_alu instid0(SALU_CYCLE_1)
	s_and_not1_b32 vcc_lo, exec_lo, s36
	s_cbranch_vccnz .LBB119_545
; %bb.544:
	s_wait_loadcnt 0x0
	global_load_u16 v10, v[4:5], off
.LBB119_545:
	s_mov_b32 s36, 0
.LBB119_546:
	s_delay_alu instid0(SALU_CYCLE_1)
	s_and_not1_b32 vcc_lo, exec_lo, s36
	s_cbranch_vccnz .LBB119_552
; %bb.547:
	global_load_u8 v7, v[4:5], off
	s_mov_b32 s37, 0
	s_mov_b32 s4, exec_lo
	s_wait_loadcnt 0x0
	v_cmpx_lt_i16_e32 0x7f, v7
	s_xor_b32 s36, exec_lo, s4
	s_cbranch_execz .LBB119_564
; %bb.548:
	v_cmp_ne_u16_e32 vcc_lo, 0x80, v7
	s_and_b32 s37, vcc_lo, exec_lo
	s_and_not1_saveexec_b32 s36, s36
	s_cbranch_execnz .LBB119_565
.LBB119_549:
	s_or_b32 exec_lo, exec_lo, s36
	v_mov_b32_e32 v10, 0
	s_and_saveexec_b32 s36, s37
	s_cbranch_execz .LBB119_551
.LBB119_550:
	v_and_b32_e32 v9, 0xffff, v7
	s_delay_alu instid0(VALU_DEP_1) | instskip(SKIP_1) | instid1(VALU_DEP_2)
	v_and_b32_e32 v10, 7, v9
	v_bfe_u32 v13, v9, 3, 4
	v_clz_i32_u32_e32 v11, v10
	s_delay_alu instid0(VALU_DEP_2) | instskip(NEXT) | instid1(VALU_DEP_2)
	v_cmp_eq_u32_e32 vcc_lo, 0, v13
	v_min_u32_e32 v11, 32, v11
	s_delay_alu instid0(VALU_DEP_1) | instskip(NEXT) | instid1(VALU_DEP_1)
	v_subrev_nc_u32_e32 v12, 28, v11
	v_dual_lshlrev_b32 v9, v12, v9 :: v_dual_sub_nc_u32 v11, 29, v11
	s_delay_alu instid0(VALU_DEP_1) | instskip(NEXT) | instid1(VALU_DEP_1)
	v_dual_lshlrev_b32 v7, 24, v7 :: v_dual_bitop2_b32 v9, 7, v9 bitop3:0x40
	v_dual_cndmask_b32 v9, v10, v9, vcc_lo :: v_dual_cndmask_b32 v11, v13, v11, vcc_lo
	s_delay_alu instid0(VALU_DEP_2) | instskip(NEXT) | instid1(VALU_DEP_2)
	v_and_b32_e32 v7, 0x80000000, v7
	v_lshlrev_b32_e32 v9, 20, v9
	s_delay_alu instid0(VALU_DEP_3) | instskip(NEXT) | instid1(VALU_DEP_1)
	v_lshl_add_u32 v10, v11, 23, 0x3b800000
	v_or3_b32 v7, v7, v10, v9
	s_delay_alu instid0(VALU_DEP_1)
	v_cvt_i32_f32_e32 v10, v7
.LBB119_551:
	s_or_b32 exec_lo, exec_lo, s36
.LBB119_552:
	s_mov_b32 s49, -1
.LBB119_553:
	s_mov_b32 s36, 0
.LBB119_554:
	s_delay_alu instid0(SALU_CYCLE_1)
	s_and_b32 vcc_lo, exec_lo, s36
	s_cbranch_vccz .LBB119_587
; %bb.555:
	s_cmp_gt_i32 s45, 22
	s_cbranch_scc0 .LBB119_563
; %bb.556:
	s_cmp_lt_i32 s45, 24
	s_cbranch_scc1 .LBB119_566
; %bb.557:
	s_cmp_gt_i32 s45, 24
	s_cbranch_scc0 .LBB119_567
; %bb.558:
	global_load_u8 v7, v[4:5], off
	s_mov_b32 s37, 0
	s_mov_b32 s4, exec_lo
	s_wait_loadcnt 0x0
	v_cmpx_lt_i16_e32 0x7f, v7
	s_xor_b32 s36, exec_lo, s4
	s_cbranch_execz .LBB119_579
; %bb.559:
	v_cmp_ne_u16_e32 vcc_lo, 0x80, v7
	s_and_b32 s37, vcc_lo, exec_lo
	s_and_not1_saveexec_b32 s36, s36
	s_cbranch_execnz .LBB119_580
.LBB119_560:
	s_or_b32 exec_lo, exec_lo, s36
	v_mov_b32_e32 v10, 0
	s_and_saveexec_b32 s36, s37
	s_cbranch_execz .LBB119_562
.LBB119_561:
	v_and_b32_e32 v9, 0xffff, v7
	s_delay_alu instid0(VALU_DEP_1) | instskip(SKIP_1) | instid1(VALU_DEP_2)
	v_and_b32_e32 v10, 3, v9
	v_bfe_u32 v13, v9, 2, 5
	v_clz_i32_u32_e32 v11, v10
	s_delay_alu instid0(VALU_DEP_2) | instskip(NEXT) | instid1(VALU_DEP_2)
	v_cmp_eq_u32_e32 vcc_lo, 0, v13
	v_min_u32_e32 v11, 32, v11
	s_delay_alu instid0(VALU_DEP_1) | instskip(NEXT) | instid1(VALU_DEP_1)
	v_subrev_nc_u32_e32 v12, 29, v11
	v_dual_lshlrev_b32 v9, v12, v9 :: v_dual_sub_nc_u32 v11, 30, v11
	s_delay_alu instid0(VALU_DEP_1) | instskip(NEXT) | instid1(VALU_DEP_1)
	v_dual_lshlrev_b32 v7, 24, v7 :: v_dual_bitop2_b32 v9, 3, v9 bitop3:0x40
	v_dual_cndmask_b32 v9, v10, v9, vcc_lo :: v_dual_cndmask_b32 v11, v13, v11, vcc_lo
	s_delay_alu instid0(VALU_DEP_2) | instskip(NEXT) | instid1(VALU_DEP_2)
	v_and_b32_e32 v7, 0x80000000, v7
	v_lshlrev_b32_e32 v9, 21, v9
	s_delay_alu instid0(VALU_DEP_3) | instskip(NEXT) | instid1(VALU_DEP_1)
	v_lshl_add_u32 v10, v11, 23, 0x37800000
	v_or3_b32 v7, v7, v10, v9
	s_delay_alu instid0(VALU_DEP_1)
	v_cvt_i32_f32_e32 v10, v7
.LBB119_562:
	s_or_b32 exec_lo, exec_lo, s36
	s_mov_b32 s36, 0
	s_branch .LBB119_568
.LBB119_563:
	s_mov_b32 s36, -1
                                        ; implicit-def: $vgpr10
	s_branch .LBB119_574
.LBB119_564:
	s_and_not1_saveexec_b32 s36, s36
	s_cbranch_execz .LBB119_549
.LBB119_565:
	v_cmp_ne_u16_e32 vcc_lo, 0, v7
	s_and_not1_b32 s4, s37, exec_lo
	s_and_b32 s5, vcc_lo, exec_lo
	s_delay_alu instid0(SALU_CYCLE_1)
	s_or_b32 s37, s4, s5
	s_or_b32 exec_lo, exec_lo, s36
	v_mov_b32_e32 v10, 0
	s_and_saveexec_b32 s36, s37
	s_cbranch_execnz .LBB119_550
	s_branch .LBB119_551
.LBB119_566:
	s_mov_b32 s36, -1
                                        ; implicit-def: $vgpr10
	s_branch .LBB119_571
.LBB119_567:
	s_mov_b32 s36, -1
                                        ; implicit-def: $vgpr10
.LBB119_568:
	s_delay_alu instid0(SALU_CYCLE_1)
	s_and_b32 vcc_lo, exec_lo, s36
	s_cbranch_vccz .LBB119_570
; %bb.569:
	global_load_u8 v7, v[4:5], off
	s_wait_loadcnt 0x0
	v_lshlrev_b32_e32 v7, 24, v7
	s_delay_alu instid0(VALU_DEP_1) | instskip(NEXT) | instid1(VALU_DEP_1)
	v_and_b32_e32 v9, 0x7f000000, v7
	v_clz_i32_u32_e32 v10, v9
	v_cmp_ne_u32_e32 vcc_lo, 0, v9
	v_add_nc_u32_e32 v12, 0x1000000, v9
	s_delay_alu instid0(VALU_DEP_3) | instskip(NEXT) | instid1(VALU_DEP_1)
	v_min_u32_e32 v10, 32, v10
	v_sub_nc_u32_e64 v10, v10, 4 clamp
	s_delay_alu instid0(VALU_DEP_1) | instskip(NEXT) | instid1(VALU_DEP_1)
	v_dual_lshlrev_b32 v11, v10, v9 :: v_dual_lshlrev_b32 v10, 23, v10
	v_lshrrev_b32_e32 v11, 4, v11
	s_delay_alu instid0(VALU_DEP_1) | instskip(NEXT) | instid1(VALU_DEP_1)
	v_dual_sub_nc_u32 v10, v11, v10 :: v_dual_ashrrev_i32 v11, 8, v12
	v_add_nc_u32_e32 v10, 0x3c000000, v10
	s_delay_alu instid0(VALU_DEP_1) | instskip(NEXT) | instid1(VALU_DEP_1)
	v_and_or_b32 v10, 0x7f800000, v11, v10
	v_cndmask_b32_e32 v9, 0, v10, vcc_lo
	s_delay_alu instid0(VALU_DEP_1) | instskip(NEXT) | instid1(VALU_DEP_1)
	v_and_or_b32 v7, 0x80000000, v7, v9
	v_cvt_i32_f32_e32 v10, v7
.LBB119_570:
	s_mov_b32 s36, 0
.LBB119_571:
	s_delay_alu instid0(SALU_CYCLE_1)
	s_and_not1_b32 vcc_lo, exec_lo, s36
	s_cbranch_vccnz .LBB119_573
; %bb.572:
	global_load_u8 v7, v[4:5], off
	s_wait_loadcnt 0x0
	v_lshlrev_b32_e32 v9, 25, v7
	v_lshlrev_b16 v7, 8, v7
	s_delay_alu instid0(VALU_DEP_1) | instskip(NEXT) | instid1(VALU_DEP_3)
	v_and_or_b32 v11, 0x7f00, v7, 0.5
	v_lshrrev_b32_e32 v10, 4, v9
	v_bfe_i32 v7, v7, 0, 16
	s_delay_alu instid0(VALU_DEP_3) | instskip(NEXT) | instid1(VALU_DEP_3)
	v_add_f32_e32 v11, -0.5, v11
	v_or_b32_e32 v10, 0x70000000, v10
	s_delay_alu instid0(VALU_DEP_1) | instskip(SKIP_1) | instid1(VALU_DEP_2)
	v_mul_f32_e32 v10, 0x7800000, v10
	v_cmp_gt_u32_e32 vcc_lo, 0x8000000, v9
	v_cndmask_b32_e32 v9, v10, v11, vcc_lo
	s_delay_alu instid0(VALU_DEP_1) | instskip(NEXT) | instid1(VALU_DEP_1)
	v_and_or_b32 v7, 0x80000000, v7, v9
	v_cvt_i32_f32_e32 v10, v7
.LBB119_573:
	s_mov_b32 s36, 0
	s_mov_b32 s49, -1
.LBB119_574:
	s_and_not1_b32 vcc_lo, exec_lo, s36
	s_cbranch_vccnz .LBB119_587
; %bb.575:
	s_cmp_gt_i32 s45, 14
	s_cbranch_scc0 .LBB119_578
; %bb.576:
	s_cmp_eq_u32 s45, 15
	s_cbranch_scc0 .LBB119_581
; %bb.577:
	global_load_u16 v7, v[4:5], off
	s_mov_b32 s49, -1
	s_mov_b32 s74, 0
	s_wait_loadcnt 0x0
	v_lshlrev_b32_e32 v7, 16, v7
	s_delay_alu instid0(VALU_DEP_1)
	v_cvt_i32_f32_e32 v10, v7
	s_branch .LBB119_582
.LBB119_578:
	s_mov_b32 s36, -1
                                        ; implicit-def: $vgpr10
	s_branch .LBB119_583
.LBB119_579:
	s_and_not1_saveexec_b32 s36, s36
	s_cbranch_execz .LBB119_560
.LBB119_580:
	v_cmp_ne_u16_e32 vcc_lo, 0, v7
	s_and_not1_b32 s4, s37, exec_lo
	s_and_b32 s5, vcc_lo, exec_lo
	s_delay_alu instid0(SALU_CYCLE_1)
	s_or_b32 s37, s4, s5
	s_or_b32 exec_lo, exec_lo, s36
	v_mov_b32_e32 v10, 0
	s_and_saveexec_b32 s36, s37
	s_cbranch_execnz .LBB119_561
	s_branch .LBB119_562
.LBB119_581:
	s_mov_b32 s74, -1
                                        ; implicit-def: $vgpr10
.LBB119_582:
	s_mov_b32 s36, 0
.LBB119_583:
	s_delay_alu instid0(SALU_CYCLE_1)
	s_and_b32 vcc_lo, exec_lo, s36
	s_cbranch_vccz .LBB119_587
; %bb.584:
	s_cmp_eq_u32 s45, 11
	s_cbranch_scc0 .LBB119_586
; %bb.585:
	global_load_u8 v7, v[4:5], off
	s_mov_b32 s74, 0
	s_mov_b32 s49, -1
	s_wait_loadcnt 0x0
	v_cmp_ne_u16_e32 vcc_lo, 0, v7
	v_cndmask_b32_e64 v10, 0, 1, vcc_lo
	s_branch .LBB119_587
.LBB119_586:
	s_mov_b32 s74, -1
                                        ; implicit-def: $vgpr10
.LBB119_587:
	s_mov_b32 s36, 0
.LBB119_588:
	s_delay_alu instid0(SALU_CYCLE_1)
	s_and_b32 vcc_lo, exec_lo, s36
	s_cbranch_vccz .LBB119_637
; %bb.589:
	s_and_b32 s0, 0xffff, s0
	s_delay_alu instid0(SALU_CYCLE_1)
	s_cmp_lt_i32 s0, 5
	s_cbranch_scc1 .LBB119_594
; %bb.590:
	s_cmp_lt_i32 s0, 8
	s_cbranch_scc1 .LBB119_595
; %bb.591:
	;; [unrolled: 3-line block ×3, first 2 shown]
	s_cmp_gt_i32 s0, 9
	s_cbranch_scc0 .LBB119_597
; %bb.593:
	s_wait_loadcnt 0x0
	global_load_b64 v[10:11], v[4:5], off
	s_mov_b32 s36, 0
	s_wait_loadcnt 0x0
	v_cvt_i32_f64_e32 v10, v[10:11]
	s_branch .LBB119_598
.LBB119_594:
	s_mov_b32 s36, -1
                                        ; implicit-def: $vgpr10
	s_branch .LBB119_616
.LBB119_595:
	s_mov_b32 s36, -1
                                        ; implicit-def: $vgpr10
	s_branch .LBB119_604
.LBB119_596:
	s_mov_b32 s36, -1
                                        ; implicit-def: $vgpr10
	s_branch .LBB119_601
.LBB119_597:
	s_mov_b32 s36, -1
                                        ; implicit-def: $vgpr10
.LBB119_598:
	s_delay_alu instid0(SALU_CYCLE_1)
	s_and_not1_b32 vcc_lo, exec_lo, s36
	s_cbranch_vccnz .LBB119_600
; %bb.599:
	global_load_b32 v7, v[4:5], off
	s_wait_loadcnt 0x0
	v_cvt_i32_f32_e32 v10, v7
.LBB119_600:
	s_mov_b32 s36, 0
.LBB119_601:
	s_delay_alu instid0(SALU_CYCLE_1)
	s_and_not1_b32 vcc_lo, exec_lo, s36
	s_cbranch_vccnz .LBB119_603
; %bb.602:
	global_load_b32 v7, v[4:5], off
	s_wait_loadcnt 0x0
	v_cvt_f32_f16_e32 v7, v7
	s_delay_alu instid0(VALU_DEP_1)
	v_cvt_i32_f32_e32 v10, v7
.LBB119_603:
	s_mov_b32 s36, 0
.LBB119_604:
	s_delay_alu instid0(SALU_CYCLE_1)
	s_and_not1_b32 vcc_lo, exec_lo, s36
	s_cbranch_vccnz .LBB119_615
; %bb.605:
	s_cmp_lt_i32 s0, 6
	s_cbranch_scc1 .LBB119_608
; %bb.606:
	s_cmp_gt_i32 s0, 6
	s_cbranch_scc0 .LBB119_609
; %bb.607:
	s_wait_loadcnt 0x0
	global_load_b64 v[10:11], v[4:5], off
	s_mov_b32 s36, 0
	s_wait_loadcnt 0x0
	v_cvt_i32_f64_e32 v10, v[10:11]
	s_branch .LBB119_610
.LBB119_608:
	s_mov_b32 s36, -1
                                        ; implicit-def: $vgpr10
	s_branch .LBB119_613
.LBB119_609:
	s_mov_b32 s36, -1
                                        ; implicit-def: $vgpr10
.LBB119_610:
	s_delay_alu instid0(SALU_CYCLE_1)
	s_and_not1_b32 vcc_lo, exec_lo, s36
	s_cbranch_vccnz .LBB119_612
; %bb.611:
	global_load_b32 v7, v[4:5], off
	s_wait_loadcnt 0x0
	v_cvt_i32_f32_e32 v10, v7
.LBB119_612:
	s_mov_b32 s36, 0
.LBB119_613:
	s_delay_alu instid0(SALU_CYCLE_1)
	s_and_not1_b32 vcc_lo, exec_lo, s36
	s_cbranch_vccnz .LBB119_615
; %bb.614:
	global_load_u16 v7, v[4:5], off
	s_wait_loadcnt 0x0
	v_cvt_f32_f16_e32 v7, v7
	s_delay_alu instid0(VALU_DEP_1)
	v_cvt_i32_f32_e32 v10, v7
.LBB119_615:
	s_mov_b32 s36, 0
.LBB119_616:
	s_delay_alu instid0(SALU_CYCLE_1)
	s_and_not1_b32 vcc_lo, exec_lo, s36
	s_cbranch_vccnz .LBB119_636
; %bb.617:
	s_cmp_lt_i32 s0, 2
	s_cbranch_scc1 .LBB119_621
; %bb.618:
	s_cmp_lt_i32 s0, 3
	s_cbranch_scc1 .LBB119_622
; %bb.619:
	s_cmp_gt_i32 s0, 3
	s_cbranch_scc0 .LBB119_623
; %bb.620:
	s_wait_loadcnt 0x0
	global_load_b32 v10, v[4:5], off
	s_mov_b32 s36, 0
	s_branch .LBB119_624
.LBB119_621:
	s_mov_b32 s36, -1
                                        ; implicit-def: $vgpr10
	s_branch .LBB119_630
.LBB119_622:
	s_mov_b32 s36, -1
                                        ; implicit-def: $vgpr10
	s_branch .LBB119_627
.LBB119_623:
	s_mov_b32 s36, -1
                                        ; implicit-def: $vgpr10
.LBB119_624:
	s_delay_alu instid0(SALU_CYCLE_1)
	s_and_not1_b32 vcc_lo, exec_lo, s36
	s_cbranch_vccnz .LBB119_626
; %bb.625:
	s_wait_loadcnt 0x0
	global_load_b32 v10, v[4:5], off
.LBB119_626:
	s_mov_b32 s36, 0
.LBB119_627:
	s_delay_alu instid0(SALU_CYCLE_1)
	s_and_not1_b32 vcc_lo, exec_lo, s36
	s_cbranch_vccnz .LBB119_629
; %bb.628:
	s_wait_loadcnt 0x0
	global_load_i16 v10, v[4:5], off
.LBB119_629:
	s_mov_b32 s36, 0
.LBB119_630:
	s_delay_alu instid0(SALU_CYCLE_1)
	s_and_not1_b32 vcc_lo, exec_lo, s36
	s_cbranch_vccnz .LBB119_636
; %bb.631:
	s_cmp_gt_i32 s0, 0
	s_mov_b32 s0, 0
	s_cbranch_scc0 .LBB119_633
; %bb.632:
	s_wait_loadcnt 0x0
	global_load_i8 v10, v[4:5], off
	s_branch .LBB119_634
.LBB119_633:
	s_mov_b32 s0, -1
                                        ; implicit-def: $vgpr10
.LBB119_634:
	s_delay_alu instid0(SALU_CYCLE_1)
	s_and_not1_b32 vcc_lo, exec_lo, s0
	s_cbranch_vccnz .LBB119_636
; %bb.635:
	s_wait_loadcnt 0x0
	global_load_u8 v10, v[4:5], off
.LBB119_636:
	s_mov_b32 s49, -1
.LBB119_637:
	s_delay_alu instid0(SALU_CYCLE_1)
	s_and_not1_b32 vcc_lo, exec_lo, s49
	s_cbranch_vccnz .LBB119_648
; %bb.638:
	s_wait_loadcnt 0x0
	v_cmp_eq_u32_e32 vcc_lo, s79, v1
	s_mov_b32 s36, -1
	s_mov_b32 s0, 0
	s_mov_b32 s37, 0
	;; [unrolled: 1-line block ×3, first 2 shown]
	s_and_b32 s4, s17, vcc_lo
	s_mov_b32 s39, 0
	s_mov_b32 s49, 0
	s_and_saveexec_b32 s45, s4
	s_cbranch_execz .LBB119_4033
; %bb.639:
	v_cmp_eq_u32_e32 vcc_lo, s14, v3
	s_and_b32 s4, s51, vcc_lo
	s_delay_alu instid0(SALU_CYCLE_1)
	s_and_saveexec_b32 s84, s4
	s_cbranch_execz .LBB119_1958
; %bb.640:
	v_sub_nc_u32_e32 v1, v6, v8
	s_mov_b32 s38, -1
	s_delay_alu instid0(VALU_DEP_1) | instskip(SKIP_4) | instid1(SALU_CYCLE_1)
	v_cmp_le_i32_e32 vcc_lo, s79, v1
	v_cmp_ge_i32_e64 s0, s12, v1
	s_and_b32 s4, vcc_lo, s0
	s_mov_b32 s0, 0
	s_and_b32 s4, s78, s4
	s_and_saveexec_b32 s85, s4
	s_cbranch_execz .LBB119_1957
; %bb.641:
	v_mov_b64_e32 v[4:5], 0
	s_and_not1_b32 vcc_lo, exec_lo, s77
	s_cbranch_vccnz .LBB119_689
; %bb.642:
	v_ashrrev_i32_e32 v11, 31, v10
	s_mov_b32 s57, 0
	v_mov_b64_e32 v[4:5], 0
	s_mov_b32 s49, s57
	s_mov_b64 s[58:59], 0xffffffff
	v_mul_u64_e32 v[12:13], s[14:15], v[10:11]
	v_mov_b32_e32 v10, 0
	s_lshl_b64 s[4:5], s[48:49], 3
	s_mov_b32 s49, s16
	s_add_nc_u64 s[60:61], s[18:19], s[4:5]
	s_add_nc_u64 s[62:63], s[40:41], s[4:5]
	s_branch .LBB119_644
.LBB119_643:                            ;   in Loop: Header=BB119_644 Depth=1
	s_or_b32 exec_lo, exec_lo, s0
	s_delay_alu instid0(VALU_DEP_1)
	v_mul_u64_e32 v[16:17], s[64:65], v[14:15]
	s_load_b64 s[4:5], s[62:63], 0x0
	s_add_co_i32 s49, s49, -1
	s_add_nc_u64 s[60:61], s[60:61], -8
	s_cmp_eq_u32 s49, 0
	s_wait_xcnt 0x0
	s_add_nc_u64 s[62:63], s[62:63], -8
	s_delay_alu instid0(VALU_DEP_1) | instskip(SKIP_1) | instid1(VALU_DEP_1)
	v_sub_nc_u64_e32 v[12:13], v[12:13], v[16:17]
	s_wait_kmcnt 0x0
	v_mad_nc_u64_u32 v[4:5], v12, s4, v[4:5]
	s_delay_alu instid0(VALU_DEP_1) | instskip(NEXT) | instid1(VALU_DEP_1)
	v_mad_u32 v1, v13, s4, v5
	v_mad_u32 v5, v12, s5, v1
	v_mov_b64_e32 v[12:13], v[14:15]
	s_cbranch_scc1 .LBB119_689
.LBB119_644:                            ; =>This Inner Loop Header: Depth=1
	s_load_b64 s[64:65], s[60:61], 0x0
                                        ; implicit-def: $vgpr14_vgpr15
	s_mov_b32 s0, exec_lo
	s_wait_kmcnt 0x0
	s_delay_alu instid0(VALU_DEP_1) | instskip(NEXT) | instid1(VALU_DEP_1)
	v_or_b32_e32 v11, s65, v13
	v_cmpx_ne_u64_e32 0, v[10:11]
	s_xor_b32 s36, exec_lo, s0
	s_cbranch_execz .LBB119_646
; %bb.645:                              ;   in Loop: Header=BB119_644 Depth=1
	s_ashr_i32 s66, s65, 31
	v_dual_mov_b32 v19, v10 :: v_dual_ashrrev_i32 v14, 31, v13
	s_mov_b32 s67, s66
	v_mov_b32_e32 v27, v10
	s_add_nc_u64 s[4:5], s[64:65], s[66:67]
	s_delay_alu instid0(VALU_DEP_2) | instskip(SKIP_1) | instid1(SALU_CYCLE_1)
	v_mov_b32_e32 v15, v14
	s_xor_b64 s[68:69], s[4:5], s[66:67]
	s_cvt_f32_u32 s0, s68
	s_cvt_f32_u32 s4, s69
	s_sub_nc_u64 s[6:7], 0, s[68:69]
	v_add_nc_u64_e32 v[16:17], v[12:13], v[14:15]
	v_mov_b32_e32 v23, v10
	s_fmamk_f32 s0, s4, 0x4f800000, s0
	s_delay_alu instid0(SALU_CYCLE_3) | instskip(NEXT) | instid1(VALU_DEP_2)
	v_s_rcp_f32 s0, s0
	v_xor_b32_e32 v18, v16, v14
	s_delay_alu instid0(VALU_DEP_3) | instskip(NEXT) | instid1(TRANS32_DEP_1)
	v_xor_b32_e32 v22, v17, v14
	s_mul_f32 s0, s0, 0x5f7ffffc
	s_delay_alu instid0(SALU_CYCLE_3) | instskip(NEXT) | instid1(SALU_CYCLE_3)
	s_mul_f32 s4, s0, 0x2f800000
	s_trunc_f32 s4, s4
	s_delay_alu instid0(SALU_CYCLE_3) | instskip(SKIP_1) | instid1(SALU_CYCLE_2)
	s_fmamk_f32 s0, s4, 0xcf800000, s0
	s_cvt_u32_f32 s5, s4
	s_cvt_u32_f32 s4, s0
	s_delay_alu instid0(SALU_CYCLE_3) | instskip(NEXT) | instid1(SALU_CYCLE_1)
	s_mul_u64 s[8:9], s[6:7], s[4:5]
	s_mul_hi_u32 s11, s4, s9
	s_mul_i32 s10, s4, s9
	s_mul_hi_u32 s56, s4, s8
	s_mul_i32 s37, s5, s8
	s_add_nc_u64 s[10:11], s[56:57], s[10:11]
	s_mul_hi_u32 s0, s5, s8
	s_mul_hi_u32 s38, s5, s9
	s_mul_i32 s8, s5, s9
	s_add_co_u32 s9, s10, s37
	s_add_co_ci_u32 s56, s11, s0
	s_add_co_ci_u32 s9, s38, 0
	s_delay_alu instid0(SALU_CYCLE_1) | instskip(NEXT) | instid1(SALU_CYCLE_1)
	s_add_nc_u64 s[8:9], s[56:57], s[8:9]
	s_add_co_u32 s4, s4, s8
	s_cselect_b32 s0, -1, 0
	s_delay_alu instid0(SALU_CYCLE_1) | instskip(SKIP_1) | instid1(SALU_CYCLE_1)
	s_cmp_lg_u32 s0, 0
	s_add_co_ci_u32 s5, s5, s9
	s_mul_u64 s[6:7], s[6:7], s[4:5]
	s_delay_alu instid0(SALU_CYCLE_1)
	s_mul_hi_u32 s9, s4, s7
	s_mul_i32 s8, s4, s7
	s_mul_hi_u32 s56, s4, s6
	s_mul_i32 s10, s5, s6
	s_add_nc_u64 s[8:9], s[56:57], s[8:9]
	s_mul_hi_u32 s0, s5, s6
	s_mul_hi_u32 s11, s5, s7
	s_mul_i32 s6, s5, s7
	s_add_co_u32 s7, s8, s10
	s_add_co_ci_u32 s56, s9, s0
	s_add_co_ci_u32 s7, s11, 0
	s_delay_alu instid0(SALU_CYCLE_1) | instskip(NEXT) | instid1(SALU_CYCLE_1)
	s_add_nc_u64 s[6:7], s[56:57], s[6:7]
	s_add_co_u32 s0, s4, s6
	s_cselect_b32 s4, -1, 0
	v_mul_hi_u32 v26, v18, s0
	s_cmp_lg_u32 s4, 0
	s_add_co_ci_u32 s56, s5, s7
	s_and_b64 s[4:5], s[0:1], s[58:59]
	v_mul_u64_e32 v[20:21], s[56:57], v[18:19]
	v_mul_u64_e32 v[16:17], s[4:5], v[22:23]
	;; [unrolled: 1-line block ×3, first 2 shown]
	s_delay_alu instid0(VALU_DEP_3) | instskip(NEXT) | instid1(VALU_DEP_1)
	v_add_nc_u64_e32 v[20:21], v[26:27], v[20:21]
	v_add_co_u32 v1, vcc_lo, v20, v16
	s_delay_alu instid0(VALU_DEP_2) | instskip(NEXT) | instid1(VALU_DEP_4)
	v_add_co_ci_u32_e32 v26, vcc_lo, v21, v17, vcc_lo
	v_add_co_ci_u32_e32 v25, vcc_lo, 0, v25, vcc_lo
	s_delay_alu instid0(VALU_DEP_1) | instskip(NEXT) | instid1(VALU_DEP_1)
	v_add_nc_u64_e32 v[16:17], v[26:27], v[24:25]
	v_mul_u64_e32 v[20:21], s[68:69], v[16:17]
	s_delay_alu instid0(VALU_DEP_1) | instskip(NEXT) | instid1(VALU_DEP_2)
	v_sub_nc_u32_e32 v1, v22, v21
	v_sub_co_u32 v3, vcc_lo, v18, v20
	s_delay_alu instid0(VALU_DEP_1) | instskip(NEXT) | instid1(VALU_DEP_3)
	v_sub_co_ci_u32_e64 v9, null, v22, v21, vcc_lo
	v_subrev_co_ci_u32_e64 v1, null, s69, v1, vcc_lo
	s_delay_alu instid0(VALU_DEP_3) | instskip(SKIP_1) | instid1(VALU_DEP_3)
	v_sub_co_u32 v7, s0, v3, s68
	v_add_nc_u64_e32 v[18:19], 2, v[16:17]
	v_subrev_co_ci_u32_e64 v1, null, 0, v1, s0
	s_delay_alu instid0(VALU_DEP_3) | instskip(SKIP_2) | instid1(VALU_DEP_4)
	v_cmp_le_u32_e32 vcc_lo, s68, v7
	v_add_nc_u64_e32 v[20:21], 1, v[16:17]
	v_cndmask_b32_e64 v7, 0, -1, vcc_lo
	v_cmp_le_u32_e32 vcc_lo, s69, v1
	v_cndmask_b32_e64 v11, 0, -1, vcc_lo
	v_cmp_le_u32_e32 vcc_lo, s68, v3
	v_cndmask_b32_e64 v3, 0, -1, vcc_lo
	v_cmp_le_u32_e32 vcc_lo, s69, v9
	v_cndmask_b32_e64 v15, 0, -1, vcc_lo
	v_cmp_eq_u32_e32 vcc_lo, s69, v1
	v_cndmask_b32_e32 v1, v11, v7, vcc_lo
	v_cmp_eq_u32_e32 vcc_lo, s69, v9
	s_delay_alu instid0(VALU_DEP_4) | instskip(NEXT) | instid1(VALU_DEP_3)
	v_cndmask_b32_e32 v3, v15, v3, vcc_lo
	v_cmp_ne_u32_e32 vcc_lo, 0, v1
	s_delay_alu instid0(VALU_DEP_2) | instskip(SKIP_1) | instid1(VALU_DEP_1)
	v_cmp_ne_u32_e64 s0, 0, v3
	v_dual_cndmask_b32 v1, v21, v19, vcc_lo :: v_dual_cndmask_b32 v3, v20, v18, vcc_lo
	v_dual_cndmask_b32 v1, v17, v1, s0 :: v_dual_bitop2_b32 v14, s66, v14 bitop3:0x14
	s_delay_alu instid0(VALU_DEP_1) | instskip(NEXT) | instid1(VALU_DEP_2)
	v_dual_cndmask_b32 v3, v16, v3, s0 :: v_dual_mov_b32 v15, v14
	v_xor_b32_e32 v17, v1, v14
	s_delay_alu instid0(VALU_DEP_2) | instskip(NEXT) | instid1(VALU_DEP_1)
	v_xor_b32_e32 v16, v3, v14
	v_sub_nc_u64_e32 v[14:15], v[16:17], v[14:15]
.LBB119_646:                            ;   in Loop: Header=BB119_644 Depth=1
	s_and_not1_saveexec_b32 s0, s36
	s_cbranch_execz .LBB119_643
; %bb.647:                              ;   in Loop: Header=BB119_644 Depth=1
	v_cvt_f32_u32_e32 v1, s64
	s_sub_co_i32 s4, 0, s64
	v_mov_b32_e32 v15, v10
	s_delay_alu instid0(VALU_DEP_2) | instskip(SKIP_1) | instid1(TRANS32_DEP_1)
	v_rcp_iflag_f32_e32 v1, v1
	v_nop
	v_mul_f32_e32 v1, 0x4f7ffffe, v1
	s_delay_alu instid0(VALU_DEP_1) | instskip(NEXT) | instid1(VALU_DEP_1)
	v_cvt_u32_f32_e32 v1, v1
	v_mul_lo_u32 v3, s4, v1
	s_delay_alu instid0(VALU_DEP_1) | instskip(NEXT) | instid1(VALU_DEP_1)
	v_mul_hi_u32 v3, v1, v3
	v_add_nc_u32_e32 v1, v1, v3
	s_delay_alu instid0(VALU_DEP_1) | instskip(NEXT) | instid1(VALU_DEP_1)
	v_mul_hi_u32 v1, v12, v1
	v_mul_lo_u32 v3, v1, s64
	s_delay_alu instid0(VALU_DEP_1) | instskip(NEXT) | instid1(VALU_DEP_1)
	v_dual_add_nc_u32 v7, 1, v1 :: v_dual_sub_nc_u32 v3, v12, v3
	v_subrev_nc_u32_e32 v9, s64, v3
	v_cmp_le_u32_e32 vcc_lo, s64, v3
	s_delay_alu instid0(VALU_DEP_2) | instskip(NEXT) | instid1(VALU_DEP_1)
	v_dual_cndmask_b32 v3, v3, v9, vcc_lo :: v_dual_cndmask_b32 v1, v1, v7, vcc_lo
	v_cmp_le_u32_e32 vcc_lo, s64, v3
	s_delay_alu instid0(VALU_DEP_2) | instskip(NEXT) | instid1(VALU_DEP_1)
	v_add_nc_u32_e32 v7, 1, v1
	v_cndmask_b32_e32 v14, v1, v7, vcc_lo
	s_branch .LBB119_643
.LBB119_648:
	s_mov_b32 s0, 0
	s_mov_b32 s36, 0
	;; [unrolled: 1-line block ×6, first 2 shown]
.LBB119_649:
                                        ; implicit-def: $vgpr0
.LBB119_650:
	s_delay_alu instid0(SALU_CYCLE_1)
	s_and_b32 s45, s49, exec_lo
	s_and_b32 s68, s39, exec_lo
	;; [unrolled: 1-line block ×10, first 2 shown]
	s_or_not1_b32 s29, s0, exec_lo
.LBB119_651:
	s_wait_xcnt 0x0
	s_or_b32 exec_lo, exec_lo, s91
	s_mov_b32 s30, 0
	s_mov_b32 s28, 0
                                        ; implicit-def: $sgpr0
                                        ; implicit-def: $vgpr12_vgpr13
                                        ; implicit-def: $vgpr2
                                        ; implicit-def: $vgpr8
                                        ; implicit-def: $vgpr10
                                        ; implicit-def: $vgpr4
                                        ; implicit-def: $vgpr6
                                        ; implicit-def: $vgpr3
	s_and_saveexec_b32 s91, s29
	s_cbranch_execz .LBB119_659
; %bb.652:
	s_mov_b32 s28, -1
	s_mov_b32 s92, s90
	s_mov_b32 s94, s89
	;; [unrolled: 1-line block ×10, first 2 shown]
	s_mov_b32 s104, exec_lo
	v_cmpx_gt_i32_e64 s82, v0
	s_cbranch_execz .LBB119_1326
; %bb.653:
	s_and_not1_b32 vcc_lo, exec_lo, s72
	s_cbranch_vccnz .LBB119_662
; %bb.654:
	s_and_not1_b32 vcc_lo, exec_lo, s83
	s_cbranch_vccnz .LBB119_663
; %bb.655:
	s_wait_loadcnt 0x0
	v_dual_mov_b32 v6, 0 :: v_dual_mov_b32 v1, v0
	v_dual_mov_b32 v4, 0 :: v_dual_mov_b32 v10, 0
	;; [unrolled: 1-line block ×3, first 2 shown]
	v_mov_b32_e32 v12, 0
	s_add_co_i32 s0, s81, 1
	s_mov_b64 s[4:5], 0xffffffffffffffd0
	s_and_b32 s0, s0, 30
	s_add_nc_u64 s[56:57], s[2:3], s[4:5]
	s_mov_b64 s[58:59], s[2:3]
.LBB119_656:                            ; =>This Inner Loop Header: Depth=1
	s_clause 0x1
	s_load_b128 s[28:31], s[58:59], 0x4
	s_load_b64 s[4:5], s[58:59], 0x14
	s_clause 0x1
	s_load_b256 s[60:67], s[56:57], 0xf4
	s_load_b128 s[36:39], s[56:57], 0x114
	s_add_co_i32 s0, s0, -2
	s_wait_xcnt 0x0
	s_add_nc_u64 s[58:59], s[58:59], 24
	s_cmp_eq_u32 s0, 0
	s_add_nc_u64 s[56:57], s[56:57], 48
	s_wait_kmcnt 0x0
	v_mul_hi_u32 v3, s29, v1
	s_delay_alu instid0(VALU_DEP_1) | instskip(NEXT) | instid1(VALU_DEP_1)
	v_add_nc_u32_e32 v3, v1, v3
	v_lshrrev_b32_e32 v3, s30, v3
	s_delay_alu instid0(VALU_DEP_1) | instskip(SKIP_1) | instid1(VALU_DEP_1)
	v_mul_hi_u32 v5, s4, v3
	v_mul_lo_u32 v7, v3, s28
	v_dual_add_nc_u32 v5, v3, v5 :: v_dual_sub_nc_u32 v7, v1, v7
	s_delay_alu instid0(VALU_DEP_1) | instskip(NEXT) | instid1(VALU_DEP_2)
	v_lshrrev_b32_e32 v1, s5, v5
	v_mad_u32 v5, v7, s61, v12
	v_mad_u32 v2, v7, s60, v2
	;; [unrolled: 1-line block ×4, first 2 shown]
	v_mul_lo_u32 v9, v1, s31
	v_mad_u32 v4, s65, v7, v4
	v_mad_u32 v6, s64, v7, v6
	s_delay_alu instid0(VALU_DEP_3) | instskip(NEXT) | instid1(VALU_DEP_1)
	v_sub_nc_u32_e32 v3, v3, v9
	v_mad_u32 v12, v3, s67, v5
	v_mad_u32 v2, v3, s66, v2
	v_mad_u32 v8, v3, s37, v8
	v_mad_u32 v10, v3, s36, v10
	v_mad_u32 v4, s39, v3, v4
	v_mad_u32 v6, s38, v3, v6
	s_cbranch_scc0 .LBB119_656
; %bb.657:
	s_load_b128 s[8:11], s[2:3], 0xe4
	s_bitcmp1_b32 s81, 0
	s_mov_b64 s[26:27], s[22:23]
	s_cselect_b32 s0, -1, 0
	s_mov_b32 s24, s20
	s_and_b32 vcc_lo, exec_lo, s0
	s_cbranch_vccnz .LBB119_664
; %bb.658:
	s_load_b96 s[4:6], s[58:59], 0x4
	s_wait_kmcnt 0x0
	v_mul_hi_u32 v3, s5, v1
	s_delay_alu instid0(VALU_DEP_1) | instskip(NEXT) | instid1(VALU_DEP_1)
	v_add_nc_u32_e32 v3, v1, v3
	v_lshrrev_b32_e32 v3, s6, v3
	s_clause 0x1
	s_load_b128 s[28:31], s[56:57], 0xf4
	s_load_b64 s[6:7], s[56:57], 0x104
	s_delay_alu instid0(VALU_DEP_1) | instskip(NEXT) | instid1(VALU_DEP_1)
	v_mul_lo_u32 v3, v3, s4
	v_sub_nc_u32_e32 v1, v1, v3
	s_wait_kmcnt 0x0
	s_delay_alu instid0(VALU_DEP_1)
	v_mad_u32 v2, v1, s28, v2
	v_mad_u32 v12, v1, s29, v12
	;; [unrolled: 1-line block ×6, first 2 shown]
	s_branch .LBB119_664
.LBB119_659:
	s_or_b32 exec_lo, exec_lo, s91
	s_mov_b32 s1, 0
	s_and_saveexec_b32 s6, s90
	s_cbranch_execnz .LBB119_2192
.LBB119_660:
	s_or_b32 exec_lo, exec_lo, s6
	s_and_saveexec_b32 s4, s53
	s_delay_alu instid0(SALU_CYCLE_1)
	s_xor_b32 s6, exec_lo, s4
	s_cbranch_execz .LBB119_2193
.LBB119_661:
	global_load_u8 v0, v[12:13], off
	s_or_b32 s28, s28, exec_lo
	s_wait_loadcnt 0x0
	v_cmp_ne_u16_e32 vcc_lo, 0, v0
	v_cndmask_b32_e64 v3, 0, 1, vcc_lo
	s_wait_xcnt 0x0
	s_or_b32 exec_lo, exec_lo, s6
	s_and_saveexec_b32 s6, s30
	s_cbranch_execz .LBB119_2239
	s_branch .LBB119_2194
.LBB119_662:
	s_load_b128 s[8:11], s[2:3], 0xe4
                                        ; implicit-def: $vgpr12
                                        ; implicit-def: $vgpr2
                                        ; implicit-def: $vgpr8
                                        ; implicit-def: $vgpr10
                                        ; implicit-def: $vgpr4
                                        ; implicit-def: $vgpr6
	s_mov_b64 s[26:27], s[22:23]
	s_mov_b32 s24, s20
	s_branch .LBB119_665
.LBB119_663:
	s_load_b128 s[8:11], s[2:3], 0xe4
	v_dual_mov_b32 v12, 0 :: v_dual_mov_b32 v2, 0
	s_wait_loadcnt 0x0
	v_dual_mov_b32 v8, 0 :: v_dual_mov_b32 v10, 0
	v_dual_mov_b32 v4, 0 :: v_dual_mov_b32 v6, 0
	s_mov_b64 s[26:27], s[22:23]
	s_mov_b32 s24, s20
.LBB119_664:
	s_cbranch_execnz .LBB119_667
.LBB119_665:
	s_wait_loadcnt 0x0
	v_mov_b32_e32 v1, 0
	s_load_b256 s[60:67], s[2:3], 0xc4
	s_and_not1_b32 vcc_lo, exec_lo, s44
	s_delay_alu instid0(VALU_DEP_1) | instskip(NEXT) | instid1(VALU_DEP_1)
	v_mul_u64_e32 v[2:3], s[52:53], v[0:1]
	v_add_nc_u32_e32 v2, v0, v3
	s_delay_alu instid0(VALU_DEP_1) | instskip(NEXT) | instid1(VALU_DEP_1)
	v_lshrrev_b32_e32 v14, s26, v2
	v_mul_lo_u32 v2, v14, s24
	s_delay_alu instid0(VALU_DEP_1) | instskip(SKIP_1) | instid1(VALU_DEP_1)
	v_sub_nc_u32_e32 v3, v0, v2
	s_wait_kmcnt 0x0
	v_mul_lo_u32 v12, v3, s61
	v_mul_lo_u32 v2, v3, s60
	;; [unrolled: 1-line block ×6, first 2 shown]
	s_cbranch_vccnz .LBB119_667
; %bb.666:
	v_mov_b32_e32 v15, v1
	s_delay_alu instid0(VALU_DEP_1) | instskip(NEXT) | instid1(VALU_DEP_1)
	v_mul_u64_e32 v[16:17], s[54:55], v[14:15]
	v_add_nc_u32_e32 v1, v14, v17
	s_delay_alu instid0(VALU_DEP_1) | instskip(NEXT) | instid1(VALU_DEP_1)
	v_lshrrev_b32_e32 v1, s47, v1
	v_mul_lo_u32 v1, v1, s27
	s_delay_alu instid0(VALU_DEP_1) | instskip(NEXT) | instid1(VALU_DEP_1)
	v_sub_nc_u32_e32 v1, v14, v1
	v_mad_u32 v2, v1, s66, v2
	v_mad_u32 v12, v1, s67, v12
	;; [unrolled: 1-line block ×6, first 2 shown]
.LBB119_667:
	s_wait_kmcnt 0x0
	s_load_b256 s[4:11], s[2:3], 0x248
	v_mov_b32_e32 v13, 0
	s_and_b32 s0, s1, 0xff
	s_delay_alu instid0(SALU_CYCLE_1) | instskip(SKIP_1) | instid1(VALU_DEP_1)
	s_cmp_lt_i32 s0, 11
	s_wait_kmcnt 0x0
	v_add_nc_u64_e32 v[12:13], s[6:7], v[12:13]
	s_cbranch_scc1 .LBB119_674
; %bb.668:
	s_and_b32 s29, 0xffff, s0
	s_delay_alu instid0(SALU_CYCLE_1)
	s_cmp_gt_i32 s29, 25
	s_cbranch_scc0 .LBB119_683
; %bb.669:
	s_cmp_gt_i32 s29, 28
	s_cbranch_scc0 .LBB119_685
; %bb.670:
	;; [unrolled: 3-line block ×4, first 2 shown]
	s_cmp_eq_u32 s29, 46
	s_mov_b32 s31, 0
	s_cbranch_scc0 .LBB119_705
; %bb.673:
	s_wait_loadcnt 0x0
	global_load_b32 v1, v[12:13], off
	s_mov_b32 s30, -1
	s_mov_b32 s28, 0
	s_wait_loadcnt 0x0
	v_lshlrev_b32_e32 v1, 16, v1
	s_delay_alu instid0(VALU_DEP_1)
	v_cvt_i32_f32_e32 v1, v1
	s_branch .LBB119_707
.LBB119_674:
	s_mov_b32 s30, 0
	s_mov_b32 s28, s90
                                        ; implicit-def: $vgpr1
	s_cbranch_execnz .LBB119_769
.LBB119_675:
	s_and_not1_b32 vcc_lo, exec_lo, s30
	s_cbranch_vccnz .LBB119_817
.LBB119_676:
	s_load_b256 s[4:11], s[2:3], 0x248
	v_mov_b32_e32 v11, 0
	s_and_b32 s0, s75, 0xff
	s_delay_alu instid0(SALU_CYCLE_1)
	s_cmp_lt_i32 s0, 11
	s_wait_loadcnt 0x0
	s_wait_kmcnt 0x0
	v_add_nc_u64_e32 v[10:11], s[8:9], v[10:11]
	s_cbranch_scc1 .LBB119_684
; %bb.677:
	s_and_b32 s30, 0xffff, s0
	s_delay_alu instid0(SALU_CYCLE_1)
	s_cmp_gt_i32 s30, 25
	s_cbranch_scc0 .LBB119_686
; %bb.678:
	s_cmp_gt_i32 s30, 28
	s_cbranch_scc0 .LBB119_688
; %bb.679:
	s_cmp_gt_i32 s30, 43
	s_cbranch_scc0 .LBB119_695
; %bb.680:
	s_cmp_gt_i32 s30, 45
	s_cbranch_scc0 .LBB119_710
; %bb.681:
	s_cmp_eq_u32 s30, 46
	s_mov_b32 s36, 0
	s_cbranch_scc0 .LBB119_819
; %bb.682:
	global_load_b32 v3, v[10:11], off
	s_mov_b32 s31, -1
	s_mov_b32 s29, 0
	s_wait_loadcnt 0x0
	v_lshlrev_b32_e32 v3, 16, v3
	s_delay_alu instid0(VALU_DEP_1)
	v_cvt_i32_f32_e32 v3, v3
	s_branch .LBB119_821
.LBB119_683:
	s_mov_b32 s31, -1
	s_mov_b32 s30, 0
	s_mov_b32 s28, s90
                                        ; implicit-def: $vgpr1
	s_branch .LBB119_735
.LBB119_684:
	s_mov_b32 s30, -1
	s_mov_b32 s31, 0
	s_mov_b32 s29, s89
                                        ; implicit-def: $vgpr3
	s_branch .LBB119_882
.LBB119_685:
	s_mov_b32 s31, -1
	s_mov_b32 s30, 0
	s_mov_b32 s28, s90
                                        ; implicit-def: $vgpr1
	s_branch .LBB119_718
.LBB119_686:
	s_mov_b32 s36, -1
	s_mov_b32 s31, 0
	s_mov_b32 s29, s89
                                        ; implicit-def: $vgpr3
	s_branch .LBB119_848
.LBB119_687:
	s_mov_b32 s31, -1
	s_mov_b32 s30, 0
	s_mov_b32 s28, s90
                                        ; implicit-def: $vgpr1
	s_branch .LBB119_713
.LBB119_688:
	s_mov_b32 s36, -1
	s_mov_b32 s31, 0
	s_mov_b32 s29, s89
                                        ; implicit-def: $vgpr3
	s_branch .LBB119_831
.LBB119_689:
	s_mov_b32 s38, -1
	s_mov_b32 s36, 0
	s_mov_b32 s0, 0
	s_mov_b32 s37, exec_lo
	v_cmpx_gt_i32_e64 v6, v8
	s_cbranch_execz .LBB119_697
; %bb.690:
	s_delay_alu instid0(VALU_DEP_2) | instskip(SKIP_2) | instid1(VALU_DEP_1)
	v_lshlrev_b64_e32 v[4:5], 2, v[4:5]
	v_dual_ashrrev_i32 v9, 31, v8 :: v_dual_ashrrev_i32 v7, 31, v6
	s_xor_b32 s39, s76, -1
                                        ; implicit-def: $sgpr38
                                        ; implicit-def: $sgpr56
                                        ; implicit-def: $sgpr49
	v_lshl_add_u64 v[8:9], v[8:9], 2, v[4:5]
	v_add_nc_u64_e32 v[10:11], s[42:43], v[4:5]
	s_delay_alu instid0(VALU_DEP_2) | instskip(NEXT) | instid1(VALU_DEP_2)
	v_add_nc_u64_e32 v[8:9], s[42:43], v[8:9]
	v_lshl_add_u64 v[6:7], v[6:7], 2, v[10:11]
	s_delay_alu instid0(VALU_DEP_2)
	v_add_nc_u64_e32 v[4:5], 4, v[8:9]
	s_branch .LBB119_692
.LBB119_691:                            ;   in Loop: Header=BB119_692 Depth=1
	s_or_b32 exec_lo, exec_lo, s57
	s_delay_alu instid0(SALU_CYCLE_1) | instskip(NEXT) | instid1(SALU_CYCLE_1)
	s_and_b32 s4, exec_lo, s56
	s_or_b32 s0, s4, s0
	s_and_not1_b32 s4, s38, exec_lo
	s_and_b32 s5, s49, exec_lo
	s_delay_alu instid0(SALU_CYCLE_1)
	s_or_b32 s38, s4, s5
	s_and_not1_b32 exec_lo, exec_lo, s0
	s_cbranch_execz .LBB119_696
.LBB119_692:                            ; =>This Inner Loop Header: Depth=1
	s_or_b32 s49, s49, exec_lo
	s_or_b32 s56, s56, exec_lo
	s_mov_b32 s57, exec_lo
	s_delay_alu instid0(VALU_DEP_1)
	v_cmpx_lt_u64_e64 v[4:5], v[6:7]
	s_cbranch_execz .LBB119_691
; %bb.693:                              ;   in Loop: Header=BB119_692 Depth=1
	global_load_b64 v[8:9], v[4:5], off offset:-4
	s_wait_xcnt 0x0
	v_add_nc_u64_e32 v[4:5], 4, v[4:5]
	s_and_not1_b32 s5, s56, exec_lo
	s_and_not1_b32 s49, s49, exec_lo
	s_wait_loadcnt 0x0
	v_cmp_ge_i32_e32 vcc_lo, v8, v9
	s_or_b32 s4, s39, vcc_lo
	s_delay_alu instid0(SALU_CYCLE_1) | instskip(NEXT) | instid1(SALU_CYCLE_1)
	s_and_b32 s4, s4, exec_lo
	s_or_b32 s56, s5, s4
	s_branch .LBB119_691
.LBB119_694:
	s_mov_b32 s31, -1
	s_mov_b32 s30, 0
	s_mov_b32 s28, s90
	s_branch .LBB119_706
.LBB119_695:
	s_mov_b32 s36, -1
	s_mov_b32 s31, 0
	s_mov_b32 s29, s89
                                        ; implicit-def: $vgpr3
	s_branch .LBB119_826
.LBB119_696:
	s_or_b32 exec_lo, exec_lo, s0
	s_delay_alu instid0(SALU_CYCLE_1)
	s_mov_b32 s0, exec_lo
	s_or_not1_b32 s38, s38, exec_lo
.LBB119_697:
	s_or_b32 exec_lo, exec_lo, s37
	s_mov_b32 s37, 0
	s_and_saveexec_b32 s49, s38
	s_cbranch_execz .LBB119_1956
; %bb.698:
	s_load_b256 s[4:11], s[2:3], 0x248
	v_mov_b32_e32 v3, 0
	s_and_b32 s57, s34, 0xff
	s_delay_alu instid0(SALU_CYCLE_1) | instskip(SKIP_1) | instid1(VALU_DEP_1)
	s_cmp_lt_i32 s57, 11
	s_wait_kmcnt 0x0
	v_add_nc_u64_e32 v[2:3], s[4:5], v[2:3]
	s_cbranch_scc1 .LBB119_818
; %bb.699:
	s_and_b32 s58, 0xffff, s57
	s_delay_alu instid0(SALU_CYCLE_1)
	s_cmp_gt_i32 s58, 25
	s_cbranch_scc0 .LBB119_945
; %bb.700:
	s_cmp_gt_i32 s58, 28
	s_cbranch_scc0 .LBB119_1072
; %bb.701:
	;; [unrolled: 3-line block ×4, first 2 shown]
	s_mov_b32 s36, 0
	s_mov_b32 s56, -1
	s_cmp_eq_u32 s58, 46
	s_mov_b32 s59, 0
	s_cbranch_scc0 .LBB119_1874
; %bb.704:
	v_mov_b32_e32 v1, 0
	s_mov_b32 s59, -1
	s_mov_b32 s56, 0
	global_store_b32 v[2:3], v1, off
	s_branch .LBB119_1874
.LBB119_705:
	s_mov_b32 s28, -1
	s_mov_b32 s30, 0
.LBB119_706:
                                        ; implicit-def: $vgpr1
.LBB119_707:
	s_and_b32 vcc_lo, exec_lo, s31
	s_cbranch_vccz .LBB119_712
; %bb.708:
	s_cmp_eq_u32 s29, 44
	s_cbranch_scc0 .LBB119_711
; %bb.709:
	s_wait_loadcnt 0x0
	global_load_u8 v1, v[12:13], off
	s_mov_b32 s28, 0
	s_mov_b32 s30, -1
	s_wait_loadcnt 0x0
	v_lshlrev_b32_e32 v3, 23, v1
	v_cmp_ne_u32_e32 vcc_lo, 0, v1
	s_delay_alu instid0(VALU_DEP_2) | instskip(NEXT) | instid1(VALU_DEP_1)
	v_cvt_i32_f32_e32 v3, v3
	v_cndmask_b32_e32 v1, 0, v3, vcc_lo
	s_branch .LBB119_712
.LBB119_710:
	s_mov_b32 s36, -1
	s_mov_b32 s31, 0
	s_mov_b32 s29, s89
	s_branch .LBB119_820
.LBB119_711:
	s_mov_b32 s28, -1
                                        ; implicit-def: $vgpr1
.LBB119_712:
	s_mov_b32 s31, 0
.LBB119_713:
	s_delay_alu instid0(SALU_CYCLE_1)
	s_and_b32 vcc_lo, exec_lo, s31
	s_cbranch_vccz .LBB119_717
; %bb.714:
	s_cmp_eq_u32 s29, 29
	s_cbranch_scc0 .LBB119_716
; %bb.715:
	s_wait_loadcnt 0x0
	global_load_b32 v1, v[12:13], off
	s_mov_b32 s30, -1
	s_mov_b32 s28, 0
	s_branch .LBB119_717
.LBB119_716:
	s_mov_b32 s28, -1
                                        ; implicit-def: $vgpr1
.LBB119_717:
	s_mov_b32 s31, 0
.LBB119_718:
	s_delay_alu instid0(SALU_CYCLE_1)
	s_and_b32 vcc_lo, exec_lo, s31
	s_cbranch_vccz .LBB119_734
; %bb.719:
	s_cmp_lt_i32 s29, 27
	s_cbranch_scc1 .LBB119_722
; %bb.720:
	s_cmp_gt_i32 s29, 27
	s_cbranch_scc0 .LBB119_723
; %bb.721:
	s_wait_loadcnt 0x0
	global_load_b32 v1, v[12:13], off
	s_mov_b32 s30, 0
	s_branch .LBB119_724
.LBB119_722:
	s_mov_b32 s30, -1
                                        ; implicit-def: $vgpr1
	s_branch .LBB119_727
.LBB119_723:
	s_mov_b32 s30, -1
                                        ; implicit-def: $vgpr1
.LBB119_724:
	s_delay_alu instid0(SALU_CYCLE_1)
	s_and_not1_b32 vcc_lo, exec_lo, s30
	s_cbranch_vccnz .LBB119_726
; %bb.725:
	s_wait_loadcnt 0x0
	global_load_u16 v1, v[12:13], off
.LBB119_726:
	s_mov_b32 s30, 0
.LBB119_727:
	s_delay_alu instid0(SALU_CYCLE_1)
	s_and_not1_b32 vcc_lo, exec_lo, s30
	s_cbranch_vccnz .LBB119_733
; %bb.728:
	s_wait_loadcnt 0x0
	global_load_u8 v3, v[12:13], off
	s_mov_b32 s31, 0
	s_mov_b32 s4, exec_lo
	s_wait_loadcnt 0x0
	v_cmpx_lt_i16_e32 0x7f, v3
	s_xor_b32 s30, exec_lo, s4
	s_cbranch_execz .LBB119_745
; %bb.729:
	v_cmp_ne_u16_e32 vcc_lo, 0x80, v3
	s_and_b32 s31, vcc_lo, exec_lo
	s_and_not1_saveexec_b32 s30, s30
	s_cbranch_execnz .LBB119_746
.LBB119_730:
	s_or_b32 exec_lo, exec_lo, s30
	v_mov_b32_e32 v1, 0
	s_and_saveexec_b32 s30, s31
	s_cbranch_execz .LBB119_732
.LBB119_731:
	v_and_b32_e32 v1, 0xffff, v3
	s_delay_alu instid0(VALU_DEP_1) | instskip(SKIP_1) | instid1(VALU_DEP_2)
	v_and_b32_e32 v5, 7, v1
	v_bfe_u32 v11, v1, 3, 4
	v_clz_i32_u32_e32 v7, v5
	s_delay_alu instid0(VALU_DEP_2) | instskip(NEXT) | instid1(VALU_DEP_2)
	v_cmp_eq_u32_e32 vcc_lo, 0, v11
	v_min_u32_e32 v7, 32, v7
	s_delay_alu instid0(VALU_DEP_1) | instskip(NEXT) | instid1(VALU_DEP_1)
	v_subrev_nc_u32_e32 v9, 28, v7
	v_dual_lshlrev_b32 v1, v9, v1 :: v_dual_sub_nc_u32 v7, 29, v7
	s_delay_alu instid0(VALU_DEP_1) | instskip(NEXT) | instid1(VALU_DEP_1)
	v_dual_lshlrev_b32 v3, 24, v3 :: v_dual_bitop2_b32 v1, 7, v1 bitop3:0x40
	v_dual_cndmask_b32 v1, v5, v1, vcc_lo :: v_dual_cndmask_b32 v7, v11, v7, vcc_lo
	s_delay_alu instid0(VALU_DEP_2) | instskip(NEXT) | instid1(VALU_DEP_2)
	v_and_b32_e32 v3, 0x80000000, v3
	v_lshlrev_b32_e32 v1, 20, v1
	s_delay_alu instid0(VALU_DEP_3) | instskip(NEXT) | instid1(VALU_DEP_1)
	v_lshl_add_u32 v5, v7, 23, 0x3b800000
	v_or3_b32 v1, v3, v5, v1
	s_delay_alu instid0(VALU_DEP_1)
	v_cvt_i32_f32_e32 v1, v1
.LBB119_732:
	s_or_b32 exec_lo, exec_lo, s30
.LBB119_733:
	s_mov_b32 s30, -1
.LBB119_734:
	s_mov_b32 s31, 0
.LBB119_735:
	s_delay_alu instid0(SALU_CYCLE_1)
	s_and_b32 vcc_lo, exec_lo, s31
	s_cbranch_vccz .LBB119_768
; %bb.736:
	s_cmp_gt_i32 s29, 22
	s_cbranch_scc0 .LBB119_744
; %bb.737:
	s_cmp_lt_i32 s29, 24
	s_cbranch_scc1 .LBB119_747
; %bb.738:
	s_cmp_gt_i32 s29, 24
	s_cbranch_scc0 .LBB119_748
; %bb.739:
	s_wait_loadcnt 0x0
	global_load_u8 v3, v[12:13], off
	s_mov_b32 s31, 0
	s_mov_b32 s4, exec_lo
	s_wait_loadcnt 0x0
	v_cmpx_lt_i16_e32 0x7f, v3
	s_xor_b32 s30, exec_lo, s4
	s_cbranch_execz .LBB119_760
; %bb.740:
	v_cmp_ne_u16_e32 vcc_lo, 0x80, v3
	s_and_b32 s31, vcc_lo, exec_lo
	s_and_not1_saveexec_b32 s30, s30
	s_cbranch_execnz .LBB119_761
.LBB119_741:
	s_or_b32 exec_lo, exec_lo, s30
	v_mov_b32_e32 v1, 0
	s_and_saveexec_b32 s30, s31
	s_cbranch_execz .LBB119_743
.LBB119_742:
	v_and_b32_e32 v1, 0xffff, v3
	s_delay_alu instid0(VALU_DEP_1) | instskip(SKIP_1) | instid1(VALU_DEP_2)
	v_and_b32_e32 v5, 3, v1
	v_bfe_u32 v11, v1, 2, 5
	v_clz_i32_u32_e32 v7, v5
	s_delay_alu instid0(VALU_DEP_2) | instskip(NEXT) | instid1(VALU_DEP_2)
	v_cmp_eq_u32_e32 vcc_lo, 0, v11
	v_min_u32_e32 v7, 32, v7
	s_delay_alu instid0(VALU_DEP_1) | instskip(NEXT) | instid1(VALU_DEP_1)
	v_subrev_nc_u32_e32 v9, 29, v7
	v_dual_lshlrev_b32 v1, v9, v1 :: v_dual_sub_nc_u32 v7, 30, v7
	s_delay_alu instid0(VALU_DEP_1) | instskip(NEXT) | instid1(VALU_DEP_1)
	v_dual_lshlrev_b32 v3, 24, v3 :: v_dual_bitop2_b32 v1, 3, v1 bitop3:0x40
	v_dual_cndmask_b32 v1, v5, v1, vcc_lo :: v_dual_cndmask_b32 v7, v11, v7, vcc_lo
	s_delay_alu instid0(VALU_DEP_2) | instskip(NEXT) | instid1(VALU_DEP_2)
	v_and_b32_e32 v3, 0x80000000, v3
	v_lshlrev_b32_e32 v1, 21, v1
	s_delay_alu instid0(VALU_DEP_3) | instskip(NEXT) | instid1(VALU_DEP_1)
	v_lshl_add_u32 v5, v7, 23, 0x37800000
	v_or3_b32 v1, v3, v5, v1
	s_delay_alu instid0(VALU_DEP_1)
	v_cvt_i32_f32_e32 v1, v1
.LBB119_743:
	s_or_b32 exec_lo, exec_lo, s30
	s_mov_b32 s30, 0
	s_branch .LBB119_749
.LBB119_744:
	s_mov_b32 s31, -1
                                        ; implicit-def: $vgpr1
	s_branch .LBB119_755
.LBB119_745:
	s_and_not1_saveexec_b32 s30, s30
	s_cbranch_execz .LBB119_730
.LBB119_746:
	v_cmp_ne_u16_e32 vcc_lo, 0, v3
	s_and_not1_b32 s4, s31, exec_lo
	s_and_b32 s5, vcc_lo, exec_lo
	s_delay_alu instid0(SALU_CYCLE_1)
	s_or_b32 s31, s4, s5
	s_or_b32 exec_lo, exec_lo, s30
	v_mov_b32_e32 v1, 0
	s_and_saveexec_b32 s30, s31
	s_cbranch_execnz .LBB119_731
	s_branch .LBB119_732
.LBB119_747:
	s_mov_b32 s30, -1
                                        ; implicit-def: $vgpr1
	s_branch .LBB119_752
.LBB119_748:
	s_mov_b32 s30, -1
                                        ; implicit-def: $vgpr1
.LBB119_749:
	s_delay_alu instid0(SALU_CYCLE_1)
	s_and_b32 vcc_lo, exec_lo, s30
	s_cbranch_vccz .LBB119_751
; %bb.750:
	s_wait_loadcnt 0x0
	global_load_u8 v1, v[12:13], off
	s_wait_loadcnt 0x0
	v_lshlrev_b32_e32 v1, 24, v1
	s_delay_alu instid0(VALU_DEP_1) | instskip(NEXT) | instid1(VALU_DEP_1)
	v_and_b32_e32 v3, 0x7f000000, v1
	v_clz_i32_u32_e32 v5, v3
	v_add_nc_u32_e32 v9, 0x1000000, v3
	v_cmp_ne_u32_e32 vcc_lo, 0, v3
	s_delay_alu instid0(VALU_DEP_3) | instskip(NEXT) | instid1(VALU_DEP_1)
	v_min_u32_e32 v5, 32, v5
	v_sub_nc_u32_e64 v5, v5, 4 clamp
	s_delay_alu instid0(VALU_DEP_1) | instskip(NEXT) | instid1(VALU_DEP_1)
	v_dual_lshlrev_b32 v7, v5, v3 :: v_dual_lshlrev_b32 v5, 23, v5
	v_lshrrev_b32_e32 v7, 4, v7
	s_delay_alu instid0(VALU_DEP_1) | instskip(SKIP_1) | instid1(VALU_DEP_2)
	v_sub_nc_u32_e32 v5, v7, v5
	v_ashrrev_i32_e32 v7, 8, v9
	v_add_nc_u32_e32 v5, 0x3c000000, v5
	s_delay_alu instid0(VALU_DEP_1) | instskip(NEXT) | instid1(VALU_DEP_1)
	v_and_or_b32 v5, 0x7f800000, v7, v5
	v_cndmask_b32_e32 v3, 0, v5, vcc_lo
	s_delay_alu instid0(VALU_DEP_1) | instskip(NEXT) | instid1(VALU_DEP_1)
	v_and_or_b32 v1, 0x80000000, v1, v3
	v_cvt_i32_f32_e32 v1, v1
.LBB119_751:
	s_mov_b32 s30, 0
.LBB119_752:
	s_delay_alu instid0(SALU_CYCLE_1)
	s_and_not1_b32 vcc_lo, exec_lo, s30
	s_cbranch_vccnz .LBB119_754
; %bb.753:
	s_wait_loadcnt 0x0
	global_load_u8 v1, v[12:13], off
	s_wait_loadcnt 0x0
	v_lshlrev_b32_e32 v3, 25, v1
	v_lshlrev_b16 v1, 8, v1
	s_delay_alu instid0(VALU_DEP_1) | instskip(SKIP_1) | instid1(VALU_DEP_2)
	v_and_or_b32 v7, 0x7f00, v1, 0.5
	v_bfe_i32 v1, v1, 0, 16
	v_add_f32_e32 v7, -0.5, v7
	v_lshrrev_b32_e32 v5, 4, v3
	v_cmp_gt_u32_e32 vcc_lo, 0x8000000, v3
	s_delay_alu instid0(VALU_DEP_2) | instskip(NEXT) | instid1(VALU_DEP_1)
	v_or_b32_e32 v5, 0x70000000, v5
	v_mul_f32_e32 v5, 0x7800000, v5
	s_delay_alu instid0(VALU_DEP_1) | instskip(NEXT) | instid1(VALU_DEP_1)
	v_cndmask_b32_e32 v3, v5, v7, vcc_lo
	v_and_or_b32 v1, 0x80000000, v1, v3
	s_delay_alu instid0(VALU_DEP_1)
	v_cvt_i32_f32_e32 v1, v1
.LBB119_754:
	s_mov_b32 s31, 0
	s_mov_b32 s30, -1
.LBB119_755:
	s_and_not1_b32 vcc_lo, exec_lo, s31
	s_cbranch_vccnz .LBB119_768
; %bb.756:
	s_cmp_gt_i32 s29, 14
	s_cbranch_scc0 .LBB119_759
; %bb.757:
	s_cmp_eq_u32 s29, 15
	s_cbranch_scc0 .LBB119_762
; %bb.758:
	s_wait_loadcnt 0x0
	global_load_u16 v1, v[12:13], off
	s_mov_b32 s30, -1
	s_mov_b32 s28, 0
	s_wait_loadcnt 0x0
	v_lshlrev_b32_e32 v1, 16, v1
	s_delay_alu instid0(VALU_DEP_1)
	v_cvt_i32_f32_e32 v1, v1
	s_branch .LBB119_763
.LBB119_759:
	s_mov_b32 s31, -1
                                        ; implicit-def: $vgpr1
	s_branch .LBB119_764
.LBB119_760:
	s_and_not1_saveexec_b32 s30, s30
	s_cbranch_execz .LBB119_741
.LBB119_761:
	v_cmp_ne_u16_e32 vcc_lo, 0, v3
	s_and_not1_b32 s4, s31, exec_lo
	s_and_b32 s5, vcc_lo, exec_lo
	s_delay_alu instid0(SALU_CYCLE_1)
	s_or_b32 s31, s4, s5
	s_or_b32 exec_lo, exec_lo, s30
	v_mov_b32_e32 v1, 0
	s_and_saveexec_b32 s30, s31
	s_cbranch_execnz .LBB119_742
	s_branch .LBB119_743
.LBB119_762:
	s_mov_b32 s28, -1
                                        ; implicit-def: $vgpr1
.LBB119_763:
	s_mov_b32 s31, 0
.LBB119_764:
	s_delay_alu instid0(SALU_CYCLE_1)
	s_and_b32 vcc_lo, exec_lo, s31
	s_cbranch_vccz .LBB119_768
; %bb.765:
	s_cmp_eq_u32 s29, 11
	s_cbranch_scc0 .LBB119_767
; %bb.766:
	s_wait_loadcnt 0x0
	global_load_u8 v1, v[12:13], off
	s_mov_b32 s28, 0
	s_mov_b32 s30, -1
	s_wait_loadcnt 0x0
	v_cmp_ne_u16_e32 vcc_lo, 0, v1
	v_cndmask_b32_e64 v1, 0, 1, vcc_lo
	s_branch .LBB119_768
.LBB119_767:
	s_mov_b32 s28, -1
                                        ; implicit-def: $vgpr1
.LBB119_768:
	s_branch .LBB119_675
.LBB119_769:
	s_and_b32 s0, 0xffff, s0
	s_delay_alu instid0(SALU_CYCLE_1)
	s_cmp_lt_i32 s0, 5
	s_cbranch_scc1 .LBB119_774
; %bb.770:
	s_cmp_lt_i32 s0, 8
	s_cbranch_scc1 .LBB119_775
; %bb.771:
	;; [unrolled: 3-line block ×3, first 2 shown]
	s_cmp_gt_i32 s0, 9
	s_cbranch_scc0 .LBB119_777
; %bb.773:
	global_load_b64 v[14:15], v[12:13], off
	s_mov_b32 s29, 0
	s_wait_loadcnt 0x0
	v_cvt_i32_f64_e32 v1, v[14:15]
	s_branch .LBB119_778
.LBB119_774:
	s_mov_b32 s29, -1
                                        ; implicit-def: $vgpr1
	s_branch .LBB119_796
.LBB119_775:
	s_mov_b32 s29, -1
                                        ; implicit-def: $vgpr1
	s_branch .LBB119_784
.LBB119_776:
	s_mov_b32 s29, -1
                                        ; implicit-def: $vgpr1
	s_branch .LBB119_781
.LBB119_777:
	s_mov_b32 s29, -1
                                        ; implicit-def: $vgpr1
.LBB119_778:
	s_delay_alu instid0(SALU_CYCLE_1)
	s_and_not1_b32 vcc_lo, exec_lo, s29
	s_cbranch_vccnz .LBB119_780
; %bb.779:
	s_wait_loadcnt 0x0
	global_load_b32 v1, v[12:13], off
	s_wait_loadcnt 0x0
	v_cvt_i32_f32_e32 v1, v1
.LBB119_780:
	s_mov_b32 s29, 0
.LBB119_781:
	s_delay_alu instid0(SALU_CYCLE_1)
	s_and_not1_b32 vcc_lo, exec_lo, s29
	s_cbranch_vccnz .LBB119_783
; %bb.782:
	s_wait_loadcnt 0x0
	global_load_b32 v1, v[12:13], off
	s_wait_loadcnt 0x0
	v_cvt_f32_f16_e32 v1, v1
	s_delay_alu instid0(VALU_DEP_1)
	v_cvt_i32_f32_e32 v1, v1
.LBB119_783:
	s_mov_b32 s29, 0
.LBB119_784:
	s_delay_alu instid0(SALU_CYCLE_1)
	s_and_not1_b32 vcc_lo, exec_lo, s29
	s_cbranch_vccnz .LBB119_795
; %bb.785:
	s_cmp_lt_i32 s0, 6
	s_cbranch_scc1 .LBB119_788
; %bb.786:
	s_cmp_gt_i32 s0, 6
	s_cbranch_scc0 .LBB119_789
; %bb.787:
	global_load_b64 v[14:15], v[12:13], off
	s_mov_b32 s29, 0
	s_wait_loadcnt 0x0
	v_cvt_i32_f64_e32 v1, v[14:15]
	s_branch .LBB119_790
.LBB119_788:
	s_mov_b32 s29, -1
                                        ; implicit-def: $vgpr1
	s_branch .LBB119_793
.LBB119_789:
	s_mov_b32 s29, -1
                                        ; implicit-def: $vgpr1
.LBB119_790:
	s_delay_alu instid0(SALU_CYCLE_1)
	s_and_not1_b32 vcc_lo, exec_lo, s29
	s_cbranch_vccnz .LBB119_792
; %bb.791:
	s_wait_loadcnt 0x0
	global_load_b32 v1, v[12:13], off
	s_wait_loadcnt 0x0
	v_cvt_i32_f32_e32 v1, v1
.LBB119_792:
	s_mov_b32 s29, 0
.LBB119_793:
	s_delay_alu instid0(SALU_CYCLE_1)
	s_and_not1_b32 vcc_lo, exec_lo, s29
	s_cbranch_vccnz .LBB119_795
; %bb.794:
	s_wait_loadcnt 0x0
	global_load_u16 v1, v[12:13], off
	s_wait_loadcnt 0x0
	v_cvt_f32_f16_e32 v1, v1
	s_delay_alu instid0(VALU_DEP_1)
	v_cvt_i32_f32_e32 v1, v1
.LBB119_795:
	s_mov_b32 s29, 0
.LBB119_796:
	s_delay_alu instid0(SALU_CYCLE_1)
	s_and_not1_b32 vcc_lo, exec_lo, s29
	s_cbranch_vccnz .LBB119_816
; %bb.797:
	s_cmp_lt_i32 s0, 2
	s_cbranch_scc1 .LBB119_801
; %bb.798:
	s_cmp_lt_i32 s0, 3
	s_cbranch_scc1 .LBB119_802
; %bb.799:
	s_cmp_gt_i32 s0, 3
	s_cbranch_scc0 .LBB119_803
; %bb.800:
	s_wait_loadcnt 0x0
	global_load_b32 v1, v[12:13], off
	s_mov_b32 s29, 0
	s_branch .LBB119_804
.LBB119_801:
	s_mov_b32 s29, -1
                                        ; implicit-def: $vgpr1
	s_branch .LBB119_810
.LBB119_802:
	s_mov_b32 s29, -1
                                        ; implicit-def: $vgpr1
	s_branch .LBB119_807
.LBB119_803:
	s_mov_b32 s29, -1
                                        ; implicit-def: $vgpr1
.LBB119_804:
	s_delay_alu instid0(SALU_CYCLE_1)
	s_and_not1_b32 vcc_lo, exec_lo, s29
	s_cbranch_vccnz .LBB119_806
; %bb.805:
	s_wait_loadcnt 0x0
	global_load_b32 v1, v[12:13], off
.LBB119_806:
	s_mov_b32 s29, 0
.LBB119_807:
	s_delay_alu instid0(SALU_CYCLE_1)
	s_and_not1_b32 vcc_lo, exec_lo, s29
	s_cbranch_vccnz .LBB119_809
; %bb.808:
	s_wait_loadcnt 0x0
	global_load_i16 v1, v[12:13], off
.LBB119_809:
	s_mov_b32 s29, 0
.LBB119_810:
	s_delay_alu instid0(SALU_CYCLE_1)
	s_and_not1_b32 vcc_lo, exec_lo, s29
	s_cbranch_vccnz .LBB119_816
; %bb.811:
	s_cmp_gt_i32 s0, 0
	s_mov_b32 s0, 0
	s_cbranch_scc0 .LBB119_813
; %bb.812:
	s_wait_loadcnt 0x0
	global_load_i8 v1, v[12:13], off
	s_branch .LBB119_814
.LBB119_813:
	s_mov_b32 s0, -1
                                        ; implicit-def: $vgpr1
.LBB119_814:
	s_delay_alu instid0(SALU_CYCLE_1)
	s_and_not1_b32 vcc_lo, exec_lo, s0
	s_cbranch_vccnz .LBB119_816
; %bb.815:
	s_wait_loadcnt 0x0
	global_load_u8 v1, v[12:13], off
.LBB119_816:
	s_branch .LBB119_676
.LBB119_817:
	s_mov_b32 s0, 0
	s_mov_b32 s36, s45
	;; [unrolled: 1-line block ×10, first 2 shown]
	s_branch .LBB119_1324
.LBB119_818:
	s_mov_b32 s36, -1
	s_mov_b32 s56, 0
	s_mov_b32 s59, 0
	s_branch .LBB119_1913
.LBB119_819:
	s_mov_b32 s29, -1
	s_mov_b32 s31, 0
.LBB119_820:
                                        ; implicit-def: $vgpr3
.LBB119_821:
	s_and_b32 vcc_lo, exec_lo, s36
	s_cbranch_vccz .LBB119_825
; %bb.822:
	s_cmp_eq_u32 s30, 44
	s_cbranch_scc0 .LBB119_824
; %bb.823:
	global_load_u8 v3, v[10:11], off
	s_mov_b32 s29, 0
	s_mov_b32 s31, -1
	s_wait_loadcnt 0x0
	v_lshlrev_b32_e32 v5, 23, v3
	v_cmp_ne_u32_e32 vcc_lo, 0, v3
	s_delay_alu instid0(VALU_DEP_2) | instskip(NEXT) | instid1(VALU_DEP_1)
	v_cvt_i32_f32_e32 v5, v5
	v_cndmask_b32_e32 v3, 0, v5, vcc_lo
	s_branch .LBB119_825
.LBB119_824:
	s_mov_b32 s29, -1
                                        ; implicit-def: $vgpr3
.LBB119_825:
	s_mov_b32 s36, 0
.LBB119_826:
	s_delay_alu instid0(SALU_CYCLE_1)
	s_and_b32 vcc_lo, exec_lo, s36
	s_cbranch_vccz .LBB119_830
; %bb.827:
	s_cmp_eq_u32 s30, 29
	s_cbranch_scc0 .LBB119_829
; %bb.828:
	global_load_b32 v3, v[10:11], off
	s_mov_b32 s31, -1
	s_mov_b32 s29, 0
	s_branch .LBB119_830
.LBB119_829:
	s_mov_b32 s29, -1
                                        ; implicit-def: $vgpr3
.LBB119_830:
	s_mov_b32 s36, 0
.LBB119_831:
	s_delay_alu instid0(SALU_CYCLE_1)
	s_and_b32 vcc_lo, exec_lo, s36
	s_cbranch_vccz .LBB119_847
; %bb.832:
	s_cmp_lt_i32 s30, 27
	s_cbranch_scc1 .LBB119_835
; %bb.833:
	s_cmp_gt_i32 s30, 27
	s_cbranch_scc0 .LBB119_836
; %bb.834:
	s_wait_loadcnt 0x0
	global_load_b32 v3, v[10:11], off
	s_mov_b32 s31, 0
	s_branch .LBB119_837
.LBB119_835:
	s_mov_b32 s31, -1
                                        ; implicit-def: $vgpr3
	s_branch .LBB119_840
.LBB119_836:
	s_mov_b32 s31, -1
                                        ; implicit-def: $vgpr3
.LBB119_837:
	s_delay_alu instid0(SALU_CYCLE_1)
	s_and_not1_b32 vcc_lo, exec_lo, s31
	s_cbranch_vccnz .LBB119_839
; %bb.838:
	s_wait_loadcnt 0x0
	global_load_u16 v3, v[10:11], off
.LBB119_839:
	s_mov_b32 s31, 0
.LBB119_840:
	s_delay_alu instid0(SALU_CYCLE_1)
	s_and_not1_b32 vcc_lo, exec_lo, s31
	s_cbranch_vccnz .LBB119_846
; %bb.841:
	global_load_u8 v5, v[10:11], off
	s_mov_b32 s36, 0
	s_mov_b32 s4, exec_lo
	s_wait_loadcnt 0x0
	v_cmpx_lt_i16_e32 0x7f, v5
	s_xor_b32 s31, exec_lo, s4
	s_cbranch_execz .LBB119_858
; %bb.842:
	v_cmp_ne_u16_e32 vcc_lo, 0x80, v5
	s_and_b32 s36, vcc_lo, exec_lo
	s_and_not1_saveexec_b32 s31, s31
	s_cbranch_execnz .LBB119_859
.LBB119_843:
	s_or_b32 exec_lo, exec_lo, s31
	v_mov_b32_e32 v3, 0
	s_and_saveexec_b32 s31, s36
	s_cbranch_execz .LBB119_845
.LBB119_844:
	v_and_b32_e32 v3, 0xffff, v5
	s_delay_alu instid0(VALU_DEP_1) | instskip(SKIP_1) | instid1(VALU_DEP_2)
	v_and_b32_e32 v7, 7, v3
	v_bfe_u32 v13, v3, 3, 4
	v_clz_i32_u32_e32 v9, v7
	s_delay_alu instid0(VALU_DEP_2) | instskip(NEXT) | instid1(VALU_DEP_2)
	v_cmp_eq_u32_e32 vcc_lo, 0, v13
	v_min_u32_e32 v9, 32, v9
	s_delay_alu instid0(VALU_DEP_1) | instskip(NEXT) | instid1(VALU_DEP_1)
	v_subrev_nc_u32_e32 v12, 28, v9
	v_dual_lshlrev_b32 v3, v12, v3 :: v_dual_sub_nc_u32 v9, 29, v9
	s_delay_alu instid0(VALU_DEP_1) | instskip(NEXT) | instid1(VALU_DEP_1)
	v_dual_lshlrev_b32 v5, 24, v5 :: v_dual_bitop2_b32 v3, 7, v3 bitop3:0x40
	v_dual_cndmask_b32 v3, v7, v3, vcc_lo :: v_dual_cndmask_b32 v9, v13, v9, vcc_lo
	s_delay_alu instid0(VALU_DEP_2) | instskip(NEXT) | instid1(VALU_DEP_2)
	v_and_b32_e32 v5, 0x80000000, v5
	v_lshlrev_b32_e32 v3, 20, v3
	s_delay_alu instid0(VALU_DEP_3) | instskip(NEXT) | instid1(VALU_DEP_1)
	v_lshl_add_u32 v7, v9, 23, 0x3b800000
	v_or3_b32 v3, v5, v7, v3
	s_delay_alu instid0(VALU_DEP_1)
	v_cvt_i32_f32_e32 v3, v3
.LBB119_845:
	s_or_b32 exec_lo, exec_lo, s31
.LBB119_846:
	s_mov_b32 s31, -1
.LBB119_847:
	s_mov_b32 s36, 0
.LBB119_848:
	s_delay_alu instid0(SALU_CYCLE_1)
	s_and_b32 vcc_lo, exec_lo, s36
	s_cbranch_vccz .LBB119_881
; %bb.849:
	s_cmp_gt_i32 s30, 22
	s_cbranch_scc0 .LBB119_857
; %bb.850:
	s_cmp_lt_i32 s30, 24
	s_cbranch_scc1 .LBB119_860
; %bb.851:
	s_cmp_gt_i32 s30, 24
	s_cbranch_scc0 .LBB119_861
; %bb.852:
	global_load_u8 v5, v[10:11], off
	s_mov_b32 s36, 0
	s_mov_b32 s4, exec_lo
	s_wait_loadcnt 0x0
	v_cmpx_lt_i16_e32 0x7f, v5
	s_xor_b32 s31, exec_lo, s4
	s_cbranch_execz .LBB119_873
; %bb.853:
	v_cmp_ne_u16_e32 vcc_lo, 0x80, v5
	s_and_b32 s36, vcc_lo, exec_lo
	s_and_not1_saveexec_b32 s31, s31
	s_cbranch_execnz .LBB119_874
.LBB119_854:
	s_or_b32 exec_lo, exec_lo, s31
	v_mov_b32_e32 v3, 0
	s_and_saveexec_b32 s31, s36
	s_cbranch_execz .LBB119_856
.LBB119_855:
	v_and_b32_e32 v3, 0xffff, v5
	s_delay_alu instid0(VALU_DEP_1) | instskip(SKIP_1) | instid1(VALU_DEP_2)
	v_and_b32_e32 v7, 3, v3
	v_bfe_u32 v13, v3, 2, 5
	v_clz_i32_u32_e32 v9, v7
	s_delay_alu instid0(VALU_DEP_2) | instskip(NEXT) | instid1(VALU_DEP_2)
	v_cmp_eq_u32_e32 vcc_lo, 0, v13
	v_min_u32_e32 v9, 32, v9
	s_delay_alu instid0(VALU_DEP_1) | instskip(NEXT) | instid1(VALU_DEP_1)
	v_subrev_nc_u32_e32 v12, 29, v9
	v_dual_lshlrev_b32 v3, v12, v3 :: v_dual_sub_nc_u32 v9, 30, v9
	s_delay_alu instid0(VALU_DEP_1) | instskip(NEXT) | instid1(VALU_DEP_1)
	v_dual_lshlrev_b32 v5, 24, v5 :: v_dual_bitop2_b32 v3, 3, v3 bitop3:0x40
	v_dual_cndmask_b32 v3, v7, v3, vcc_lo :: v_dual_cndmask_b32 v9, v13, v9, vcc_lo
	s_delay_alu instid0(VALU_DEP_2) | instskip(NEXT) | instid1(VALU_DEP_2)
	v_and_b32_e32 v5, 0x80000000, v5
	v_lshlrev_b32_e32 v3, 21, v3
	s_delay_alu instid0(VALU_DEP_3) | instskip(NEXT) | instid1(VALU_DEP_1)
	v_lshl_add_u32 v7, v9, 23, 0x37800000
	v_or3_b32 v3, v5, v7, v3
	s_delay_alu instid0(VALU_DEP_1)
	v_cvt_i32_f32_e32 v3, v3
.LBB119_856:
	s_or_b32 exec_lo, exec_lo, s31
	s_mov_b32 s31, 0
	s_branch .LBB119_862
.LBB119_857:
	s_mov_b32 s36, -1
                                        ; implicit-def: $vgpr3
	s_branch .LBB119_868
.LBB119_858:
	s_and_not1_saveexec_b32 s31, s31
	s_cbranch_execz .LBB119_843
.LBB119_859:
	v_cmp_ne_u16_e32 vcc_lo, 0, v5
	s_and_not1_b32 s4, s36, exec_lo
	s_and_b32 s5, vcc_lo, exec_lo
	s_delay_alu instid0(SALU_CYCLE_1)
	s_or_b32 s36, s4, s5
	s_or_b32 exec_lo, exec_lo, s31
	v_mov_b32_e32 v3, 0
	s_and_saveexec_b32 s31, s36
	s_cbranch_execnz .LBB119_844
	s_branch .LBB119_845
.LBB119_860:
	s_mov_b32 s31, -1
                                        ; implicit-def: $vgpr3
	s_branch .LBB119_865
.LBB119_861:
	s_mov_b32 s31, -1
                                        ; implicit-def: $vgpr3
.LBB119_862:
	s_delay_alu instid0(SALU_CYCLE_1)
	s_and_b32 vcc_lo, exec_lo, s31
	s_cbranch_vccz .LBB119_864
; %bb.863:
	s_wait_loadcnt 0x0
	global_load_u8 v3, v[10:11], off
	s_wait_loadcnt 0x0
	v_lshlrev_b32_e32 v3, 24, v3
	s_delay_alu instid0(VALU_DEP_1) | instskip(NEXT) | instid1(VALU_DEP_1)
	v_and_b32_e32 v5, 0x7f000000, v3
	v_clz_i32_u32_e32 v7, v5
	v_cmp_ne_u32_e32 vcc_lo, 0, v5
	v_add_nc_u32_e32 v12, 0x1000000, v5
	s_delay_alu instid0(VALU_DEP_3) | instskip(NEXT) | instid1(VALU_DEP_1)
	v_min_u32_e32 v7, 32, v7
	v_sub_nc_u32_e64 v7, v7, 4 clamp
	s_delay_alu instid0(VALU_DEP_1) | instskip(NEXT) | instid1(VALU_DEP_1)
	v_dual_lshlrev_b32 v9, v7, v5 :: v_dual_lshlrev_b32 v7, 23, v7
	v_lshrrev_b32_e32 v9, 4, v9
	s_delay_alu instid0(VALU_DEP_1) | instskip(NEXT) | instid1(VALU_DEP_1)
	v_dual_sub_nc_u32 v7, v9, v7 :: v_dual_ashrrev_i32 v9, 8, v12
	v_add_nc_u32_e32 v7, 0x3c000000, v7
	s_delay_alu instid0(VALU_DEP_1) | instskip(NEXT) | instid1(VALU_DEP_1)
	v_and_or_b32 v7, 0x7f800000, v9, v7
	v_cndmask_b32_e32 v5, 0, v7, vcc_lo
	s_delay_alu instid0(VALU_DEP_1) | instskip(NEXT) | instid1(VALU_DEP_1)
	v_and_or_b32 v3, 0x80000000, v3, v5
	v_cvt_i32_f32_e32 v3, v3
.LBB119_864:
	s_mov_b32 s31, 0
.LBB119_865:
	s_delay_alu instid0(SALU_CYCLE_1)
	s_and_not1_b32 vcc_lo, exec_lo, s31
	s_cbranch_vccnz .LBB119_867
; %bb.866:
	s_wait_loadcnt 0x0
	global_load_u8 v3, v[10:11], off
	s_wait_loadcnt 0x0
	v_lshlrev_b32_e32 v5, 25, v3
	v_lshlrev_b16 v3, 8, v3
	s_delay_alu instid0(VALU_DEP_1) | instskip(SKIP_1) | instid1(VALU_DEP_2)
	v_and_or_b32 v9, 0x7f00, v3, 0.5
	v_bfe_i32 v3, v3, 0, 16
	v_add_f32_e32 v9, -0.5, v9
	v_lshrrev_b32_e32 v7, 4, v5
	v_cmp_gt_u32_e32 vcc_lo, 0x8000000, v5
	s_delay_alu instid0(VALU_DEP_2) | instskip(NEXT) | instid1(VALU_DEP_1)
	v_or_b32_e32 v7, 0x70000000, v7
	v_mul_f32_e32 v7, 0x7800000, v7
	s_delay_alu instid0(VALU_DEP_1) | instskip(NEXT) | instid1(VALU_DEP_1)
	v_cndmask_b32_e32 v5, v7, v9, vcc_lo
	v_and_or_b32 v3, 0x80000000, v3, v5
	s_delay_alu instid0(VALU_DEP_1)
	v_cvt_i32_f32_e32 v3, v3
.LBB119_867:
	s_mov_b32 s36, 0
	s_mov_b32 s31, -1
.LBB119_868:
	s_and_not1_b32 vcc_lo, exec_lo, s36
	s_cbranch_vccnz .LBB119_881
; %bb.869:
	s_cmp_gt_i32 s30, 14
	s_cbranch_scc0 .LBB119_872
; %bb.870:
	s_cmp_eq_u32 s30, 15
	s_cbranch_scc0 .LBB119_875
; %bb.871:
	s_wait_loadcnt 0x0
	global_load_u16 v3, v[10:11], off
	s_mov_b32 s31, -1
	s_mov_b32 s29, 0
	s_wait_loadcnt 0x0
	v_lshlrev_b32_e32 v3, 16, v3
	s_delay_alu instid0(VALU_DEP_1)
	v_cvt_i32_f32_e32 v3, v3
	s_branch .LBB119_876
.LBB119_872:
	s_mov_b32 s36, -1
                                        ; implicit-def: $vgpr3
	s_branch .LBB119_877
.LBB119_873:
	s_and_not1_saveexec_b32 s31, s31
	s_cbranch_execz .LBB119_854
.LBB119_874:
	v_cmp_ne_u16_e32 vcc_lo, 0, v5
	s_and_not1_b32 s4, s36, exec_lo
	s_and_b32 s5, vcc_lo, exec_lo
	s_delay_alu instid0(SALU_CYCLE_1)
	s_or_b32 s36, s4, s5
	s_or_b32 exec_lo, exec_lo, s31
	v_mov_b32_e32 v3, 0
	s_and_saveexec_b32 s31, s36
	s_cbranch_execnz .LBB119_855
	s_branch .LBB119_856
.LBB119_875:
	s_mov_b32 s29, -1
                                        ; implicit-def: $vgpr3
.LBB119_876:
	s_mov_b32 s36, 0
.LBB119_877:
	s_delay_alu instid0(SALU_CYCLE_1)
	s_and_b32 vcc_lo, exec_lo, s36
	s_cbranch_vccz .LBB119_881
; %bb.878:
	s_cmp_eq_u32 s30, 11
	s_cbranch_scc0 .LBB119_880
; %bb.879:
	s_wait_loadcnt 0x0
	global_load_u8 v3, v[10:11], off
	s_mov_b32 s29, 0
	s_mov_b32 s31, -1
	s_wait_loadcnt 0x0
	v_cmp_ne_u16_e32 vcc_lo, 0, v3
	v_cndmask_b32_e64 v3, 0, 1, vcc_lo
	s_branch .LBB119_881
.LBB119_880:
	s_mov_b32 s29, -1
                                        ; implicit-def: $vgpr3
.LBB119_881:
	s_mov_b32 s30, 0
.LBB119_882:
	s_delay_alu instid0(SALU_CYCLE_1)
	s_and_b32 vcc_lo, exec_lo, s30
	s_cbranch_vccz .LBB119_931
; %bb.883:
	s_and_b32 s0, 0xffff, s0
	s_delay_alu instid0(SALU_CYCLE_1)
	s_cmp_lt_i32 s0, 5
	s_cbranch_scc1 .LBB119_888
; %bb.884:
	s_cmp_lt_i32 s0, 8
	s_cbranch_scc1 .LBB119_889
; %bb.885:
	;; [unrolled: 3-line block ×3, first 2 shown]
	s_cmp_gt_i32 s0, 9
	s_cbranch_scc0 .LBB119_891
; %bb.887:
	global_load_b64 v[12:13], v[10:11], off
	s_mov_b32 s30, 0
	s_wait_loadcnt 0x0
	v_cvt_i32_f64_e32 v3, v[12:13]
	s_branch .LBB119_892
.LBB119_888:
	s_mov_b32 s30, -1
                                        ; implicit-def: $vgpr3
	s_branch .LBB119_910
.LBB119_889:
	s_mov_b32 s30, -1
                                        ; implicit-def: $vgpr3
	s_branch .LBB119_898
.LBB119_890:
	s_mov_b32 s30, -1
                                        ; implicit-def: $vgpr3
	s_branch .LBB119_895
.LBB119_891:
	s_mov_b32 s30, -1
                                        ; implicit-def: $vgpr3
.LBB119_892:
	s_delay_alu instid0(SALU_CYCLE_1)
	s_and_not1_b32 vcc_lo, exec_lo, s30
	s_cbranch_vccnz .LBB119_894
; %bb.893:
	s_wait_loadcnt 0x0
	global_load_b32 v3, v[10:11], off
	s_wait_loadcnt 0x0
	v_cvt_i32_f32_e32 v3, v3
.LBB119_894:
	s_mov_b32 s30, 0
.LBB119_895:
	s_delay_alu instid0(SALU_CYCLE_1)
	s_and_not1_b32 vcc_lo, exec_lo, s30
	s_cbranch_vccnz .LBB119_897
; %bb.896:
	s_wait_loadcnt 0x0
	global_load_b32 v3, v[10:11], off
	s_wait_loadcnt 0x0
	v_cvt_f32_f16_e32 v3, v3
	s_delay_alu instid0(VALU_DEP_1)
	v_cvt_i32_f32_e32 v3, v3
.LBB119_897:
	s_mov_b32 s30, 0
.LBB119_898:
	s_delay_alu instid0(SALU_CYCLE_1)
	s_and_not1_b32 vcc_lo, exec_lo, s30
	s_cbranch_vccnz .LBB119_909
; %bb.899:
	s_cmp_lt_i32 s0, 6
	s_cbranch_scc1 .LBB119_902
; %bb.900:
	s_cmp_gt_i32 s0, 6
	s_cbranch_scc0 .LBB119_903
; %bb.901:
	global_load_b64 v[12:13], v[10:11], off
	s_mov_b32 s30, 0
	s_wait_loadcnt 0x0
	v_cvt_i32_f64_e32 v3, v[12:13]
	s_branch .LBB119_904
.LBB119_902:
	s_mov_b32 s30, -1
                                        ; implicit-def: $vgpr3
	s_branch .LBB119_907
.LBB119_903:
	s_mov_b32 s30, -1
                                        ; implicit-def: $vgpr3
.LBB119_904:
	s_delay_alu instid0(SALU_CYCLE_1)
	s_and_not1_b32 vcc_lo, exec_lo, s30
	s_cbranch_vccnz .LBB119_906
; %bb.905:
	s_wait_loadcnt 0x0
	global_load_b32 v3, v[10:11], off
	s_wait_loadcnt 0x0
	v_cvt_i32_f32_e32 v3, v3
.LBB119_906:
	s_mov_b32 s30, 0
.LBB119_907:
	s_delay_alu instid0(SALU_CYCLE_1)
	s_and_not1_b32 vcc_lo, exec_lo, s30
	s_cbranch_vccnz .LBB119_909
; %bb.908:
	s_wait_loadcnt 0x0
	global_load_u16 v3, v[10:11], off
	s_wait_loadcnt 0x0
	v_cvt_f32_f16_e32 v3, v3
	s_delay_alu instid0(VALU_DEP_1)
	v_cvt_i32_f32_e32 v3, v3
.LBB119_909:
	s_mov_b32 s30, 0
.LBB119_910:
	s_delay_alu instid0(SALU_CYCLE_1)
	s_and_not1_b32 vcc_lo, exec_lo, s30
	s_cbranch_vccnz .LBB119_930
; %bb.911:
	s_cmp_lt_i32 s0, 2
	s_cbranch_scc1 .LBB119_915
; %bb.912:
	s_cmp_lt_i32 s0, 3
	s_cbranch_scc1 .LBB119_916
; %bb.913:
	s_cmp_gt_i32 s0, 3
	s_cbranch_scc0 .LBB119_917
; %bb.914:
	s_wait_loadcnt 0x0
	global_load_b32 v3, v[10:11], off
	s_mov_b32 s30, 0
	s_branch .LBB119_918
.LBB119_915:
	s_mov_b32 s30, -1
                                        ; implicit-def: $vgpr3
	s_branch .LBB119_924
.LBB119_916:
	s_mov_b32 s30, -1
                                        ; implicit-def: $vgpr3
	s_branch .LBB119_921
.LBB119_917:
	s_mov_b32 s30, -1
                                        ; implicit-def: $vgpr3
.LBB119_918:
	s_delay_alu instid0(SALU_CYCLE_1)
	s_and_not1_b32 vcc_lo, exec_lo, s30
	s_cbranch_vccnz .LBB119_920
; %bb.919:
	s_wait_loadcnt 0x0
	global_load_b32 v3, v[10:11], off
.LBB119_920:
	s_mov_b32 s30, 0
.LBB119_921:
	s_delay_alu instid0(SALU_CYCLE_1)
	s_and_not1_b32 vcc_lo, exec_lo, s30
	s_cbranch_vccnz .LBB119_923
; %bb.922:
	s_wait_loadcnt 0x0
	global_load_i16 v3, v[10:11], off
.LBB119_923:
	s_mov_b32 s30, 0
.LBB119_924:
	s_delay_alu instid0(SALU_CYCLE_1)
	s_and_not1_b32 vcc_lo, exec_lo, s30
	s_cbranch_vccnz .LBB119_930
; %bb.925:
	s_cmp_gt_i32 s0, 0
	s_mov_b32 s0, 0
	s_cbranch_scc0 .LBB119_927
; %bb.926:
	s_wait_loadcnt 0x0
	global_load_i8 v3, v[10:11], off
	s_branch .LBB119_928
.LBB119_927:
	s_mov_b32 s0, -1
                                        ; implicit-def: $vgpr3
.LBB119_928:
	s_delay_alu instid0(SALU_CYCLE_1)
	s_and_not1_b32 vcc_lo, exec_lo, s0
	s_cbranch_vccnz .LBB119_930
; %bb.929:
	s_wait_loadcnt 0x0
	global_load_u8 v3, v[10:11], off
.LBB119_930:
	s_mov_b32 s31, -1
.LBB119_931:
	s_delay_alu instid0(SALU_CYCLE_1)
	s_and_not1_b32 vcc_lo, exec_lo, s31
	s_cbranch_vccnz .LBB119_939
; %bb.932:
	s_load_b256 s[4:11], s[2:3], 0x248
	v_mov_b32_e32 v9, 0
	s_and_b32 s0, s50, 0xff
	s_delay_alu instid0(SALU_CYCLE_1) | instskip(SKIP_1) | instid1(VALU_DEP_1)
	s_cmp_lt_i32 s0, 11
	s_wait_kmcnt 0x0
	v_add_nc_u64_e32 v[10:11], s[10:11], v[8:9]
	s_cbranch_scc1 .LBB119_940
; %bb.933:
	s_and_b32 s31, 0xffff, s0
	s_delay_alu instid0(SALU_CYCLE_1)
	s_cmp_gt_i32 s31, 25
	s_cbranch_scc0 .LBB119_941
; %bb.934:
	s_cmp_gt_i32 s31, 28
	s_cbranch_scc0 .LBB119_942
; %bb.935:
	;; [unrolled: 3-line block ×4, first 2 shown]
	s_cmp_eq_u32 s31, 46
	s_mov_b32 s36, 0
	s_cbranch_scc0 .LBB119_946
; %bb.938:
	global_load_b32 v5, v[10:11], off
	s_mov_b32 s49, -1
	s_mov_b32 s30, 0
	s_wait_loadcnt 0x0
	v_lshlrev_b32_e32 v5, 16, v5
	s_delay_alu instid0(VALU_DEP_1)
	v_cvt_i32_f32_e32 v8, v5
	s_branch .LBB119_948
.LBB119_939:
	s_mov_b32 s0, 0
	s_mov_b32 s36, s45
	;; [unrolled: 1-line block ×9, first 2 shown]
	s_branch .LBB119_1324
.LBB119_940:
	s_mov_b32 s31, -1
	s_mov_b32 s49, 0
	s_mov_b32 s30, s88
                                        ; implicit-def: $vgpr8
	s_branch .LBB119_1009
.LBB119_941:
	s_mov_b32 s36, -1
	s_mov_b32 s49, 0
	s_mov_b32 s30, s88
                                        ; implicit-def: $vgpr8
	s_branch .LBB119_975
.LBB119_942:
	s_mov_b32 s36, -1
	s_mov_b32 s49, 0
	s_mov_b32 s30, s88
                                        ; implicit-def: $vgpr8
	s_branch .LBB119_958
.LBB119_943:
	s_mov_b32 s36, -1
	s_mov_b32 s49, 0
	s_mov_b32 s30, s88
                                        ; implicit-def: $vgpr8
	s_branch .LBB119_953
.LBB119_944:
	s_mov_b32 s36, -1
	s_mov_b32 s49, 0
	s_mov_b32 s30, s88
	s_branch .LBB119_947
.LBB119_945:
	s_mov_b32 s36, -1
	s_mov_b32 s56, 0
	s_mov_b32 s59, 0
	s_branch .LBB119_1893
.LBB119_946:
	s_mov_b32 s30, -1
	s_mov_b32 s49, 0
.LBB119_947:
                                        ; implicit-def: $vgpr8
.LBB119_948:
	s_and_b32 vcc_lo, exec_lo, s36
	s_cbranch_vccz .LBB119_952
; %bb.949:
	s_cmp_eq_u32 s31, 44
	s_cbranch_scc0 .LBB119_951
; %bb.950:
	global_load_u8 v5, v[10:11], off
	s_mov_b32 s30, 0
	s_mov_b32 s49, -1
	s_wait_loadcnt 0x0
	v_lshlrev_b32_e32 v7, 23, v5
	v_cmp_ne_u32_e32 vcc_lo, 0, v5
	s_delay_alu instid0(VALU_DEP_2) | instskip(NEXT) | instid1(VALU_DEP_1)
	v_cvt_i32_f32_e32 v7, v7
	v_cndmask_b32_e32 v8, 0, v7, vcc_lo
	s_branch .LBB119_952
.LBB119_951:
	s_mov_b32 s30, -1
                                        ; implicit-def: $vgpr8
.LBB119_952:
	s_mov_b32 s36, 0
.LBB119_953:
	s_delay_alu instid0(SALU_CYCLE_1)
	s_and_b32 vcc_lo, exec_lo, s36
	s_cbranch_vccz .LBB119_957
; %bb.954:
	s_cmp_eq_u32 s31, 29
	s_cbranch_scc0 .LBB119_956
; %bb.955:
	global_load_b32 v8, v[10:11], off
	s_mov_b32 s49, -1
	s_mov_b32 s30, 0
	s_branch .LBB119_957
.LBB119_956:
	s_mov_b32 s30, -1
                                        ; implicit-def: $vgpr8
.LBB119_957:
	s_mov_b32 s36, 0
.LBB119_958:
	s_delay_alu instid0(SALU_CYCLE_1)
	s_and_b32 vcc_lo, exec_lo, s36
	s_cbranch_vccz .LBB119_974
; %bb.959:
	s_cmp_lt_i32 s31, 27
	s_cbranch_scc1 .LBB119_962
; %bb.960:
	s_cmp_gt_i32 s31, 27
	s_cbranch_scc0 .LBB119_963
; %bb.961:
	s_wait_loadcnt 0x0
	global_load_b32 v8, v[10:11], off
	s_mov_b32 s36, 0
	s_branch .LBB119_964
.LBB119_962:
	s_mov_b32 s36, -1
                                        ; implicit-def: $vgpr8
	s_branch .LBB119_967
.LBB119_963:
	s_mov_b32 s36, -1
                                        ; implicit-def: $vgpr8
.LBB119_964:
	s_delay_alu instid0(SALU_CYCLE_1)
	s_and_not1_b32 vcc_lo, exec_lo, s36
	s_cbranch_vccnz .LBB119_966
; %bb.965:
	s_wait_loadcnt 0x0
	global_load_u16 v8, v[10:11], off
.LBB119_966:
	s_mov_b32 s36, 0
.LBB119_967:
	s_delay_alu instid0(SALU_CYCLE_1)
	s_and_not1_b32 vcc_lo, exec_lo, s36
	s_cbranch_vccnz .LBB119_973
; %bb.968:
	global_load_u8 v5, v[10:11], off
	s_mov_b32 s37, 0
	s_mov_b32 s4, exec_lo
	s_wait_loadcnt 0x0
	v_cmpx_lt_i16_e32 0x7f, v5
	s_xor_b32 s36, exec_lo, s4
	s_cbranch_execz .LBB119_985
; %bb.969:
	v_cmp_ne_u16_e32 vcc_lo, 0x80, v5
	s_and_b32 s37, vcc_lo, exec_lo
	s_and_not1_saveexec_b32 s36, s36
	s_cbranch_execnz .LBB119_986
.LBB119_970:
	s_or_b32 exec_lo, exec_lo, s36
	v_mov_b32_e32 v8, 0
	s_and_saveexec_b32 s36, s37
	s_cbranch_execz .LBB119_972
.LBB119_971:
	v_and_b32_e32 v7, 0xffff, v5
	s_delay_alu instid0(VALU_DEP_1) | instskip(SKIP_1) | instid1(VALU_DEP_2)
	v_and_b32_e32 v8, 7, v7
	v_bfe_u32 v13, v7, 3, 4
	v_clz_i32_u32_e32 v9, v8
	s_delay_alu instid0(VALU_DEP_2) | instskip(NEXT) | instid1(VALU_DEP_2)
	v_cmp_eq_u32_e32 vcc_lo, 0, v13
	v_min_u32_e32 v9, 32, v9
	s_delay_alu instid0(VALU_DEP_1) | instskip(NEXT) | instid1(VALU_DEP_1)
	v_subrev_nc_u32_e32 v12, 28, v9
	v_dual_lshlrev_b32 v7, v12, v7 :: v_dual_sub_nc_u32 v9, 29, v9
	s_delay_alu instid0(VALU_DEP_1) | instskip(NEXT) | instid1(VALU_DEP_1)
	v_dual_lshlrev_b32 v5, 24, v5 :: v_dual_bitop2_b32 v7, 7, v7 bitop3:0x40
	v_dual_cndmask_b32 v7, v8, v7, vcc_lo :: v_dual_cndmask_b32 v9, v13, v9, vcc_lo
	s_delay_alu instid0(VALU_DEP_2) | instskip(NEXT) | instid1(VALU_DEP_2)
	v_and_b32_e32 v5, 0x80000000, v5
	v_lshlrev_b32_e32 v7, 20, v7
	s_delay_alu instid0(VALU_DEP_3) | instskip(NEXT) | instid1(VALU_DEP_1)
	v_lshl_add_u32 v8, v9, 23, 0x3b800000
	v_or3_b32 v5, v5, v8, v7
	s_delay_alu instid0(VALU_DEP_1)
	v_cvt_i32_f32_e32 v8, v5
.LBB119_972:
	s_or_b32 exec_lo, exec_lo, s36
.LBB119_973:
	s_mov_b32 s49, -1
.LBB119_974:
	s_mov_b32 s36, 0
.LBB119_975:
	s_delay_alu instid0(SALU_CYCLE_1)
	s_and_b32 vcc_lo, exec_lo, s36
	s_cbranch_vccz .LBB119_1008
; %bb.976:
	s_cmp_gt_i32 s31, 22
	s_cbranch_scc0 .LBB119_984
; %bb.977:
	s_cmp_lt_i32 s31, 24
	s_cbranch_scc1 .LBB119_987
; %bb.978:
	s_cmp_gt_i32 s31, 24
	s_cbranch_scc0 .LBB119_988
; %bb.979:
	global_load_u8 v5, v[10:11], off
	s_mov_b32 s37, 0
	s_mov_b32 s4, exec_lo
	s_wait_loadcnt 0x0
	v_cmpx_lt_i16_e32 0x7f, v5
	s_xor_b32 s36, exec_lo, s4
	s_cbranch_execz .LBB119_1000
; %bb.980:
	v_cmp_ne_u16_e32 vcc_lo, 0x80, v5
	s_and_b32 s37, vcc_lo, exec_lo
	s_and_not1_saveexec_b32 s36, s36
	s_cbranch_execnz .LBB119_1001
.LBB119_981:
	s_or_b32 exec_lo, exec_lo, s36
	v_mov_b32_e32 v8, 0
	s_and_saveexec_b32 s36, s37
	s_cbranch_execz .LBB119_983
.LBB119_982:
	v_and_b32_e32 v7, 0xffff, v5
	s_delay_alu instid0(VALU_DEP_1) | instskip(SKIP_1) | instid1(VALU_DEP_2)
	v_and_b32_e32 v8, 3, v7
	v_bfe_u32 v13, v7, 2, 5
	v_clz_i32_u32_e32 v9, v8
	s_delay_alu instid0(VALU_DEP_2) | instskip(NEXT) | instid1(VALU_DEP_2)
	v_cmp_eq_u32_e32 vcc_lo, 0, v13
	v_min_u32_e32 v9, 32, v9
	s_delay_alu instid0(VALU_DEP_1) | instskip(NEXT) | instid1(VALU_DEP_1)
	v_subrev_nc_u32_e32 v12, 29, v9
	v_dual_lshlrev_b32 v7, v12, v7 :: v_dual_sub_nc_u32 v9, 30, v9
	s_delay_alu instid0(VALU_DEP_1) | instskip(NEXT) | instid1(VALU_DEP_1)
	v_dual_lshlrev_b32 v5, 24, v5 :: v_dual_bitop2_b32 v7, 3, v7 bitop3:0x40
	v_dual_cndmask_b32 v7, v8, v7, vcc_lo :: v_dual_cndmask_b32 v9, v13, v9, vcc_lo
	s_delay_alu instid0(VALU_DEP_2) | instskip(NEXT) | instid1(VALU_DEP_2)
	v_and_b32_e32 v5, 0x80000000, v5
	v_lshlrev_b32_e32 v7, 21, v7
	s_delay_alu instid0(VALU_DEP_3) | instskip(NEXT) | instid1(VALU_DEP_1)
	v_lshl_add_u32 v8, v9, 23, 0x37800000
	v_or3_b32 v5, v5, v8, v7
	s_delay_alu instid0(VALU_DEP_1)
	v_cvt_i32_f32_e32 v8, v5
.LBB119_983:
	s_or_b32 exec_lo, exec_lo, s36
	s_mov_b32 s36, 0
	s_branch .LBB119_989
.LBB119_984:
	s_mov_b32 s36, -1
                                        ; implicit-def: $vgpr8
	s_branch .LBB119_995
.LBB119_985:
	s_and_not1_saveexec_b32 s36, s36
	s_cbranch_execz .LBB119_970
.LBB119_986:
	v_cmp_ne_u16_e32 vcc_lo, 0, v5
	s_and_not1_b32 s4, s37, exec_lo
	s_and_b32 s5, vcc_lo, exec_lo
	s_delay_alu instid0(SALU_CYCLE_1)
	s_or_b32 s37, s4, s5
	s_or_b32 exec_lo, exec_lo, s36
	v_mov_b32_e32 v8, 0
	s_and_saveexec_b32 s36, s37
	s_cbranch_execnz .LBB119_971
	s_branch .LBB119_972
.LBB119_987:
	s_mov_b32 s36, -1
                                        ; implicit-def: $vgpr8
	s_branch .LBB119_992
.LBB119_988:
	s_mov_b32 s36, -1
                                        ; implicit-def: $vgpr8
.LBB119_989:
	s_delay_alu instid0(SALU_CYCLE_1)
	s_and_b32 vcc_lo, exec_lo, s36
	s_cbranch_vccz .LBB119_991
; %bb.990:
	global_load_u8 v5, v[10:11], off
	s_wait_loadcnt 0x0
	v_lshlrev_b32_e32 v5, 24, v5
	s_delay_alu instid0(VALU_DEP_1) | instskip(NEXT) | instid1(VALU_DEP_1)
	v_and_b32_e32 v7, 0x7f000000, v5
	v_clz_i32_u32_e32 v8, v7
	v_cmp_ne_u32_e32 vcc_lo, 0, v7
	v_add_nc_u32_e32 v12, 0x1000000, v7
	s_delay_alu instid0(VALU_DEP_3) | instskip(NEXT) | instid1(VALU_DEP_1)
	v_min_u32_e32 v8, 32, v8
	v_sub_nc_u32_e64 v8, v8, 4 clamp
	s_delay_alu instid0(VALU_DEP_1) | instskip(NEXT) | instid1(VALU_DEP_1)
	v_dual_lshlrev_b32 v9, v8, v7 :: v_dual_lshlrev_b32 v8, 23, v8
	v_lshrrev_b32_e32 v9, 4, v9
	s_delay_alu instid0(VALU_DEP_1) | instskip(SKIP_1) | instid1(VALU_DEP_2)
	v_sub_nc_u32_e32 v8, v9, v8
	v_ashrrev_i32_e32 v9, 8, v12
	v_add_nc_u32_e32 v8, 0x3c000000, v8
	s_delay_alu instid0(VALU_DEP_1) | instskip(NEXT) | instid1(VALU_DEP_1)
	v_and_or_b32 v8, 0x7f800000, v9, v8
	v_cndmask_b32_e32 v7, 0, v8, vcc_lo
	s_delay_alu instid0(VALU_DEP_1) | instskip(NEXT) | instid1(VALU_DEP_1)
	v_and_or_b32 v5, 0x80000000, v5, v7
	v_cvt_i32_f32_e32 v8, v5
.LBB119_991:
	s_mov_b32 s36, 0
.LBB119_992:
	s_delay_alu instid0(SALU_CYCLE_1)
	s_and_not1_b32 vcc_lo, exec_lo, s36
	s_cbranch_vccnz .LBB119_994
; %bb.993:
	global_load_u8 v5, v[10:11], off
	s_wait_loadcnt 0x0
	v_lshlrev_b32_e32 v7, 25, v5
	v_lshlrev_b16 v5, 8, v5
	s_delay_alu instid0(VALU_DEP_1) | instskip(NEXT) | instid1(VALU_DEP_3)
	v_and_or_b32 v9, 0x7f00, v5, 0.5
	v_lshrrev_b32_e32 v8, 4, v7
	v_bfe_i32 v5, v5, 0, 16
	s_delay_alu instid0(VALU_DEP_3) | instskip(NEXT) | instid1(VALU_DEP_3)
	v_add_f32_e32 v9, -0.5, v9
	v_or_b32_e32 v8, 0x70000000, v8
	s_delay_alu instid0(VALU_DEP_1) | instskip(SKIP_1) | instid1(VALU_DEP_2)
	v_mul_f32_e32 v8, 0x7800000, v8
	v_cmp_gt_u32_e32 vcc_lo, 0x8000000, v7
	v_cndmask_b32_e32 v7, v8, v9, vcc_lo
	s_delay_alu instid0(VALU_DEP_1) | instskip(NEXT) | instid1(VALU_DEP_1)
	v_and_or_b32 v5, 0x80000000, v5, v7
	v_cvt_i32_f32_e32 v8, v5
.LBB119_994:
	s_mov_b32 s36, 0
	s_mov_b32 s49, -1
.LBB119_995:
	s_and_not1_b32 vcc_lo, exec_lo, s36
	s_cbranch_vccnz .LBB119_1008
; %bb.996:
	s_cmp_gt_i32 s31, 14
	s_cbranch_scc0 .LBB119_999
; %bb.997:
	s_cmp_eq_u32 s31, 15
	s_cbranch_scc0 .LBB119_1002
; %bb.998:
	global_load_u16 v5, v[10:11], off
	s_mov_b32 s49, -1
	s_mov_b32 s30, 0
	s_wait_loadcnt 0x0
	v_lshlrev_b32_e32 v5, 16, v5
	s_delay_alu instid0(VALU_DEP_1)
	v_cvt_i32_f32_e32 v8, v5
	s_branch .LBB119_1003
.LBB119_999:
	s_mov_b32 s36, -1
                                        ; implicit-def: $vgpr8
	s_branch .LBB119_1004
.LBB119_1000:
	s_and_not1_saveexec_b32 s36, s36
	s_cbranch_execz .LBB119_981
.LBB119_1001:
	v_cmp_ne_u16_e32 vcc_lo, 0, v5
	s_and_not1_b32 s4, s37, exec_lo
	s_and_b32 s5, vcc_lo, exec_lo
	s_delay_alu instid0(SALU_CYCLE_1)
	s_or_b32 s37, s4, s5
	s_or_b32 exec_lo, exec_lo, s36
	v_mov_b32_e32 v8, 0
	s_and_saveexec_b32 s36, s37
	s_cbranch_execnz .LBB119_982
	s_branch .LBB119_983
.LBB119_1002:
	s_mov_b32 s30, -1
                                        ; implicit-def: $vgpr8
.LBB119_1003:
	s_mov_b32 s36, 0
.LBB119_1004:
	s_delay_alu instid0(SALU_CYCLE_1)
	s_and_b32 vcc_lo, exec_lo, s36
	s_cbranch_vccz .LBB119_1008
; %bb.1005:
	s_cmp_eq_u32 s31, 11
	s_cbranch_scc0 .LBB119_1007
; %bb.1006:
	global_load_u8 v5, v[10:11], off
	s_mov_b32 s30, 0
	s_mov_b32 s49, -1
	s_wait_loadcnt 0x0
	v_cmp_ne_u16_e32 vcc_lo, 0, v5
	v_cndmask_b32_e64 v8, 0, 1, vcc_lo
	s_branch .LBB119_1008
.LBB119_1007:
	s_mov_b32 s30, -1
                                        ; implicit-def: $vgpr8
.LBB119_1008:
	s_mov_b32 s31, 0
.LBB119_1009:
	s_delay_alu instid0(SALU_CYCLE_1)
	s_and_b32 vcc_lo, exec_lo, s31
	s_cbranch_vccz .LBB119_1058
; %bb.1010:
	s_and_b32 s0, 0xffff, s0
	s_delay_alu instid0(SALU_CYCLE_1)
	s_cmp_lt_i32 s0, 5
	s_cbranch_scc1 .LBB119_1015
; %bb.1011:
	s_cmp_lt_i32 s0, 8
	s_cbranch_scc1 .LBB119_1016
; %bb.1012:
	;; [unrolled: 3-line block ×3, first 2 shown]
	s_cmp_gt_i32 s0, 9
	s_cbranch_scc0 .LBB119_1018
; %bb.1014:
	s_wait_loadcnt 0x0
	global_load_b64 v[8:9], v[10:11], off
	s_mov_b32 s31, 0
	s_wait_loadcnt 0x0
	v_cvt_i32_f64_e32 v8, v[8:9]
	s_branch .LBB119_1019
.LBB119_1015:
	s_mov_b32 s31, -1
                                        ; implicit-def: $vgpr8
	s_branch .LBB119_1037
.LBB119_1016:
	s_mov_b32 s31, -1
                                        ; implicit-def: $vgpr8
	s_branch .LBB119_1025
.LBB119_1017:
	s_mov_b32 s31, -1
                                        ; implicit-def: $vgpr8
	s_branch .LBB119_1022
.LBB119_1018:
	s_mov_b32 s31, -1
                                        ; implicit-def: $vgpr8
.LBB119_1019:
	s_delay_alu instid0(SALU_CYCLE_1)
	s_and_not1_b32 vcc_lo, exec_lo, s31
	s_cbranch_vccnz .LBB119_1021
; %bb.1020:
	global_load_b32 v5, v[10:11], off
	s_wait_loadcnt 0x0
	v_cvt_i32_f32_e32 v8, v5
.LBB119_1021:
	s_mov_b32 s31, 0
.LBB119_1022:
	s_delay_alu instid0(SALU_CYCLE_1)
	s_and_not1_b32 vcc_lo, exec_lo, s31
	s_cbranch_vccnz .LBB119_1024
; %bb.1023:
	global_load_b32 v5, v[10:11], off
	s_wait_loadcnt 0x0
	v_cvt_f32_f16_e32 v5, v5
	s_delay_alu instid0(VALU_DEP_1)
	v_cvt_i32_f32_e32 v8, v5
.LBB119_1024:
	s_mov_b32 s31, 0
.LBB119_1025:
	s_delay_alu instid0(SALU_CYCLE_1)
	s_and_not1_b32 vcc_lo, exec_lo, s31
	s_cbranch_vccnz .LBB119_1036
; %bb.1026:
	s_cmp_lt_i32 s0, 6
	s_cbranch_scc1 .LBB119_1029
; %bb.1027:
	s_cmp_gt_i32 s0, 6
	s_cbranch_scc0 .LBB119_1030
; %bb.1028:
	s_wait_loadcnt 0x0
	global_load_b64 v[8:9], v[10:11], off
	s_mov_b32 s31, 0
	s_wait_loadcnt 0x0
	v_cvt_i32_f64_e32 v8, v[8:9]
	s_branch .LBB119_1031
.LBB119_1029:
	s_mov_b32 s31, -1
                                        ; implicit-def: $vgpr8
	s_branch .LBB119_1034
.LBB119_1030:
	s_mov_b32 s31, -1
                                        ; implicit-def: $vgpr8
.LBB119_1031:
	s_delay_alu instid0(SALU_CYCLE_1)
	s_and_not1_b32 vcc_lo, exec_lo, s31
	s_cbranch_vccnz .LBB119_1033
; %bb.1032:
	global_load_b32 v5, v[10:11], off
	s_wait_loadcnt 0x0
	v_cvt_i32_f32_e32 v8, v5
.LBB119_1033:
	s_mov_b32 s31, 0
.LBB119_1034:
	s_delay_alu instid0(SALU_CYCLE_1)
	s_and_not1_b32 vcc_lo, exec_lo, s31
	s_cbranch_vccnz .LBB119_1036
; %bb.1035:
	global_load_u16 v5, v[10:11], off
	s_wait_loadcnt 0x0
	v_cvt_f32_f16_e32 v5, v5
	s_delay_alu instid0(VALU_DEP_1)
	v_cvt_i32_f32_e32 v8, v5
.LBB119_1036:
	s_mov_b32 s31, 0
.LBB119_1037:
	s_delay_alu instid0(SALU_CYCLE_1)
	s_and_not1_b32 vcc_lo, exec_lo, s31
	s_cbranch_vccnz .LBB119_1057
; %bb.1038:
	s_cmp_lt_i32 s0, 2
	s_cbranch_scc1 .LBB119_1042
; %bb.1039:
	s_cmp_lt_i32 s0, 3
	s_cbranch_scc1 .LBB119_1043
; %bb.1040:
	s_cmp_gt_i32 s0, 3
	s_cbranch_scc0 .LBB119_1044
; %bb.1041:
	s_wait_loadcnt 0x0
	global_load_b32 v8, v[10:11], off
	s_mov_b32 s31, 0
	s_branch .LBB119_1045
.LBB119_1042:
	s_mov_b32 s31, -1
                                        ; implicit-def: $vgpr8
	s_branch .LBB119_1051
.LBB119_1043:
	s_mov_b32 s31, -1
                                        ; implicit-def: $vgpr8
	s_branch .LBB119_1048
.LBB119_1044:
	s_mov_b32 s31, -1
                                        ; implicit-def: $vgpr8
.LBB119_1045:
	s_delay_alu instid0(SALU_CYCLE_1)
	s_and_not1_b32 vcc_lo, exec_lo, s31
	s_cbranch_vccnz .LBB119_1047
; %bb.1046:
	s_wait_loadcnt 0x0
	global_load_b32 v8, v[10:11], off
.LBB119_1047:
	s_mov_b32 s31, 0
.LBB119_1048:
	s_delay_alu instid0(SALU_CYCLE_1)
	s_and_not1_b32 vcc_lo, exec_lo, s31
	s_cbranch_vccnz .LBB119_1050
; %bb.1049:
	s_wait_loadcnt 0x0
	global_load_i16 v8, v[10:11], off
.LBB119_1050:
	s_mov_b32 s31, 0
.LBB119_1051:
	s_delay_alu instid0(SALU_CYCLE_1)
	s_and_not1_b32 vcc_lo, exec_lo, s31
	s_cbranch_vccnz .LBB119_1057
; %bb.1052:
	s_cmp_gt_i32 s0, 0
	s_mov_b32 s0, 0
	s_cbranch_scc0 .LBB119_1054
; %bb.1053:
	s_wait_loadcnt 0x0
	global_load_i8 v8, v[10:11], off
	s_branch .LBB119_1055
.LBB119_1054:
	s_mov_b32 s0, -1
                                        ; implicit-def: $vgpr8
.LBB119_1055:
	s_delay_alu instid0(SALU_CYCLE_1)
	s_and_not1_b32 vcc_lo, exec_lo, s0
	s_cbranch_vccnz .LBB119_1057
; %bb.1056:
	s_wait_loadcnt 0x0
	global_load_u8 v8, v[10:11], off
.LBB119_1057:
	s_mov_b32 s49, -1
.LBB119_1058:
	s_delay_alu instid0(SALU_CYCLE_1)
	s_and_not1_b32 vcc_lo, exec_lo, s49
	s_cbranch_vccnz .LBB119_1066
; %bb.1059:
	s_load_b128 s[4:7], s[2:3], 0x268
	v_mov_b32_e32 v7, 0
	s_and_b32 s0, s35, 0xff
	s_delay_alu instid0(SALU_CYCLE_1) | instskip(SKIP_1) | instid1(VALU_DEP_1)
	s_cmp_lt_i32 s0, 11
	s_wait_kmcnt 0x0
	v_add_nc_u64_e32 v[10:11], s[4:5], v[6:7]
	s_cbranch_scc1 .LBB119_1067
; %bb.1060:
	s_and_b32 s49, 0xffff, s0
	s_delay_alu instid0(SALU_CYCLE_1)
	s_cmp_gt_i32 s49, 25
	s_cbranch_scc0 .LBB119_1068
; %bb.1061:
	s_cmp_gt_i32 s49, 28
	s_cbranch_scc0 .LBB119_1069
; %bb.1062:
	;; [unrolled: 3-line block ×4, first 2 shown]
	s_cmp_eq_u32 s49, 46
	s_mov_b32 s36, 0
	s_cbranch_scc0 .LBB119_1073
; %bb.1065:
	global_load_b32 v5, v[10:11], off
	s_mov_b32 s56, -1
	s_mov_b32 s31, 0
	s_wait_loadcnt 0x0
	v_lshlrev_b32_e32 v5, 16, v5
	s_delay_alu instid0(VALU_DEP_1)
	v_cvt_i32_f32_e32 v6, v5
	s_branch .LBB119_1075
.LBB119_1066:
	s_mov_b32 s0, 0
	s_mov_b32 s36, s45
	;; [unrolled: 1-line block ×8, first 2 shown]
	s_branch .LBB119_1324
.LBB119_1067:
	s_mov_b32 s36, -1
	s_mov_b32 s56, 0
	s_mov_b32 s31, s87
                                        ; implicit-def: $vgpr6
	s_branch .LBB119_1136
.LBB119_1068:
	s_mov_b32 s36, -1
	s_mov_b32 s56, 0
	s_mov_b32 s31, s87
                                        ; implicit-def: $vgpr6
	s_branch .LBB119_1102
.LBB119_1069:
	s_mov_b32 s36, -1
	s_mov_b32 s56, 0
	s_mov_b32 s31, s87
                                        ; implicit-def: $vgpr6
	s_branch .LBB119_1085
.LBB119_1070:
	s_mov_b32 s36, -1
	s_mov_b32 s56, 0
	s_mov_b32 s31, s87
                                        ; implicit-def: $vgpr6
	s_branch .LBB119_1080
.LBB119_1071:
	s_mov_b32 s36, -1
	s_mov_b32 s56, 0
	s_mov_b32 s31, s87
	s_branch .LBB119_1074
.LBB119_1072:
	s_mov_b32 s36, -1
	s_mov_b32 s56, 0
	s_mov_b32 s59, 0
	s_branch .LBB119_1882
.LBB119_1073:
	s_mov_b32 s31, -1
	s_mov_b32 s56, 0
.LBB119_1074:
                                        ; implicit-def: $vgpr6
.LBB119_1075:
	s_and_b32 vcc_lo, exec_lo, s36
	s_cbranch_vccz .LBB119_1079
; %bb.1076:
	s_cmp_eq_u32 s49, 44
	s_cbranch_scc0 .LBB119_1078
; %bb.1077:
	global_load_u8 v5, v[10:11], off
	s_mov_b32 s31, 0
	s_mov_b32 s56, -1
	s_wait_loadcnt 0x0
	v_lshlrev_b32_e32 v6, 23, v5
	v_cmp_ne_u32_e32 vcc_lo, 0, v5
	s_delay_alu instid0(VALU_DEP_2) | instskip(NEXT) | instid1(VALU_DEP_1)
	v_cvt_i32_f32_e32 v6, v6
	v_cndmask_b32_e32 v6, 0, v6, vcc_lo
	s_branch .LBB119_1079
.LBB119_1078:
	s_mov_b32 s31, -1
                                        ; implicit-def: $vgpr6
.LBB119_1079:
	s_mov_b32 s36, 0
.LBB119_1080:
	s_delay_alu instid0(SALU_CYCLE_1)
	s_and_b32 vcc_lo, exec_lo, s36
	s_cbranch_vccz .LBB119_1084
; %bb.1081:
	s_cmp_eq_u32 s49, 29
	s_cbranch_scc0 .LBB119_1083
; %bb.1082:
	global_load_b32 v6, v[10:11], off
	s_mov_b32 s56, -1
	s_mov_b32 s31, 0
	s_branch .LBB119_1084
.LBB119_1083:
	s_mov_b32 s31, -1
                                        ; implicit-def: $vgpr6
.LBB119_1084:
	s_mov_b32 s36, 0
.LBB119_1085:
	s_delay_alu instid0(SALU_CYCLE_1)
	s_and_b32 vcc_lo, exec_lo, s36
	s_cbranch_vccz .LBB119_1101
; %bb.1086:
	s_cmp_lt_i32 s49, 27
	s_cbranch_scc1 .LBB119_1089
; %bb.1087:
	s_cmp_gt_i32 s49, 27
	s_cbranch_scc0 .LBB119_1090
; %bb.1088:
	s_wait_loadcnt 0x0
	global_load_b32 v6, v[10:11], off
	s_mov_b32 s36, 0
	s_branch .LBB119_1091
.LBB119_1089:
	s_mov_b32 s36, -1
                                        ; implicit-def: $vgpr6
	s_branch .LBB119_1094
.LBB119_1090:
	s_mov_b32 s36, -1
                                        ; implicit-def: $vgpr6
.LBB119_1091:
	s_delay_alu instid0(SALU_CYCLE_1)
	s_and_not1_b32 vcc_lo, exec_lo, s36
	s_cbranch_vccnz .LBB119_1093
; %bb.1092:
	s_wait_loadcnt 0x0
	global_load_u16 v6, v[10:11], off
.LBB119_1093:
	s_mov_b32 s36, 0
.LBB119_1094:
	s_delay_alu instid0(SALU_CYCLE_1)
	s_and_not1_b32 vcc_lo, exec_lo, s36
	s_cbranch_vccnz .LBB119_1100
; %bb.1095:
	global_load_u8 v5, v[10:11], off
	s_mov_b32 s37, 0
	s_mov_b32 s4, exec_lo
	s_wait_loadcnt 0x0
	v_cmpx_lt_i16_e32 0x7f, v5
	s_xor_b32 s36, exec_lo, s4
	s_cbranch_execz .LBB119_1112
; %bb.1096:
	v_cmp_ne_u16_e32 vcc_lo, 0x80, v5
	s_and_b32 s37, vcc_lo, exec_lo
	s_and_not1_saveexec_b32 s36, s36
	s_cbranch_execnz .LBB119_1113
.LBB119_1097:
	s_or_b32 exec_lo, exec_lo, s36
	v_mov_b32_e32 v6, 0
	s_and_saveexec_b32 s36, s37
	s_cbranch_execz .LBB119_1099
.LBB119_1098:
	v_and_b32_e32 v6, 0xffff, v5
	s_delay_alu instid0(VALU_DEP_1) | instskip(SKIP_1) | instid1(VALU_DEP_2)
	v_and_b32_e32 v7, 7, v6
	v_bfe_u32 v13, v6, 3, 4
	v_clz_i32_u32_e32 v9, v7
	s_delay_alu instid0(VALU_DEP_2) | instskip(NEXT) | instid1(VALU_DEP_2)
	v_cmp_eq_u32_e32 vcc_lo, 0, v13
	v_min_u32_e32 v9, 32, v9
	s_delay_alu instid0(VALU_DEP_1) | instskip(NEXT) | instid1(VALU_DEP_1)
	v_subrev_nc_u32_e32 v12, 28, v9
	v_dual_lshlrev_b32 v6, v12, v6 :: v_dual_sub_nc_u32 v9, 29, v9
	s_delay_alu instid0(VALU_DEP_1) | instskip(NEXT) | instid1(VALU_DEP_1)
	v_dual_lshlrev_b32 v5, 24, v5 :: v_dual_bitop2_b32 v6, 7, v6 bitop3:0x40
	v_dual_cndmask_b32 v6, v7, v6 :: v_dual_cndmask_b32 v9, v13, v9
	s_delay_alu instid0(VALU_DEP_2) | instskip(NEXT) | instid1(VALU_DEP_2)
	v_and_b32_e32 v5, 0x80000000, v5
	v_lshlrev_b32_e32 v6, 20, v6
	s_delay_alu instid0(VALU_DEP_3) | instskip(NEXT) | instid1(VALU_DEP_1)
	v_lshl_add_u32 v7, v9, 23, 0x3b800000
	v_or3_b32 v5, v5, v7, v6
	s_delay_alu instid0(VALU_DEP_1)
	v_cvt_i32_f32_e32 v6, v5
.LBB119_1099:
	s_or_b32 exec_lo, exec_lo, s36
.LBB119_1100:
	s_mov_b32 s56, -1
.LBB119_1101:
	s_mov_b32 s36, 0
.LBB119_1102:
	s_delay_alu instid0(SALU_CYCLE_1)
	s_and_b32 vcc_lo, exec_lo, s36
	s_cbranch_vccz .LBB119_1135
; %bb.1103:
	s_cmp_gt_i32 s49, 22
	s_cbranch_scc0 .LBB119_1111
; %bb.1104:
	s_cmp_lt_i32 s49, 24
	s_cbranch_scc1 .LBB119_1114
; %bb.1105:
	s_cmp_gt_i32 s49, 24
	s_cbranch_scc0 .LBB119_1115
; %bb.1106:
	global_load_u8 v5, v[10:11], off
	s_mov_b32 s37, 0
	s_mov_b32 s4, exec_lo
	s_wait_loadcnt 0x0
	v_cmpx_lt_i16_e32 0x7f, v5
	s_xor_b32 s36, exec_lo, s4
	s_cbranch_execz .LBB119_1127
; %bb.1107:
	v_cmp_ne_u16_e32 vcc_lo, 0x80, v5
	s_and_b32 s37, vcc_lo, exec_lo
	s_and_not1_saveexec_b32 s36, s36
	s_cbranch_execnz .LBB119_1128
.LBB119_1108:
	s_or_b32 exec_lo, exec_lo, s36
	v_mov_b32_e32 v6, 0
	s_and_saveexec_b32 s36, s37
	s_cbranch_execz .LBB119_1110
.LBB119_1109:
	v_and_b32_e32 v6, 0xffff, v5
	s_delay_alu instid0(VALU_DEP_1) | instskip(SKIP_1) | instid1(VALU_DEP_2)
	v_and_b32_e32 v7, 3, v6
	v_bfe_u32 v13, v6, 2, 5
	v_clz_i32_u32_e32 v9, v7
	s_delay_alu instid0(VALU_DEP_2) | instskip(NEXT) | instid1(VALU_DEP_2)
	v_cmp_eq_u32_e32 vcc_lo, 0, v13
	v_min_u32_e32 v9, 32, v9
	s_delay_alu instid0(VALU_DEP_1) | instskip(NEXT) | instid1(VALU_DEP_1)
	v_subrev_nc_u32_e32 v12, 29, v9
	v_dual_lshlrev_b32 v6, v12, v6 :: v_dual_sub_nc_u32 v9, 30, v9
	s_delay_alu instid0(VALU_DEP_1) | instskip(NEXT) | instid1(VALU_DEP_1)
	v_dual_lshlrev_b32 v5, 24, v5 :: v_dual_bitop2_b32 v6, 3, v6 bitop3:0x40
	v_dual_cndmask_b32 v6, v7, v6 :: v_dual_cndmask_b32 v9, v13, v9
	s_delay_alu instid0(VALU_DEP_2) | instskip(NEXT) | instid1(VALU_DEP_2)
	v_and_b32_e32 v5, 0x80000000, v5
	v_lshlrev_b32_e32 v6, 21, v6
	s_delay_alu instid0(VALU_DEP_3) | instskip(NEXT) | instid1(VALU_DEP_1)
	v_lshl_add_u32 v7, v9, 23, 0x37800000
	v_or3_b32 v5, v5, v7, v6
	s_delay_alu instid0(VALU_DEP_1)
	v_cvt_i32_f32_e32 v6, v5
.LBB119_1110:
	s_or_b32 exec_lo, exec_lo, s36
	s_mov_b32 s36, 0
	s_branch .LBB119_1116
.LBB119_1111:
	s_mov_b32 s36, -1
                                        ; implicit-def: $vgpr6
	s_branch .LBB119_1122
.LBB119_1112:
	s_and_not1_saveexec_b32 s36, s36
	s_cbranch_execz .LBB119_1097
.LBB119_1113:
	v_cmp_ne_u16_e32 vcc_lo, 0, v5
	s_and_not1_b32 s4, s37, exec_lo
	s_and_b32 s5, vcc_lo, exec_lo
	s_delay_alu instid0(SALU_CYCLE_1)
	s_or_b32 s37, s4, s5
	s_or_b32 exec_lo, exec_lo, s36
	v_mov_b32_e32 v6, 0
	s_and_saveexec_b32 s36, s37
	s_cbranch_execnz .LBB119_1098
	s_branch .LBB119_1099
.LBB119_1114:
	s_mov_b32 s36, -1
                                        ; implicit-def: $vgpr6
	s_branch .LBB119_1119
.LBB119_1115:
	s_mov_b32 s36, -1
                                        ; implicit-def: $vgpr6
.LBB119_1116:
	s_delay_alu instid0(SALU_CYCLE_1)
	s_and_b32 vcc_lo, exec_lo, s36
	s_cbranch_vccz .LBB119_1118
; %bb.1117:
	global_load_u8 v5, v[10:11], off
	s_wait_loadcnt 0x0
	v_lshlrev_b32_e32 v5, 24, v5
	s_delay_alu instid0(VALU_DEP_1) | instskip(NEXT) | instid1(VALU_DEP_1)
	v_and_b32_e32 v6, 0x7f000000, v5
	v_clz_i32_u32_e32 v7, v6
	v_add_nc_u32_e32 v12, 0x1000000, v6
	v_cmp_ne_u32_e32 vcc_lo, 0, v6
	s_delay_alu instid0(VALU_DEP_3) | instskip(NEXT) | instid1(VALU_DEP_1)
	v_min_u32_e32 v7, 32, v7
	v_sub_nc_u32_e64 v7, v7, 4 clamp
	s_delay_alu instid0(VALU_DEP_1) | instskip(NEXT) | instid1(VALU_DEP_1)
	v_dual_lshlrev_b32 v9, v7, v6 :: v_dual_lshlrev_b32 v7, 23, v7
	v_lshrrev_b32_e32 v9, 4, v9
	s_delay_alu instid0(VALU_DEP_1) | instskip(NEXT) | instid1(VALU_DEP_1)
	v_dual_sub_nc_u32 v7, v9, v7 :: v_dual_ashrrev_i32 v9, 8, v12
	v_add_nc_u32_e32 v7, 0x3c000000, v7
	s_delay_alu instid0(VALU_DEP_1) | instskip(NEXT) | instid1(VALU_DEP_1)
	v_and_or_b32 v7, 0x7f800000, v9, v7
	v_cndmask_b32_e32 v6, 0, v7, vcc_lo
	s_delay_alu instid0(VALU_DEP_1) | instskip(NEXT) | instid1(VALU_DEP_1)
	v_and_or_b32 v5, 0x80000000, v5, v6
	v_cvt_i32_f32_e32 v6, v5
.LBB119_1118:
	s_mov_b32 s36, 0
.LBB119_1119:
	s_delay_alu instid0(SALU_CYCLE_1)
	s_and_not1_b32 vcc_lo, exec_lo, s36
	s_cbranch_vccnz .LBB119_1121
; %bb.1120:
	global_load_u8 v5, v[10:11], off
	s_wait_loadcnt 0x0
	v_lshlrev_b32_e32 v6, 25, v5
	v_lshlrev_b16 v5, 8, v5
	s_delay_alu instid0(VALU_DEP_1) | instskip(NEXT) | instid1(VALU_DEP_3)
	v_and_or_b32 v9, 0x7f00, v5, 0.5
	v_lshrrev_b32_e32 v7, 4, v6
	v_bfe_i32 v5, v5, 0, 16
	s_delay_alu instid0(VALU_DEP_3) | instskip(NEXT) | instid1(VALU_DEP_3)
	v_add_f32_e32 v9, -0.5, v9
	v_or_b32_e32 v7, 0x70000000, v7
	s_delay_alu instid0(VALU_DEP_1) | instskip(SKIP_1) | instid1(VALU_DEP_2)
	v_mul_f32_e32 v7, 0x7800000, v7
	v_cmp_gt_u32_e32 vcc_lo, 0x8000000, v6
	v_cndmask_b32_e32 v6, v7, v9, vcc_lo
	s_delay_alu instid0(VALU_DEP_1) | instskip(NEXT) | instid1(VALU_DEP_1)
	v_and_or_b32 v5, 0x80000000, v5, v6
	v_cvt_i32_f32_e32 v6, v5
.LBB119_1121:
	s_mov_b32 s36, 0
	s_mov_b32 s56, -1
.LBB119_1122:
	s_and_not1_b32 vcc_lo, exec_lo, s36
	s_cbranch_vccnz .LBB119_1135
; %bb.1123:
	s_cmp_gt_i32 s49, 14
	s_cbranch_scc0 .LBB119_1126
; %bb.1124:
	s_cmp_eq_u32 s49, 15
	s_cbranch_scc0 .LBB119_1129
; %bb.1125:
	global_load_u16 v5, v[10:11], off
	s_mov_b32 s56, -1
	s_mov_b32 s31, 0
	s_wait_loadcnt 0x0
	v_lshlrev_b32_e32 v5, 16, v5
	s_delay_alu instid0(VALU_DEP_1)
	v_cvt_i32_f32_e32 v6, v5
	s_branch .LBB119_1130
.LBB119_1126:
	s_mov_b32 s36, -1
                                        ; implicit-def: $vgpr6
	s_branch .LBB119_1131
.LBB119_1127:
	s_and_not1_saveexec_b32 s36, s36
	s_cbranch_execz .LBB119_1108
.LBB119_1128:
	v_cmp_ne_u16_e32 vcc_lo, 0, v5
	s_and_not1_b32 s4, s37, exec_lo
	s_and_b32 s5, vcc_lo, exec_lo
	s_delay_alu instid0(SALU_CYCLE_1)
	s_or_b32 s37, s4, s5
	s_or_b32 exec_lo, exec_lo, s36
	v_mov_b32_e32 v6, 0
	s_and_saveexec_b32 s36, s37
	s_cbranch_execnz .LBB119_1109
	s_branch .LBB119_1110
.LBB119_1129:
	s_mov_b32 s31, -1
                                        ; implicit-def: $vgpr6
.LBB119_1130:
	s_mov_b32 s36, 0
.LBB119_1131:
	s_delay_alu instid0(SALU_CYCLE_1)
	s_and_b32 vcc_lo, exec_lo, s36
	s_cbranch_vccz .LBB119_1135
; %bb.1132:
	s_cmp_eq_u32 s49, 11
	s_cbranch_scc0 .LBB119_1134
; %bb.1133:
	global_load_u8 v5, v[10:11], off
	s_mov_b32 s31, 0
	s_mov_b32 s56, -1
	s_wait_loadcnt 0x0
	v_cmp_ne_u16_e32 vcc_lo, 0, v5
	v_cndmask_b32_e64 v6, 0, 1, vcc_lo
	s_branch .LBB119_1135
.LBB119_1134:
	s_mov_b32 s31, -1
                                        ; implicit-def: $vgpr6
.LBB119_1135:
	s_mov_b32 s36, 0
.LBB119_1136:
	s_delay_alu instid0(SALU_CYCLE_1)
	s_and_b32 vcc_lo, exec_lo, s36
	s_cbranch_vccz .LBB119_1185
; %bb.1137:
	s_and_b32 s0, 0xffff, s0
	s_delay_alu instid0(SALU_CYCLE_1)
	s_cmp_lt_i32 s0, 5
	s_cbranch_scc1 .LBB119_1142
; %bb.1138:
	s_cmp_lt_i32 s0, 8
	s_cbranch_scc1 .LBB119_1143
; %bb.1139:
	s_cmp_lt_i32 s0, 9
	s_cbranch_scc1 .LBB119_1144
; %bb.1140:
	s_cmp_gt_i32 s0, 9
	s_cbranch_scc0 .LBB119_1145
; %bb.1141:
	s_wait_loadcnt 0x0
	global_load_b64 v[6:7], v[10:11], off
	s_mov_b32 s36, 0
	s_wait_loadcnt 0x0
	v_cvt_i32_f64_e32 v6, v[6:7]
	s_branch .LBB119_1146
.LBB119_1142:
	s_mov_b32 s36, -1
                                        ; implicit-def: $vgpr6
	s_branch .LBB119_1164
.LBB119_1143:
	s_mov_b32 s36, -1
                                        ; implicit-def: $vgpr6
	s_branch .LBB119_1152
.LBB119_1144:
	s_mov_b32 s36, -1
                                        ; implicit-def: $vgpr6
	s_branch .LBB119_1149
.LBB119_1145:
	s_mov_b32 s36, -1
                                        ; implicit-def: $vgpr6
.LBB119_1146:
	s_delay_alu instid0(SALU_CYCLE_1)
	s_and_not1_b32 vcc_lo, exec_lo, s36
	s_cbranch_vccnz .LBB119_1148
; %bb.1147:
	global_load_b32 v5, v[10:11], off
	s_wait_loadcnt 0x0
	v_cvt_i32_f32_e32 v6, v5
.LBB119_1148:
	s_mov_b32 s36, 0
.LBB119_1149:
	s_delay_alu instid0(SALU_CYCLE_1)
	s_and_not1_b32 vcc_lo, exec_lo, s36
	s_cbranch_vccnz .LBB119_1151
; %bb.1150:
	global_load_b32 v5, v[10:11], off
	s_wait_loadcnt 0x0
	v_cvt_f32_f16_e32 v5, v5
	s_delay_alu instid0(VALU_DEP_1)
	v_cvt_i32_f32_e32 v6, v5
.LBB119_1151:
	s_mov_b32 s36, 0
.LBB119_1152:
	s_delay_alu instid0(SALU_CYCLE_1)
	s_and_not1_b32 vcc_lo, exec_lo, s36
	s_cbranch_vccnz .LBB119_1163
; %bb.1153:
	s_cmp_lt_i32 s0, 6
	s_cbranch_scc1 .LBB119_1156
; %bb.1154:
	s_cmp_gt_i32 s0, 6
	s_cbranch_scc0 .LBB119_1157
; %bb.1155:
	s_wait_loadcnt 0x0
	global_load_b64 v[6:7], v[10:11], off
	s_mov_b32 s36, 0
	s_wait_loadcnt 0x0
	v_cvt_i32_f64_e32 v6, v[6:7]
	s_branch .LBB119_1158
.LBB119_1156:
	s_mov_b32 s36, -1
                                        ; implicit-def: $vgpr6
	s_branch .LBB119_1161
.LBB119_1157:
	s_mov_b32 s36, -1
                                        ; implicit-def: $vgpr6
.LBB119_1158:
	s_delay_alu instid0(SALU_CYCLE_1)
	s_and_not1_b32 vcc_lo, exec_lo, s36
	s_cbranch_vccnz .LBB119_1160
; %bb.1159:
	global_load_b32 v5, v[10:11], off
	s_wait_loadcnt 0x0
	v_cvt_i32_f32_e32 v6, v5
.LBB119_1160:
	s_mov_b32 s36, 0
.LBB119_1161:
	s_delay_alu instid0(SALU_CYCLE_1)
	s_and_not1_b32 vcc_lo, exec_lo, s36
	s_cbranch_vccnz .LBB119_1163
; %bb.1162:
	global_load_u16 v5, v[10:11], off
	s_wait_loadcnt 0x0
	v_cvt_f32_f16_e32 v5, v5
	s_delay_alu instid0(VALU_DEP_1)
	v_cvt_i32_f32_e32 v6, v5
.LBB119_1163:
	s_mov_b32 s36, 0
.LBB119_1164:
	s_delay_alu instid0(SALU_CYCLE_1)
	s_and_not1_b32 vcc_lo, exec_lo, s36
	s_cbranch_vccnz .LBB119_1184
; %bb.1165:
	s_cmp_lt_i32 s0, 2
	s_cbranch_scc1 .LBB119_1169
; %bb.1166:
	s_cmp_lt_i32 s0, 3
	s_cbranch_scc1 .LBB119_1170
; %bb.1167:
	s_cmp_gt_i32 s0, 3
	s_cbranch_scc0 .LBB119_1171
; %bb.1168:
	s_wait_loadcnt 0x0
	global_load_b32 v6, v[10:11], off
	s_mov_b32 s36, 0
	s_branch .LBB119_1172
.LBB119_1169:
	s_mov_b32 s36, -1
                                        ; implicit-def: $vgpr6
	s_branch .LBB119_1178
.LBB119_1170:
	s_mov_b32 s36, -1
                                        ; implicit-def: $vgpr6
	s_branch .LBB119_1175
.LBB119_1171:
	s_mov_b32 s36, -1
                                        ; implicit-def: $vgpr6
.LBB119_1172:
	s_delay_alu instid0(SALU_CYCLE_1)
	s_and_not1_b32 vcc_lo, exec_lo, s36
	s_cbranch_vccnz .LBB119_1174
; %bb.1173:
	s_wait_loadcnt 0x0
	global_load_b32 v6, v[10:11], off
.LBB119_1174:
	s_mov_b32 s36, 0
.LBB119_1175:
	s_delay_alu instid0(SALU_CYCLE_1)
	s_and_not1_b32 vcc_lo, exec_lo, s36
	s_cbranch_vccnz .LBB119_1177
; %bb.1176:
	s_wait_loadcnt 0x0
	global_load_i16 v6, v[10:11], off
.LBB119_1177:
	s_mov_b32 s36, 0
.LBB119_1178:
	s_delay_alu instid0(SALU_CYCLE_1)
	s_and_not1_b32 vcc_lo, exec_lo, s36
	s_cbranch_vccnz .LBB119_1184
; %bb.1179:
	s_cmp_gt_i32 s0, 0
	s_mov_b32 s0, 0
	s_cbranch_scc0 .LBB119_1181
; %bb.1180:
	s_wait_loadcnt 0x0
	global_load_i8 v6, v[10:11], off
	s_branch .LBB119_1182
.LBB119_1181:
	s_mov_b32 s0, -1
                                        ; implicit-def: $vgpr6
.LBB119_1182:
	s_delay_alu instid0(SALU_CYCLE_1)
	s_and_not1_b32 vcc_lo, exec_lo, s0
	s_cbranch_vccnz .LBB119_1184
; %bb.1183:
	s_wait_loadcnt 0x0
	global_load_u8 v6, v[10:11], off
.LBB119_1184:
	s_mov_b32 s56, -1
.LBB119_1185:
	s_delay_alu instid0(SALU_CYCLE_1)
	s_and_not1_b32 vcc_lo, exec_lo, s56
	s_cbranch_vccnz .LBB119_1193
; %bb.1186:
	s_load_b128 s[4:7], s[2:3], 0x268
	v_mov_b32_e32 v5, 0
	s_and_b32 s0, s80, 0xff
	s_delay_alu instid0(SALU_CYCLE_1) | instskip(SKIP_1) | instid1(VALU_DEP_1)
	s_cmp_lt_i32 s0, 11
	s_wait_kmcnt 0x0
	v_add_nc_u64_e32 v[4:5], s[6:7], v[4:5]
	s_cbranch_scc1 .LBB119_1194
; %bb.1187:
	s_and_b32 s49, 0xffff, s0
	s_delay_alu instid0(SALU_CYCLE_1)
	s_cmp_gt_i32 s49, 25
	s_cbranch_scc0 .LBB119_1195
; %bb.1188:
	s_cmp_gt_i32 s49, 28
	s_cbranch_scc0 .LBB119_1196
; %bb.1189:
	;; [unrolled: 3-line block ×4, first 2 shown]
	s_cmp_eq_u32 s49, 46
	s_mov_b32 s36, 0
	s_cbranch_scc0 .LBB119_1200
; %bb.1192:
	global_load_b32 v7, v[4:5], off
	s_mov_b32 s56, -1
	s_mov_b32 s74, 0
	s_wait_loadcnt 0x0
	v_lshlrev_b32_e32 v7, 16, v7
	s_delay_alu instid0(VALU_DEP_1)
	v_cvt_i32_f32_e32 v10, v7
	s_branch .LBB119_1202
.LBB119_1193:
	s_mov_b32 s0, 0
	s_mov_b32 s36, s45
	;; [unrolled: 1-line block ×7, first 2 shown]
	s_branch .LBB119_1324
.LBB119_1194:
	s_mov_b32 s36, -1
	s_mov_b32 s56, 0
	s_mov_b32 s74, s86
                                        ; implicit-def: $vgpr10
	s_branch .LBB119_1263
.LBB119_1195:
	s_mov_b32 s36, -1
	s_mov_b32 s56, 0
	s_mov_b32 s74, s86
                                        ; implicit-def: $vgpr10
	s_branch .LBB119_1229
.LBB119_1196:
	s_mov_b32 s36, -1
	s_mov_b32 s56, 0
	s_mov_b32 s74, s86
                                        ; implicit-def: $vgpr10
	s_branch .LBB119_1212
.LBB119_1197:
	s_mov_b32 s36, -1
	s_mov_b32 s56, 0
	s_mov_b32 s74, s86
                                        ; implicit-def: $vgpr10
	s_branch .LBB119_1207
.LBB119_1198:
	s_mov_b32 s36, -1
	s_mov_b32 s56, 0
	s_mov_b32 s74, s86
	s_branch .LBB119_1201
.LBB119_1199:
	s_mov_b32 s36, -1
	s_mov_b32 s56, 0
	s_mov_b32 s59, 0
	s_branch .LBB119_1878
.LBB119_1200:
	s_mov_b32 s74, -1
	s_mov_b32 s56, 0
.LBB119_1201:
                                        ; implicit-def: $vgpr10
.LBB119_1202:
	s_and_b32 vcc_lo, exec_lo, s36
	s_cbranch_vccz .LBB119_1206
; %bb.1203:
	s_cmp_eq_u32 s49, 44
	s_cbranch_scc0 .LBB119_1205
; %bb.1204:
	global_load_u8 v7, v[4:5], off
	s_mov_b32 s74, 0
	s_mov_b32 s56, -1
	s_wait_loadcnt 0x0
	v_lshlrev_b32_e32 v9, 23, v7
	v_cmp_ne_u32_e32 vcc_lo, 0, v7
	s_delay_alu instid0(VALU_DEP_2) | instskip(NEXT) | instid1(VALU_DEP_1)
	v_cvt_i32_f32_e32 v9, v9
	v_cndmask_b32_e32 v10, 0, v9, vcc_lo
	s_branch .LBB119_1206
.LBB119_1205:
	s_mov_b32 s74, -1
                                        ; implicit-def: $vgpr10
.LBB119_1206:
	s_mov_b32 s36, 0
.LBB119_1207:
	s_delay_alu instid0(SALU_CYCLE_1)
	s_and_b32 vcc_lo, exec_lo, s36
	s_cbranch_vccz .LBB119_1211
; %bb.1208:
	s_cmp_eq_u32 s49, 29
	s_cbranch_scc0 .LBB119_1210
; %bb.1209:
	global_load_b32 v10, v[4:5], off
	s_mov_b32 s56, -1
	s_mov_b32 s74, 0
	s_branch .LBB119_1211
.LBB119_1210:
	s_mov_b32 s74, -1
                                        ; implicit-def: $vgpr10
.LBB119_1211:
	s_mov_b32 s36, 0
.LBB119_1212:
	s_delay_alu instid0(SALU_CYCLE_1)
	s_and_b32 vcc_lo, exec_lo, s36
	s_cbranch_vccz .LBB119_1228
; %bb.1213:
	s_cmp_lt_i32 s49, 27
	s_cbranch_scc1 .LBB119_1216
; %bb.1214:
	s_cmp_gt_i32 s49, 27
	s_cbranch_scc0 .LBB119_1217
; %bb.1215:
	s_wait_loadcnt 0x0
	global_load_b32 v10, v[4:5], off
	s_mov_b32 s36, 0
	s_branch .LBB119_1218
.LBB119_1216:
	s_mov_b32 s36, -1
                                        ; implicit-def: $vgpr10
	s_branch .LBB119_1221
.LBB119_1217:
	s_mov_b32 s36, -1
                                        ; implicit-def: $vgpr10
.LBB119_1218:
	s_delay_alu instid0(SALU_CYCLE_1)
	s_and_not1_b32 vcc_lo, exec_lo, s36
	s_cbranch_vccnz .LBB119_1220
; %bb.1219:
	s_wait_loadcnt 0x0
	global_load_u16 v10, v[4:5], off
.LBB119_1220:
	s_mov_b32 s36, 0
.LBB119_1221:
	s_delay_alu instid0(SALU_CYCLE_1)
	s_and_not1_b32 vcc_lo, exec_lo, s36
	s_cbranch_vccnz .LBB119_1227
; %bb.1222:
	global_load_u8 v7, v[4:5], off
	s_mov_b32 s37, 0
	s_mov_b32 s4, exec_lo
	s_wait_loadcnt 0x0
	v_cmpx_lt_i16_e32 0x7f, v7
	s_xor_b32 s36, exec_lo, s4
	s_cbranch_execz .LBB119_1239
; %bb.1223:
	v_cmp_ne_u16_e32 vcc_lo, 0x80, v7
	s_and_b32 s37, vcc_lo, exec_lo
	s_and_not1_saveexec_b32 s36, s36
	s_cbranch_execnz .LBB119_1240
.LBB119_1224:
	s_or_b32 exec_lo, exec_lo, s36
	v_mov_b32_e32 v10, 0
	s_and_saveexec_b32 s36, s37
	s_cbranch_execz .LBB119_1226
.LBB119_1225:
	v_and_b32_e32 v9, 0xffff, v7
	s_delay_alu instid0(VALU_DEP_1) | instskip(SKIP_1) | instid1(VALU_DEP_2)
	v_and_b32_e32 v10, 7, v9
	v_bfe_u32 v13, v9, 3, 4
	v_clz_i32_u32_e32 v11, v10
	s_delay_alu instid0(VALU_DEP_2) | instskip(NEXT) | instid1(VALU_DEP_2)
	v_cmp_eq_u32_e32 vcc_lo, 0, v13
	v_min_u32_e32 v11, 32, v11
	s_delay_alu instid0(VALU_DEP_1) | instskip(NEXT) | instid1(VALU_DEP_1)
	v_subrev_nc_u32_e32 v12, 28, v11
	v_dual_lshlrev_b32 v9, v12, v9 :: v_dual_sub_nc_u32 v11, 29, v11
	s_delay_alu instid0(VALU_DEP_1) | instskip(NEXT) | instid1(VALU_DEP_1)
	v_dual_lshlrev_b32 v7, 24, v7 :: v_dual_bitop2_b32 v9, 7, v9 bitop3:0x40
	v_dual_cndmask_b32 v9, v10, v9, vcc_lo :: v_dual_cndmask_b32 v11, v13, v11, vcc_lo
	s_delay_alu instid0(VALU_DEP_2) | instskip(NEXT) | instid1(VALU_DEP_2)
	v_and_b32_e32 v7, 0x80000000, v7
	v_lshlrev_b32_e32 v9, 20, v9
	s_delay_alu instid0(VALU_DEP_3) | instskip(NEXT) | instid1(VALU_DEP_1)
	v_lshl_add_u32 v10, v11, 23, 0x3b800000
	v_or3_b32 v7, v7, v10, v9
	s_delay_alu instid0(VALU_DEP_1)
	v_cvt_i32_f32_e32 v10, v7
.LBB119_1226:
	s_or_b32 exec_lo, exec_lo, s36
.LBB119_1227:
	s_mov_b32 s56, -1
.LBB119_1228:
	s_mov_b32 s36, 0
.LBB119_1229:
	s_delay_alu instid0(SALU_CYCLE_1)
	s_and_b32 vcc_lo, exec_lo, s36
	s_cbranch_vccz .LBB119_1262
; %bb.1230:
	s_cmp_gt_i32 s49, 22
	s_cbranch_scc0 .LBB119_1238
; %bb.1231:
	s_cmp_lt_i32 s49, 24
	s_cbranch_scc1 .LBB119_1241
; %bb.1232:
	s_cmp_gt_i32 s49, 24
	s_cbranch_scc0 .LBB119_1242
; %bb.1233:
	global_load_u8 v7, v[4:5], off
	s_mov_b32 s37, 0
	s_mov_b32 s4, exec_lo
	s_wait_loadcnt 0x0
	v_cmpx_lt_i16_e32 0x7f, v7
	s_xor_b32 s36, exec_lo, s4
	s_cbranch_execz .LBB119_1254
; %bb.1234:
	v_cmp_ne_u16_e32 vcc_lo, 0x80, v7
	s_and_b32 s37, vcc_lo, exec_lo
	s_and_not1_saveexec_b32 s36, s36
	s_cbranch_execnz .LBB119_1255
.LBB119_1235:
	s_or_b32 exec_lo, exec_lo, s36
	v_mov_b32_e32 v10, 0
	s_and_saveexec_b32 s36, s37
	s_cbranch_execz .LBB119_1237
.LBB119_1236:
	v_and_b32_e32 v9, 0xffff, v7
	s_delay_alu instid0(VALU_DEP_1) | instskip(SKIP_1) | instid1(VALU_DEP_2)
	v_and_b32_e32 v10, 3, v9
	v_bfe_u32 v13, v9, 2, 5
	v_clz_i32_u32_e32 v11, v10
	s_delay_alu instid0(VALU_DEP_2) | instskip(NEXT) | instid1(VALU_DEP_2)
	v_cmp_eq_u32_e32 vcc_lo, 0, v13
	v_min_u32_e32 v11, 32, v11
	s_delay_alu instid0(VALU_DEP_1) | instskip(NEXT) | instid1(VALU_DEP_1)
	v_subrev_nc_u32_e32 v12, 29, v11
	v_dual_lshlrev_b32 v9, v12, v9 :: v_dual_sub_nc_u32 v11, 30, v11
	s_delay_alu instid0(VALU_DEP_1) | instskip(NEXT) | instid1(VALU_DEP_1)
	v_dual_lshlrev_b32 v7, 24, v7 :: v_dual_bitop2_b32 v9, 3, v9 bitop3:0x40
	v_dual_cndmask_b32 v9, v10, v9, vcc_lo :: v_dual_cndmask_b32 v11, v13, v11, vcc_lo
	s_delay_alu instid0(VALU_DEP_2) | instskip(NEXT) | instid1(VALU_DEP_2)
	v_and_b32_e32 v7, 0x80000000, v7
	v_lshlrev_b32_e32 v9, 21, v9
	s_delay_alu instid0(VALU_DEP_3) | instskip(NEXT) | instid1(VALU_DEP_1)
	v_lshl_add_u32 v10, v11, 23, 0x37800000
	v_or3_b32 v7, v7, v10, v9
	s_delay_alu instid0(VALU_DEP_1)
	v_cvt_i32_f32_e32 v10, v7
.LBB119_1237:
	s_or_b32 exec_lo, exec_lo, s36
	s_mov_b32 s36, 0
	s_branch .LBB119_1243
.LBB119_1238:
	s_mov_b32 s36, -1
                                        ; implicit-def: $vgpr10
	s_branch .LBB119_1249
.LBB119_1239:
	s_and_not1_saveexec_b32 s36, s36
	s_cbranch_execz .LBB119_1224
.LBB119_1240:
	v_cmp_ne_u16_e32 vcc_lo, 0, v7
	s_and_not1_b32 s4, s37, exec_lo
	s_and_b32 s5, vcc_lo, exec_lo
	s_delay_alu instid0(SALU_CYCLE_1)
	s_or_b32 s37, s4, s5
	s_or_b32 exec_lo, exec_lo, s36
	v_mov_b32_e32 v10, 0
	s_and_saveexec_b32 s36, s37
	s_cbranch_execnz .LBB119_1225
	s_branch .LBB119_1226
.LBB119_1241:
	s_mov_b32 s36, -1
                                        ; implicit-def: $vgpr10
	s_branch .LBB119_1246
.LBB119_1242:
	s_mov_b32 s36, -1
                                        ; implicit-def: $vgpr10
.LBB119_1243:
	s_delay_alu instid0(SALU_CYCLE_1)
	s_and_b32 vcc_lo, exec_lo, s36
	s_cbranch_vccz .LBB119_1245
; %bb.1244:
	global_load_u8 v7, v[4:5], off
	s_wait_loadcnt 0x0
	v_lshlrev_b32_e32 v7, 24, v7
	s_delay_alu instid0(VALU_DEP_1) | instskip(NEXT) | instid1(VALU_DEP_1)
	v_and_b32_e32 v9, 0x7f000000, v7
	v_clz_i32_u32_e32 v10, v9
	v_cmp_ne_u32_e32 vcc_lo, 0, v9
	v_add_nc_u32_e32 v12, 0x1000000, v9
	s_delay_alu instid0(VALU_DEP_3) | instskip(NEXT) | instid1(VALU_DEP_1)
	v_min_u32_e32 v10, 32, v10
	v_sub_nc_u32_e64 v10, v10, 4 clamp
	s_delay_alu instid0(VALU_DEP_1) | instskip(NEXT) | instid1(VALU_DEP_1)
	v_dual_lshlrev_b32 v11, v10, v9 :: v_dual_lshlrev_b32 v10, 23, v10
	v_lshrrev_b32_e32 v11, 4, v11
	s_delay_alu instid0(VALU_DEP_1) | instskip(NEXT) | instid1(VALU_DEP_1)
	v_dual_sub_nc_u32 v10, v11, v10 :: v_dual_ashrrev_i32 v11, 8, v12
	v_add_nc_u32_e32 v10, 0x3c000000, v10
	s_delay_alu instid0(VALU_DEP_1) | instskip(NEXT) | instid1(VALU_DEP_1)
	v_and_or_b32 v10, 0x7f800000, v11, v10
	v_cndmask_b32_e32 v9, 0, v10, vcc_lo
	s_delay_alu instid0(VALU_DEP_1) | instskip(NEXT) | instid1(VALU_DEP_1)
	v_and_or_b32 v7, 0x80000000, v7, v9
	v_cvt_i32_f32_e32 v10, v7
.LBB119_1245:
	s_mov_b32 s36, 0
.LBB119_1246:
	s_delay_alu instid0(SALU_CYCLE_1)
	s_and_not1_b32 vcc_lo, exec_lo, s36
	s_cbranch_vccnz .LBB119_1248
; %bb.1247:
	global_load_u8 v7, v[4:5], off
	s_wait_loadcnt 0x0
	v_lshlrev_b32_e32 v9, 25, v7
	v_lshlrev_b16 v7, 8, v7
	s_delay_alu instid0(VALU_DEP_1) | instskip(NEXT) | instid1(VALU_DEP_3)
	v_and_or_b32 v11, 0x7f00, v7, 0.5
	v_lshrrev_b32_e32 v10, 4, v9
	v_bfe_i32 v7, v7, 0, 16
	s_delay_alu instid0(VALU_DEP_3) | instskip(NEXT) | instid1(VALU_DEP_3)
	v_add_f32_e32 v11, -0.5, v11
	v_or_b32_e32 v10, 0x70000000, v10
	s_delay_alu instid0(VALU_DEP_1) | instskip(SKIP_1) | instid1(VALU_DEP_2)
	v_mul_f32_e32 v10, 0x7800000, v10
	v_cmp_gt_u32_e32 vcc_lo, 0x8000000, v9
	v_cndmask_b32_e32 v9, v10, v11, vcc_lo
	s_delay_alu instid0(VALU_DEP_1) | instskip(NEXT) | instid1(VALU_DEP_1)
	v_and_or_b32 v7, 0x80000000, v7, v9
	v_cvt_i32_f32_e32 v10, v7
.LBB119_1248:
	s_mov_b32 s36, 0
	s_mov_b32 s56, -1
.LBB119_1249:
	s_and_not1_b32 vcc_lo, exec_lo, s36
	s_cbranch_vccnz .LBB119_1262
; %bb.1250:
	s_cmp_gt_i32 s49, 14
	s_cbranch_scc0 .LBB119_1253
; %bb.1251:
	s_cmp_eq_u32 s49, 15
	s_cbranch_scc0 .LBB119_1256
; %bb.1252:
	global_load_u16 v7, v[4:5], off
	s_mov_b32 s56, -1
	s_mov_b32 s74, 0
	s_wait_loadcnt 0x0
	v_lshlrev_b32_e32 v7, 16, v7
	s_delay_alu instid0(VALU_DEP_1)
	v_cvt_i32_f32_e32 v10, v7
	s_branch .LBB119_1257
.LBB119_1253:
	s_mov_b32 s36, -1
                                        ; implicit-def: $vgpr10
	s_branch .LBB119_1258
.LBB119_1254:
	s_and_not1_saveexec_b32 s36, s36
	s_cbranch_execz .LBB119_1235
.LBB119_1255:
	v_cmp_ne_u16_e32 vcc_lo, 0, v7
	s_and_not1_b32 s4, s37, exec_lo
	s_and_b32 s5, vcc_lo, exec_lo
	s_delay_alu instid0(SALU_CYCLE_1)
	s_or_b32 s37, s4, s5
	s_or_b32 exec_lo, exec_lo, s36
	v_mov_b32_e32 v10, 0
	s_and_saveexec_b32 s36, s37
	s_cbranch_execnz .LBB119_1236
	s_branch .LBB119_1237
.LBB119_1256:
	s_mov_b32 s74, -1
                                        ; implicit-def: $vgpr10
.LBB119_1257:
	s_mov_b32 s36, 0
.LBB119_1258:
	s_delay_alu instid0(SALU_CYCLE_1)
	s_and_b32 vcc_lo, exec_lo, s36
	s_cbranch_vccz .LBB119_1262
; %bb.1259:
	s_cmp_eq_u32 s49, 11
	s_cbranch_scc0 .LBB119_1261
; %bb.1260:
	global_load_u8 v7, v[4:5], off
	s_mov_b32 s74, 0
	s_mov_b32 s56, -1
	s_wait_loadcnt 0x0
	v_cmp_ne_u16_e32 vcc_lo, 0, v7
	v_cndmask_b32_e64 v10, 0, 1, vcc_lo
	s_branch .LBB119_1262
.LBB119_1261:
	s_mov_b32 s74, -1
                                        ; implicit-def: $vgpr10
.LBB119_1262:
	s_mov_b32 s36, 0
.LBB119_1263:
	s_delay_alu instid0(SALU_CYCLE_1)
	s_and_b32 vcc_lo, exec_lo, s36
	s_cbranch_vccz .LBB119_1312
; %bb.1264:
	s_and_b32 s0, 0xffff, s0
	s_delay_alu instid0(SALU_CYCLE_1)
	s_cmp_lt_i32 s0, 5
	s_cbranch_scc1 .LBB119_1269
; %bb.1265:
	s_cmp_lt_i32 s0, 8
	s_cbranch_scc1 .LBB119_1270
; %bb.1266:
	;; [unrolled: 3-line block ×3, first 2 shown]
	s_cmp_gt_i32 s0, 9
	s_cbranch_scc0 .LBB119_1272
; %bb.1268:
	s_wait_loadcnt 0x0
	global_load_b64 v[10:11], v[4:5], off
	s_mov_b32 s36, 0
	s_wait_loadcnt 0x0
	v_cvt_i32_f64_e32 v10, v[10:11]
	s_branch .LBB119_1273
.LBB119_1269:
	s_mov_b32 s36, -1
                                        ; implicit-def: $vgpr10
	s_branch .LBB119_1291
.LBB119_1270:
	s_mov_b32 s36, -1
                                        ; implicit-def: $vgpr10
	s_branch .LBB119_1279
.LBB119_1271:
	s_mov_b32 s36, -1
                                        ; implicit-def: $vgpr10
	s_branch .LBB119_1276
.LBB119_1272:
	s_mov_b32 s36, -1
                                        ; implicit-def: $vgpr10
.LBB119_1273:
	s_delay_alu instid0(SALU_CYCLE_1)
	s_and_not1_b32 vcc_lo, exec_lo, s36
	s_cbranch_vccnz .LBB119_1275
; %bb.1274:
	global_load_b32 v7, v[4:5], off
	s_wait_loadcnt 0x0
	v_cvt_i32_f32_e32 v10, v7
.LBB119_1275:
	s_mov_b32 s36, 0
.LBB119_1276:
	s_delay_alu instid0(SALU_CYCLE_1)
	s_and_not1_b32 vcc_lo, exec_lo, s36
	s_cbranch_vccnz .LBB119_1278
; %bb.1277:
	global_load_b32 v7, v[4:5], off
	s_wait_loadcnt 0x0
	v_cvt_f32_f16_e32 v7, v7
	s_delay_alu instid0(VALU_DEP_1)
	v_cvt_i32_f32_e32 v10, v7
.LBB119_1278:
	s_mov_b32 s36, 0
.LBB119_1279:
	s_delay_alu instid0(SALU_CYCLE_1)
	s_and_not1_b32 vcc_lo, exec_lo, s36
	s_cbranch_vccnz .LBB119_1290
; %bb.1280:
	s_cmp_lt_i32 s0, 6
	s_cbranch_scc1 .LBB119_1283
; %bb.1281:
	s_cmp_gt_i32 s0, 6
	s_cbranch_scc0 .LBB119_1284
; %bb.1282:
	s_wait_loadcnt 0x0
	global_load_b64 v[10:11], v[4:5], off
	s_mov_b32 s36, 0
	s_wait_loadcnt 0x0
	v_cvt_i32_f64_e32 v10, v[10:11]
	s_branch .LBB119_1285
.LBB119_1283:
	s_mov_b32 s36, -1
                                        ; implicit-def: $vgpr10
	s_branch .LBB119_1288
.LBB119_1284:
	s_mov_b32 s36, -1
                                        ; implicit-def: $vgpr10
.LBB119_1285:
	s_delay_alu instid0(SALU_CYCLE_1)
	s_and_not1_b32 vcc_lo, exec_lo, s36
	s_cbranch_vccnz .LBB119_1287
; %bb.1286:
	global_load_b32 v7, v[4:5], off
	s_wait_loadcnt 0x0
	v_cvt_i32_f32_e32 v10, v7
.LBB119_1287:
	s_mov_b32 s36, 0
.LBB119_1288:
	s_delay_alu instid0(SALU_CYCLE_1)
	s_and_not1_b32 vcc_lo, exec_lo, s36
	s_cbranch_vccnz .LBB119_1290
; %bb.1289:
	global_load_u16 v7, v[4:5], off
	s_wait_loadcnt 0x0
	v_cvt_f32_f16_e32 v7, v7
	s_delay_alu instid0(VALU_DEP_1)
	v_cvt_i32_f32_e32 v10, v7
.LBB119_1290:
	s_mov_b32 s36, 0
.LBB119_1291:
	s_delay_alu instid0(SALU_CYCLE_1)
	s_and_not1_b32 vcc_lo, exec_lo, s36
	s_cbranch_vccnz .LBB119_1311
; %bb.1292:
	s_cmp_lt_i32 s0, 2
	s_cbranch_scc1 .LBB119_1296
; %bb.1293:
	s_cmp_lt_i32 s0, 3
	s_cbranch_scc1 .LBB119_1297
; %bb.1294:
	s_cmp_gt_i32 s0, 3
	s_cbranch_scc0 .LBB119_1298
; %bb.1295:
	s_wait_loadcnt 0x0
	global_load_b32 v10, v[4:5], off
	s_mov_b32 s36, 0
	s_branch .LBB119_1299
.LBB119_1296:
	s_mov_b32 s36, -1
                                        ; implicit-def: $vgpr10
	s_branch .LBB119_1305
.LBB119_1297:
	s_mov_b32 s36, -1
                                        ; implicit-def: $vgpr10
	s_branch .LBB119_1302
.LBB119_1298:
	s_mov_b32 s36, -1
                                        ; implicit-def: $vgpr10
.LBB119_1299:
	s_delay_alu instid0(SALU_CYCLE_1)
	s_and_not1_b32 vcc_lo, exec_lo, s36
	s_cbranch_vccnz .LBB119_1301
; %bb.1300:
	s_wait_loadcnt 0x0
	global_load_b32 v10, v[4:5], off
.LBB119_1301:
	s_mov_b32 s36, 0
.LBB119_1302:
	s_delay_alu instid0(SALU_CYCLE_1)
	s_and_not1_b32 vcc_lo, exec_lo, s36
	s_cbranch_vccnz .LBB119_1304
; %bb.1303:
	s_wait_loadcnt 0x0
	global_load_i16 v10, v[4:5], off
.LBB119_1304:
	s_mov_b32 s36, 0
.LBB119_1305:
	s_delay_alu instid0(SALU_CYCLE_1)
	s_and_not1_b32 vcc_lo, exec_lo, s36
	s_cbranch_vccnz .LBB119_1311
; %bb.1306:
	s_cmp_gt_i32 s0, 0
	s_mov_b32 s0, 0
	s_cbranch_scc0 .LBB119_1308
; %bb.1307:
	s_wait_loadcnt 0x0
	global_load_i8 v10, v[4:5], off
	s_branch .LBB119_1309
.LBB119_1308:
	s_mov_b32 s0, -1
                                        ; implicit-def: $vgpr10
.LBB119_1309:
	s_delay_alu instid0(SALU_CYCLE_1)
	s_and_not1_b32 vcc_lo, exec_lo, s0
	s_cbranch_vccnz .LBB119_1311
; %bb.1310:
	s_wait_loadcnt 0x0
	global_load_u8 v10, v[4:5], off
.LBB119_1311:
	s_mov_b32 s56, -1
.LBB119_1312:
	s_delay_alu instid0(SALU_CYCLE_1)
	s_and_not1_b32 vcc_lo, exec_lo, s56
	s_cbranch_vccnz .LBB119_1323
; %bb.1313:
	v_cmp_eq_u32_e32 vcc_lo, s79, v1
	s_mov_b32 s0, 0
	s_mov_b32 s39, -1
	s_mov_b32 s49, s84
	s_mov_b32 s38, s69
	s_and_b32 s4, s17, vcc_lo
	s_mov_b32 s37, s68
	s_mov_b32 s36, s45
	s_wait_xcnt 0x0
	s_and_saveexec_b32 s92, s4
	s_cbranch_execz .LBB119_4162
; %bb.1314:
	s_wait_loadcnt 0x0
	v_cmp_eq_u32_e32 vcc_lo, s14, v3
	s_mov_b32 s38, -1
	s_mov_b32 s39, s69
	s_mov_b32 s37, s68
	;; [unrolled: 1-line block ×3, first 2 shown]
	s_and_b32 s4, s51, vcc_lo
	s_delay_alu instid0(SALU_CYCLE_1)
	s_and_saveexec_b32 s93, s4
	s_cbranch_execz .LBB119_3688
; %bb.1315:
	v_sub_nc_u32_e32 v1, v6, v8
	s_mov_b32 s36, 0
	s_mov_b32 s37, -1
	s_mov_b32 s38, s45
	s_delay_alu instid0(VALU_DEP_1) | instskip(SKIP_4) | instid1(SALU_CYCLE_1)
	v_cmp_le_i32_e32 vcc_lo, s79, v1
	v_cmp_ge_i32_e64 s0, s12, v1
	s_and_b32 s4, vcc_lo, s0
	s_mov_b32 s0, s68
	s_and_b32 s4, s78, s4
	s_and_saveexec_b32 s94, s4
	s_cbranch_execz .LBB119_3687
; %bb.1316:
	v_mov_b64_e32 v[4:5], 0
	s_and_not1_b32 vcc_lo, exec_lo, s77
	s_cbranch_vccnz .LBB119_1351
; %bb.1317:
	v_ashrrev_i32_e32 v11, 31, v10
	s_mov_b32 s57, 0
	v_mov_b64_e32 v[4:5], 0
	s_mov_b32 s49, s57
	s_delay_alu instid0(SALU_CYCLE_1)
	s_lshl_b64 s[4:5], s[48:49], 3
	v_mul_u64_e32 v[12:13], s[14:15], v[10:11]
	v_mov_b32_e32 v10, 0
	s_add_nc_u64 s[58:59], s[18:19], s[4:5]
	s_add_nc_u64 s[60:61], s[40:41], s[4:5]
	s_mov_b32 s49, s16
	s_branch .LBB119_1319
.LBB119_1318:                           ;   in Loop: Header=BB119_1319 Depth=1
	s_or_b32 exec_lo, exec_lo, s0
	global_load_b64 v[16:17], v10, s[60:61]
	v_mul_u64_e32 v[18:19], s[62:63], v[14:15]
	s_add_co_i32 s49, s49, -1
	s_add_nc_u64 s[58:59], s[58:59], -8
	s_cmp_lg_u32 s49, 0
	s_wait_xcnt 0x0
	s_add_nc_u64 s[60:61], s[60:61], -8
	s_delay_alu instid0(VALU_DEP_1) | instskip(SKIP_1) | instid1(VALU_DEP_1)
	v_sub_nc_u64_e32 v[12:13], v[12:13], v[18:19]
	s_wait_loadcnt 0x0
	v_mad_nc_u64_u32 v[4:5], v12, v16, v[4:5]
	s_delay_alu instid0(VALU_DEP_1) | instskip(NEXT) | instid1(VALU_DEP_1)
	v_mad_u32 v1, v13, v16, v5
	v_mad_u32 v5, v12, v17, v1
	v_mov_b64_e32 v[12:13], v[14:15]
	s_cbranch_scc0 .LBB119_1351
.LBB119_1319:                           ; =>This Inner Loop Header: Depth=1
	global_load_b64 v[14:15], v10, s[58:59]
	s_mov_b32 s0, exec_lo
	s_wait_loadcnt 0x0
	v_or_b32_e32 v11, v13, v15
	v_readfirstlane_b32 s62, v14
	v_readfirstlane_b32 s63, v15
                                        ; implicit-def: $vgpr14_vgpr15
	s_wait_xcnt 0x0
	s_delay_alu instid0(VALU_DEP_3)
	v_cmpx_ne_u64_e32 0, v[10:11]
	s_xor_b32 s95, exec_lo, s0
	s_cbranch_execz .LBB119_1321
; %bb.1320:                             ;   in Loop: Header=BB119_1319 Depth=1
	s_ashr_i32 s64, s63, 31
	v_dual_mov_b32 v19, v10 :: v_dual_ashrrev_i32 v14, 31, v13
	s_mov_b32 s65, s64
	s_delay_alu instid0(SALU_CYCLE_1) | instskip(NEXT) | instid1(VALU_DEP_1)
	s_add_nc_u64 s[4:5], s[62:63], s[64:65]
	v_mov_b32_e32 v15, v14
	s_xor_b64 s[66:67], s[4:5], s[64:65]
	s_delay_alu instid0(SALU_CYCLE_1)
	s_cvt_f32_u32 s0, s66
	s_cvt_f32_u32 s4, s67
	s_sub_nc_u64 s[6:7], 0, s[66:67]
	v_add_nc_u64_e32 v[16:17], v[12:13], v[14:15]
	v_mov_b32_e32 v21, v10
	s_fmamk_f32 s0, s4, 0x4f800000, s0
	s_delay_alu instid0(SALU_CYCLE_3) | instskip(NEXT) | instid1(VALU_DEP_2)
	v_s_rcp_f32 s0, s0
	v_xor_b32_e32 v18, v16, v14
	s_delay_alu instid0(VALU_DEP_3) | instskip(SKIP_1) | instid1(TRANS32_DEP_1)
	v_dual_mov_b32 v27, v10 :: v_dual_bitop2_b32 v20, v17, v14 bitop3:0x14
	v_xor_b32_e32 v14, s64, v14
	s_mul_f32 s0, s0, 0x5f7ffffc
	s_delay_alu instid0(SALU_CYCLE_3) | instskip(NEXT) | instid1(SALU_CYCLE_3)
	s_mul_f32 s4, s0, 0x2f800000
	s_trunc_f32 s4, s4
	s_delay_alu instid0(SALU_CYCLE_3) | instskip(SKIP_1) | instid1(SALU_CYCLE_2)
	s_fmamk_f32 s0, s4, 0xcf800000, s0
	s_cvt_u32_f32 s5, s4
	s_cvt_u32_f32 s4, s0
	s_delay_alu instid0(SALU_CYCLE_3) | instskip(NEXT) | instid1(SALU_CYCLE_1)
	s_mul_u64 s[8:9], s[6:7], s[4:5]
	s_mul_hi_u32 s11, s4, s9
	s_mul_i32 s10, s4, s9
	s_mul_hi_u32 s56, s4, s8
	s_mul_i32 s36, s5, s8
	s_add_nc_u64 s[10:11], s[56:57], s[10:11]
	s_mul_hi_u32 s0, s5, s8
	s_mul_hi_u32 s37, s5, s9
	s_mul_i32 s8, s5, s9
	s_add_co_u32 s9, s10, s36
	s_add_co_ci_u32 s56, s11, s0
	s_add_co_ci_u32 s9, s37, 0
	s_delay_alu instid0(SALU_CYCLE_1) | instskip(NEXT) | instid1(SALU_CYCLE_1)
	s_add_nc_u64 s[8:9], s[56:57], s[8:9]
	s_add_co_u32 s4, s4, s8
	s_cselect_b32 s0, -1, 0
	s_delay_alu instid0(SALU_CYCLE_1) | instskip(SKIP_1) | instid1(SALU_CYCLE_1)
	s_cmp_lg_u32 s0, 0
	s_add_co_ci_u32 s5, s5, s9
	s_mul_u64 s[6:7], s[6:7], s[4:5]
	s_delay_alu instid0(SALU_CYCLE_1)
	s_mul_hi_u32 s9, s4, s7
	s_mul_i32 s8, s4, s7
	s_mul_hi_u32 s56, s4, s6
	s_mul_i32 s10, s5, s6
	s_add_nc_u64 s[8:9], s[56:57], s[8:9]
	s_mul_hi_u32 s0, s5, s6
	s_mul_hi_u32 s11, s5, s7
	s_mul_i32 s6, s5, s7
	s_add_co_u32 s7, s8, s10
	s_add_co_ci_u32 s56, s9, s0
	s_add_co_ci_u32 s7, s11, 0
	s_delay_alu instid0(SALU_CYCLE_1) | instskip(NEXT) | instid1(SALU_CYCLE_1)
	s_add_nc_u64 s[6:7], s[56:57], s[6:7]
	s_add_co_u32 s0, s4, s6
	s_cselect_b32 s4, -1, 0
	v_mul_hi_u32 v26, v18, s0
	s_cmp_lg_u32 s4, 0
	s_add_co_ci_u32 s56, s5, s7
	s_mov_b64 s[4:5], 0xffffffff
	v_mul_u64_e32 v[22:23], s[56:57], v[18:19]
	s_and_b64 s[4:5], s[0:1], s[4:5]
	v_mul_u64_e32 v[24:25], s[56:57], v[20:21]
	v_mul_u64_e32 v[16:17], s[4:5], v[20:21]
	s_delay_alu instid0(VALU_DEP_3) | instskip(NEXT) | instid1(VALU_DEP_1)
	v_add_nc_u64_e32 v[22:23], v[26:27], v[22:23]
	v_add_co_u32 v1, vcc_lo, v22, v16
	s_delay_alu instid0(VALU_DEP_2) | instskip(SKIP_1) | instid1(VALU_DEP_1)
	v_add_co_ci_u32_e32 v26, vcc_lo, v23, v17, vcc_lo
	v_add_co_ci_u32_e32 v25, vcc_lo, 0, v25, vcc_lo
	v_add_nc_u64_e32 v[16:17], v[26:27], v[24:25]
	s_delay_alu instid0(VALU_DEP_1) | instskip(NEXT) | instid1(VALU_DEP_1)
	v_mul_u64_e32 v[22:23], s[66:67], v[16:17]
	v_sub_nc_u32_e32 v1, v20, v23
	s_delay_alu instid0(VALU_DEP_2) | instskip(NEXT) | instid1(VALU_DEP_1)
	v_sub_co_u32 v3, vcc_lo, v18, v22
	v_sub_co_ci_u32_e64 v9, null, v20, v23, vcc_lo
	s_delay_alu instid0(VALU_DEP_3) | instskip(NEXT) | instid1(VALU_DEP_3)
	v_subrev_co_ci_u32_e64 v1, null, s67, v1, vcc_lo
	v_sub_co_u32 v7, s0, v3, s66
	v_add_nc_u64_e32 v[18:19], 2, v[16:17]
	s_delay_alu instid0(VALU_DEP_3) | instskip(NEXT) | instid1(VALU_DEP_3)
	v_subrev_co_ci_u32_e64 v1, null, 0, v1, s0
	v_cmp_le_u32_e32 vcc_lo, s66, v7
	v_add_nc_u64_e32 v[20:21], 1, v[16:17]
	v_cndmask_b32_e64 v7, 0, -1, vcc_lo
	s_delay_alu instid0(VALU_DEP_4)
	v_cmp_le_u32_e32 vcc_lo, s67, v1
	v_cndmask_b32_e64 v11, 0, -1, vcc_lo
	v_cmp_le_u32_e32 vcc_lo, s66, v3
	v_cndmask_b32_e64 v3, 0, -1, vcc_lo
	;; [unrolled: 2-line block ×3, first 2 shown]
	v_cmp_eq_u32_e32 vcc_lo, s67, v1
	v_cndmask_b32_e32 v1, v11, v7, vcc_lo
	v_cmp_eq_u32_e32 vcc_lo, s67, v9
	s_delay_alu instid0(VALU_DEP_4) | instskip(NEXT) | instid1(VALU_DEP_3)
	v_cndmask_b32_e32 v3, v15, v3, vcc_lo
	v_cmp_ne_u32_e32 vcc_lo, 0, v1
	v_mov_b32_e32 v15, v14
	s_delay_alu instid0(VALU_DEP_3) | instskip(SKIP_1) | instid1(VALU_DEP_1)
	v_cmp_ne_u32_e64 s0, 0, v3
	v_dual_cndmask_b32 v1, v21, v19, vcc_lo :: v_dual_cndmask_b32 v3, v20, v18, vcc_lo
	v_dual_cndmask_b32 v1, v17, v1, s0 :: v_dual_cndmask_b32 v3, v16, v3, s0
	s_delay_alu instid0(VALU_DEP_1) | instskip(NEXT) | instid1(VALU_DEP_2)
	v_xor_b32_e32 v17, v1, v14
	v_xor_b32_e32 v16, v3, v14
	s_delay_alu instid0(VALU_DEP_1)
	v_sub_nc_u64_e32 v[14:15], v[16:17], v[14:15]
.LBB119_1321:                           ;   in Loop: Header=BB119_1319 Depth=1
	s_and_not1_saveexec_b32 s0, s95
	s_cbranch_execz .LBB119_1318
; %bb.1322:                             ;   in Loop: Header=BB119_1319 Depth=1
	v_cvt_f32_u32_e32 v1, s62
	s_sub_co_i32 s4, 0, s62
	v_mov_b32_e32 v15, v10
	s_delay_alu instid0(VALU_DEP_2) | instskip(SKIP_1) | instid1(TRANS32_DEP_1)
	v_rcp_iflag_f32_e32 v1, v1
	v_nop
	v_mul_f32_e32 v1, 0x4f7ffffe, v1
	s_delay_alu instid0(VALU_DEP_1) | instskip(NEXT) | instid1(VALU_DEP_1)
	v_cvt_u32_f32_e32 v1, v1
	v_mul_lo_u32 v3, s4, v1
	s_delay_alu instid0(VALU_DEP_1) | instskip(NEXT) | instid1(VALU_DEP_1)
	v_mul_hi_u32 v3, v1, v3
	v_add_nc_u32_e32 v1, v1, v3
	s_delay_alu instid0(VALU_DEP_1) | instskip(NEXT) | instid1(VALU_DEP_1)
	v_mul_hi_u32 v1, v12, v1
	v_mul_lo_u32 v3, v1, s62
	s_delay_alu instid0(VALU_DEP_1) | instskip(NEXT) | instid1(VALU_DEP_1)
	v_dual_add_nc_u32 v7, 1, v1 :: v_dual_sub_nc_u32 v3, v12, v3
	v_subrev_nc_u32_e32 v9, s62, v3
	v_cmp_le_u32_e32 vcc_lo, s62, v3
	s_delay_alu instid0(VALU_DEP_2) | instskip(NEXT) | instid1(VALU_DEP_1)
	v_dual_cndmask_b32 v3, v3, v9, vcc_lo :: v_dual_cndmask_b32 v1, v1, v7, vcc_lo
	v_cmp_le_u32_e32 vcc_lo, s62, v3
	s_delay_alu instid0(VALU_DEP_2) | instskip(NEXT) | instid1(VALU_DEP_1)
	v_add_nc_u32_e32 v7, 1, v1
	v_cndmask_b32_e32 v14, v1, v7, vcc_lo
	s_branch .LBB119_1318
.LBB119_1323:
	s_mov_b32 s0, 0
	s_mov_b32 s36, s45
	;; [unrolled: 1-line block ×6, first 2 shown]
.LBB119_1324:
                                        ; implicit-def: $vgpr0
.LBB119_1325:
	s_and_not1_b32 s4, s45, exec_lo
	s_and_b32 s5, s36, exec_lo
	s_and_not1_b32 s6, s68, exec_lo
	s_and_b32 s7, s37, exec_lo
	s_or_b32 s99, s4, s5
	s_or_b32 s100, s6, s7
	s_and_not1_b32 s4, s69, exec_lo
	s_and_b32 s5, s38, exec_lo
	s_and_not1_b32 s6, s84, exec_lo
	s_and_b32 s7, s49, exec_lo
	s_or_b32 s101, s4, s5
	s_or_b32 s97, s6, s7
	;; [unrolled: 6-line block ×5, first 2 shown]
	s_or_not1_b32 s28, s0, exec_lo
.LBB119_1326:
	s_wait_xcnt 0x0
	s_or_b32 exec_lo, exec_lo, s104
	s_mov_b32 s29, 0
	s_mov_b32 s30, 0
	;; [unrolled: 1-line block ×3, first 2 shown]
                                        ; implicit-def: $sgpr0
                                        ; implicit-def: $vgpr12_vgpr13
                                        ; implicit-def: $vgpr2
                                        ; implicit-def: $vgpr8
                                        ; implicit-def: $vgpr10
                                        ; implicit-def: $vgpr4
                                        ; implicit-def: $vgpr6
                                        ; implicit-def: $vgpr3
	s_and_saveexec_b32 s104, s28
	s_cbranch_execz .LBB119_2191
; %bb.1327:
	s_mov_b32 s39, -1
	s_mov_b32 s28, s92
	s_mov_b32 s29, s94
	;; [unrolled: 1-line block ×10, first 2 shown]
	s_mov_b32 vcc_hi, exec_lo
	v_cmpx_gt_i32_e64 s82, v0
	s_cbranch_execz .LBB119_2086
; %bb.1328:
	s_and_not1_b32 vcc_lo, exec_lo, s72
	s_cbranch_vccnz .LBB119_1334
; %bb.1329:
	s_and_not1_b32 vcc_lo, exec_lo, s83
	s_cbranch_vccnz .LBB119_1335
; %bb.1330:
	s_wait_loadcnt 0x0
	v_dual_mov_b32 v6, 0 :: v_dual_mov_b32 v1, v0
	v_dual_mov_b32 v4, 0 :: v_dual_mov_b32 v10, 0
	;; [unrolled: 1-line block ×3, first 2 shown]
	v_mov_b32_e32 v12, 0
	s_add_co_i32 s0, s81, 1
	s_mov_b64 s[4:5], 0xffffffffffffffd0
	s_and_b32 s0, s0, 30
	s_add_nc_u64 s[56:57], s[2:3], s[4:5]
	s_mov_b64 s[58:59], s[2:3]
.LBB119_1331:                           ; =>This Inner Loop Header: Depth=1
	s_clause 0x1
	s_load_b128 s[28:31], s[58:59], 0x4
	s_load_b64 s[4:5], s[58:59], 0x14
	s_clause 0x1
	s_load_b256 s[60:67], s[56:57], 0xf4
	s_load_b128 s[36:39], s[56:57], 0x114
	s_add_co_i32 s0, s0, -2
	s_wait_xcnt 0x0
	s_add_nc_u64 s[58:59], s[58:59], 24
	s_cmp_eq_u32 s0, 0
	s_add_nc_u64 s[56:57], s[56:57], 48
	s_wait_kmcnt 0x0
	v_mul_hi_u32 v3, s29, v1
	s_delay_alu instid0(VALU_DEP_1) | instskip(NEXT) | instid1(VALU_DEP_1)
	v_add_nc_u32_e32 v3, v1, v3
	v_lshrrev_b32_e32 v3, s30, v3
	s_delay_alu instid0(VALU_DEP_1) | instskip(SKIP_1) | instid1(VALU_DEP_1)
	v_mul_hi_u32 v5, s4, v3
	v_mul_lo_u32 v7, v3, s28
	v_dual_add_nc_u32 v5, v3, v5 :: v_dual_sub_nc_u32 v7, v1, v7
	s_delay_alu instid0(VALU_DEP_1) | instskip(NEXT) | instid1(VALU_DEP_2)
	v_lshrrev_b32_e32 v1, s5, v5
	v_mad_u32 v5, v7, s61, v12
	v_mad_u32 v2, v7, s60, v2
	;; [unrolled: 1-line block ×4, first 2 shown]
	v_mul_lo_u32 v9, v1, s31
	v_mad_u32 v4, s65, v7, v4
	v_mad_u32 v6, s64, v7, v6
	s_delay_alu instid0(VALU_DEP_3) | instskip(NEXT) | instid1(VALU_DEP_1)
	v_sub_nc_u32_e32 v3, v3, v9
	v_mad_u32 v12, v3, s67, v5
	v_mad_u32 v2, v3, s66, v2
	;; [unrolled: 1-line block ×6, first 2 shown]
	s_cbranch_scc0 .LBB119_1331
; %bb.1332:
	s_bitcmp1_b32 s81, 0
	s_cselect_b32 s0, -1, 0
	s_delay_alu instid0(SALU_CYCLE_1)
	s_and_b32 vcc_lo, exec_lo, s0
	s_cbranch_vccnz .LBB119_1336
; %bb.1333:
	s_load_b96 s[4:6], s[58:59], 0x4
	s_wait_kmcnt 0x0
	v_mul_hi_u32 v3, s5, v1
	s_delay_alu instid0(VALU_DEP_1) | instskip(NEXT) | instid1(VALU_DEP_1)
	v_add_nc_u32_e32 v3, v1, v3
	v_lshrrev_b32_e32 v3, s6, v3
	s_clause 0x1
	s_load_b128 s[28:31], s[56:57], 0xf4
	s_load_b64 s[6:7], s[56:57], 0x104
	s_delay_alu instid0(VALU_DEP_1) | instskip(NEXT) | instid1(VALU_DEP_1)
	v_mul_lo_u32 v3, v3, s4
	v_sub_nc_u32_e32 v1, v1, v3
	s_wait_kmcnt 0x0
	s_delay_alu instid0(VALU_DEP_1)
	v_mad_u32 v2, v1, s28, v2
	v_mad_u32 v12, v1, s29, v12
	v_mad_u32 v10, v1, s30, v10
	v_mad_u32 v8, v1, s31, v8
	v_mad_u32 v6, s6, v1, v6
	v_mad_u32 v4, s7, v1, v4
	s_branch .LBB119_1336
.LBB119_1334:
	s_mov_b32 s0, -1
                                        ; implicit-def: $vgpr12
                                        ; implicit-def: $vgpr2
                                        ; implicit-def: $vgpr8
                                        ; implicit-def: $vgpr10
                                        ; implicit-def: $vgpr4
                                        ; implicit-def: $vgpr6
	s_branch .LBB119_1337
.LBB119_1335:
	v_dual_mov_b32 v12, 0 :: v_dual_mov_b32 v2, 0
	s_wait_loadcnt 0x0
	v_dual_mov_b32 v8, 0 :: v_dual_mov_b32 v10, 0
	v_dual_mov_b32 v4, 0 :: v_dual_mov_b32 v6, 0
.LBB119_1336:
	s_mov_b32 s0, 0
.LBB119_1337:
	s_delay_alu instid0(SALU_CYCLE_1)
	s_and_not1_b32 vcc_lo, exec_lo, s0
	s_cbranch_vccnz .LBB119_1340
; %bb.1338:
	s_wait_loadcnt 0x0
	v_mov_b32_e32 v1, 0
	s_mov_b64 s[6:7], s[22:23]
	s_load_b256 s[24:31], s[2:3], 0xc4
	s_mov_b32 s4, s20
	s_and_not1_b32 vcc_lo, exec_lo, s44
	v_mul_u64_e32 v[2:3], s[52:53], v[0:1]
	s_delay_alu instid0(VALU_DEP_1) | instskip(NEXT) | instid1(VALU_DEP_1)
	v_add_nc_u32_e32 v2, v0, v3
	v_lshrrev_b32_e32 v14, s6, v2
	s_delay_alu instid0(VALU_DEP_1) | instskip(NEXT) | instid1(VALU_DEP_1)
	v_mul_lo_u32 v2, v14, s4
	v_sub_nc_u32_e32 v3, v0, v2
	s_wait_kmcnt 0x0
	s_delay_alu instid0(VALU_DEP_1)
	v_mul_lo_u32 v12, v3, s25
	v_mul_lo_u32 v2, v3, s24
	;; [unrolled: 1-line block ×6, first 2 shown]
	s_cbranch_vccnz .LBB119_1340
; %bb.1339:
	v_mov_b32_e32 v15, v1
	s_delay_alu instid0(VALU_DEP_1) | instskip(NEXT) | instid1(VALU_DEP_1)
	v_mul_u64_e32 v[16:17], s[54:55], v[14:15]
	v_add_nc_u32_e32 v1, v14, v17
	s_delay_alu instid0(VALU_DEP_1) | instskip(NEXT) | instid1(VALU_DEP_1)
	v_lshrrev_b32_e32 v1, s47, v1
	v_mul_lo_u32 v1, v1, s7
	s_load_b128 s[4:7], s[2:3], 0xe4
	s_delay_alu instid0(VALU_DEP_1) | instskip(NEXT) | instid1(VALU_DEP_1)
	v_sub_nc_u32_e32 v1, v14, v1
	v_mad_u32 v2, v1, s30, v2
	v_mad_u32 v12, v1, s31, v12
	s_wait_kmcnt 0x0
	v_mad_u32 v10, v1, s4, v10
	v_mad_u32 v8, v1, s5, v8
	;; [unrolled: 1-line block ×4, first 2 shown]
.LBB119_1340:
	s_load_b256 s[4:11], s[2:3], 0x248
	v_mov_b32_e32 v13, 0
	s_and_b32 s0, s1, 0xff
	s_delay_alu instid0(SALU_CYCLE_1) | instskip(SKIP_1) | instid1(VALU_DEP_1)
	s_cmp_lt_i32 s0, 11
	s_wait_kmcnt 0x0
	v_add_nc_u64_e32 v[12:13], s[6:7], v[12:13]
	s_cbranch_scc1 .LBB119_1347
; %bb.1341:
	s_and_b32 s29, 0xffff, s0
	s_delay_alu instid0(SALU_CYCLE_1)
	s_cmp_gt_i32 s29, 25
	s_cbranch_scc0 .LBB119_1348
; %bb.1342:
	s_cmp_gt_i32 s29, 28
	s_cbranch_scc0 .LBB119_1349
; %bb.1343:
	;; [unrolled: 3-line block ×4, first 2 shown]
	s_cmp_eq_u32 s29, 46
	s_mov_b32 s31, 0
	s_cbranch_scc0 .LBB119_1366
; %bb.1346:
	s_wait_loadcnt 0x0
	global_load_b32 v1, v[12:13], off
	s_mov_b32 s30, -1
	s_mov_b32 s28, 0
	s_wait_loadcnt 0x0
	v_lshlrev_b32_e32 v1, 16, v1
	s_delay_alu instid0(VALU_DEP_1)
	v_cvt_i32_f32_e32 v1, v1
	s_branch .LBB119_1368
.LBB119_1347:
	s_mov_b32 s29, -1
	s_mov_b32 s30, 0
	s_mov_b32 s28, s92
                                        ; implicit-def: $vgpr1
	s_branch .LBB119_1429
.LBB119_1348:
	s_mov_b32 s31, -1
	s_mov_b32 s30, 0
	s_mov_b32 s28, s92
                                        ; implicit-def: $vgpr1
	s_branch .LBB119_1395
.LBB119_1349:
	s_mov_b32 s31, -1
	s_mov_b32 s30, 0
	s_mov_b32 s28, s92
                                        ; implicit-def: $vgpr1
	s_branch .LBB119_1378
.LBB119_1350:
	s_mov_b32 s31, -1
	s_mov_b32 s30, 0
	s_mov_b32 s28, s92
                                        ; implicit-def: $vgpr1
	s_branch .LBB119_1373
.LBB119_1351:
	s_mov_b32 s38, -1
	s_mov_b32 s0, s68
	s_mov_b32 s36, exec_lo
	v_cmpx_gt_i32_e64 v6, v8
	s_cbranch_execz .LBB119_1358
; %bb.1352:
	s_delay_alu instid0(VALU_DEP_2) | instskip(SKIP_3) | instid1(VALU_DEP_1)
	v_lshlrev_b64_e32 v[4:5], 2, v[4:5]
	v_dual_ashrrev_i32 v9, 31, v8 :: v_dual_ashrrev_i32 v7, 31, v6
	s_mov_b32 s0, 0
	s_xor_b32 s38, s76, -1
                                        ; implicit-def: $sgpr37
                                        ; implicit-def: $sgpr49
                                        ; implicit-def: $sgpr39
	v_lshl_add_u64 v[8:9], v[8:9], 2, v[4:5]
	v_add_nc_u64_e32 v[10:11], s[42:43], v[4:5]
	s_delay_alu instid0(VALU_DEP_2) | instskip(NEXT) | instid1(VALU_DEP_2)
	v_add_nc_u64_e32 v[8:9], s[42:43], v[8:9]
	v_lshl_add_u64 v[6:7], v[6:7], 2, v[10:11]
	s_delay_alu instid0(VALU_DEP_2)
	v_add_nc_u64_e32 v[4:5], 4, v[8:9]
	s_branch .LBB119_1354
.LBB119_1353:                           ;   in Loop: Header=BB119_1354 Depth=1
	s_or_b32 exec_lo, exec_lo, s56
	s_delay_alu instid0(SALU_CYCLE_1) | instskip(NEXT) | instid1(SALU_CYCLE_1)
	s_and_b32 s4, exec_lo, s49
	s_or_b32 s0, s4, s0
	s_and_not1_b32 s4, s37, exec_lo
	s_and_b32 s5, s39, exec_lo
	s_delay_alu instid0(SALU_CYCLE_1)
	s_or_b32 s37, s4, s5
	s_and_not1_b32 exec_lo, exec_lo, s0
	s_cbranch_execz .LBB119_1357
.LBB119_1354:                           ; =>This Inner Loop Header: Depth=1
	s_or_b32 s39, s39, exec_lo
	s_or_b32 s49, s49, exec_lo
	s_mov_b32 s56, exec_lo
	s_delay_alu instid0(VALU_DEP_1)
	v_cmpx_lt_u64_e64 v[4:5], v[6:7]
	s_cbranch_execz .LBB119_1353
; %bb.1355:                             ;   in Loop: Header=BB119_1354 Depth=1
	global_load_b64 v[8:9], v[4:5], off offset:-4
	s_wait_xcnt 0x0
	v_add_nc_u64_e32 v[4:5], 4, v[4:5]
	s_and_not1_b32 s5, s49, exec_lo
	s_and_not1_b32 s39, s39, exec_lo
	s_wait_loadcnt 0x0
	v_cmp_ge_i32_e32 vcc_lo, v8, v9
	s_or_b32 s4, s38, vcc_lo
	s_delay_alu instid0(SALU_CYCLE_1) | instskip(NEXT) | instid1(SALU_CYCLE_1)
	s_and_b32 s4, s4, exec_lo
	s_or_b32 s49, s5, s4
	s_branch .LBB119_1353
.LBB119_1356:
	s_mov_b32 s31, -1
	s_mov_b32 s30, 0
	s_mov_b32 s28, s92
	s_branch .LBB119_1367
.LBB119_1357:
	s_or_b32 exec_lo, exec_lo, s0
	s_delay_alu instid0(SALU_CYCLE_1)
	s_or_b32 s0, s68, exec_lo
	s_or_not1_b32 s38, s37, exec_lo
.LBB119_1358:
	s_or_b32 exec_lo, exec_lo, s36
	s_mov_b32 s36, 0
	s_mov_b32 s37, s45
	s_and_saveexec_b32 s49, s38
	s_cbranch_execz .LBB119_3686
; %bb.1359:
	s_load_b256 s[4:11], s[2:3], 0x248
	v_mov_b32_e32 v3, 0
	s_and_b32 s57, s34, 0xff
	s_delay_alu instid0(SALU_CYCLE_1) | instskip(SKIP_1) | instid1(VALU_DEP_1)
	s_cmp_lt_i32 s57, 11
	s_wait_kmcnt 0x0
	v_add_nc_u64_e32 v[2:3], s[4:5], v[2:3]
	s_cbranch_scc1 .LBB119_1492
; %bb.1360:
	s_and_b32 s58, 0xffff, s57
	s_delay_alu instid0(SALU_CYCLE_1)
	s_cmp_gt_i32 s58, 25
	s_cbranch_scc0 .LBB119_1619
; %bb.1361:
	s_cmp_gt_i32 s58, 28
	s_cbranch_scc0 .LBB119_1746
; %bb.1362:
	;; [unrolled: 3-line block ×4, first 2 shown]
	s_mov_b32 s56, -1
	s_cmp_eq_u32 s58, 46
	s_mov_b32 s59, 0
	s_cbranch_scc0 .LBB119_3604
; %bb.1365:
	v_mov_b32_e32 v1, 0
	s_mov_b32 s59, -1
	s_mov_b32 s56, 0
	global_store_b32 v[2:3], v1, off
	s_branch .LBB119_3604
.LBB119_1366:
	s_mov_b32 s28, -1
	s_mov_b32 s30, 0
.LBB119_1367:
                                        ; implicit-def: $vgpr1
.LBB119_1368:
	s_and_b32 vcc_lo, exec_lo, s31
	s_cbranch_vccz .LBB119_1372
; %bb.1369:
	s_cmp_eq_u32 s29, 44
	s_cbranch_scc0 .LBB119_1371
; %bb.1370:
	s_wait_loadcnt 0x0
	global_load_u8 v1, v[12:13], off
	s_mov_b32 s28, 0
	s_mov_b32 s30, -1
	s_wait_loadcnt 0x0
	v_lshlrev_b32_e32 v3, 23, v1
	v_cmp_ne_u32_e32 vcc_lo, 0, v1
	s_delay_alu instid0(VALU_DEP_2) | instskip(NEXT) | instid1(VALU_DEP_1)
	v_cvt_i32_f32_e32 v3, v3
	v_cndmask_b32_e32 v1, 0, v3, vcc_lo
	s_branch .LBB119_1372
.LBB119_1371:
	s_mov_b32 s28, -1
                                        ; implicit-def: $vgpr1
.LBB119_1372:
	s_mov_b32 s31, 0
.LBB119_1373:
	s_delay_alu instid0(SALU_CYCLE_1)
	s_and_b32 vcc_lo, exec_lo, s31
	s_cbranch_vccz .LBB119_1377
; %bb.1374:
	s_cmp_eq_u32 s29, 29
	s_cbranch_scc0 .LBB119_1376
; %bb.1375:
	s_wait_loadcnt 0x0
	global_load_b32 v1, v[12:13], off
	s_mov_b32 s30, -1
	s_mov_b32 s28, 0
	s_branch .LBB119_1377
.LBB119_1376:
	s_mov_b32 s28, -1
                                        ; implicit-def: $vgpr1
.LBB119_1377:
	s_mov_b32 s31, 0
.LBB119_1378:
	s_delay_alu instid0(SALU_CYCLE_1)
	s_and_b32 vcc_lo, exec_lo, s31
	s_cbranch_vccz .LBB119_1394
; %bb.1379:
	s_cmp_lt_i32 s29, 27
	s_cbranch_scc1 .LBB119_1382
; %bb.1380:
	s_cmp_gt_i32 s29, 27
	s_cbranch_scc0 .LBB119_1383
; %bb.1381:
	s_wait_loadcnt 0x0
	global_load_b32 v1, v[12:13], off
	s_mov_b32 s30, 0
	s_branch .LBB119_1384
.LBB119_1382:
	s_mov_b32 s30, -1
                                        ; implicit-def: $vgpr1
	s_branch .LBB119_1387
.LBB119_1383:
	s_mov_b32 s30, -1
                                        ; implicit-def: $vgpr1
.LBB119_1384:
	s_delay_alu instid0(SALU_CYCLE_1)
	s_and_not1_b32 vcc_lo, exec_lo, s30
	s_cbranch_vccnz .LBB119_1386
; %bb.1385:
	s_wait_loadcnt 0x0
	global_load_u16 v1, v[12:13], off
.LBB119_1386:
	s_mov_b32 s30, 0
.LBB119_1387:
	s_delay_alu instid0(SALU_CYCLE_1)
	s_and_not1_b32 vcc_lo, exec_lo, s30
	s_cbranch_vccnz .LBB119_1393
; %bb.1388:
	s_wait_loadcnt 0x0
	global_load_u8 v3, v[12:13], off
	s_mov_b32 s31, 0
	s_mov_b32 s4, exec_lo
	s_wait_loadcnt 0x0
	v_cmpx_lt_i16_e32 0x7f, v3
	s_xor_b32 s30, exec_lo, s4
	s_cbranch_execz .LBB119_1405
; %bb.1389:
	v_cmp_ne_u16_e32 vcc_lo, 0x80, v3
	s_and_b32 s31, vcc_lo, exec_lo
	s_and_not1_saveexec_b32 s30, s30
	s_cbranch_execnz .LBB119_1406
.LBB119_1390:
	s_or_b32 exec_lo, exec_lo, s30
	v_mov_b32_e32 v1, 0
	s_and_saveexec_b32 s30, s31
	s_cbranch_execz .LBB119_1392
.LBB119_1391:
	v_and_b32_e32 v1, 0xffff, v3
	s_delay_alu instid0(VALU_DEP_1) | instskip(SKIP_1) | instid1(VALU_DEP_2)
	v_and_b32_e32 v5, 7, v1
	v_bfe_u32 v11, v1, 3, 4
	v_clz_i32_u32_e32 v7, v5
	s_delay_alu instid0(VALU_DEP_2) | instskip(NEXT) | instid1(VALU_DEP_2)
	v_cmp_eq_u32_e32 vcc_lo, 0, v11
	v_min_u32_e32 v7, 32, v7
	s_delay_alu instid0(VALU_DEP_1) | instskip(NEXT) | instid1(VALU_DEP_1)
	v_subrev_nc_u32_e32 v9, 28, v7
	v_dual_lshlrev_b32 v1, v9, v1 :: v_dual_sub_nc_u32 v7, 29, v7
	s_delay_alu instid0(VALU_DEP_1) | instskip(NEXT) | instid1(VALU_DEP_1)
	v_dual_lshlrev_b32 v3, 24, v3 :: v_dual_bitop2_b32 v1, 7, v1 bitop3:0x40
	v_dual_cndmask_b32 v1, v5, v1, vcc_lo :: v_dual_cndmask_b32 v7, v11, v7, vcc_lo
	s_delay_alu instid0(VALU_DEP_2) | instskip(NEXT) | instid1(VALU_DEP_2)
	v_and_b32_e32 v3, 0x80000000, v3
	v_lshlrev_b32_e32 v1, 20, v1
	s_delay_alu instid0(VALU_DEP_3) | instskip(NEXT) | instid1(VALU_DEP_1)
	v_lshl_add_u32 v5, v7, 23, 0x3b800000
	v_or3_b32 v1, v3, v5, v1
	s_delay_alu instid0(VALU_DEP_1)
	v_cvt_i32_f32_e32 v1, v1
.LBB119_1392:
	s_or_b32 exec_lo, exec_lo, s30
.LBB119_1393:
	s_mov_b32 s30, -1
.LBB119_1394:
	s_mov_b32 s31, 0
.LBB119_1395:
	s_delay_alu instid0(SALU_CYCLE_1)
	s_and_b32 vcc_lo, exec_lo, s31
	s_cbranch_vccz .LBB119_1428
; %bb.1396:
	s_cmp_gt_i32 s29, 22
	s_cbranch_scc0 .LBB119_1404
; %bb.1397:
	s_cmp_lt_i32 s29, 24
	s_cbranch_scc1 .LBB119_1407
; %bb.1398:
	s_cmp_gt_i32 s29, 24
	s_cbranch_scc0 .LBB119_1408
; %bb.1399:
	s_wait_loadcnt 0x0
	global_load_u8 v3, v[12:13], off
	s_mov_b32 s31, 0
	s_mov_b32 s4, exec_lo
	s_wait_loadcnt 0x0
	v_cmpx_lt_i16_e32 0x7f, v3
	s_xor_b32 s30, exec_lo, s4
	s_cbranch_execz .LBB119_1420
; %bb.1400:
	v_cmp_ne_u16_e32 vcc_lo, 0x80, v3
	s_and_b32 s31, vcc_lo, exec_lo
	s_and_not1_saveexec_b32 s30, s30
	s_cbranch_execnz .LBB119_1421
.LBB119_1401:
	s_or_b32 exec_lo, exec_lo, s30
	v_mov_b32_e32 v1, 0
	s_and_saveexec_b32 s30, s31
	s_cbranch_execz .LBB119_1403
.LBB119_1402:
	v_and_b32_e32 v1, 0xffff, v3
	s_delay_alu instid0(VALU_DEP_1) | instskip(SKIP_1) | instid1(VALU_DEP_2)
	v_and_b32_e32 v5, 3, v1
	v_bfe_u32 v11, v1, 2, 5
	v_clz_i32_u32_e32 v7, v5
	s_delay_alu instid0(VALU_DEP_2) | instskip(NEXT) | instid1(VALU_DEP_2)
	v_cmp_eq_u32_e32 vcc_lo, 0, v11
	v_min_u32_e32 v7, 32, v7
	s_delay_alu instid0(VALU_DEP_1) | instskip(NEXT) | instid1(VALU_DEP_1)
	v_subrev_nc_u32_e32 v9, 29, v7
	v_dual_lshlrev_b32 v1, v9, v1 :: v_dual_sub_nc_u32 v7, 30, v7
	s_delay_alu instid0(VALU_DEP_1) | instskip(NEXT) | instid1(VALU_DEP_1)
	v_dual_lshlrev_b32 v3, 24, v3 :: v_dual_bitop2_b32 v1, 3, v1 bitop3:0x40
	v_dual_cndmask_b32 v1, v5, v1, vcc_lo :: v_dual_cndmask_b32 v7, v11, v7, vcc_lo
	s_delay_alu instid0(VALU_DEP_2) | instskip(NEXT) | instid1(VALU_DEP_2)
	v_and_b32_e32 v3, 0x80000000, v3
	v_lshlrev_b32_e32 v1, 21, v1
	s_delay_alu instid0(VALU_DEP_3) | instskip(NEXT) | instid1(VALU_DEP_1)
	v_lshl_add_u32 v5, v7, 23, 0x37800000
	v_or3_b32 v1, v3, v5, v1
	s_delay_alu instid0(VALU_DEP_1)
	v_cvt_i32_f32_e32 v1, v1
.LBB119_1403:
	s_or_b32 exec_lo, exec_lo, s30
	s_mov_b32 s30, 0
	s_branch .LBB119_1409
.LBB119_1404:
	s_mov_b32 s31, -1
                                        ; implicit-def: $vgpr1
	s_branch .LBB119_1415
.LBB119_1405:
	s_and_not1_saveexec_b32 s30, s30
	s_cbranch_execz .LBB119_1390
.LBB119_1406:
	v_cmp_ne_u16_e32 vcc_lo, 0, v3
	s_and_not1_b32 s4, s31, exec_lo
	s_and_b32 s5, vcc_lo, exec_lo
	s_delay_alu instid0(SALU_CYCLE_1)
	s_or_b32 s31, s4, s5
	s_or_b32 exec_lo, exec_lo, s30
	v_mov_b32_e32 v1, 0
	s_and_saveexec_b32 s30, s31
	s_cbranch_execnz .LBB119_1391
	s_branch .LBB119_1392
.LBB119_1407:
	s_mov_b32 s30, -1
                                        ; implicit-def: $vgpr1
	s_branch .LBB119_1412
.LBB119_1408:
	s_mov_b32 s30, -1
                                        ; implicit-def: $vgpr1
.LBB119_1409:
	s_delay_alu instid0(SALU_CYCLE_1)
	s_and_b32 vcc_lo, exec_lo, s30
	s_cbranch_vccz .LBB119_1411
; %bb.1410:
	s_wait_loadcnt 0x0
	global_load_u8 v1, v[12:13], off
	s_wait_loadcnt 0x0
	v_lshlrev_b32_e32 v1, 24, v1
	s_delay_alu instid0(VALU_DEP_1) | instskip(NEXT) | instid1(VALU_DEP_1)
	v_and_b32_e32 v3, 0x7f000000, v1
	v_clz_i32_u32_e32 v5, v3
	v_add_nc_u32_e32 v9, 0x1000000, v3
	v_cmp_ne_u32_e32 vcc_lo, 0, v3
	s_delay_alu instid0(VALU_DEP_3) | instskip(NEXT) | instid1(VALU_DEP_1)
	v_min_u32_e32 v5, 32, v5
	v_sub_nc_u32_e64 v5, v5, 4 clamp
	s_delay_alu instid0(VALU_DEP_1) | instskip(NEXT) | instid1(VALU_DEP_1)
	v_dual_lshlrev_b32 v7, v5, v3 :: v_dual_lshlrev_b32 v5, 23, v5
	v_lshrrev_b32_e32 v7, 4, v7
	s_delay_alu instid0(VALU_DEP_1) | instskip(SKIP_1) | instid1(VALU_DEP_2)
	v_sub_nc_u32_e32 v5, v7, v5
	v_ashrrev_i32_e32 v7, 8, v9
	v_add_nc_u32_e32 v5, 0x3c000000, v5
	s_delay_alu instid0(VALU_DEP_1) | instskip(NEXT) | instid1(VALU_DEP_1)
	v_and_or_b32 v5, 0x7f800000, v7, v5
	v_cndmask_b32_e32 v3, 0, v5, vcc_lo
	s_delay_alu instid0(VALU_DEP_1) | instskip(NEXT) | instid1(VALU_DEP_1)
	v_and_or_b32 v1, 0x80000000, v1, v3
	v_cvt_i32_f32_e32 v1, v1
.LBB119_1411:
	s_mov_b32 s30, 0
.LBB119_1412:
	s_delay_alu instid0(SALU_CYCLE_1)
	s_and_not1_b32 vcc_lo, exec_lo, s30
	s_cbranch_vccnz .LBB119_1414
; %bb.1413:
	s_wait_loadcnt 0x0
	global_load_u8 v1, v[12:13], off
	s_wait_loadcnt 0x0
	v_lshlrev_b32_e32 v3, 25, v1
	v_lshlrev_b16 v1, 8, v1
	s_delay_alu instid0(VALU_DEP_1) | instskip(SKIP_1) | instid1(VALU_DEP_2)
	v_and_or_b32 v7, 0x7f00, v1, 0.5
	v_bfe_i32 v1, v1, 0, 16
	v_add_f32_e32 v7, -0.5, v7
	v_lshrrev_b32_e32 v5, 4, v3
	v_cmp_gt_u32_e32 vcc_lo, 0x8000000, v3
	s_delay_alu instid0(VALU_DEP_2) | instskip(NEXT) | instid1(VALU_DEP_1)
	v_or_b32_e32 v5, 0x70000000, v5
	v_mul_f32_e32 v5, 0x7800000, v5
	s_delay_alu instid0(VALU_DEP_1) | instskip(NEXT) | instid1(VALU_DEP_1)
	v_cndmask_b32_e32 v3, v5, v7, vcc_lo
	v_and_or_b32 v1, 0x80000000, v1, v3
	s_delay_alu instid0(VALU_DEP_1)
	v_cvt_i32_f32_e32 v1, v1
.LBB119_1414:
	s_mov_b32 s31, 0
	s_mov_b32 s30, -1
.LBB119_1415:
	s_and_not1_b32 vcc_lo, exec_lo, s31
	s_cbranch_vccnz .LBB119_1428
; %bb.1416:
	s_cmp_gt_i32 s29, 14
	s_cbranch_scc0 .LBB119_1419
; %bb.1417:
	s_cmp_eq_u32 s29, 15
	s_cbranch_scc0 .LBB119_1422
; %bb.1418:
	s_wait_loadcnt 0x0
	global_load_u16 v1, v[12:13], off
	s_mov_b32 s30, -1
	s_mov_b32 s28, 0
	s_wait_loadcnt 0x0
	v_lshlrev_b32_e32 v1, 16, v1
	s_delay_alu instid0(VALU_DEP_1)
	v_cvt_i32_f32_e32 v1, v1
	s_branch .LBB119_1423
.LBB119_1419:
	s_mov_b32 s31, -1
                                        ; implicit-def: $vgpr1
	s_branch .LBB119_1424
.LBB119_1420:
	s_and_not1_saveexec_b32 s30, s30
	s_cbranch_execz .LBB119_1401
.LBB119_1421:
	v_cmp_ne_u16_e32 vcc_lo, 0, v3
	s_and_not1_b32 s4, s31, exec_lo
	s_and_b32 s5, vcc_lo, exec_lo
	s_delay_alu instid0(SALU_CYCLE_1)
	s_or_b32 s31, s4, s5
	s_or_b32 exec_lo, exec_lo, s30
	v_mov_b32_e32 v1, 0
	s_and_saveexec_b32 s30, s31
	s_cbranch_execnz .LBB119_1402
	s_branch .LBB119_1403
.LBB119_1422:
	s_mov_b32 s28, -1
                                        ; implicit-def: $vgpr1
.LBB119_1423:
	s_mov_b32 s31, 0
.LBB119_1424:
	s_delay_alu instid0(SALU_CYCLE_1)
	s_and_b32 vcc_lo, exec_lo, s31
	s_cbranch_vccz .LBB119_1428
; %bb.1425:
	s_cmp_eq_u32 s29, 11
	s_cbranch_scc0 .LBB119_1427
; %bb.1426:
	s_wait_loadcnt 0x0
	global_load_u8 v1, v[12:13], off
	s_mov_b32 s28, 0
	s_mov_b32 s30, -1
	s_wait_loadcnt 0x0
	v_cmp_ne_u16_e32 vcc_lo, 0, v1
	v_cndmask_b32_e64 v1, 0, 1, vcc_lo
	s_branch .LBB119_1428
.LBB119_1427:
	s_mov_b32 s28, -1
                                        ; implicit-def: $vgpr1
.LBB119_1428:
	s_mov_b32 s29, 0
.LBB119_1429:
	s_delay_alu instid0(SALU_CYCLE_1)
	s_and_b32 vcc_lo, exec_lo, s29
	s_cbranch_vccz .LBB119_1478
; %bb.1430:
	s_and_b32 s0, 0xffff, s0
	s_delay_alu instid0(SALU_CYCLE_1)
	s_cmp_lt_i32 s0, 5
	s_cbranch_scc1 .LBB119_1435
; %bb.1431:
	s_cmp_lt_i32 s0, 8
	s_cbranch_scc1 .LBB119_1436
; %bb.1432:
	;; [unrolled: 3-line block ×3, first 2 shown]
	s_cmp_gt_i32 s0, 9
	s_cbranch_scc0 .LBB119_1438
; %bb.1434:
	global_load_b64 v[14:15], v[12:13], off
	s_mov_b32 s29, 0
	s_wait_loadcnt 0x0
	v_cvt_i32_f64_e32 v1, v[14:15]
	s_branch .LBB119_1439
.LBB119_1435:
	s_mov_b32 s29, -1
                                        ; implicit-def: $vgpr1
	s_branch .LBB119_1457
.LBB119_1436:
	s_mov_b32 s29, -1
                                        ; implicit-def: $vgpr1
	s_branch .LBB119_1445
.LBB119_1437:
	s_mov_b32 s29, -1
                                        ; implicit-def: $vgpr1
	s_branch .LBB119_1442
.LBB119_1438:
	s_mov_b32 s29, -1
                                        ; implicit-def: $vgpr1
.LBB119_1439:
	s_delay_alu instid0(SALU_CYCLE_1)
	s_and_not1_b32 vcc_lo, exec_lo, s29
	s_cbranch_vccnz .LBB119_1441
; %bb.1440:
	s_wait_loadcnt 0x0
	global_load_b32 v1, v[12:13], off
	s_wait_loadcnt 0x0
	v_cvt_i32_f32_e32 v1, v1
.LBB119_1441:
	s_mov_b32 s29, 0
.LBB119_1442:
	s_delay_alu instid0(SALU_CYCLE_1)
	s_and_not1_b32 vcc_lo, exec_lo, s29
	s_cbranch_vccnz .LBB119_1444
; %bb.1443:
	s_wait_loadcnt 0x0
	global_load_b32 v1, v[12:13], off
	s_wait_loadcnt 0x0
	v_cvt_f32_f16_e32 v1, v1
	s_delay_alu instid0(VALU_DEP_1)
	v_cvt_i32_f32_e32 v1, v1
.LBB119_1444:
	s_mov_b32 s29, 0
.LBB119_1445:
	s_delay_alu instid0(SALU_CYCLE_1)
	s_and_not1_b32 vcc_lo, exec_lo, s29
	s_cbranch_vccnz .LBB119_1456
; %bb.1446:
	s_cmp_lt_i32 s0, 6
	s_cbranch_scc1 .LBB119_1449
; %bb.1447:
	s_cmp_gt_i32 s0, 6
	s_cbranch_scc0 .LBB119_1450
; %bb.1448:
	global_load_b64 v[14:15], v[12:13], off
	s_mov_b32 s29, 0
	s_wait_loadcnt 0x0
	v_cvt_i32_f64_e32 v1, v[14:15]
	s_branch .LBB119_1451
.LBB119_1449:
	s_mov_b32 s29, -1
                                        ; implicit-def: $vgpr1
	s_branch .LBB119_1454
.LBB119_1450:
	s_mov_b32 s29, -1
                                        ; implicit-def: $vgpr1
.LBB119_1451:
	s_delay_alu instid0(SALU_CYCLE_1)
	s_and_not1_b32 vcc_lo, exec_lo, s29
	s_cbranch_vccnz .LBB119_1453
; %bb.1452:
	s_wait_loadcnt 0x0
	global_load_b32 v1, v[12:13], off
	s_wait_loadcnt 0x0
	v_cvt_i32_f32_e32 v1, v1
.LBB119_1453:
	s_mov_b32 s29, 0
.LBB119_1454:
	s_delay_alu instid0(SALU_CYCLE_1)
	s_and_not1_b32 vcc_lo, exec_lo, s29
	s_cbranch_vccnz .LBB119_1456
; %bb.1455:
	s_wait_loadcnt 0x0
	global_load_u16 v1, v[12:13], off
	s_wait_loadcnt 0x0
	v_cvt_f32_f16_e32 v1, v1
	s_delay_alu instid0(VALU_DEP_1)
	v_cvt_i32_f32_e32 v1, v1
.LBB119_1456:
	s_mov_b32 s29, 0
.LBB119_1457:
	s_delay_alu instid0(SALU_CYCLE_1)
	s_and_not1_b32 vcc_lo, exec_lo, s29
	s_cbranch_vccnz .LBB119_1477
; %bb.1458:
	s_cmp_lt_i32 s0, 2
	s_cbranch_scc1 .LBB119_1462
; %bb.1459:
	s_cmp_lt_i32 s0, 3
	s_cbranch_scc1 .LBB119_1463
; %bb.1460:
	s_cmp_gt_i32 s0, 3
	s_cbranch_scc0 .LBB119_1464
; %bb.1461:
	s_wait_loadcnt 0x0
	global_load_b32 v1, v[12:13], off
	s_mov_b32 s29, 0
	s_branch .LBB119_1465
.LBB119_1462:
	s_mov_b32 s29, -1
                                        ; implicit-def: $vgpr1
	s_branch .LBB119_1471
.LBB119_1463:
	s_mov_b32 s29, -1
                                        ; implicit-def: $vgpr1
	s_branch .LBB119_1468
.LBB119_1464:
	s_mov_b32 s29, -1
                                        ; implicit-def: $vgpr1
.LBB119_1465:
	s_delay_alu instid0(SALU_CYCLE_1)
	s_and_not1_b32 vcc_lo, exec_lo, s29
	s_cbranch_vccnz .LBB119_1467
; %bb.1466:
	s_wait_loadcnt 0x0
	global_load_b32 v1, v[12:13], off
.LBB119_1467:
	s_mov_b32 s29, 0
.LBB119_1468:
	s_delay_alu instid0(SALU_CYCLE_1)
	s_and_not1_b32 vcc_lo, exec_lo, s29
	s_cbranch_vccnz .LBB119_1470
; %bb.1469:
	s_wait_loadcnt 0x0
	global_load_i16 v1, v[12:13], off
.LBB119_1470:
	s_mov_b32 s29, 0
.LBB119_1471:
	s_delay_alu instid0(SALU_CYCLE_1)
	s_and_not1_b32 vcc_lo, exec_lo, s29
	s_cbranch_vccnz .LBB119_1477
; %bb.1472:
	s_cmp_gt_i32 s0, 0
	s_mov_b32 s0, 0
	s_cbranch_scc0 .LBB119_1474
; %bb.1473:
	s_wait_loadcnt 0x0
	global_load_i8 v1, v[12:13], off
	s_branch .LBB119_1475
.LBB119_1474:
	s_mov_b32 s0, -1
                                        ; implicit-def: $vgpr1
.LBB119_1475:
	s_delay_alu instid0(SALU_CYCLE_1)
	s_and_not1_b32 vcc_lo, exec_lo, s0
	s_cbranch_vccnz .LBB119_1477
; %bb.1476:
	s_wait_loadcnt 0x0
	global_load_u8 v1, v[12:13], off
.LBB119_1477:
	s_mov_b32 s30, -1
.LBB119_1478:
	s_delay_alu instid0(SALU_CYCLE_1)
	s_and_not1_b32 vcc_lo, exec_lo, s30
	s_cbranch_vccnz .LBB119_1486
; %bb.1479:
	s_load_b256 s[4:11], s[2:3], 0x248
	v_mov_b32_e32 v11, 0
	s_and_b32 s0, s75, 0xff
	s_delay_alu instid0(SALU_CYCLE_1)
	s_cmp_lt_i32 s0, 11
	s_wait_loadcnt 0x0
	s_wait_kmcnt 0x0
	v_add_nc_u64_e32 v[10:11], s[8:9], v[10:11]
	s_cbranch_scc1 .LBB119_1487
; %bb.1480:
	s_and_b32 s30, 0xffff, s0
	s_delay_alu instid0(SALU_CYCLE_1)
	s_cmp_gt_i32 s30, 25
	s_cbranch_scc0 .LBB119_1488
; %bb.1481:
	s_cmp_gt_i32 s30, 28
	s_cbranch_scc0 .LBB119_1489
; %bb.1482:
	;; [unrolled: 3-line block ×4, first 2 shown]
	s_cmp_eq_u32 s30, 46
	s_mov_b32 s36, 0
	s_cbranch_scc0 .LBB119_1493
; %bb.1485:
	global_load_b32 v3, v[10:11], off
	s_mov_b32 s31, -1
	s_mov_b32 s29, 0
	s_wait_loadcnt 0x0
	v_lshlrev_b32_e32 v3, 16, v3
	s_delay_alu instid0(VALU_DEP_1)
	v_cvt_i32_f32_e32 v3, v3
	s_branch .LBB119_1495
.LBB119_1486:
	s_mov_b32 s0, 0
	s_mov_b32 s36, s99
	;; [unrolled: 1-line block ×10, first 2 shown]
	s_branch .LBB119_2084
.LBB119_1487:
	s_mov_b32 s30, -1
	s_mov_b32 s31, 0
	s_mov_b32 s29, s94
                                        ; implicit-def: $vgpr3
	s_branch .LBB119_1556
.LBB119_1488:
	s_mov_b32 s36, -1
	s_mov_b32 s31, 0
	s_mov_b32 s29, s94
                                        ; implicit-def: $vgpr3
	s_branch .LBB119_1522
.LBB119_1489:
	s_mov_b32 s36, -1
	s_mov_b32 s31, 0
	s_mov_b32 s29, s94
                                        ; implicit-def: $vgpr3
	s_branch .LBB119_1505
.LBB119_1490:
	s_mov_b32 s36, -1
	s_mov_b32 s31, 0
	s_mov_b32 s29, s94
                                        ; implicit-def: $vgpr3
	s_branch .LBB119_1500
.LBB119_1491:
	s_mov_b32 s36, -1
	s_mov_b32 s31, 0
	s_mov_b32 s29, s94
	s_branch .LBB119_1494
.LBB119_1492:
	s_mov_b32 s36, -1
	s_mov_b32 s59, 0
	s_mov_b32 s56, s45
	s_branch .LBB119_3643
.LBB119_1493:
	s_mov_b32 s29, -1
	s_mov_b32 s31, 0
.LBB119_1494:
                                        ; implicit-def: $vgpr3
.LBB119_1495:
	s_and_b32 vcc_lo, exec_lo, s36
	s_cbranch_vccz .LBB119_1499
; %bb.1496:
	s_cmp_eq_u32 s30, 44
	s_cbranch_scc0 .LBB119_1498
; %bb.1497:
	global_load_u8 v3, v[10:11], off
	s_mov_b32 s29, 0
	s_mov_b32 s31, -1
	s_wait_loadcnt 0x0
	v_lshlrev_b32_e32 v5, 23, v3
	v_cmp_ne_u32_e32 vcc_lo, 0, v3
	s_delay_alu instid0(VALU_DEP_2) | instskip(NEXT) | instid1(VALU_DEP_1)
	v_cvt_i32_f32_e32 v5, v5
	v_cndmask_b32_e32 v3, 0, v5, vcc_lo
	s_branch .LBB119_1499
.LBB119_1498:
	s_mov_b32 s29, -1
                                        ; implicit-def: $vgpr3
.LBB119_1499:
	s_mov_b32 s36, 0
.LBB119_1500:
	s_delay_alu instid0(SALU_CYCLE_1)
	s_and_b32 vcc_lo, exec_lo, s36
	s_cbranch_vccz .LBB119_1504
; %bb.1501:
	s_cmp_eq_u32 s30, 29
	s_cbranch_scc0 .LBB119_1503
; %bb.1502:
	global_load_b32 v3, v[10:11], off
	s_mov_b32 s31, -1
	s_mov_b32 s29, 0
	s_branch .LBB119_1504
.LBB119_1503:
	s_mov_b32 s29, -1
                                        ; implicit-def: $vgpr3
.LBB119_1504:
	s_mov_b32 s36, 0
.LBB119_1505:
	s_delay_alu instid0(SALU_CYCLE_1)
	s_and_b32 vcc_lo, exec_lo, s36
	s_cbranch_vccz .LBB119_1521
; %bb.1506:
	s_cmp_lt_i32 s30, 27
	s_cbranch_scc1 .LBB119_1509
; %bb.1507:
	s_cmp_gt_i32 s30, 27
	s_cbranch_scc0 .LBB119_1510
; %bb.1508:
	s_wait_loadcnt 0x0
	global_load_b32 v3, v[10:11], off
	s_mov_b32 s31, 0
	s_branch .LBB119_1511
.LBB119_1509:
	s_mov_b32 s31, -1
                                        ; implicit-def: $vgpr3
	s_branch .LBB119_1514
.LBB119_1510:
	s_mov_b32 s31, -1
                                        ; implicit-def: $vgpr3
.LBB119_1511:
	s_delay_alu instid0(SALU_CYCLE_1)
	s_and_not1_b32 vcc_lo, exec_lo, s31
	s_cbranch_vccnz .LBB119_1513
; %bb.1512:
	s_wait_loadcnt 0x0
	global_load_u16 v3, v[10:11], off
.LBB119_1513:
	s_mov_b32 s31, 0
.LBB119_1514:
	s_delay_alu instid0(SALU_CYCLE_1)
	s_and_not1_b32 vcc_lo, exec_lo, s31
	s_cbranch_vccnz .LBB119_1520
; %bb.1515:
	global_load_u8 v5, v[10:11], off
	s_mov_b32 s36, 0
	s_mov_b32 s4, exec_lo
	s_wait_loadcnt 0x0
	v_cmpx_lt_i16_e32 0x7f, v5
	s_xor_b32 s31, exec_lo, s4
	s_cbranch_execz .LBB119_1532
; %bb.1516:
	v_cmp_ne_u16_e32 vcc_lo, 0x80, v5
	s_and_b32 s36, vcc_lo, exec_lo
	s_and_not1_saveexec_b32 s31, s31
	s_cbranch_execnz .LBB119_1533
.LBB119_1517:
	s_or_b32 exec_lo, exec_lo, s31
	v_mov_b32_e32 v3, 0
	s_and_saveexec_b32 s31, s36
	s_cbranch_execz .LBB119_1519
.LBB119_1518:
	v_and_b32_e32 v3, 0xffff, v5
	s_delay_alu instid0(VALU_DEP_1) | instskip(SKIP_1) | instid1(VALU_DEP_2)
	v_and_b32_e32 v7, 7, v3
	v_bfe_u32 v13, v3, 3, 4
	v_clz_i32_u32_e32 v9, v7
	s_delay_alu instid0(VALU_DEP_2) | instskip(NEXT) | instid1(VALU_DEP_2)
	v_cmp_eq_u32_e32 vcc_lo, 0, v13
	v_min_u32_e32 v9, 32, v9
	s_delay_alu instid0(VALU_DEP_1) | instskip(NEXT) | instid1(VALU_DEP_1)
	v_subrev_nc_u32_e32 v12, 28, v9
	v_dual_lshlrev_b32 v3, v12, v3 :: v_dual_sub_nc_u32 v9, 29, v9
	s_delay_alu instid0(VALU_DEP_1) | instskip(NEXT) | instid1(VALU_DEP_1)
	v_dual_lshlrev_b32 v5, 24, v5 :: v_dual_bitop2_b32 v3, 7, v3 bitop3:0x40
	v_dual_cndmask_b32 v3, v7, v3, vcc_lo :: v_dual_cndmask_b32 v9, v13, v9, vcc_lo
	s_delay_alu instid0(VALU_DEP_2) | instskip(NEXT) | instid1(VALU_DEP_2)
	v_and_b32_e32 v5, 0x80000000, v5
	v_lshlrev_b32_e32 v3, 20, v3
	s_delay_alu instid0(VALU_DEP_3) | instskip(NEXT) | instid1(VALU_DEP_1)
	v_lshl_add_u32 v7, v9, 23, 0x3b800000
	v_or3_b32 v3, v5, v7, v3
	s_delay_alu instid0(VALU_DEP_1)
	v_cvt_i32_f32_e32 v3, v3
.LBB119_1519:
	s_or_b32 exec_lo, exec_lo, s31
.LBB119_1520:
	s_mov_b32 s31, -1
.LBB119_1521:
	s_mov_b32 s36, 0
.LBB119_1522:
	s_delay_alu instid0(SALU_CYCLE_1)
	s_and_b32 vcc_lo, exec_lo, s36
	s_cbranch_vccz .LBB119_1555
; %bb.1523:
	s_cmp_gt_i32 s30, 22
	s_cbranch_scc0 .LBB119_1531
; %bb.1524:
	s_cmp_lt_i32 s30, 24
	s_cbranch_scc1 .LBB119_1534
; %bb.1525:
	s_cmp_gt_i32 s30, 24
	s_cbranch_scc0 .LBB119_1535
; %bb.1526:
	global_load_u8 v5, v[10:11], off
	s_mov_b32 s36, 0
	s_mov_b32 s4, exec_lo
	s_wait_loadcnt 0x0
	v_cmpx_lt_i16_e32 0x7f, v5
	s_xor_b32 s31, exec_lo, s4
	s_cbranch_execz .LBB119_1547
; %bb.1527:
	v_cmp_ne_u16_e32 vcc_lo, 0x80, v5
	s_and_b32 s36, vcc_lo, exec_lo
	s_and_not1_saveexec_b32 s31, s31
	s_cbranch_execnz .LBB119_1548
.LBB119_1528:
	s_or_b32 exec_lo, exec_lo, s31
	v_mov_b32_e32 v3, 0
	s_and_saveexec_b32 s31, s36
	s_cbranch_execz .LBB119_1530
.LBB119_1529:
	v_and_b32_e32 v3, 0xffff, v5
	s_delay_alu instid0(VALU_DEP_1) | instskip(SKIP_1) | instid1(VALU_DEP_2)
	v_and_b32_e32 v7, 3, v3
	v_bfe_u32 v13, v3, 2, 5
	v_clz_i32_u32_e32 v9, v7
	s_delay_alu instid0(VALU_DEP_2) | instskip(NEXT) | instid1(VALU_DEP_2)
	v_cmp_eq_u32_e32 vcc_lo, 0, v13
	v_min_u32_e32 v9, 32, v9
	s_delay_alu instid0(VALU_DEP_1) | instskip(NEXT) | instid1(VALU_DEP_1)
	v_subrev_nc_u32_e32 v12, 29, v9
	v_dual_lshlrev_b32 v3, v12, v3 :: v_dual_sub_nc_u32 v9, 30, v9
	s_delay_alu instid0(VALU_DEP_1) | instskip(NEXT) | instid1(VALU_DEP_1)
	v_dual_lshlrev_b32 v5, 24, v5 :: v_dual_bitop2_b32 v3, 3, v3 bitop3:0x40
	v_dual_cndmask_b32 v3, v7, v3, vcc_lo :: v_dual_cndmask_b32 v9, v13, v9, vcc_lo
	s_delay_alu instid0(VALU_DEP_2) | instskip(NEXT) | instid1(VALU_DEP_2)
	v_and_b32_e32 v5, 0x80000000, v5
	v_lshlrev_b32_e32 v3, 21, v3
	s_delay_alu instid0(VALU_DEP_3) | instskip(NEXT) | instid1(VALU_DEP_1)
	v_lshl_add_u32 v7, v9, 23, 0x37800000
	v_or3_b32 v3, v5, v7, v3
	s_delay_alu instid0(VALU_DEP_1)
	v_cvt_i32_f32_e32 v3, v3
.LBB119_1530:
	s_or_b32 exec_lo, exec_lo, s31
	s_mov_b32 s31, 0
	s_branch .LBB119_1536
.LBB119_1531:
	s_mov_b32 s36, -1
                                        ; implicit-def: $vgpr3
	s_branch .LBB119_1542
.LBB119_1532:
	s_and_not1_saveexec_b32 s31, s31
	s_cbranch_execz .LBB119_1517
.LBB119_1533:
	v_cmp_ne_u16_e32 vcc_lo, 0, v5
	s_and_not1_b32 s4, s36, exec_lo
	s_and_b32 s5, vcc_lo, exec_lo
	s_delay_alu instid0(SALU_CYCLE_1)
	s_or_b32 s36, s4, s5
	s_or_b32 exec_lo, exec_lo, s31
	v_mov_b32_e32 v3, 0
	s_and_saveexec_b32 s31, s36
	s_cbranch_execnz .LBB119_1518
	s_branch .LBB119_1519
.LBB119_1534:
	s_mov_b32 s31, -1
                                        ; implicit-def: $vgpr3
	s_branch .LBB119_1539
.LBB119_1535:
	s_mov_b32 s31, -1
                                        ; implicit-def: $vgpr3
.LBB119_1536:
	s_delay_alu instid0(SALU_CYCLE_1)
	s_and_b32 vcc_lo, exec_lo, s31
	s_cbranch_vccz .LBB119_1538
; %bb.1537:
	s_wait_loadcnt 0x0
	global_load_u8 v3, v[10:11], off
	s_wait_loadcnt 0x0
	v_lshlrev_b32_e32 v3, 24, v3
	s_delay_alu instid0(VALU_DEP_1) | instskip(NEXT) | instid1(VALU_DEP_1)
	v_and_b32_e32 v5, 0x7f000000, v3
	v_clz_i32_u32_e32 v7, v5
	v_cmp_ne_u32_e32 vcc_lo, 0, v5
	v_add_nc_u32_e32 v12, 0x1000000, v5
	s_delay_alu instid0(VALU_DEP_3) | instskip(NEXT) | instid1(VALU_DEP_1)
	v_min_u32_e32 v7, 32, v7
	v_sub_nc_u32_e64 v7, v7, 4 clamp
	s_delay_alu instid0(VALU_DEP_1) | instskip(NEXT) | instid1(VALU_DEP_1)
	v_dual_lshlrev_b32 v9, v7, v5 :: v_dual_lshlrev_b32 v7, 23, v7
	v_lshrrev_b32_e32 v9, 4, v9
	s_delay_alu instid0(VALU_DEP_1) | instskip(NEXT) | instid1(VALU_DEP_1)
	v_dual_sub_nc_u32 v7, v9, v7 :: v_dual_ashrrev_i32 v9, 8, v12
	v_add_nc_u32_e32 v7, 0x3c000000, v7
	s_delay_alu instid0(VALU_DEP_1) | instskip(NEXT) | instid1(VALU_DEP_1)
	v_and_or_b32 v7, 0x7f800000, v9, v7
	v_cndmask_b32_e32 v5, 0, v7, vcc_lo
	s_delay_alu instid0(VALU_DEP_1) | instskip(NEXT) | instid1(VALU_DEP_1)
	v_and_or_b32 v3, 0x80000000, v3, v5
	v_cvt_i32_f32_e32 v3, v3
.LBB119_1538:
	s_mov_b32 s31, 0
.LBB119_1539:
	s_delay_alu instid0(SALU_CYCLE_1)
	s_and_not1_b32 vcc_lo, exec_lo, s31
	s_cbranch_vccnz .LBB119_1541
; %bb.1540:
	s_wait_loadcnt 0x0
	global_load_u8 v3, v[10:11], off
	s_wait_loadcnt 0x0
	v_lshlrev_b32_e32 v5, 25, v3
	v_lshlrev_b16 v3, 8, v3
	s_delay_alu instid0(VALU_DEP_1) | instskip(SKIP_1) | instid1(VALU_DEP_2)
	v_and_or_b32 v9, 0x7f00, v3, 0.5
	v_bfe_i32 v3, v3, 0, 16
	v_add_f32_e32 v9, -0.5, v9
	v_lshrrev_b32_e32 v7, 4, v5
	v_cmp_gt_u32_e32 vcc_lo, 0x8000000, v5
	s_delay_alu instid0(VALU_DEP_2) | instskip(NEXT) | instid1(VALU_DEP_1)
	v_or_b32_e32 v7, 0x70000000, v7
	v_mul_f32_e32 v7, 0x7800000, v7
	s_delay_alu instid0(VALU_DEP_1) | instskip(NEXT) | instid1(VALU_DEP_1)
	v_cndmask_b32_e32 v5, v7, v9, vcc_lo
	v_and_or_b32 v3, 0x80000000, v3, v5
	s_delay_alu instid0(VALU_DEP_1)
	v_cvt_i32_f32_e32 v3, v3
.LBB119_1541:
	s_mov_b32 s36, 0
	s_mov_b32 s31, -1
.LBB119_1542:
	s_and_not1_b32 vcc_lo, exec_lo, s36
	s_cbranch_vccnz .LBB119_1555
; %bb.1543:
	s_cmp_gt_i32 s30, 14
	s_cbranch_scc0 .LBB119_1546
; %bb.1544:
	s_cmp_eq_u32 s30, 15
	s_cbranch_scc0 .LBB119_1549
; %bb.1545:
	s_wait_loadcnt 0x0
	global_load_u16 v3, v[10:11], off
	s_mov_b32 s31, -1
	s_mov_b32 s29, 0
	s_wait_loadcnt 0x0
	v_lshlrev_b32_e32 v3, 16, v3
	s_delay_alu instid0(VALU_DEP_1)
	v_cvt_i32_f32_e32 v3, v3
	s_branch .LBB119_1550
.LBB119_1546:
	s_mov_b32 s36, -1
                                        ; implicit-def: $vgpr3
	s_branch .LBB119_1551
.LBB119_1547:
	s_and_not1_saveexec_b32 s31, s31
	s_cbranch_execz .LBB119_1528
.LBB119_1548:
	v_cmp_ne_u16_e32 vcc_lo, 0, v5
	s_and_not1_b32 s4, s36, exec_lo
	s_and_b32 s5, vcc_lo, exec_lo
	s_delay_alu instid0(SALU_CYCLE_1)
	s_or_b32 s36, s4, s5
	s_or_b32 exec_lo, exec_lo, s31
	v_mov_b32_e32 v3, 0
	s_and_saveexec_b32 s31, s36
	s_cbranch_execnz .LBB119_1529
	s_branch .LBB119_1530
.LBB119_1549:
	s_mov_b32 s29, -1
                                        ; implicit-def: $vgpr3
.LBB119_1550:
	s_mov_b32 s36, 0
.LBB119_1551:
	s_delay_alu instid0(SALU_CYCLE_1)
	s_and_b32 vcc_lo, exec_lo, s36
	s_cbranch_vccz .LBB119_1555
; %bb.1552:
	s_cmp_eq_u32 s30, 11
	s_cbranch_scc0 .LBB119_1554
; %bb.1553:
	s_wait_loadcnt 0x0
	global_load_u8 v3, v[10:11], off
	s_mov_b32 s29, 0
	s_mov_b32 s31, -1
	s_wait_loadcnt 0x0
	v_cmp_ne_u16_e32 vcc_lo, 0, v3
	v_cndmask_b32_e64 v3, 0, 1, vcc_lo
	s_branch .LBB119_1555
.LBB119_1554:
	s_mov_b32 s29, -1
                                        ; implicit-def: $vgpr3
.LBB119_1555:
	s_mov_b32 s30, 0
.LBB119_1556:
	s_delay_alu instid0(SALU_CYCLE_1)
	s_and_b32 vcc_lo, exec_lo, s30
	s_cbranch_vccz .LBB119_1605
; %bb.1557:
	s_and_b32 s0, 0xffff, s0
	s_delay_alu instid0(SALU_CYCLE_1)
	s_cmp_lt_i32 s0, 5
	s_cbranch_scc1 .LBB119_1562
; %bb.1558:
	s_cmp_lt_i32 s0, 8
	s_cbranch_scc1 .LBB119_1563
; %bb.1559:
	;; [unrolled: 3-line block ×3, first 2 shown]
	s_cmp_gt_i32 s0, 9
	s_cbranch_scc0 .LBB119_1565
; %bb.1561:
	global_load_b64 v[12:13], v[10:11], off
	s_mov_b32 s30, 0
	s_wait_loadcnt 0x0
	v_cvt_i32_f64_e32 v3, v[12:13]
	s_branch .LBB119_1566
.LBB119_1562:
	s_mov_b32 s30, -1
                                        ; implicit-def: $vgpr3
	s_branch .LBB119_1584
.LBB119_1563:
	s_mov_b32 s30, -1
                                        ; implicit-def: $vgpr3
	s_branch .LBB119_1572
.LBB119_1564:
	s_mov_b32 s30, -1
                                        ; implicit-def: $vgpr3
	s_branch .LBB119_1569
.LBB119_1565:
	s_mov_b32 s30, -1
                                        ; implicit-def: $vgpr3
.LBB119_1566:
	s_delay_alu instid0(SALU_CYCLE_1)
	s_and_not1_b32 vcc_lo, exec_lo, s30
	s_cbranch_vccnz .LBB119_1568
; %bb.1567:
	s_wait_loadcnt 0x0
	global_load_b32 v3, v[10:11], off
	s_wait_loadcnt 0x0
	v_cvt_i32_f32_e32 v3, v3
.LBB119_1568:
	s_mov_b32 s30, 0
.LBB119_1569:
	s_delay_alu instid0(SALU_CYCLE_1)
	s_and_not1_b32 vcc_lo, exec_lo, s30
	s_cbranch_vccnz .LBB119_1571
; %bb.1570:
	s_wait_loadcnt 0x0
	global_load_b32 v3, v[10:11], off
	s_wait_loadcnt 0x0
	v_cvt_f32_f16_e32 v3, v3
	s_delay_alu instid0(VALU_DEP_1)
	v_cvt_i32_f32_e32 v3, v3
.LBB119_1571:
	s_mov_b32 s30, 0
.LBB119_1572:
	s_delay_alu instid0(SALU_CYCLE_1)
	s_and_not1_b32 vcc_lo, exec_lo, s30
	s_cbranch_vccnz .LBB119_1583
; %bb.1573:
	s_cmp_lt_i32 s0, 6
	s_cbranch_scc1 .LBB119_1576
; %bb.1574:
	s_cmp_gt_i32 s0, 6
	s_cbranch_scc0 .LBB119_1577
; %bb.1575:
	global_load_b64 v[12:13], v[10:11], off
	s_mov_b32 s30, 0
	s_wait_loadcnt 0x0
	v_cvt_i32_f64_e32 v3, v[12:13]
	s_branch .LBB119_1578
.LBB119_1576:
	s_mov_b32 s30, -1
                                        ; implicit-def: $vgpr3
	s_branch .LBB119_1581
.LBB119_1577:
	s_mov_b32 s30, -1
                                        ; implicit-def: $vgpr3
.LBB119_1578:
	s_delay_alu instid0(SALU_CYCLE_1)
	s_and_not1_b32 vcc_lo, exec_lo, s30
	s_cbranch_vccnz .LBB119_1580
; %bb.1579:
	s_wait_loadcnt 0x0
	global_load_b32 v3, v[10:11], off
	s_wait_loadcnt 0x0
	v_cvt_i32_f32_e32 v3, v3
.LBB119_1580:
	s_mov_b32 s30, 0
.LBB119_1581:
	s_delay_alu instid0(SALU_CYCLE_1)
	s_and_not1_b32 vcc_lo, exec_lo, s30
	s_cbranch_vccnz .LBB119_1583
; %bb.1582:
	s_wait_loadcnt 0x0
	global_load_u16 v3, v[10:11], off
	s_wait_loadcnt 0x0
	v_cvt_f32_f16_e32 v3, v3
	s_delay_alu instid0(VALU_DEP_1)
	v_cvt_i32_f32_e32 v3, v3
.LBB119_1583:
	s_mov_b32 s30, 0
.LBB119_1584:
	s_delay_alu instid0(SALU_CYCLE_1)
	s_and_not1_b32 vcc_lo, exec_lo, s30
	s_cbranch_vccnz .LBB119_1604
; %bb.1585:
	s_cmp_lt_i32 s0, 2
	s_cbranch_scc1 .LBB119_1589
; %bb.1586:
	s_cmp_lt_i32 s0, 3
	s_cbranch_scc1 .LBB119_1590
; %bb.1587:
	s_cmp_gt_i32 s0, 3
	s_cbranch_scc0 .LBB119_1591
; %bb.1588:
	s_wait_loadcnt 0x0
	global_load_b32 v3, v[10:11], off
	s_mov_b32 s30, 0
	s_branch .LBB119_1592
.LBB119_1589:
	s_mov_b32 s30, -1
                                        ; implicit-def: $vgpr3
	s_branch .LBB119_1598
.LBB119_1590:
	s_mov_b32 s30, -1
                                        ; implicit-def: $vgpr3
	s_branch .LBB119_1595
.LBB119_1591:
	s_mov_b32 s30, -1
                                        ; implicit-def: $vgpr3
.LBB119_1592:
	s_delay_alu instid0(SALU_CYCLE_1)
	s_and_not1_b32 vcc_lo, exec_lo, s30
	s_cbranch_vccnz .LBB119_1594
; %bb.1593:
	s_wait_loadcnt 0x0
	global_load_b32 v3, v[10:11], off
.LBB119_1594:
	s_mov_b32 s30, 0
.LBB119_1595:
	s_delay_alu instid0(SALU_CYCLE_1)
	s_and_not1_b32 vcc_lo, exec_lo, s30
	s_cbranch_vccnz .LBB119_1597
; %bb.1596:
	s_wait_loadcnt 0x0
	global_load_i16 v3, v[10:11], off
.LBB119_1597:
	s_mov_b32 s30, 0
.LBB119_1598:
	s_delay_alu instid0(SALU_CYCLE_1)
	s_and_not1_b32 vcc_lo, exec_lo, s30
	s_cbranch_vccnz .LBB119_1604
; %bb.1599:
	s_cmp_gt_i32 s0, 0
	s_mov_b32 s0, 0
	s_cbranch_scc0 .LBB119_1601
; %bb.1600:
	s_wait_loadcnt 0x0
	global_load_i8 v3, v[10:11], off
	s_branch .LBB119_1602
.LBB119_1601:
	s_mov_b32 s0, -1
                                        ; implicit-def: $vgpr3
.LBB119_1602:
	s_delay_alu instid0(SALU_CYCLE_1)
	s_and_not1_b32 vcc_lo, exec_lo, s0
	s_cbranch_vccnz .LBB119_1604
; %bb.1603:
	s_wait_loadcnt 0x0
	global_load_u8 v3, v[10:11], off
.LBB119_1604:
	s_mov_b32 s31, -1
.LBB119_1605:
	s_delay_alu instid0(SALU_CYCLE_1)
	s_and_not1_b32 vcc_lo, exec_lo, s31
	s_cbranch_vccnz .LBB119_1613
; %bb.1606:
	s_load_b256 s[4:11], s[2:3], 0x248
	v_mov_b32_e32 v9, 0
	s_and_b32 s0, s50, 0xff
	s_delay_alu instid0(SALU_CYCLE_1) | instskip(SKIP_1) | instid1(VALU_DEP_1)
	s_cmp_lt_i32 s0, 11
	s_wait_kmcnt 0x0
	v_add_nc_u64_e32 v[10:11], s[10:11], v[8:9]
	s_cbranch_scc1 .LBB119_1614
; %bb.1607:
	s_and_b32 s31, 0xffff, s0
	s_delay_alu instid0(SALU_CYCLE_1)
	s_cmp_gt_i32 s31, 25
	s_cbranch_scc0 .LBB119_1615
; %bb.1608:
	s_cmp_gt_i32 s31, 28
	s_cbranch_scc0 .LBB119_1616
; %bb.1609:
	;; [unrolled: 3-line block ×4, first 2 shown]
	s_cmp_eq_u32 s31, 46
	s_mov_b32 s36, 0
	s_cbranch_scc0 .LBB119_1620
; %bb.1612:
	global_load_b32 v5, v[10:11], off
	s_mov_b32 s49, -1
	s_mov_b32 s30, 0
	s_wait_loadcnt 0x0
	v_lshlrev_b32_e32 v5, 16, v5
	s_delay_alu instid0(VALU_DEP_1)
	v_cvt_i32_f32_e32 v8, v5
	s_branch .LBB119_1622
.LBB119_1613:
	s_mov_b32 s0, 0
	s_mov_b32 s36, s99
	;; [unrolled: 1-line block ×9, first 2 shown]
	s_branch .LBB119_2084
.LBB119_1614:
	s_mov_b32 s31, -1
	s_mov_b32 s49, 0
	s_mov_b32 s30, s93
                                        ; implicit-def: $vgpr8
	s_branch .LBB119_1683
.LBB119_1615:
	s_mov_b32 s36, -1
	s_mov_b32 s49, 0
	s_mov_b32 s30, s93
                                        ; implicit-def: $vgpr8
	s_branch .LBB119_1649
.LBB119_1616:
	s_mov_b32 s36, -1
	s_mov_b32 s49, 0
	s_mov_b32 s30, s93
                                        ; implicit-def: $vgpr8
	s_branch .LBB119_1632
.LBB119_1617:
	s_mov_b32 s36, -1
	s_mov_b32 s49, 0
	s_mov_b32 s30, s93
                                        ; implicit-def: $vgpr8
	s_branch .LBB119_1627
.LBB119_1618:
	s_mov_b32 s36, -1
	s_mov_b32 s49, 0
	s_mov_b32 s30, s93
	s_branch .LBB119_1621
.LBB119_1619:
	s_mov_b32 s36, -1
	s_mov_b32 s59, 0
	s_mov_b32 s56, s45
	s_branch .LBB119_3623
.LBB119_1620:
	s_mov_b32 s30, -1
	s_mov_b32 s49, 0
.LBB119_1621:
                                        ; implicit-def: $vgpr8
.LBB119_1622:
	s_and_b32 vcc_lo, exec_lo, s36
	s_cbranch_vccz .LBB119_1626
; %bb.1623:
	s_cmp_eq_u32 s31, 44
	s_cbranch_scc0 .LBB119_1625
; %bb.1624:
	global_load_u8 v5, v[10:11], off
	s_mov_b32 s30, 0
	s_mov_b32 s49, -1
	s_wait_loadcnt 0x0
	v_lshlrev_b32_e32 v7, 23, v5
	v_cmp_ne_u32_e32 vcc_lo, 0, v5
	s_delay_alu instid0(VALU_DEP_2) | instskip(NEXT) | instid1(VALU_DEP_1)
	v_cvt_i32_f32_e32 v7, v7
	v_cndmask_b32_e32 v8, 0, v7, vcc_lo
	s_branch .LBB119_1626
.LBB119_1625:
	s_mov_b32 s30, -1
                                        ; implicit-def: $vgpr8
.LBB119_1626:
	s_mov_b32 s36, 0
.LBB119_1627:
	s_delay_alu instid0(SALU_CYCLE_1)
	s_and_b32 vcc_lo, exec_lo, s36
	s_cbranch_vccz .LBB119_1631
; %bb.1628:
	s_cmp_eq_u32 s31, 29
	s_cbranch_scc0 .LBB119_1630
; %bb.1629:
	global_load_b32 v8, v[10:11], off
	s_mov_b32 s49, -1
	s_mov_b32 s30, 0
	s_branch .LBB119_1631
.LBB119_1630:
	s_mov_b32 s30, -1
                                        ; implicit-def: $vgpr8
.LBB119_1631:
	s_mov_b32 s36, 0
.LBB119_1632:
	s_delay_alu instid0(SALU_CYCLE_1)
	s_and_b32 vcc_lo, exec_lo, s36
	s_cbranch_vccz .LBB119_1648
; %bb.1633:
	s_cmp_lt_i32 s31, 27
	s_cbranch_scc1 .LBB119_1636
; %bb.1634:
	s_cmp_gt_i32 s31, 27
	s_cbranch_scc0 .LBB119_1637
; %bb.1635:
	s_wait_loadcnt 0x0
	global_load_b32 v8, v[10:11], off
	s_mov_b32 s36, 0
	s_branch .LBB119_1638
.LBB119_1636:
	s_mov_b32 s36, -1
                                        ; implicit-def: $vgpr8
	s_branch .LBB119_1641
.LBB119_1637:
	s_mov_b32 s36, -1
                                        ; implicit-def: $vgpr8
.LBB119_1638:
	s_delay_alu instid0(SALU_CYCLE_1)
	s_and_not1_b32 vcc_lo, exec_lo, s36
	s_cbranch_vccnz .LBB119_1640
; %bb.1639:
	s_wait_loadcnt 0x0
	global_load_u16 v8, v[10:11], off
.LBB119_1640:
	s_mov_b32 s36, 0
.LBB119_1641:
	s_delay_alu instid0(SALU_CYCLE_1)
	s_and_not1_b32 vcc_lo, exec_lo, s36
	s_cbranch_vccnz .LBB119_1647
; %bb.1642:
	global_load_u8 v5, v[10:11], off
	s_mov_b32 s37, 0
	s_mov_b32 s4, exec_lo
	s_wait_loadcnt 0x0
	v_cmpx_lt_i16_e32 0x7f, v5
	s_xor_b32 s36, exec_lo, s4
	s_cbranch_execz .LBB119_1659
; %bb.1643:
	v_cmp_ne_u16_e32 vcc_lo, 0x80, v5
	s_and_b32 s37, vcc_lo, exec_lo
	s_and_not1_saveexec_b32 s36, s36
	s_cbranch_execnz .LBB119_1660
.LBB119_1644:
	s_or_b32 exec_lo, exec_lo, s36
	v_mov_b32_e32 v8, 0
	s_and_saveexec_b32 s36, s37
	s_cbranch_execz .LBB119_1646
.LBB119_1645:
	v_and_b32_e32 v7, 0xffff, v5
	s_delay_alu instid0(VALU_DEP_1) | instskip(SKIP_1) | instid1(VALU_DEP_2)
	v_and_b32_e32 v8, 7, v7
	v_bfe_u32 v13, v7, 3, 4
	v_clz_i32_u32_e32 v9, v8
	s_delay_alu instid0(VALU_DEP_2) | instskip(NEXT) | instid1(VALU_DEP_2)
	v_cmp_eq_u32_e32 vcc_lo, 0, v13
	v_min_u32_e32 v9, 32, v9
	s_delay_alu instid0(VALU_DEP_1) | instskip(NEXT) | instid1(VALU_DEP_1)
	v_subrev_nc_u32_e32 v12, 28, v9
	v_dual_lshlrev_b32 v7, v12, v7 :: v_dual_sub_nc_u32 v9, 29, v9
	s_delay_alu instid0(VALU_DEP_1) | instskip(NEXT) | instid1(VALU_DEP_1)
	v_dual_lshlrev_b32 v5, 24, v5 :: v_dual_bitop2_b32 v7, 7, v7 bitop3:0x40
	v_dual_cndmask_b32 v7, v8, v7, vcc_lo :: v_dual_cndmask_b32 v9, v13, v9, vcc_lo
	s_delay_alu instid0(VALU_DEP_2) | instskip(NEXT) | instid1(VALU_DEP_2)
	v_and_b32_e32 v5, 0x80000000, v5
	v_lshlrev_b32_e32 v7, 20, v7
	s_delay_alu instid0(VALU_DEP_3) | instskip(NEXT) | instid1(VALU_DEP_1)
	v_lshl_add_u32 v8, v9, 23, 0x3b800000
	v_or3_b32 v5, v5, v8, v7
	s_delay_alu instid0(VALU_DEP_1)
	v_cvt_i32_f32_e32 v8, v5
.LBB119_1646:
	s_or_b32 exec_lo, exec_lo, s36
.LBB119_1647:
	s_mov_b32 s49, -1
.LBB119_1648:
	s_mov_b32 s36, 0
.LBB119_1649:
	s_delay_alu instid0(SALU_CYCLE_1)
	s_and_b32 vcc_lo, exec_lo, s36
	s_cbranch_vccz .LBB119_1682
; %bb.1650:
	s_cmp_gt_i32 s31, 22
	s_cbranch_scc0 .LBB119_1658
; %bb.1651:
	s_cmp_lt_i32 s31, 24
	s_cbranch_scc1 .LBB119_1661
; %bb.1652:
	s_cmp_gt_i32 s31, 24
	s_cbranch_scc0 .LBB119_1662
; %bb.1653:
	global_load_u8 v5, v[10:11], off
	s_mov_b32 s37, 0
	s_mov_b32 s4, exec_lo
	s_wait_loadcnt 0x0
	v_cmpx_lt_i16_e32 0x7f, v5
	s_xor_b32 s36, exec_lo, s4
	s_cbranch_execz .LBB119_1674
; %bb.1654:
	v_cmp_ne_u16_e32 vcc_lo, 0x80, v5
	s_and_b32 s37, vcc_lo, exec_lo
	s_and_not1_saveexec_b32 s36, s36
	s_cbranch_execnz .LBB119_1675
.LBB119_1655:
	s_or_b32 exec_lo, exec_lo, s36
	v_mov_b32_e32 v8, 0
	s_and_saveexec_b32 s36, s37
	s_cbranch_execz .LBB119_1657
.LBB119_1656:
	v_and_b32_e32 v7, 0xffff, v5
	s_delay_alu instid0(VALU_DEP_1) | instskip(SKIP_1) | instid1(VALU_DEP_2)
	v_and_b32_e32 v8, 3, v7
	v_bfe_u32 v13, v7, 2, 5
	v_clz_i32_u32_e32 v9, v8
	s_delay_alu instid0(VALU_DEP_2) | instskip(NEXT) | instid1(VALU_DEP_2)
	v_cmp_eq_u32_e32 vcc_lo, 0, v13
	v_min_u32_e32 v9, 32, v9
	s_delay_alu instid0(VALU_DEP_1) | instskip(NEXT) | instid1(VALU_DEP_1)
	v_subrev_nc_u32_e32 v12, 29, v9
	v_dual_lshlrev_b32 v7, v12, v7 :: v_dual_sub_nc_u32 v9, 30, v9
	s_delay_alu instid0(VALU_DEP_1) | instskip(NEXT) | instid1(VALU_DEP_1)
	v_dual_lshlrev_b32 v5, 24, v5 :: v_dual_bitop2_b32 v7, 3, v7 bitop3:0x40
	v_dual_cndmask_b32 v7, v8, v7, vcc_lo :: v_dual_cndmask_b32 v9, v13, v9, vcc_lo
	s_delay_alu instid0(VALU_DEP_2) | instskip(NEXT) | instid1(VALU_DEP_2)
	v_and_b32_e32 v5, 0x80000000, v5
	v_lshlrev_b32_e32 v7, 21, v7
	s_delay_alu instid0(VALU_DEP_3) | instskip(NEXT) | instid1(VALU_DEP_1)
	v_lshl_add_u32 v8, v9, 23, 0x37800000
	v_or3_b32 v5, v5, v8, v7
	s_delay_alu instid0(VALU_DEP_1)
	v_cvt_i32_f32_e32 v8, v5
.LBB119_1657:
	s_or_b32 exec_lo, exec_lo, s36
	s_mov_b32 s36, 0
	s_branch .LBB119_1663
.LBB119_1658:
	s_mov_b32 s36, -1
                                        ; implicit-def: $vgpr8
	s_branch .LBB119_1669
.LBB119_1659:
	s_and_not1_saveexec_b32 s36, s36
	s_cbranch_execz .LBB119_1644
.LBB119_1660:
	v_cmp_ne_u16_e32 vcc_lo, 0, v5
	s_and_not1_b32 s4, s37, exec_lo
	s_and_b32 s5, vcc_lo, exec_lo
	s_delay_alu instid0(SALU_CYCLE_1)
	s_or_b32 s37, s4, s5
	s_or_b32 exec_lo, exec_lo, s36
	v_mov_b32_e32 v8, 0
	s_and_saveexec_b32 s36, s37
	s_cbranch_execnz .LBB119_1645
	s_branch .LBB119_1646
.LBB119_1661:
	s_mov_b32 s36, -1
                                        ; implicit-def: $vgpr8
	s_branch .LBB119_1666
.LBB119_1662:
	s_mov_b32 s36, -1
                                        ; implicit-def: $vgpr8
.LBB119_1663:
	s_delay_alu instid0(SALU_CYCLE_1)
	s_and_b32 vcc_lo, exec_lo, s36
	s_cbranch_vccz .LBB119_1665
; %bb.1664:
	global_load_u8 v5, v[10:11], off
	s_wait_loadcnt 0x0
	v_lshlrev_b32_e32 v5, 24, v5
	s_delay_alu instid0(VALU_DEP_1) | instskip(NEXT) | instid1(VALU_DEP_1)
	v_and_b32_e32 v7, 0x7f000000, v5
	v_clz_i32_u32_e32 v8, v7
	v_cmp_ne_u32_e32 vcc_lo, 0, v7
	v_add_nc_u32_e32 v12, 0x1000000, v7
	s_delay_alu instid0(VALU_DEP_3) | instskip(NEXT) | instid1(VALU_DEP_1)
	v_min_u32_e32 v8, 32, v8
	v_sub_nc_u32_e64 v8, v8, 4 clamp
	s_delay_alu instid0(VALU_DEP_1) | instskip(NEXT) | instid1(VALU_DEP_1)
	v_dual_lshlrev_b32 v9, v8, v7 :: v_dual_lshlrev_b32 v8, 23, v8
	v_lshrrev_b32_e32 v9, 4, v9
	s_delay_alu instid0(VALU_DEP_1) | instskip(SKIP_1) | instid1(VALU_DEP_2)
	v_sub_nc_u32_e32 v8, v9, v8
	v_ashrrev_i32_e32 v9, 8, v12
	v_add_nc_u32_e32 v8, 0x3c000000, v8
	s_delay_alu instid0(VALU_DEP_1) | instskip(NEXT) | instid1(VALU_DEP_1)
	v_and_or_b32 v8, 0x7f800000, v9, v8
	v_cndmask_b32_e32 v7, 0, v8, vcc_lo
	s_delay_alu instid0(VALU_DEP_1) | instskip(NEXT) | instid1(VALU_DEP_1)
	v_and_or_b32 v5, 0x80000000, v5, v7
	v_cvt_i32_f32_e32 v8, v5
.LBB119_1665:
	s_mov_b32 s36, 0
.LBB119_1666:
	s_delay_alu instid0(SALU_CYCLE_1)
	s_and_not1_b32 vcc_lo, exec_lo, s36
	s_cbranch_vccnz .LBB119_1668
; %bb.1667:
	global_load_u8 v5, v[10:11], off
	s_wait_loadcnt 0x0
	v_lshlrev_b32_e32 v7, 25, v5
	v_lshlrev_b16 v5, 8, v5
	s_delay_alu instid0(VALU_DEP_1) | instskip(NEXT) | instid1(VALU_DEP_3)
	v_and_or_b32 v9, 0x7f00, v5, 0.5
	v_lshrrev_b32_e32 v8, 4, v7
	v_bfe_i32 v5, v5, 0, 16
	s_delay_alu instid0(VALU_DEP_3) | instskip(NEXT) | instid1(VALU_DEP_3)
	v_add_f32_e32 v9, -0.5, v9
	v_or_b32_e32 v8, 0x70000000, v8
	s_delay_alu instid0(VALU_DEP_1) | instskip(SKIP_1) | instid1(VALU_DEP_2)
	v_mul_f32_e32 v8, 0x7800000, v8
	v_cmp_gt_u32_e32 vcc_lo, 0x8000000, v7
	v_cndmask_b32_e32 v7, v8, v9, vcc_lo
	s_delay_alu instid0(VALU_DEP_1) | instskip(NEXT) | instid1(VALU_DEP_1)
	v_and_or_b32 v5, 0x80000000, v5, v7
	v_cvt_i32_f32_e32 v8, v5
.LBB119_1668:
	s_mov_b32 s36, 0
	s_mov_b32 s49, -1
.LBB119_1669:
	s_and_not1_b32 vcc_lo, exec_lo, s36
	s_cbranch_vccnz .LBB119_1682
; %bb.1670:
	s_cmp_gt_i32 s31, 14
	s_cbranch_scc0 .LBB119_1673
; %bb.1671:
	s_cmp_eq_u32 s31, 15
	s_cbranch_scc0 .LBB119_1676
; %bb.1672:
	global_load_u16 v5, v[10:11], off
	s_mov_b32 s49, -1
	s_mov_b32 s30, 0
	s_wait_loadcnt 0x0
	v_lshlrev_b32_e32 v5, 16, v5
	s_delay_alu instid0(VALU_DEP_1)
	v_cvt_i32_f32_e32 v8, v5
	s_branch .LBB119_1677
.LBB119_1673:
	s_mov_b32 s36, -1
                                        ; implicit-def: $vgpr8
	s_branch .LBB119_1678
.LBB119_1674:
	s_and_not1_saveexec_b32 s36, s36
	s_cbranch_execz .LBB119_1655
.LBB119_1675:
	v_cmp_ne_u16_e32 vcc_lo, 0, v5
	s_and_not1_b32 s4, s37, exec_lo
	s_and_b32 s5, vcc_lo, exec_lo
	s_delay_alu instid0(SALU_CYCLE_1)
	s_or_b32 s37, s4, s5
	s_or_b32 exec_lo, exec_lo, s36
	v_mov_b32_e32 v8, 0
	s_and_saveexec_b32 s36, s37
	s_cbranch_execnz .LBB119_1656
	s_branch .LBB119_1657
.LBB119_1676:
	s_mov_b32 s30, -1
                                        ; implicit-def: $vgpr8
.LBB119_1677:
	s_mov_b32 s36, 0
.LBB119_1678:
	s_delay_alu instid0(SALU_CYCLE_1)
	s_and_b32 vcc_lo, exec_lo, s36
	s_cbranch_vccz .LBB119_1682
; %bb.1679:
	s_cmp_eq_u32 s31, 11
	s_cbranch_scc0 .LBB119_1681
; %bb.1680:
	global_load_u8 v5, v[10:11], off
	s_mov_b32 s30, 0
	s_mov_b32 s49, -1
	s_wait_loadcnt 0x0
	v_cmp_ne_u16_e32 vcc_lo, 0, v5
	v_cndmask_b32_e64 v8, 0, 1, vcc_lo
	s_branch .LBB119_1682
.LBB119_1681:
	s_mov_b32 s30, -1
                                        ; implicit-def: $vgpr8
.LBB119_1682:
	s_mov_b32 s31, 0
.LBB119_1683:
	s_delay_alu instid0(SALU_CYCLE_1)
	s_and_b32 vcc_lo, exec_lo, s31
	s_cbranch_vccz .LBB119_1732
; %bb.1684:
	s_and_b32 s0, 0xffff, s0
	s_delay_alu instid0(SALU_CYCLE_1)
	s_cmp_lt_i32 s0, 5
	s_cbranch_scc1 .LBB119_1689
; %bb.1685:
	s_cmp_lt_i32 s0, 8
	s_cbranch_scc1 .LBB119_1690
; %bb.1686:
	;; [unrolled: 3-line block ×3, first 2 shown]
	s_cmp_gt_i32 s0, 9
	s_cbranch_scc0 .LBB119_1692
; %bb.1688:
	s_wait_loadcnt 0x0
	global_load_b64 v[8:9], v[10:11], off
	s_mov_b32 s31, 0
	s_wait_loadcnt 0x0
	v_cvt_i32_f64_e32 v8, v[8:9]
	s_branch .LBB119_1693
.LBB119_1689:
	s_mov_b32 s31, -1
                                        ; implicit-def: $vgpr8
	s_branch .LBB119_1711
.LBB119_1690:
	s_mov_b32 s31, -1
                                        ; implicit-def: $vgpr8
	s_branch .LBB119_1699
.LBB119_1691:
	s_mov_b32 s31, -1
                                        ; implicit-def: $vgpr8
	s_branch .LBB119_1696
.LBB119_1692:
	s_mov_b32 s31, -1
                                        ; implicit-def: $vgpr8
.LBB119_1693:
	s_delay_alu instid0(SALU_CYCLE_1)
	s_and_not1_b32 vcc_lo, exec_lo, s31
	s_cbranch_vccnz .LBB119_1695
; %bb.1694:
	global_load_b32 v5, v[10:11], off
	s_wait_loadcnt 0x0
	v_cvt_i32_f32_e32 v8, v5
.LBB119_1695:
	s_mov_b32 s31, 0
.LBB119_1696:
	s_delay_alu instid0(SALU_CYCLE_1)
	s_and_not1_b32 vcc_lo, exec_lo, s31
	s_cbranch_vccnz .LBB119_1698
; %bb.1697:
	global_load_b32 v5, v[10:11], off
	s_wait_loadcnt 0x0
	v_cvt_f32_f16_e32 v5, v5
	s_delay_alu instid0(VALU_DEP_1)
	v_cvt_i32_f32_e32 v8, v5
.LBB119_1698:
	s_mov_b32 s31, 0
.LBB119_1699:
	s_delay_alu instid0(SALU_CYCLE_1)
	s_and_not1_b32 vcc_lo, exec_lo, s31
	s_cbranch_vccnz .LBB119_1710
; %bb.1700:
	s_cmp_lt_i32 s0, 6
	s_cbranch_scc1 .LBB119_1703
; %bb.1701:
	s_cmp_gt_i32 s0, 6
	s_cbranch_scc0 .LBB119_1704
; %bb.1702:
	s_wait_loadcnt 0x0
	global_load_b64 v[8:9], v[10:11], off
	s_mov_b32 s31, 0
	s_wait_loadcnt 0x0
	v_cvt_i32_f64_e32 v8, v[8:9]
	s_branch .LBB119_1705
.LBB119_1703:
	s_mov_b32 s31, -1
                                        ; implicit-def: $vgpr8
	s_branch .LBB119_1708
.LBB119_1704:
	s_mov_b32 s31, -1
                                        ; implicit-def: $vgpr8
.LBB119_1705:
	s_delay_alu instid0(SALU_CYCLE_1)
	s_and_not1_b32 vcc_lo, exec_lo, s31
	s_cbranch_vccnz .LBB119_1707
; %bb.1706:
	global_load_b32 v5, v[10:11], off
	s_wait_loadcnt 0x0
	v_cvt_i32_f32_e32 v8, v5
.LBB119_1707:
	s_mov_b32 s31, 0
.LBB119_1708:
	s_delay_alu instid0(SALU_CYCLE_1)
	s_and_not1_b32 vcc_lo, exec_lo, s31
	s_cbranch_vccnz .LBB119_1710
; %bb.1709:
	global_load_u16 v5, v[10:11], off
	s_wait_loadcnt 0x0
	v_cvt_f32_f16_e32 v5, v5
	s_delay_alu instid0(VALU_DEP_1)
	v_cvt_i32_f32_e32 v8, v5
.LBB119_1710:
	s_mov_b32 s31, 0
.LBB119_1711:
	s_delay_alu instid0(SALU_CYCLE_1)
	s_and_not1_b32 vcc_lo, exec_lo, s31
	s_cbranch_vccnz .LBB119_1731
; %bb.1712:
	s_cmp_lt_i32 s0, 2
	s_cbranch_scc1 .LBB119_1716
; %bb.1713:
	s_cmp_lt_i32 s0, 3
	s_cbranch_scc1 .LBB119_1717
; %bb.1714:
	s_cmp_gt_i32 s0, 3
	s_cbranch_scc0 .LBB119_1718
; %bb.1715:
	s_wait_loadcnt 0x0
	global_load_b32 v8, v[10:11], off
	s_mov_b32 s31, 0
	s_branch .LBB119_1719
.LBB119_1716:
	s_mov_b32 s31, -1
                                        ; implicit-def: $vgpr8
	s_branch .LBB119_1725
.LBB119_1717:
	s_mov_b32 s31, -1
                                        ; implicit-def: $vgpr8
	s_branch .LBB119_1722
.LBB119_1718:
	s_mov_b32 s31, -1
                                        ; implicit-def: $vgpr8
.LBB119_1719:
	s_delay_alu instid0(SALU_CYCLE_1)
	s_and_not1_b32 vcc_lo, exec_lo, s31
	s_cbranch_vccnz .LBB119_1721
; %bb.1720:
	s_wait_loadcnt 0x0
	global_load_b32 v8, v[10:11], off
.LBB119_1721:
	s_mov_b32 s31, 0
.LBB119_1722:
	s_delay_alu instid0(SALU_CYCLE_1)
	s_and_not1_b32 vcc_lo, exec_lo, s31
	s_cbranch_vccnz .LBB119_1724
; %bb.1723:
	s_wait_loadcnt 0x0
	global_load_i16 v8, v[10:11], off
.LBB119_1724:
	s_mov_b32 s31, 0
.LBB119_1725:
	s_delay_alu instid0(SALU_CYCLE_1)
	s_and_not1_b32 vcc_lo, exec_lo, s31
	s_cbranch_vccnz .LBB119_1731
; %bb.1726:
	s_cmp_gt_i32 s0, 0
	s_mov_b32 s0, 0
	s_cbranch_scc0 .LBB119_1728
; %bb.1727:
	s_wait_loadcnt 0x0
	global_load_i8 v8, v[10:11], off
	s_branch .LBB119_1729
.LBB119_1728:
	s_mov_b32 s0, -1
                                        ; implicit-def: $vgpr8
.LBB119_1729:
	s_delay_alu instid0(SALU_CYCLE_1)
	s_and_not1_b32 vcc_lo, exec_lo, s0
	s_cbranch_vccnz .LBB119_1731
; %bb.1730:
	s_wait_loadcnt 0x0
	global_load_u8 v8, v[10:11], off
.LBB119_1731:
	s_mov_b32 s49, -1
.LBB119_1732:
	s_delay_alu instid0(SALU_CYCLE_1)
	s_and_not1_b32 vcc_lo, exec_lo, s49
	s_cbranch_vccnz .LBB119_1740
; %bb.1733:
	s_load_b128 s[4:7], s[2:3], 0x268
	v_mov_b32_e32 v7, 0
	s_and_b32 s0, s35, 0xff
	s_delay_alu instid0(SALU_CYCLE_1) | instskip(SKIP_1) | instid1(VALU_DEP_1)
	s_cmp_lt_i32 s0, 11
	s_wait_kmcnt 0x0
	v_add_nc_u64_e32 v[10:11], s[4:5], v[6:7]
	s_cbranch_scc1 .LBB119_1741
; %bb.1734:
	s_and_b32 s49, 0xffff, s0
	s_delay_alu instid0(SALU_CYCLE_1)
	s_cmp_gt_i32 s49, 25
	s_cbranch_scc0 .LBB119_1742
; %bb.1735:
	s_cmp_gt_i32 s49, 28
	s_cbranch_scc0 .LBB119_1743
; %bb.1736:
	;; [unrolled: 3-line block ×4, first 2 shown]
	s_cmp_eq_u32 s49, 46
	s_mov_b32 s36, 0
	s_cbranch_scc0 .LBB119_1747
; %bb.1739:
	global_load_b32 v5, v[10:11], off
	s_mov_b32 s56, -1
	s_mov_b32 s31, 0
	s_wait_loadcnt 0x0
	v_lshlrev_b32_e32 v5, 16, v5
	s_delay_alu instid0(VALU_DEP_1)
	v_cvt_i32_f32_e32 v6, v5
	s_branch .LBB119_1749
.LBB119_1740:
	s_mov_b32 s0, 0
	s_mov_b32 s36, s99
	s_mov_b32 s37, s100
	s_mov_b32 s38, s101
	s_mov_b32 s49, s97
	s_mov_b32 s39, s98
	s_mov_b32 s74, s95
	s_mov_b32 s31, s96
	s_branch .LBB119_2084
.LBB119_1741:
	s_mov_b32 s36, -1
	s_mov_b32 s56, 0
	s_mov_b32 s31, s96
                                        ; implicit-def: $vgpr6
	s_branch .LBB119_1810
.LBB119_1742:
	s_mov_b32 s36, -1
	s_mov_b32 s56, 0
	s_mov_b32 s31, s96
                                        ; implicit-def: $vgpr6
	s_branch .LBB119_1776
.LBB119_1743:
	s_mov_b32 s36, -1
	s_mov_b32 s56, 0
	s_mov_b32 s31, s96
                                        ; implicit-def: $vgpr6
	s_branch .LBB119_1759
.LBB119_1744:
	s_mov_b32 s36, -1
	s_mov_b32 s56, 0
	s_mov_b32 s31, s96
                                        ; implicit-def: $vgpr6
	s_branch .LBB119_1754
.LBB119_1745:
	s_mov_b32 s36, -1
	s_mov_b32 s56, 0
	s_mov_b32 s31, s96
	s_branch .LBB119_1748
.LBB119_1746:
	s_mov_b32 s36, -1
	s_mov_b32 s59, 0
	s_mov_b32 s56, s45
	s_branch .LBB119_3612
.LBB119_1747:
	s_mov_b32 s31, -1
	s_mov_b32 s56, 0
.LBB119_1748:
                                        ; implicit-def: $vgpr6
.LBB119_1749:
	s_and_b32 vcc_lo, exec_lo, s36
	s_cbranch_vccz .LBB119_1753
; %bb.1750:
	s_cmp_eq_u32 s49, 44
	s_cbranch_scc0 .LBB119_1752
; %bb.1751:
	global_load_u8 v5, v[10:11], off
	s_mov_b32 s31, 0
	s_mov_b32 s56, -1
	s_wait_loadcnt 0x0
	v_lshlrev_b32_e32 v6, 23, v5
	v_cmp_ne_u32_e32 vcc_lo, 0, v5
	s_delay_alu instid0(VALU_DEP_2) | instskip(NEXT) | instid1(VALU_DEP_1)
	v_cvt_i32_f32_e32 v6, v6
	v_cndmask_b32_e32 v6, 0, v6, vcc_lo
	s_branch .LBB119_1753
.LBB119_1752:
	s_mov_b32 s31, -1
                                        ; implicit-def: $vgpr6
.LBB119_1753:
	s_mov_b32 s36, 0
.LBB119_1754:
	s_delay_alu instid0(SALU_CYCLE_1)
	s_and_b32 vcc_lo, exec_lo, s36
	s_cbranch_vccz .LBB119_1758
; %bb.1755:
	s_cmp_eq_u32 s49, 29
	s_cbranch_scc0 .LBB119_1757
; %bb.1756:
	global_load_b32 v6, v[10:11], off
	s_mov_b32 s56, -1
	s_mov_b32 s31, 0
	s_branch .LBB119_1758
.LBB119_1757:
	s_mov_b32 s31, -1
                                        ; implicit-def: $vgpr6
.LBB119_1758:
	s_mov_b32 s36, 0
.LBB119_1759:
	s_delay_alu instid0(SALU_CYCLE_1)
	s_and_b32 vcc_lo, exec_lo, s36
	s_cbranch_vccz .LBB119_1775
; %bb.1760:
	s_cmp_lt_i32 s49, 27
	s_cbranch_scc1 .LBB119_1763
; %bb.1761:
	s_cmp_gt_i32 s49, 27
	s_cbranch_scc0 .LBB119_1764
; %bb.1762:
	s_wait_loadcnt 0x0
	global_load_b32 v6, v[10:11], off
	s_mov_b32 s36, 0
	s_branch .LBB119_1765
.LBB119_1763:
	s_mov_b32 s36, -1
                                        ; implicit-def: $vgpr6
	s_branch .LBB119_1768
.LBB119_1764:
	s_mov_b32 s36, -1
                                        ; implicit-def: $vgpr6
.LBB119_1765:
	s_delay_alu instid0(SALU_CYCLE_1)
	s_and_not1_b32 vcc_lo, exec_lo, s36
	s_cbranch_vccnz .LBB119_1767
; %bb.1766:
	s_wait_loadcnt 0x0
	global_load_u16 v6, v[10:11], off
.LBB119_1767:
	s_mov_b32 s36, 0
.LBB119_1768:
	s_delay_alu instid0(SALU_CYCLE_1)
	s_and_not1_b32 vcc_lo, exec_lo, s36
	s_cbranch_vccnz .LBB119_1774
; %bb.1769:
	global_load_u8 v5, v[10:11], off
	s_mov_b32 s37, 0
	s_mov_b32 s4, exec_lo
	s_wait_loadcnt 0x0
	v_cmpx_lt_i16_e32 0x7f, v5
	s_xor_b32 s36, exec_lo, s4
	s_cbranch_execz .LBB119_1786
; %bb.1770:
	v_cmp_ne_u16_e32 vcc_lo, 0x80, v5
	s_and_b32 s37, vcc_lo, exec_lo
	s_and_not1_saveexec_b32 s36, s36
	s_cbranch_execnz .LBB119_1787
.LBB119_1771:
	s_or_b32 exec_lo, exec_lo, s36
	v_mov_b32_e32 v6, 0
	s_and_saveexec_b32 s36, s37
	s_cbranch_execz .LBB119_1773
.LBB119_1772:
	v_and_b32_e32 v6, 0xffff, v5
	s_delay_alu instid0(VALU_DEP_1) | instskip(SKIP_1) | instid1(VALU_DEP_2)
	v_and_b32_e32 v7, 7, v6
	v_bfe_u32 v13, v6, 3, 4
	v_clz_i32_u32_e32 v9, v7
	s_delay_alu instid0(VALU_DEP_2) | instskip(NEXT) | instid1(VALU_DEP_2)
	v_cmp_eq_u32_e32 vcc_lo, 0, v13
	v_min_u32_e32 v9, 32, v9
	s_delay_alu instid0(VALU_DEP_1) | instskip(NEXT) | instid1(VALU_DEP_1)
	v_subrev_nc_u32_e32 v12, 28, v9
	v_dual_lshlrev_b32 v6, v12, v6 :: v_dual_sub_nc_u32 v9, 29, v9
	s_delay_alu instid0(VALU_DEP_1) | instskip(NEXT) | instid1(VALU_DEP_1)
	v_dual_lshlrev_b32 v5, 24, v5 :: v_dual_bitop2_b32 v6, 7, v6 bitop3:0x40
	v_dual_cndmask_b32 v6, v7, v6 :: v_dual_cndmask_b32 v9, v13, v9
	s_delay_alu instid0(VALU_DEP_2) | instskip(NEXT) | instid1(VALU_DEP_2)
	v_and_b32_e32 v5, 0x80000000, v5
	v_lshlrev_b32_e32 v6, 20, v6
	s_delay_alu instid0(VALU_DEP_3) | instskip(NEXT) | instid1(VALU_DEP_1)
	v_lshl_add_u32 v7, v9, 23, 0x3b800000
	v_or3_b32 v5, v5, v7, v6
	s_delay_alu instid0(VALU_DEP_1)
	v_cvt_i32_f32_e32 v6, v5
.LBB119_1773:
	s_or_b32 exec_lo, exec_lo, s36
.LBB119_1774:
	s_mov_b32 s56, -1
.LBB119_1775:
	s_mov_b32 s36, 0
.LBB119_1776:
	s_delay_alu instid0(SALU_CYCLE_1)
	s_and_b32 vcc_lo, exec_lo, s36
	s_cbranch_vccz .LBB119_1809
; %bb.1777:
	s_cmp_gt_i32 s49, 22
	s_cbranch_scc0 .LBB119_1785
; %bb.1778:
	s_cmp_lt_i32 s49, 24
	s_cbranch_scc1 .LBB119_1788
; %bb.1779:
	s_cmp_gt_i32 s49, 24
	s_cbranch_scc0 .LBB119_1789
; %bb.1780:
	global_load_u8 v5, v[10:11], off
	s_mov_b32 s37, 0
	s_mov_b32 s4, exec_lo
	s_wait_loadcnt 0x0
	v_cmpx_lt_i16_e32 0x7f, v5
	s_xor_b32 s36, exec_lo, s4
	s_cbranch_execz .LBB119_1801
; %bb.1781:
	v_cmp_ne_u16_e32 vcc_lo, 0x80, v5
	s_and_b32 s37, vcc_lo, exec_lo
	s_and_not1_saveexec_b32 s36, s36
	s_cbranch_execnz .LBB119_1802
.LBB119_1782:
	s_or_b32 exec_lo, exec_lo, s36
	v_mov_b32_e32 v6, 0
	s_and_saveexec_b32 s36, s37
	s_cbranch_execz .LBB119_1784
.LBB119_1783:
	v_and_b32_e32 v6, 0xffff, v5
	s_delay_alu instid0(VALU_DEP_1) | instskip(SKIP_1) | instid1(VALU_DEP_2)
	v_and_b32_e32 v7, 3, v6
	v_bfe_u32 v13, v6, 2, 5
	v_clz_i32_u32_e32 v9, v7
	s_delay_alu instid0(VALU_DEP_2) | instskip(NEXT) | instid1(VALU_DEP_2)
	v_cmp_eq_u32_e32 vcc_lo, 0, v13
	v_min_u32_e32 v9, 32, v9
	s_delay_alu instid0(VALU_DEP_1) | instskip(NEXT) | instid1(VALU_DEP_1)
	v_subrev_nc_u32_e32 v12, 29, v9
	v_dual_lshlrev_b32 v6, v12, v6 :: v_dual_sub_nc_u32 v9, 30, v9
	s_delay_alu instid0(VALU_DEP_1) | instskip(NEXT) | instid1(VALU_DEP_1)
	v_dual_lshlrev_b32 v5, 24, v5 :: v_dual_bitop2_b32 v6, 3, v6 bitop3:0x40
	v_dual_cndmask_b32 v6, v7, v6 :: v_dual_cndmask_b32 v9, v13, v9
	s_delay_alu instid0(VALU_DEP_2) | instskip(NEXT) | instid1(VALU_DEP_2)
	v_and_b32_e32 v5, 0x80000000, v5
	v_lshlrev_b32_e32 v6, 21, v6
	s_delay_alu instid0(VALU_DEP_3) | instskip(NEXT) | instid1(VALU_DEP_1)
	v_lshl_add_u32 v7, v9, 23, 0x37800000
	v_or3_b32 v5, v5, v7, v6
	s_delay_alu instid0(VALU_DEP_1)
	v_cvt_i32_f32_e32 v6, v5
.LBB119_1784:
	s_or_b32 exec_lo, exec_lo, s36
	s_mov_b32 s36, 0
	s_branch .LBB119_1790
.LBB119_1785:
	s_mov_b32 s36, -1
                                        ; implicit-def: $vgpr6
	s_branch .LBB119_1796
.LBB119_1786:
	s_and_not1_saveexec_b32 s36, s36
	s_cbranch_execz .LBB119_1771
.LBB119_1787:
	v_cmp_ne_u16_e32 vcc_lo, 0, v5
	s_and_not1_b32 s4, s37, exec_lo
	s_and_b32 s5, vcc_lo, exec_lo
	s_delay_alu instid0(SALU_CYCLE_1)
	s_or_b32 s37, s4, s5
	s_or_b32 exec_lo, exec_lo, s36
	v_mov_b32_e32 v6, 0
	s_and_saveexec_b32 s36, s37
	s_cbranch_execnz .LBB119_1772
	s_branch .LBB119_1773
.LBB119_1788:
	s_mov_b32 s36, -1
                                        ; implicit-def: $vgpr6
	s_branch .LBB119_1793
.LBB119_1789:
	s_mov_b32 s36, -1
                                        ; implicit-def: $vgpr6
.LBB119_1790:
	s_delay_alu instid0(SALU_CYCLE_1)
	s_and_b32 vcc_lo, exec_lo, s36
	s_cbranch_vccz .LBB119_1792
; %bb.1791:
	global_load_u8 v5, v[10:11], off
	s_wait_loadcnt 0x0
	v_lshlrev_b32_e32 v5, 24, v5
	s_delay_alu instid0(VALU_DEP_1) | instskip(NEXT) | instid1(VALU_DEP_1)
	v_and_b32_e32 v6, 0x7f000000, v5
	v_clz_i32_u32_e32 v7, v6
	v_add_nc_u32_e32 v12, 0x1000000, v6
	v_cmp_ne_u32_e32 vcc_lo, 0, v6
	s_delay_alu instid0(VALU_DEP_3) | instskip(NEXT) | instid1(VALU_DEP_1)
	v_min_u32_e32 v7, 32, v7
	v_sub_nc_u32_e64 v7, v7, 4 clamp
	s_delay_alu instid0(VALU_DEP_1) | instskip(NEXT) | instid1(VALU_DEP_1)
	v_dual_lshlrev_b32 v9, v7, v6 :: v_dual_lshlrev_b32 v7, 23, v7
	v_lshrrev_b32_e32 v9, 4, v9
	s_delay_alu instid0(VALU_DEP_1) | instskip(NEXT) | instid1(VALU_DEP_1)
	v_dual_sub_nc_u32 v7, v9, v7 :: v_dual_ashrrev_i32 v9, 8, v12
	v_add_nc_u32_e32 v7, 0x3c000000, v7
	s_delay_alu instid0(VALU_DEP_1) | instskip(NEXT) | instid1(VALU_DEP_1)
	v_and_or_b32 v7, 0x7f800000, v9, v7
	v_cndmask_b32_e32 v6, 0, v7, vcc_lo
	s_delay_alu instid0(VALU_DEP_1) | instskip(NEXT) | instid1(VALU_DEP_1)
	v_and_or_b32 v5, 0x80000000, v5, v6
	v_cvt_i32_f32_e32 v6, v5
.LBB119_1792:
	s_mov_b32 s36, 0
.LBB119_1793:
	s_delay_alu instid0(SALU_CYCLE_1)
	s_and_not1_b32 vcc_lo, exec_lo, s36
	s_cbranch_vccnz .LBB119_1795
; %bb.1794:
	global_load_u8 v5, v[10:11], off
	s_wait_loadcnt 0x0
	v_lshlrev_b32_e32 v6, 25, v5
	v_lshlrev_b16 v5, 8, v5
	s_delay_alu instid0(VALU_DEP_1) | instskip(NEXT) | instid1(VALU_DEP_3)
	v_and_or_b32 v9, 0x7f00, v5, 0.5
	v_lshrrev_b32_e32 v7, 4, v6
	v_bfe_i32 v5, v5, 0, 16
	s_delay_alu instid0(VALU_DEP_3) | instskip(NEXT) | instid1(VALU_DEP_3)
	v_add_f32_e32 v9, -0.5, v9
	v_or_b32_e32 v7, 0x70000000, v7
	s_delay_alu instid0(VALU_DEP_1) | instskip(SKIP_1) | instid1(VALU_DEP_2)
	v_mul_f32_e32 v7, 0x7800000, v7
	v_cmp_gt_u32_e32 vcc_lo, 0x8000000, v6
	v_cndmask_b32_e32 v6, v7, v9, vcc_lo
	s_delay_alu instid0(VALU_DEP_1) | instskip(NEXT) | instid1(VALU_DEP_1)
	v_and_or_b32 v5, 0x80000000, v5, v6
	v_cvt_i32_f32_e32 v6, v5
.LBB119_1795:
	s_mov_b32 s36, 0
	s_mov_b32 s56, -1
.LBB119_1796:
	s_and_not1_b32 vcc_lo, exec_lo, s36
	s_cbranch_vccnz .LBB119_1809
; %bb.1797:
	s_cmp_gt_i32 s49, 14
	s_cbranch_scc0 .LBB119_1800
; %bb.1798:
	s_cmp_eq_u32 s49, 15
	s_cbranch_scc0 .LBB119_1803
; %bb.1799:
	global_load_u16 v5, v[10:11], off
	s_mov_b32 s56, -1
	s_mov_b32 s31, 0
	s_wait_loadcnt 0x0
	v_lshlrev_b32_e32 v5, 16, v5
	s_delay_alu instid0(VALU_DEP_1)
	v_cvt_i32_f32_e32 v6, v5
	s_branch .LBB119_1804
.LBB119_1800:
	s_mov_b32 s36, -1
                                        ; implicit-def: $vgpr6
	s_branch .LBB119_1805
.LBB119_1801:
	s_and_not1_saveexec_b32 s36, s36
	s_cbranch_execz .LBB119_1782
.LBB119_1802:
	v_cmp_ne_u16_e32 vcc_lo, 0, v5
	s_and_not1_b32 s4, s37, exec_lo
	s_and_b32 s5, vcc_lo, exec_lo
	s_delay_alu instid0(SALU_CYCLE_1)
	s_or_b32 s37, s4, s5
	s_or_b32 exec_lo, exec_lo, s36
	v_mov_b32_e32 v6, 0
	s_and_saveexec_b32 s36, s37
	s_cbranch_execnz .LBB119_1783
	s_branch .LBB119_1784
.LBB119_1803:
	s_mov_b32 s31, -1
                                        ; implicit-def: $vgpr6
.LBB119_1804:
	s_mov_b32 s36, 0
.LBB119_1805:
	s_delay_alu instid0(SALU_CYCLE_1)
	s_and_b32 vcc_lo, exec_lo, s36
	s_cbranch_vccz .LBB119_1809
; %bb.1806:
	s_cmp_eq_u32 s49, 11
	s_cbranch_scc0 .LBB119_1808
; %bb.1807:
	global_load_u8 v5, v[10:11], off
	s_mov_b32 s31, 0
	s_mov_b32 s56, -1
	s_wait_loadcnt 0x0
	v_cmp_ne_u16_e32 vcc_lo, 0, v5
	v_cndmask_b32_e64 v6, 0, 1, vcc_lo
	s_branch .LBB119_1809
.LBB119_1808:
	s_mov_b32 s31, -1
                                        ; implicit-def: $vgpr6
.LBB119_1809:
	s_mov_b32 s36, 0
.LBB119_1810:
	s_delay_alu instid0(SALU_CYCLE_1)
	s_and_b32 vcc_lo, exec_lo, s36
	s_cbranch_vccz .LBB119_1859
; %bb.1811:
	s_and_b32 s0, 0xffff, s0
	s_delay_alu instid0(SALU_CYCLE_1)
	s_cmp_lt_i32 s0, 5
	s_cbranch_scc1 .LBB119_1816
; %bb.1812:
	s_cmp_lt_i32 s0, 8
	s_cbranch_scc1 .LBB119_1817
; %bb.1813:
	;; [unrolled: 3-line block ×3, first 2 shown]
	s_cmp_gt_i32 s0, 9
	s_cbranch_scc0 .LBB119_1819
; %bb.1815:
	s_wait_loadcnt 0x0
	global_load_b64 v[6:7], v[10:11], off
	s_mov_b32 s36, 0
	s_wait_loadcnt 0x0
	v_cvt_i32_f64_e32 v6, v[6:7]
	s_branch .LBB119_1820
.LBB119_1816:
	s_mov_b32 s36, -1
                                        ; implicit-def: $vgpr6
	s_branch .LBB119_1838
.LBB119_1817:
	s_mov_b32 s36, -1
                                        ; implicit-def: $vgpr6
	s_branch .LBB119_1826
.LBB119_1818:
	s_mov_b32 s36, -1
                                        ; implicit-def: $vgpr6
	s_branch .LBB119_1823
.LBB119_1819:
	s_mov_b32 s36, -1
                                        ; implicit-def: $vgpr6
.LBB119_1820:
	s_delay_alu instid0(SALU_CYCLE_1)
	s_and_not1_b32 vcc_lo, exec_lo, s36
	s_cbranch_vccnz .LBB119_1822
; %bb.1821:
	global_load_b32 v5, v[10:11], off
	s_wait_loadcnt 0x0
	v_cvt_i32_f32_e32 v6, v5
.LBB119_1822:
	s_mov_b32 s36, 0
.LBB119_1823:
	s_delay_alu instid0(SALU_CYCLE_1)
	s_and_not1_b32 vcc_lo, exec_lo, s36
	s_cbranch_vccnz .LBB119_1825
; %bb.1824:
	global_load_b32 v5, v[10:11], off
	s_wait_loadcnt 0x0
	v_cvt_f32_f16_e32 v5, v5
	s_delay_alu instid0(VALU_DEP_1)
	v_cvt_i32_f32_e32 v6, v5
.LBB119_1825:
	s_mov_b32 s36, 0
.LBB119_1826:
	s_delay_alu instid0(SALU_CYCLE_1)
	s_and_not1_b32 vcc_lo, exec_lo, s36
	s_cbranch_vccnz .LBB119_1837
; %bb.1827:
	s_cmp_lt_i32 s0, 6
	s_cbranch_scc1 .LBB119_1830
; %bb.1828:
	s_cmp_gt_i32 s0, 6
	s_cbranch_scc0 .LBB119_1831
; %bb.1829:
	s_wait_loadcnt 0x0
	global_load_b64 v[6:7], v[10:11], off
	s_mov_b32 s36, 0
	s_wait_loadcnt 0x0
	v_cvt_i32_f64_e32 v6, v[6:7]
	s_branch .LBB119_1832
.LBB119_1830:
	s_mov_b32 s36, -1
                                        ; implicit-def: $vgpr6
	s_branch .LBB119_1835
.LBB119_1831:
	s_mov_b32 s36, -1
                                        ; implicit-def: $vgpr6
.LBB119_1832:
	s_delay_alu instid0(SALU_CYCLE_1)
	s_and_not1_b32 vcc_lo, exec_lo, s36
	s_cbranch_vccnz .LBB119_1834
; %bb.1833:
	global_load_b32 v5, v[10:11], off
	s_wait_loadcnt 0x0
	v_cvt_i32_f32_e32 v6, v5
.LBB119_1834:
	s_mov_b32 s36, 0
.LBB119_1835:
	s_delay_alu instid0(SALU_CYCLE_1)
	s_and_not1_b32 vcc_lo, exec_lo, s36
	s_cbranch_vccnz .LBB119_1837
; %bb.1836:
	global_load_u16 v5, v[10:11], off
	s_wait_loadcnt 0x0
	v_cvt_f32_f16_e32 v5, v5
	s_delay_alu instid0(VALU_DEP_1)
	v_cvt_i32_f32_e32 v6, v5
.LBB119_1837:
	s_mov_b32 s36, 0
.LBB119_1838:
	s_delay_alu instid0(SALU_CYCLE_1)
	s_and_not1_b32 vcc_lo, exec_lo, s36
	s_cbranch_vccnz .LBB119_1858
; %bb.1839:
	s_cmp_lt_i32 s0, 2
	s_cbranch_scc1 .LBB119_1843
; %bb.1840:
	s_cmp_lt_i32 s0, 3
	s_cbranch_scc1 .LBB119_1844
; %bb.1841:
	s_cmp_gt_i32 s0, 3
	s_cbranch_scc0 .LBB119_1845
; %bb.1842:
	s_wait_loadcnt 0x0
	global_load_b32 v6, v[10:11], off
	s_mov_b32 s36, 0
	s_branch .LBB119_1846
.LBB119_1843:
	s_mov_b32 s36, -1
                                        ; implicit-def: $vgpr6
	s_branch .LBB119_1852
.LBB119_1844:
	s_mov_b32 s36, -1
                                        ; implicit-def: $vgpr6
	s_branch .LBB119_1849
.LBB119_1845:
	s_mov_b32 s36, -1
                                        ; implicit-def: $vgpr6
.LBB119_1846:
	s_delay_alu instid0(SALU_CYCLE_1)
	s_and_not1_b32 vcc_lo, exec_lo, s36
	s_cbranch_vccnz .LBB119_1848
; %bb.1847:
	s_wait_loadcnt 0x0
	global_load_b32 v6, v[10:11], off
.LBB119_1848:
	s_mov_b32 s36, 0
.LBB119_1849:
	s_delay_alu instid0(SALU_CYCLE_1)
	s_and_not1_b32 vcc_lo, exec_lo, s36
	s_cbranch_vccnz .LBB119_1851
; %bb.1850:
	s_wait_loadcnt 0x0
	global_load_i16 v6, v[10:11], off
.LBB119_1851:
	s_mov_b32 s36, 0
.LBB119_1852:
	s_delay_alu instid0(SALU_CYCLE_1)
	s_and_not1_b32 vcc_lo, exec_lo, s36
	s_cbranch_vccnz .LBB119_1858
; %bb.1853:
	s_cmp_gt_i32 s0, 0
	s_mov_b32 s0, 0
	s_cbranch_scc0 .LBB119_1855
; %bb.1854:
	s_wait_loadcnt 0x0
	global_load_i8 v6, v[10:11], off
	s_branch .LBB119_1856
.LBB119_1855:
	s_mov_b32 s0, -1
                                        ; implicit-def: $vgpr6
.LBB119_1856:
	s_delay_alu instid0(SALU_CYCLE_1)
	s_and_not1_b32 vcc_lo, exec_lo, s0
	s_cbranch_vccnz .LBB119_1858
; %bb.1857:
	s_wait_loadcnt 0x0
	global_load_u8 v6, v[10:11], off
.LBB119_1858:
	s_mov_b32 s56, -1
.LBB119_1859:
	s_delay_alu instid0(SALU_CYCLE_1)
	s_and_not1_b32 vcc_lo, exec_lo, s56
	s_cbranch_vccnz .LBB119_1867
; %bb.1860:
	s_load_b128 s[4:7], s[2:3], 0x268
	v_mov_b32_e32 v5, 0
	s_and_b32 s0, s80, 0xff
	s_delay_alu instid0(SALU_CYCLE_1) | instskip(SKIP_1) | instid1(VALU_DEP_1)
	s_cmp_lt_i32 s0, 11
	s_wait_kmcnt 0x0
	v_add_nc_u64_e32 v[4:5], s[6:7], v[4:5]
	s_cbranch_scc1 .LBB119_1868
; %bb.1861:
	s_and_b32 s49, 0xffff, s0
	s_delay_alu instid0(SALU_CYCLE_1)
	s_cmp_gt_i32 s49, 25
	s_cbranch_scc0 .LBB119_1869
; %bb.1862:
	s_cmp_gt_i32 s49, 28
	s_cbranch_scc0 .LBB119_1870
; %bb.1863:
	;; [unrolled: 3-line block ×4, first 2 shown]
	s_cmp_eq_u32 s49, 46
	s_mov_b32 s36, 0
	s_cbranch_scc0 .LBB119_1960
; %bb.1866:
	global_load_b32 v7, v[4:5], off
	s_mov_b32 s56, -1
	s_mov_b32 s74, 0
	s_wait_loadcnt 0x0
	v_lshlrev_b32_e32 v7, 16, v7
	s_delay_alu instid0(VALU_DEP_1)
	v_cvt_i32_f32_e32 v10, v7
	s_branch .LBB119_1962
.LBB119_1867:
	s_mov_b32 s0, 0
	s_mov_b32 s36, s99
	;; [unrolled: 1-line block ×7, first 2 shown]
	s_branch .LBB119_2084
.LBB119_1868:
	s_mov_b32 s36, -1
	s_mov_b32 s56, 0
	s_mov_b32 s74, s95
                                        ; implicit-def: $vgpr10
	s_branch .LBB119_2023
.LBB119_1869:
	s_mov_b32 s36, -1
	s_mov_b32 s56, 0
	s_mov_b32 s74, s95
                                        ; implicit-def: $vgpr10
	s_branch .LBB119_1989
.LBB119_1870:
	s_mov_b32 s36, -1
	s_mov_b32 s56, 0
	s_mov_b32 s74, s95
                                        ; implicit-def: $vgpr10
	s_branch .LBB119_1972
.LBB119_1871:
	s_mov_b32 s36, -1
	s_mov_b32 s56, 0
	s_mov_b32 s74, s95
                                        ; implicit-def: $vgpr10
	s_branch .LBB119_1967
.LBB119_1872:
	s_mov_b32 s36, -1
	s_mov_b32 s56, 0
	s_mov_b32 s74, s95
	s_branch .LBB119_1961
.LBB119_1873:
	s_mov_b32 s36, -1
	s_mov_b32 s56, 0
	s_mov_b32 s59, 0
.LBB119_1874:
	s_and_b32 vcc_lo, exec_lo, s36
	s_cbranch_vccz .LBB119_1877
; %bb.1875:
	s_cmp_eq_u32 s58, 44
	s_mov_b32 s56, -1
	s_cbranch_scc0 .LBB119_1877
; %bb.1876:
	s_wait_xcnt 0x0
	v_mov_b32_e32 v1, 0
	s_mov_b32 s59, -1
	s_mov_b32 s56, 0
	s_mov_b32 s36, 0
	global_store_b8 v[2:3], v1, off
	s_branch .LBB119_1878
.LBB119_1877:
	s_mov_b32 s36, 0
.LBB119_1878:
	s_delay_alu instid0(SALU_CYCLE_1)
	s_and_b32 vcc_lo, exec_lo, s36
	s_cbranch_vccz .LBB119_1881
; %bb.1879:
	s_cmp_eq_u32 s58, 29
	s_mov_b32 s56, -1
	s_cbranch_scc0 .LBB119_1881
; %bb.1880:
	v_mov_b64_e32 v[4:5], 0
	s_mov_b32 s59, -1
	s_mov_b32 s56, 0
	s_mov_b32 s36, 0
	global_store_b64 v[2:3], v[4:5], off
	s_branch .LBB119_1882
.LBB119_1881:
	s_mov_b32 s36, 0
.LBB119_1882:
	s_delay_alu instid0(SALU_CYCLE_1)
	s_and_b32 vcc_lo, exec_lo, s36
	s_cbranch_vccz .LBB119_1892
; %bb.1883:
	s_cmp_lt_i32 s58, 27
	s_mov_b32 s36, -1
	s_cbranch_scc1 .LBB119_1889
; %bb.1884:
	s_cmp_gt_i32 s58, 27
	s_cbranch_scc0 .LBB119_1886
; %bb.1885:
	s_wait_xcnt 0x0
	v_mov_b32_e32 v1, 0
	s_mov_b32 s36, 0
	global_store_b32 v[2:3], v1, off
.LBB119_1886:
	s_and_not1_b32 vcc_lo, exec_lo, s36
	s_cbranch_vccnz .LBB119_1888
; %bb.1887:
	s_wait_xcnt 0x0
	v_mov_b32_e32 v1, 0
	global_store_b16 v[2:3], v1, off
.LBB119_1888:
	s_mov_b32 s36, 0
.LBB119_1889:
	s_delay_alu instid0(SALU_CYCLE_1)
	s_and_not1_b32 vcc_lo, exec_lo, s36
	s_cbranch_vccnz .LBB119_1891
; %bb.1890:
	s_wait_xcnt 0x0
	v_mov_b32_e32 v1, 0
	global_store_b8 v[2:3], v1, off
.LBB119_1891:
	s_mov_b32 s59, -1
.LBB119_1892:
	s_mov_b32 s36, 0
.LBB119_1893:
	s_delay_alu instid0(SALU_CYCLE_1)
	s_and_b32 vcc_lo, exec_lo, s36
	s_cbranch_vccz .LBB119_1912
; %bb.1894:
	s_cmp_gt_i32 s58, 22
	s_mov_b32 s36, -1
	s_cbranch_scc0 .LBB119_1904
; %bb.1895:
	s_cmp_lt_i32 s58, 24
	s_cbranch_scc1 .LBB119_1901
; %bb.1896:
	s_cmp_gt_i32 s58, 24
	s_cbranch_scc0 .LBB119_1898
; %bb.1897:
	s_wait_xcnt 0x0
	v_mov_b32_e32 v1, 0
	s_mov_b32 s36, 0
	global_store_b8 v[2:3], v1, off
.LBB119_1898:
	s_and_not1_b32 vcc_lo, exec_lo, s36
	s_cbranch_vccnz .LBB119_1900
; %bb.1899:
	s_wait_xcnt 0x0
	v_mov_b32_e32 v1, 0
	global_store_b8 v[2:3], v1, off
.LBB119_1900:
	s_mov_b32 s36, 0
.LBB119_1901:
	s_delay_alu instid0(SALU_CYCLE_1)
	s_and_not1_b32 vcc_lo, exec_lo, s36
	s_cbranch_vccnz .LBB119_1903
; %bb.1902:
	s_wait_xcnt 0x0
	v_mov_b32_e32 v1, 0
	global_store_b8 v[2:3], v1, off
.LBB119_1903:
	s_mov_b32 s36, 0
	s_mov_b32 s59, -1
.LBB119_1904:
	s_and_not1_b32 vcc_lo, exec_lo, s36
	s_cbranch_vccnz .LBB119_1912
; %bb.1905:
	s_cmp_gt_i32 s58, 14
	s_mov_b32 s36, -1
	s_cbranch_scc0 .LBB119_1909
; %bb.1906:
	s_cmp_eq_u32 s58, 15
	s_mov_b32 s56, -1
	s_cbranch_scc0 .LBB119_1908
; %bb.1907:
	s_wait_xcnt 0x0
	v_mov_b32_e32 v1, 0
	s_mov_b32 s59, -1
	s_mov_b32 s56, 0
	global_store_b16 v[2:3], v1, off
.LBB119_1908:
	s_mov_b32 s36, 0
.LBB119_1909:
	s_delay_alu instid0(SALU_CYCLE_1)
	s_and_b32 vcc_lo, exec_lo, s36
	s_cbranch_vccz .LBB119_1912
; %bb.1910:
	s_cmp_eq_u32 s58, 11
	s_mov_b32 s56, -1
	s_cbranch_scc0 .LBB119_1912
; %bb.1911:
	s_wait_xcnt 0x0
	v_mov_b32_e32 v1, 0
	s_mov_b32 s59, -1
	s_mov_b32 s56, 0
	global_store_b8 v[2:3], v1, off
.LBB119_1912:
	s_mov_b32 s36, 0
.LBB119_1913:
	s_delay_alu instid0(SALU_CYCLE_1)
	s_and_b32 vcc_lo, exec_lo, s36
	s_cbranch_vccz .LBB119_1952
; %bb.1914:
	s_and_b32 s36, 0xffff, s57
	s_mov_b32 s37, -1
	s_cmp_lt_i32 s36, 5
	s_cbranch_scc1 .LBB119_1935
; %bb.1915:
	s_cmp_lt_i32 s36, 8
	s_cbranch_scc1 .LBB119_1925
; %bb.1916:
	;; [unrolled: 3-line block ×3, first 2 shown]
	s_cmp_gt_i32 s36, 9
	s_cbranch_scc0 .LBB119_1919
; %bb.1918:
	s_wait_xcnt 0x0
	v_mov_b32_e32 v4, 0
	s_mov_b32 s37, 0
	s_delay_alu instid0(VALU_DEP_1)
	v_dual_mov_b32 v5, v4 :: v_dual_mov_b32 v6, v4
	v_mov_b32_e32 v7, v4
	global_store_b128 v[2:3], v[4:7], off
.LBB119_1919:
	s_and_not1_b32 vcc_lo, exec_lo, s37
	s_cbranch_vccnz .LBB119_1921
; %bb.1920:
	s_wait_xcnt 0x0
	v_mov_b64_e32 v[4:5], 0
	global_store_b64 v[2:3], v[4:5], off
.LBB119_1921:
	s_mov_b32 s37, 0
.LBB119_1922:
	s_delay_alu instid0(SALU_CYCLE_1)
	s_and_not1_b32 vcc_lo, exec_lo, s37
	s_cbranch_vccnz .LBB119_1924
; %bb.1923:
	s_wait_xcnt 0x0
	v_mov_b32_e32 v1, 0
	global_store_b32 v[2:3], v1, off
.LBB119_1924:
	s_mov_b32 s37, 0
.LBB119_1925:
	s_delay_alu instid0(SALU_CYCLE_1)
	s_and_not1_b32 vcc_lo, exec_lo, s37
	s_cbranch_vccnz .LBB119_1934
; %bb.1926:
	s_cmp_lt_i32 s36, 6
	s_mov_b32 s37, -1
	s_cbranch_scc1 .LBB119_1932
; %bb.1927:
	s_cmp_gt_i32 s36, 6
	s_cbranch_scc0 .LBB119_1929
; %bb.1928:
	s_wait_xcnt 0x0
	v_mov_b64_e32 v[4:5], 0
	s_mov_b32 s37, 0
	global_store_b64 v[2:3], v[4:5], off
.LBB119_1929:
	s_and_not1_b32 vcc_lo, exec_lo, s37
	s_cbranch_vccnz .LBB119_1931
; %bb.1930:
	s_wait_xcnt 0x0
	v_mov_b32_e32 v1, 0
	global_store_b32 v[2:3], v1, off
.LBB119_1931:
	s_mov_b32 s37, 0
.LBB119_1932:
	s_delay_alu instid0(SALU_CYCLE_1)
	s_and_not1_b32 vcc_lo, exec_lo, s37
	s_cbranch_vccnz .LBB119_1934
; %bb.1933:
	s_wait_xcnt 0x0
	v_mov_b32_e32 v1, 0
	global_store_b16 v[2:3], v1, off
.LBB119_1934:
	s_mov_b32 s37, 0
.LBB119_1935:
	s_delay_alu instid0(SALU_CYCLE_1)
	s_and_not1_b32 vcc_lo, exec_lo, s37
	s_cbranch_vccnz .LBB119_1951
; %bb.1936:
	s_cmp_lt_i32 s36, 2
	s_mov_b32 s37, -1
	s_cbranch_scc1 .LBB119_1946
; %bb.1937:
	s_cmp_lt_i32 s36, 3
	s_cbranch_scc1 .LBB119_1943
; %bb.1938:
	s_cmp_gt_i32 s36, 3
	s_cbranch_scc0 .LBB119_1940
; %bb.1939:
	s_wait_xcnt 0x0
	v_mov_b64_e32 v[4:5], 0
	s_mov_b32 s37, 0
	global_store_b64 v[2:3], v[4:5], off
.LBB119_1940:
	s_and_not1_b32 vcc_lo, exec_lo, s37
	s_cbranch_vccnz .LBB119_1942
; %bb.1941:
	s_wait_xcnt 0x0
	v_mov_b32_e32 v1, 0
	global_store_b32 v[2:3], v1, off
.LBB119_1942:
	s_mov_b32 s37, 0
.LBB119_1943:
	s_delay_alu instid0(SALU_CYCLE_1)
	s_and_not1_b32 vcc_lo, exec_lo, s37
	s_cbranch_vccnz .LBB119_1945
; %bb.1944:
	s_wait_xcnt 0x0
	v_mov_b32_e32 v1, 0
	global_store_b16 v[2:3], v1, off
.LBB119_1945:
	s_mov_b32 s37, 0
.LBB119_1946:
	s_delay_alu instid0(SALU_CYCLE_1)
	s_and_not1_b32 vcc_lo, exec_lo, s37
	s_cbranch_vccnz .LBB119_1951
; %bb.1947:
	s_cmp_gt_i32 s36, 0
	s_mov_b32 s36, -1
	s_cbranch_scc0 .LBB119_1949
; %bb.1948:
	s_wait_xcnt 0x0
	v_mov_b32_e32 v1, 0
	s_mov_b32 s36, 0
	global_store_b8 v[2:3], v1, off
.LBB119_1949:
	s_and_not1_b32 vcc_lo, exec_lo, s36
	s_cbranch_vccnz .LBB119_1951
; %bb.1950:
	s_wait_xcnt 0x0
	v_mov_b32_e32 v1, 0
	global_store_b8 v[2:3], v1, off
.LBB119_1951:
	s_mov_b32 s59, -1
.LBB119_1952:
	s_delay_alu instid0(SALU_CYCLE_1)
	s_and_not1_b32 vcc_lo, exec_lo, s59
	s_cbranch_vccnz .LBB119_1954
; %bb.1953:
	v_add_nc_u32_e32 v0, 0x80, v0
	s_mov_b32 s36, -1
	s_branch .LBB119_1955
.LBB119_1954:
	s_mov_b32 s36, 0
                                        ; implicit-def: $vgpr0
.LBB119_1955:
	s_and_b32 s37, s56, exec_lo
	s_and_not1_b32 s0, s0, exec_lo
	s_and_b32 s36, s36, exec_lo
.LBB119_1956:
	s_wait_xcnt 0x0
	s_or_b32 exec_lo, exec_lo, s49
	s_delay_alu instid0(SALU_CYCLE_1)
	s_and_b32 s39, s37, exec_lo
	s_and_b32 s0, s0, exec_lo
	s_xor_b32 s38, exec_lo, -1
	s_and_b32 s37, s36, exec_lo
.LBB119_1957:
	s_or_b32 exec_lo, exec_lo, s85
	s_delay_alu instid0(SALU_CYCLE_1)
	s_and_b32 s49, s39, exec_lo
	s_and_b32 s39, s0, exec_lo
	;; [unrolled: 1-line block ×3, first 2 shown]
	s_xor_b32 s36, exec_lo, -1
	s_and_b32 s0, s37, exec_lo
.LBB119_1958:
	s_or_b32 exec_lo, exec_lo, s84
	s_delay_alu instid0(SALU_CYCLE_1)
	s_and_b32 s49, s49, exec_lo
	s_and_b32 s39, s39, exec_lo
	s_and_b32 s38, s38, exec_lo
	s_and_b32 s37, s36, exec_lo
	s_xor_b32 s36, exec_lo, -1
	s_and_b32 s0, s0, exec_lo
	s_or_b32 exec_lo, exec_lo, s45
	s_branch .LBB119_650
.LBB119_1959:
	s_mov_b32 s36, -1
	s_mov_b32 s59, 0
	s_mov_b32 s56, s45
	s_branch .LBB119_3608
.LBB119_1960:
	s_mov_b32 s74, -1
	s_mov_b32 s56, 0
.LBB119_1961:
                                        ; implicit-def: $vgpr10
.LBB119_1962:
	s_and_b32 vcc_lo, exec_lo, s36
	s_cbranch_vccz .LBB119_1966
; %bb.1963:
	s_cmp_eq_u32 s49, 44
	s_cbranch_scc0 .LBB119_1965
; %bb.1964:
	global_load_u8 v7, v[4:5], off
	s_mov_b32 s74, 0
	s_mov_b32 s56, -1
	s_wait_loadcnt 0x0
	v_lshlrev_b32_e32 v9, 23, v7
	v_cmp_ne_u32_e32 vcc_lo, 0, v7
	s_delay_alu instid0(VALU_DEP_2) | instskip(NEXT) | instid1(VALU_DEP_1)
	v_cvt_i32_f32_e32 v9, v9
	v_cndmask_b32_e32 v10, 0, v9, vcc_lo
	s_branch .LBB119_1966
.LBB119_1965:
	s_mov_b32 s74, -1
                                        ; implicit-def: $vgpr10
.LBB119_1966:
	s_mov_b32 s36, 0
.LBB119_1967:
	s_delay_alu instid0(SALU_CYCLE_1)
	s_and_b32 vcc_lo, exec_lo, s36
	s_cbranch_vccz .LBB119_1971
; %bb.1968:
	s_cmp_eq_u32 s49, 29
	s_cbranch_scc0 .LBB119_1970
; %bb.1969:
	global_load_b32 v10, v[4:5], off
	s_mov_b32 s56, -1
	s_mov_b32 s74, 0
	s_branch .LBB119_1971
.LBB119_1970:
	s_mov_b32 s74, -1
                                        ; implicit-def: $vgpr10
.LBB119_1971:
	s_mov_b32 s36, 0
.LBB119_1972:
	s_delay_alu instid0(SALU_CYCLE_1)
	s_and_b32 vcc_lo, exec_lo, s36
	s_cbranch_vccz .LBB119_1988
; %bb.1973:
	s_cmp_lt_i32 s49, 27
	s_cbranch_scc1 .LBB119_1976
; %bb.1974:
	s_cmp_gt_i32 s49, 27
	s_cbranch_scc0 .LBB119_1977
; %bb.1975:
	s_wait_loadcnt 0x0
	global_load_b32 v10, v[4:5], off
	s_mov_b32 s36, 0
	s_branch .LBB119_1978
.LBB119_1976:
	s_mov_b32 s36, -1
                                        ; implicit-def: $vgpr10
	s_branch .LBB119_1981
.LBB119_1977:
	s_mov_b32 s36, -1
                                        ; implicit-def: $vgpr10
.LBB119_1978:
	s_delay_alu instid0(SALU_CYCLE_1)
	s_and_not1_b32 vcc_lo, exec_lo, s36
	s_cbranch_vccnz .LBB119_1980
; %bb.1979:
	s_wait_loadcnt 0x0
	global_load_u16 v10, v[4:5], off
.LBB119_1980:
	s_mov_b32 s36, 0
.LBB119_1981:
	s_delay_alu instid0(SALU_CYCLE_1)
	s_and_not1_b32 vcc_lo, exec_lo, s36
	s_cbranch_vccnz .LBB119_1987
; %bb.1982:
	global_load_u8 v7, v[4:5], off
	s_mov_b32 s37, 0
	s_mov_b32 s4, exec_lo
	s_wait_loadcnt 0x0
	v_cmpx_lt_i16_e32 0x7f, v7
	s_xor_b32 s36, exec_lo, s4
	s_cbranch_execz .LBB119_1999
; %bb.1983:
	v_cmp_ne_u16_e32 vcc_lo, 0x80, v7
	s_and_b32 s37, vcc_lo, exec_lo
	s_and_not1_saveexec_b32 s36, s36
	s_cbranch_execnz .LBB119_2000
.LBB119_1984:
	s_or_b32 exec_lo, exec_lo, s36
	v_mov_b32_e32 v10, 0
	s_and_saveexec_b32 s36, s37
	s_cbranch_execz .LBB119_1986
.LBB119_1985:
	v_and_b32_e32 v9, 0xffff, v7
	s_delay_alu instid0(VALU_DEP_1) | instskip(SKIP_1) | instid1(VALU_DEP_2)
	v_and_b32_e32 v10, 7, v9
	v_bfe_u32 v13, v9, 3, 4
	v_clz_i32_u32_e32 v11, v10
	s_delay_alu instid0(VALU_DEP_2) | instskip(NEXT) | instid1(VALU_DEP_2)
	v_cmp_eq_u32_e32 vcc_lo, 0, v13
	v_min_u32_e32 v11, 32, v11
	s_delay_alu instid0(VALU_DEP_1) | instskip(NEXT) | instid1(VALU_DEP_1)
	v_subrev_nc_u32_e32 v12, 28, v11
	v_dual_lshlrev_b32 v9, v12, v9 :: v_dual_sub_nc_u32 v11, 29, v11
	s_delay_alu instid0(VALU_DEP_1) | instskip(NEXT) | instid1(VALU_DEP_1)
	v_dual_lshlrev_b32 v7, 24, v7 :: v_dual_bitop2_b32 v9, 7, v9 bitop3:0x40
	v_dual_cndmask_b32 v9, v10, v9, vcc_lo :: v_dual_cndmask_b32 v11, v13, v11, vcc_lo
	s_delay_alu instid0(VALU_DEP_2) | instskip(NEXT) | instid1(VALU_DEP_2)
	v_and_b32_e32 v7, 0x80000000, v7
	v_lshlrev_b32_e32 v9, 20, v9
	s_delay_alu instid0(VALU_DEP_3) | instskip(NEXT) | instid1(VALU_DEP_1)
	v_lshl_add_u32 v10, v11, 23, 0x3b800000
	v_or3_b32 v7, v7, v10, v9
	s_delay_alu instid0(VALU_DEP_1)
	v_cvt_i32_f32_e32 v10, v7
.LBB119_1986:
	s_or_b32 exec_lo, exec_lo, s36
.LBB119_1987:
	s_mov_b32 s56, -1
.LBB119_1988:
	s_mov_b32 s36, 0
.LBB119_1989:
	s_delay_alu instid0(SALU_CYCLE_1)
	s_and_b32 vcc_lo, exec_lo, s36
	s_cbranch_vccz .LBB119_2022
; %bb.1990:
	s_cmp_gt_i32 s49, 22
	s_cbranch_scc0 .LBB119_1998
; %bb.1991:
	s_cmp_lt_i32 s49, 24
	s_cbranch_scc1 .LBB119_2001
; %bb.1992:
	s_cmp_gt_i32 s49, 24
	s_cbranch_scc0 .LBB119_2002
; %bb.1993:
	global_load_u8 v7, v[4:5], off
	s_mov_b32 s37, 0
	s_mov_b32 s4, exec_lo
	s_wait_loadcnt 0x0
	v_cmpx_lt_i16_e32 0x7f, v7
	s_xor_b32 s36, exec_lo, s4
	s_cbranch_execz .LBB119_2014
; %bb.1994:
	v_cmp_ne_u16_e32 vcc_lo, 0x80, v7
	s_and_b32 s37, vcc_lo, exec_lo
	s_and_not1_saveexec_b32 s36, s36
	s_cbranch_execnz .LBB119_2015
.LBB119_1995:
	s_or_b32 exec_lo, exec_lo, s36
	v_mov_b32_e32 v10, 0
	s_and_saveexec_b32 s36, s37
	s_cbranch_execz .LBB119_1997
.LBB119_1996:
	v_and_b32_e32 v9, 0xffff, v7
	s_delay_alu instid0(VALU_DEP_1) | instskip(SKIP_1) | instid1(VALU_DEP_2)
	v_and_b32_e32 v10, 3, v9
	v_bfe_u32 v13, v9, 2, 5
	v_clz_i32_u32_e32 v11, v10
	s_delay_alu instid0(VALU_DEP_2) | instskip(NEXT) | instid1(VALU_DEP_2)
	v_cmp_eq_u32_e32 vcc_lo, 0, v13
	v_min_u32_e32 v11, 32, v11
	s_delay_alu instid0(VALU_DEP_1) | instskip(NEXT) | instid1(VALU_DEP_1)
	v_subrev_nc_u32_e32 v12, 29, v11
	v_dual_lshlrev_b32 v9, v12, v9 :: v_dual_sub_nc_u32 v11, 30, v11
	s_delay_alu instid0(VALU_DEP_1) | instskip(NEXT) | instid1(VALU_DEP_1)
	v_dual_lshlrev_b32 v7, 24, v7 :: v_dual_bitop2_b32 v9, 3, v9 bitop3:0x40
	v_dual_cndmask_b32 v9, v10, v9, vcc_lo :: v_dual_cndmask_b32 v11, v13, v11, vcc_lo
	s_delay_alu instid0(VALU_DEP_2) | instskip(NEXT) | instid1(VALU_DEP_2)
	v_and_b32_e32 v7, 0x80000000, v7
	v_lshlrev_b32_e32 v9, 21, v9
	s_delay_alu instid0(VALU_DEP_3) | instskip(NEXT) | instid1(VALU_DEP_1)
	v_lshl_add_u32 v10, v11, 23, 0x37800000
	v_or3_b32 v7, v7, v10, v9
	s_delay_alu instid0(VALU_DEP_1)
	v_cvt_i32_f32_e32 v10, v7
.LBB119_1997:
	s_or_b32 exec_lo, exec_lo, s36
	s_mov_b32 s36, 0
	s_branch .LBB119_2003
.LBB119_1998:
	s_mov_b32 s36, -1
                                        ; implicit-def: $vgpr10
	s_branch .LBB119_2009
.LBB119_1999:
	s_and_not1_saveexec_b32 s36, s36
	s_cbranch_execz .LBB119_1984
.LBB119_2000:
	v_cmp_ne_u16_e32 vcc_lo, 0, v7
	s_and_not1_b32 s4, s37, exec_lo
	s_and_b32 s5, vcc_lo, exec_lo
	s_delay_alu instid0(SALU_CYCLE_1)
	s_or_b32 s37, s4, s5
	s_or_b32 exec_lo, exec_lo, s36
	v_mov_b32_e32 v10, 0
	s_and_saveexec_b32 s36, s37
	s_cbranch_execnz .LBB119_1985
	s_branch .LBB119_1986
.LBB119_2001:
	s_mov_b32 s36, -1
                                        ; implicit-def: $vgpr10
	s_branch .LBB119_2006
.LBB119_2002:
	s_mov_b32 s36, -1
                                        ; implicit-def: $vgpr10
.LBB119_2003:
	s_delay_alu instid0(SALU_CYCLE_1)
	s_and_b32 vcc_lo, exec_lo, s36
	s_cbranch_vccz .LBB119_2005
; %bb.2004:
	global_load_u8 v7, v[4:5], off
	s_wait_loadcnt 0x0
	v_lshlrev_b32_e32 v7, 24, v7
	s_delay_alu instid0(VALU_DEP_1) | instskip(NEXT) | instid1(VALU_DEP_1)
	v_and_b32_e32 v9, 0x7f000000, v7
	v_clz_i32_u32_e32 v10, v9
	v_cmp_ne_u32_e32 vcc_lo, 0, v9
	v_add_nc_u32_e32 v12, 0x1000000, v9
	s_delay_alu instid0(VALU_DEP_3) | instskip(NEXT) | instid1(VALU_DEP_1)
	v_min_u32_e32 v10, 32, v10
	v_sub_nc_u32_e64 v10, v10, 4 clamp
	s_delay_alu instid0(VALU_DEP_1) | instskip(NEXT) | instid1(VALU_DEP_1)
	v_dual_lshlrev_b32 v11, v10, v9 :: v_dual_lshlrev_b32 v10, 23, v10
	v_lshrrev_b32_e32 v11, 4, v11
	s_delay_alu instid0(VALU_DEP_1) | instskip(NEXT) | instid1(VALU_DEP_1)
	v_dual_sub_nc_u32 v10, v11, v10 :: v_dual_ashrrev_i32 v11, 8, v12
	v_add_nc_u32_e32 v10, 0x3c000000, v10
	s_delay_alu instid0(VALU_DEP_1) | instskip(NEXT) | instid1(VALU_DEP_1)
	v_and_or_b32 v10, 0x7f800000, v11, v10
	v_cndmask_b32_e32 v9, 0, v10, vcc_lo
	s_delay_alu instid0(VALU_DEP_1) | instskip(NEXT) | instid1(VALU_DEP_1)
	v_and_or_b32 v7, 0x80000000, v7, v9
	v_cvt_i32_f32_e32 v10, v7
.LBB119_2005:
	s_mov_b32 s36, 0
.LBB119_2006:
	s_delay_alu instid0(SALU_CYCLE_1)
	s_and_not1_b32 vcc_lo, exec_lo, s36
	s_cbranch_vccnz .LBB119_2008
; %bb.2007:
	global_load_u8 v7, v[4:5], off
	s_wait_loadcnt 0x0
	v_lshlrev_b32_e32 v9, 25, v7
	v_lshlrev_b16 v7, 8, v7
	s_delay_alu instid0(VALU_DEP_1) | instskip(NEXT) | instid1(VALU_DEP_3)
	v_and_or_b32 v11, 0x7f00, v7, 0.5
	v_lshrrev_b32_e32 v10, 4, v9
	v_bfe_i32 v7, v7, 0, 16
	s_delay_alu instid0(VALU_DEP_3) | instskip(NEXT) | instid1(VALU_DEP_3)
	v_add_f32_e32 v11, -0.5, v11
	v_or_b32_e32 v10, 0x70000000, v10
	s_delay_alu instid0(VALU_DEP_1) | instskip(SKIP_1) | instid1(VALU_DEP_2)
	v_mul_f32_e32 v10, 0x7800000, v10
	v_cmp_gt_u32_e32 vcc_lo, 0x8000000, v9
	v_cndmask_b32_e32 v9, v10, v11, vcc_lo
	s_delay_alu instid0(VALU_DEP_1) | instskip(NEXT) | instid1(VALU_DEP_1)
	v_and_or_b32 v7, 0x80000000, v7, v9
	v_cvt_i32_f32_e32 v10, v7
.LBB119_2008:
	s_mov_b32 s36, 0
	s_mov_b32 s56, -1
.LBB119_2009:
	s_and_not1_b32 vcc_lo, exec_lo, s36
	s_cbranch_vccnz .LBB119_2022
; %bb.2010:
	s_cmp_gt_i32 s49, 14
	s_cbranch_scc0 .LBB119_2013
; %bb.2011:
	s_cmp_eq_u32 s49, 15
	s_cbranch_scc0 .LBB119_2016
; %bb.2012:
	global_load_u16 v7, v[4:5], off
	s_mov_b32 s56, -1
	s_mov_b32 s74, 0
	s_wait_loadcnt 0x0
	v_lshlrev_b32_e32 v7, 16, v7
	s_delay_alu instid0(VALU_DEP_1)
	v_cvt_i32_f32_e32 v10, v7
	s_branch .LBB119_2017
.LBB119_2013:
	s_mov_b32 s36, -1
                                        ; implicit-def: $vgpr10
	s_branch .LBB119_2018
.LBB119_2014:
	s_and_not1_saveexec_b32 s36, s36
	s_cbranch_execz .LBB119_1995
.LBB119_2015:
	v_cmp_ne_u16_e32 vcc_lo, 0, v7
	s_and_not1_b32 s4, s37, exec_lo
	s_and_b32 s5, vcc_lo, exec_lo
	s_delay_alu instid0(SALU_CYCLE_1)
	s_or_b32 s37, s4, s5
	s_or_b32 exec_lo, exec_lo, s36
	v_mov_b32_e32 v10, 0
	s_and_saveexec_b32 s36, s37
	s_cbranch_execnz .LBB119_1996
	s_branch .LBB119_1997
.LBB119_2016:
	s_mov_b32 s74, -1
                                        ; implicit-def: $vgpr10
.LBB119_2017:
	s_mov_b32 s36, 0
.LBB119_2018:
	s_delay_alu instid0(SALU_CYCLE_1)
	s_and_b32 vcc_lo, exec_lo, s36
	s_cbranch_vccz .LBB119_2022
; %bb.2019:
	s_cmp_eq_u32 s49, 11
	s_cbranch_scc0 .LBB119_2021
; %bb.2020:
	global_load_u8 v7, v[4:5], off
	s_mov_b32 s74, 0
	s_mov_b32 s56, -1
	s_wait_loadcnt 0x0
	v_cmp_ne_u16_e32 vcc_lo, 0, v7
	v_cndmask_b32_e64 v10, 0, 1, vcc_lo
	s_branch .LBB119_2022
.LBB119_2021:
	s_mov_b32 s74, -1
                                        ; implicit-def: $vgpr10
.LBB119_2022:
	s_mov_b32 s36, 0
.LBB119_2023:
	s_delay_alu instid0(SALU_CYCLE_1)
	s_and_b32 vcc_lo, exec_lo, s36
	s_cbranch_vccz .LBB119_2072
; %bb.2024:
	s_and_b32 s0, 0xffff, s0
	s_delay_alu instid0(SALU_CYCLE_1)
	s_cmp_lt_i32 s0, 5
	s_cbranch_scc1 .LBB119_2029
; %bb.2025:
	s_cmp_lt_i32 s0, 8
	s_cbranch_scc1 .LBB119_2030
; %bb.2026:
	s_cmp_lt_i32 s0, 9
	s_cbranch_scc1 .LBB119_2031
; %bb.2027:
	s_cmp_gt_i32 s0, 9
	s_cbranch_scc0 .LBB119_2032
; %bb.2028:
	s_wait_loadcnt 0x0
	global_load_b64 v[10:11], v[4:5], off
	s_mov_b32 s36, 0
	s_wait_loadcnt 0x0
	v_cvt_i32_f64_e32 v10, v[10:11]
	s_branch .LBB119_2033
.LBB119_2029:
	s_mov_b32 s36, -1
                                        ; implicit-def: $vgpr10
	s_branch .LBB119_2051
.LBB119_2030:
	s_mov_b32 s36, -1
                                        ; implicit-def: $vgpr10
	s_branch .LBB119_2039
.LBB119_2031:
	s_mov_b32 s36, -1
                                        ; implicit-def: $vgpr10
	s_branch .LBB119_2036
.LBB119_2032:
	s_mov_b32 s36, -1
                                        ; implicit-def: $vgpr10
.LBB119_2033:
	s_delay_alu instid0(SALU_CYCLE_1)
	s_and_not1_b32 vcc_lo, exec_lo, s36
	s_cbranch_vccnz .LBB119_2035
; %bb.2034:
	global_load_b32 v7, v[4:5], off
	s_wait_loadcnt 0x0
	v_cvt_i32_f32_e32 v10, v7
.LBB119_2035:
	s_mov_b32 s36, 0
.LBB119_2036:
	s_delay_alu instid0(SALU_CYCLE_1)
	s_and_not1_b32 vcc_lo, exec_lo, s36
	s_cbranch_vccnz .LBB119_2038
; %bb.2037:
	global_load_b32 v7, v[4:5], off
	s_wait_loadcnt 0x0
	v_cvt_f32_f16_e32 v7, v7
	s_delay_alu instid0(VALU_DEP_1)
	v_cvt_i32_f32_e32 v10, v7
.LBB119_2038:
	s_mov_b32 s36, 0
.LBB119_2039:
	s_delay_alu instid0(SALU_CYCLE_1)
	s_and_not1_b32 vcc_lo, exec_lo, s36
	s_cbranch_vccnz .LBB119_2050
; %bb.2040:
	s_cmp_lt_i32 s0, 6
	s_cbranch_scc1 .LBB119_2043
; %bb.2041:
	s_cmp_gt_i32 s0, 6
	s_cbranch_scc0 .LBB119_2044
; %bb.2042:
	s_wait_loadcnt 0x0
	global_load_b64 v[10:11], v[4:5], off
	s_mov_b32 s36, 0
	s_wait_loadcnt 0x0
	v_cvt_i32_f64_e32 v10, v[10:11]
	s_branch .LBB119_2045
.LBB119_2043:
	s_mov_b32 s36, -1
                                        ; implicit-def: $vgpr10
	s_branch .LBB119_2048
.LBB119_2044:
	s_mov_b32 s36, -1
                                        ; implicit-def: $vgpr10
.LBB119_2045:
	s_delay_alu instid0(SALU_CYCLE_1)
	s_and_not1_b32 vcc_lo, exec_lo, s36
	s_cbranch_vccnz .LBB119_2047
; %bb.2046:
	global_load_b32 v7, v[4:5], off
	s_wait_loadcnt 0x0
	v_cvt_i32_f32_e32 v10, v7
.LBB119_2047:
	s_mov_b32 s36, 0
.LBB119_2048:
	s_delay_alu instid0(SALU_CYCLE_1)
	s_and_not1_b32 vcc_lo, exec_lo, s36
	s_cbranch_vccnz .LBB119_2050
; %bb.2049:
	global_load_u16 v7, v[4:5], off
	s_wait_loadcnt 0x0
	v_cvt_f32_f16_e32 v7, v7
	s_delay_alu instid0(VALU_DEP_1)
	v_cvt_i32_f32_e32 v10, v7
.LBB119_2050:
	s_mov_b32 s36, 0
.LBB119_2051:
	s_delay_alu instid0(SALU_CYCLE_1)
	s_and_not1_b32 vcc_lo, exec_lo, s36
	s_cbranch_vccnz .LBB119_2071
; %bb.2052:
	s_cmp_lt_i32 s0, 2
	s_cbranch_scc1 .LBB119_2056
; %bb.2053:
	s_cmp_lt_i32 s0, 3
	s_cbranch_scc1 .LBB119_2057
; %bb.2054:
	s_cmp_gt_i32 s0, 3
	s_cbranch_scc0 .LBB119_2058
; %bb.2055:
	s_wait_loadcnt 0x0
	global_load_b32 v10, v[4:5], off
	s_mov_b32 s36, 0
	s_branch .LBB119_2059
.LBB119_2056:
	s_mov_b32 s36, -1
                                        ; implicit-def: $vgpr10
	s_branch .LBB119_2065
.LBB119_2057:
	s_mov_b32 s36, -1
                                        ; implicit-def: $vgpr10
	s_branch .LBB119_2062
.LBB119_2058:
	s_mov_b32 s36, -1
                                        ; implicit-def: $vgpr10
.LBB119_2059:
	s_delay_alu instid0(SALU_CYCLE_1)
	s_and_not1_b32 vcc_lo, exec_lo, s36
	s_cbranch_vccnz .LBB119_2061
; %bb.2060:
	s_wait_loadcnt 0x0
	global_load_b32 v10, v[4:5], off
.LBB119_2061:
	s_mov_b32 s36, 0
.LBB119_2062:
	s_delay_alu instid0(SALU_CYCLE_1)
	s_and_not1_b32 vcc_lo, exec_lo, s36
	s_cbranch_vccnz .LBB119_2064
; %bb.2063:
	s_wait_loadcnt 0x0
	global_load_i16 v10, v[4:5], off
.LBB119_2064:
	s_mov_b32 s36, 0
.LBB119_2065:
	s_delay_alu instid0(SALU_CYCLE_1)
	s_and_not1_b32 vcc_lo, exec_lo, s36
	s_cbranch_vccnz .LBB119_2071
; %bb.2066:
	s_cmp_gt_i32 s0, 0
	s_mov_b32 s0, 0
	s_cbranch_scc0 .LBB119_2068
; %bb.2067:
	s_wait_loadcnt 0x0
	global_load_i8 v10, v[4:5], off
	s_branch .LBB119_2069
.LBB119_2068:
	s_mov_b32 s0, -1
                                        ; implicit-def: $vgpr10
.LBB119_2069:
	s_delay_alu instid0(SALU_CYCLE_1)
	s_and_not1_b32 vcc_lo, exec_lo, s0
	s_cbranch_vccnz .LBB119_2071
; %bb.2070:
	s_wait_loadcnt 0x0
	global_load_u8 v10, v[4:5], off
.LBB119_2071:
	s_mov_b32 s56, -1
.LBB119_2072:
	s_delay_alu instid0(SALU_CYCLE_1)
	s_and_not1_b32 vcc_lo, exec_lo, s56
	s_cbranch_vccnz .LBB119_2083
; %bb.2073:
	v_cmp_eq_u32_e32 vcc_lo, s79, v1
	s_mov_b32 s0, 0
	s_mov_b32 s39, -1
	s_mov_b32 s49, s97
	s_mov_b32 s38, s101
	s_and_b32 s4, s17, vcc_lo
	s_mov_b32 s37, s100
	s_mov_b32 s36, s99
	s_wait_xcnt 0x0
	s_and_saveexec_b32 s21, s4
	s_cbranch_execz .LBB119_4291
; %bb.2074:
	s_wait_loadcnt 0x0
	v_cmp_eq_u32_e32 vcc_lo, s14, v3
	s_mov_b32 s38, -1
	s_mov_b32 s39, s101
	s_mov_b32 s37, s100
	;; [unrolled: 1-line block ×3, first 2 shown]
	s_and_b32 s4, s51, vcc_lo
	s_delay_alu instid0(SALU_CYCLE_1)
	s_and_saveexec_b32 s24, s4
	s_cbranch_execz .LBB119_3777
; %bb.2075:
	v_sub_nc_u32_e32 v1, v6, v8
	s_mov_b32 s36, 0
	s_mov_b32 s37, -1
	s_mov_b32 s38, s99
	s_delay_alu instid0(VALU_DEP_1) | instskip(SKIP_4) | instid1(SALU_CYCLE_1)
	v_cmp_le_i32_e32 vcc_lo, s79, v1
	v_cmp_ge_i32_e64 s0, s12, v1
	s_and_b32 s4, vcc_lo, s0
	s_mov_b32 s0, s100
	s_and_b32 s4, s78, s4
	s_and_saveexec_b32 s25, s4
	s_cbranch_execz .LBB119_3776
; %bb.2076:
	v_mov_b64_e32 v[4:5], 0
	s_and_not1_b32 vcc_lo, exec_lo, s77
	s_cbranch_vccnz .LBB119_2112
; %bb.2077:
	v_ashrrev_i32_e32 v11, 31, v10
	s_mov_b32 s57, 0
	v_mov_b64_e32 v[4:5], 0
	s_mov_b32 s49, s57
	s_delay_alu instid0(SALU_CYCLE_1)
	s_lshl_b64 s[4:5], s[48:49], 3
	v_mul_u64_e32 v[12:13], s[14:15], v[10:11]
	v_mov_b32_e32 v10, 0
	s_add_nc_u64 s[58:59], s[18:19], s[4:5]
	s_add_nc_u64 s[60:61], s[40:41], s[4:5]
	s_mov_b32 s49, s16
	s_branch .LBB119_2079
.LBB119_2078:                           ;   in Loop: Header=BB119_2079 Depth=1
	s_or_b32 exec_lo, exec_lo, s0
	global_load_b64 v[16:17], v10, s[60:61]
	v_mul_u64_e32 v[18:19], s[62:63], v[14:15]
	s_add_co_i32 s49, s49, -1
	s_add_nc_u64 s[58:59], s[58:59], -8
	s_cmp_lg_u32 s49, 0
	s_wait_xcnt 0x0
	s_add_nc_u64 s[60:61], s[60:61], -8
	s_delay_alu instid0(VALU_DEP_1) | instskip(SKIP_1) | instid1(VALU_DEP_1)
	v_sub_nc_u64_e32 v[12:13], v[12:13], v[18:19]
	s_wait_loadcnt 0x0
	v_mad_nc_u64_u32 v[4:5], v12, v16, v[4:5]
	s_delay_alu instid0(VALU_DEP_1) | instskip(NEXT) | instid1(VALU_DEP_1)
	v_mad_u32 v1, v13, v16, v5
	v_mad_u32 v5, v12, v17, v1
	v_mov_b64_e32 v[12:13], v[14:15]
	s_cbranch_scc0 .LBB119_2112
.LBB119_2079:                           ; =>This Inner Loop Header: Depth=1
	global_load_b64 v[14:15], v10, s[58:59]
	s_mov_b32 s0, exec_lo
	s_wait_loadcnt 0x0
	v_or_b32_e32 v11, v13, v15
	v_readfirstlane_b32 s62, v14
	v_readfirstlane_b32 s63, v15
                                        ; implicit-def: $vgpr14_vgpr15
	s_wait_xcnt 0x0
	s_delay_alu instid0(VALU_DEP_3)
	v_cmpx_ne_u64_e32 0, v[10:11]
	s_xor_b32 s36, exec_lo, s0
	s_cbranch_execz .LBB119_2081
; %bb.2080:                             ;   in Loop: Header=BB119_2079 Depth=1
	s_ashr_i32 s64, s63, 31
	v_dual_mov_b32 v19, v10 :: v_dual_ashrrev_i32 v14, 31, v13
	s_mov_b32 s65, s64
	s_delay_alu instid0(SALU_CYCLE_1) | instskip(NEXT) | instid1(VALU_DEP_1)
	s_add_nc_u64 s[4:5], s[62:63], s[64:65]
	v_mov_b32_e32 v15, v14
	s_xor_b64 s[66:67], s[4:5], s[64:65]
	s_delay_alu instid0(SALU_CYCLE_1)
	s_cvt_f32_u32 s0, s66
	s_cvt_f32_u32 s4, s67
	s_sub_nc_u64 s[6:7], 0, s[66:67]
	v_add_nc_u64_e32 v[16:17], v[12:13], v[14:15]
	v_mov_b32_e32 v21, v10
	s_fmamk_f32 s0, s4, 0x4f800000, s0
	s_delay_alu instid0(SALU_CYCLE_3) | instskip(NEXT) | instid1(VALU_DEP_2)
	v_s_rcp_f32 s0, s0
	v_xor_b32_e32 v18, v16, v14
	s_delay_alu instid0(VALU_DEP_3) | instskip(SKIP_1) | instid1(TRANS32_DEP_1)
	v_dual_mov_b32 v27, v10 :: v_dual_bitop2_b32 v20, v17, v14 bitop3:0x14
	v_xor_b32_e32 v14, s64, v14
	s_mul_f32 s0, s0, 0x5f7ffffc
	s_delay_alu instid0(SALU_CYCLE_3) | instskip(NEXT) | instid1(SALU_CYCLE_3)
	s_mul_f32 s4, s0, 0x2f800000
	s_trunc_f32 s4, s4
	s_delay_alu instid0(SALU_CYCLE_3) | instskip(SKIP_1) | instid1(SALU_CYCLE_2)
	s_fmamk_f32 s0, s4, 0xcf800000, s0
	s_cvt_u32_f32 s5, s4
	s_cvt_u32_f32 s4, s0
	s_delay_alu instid0(SALU_CYCLE_3) | instskip(NEXT) | instid1(SALU_CYCLE_1)
	s_mul_u64 s[8:9], s[6:7], s[4:5]
	s_mul_hi_u32 s11, s4, s9
	s_mul_i32 s10, s4, s9
	s_mul_hi_u32 s56, s4, s8
	s_mul_i32 s37, s5, s8
	s_add_nc_u64 s[10:11], s[56:57], s[10:11]
	s_mul_hi_u32 s0, s5, s8
	s_mul_hi_u32 s38, s5, s9
	s_mul_i32 s8, s5, s9
	s_add_co_u32 s9, s10, s37
	s_add_co_ci_u32 s56, s11, s0
	s_add_co_ci_u32 s9, s38, 0
	s_delay_alu instid0(SALU_CYCLE_1) | instskip(NEXT) | instid1(SALU_CYCLE_1)
	s_add_nc_u64 s[8:9], s[56:57], s[8:9]
	s_add_co_u32 s4, s4, s8
	s_cselect_b32 s0, -1, 0
	s_delay_alu instid0(SALU_CYCLE_1) | instskip(SKIP_1) | instid1(SALU_CYCLE_1)
	s_cmp_lg_u32 s0, 0
	s_add_co_ci_u32 s5, s5, s9
	s_mul_u64 s[6:7], s[6:7], s[4:5]
	s_delay_alu instid0(SALU_CYCLE_1)
	s_mul_hi_u32 s9, s4, s7
	s_mul_i32 s8, s4, s7
	s_mul_hi_u32 s56, s4, s6
	s_mul_i32 s10, s5, s6
	s_add_nc_u64 s[8:9], s[56:57], s[8:9]
	s_mul_hi_u32 s0, s5, s6
	s_mul_hi_u32 s11, s5, s7
	s_mul_i32 s6, s5, s7
	s_add_co_u32 s7, s8, s10
	s_add_co_ci_u32 s56, s9, s0
	s_add_co_ci_u32 s7, s11, 0
	s_delay_alu instid0(SALU_CYCLE_1) | instskip(NEXT) | instid1(SALU_CYCLE_1)
	s_add_nc_u64 s[6:7], s[56:57], s[6:7]
	s_add_co_u32 s0, s4, s6
	s_cselect_b32 s4, -1, 0
	v_mul_hi_u32 v26, v18, s0
	s_cmp_lg_u32 s4, 0
	s_add_co_ci_u32 s56, s5, s7
	s_mov_b64 s[4:5], 0xffffffff
	v_mul_u64_e32 v[22:23], s[56:57], v[18:19]
	s_and_b64 s[4:5], s[0:1], s[4:5]
	v_mul_u64_e32 v[24:25], s[56:57], v[20:21]
	v_mul_u64_e32 v[16:17], s[4:5], v[20:21]
	s_delay_alu instid0(VALU_DEP_3) | instskip(NEXT) | instid1(VALU_DEP_1)
	v_add_nc_u64_e32 v[22:23], v[26:27], v[22:23]
	v_add_co_u32 v1, vcc_lo, v22, v16
	s_delay_alu instid0(VALU_DEP_2) | instskip(SKIP_1) | instid1(VALU_DEP_1)
	v_add_co_ci_u32_e32 v26, vcc_lo, v23, v17, vcc_lo
	v_add_co_ci_u32_e32 v25, vcc_lo, 0, v25, vcc_lo
	v_add_nc_u64_e32 v[16:17], v[26:27], v[24:25]
	s_delay_alu instid0(VALU_DEP_1) | instskip(NEXT) | instid1(VALU_DEP_1)
	v_mul_u64_e32 v[22:23], s[66:67], v[16:17]
	v_sub_nc_u32_e32 v1, v20, v23
	s_delay_alu instid0(VALU_DEP_2) | instskip(NEXT) | instid1(VALU_DEP_1)
	v_sub_co_u32 v3, vcc_lo, v18, v22
	v_sub_co_ci_u32_e64 v9, null, v20, v23, vcc_lo
	s_delay_alu instid0(VALU_DEP_3) | instskip(NEXT) | instid1(VALU_DEP_3)
	v_subrev_co_ci_u32_e64 v1, null, s67, v1, vcc_lo
	v_sub_co_u32 v7, s0, v3, s66
	v_add_nc_u64_e32 v[18:19], 2, v[16:17]
	s_delay_alu instid0(VALU_DEP_3) | instskip(NEXT) | instid1(VALU_DEP_3)
	v_subrev_co_ci_u32_e64 v1, null, 0, v1, s0
	v_cmp_le_u32_e32 vcc_lo, s66, v7
	v_add_nc_u64_e32 v[20:21], 1, v[16:17]
	v_cndmask_b32_e64 v7, 0, -1, vcc_lo
	s_delay_alu instid0(VALU_DEP_4)
	v_cmp_le_u32_e32 vcc_lo, s67, v1
	v_cndmask_b32_e64 v11, 0, -1, vcc_lo
	v_cmp_le_u32_e32 vcc_lo, s66, v3
	v_cndmask_b32_e64 v3, 0, -1, vcc_lo
	;; [unrolled: 2-line block ×3, first 2 shown]
	v_cmp_eq_u32_e32 vcc_lo, s67, v1
	v_cndmask_b32_e32 v1, v11, v7, vcc_lo
	v_cmp_eq_u32_e32 vcc_lo, s67, v9
	s_delay_alu instid0(VALU_DEP_4) | instskip(NEXT) | instid1(VALU_DEP_3)
	v_cndmask_b32_e32 v3, v15, v3, vcc_lo
	v_cmp_ne_u32_e32 vcc_lo, 0, v1
	v_mov_b32_e32 v15, v14
	s_delay_alu instid0(VALU_DEP_3) | instskip(SKIP_1) | instid1(VALU_DEP_1)
	v_cmp_ne_u32_e64 s0, 0, v3
	v_dual_cndmask_b32 v1, v21, v19, vcc_lo :: v_dual_cndmask_b32 v3, v20, v18, vcc_lo
	v_dual_cndmask_b32 v1, v17, v1, s0 :: v_dual_cndmask_b32 v3, v16, v3, s0
	s_delay_alu instid0(VALU_DEP_1) | instskip(NEXT) | instid1(VALU_DEP_2)
	v_xor_b32_e32 v17, v1, v14
	v_xor_b32_e32 v16, v3, v14
	s_delay_alu instid0(VALU_DEP_1)
	v_sub_nc_u64_e32 v[14:15], v[16:17], v[14:15]
.LBB119_2081:                           ;   in Loop: Header=BB119_2079 Depth=1
	s_and_not1_saveexec_b32 s0, s36
	s_cbranch_execz .LBB119_2078
; %bb.2082:                             ;   in Loop: Header=BB119_2079 Depth=1
	v_cvt_f32_u32_e32 v1, s62
	s_sub_co_i32 s4, 0, s62
	v_mov_b32_e32 v15, v10
	s_delay_alu instid0(VALU_DEP_2) | instskip(SKIP_1) | instid1(TRANS32_DEP_1)
	v_rcp_iflag_f32_e32 v1, v1
	v_nop
	v_mul_f32_e32 v1, 0x4f7ffffe, v1
	s_delay_alu instid0(VALU_DEP_1) | instskip(NEXT) | instid1(VALU_DEP_1)
	v_cvt_u32_f32_e32 v1, v1
	v_mul_lo_u32 v3, s4, v1
	s_delay_alu instid0(VALU_DEP_1) | instskip(NEXT) | instid1(VALU_DEP_1)
	v_mul_hi_u32 v3, v1, v3
	v_add_nc_u32_e32 v1, v1, v3
	s_delay_alu instid0(VALU_DEP_1) | instskip(NEXT) | instid1(VALU_DEP_1)
	v_mul_hi_u32 v1, v12, v1
	v_mul_lo_u32 v3, v1, s62
	s_delay_alu instid0(VALU_DEP_1) | instskip(NEXT) | instid1(VALU_DEP_1)
	v_dual_add_nc_u32 v7, 1, v1 :: v_dual_sub_nc_u32 v3, v12, v3
	v_subrev_nc_u32_e32 v9, s62, v3
	v_cmp_le_u32_e32 vcc_lo, s62, v3
	s_delay_alu instid0(VALU_DEP_2) | instskip(NEXT) | instid1(VALU_DEP_1)
	v_dual_cndmask_b32 v1, v1, v7, vcc_lo :: v_dual_cndmask_b32 v3, v3, v9, vcc_lo
	v_add_nc_u32_e32 v7, 1, v1
	s_delay_alu instid0(VALU_DEP_2) | instskip(NEXT) | instid1(VALU_DEP_2)
	v_cmp_le_u32_e32 vcc_lo, s62, v3
	v_cndmask_b32_e32 v14, v1, v7, vcc_lo
	s_branch .LBB119_2078
.LBB119_2083:
	s_mov_b32 s0, 0
	s_mov_b32 s36, s99
	;; [unrolled: 1-line block ×6, first 2 shown]
.LBB119_2084:
                                        ; implicit-def: $vgpr0
.LBB119_2085:
	s_and_not1_b32 s4, s99, exec_lo
	s_and_b32 s5, s36, exec_lo
	s_and_not1_b32 s6, s100, exec_lo
	s_and_b32 s7, s37, exec_lo
	s_or_b32 s64, s4, s5
	s_or_b32 s61, s6, s7
	s_and_not1_b32 s4, s101, exec_lo
	s_and_b32 s5, s38, exec_lo
	s_and_not1_b32 s6, s97, exec_lo
	s_and_b32 s7, s49, exec_lo
	s_or_b32 s63, s4, s5
	s_or_b32 s60, s6, s7
	;; [unrolled: 6-line block ×5, first 2 shown]
	s_or_not1_b32 s39, s0, exec_lo
.LBB119_2086:
	s_wait_xcnt 0x0
	s_or_b32 exec_lo, exec_lo, vcc_hi
	s_mov_b32 s36, 0
	s_mov_b32 s37, 0
	;; [unrolled: 1-line block ×3, first 2 shown]
                                        ; implicit-def: $sgpr0
                                        ; implicit-def: $vgpr12_vgpr13
                                        ; implicit-def: $vgpr2
                                        ; implicit-def: $vgpr8
                                        ; implicit-def: $vgpr10
                                        ; implicit-def: $vgpr4
                                        ; implicit-def: $vgpr6
                                        ; implicit-def: $vgpr3
	s_and_saveexec_b32 s65, s39
	s_cbranch_execz .LBB119_2190
; %bb.2087:
	s_mov_b32 s39, s28
	s_mov_b32 s66, exec_lo
                                        ; implicit-def: $sgpr0
                                        ; implicit-def: $vgpr12_vgpr13
                                        ; implicit-def: $vgpr2
                                        ; implicit-def: $vgpr8
                                        ; implicit-def: $vgpr10
                                        ; implicit-def: $vgpr4
                                        ; implicit-def: $vgpr6
                                        ; implicit-def: $vgpr3
	v_cmpx_gt_i32_e64 s82, v0
	s_cbranch_execz .LBB119_2189
; %bb.2088:
	s_and_not1_b32 vcc_lo, exec_lo, s72
	s_cbranch_vccnz .LBB119_2095
; %bb.2089:
	s_and_not1_b32 vcc_lo, exec_lo, s83
	s_cbranch_vccnz .LBB119_2096
; %bb.2090:
	s_wait_loadcnt 0x0
	v_dual_mov_b32 v6, 0 :: v_dual_mov_b32 v1, v0
	v_dual_mov_b32 v4, 0 :: v_dual_mov_b32 v10, 0
	;; [unrolled: 1-line block ×3, first 2 shown]
	v_mov_b32_e32 v12, 0
	s_add_co_i32 s0, s81, 1
	s_mov_b64 s[4:5], 0xffffffffffffffd0
	s_mov_b32 s13, s17
	s_mov_b32 s17, s51
	;; [unrolled: 1-line block ×3, first 2 shown]
	s_mov_b32 vcc_hi, s78
	s_mov_b32 s74, s77
	s_mov_b32 s67, s76
	s_mov_b64 s[78:79], s[42:43]
	s_mov_b64 s[76:77], s[40:41]
	s_and_b32 s0, s0, 30
	s_add_nc_u64 s[56:57], s[2:3], s[4:5]
	s_mov_b64 s[58:59], s[2:3]
.LBB119_2091:                           ; =>This Inner Loop Header: Depth=1
	s_clause 0x1
	s_load_b128 s[4:7], s[58:59], 0x4
	s_load_b64 s[82:83], s[58:59], 0x14
	s_clause 0x1
	s_load_b256 s[36:43], s[56:57], 0xf4
	s_load_b128 s[8:11], s[56:57], 0x114
	s_add_co_i32 s0, s0, -2
	s_wait_xcnt 0x0
	s_add_nc_u64 s[58:59], s[58:59], 24
	s_cmp_eq_u32 s0, 0
	s_add_nc_u64 s[56:57], s[56:57], 48
	s_wait_kmcnt 0x0
	v_mul_hi_u32 v3, s5, v1
	s_delay_alu instid0(VALU_DEP_1) | instskip(NEXT) | instid1(VALU_DEP_1)
	v_add_nc_u32_e32 v3, v1, v3
	v_lshrrev_b32_e32 v3, s6, v3
	s_delay_alu instid0(VALU_DEP_1) | instskip(SKIP_1) | instid1(VALU_DEP_1)
	v_mul_hi_u32 v5, s82, v3
	v_mul_lo_u32 v7, v3, s4
	v_dual_add_nc_u32 v5, v3, v5 :: v_dual_sub_nc_u32 v7, v1, v7
	s_delay_alu instid0(VALU_DEP_1) | instskip(NEXT) | instid1(VALU_DEP_2)
	v_lshrrev_b32_e32 v1, s83, v5
	v_mad_u32 v5, v7, s37, v12
	v_mad_u32 v2, v7, s36, v2
	;; [unrolled: 1-line block ×4, first 2 shown]
	v_mul_lo_u32 v9, v1, s7
	v_mad_u32 v4, s41, v7, v4
	v_mad_u32 v6, s40, v7, v6
	s_delay_alu instid0(VALU_DEP_3) | instskip(NEXT) | instid1(VALU_DEP_1)
	v_sub_nc_u32_e32 v3, v3, v9
	v_mad_u32 v12, v3, s43, v5
	v_mad_u32 v2, v3, s42, v2
	;; [unrolled: 1-line block ×6, first 2 shown]
	s_cbranch_scc0 .LBB119_2091
; %bb.2092:
	s_bitcmp1_b32 s81, 0
	s_cselect_b32 s0, -1, 0
	s_delay_alu instid0(SALU_CYCLE_1)
	s_and_b32 vcc_lo, exec_lo, s0
	s_cbranch_vccnz .LBB119_2094
; %bb.2093:
	s_load_b96 s[8:10], s[58:59], 0x4
	s_wait_kmcnt 0x0
	v_mul_hi_u32 v3, s9, v1
	s_delay_alu instid0(VALU_DEP_1) | instskip(NEXT) | instid1(VALU_DEP_1)
	v_add_nc_u32_e32 v3, v1, v3
	v_lshrrev_b32_e32 v3, s10, v3
	s_clause 0x1
	s_load_b128 s[4:7], s[56:57], 0xf4
	s_load_b64 s[10:11], s[56:57], 0x104
	s_delay_alu instid0(VALU_DEP_1) | instskip(NEXT) | instid1(VALU_DEP_1)
	v_mul_lo_u32 v3, v3, s8
	v_sub_nc_u32_e32 v1, v1, v3
	s_wait_kmcnt 0x0
	s_delay_alu instid0(VALU_DEP_1)
	v_mad_u32 v2, v1, s4, v2
	v_mad_u32 v12, v1, s5, v12
	;; [unrolled: 1-line block ×6, first 2 shown]
.LBB119_2094:
	s_load_b256 s[4:11], s[2:3], 0xc4
	s_mov_b64 s[40:41], s[76:77]
	s_mov_b64 s[42:43], s[78:79]
	s_mov_b32 s76, s67
	s_mov_b32 s77, s74
	s_mov_b32 s78, vcc_hi
	s_mov_b32 s79, s51
	s_mov_b32 s51, s17
	;; [unrolled: 1-line block ×3, first 2 shown]
	s_branch .LBB119_2097
.LBB119_2095:
	s_load_b256 s[4:11], s[2:3], 0xc4
	s_mov_b32 s0, -1
                                        ; implicit-def: $vgpr12
                                        ; implicit-def: $vgpr2
                                        ; implicit-def: $vgpr8
                                        ; implicit-def: $vgpr10
                                        ; implicit-def: $vgpr4
                                        ; implicit-def: $vgpr6
	s_branch .LBB119_2098
.LBB119_2096:
	s_load_b256 s[4:11], s[2:3], 0xc4
	v_dual_mov_b32 v12, 0 :: v_dual_mov_b32 v2, 0
	s_wait_loadcnt 0x0
	v_dual_mov_b32 v8, 0 :: v_dual_mov_b32 v10, 0
	v_dual_mov_b32 v4, 0 :: v_dual_mov_b32 v6, 0
.LBB119_2097:
	s_mov_b32 s0, 0
.LBB119_2098:
	s_delay_alu instid0(SALU_CYCLE_1)
	s_and_not1_b32 vcc_lo, exec_lo, s0
	s_cbranch_vccnz .LBB119_2101
; %bb.2099:
	s_wait_loadcnt 0x0
	v_mov_b32_e32 v1, 0
	s_and_not1_b32 vcc_lo, exec_lo, s44
	s_delay_alu instid0(VALU_DEP_1) | instskip(NEXT) | instid1(VALU_DEP_1)
	v_mul_u64_e32 v[2:3], s[52:53], v[0:1]
	v_add_nc_u32_e32 v2, v0, v3
	s_delay_alu instid0(VALU_DEP_1) | instskip(NEXT) | instid1(VALU_DEP_1)
	v_lshrrev_b32_e32 v14, s22, v2
	v_mul_lo_u32 v2, v14, s20
	s_delay_alu instid0(VALU_DEP_1) | instskip(SKIP_1) | instid1(VALU_DEP_1)
	v_sub_nc_u32_e32 v0, v0, v2
	s_wait_kmcnt 0x0
	v_mul_lo_u32 v12, v0, s5
	v_mul_lo_u32 v2, v0, s4
	;; [unrolled: 1-line block ×6, first 2 shown]
	s_cbranch_vccnz .LBB119_2101
; %bb.2100:
	v_mov_b32_e32 v15, v1
	s_load_b128 s[4:7], s[2:3], 0xe4
	s_delay_alu instid0(VALU_DEP_1) | instskip(NEXT) | instid1(VALU_DEP_1)
	v_mul_u64_e32 v[0:1], s[54:55], v[14:15]
	v_add_nc_u32_e32 v0, v14, v1
	s_delay_alu instid0(VALU_DEP_1) | instskip(NEXT) | instid1(VALU_DEP_1)
	v_lshrrev_b32_e32 v0, s47, v0
	v_mul_lo_u32 v0, v0, s23
	s_delay_alu instid0(VALU_DEP_1) | instskip(NEXT) | instid1(VALU_DEP_1)
	v_sub_nc_u32_e32 v0, v14, v0
	v_mad_u32 v2, v0, s10, v2
	v_mad_u32 v12, v0, s11, v12
	s_wait_kmcnt 0x0
	v_mad_u32 v10, v0, s4, v10
	v_mad_u32 v8, v0, s5, v8
	;; [unrolled: 1-line block ×4, first 2 shown]
.LBB119_2101:
	s_wait_kmcnt 0x0
	s_load_b256 s[4:11], s[2:3], 0x248
	v_mov_b32_e32 v13, 0
	s_and_b32 s0, s1, 0xff
	s_delay_alu instid0(SALU_CYCLE_1) | instskip(SKIP_1) | instid1(VALU_DEP_1)
	s_cmp_lt_i32 s0, 11
	s_wait_kmcnt 0x0
	v_add_nc_u64_e32 v[12:13], s[6:7], v[12:13]
	s_cbranch_scc1 .LBB119_2108
; %bb.2102:
	s_and_b32 s6, 0xffff, s0
	s_mov_b32 s7, 0
	s_cmp_gt_i32 s6, 25
	s_cbranch_scc0 .LBB119_2109
; %bb.2103:
	s_cmp_gt_i32 s6, 28
	s_cbranch_scc0 .LBB119_2110
; %bb.2104:
	s_cmp_gt_i32 s6, 43
	s_cbranch_scc0 .LBB119_2111
; %bb.2105:
	s_cmp_gt_i32 s6, 45
	s_cbranch_scc0 .LBB119_2117
; %bb.2106:
	s_cmp_eq_u32 s6, 46
	s_mov_b32 s21, 0
	s_cbranch_scc0 .LBB119_2127
; %bb.2107:
	global_load_b32 v0, v[12:13], off
	s_mov_b32 s1, 0
	s_mov_b32 s20, -1
	s_wait_loadcnt 0x0
	v_lshlrev_b32_e32 v0, 16, v0
	s_delay_alu instid0(VALU_DEP_1)
	v_cvt_i32_f32_e32 v3, v0
	s_branch .LBB119_2129
.LBB119_2108:
	s_mov_b32 s6, -1
	s_mov_b32 s20, 0
	s_mov_b32 s7, 0
	s_mov_b32 s1, s28
                                        ; implicit-def: $vgpr3
	s_branch .LBB119_2188
.LBB119_2109:
	s_mov_b32 s21, -1
	s_mov_b32 s20, 0
	s_mov_b32 s1, s28
                                        ; implicit-def: $vgpr3
	s_branch .LBB119_2156
.LBB119_2110:
	s_mov_b32 s21, -1
	s_mov_b32 s20, 0
	s_mov_b32 s1, s28
                                        ; implicit-def: $vgpr3
	s_branch .LBB119_2139
.LBB119_2111:
	s_mov_b32 s21, -1
	s_mov_b32 s20, 0
	s_mov_b32 s1, s28
                                        ; implicit-def: $vgpr3
	s_branch .LBB119_2134
.LBB119_2112:
	s_mov_b32 s38, -1
	s_mov_b32 s0, s100
	s_mov_b32 s36, exec_lo
	v_cmpx_gt_i32_e64 v6, v8
	s_cbranch_execz .LBB119_2119
; %bb.2113:
	s_delay_alu instid0(VALU_DEP_2) | instskip(SKIP_3) | instid1(VALU_DEP_1)
	v_lshlrev_b64_e32 v[4:5], 2, v[4:5]
	v_dual_ashrrev_i32 v9, 31, v8 :: v_dual_ashrrev_i32 v7, 31, v6
	s_mov_b32 s0, 0
	s_xor_b32 s38, s76, -1
                                        ; implicit-def: $sgpr37
                                        ; implicit-def: $sgpr49
                                        ; implicit-def: $sgpr39
	v_lshl_add_u64 v[8:9], v[8:9], 2, v[4:5]
	v_add_nc_u64_e32 v[10:11], s[42:43], v[4:5]
	s_delay_alu instid0(VALU_DEP_2) | instskip(NEXT) | instid1(VALU_DEP_2)
	v_add_nc_u64_e32 v[8:9], s[42:43], v[8:9]
	v_lshl_add_u64 v[6:7], v[6:7], 2, v[10:11]
	s_delay_alu instid0(VALU_DEP_2)
	v_add_nc_u64_e32 v[4:5], 4, v[8:9]
	s_branch .LBB119_2115
.LBB119_2114:                           ;   in Loop: Header=BB119_2115 Depth=1
	s_or_b32 exec_lo, exec_lo, s56
	s_delay_alu instid0(SALU_CYCLE_1) | instskip(NEXT) | instid1(SALU_CYCLE_1)
	s_and_b32 s4, exec_lo, s49
	s_or_b32 s0, s4, s0
	s_and_not1_b32 s4, s37, exec_lo
	s_and_b32 s5, s39, exec_lo
	s_delay_alu instid0(SALU_CYCLE_1)
	s_or_b32 s37, s4, s5
	s_and_not1_b32 exec_lo, exec_lo, s0
	s_cbranch_execz .LBB119_2118
.LBB119_2115:                           ; =>This Inner Loop Header: Depth=1
	s_or_b32 s39, s39, exec_lo
	s_or_b32 s49, s49, exec_lo
	s_mov_b32 s56, exec_lo
	s_delay_alu instid0(VALU_DEP_1)
	v_cmpx_lt_u64_e64 v[4:5], v[6:7]
	s_cbranch_execz .LBB119_2114
; %bb.2116:                             ;   in Loop: Header=BB119_2115 Depth=1
	global_load_b64 v[8:9], v[4:5], off offset:-4
	s_wait_xcnt 0x0
	v_add_nc_u64_e32 v[4:5], 4, v[4:5]
	s_and_not1_b32 s5, s49, exec_lo
	s_and_not1_b32 s39, s39, exec_lo
	s_wait_loadcnt 0x0
	v_cmp_ge_i32_e32 vcc_lo, v8, v9
	s_or_b32 s4, s38, vcc_lo
	s_delay_alu instid0(SALU_CYCLE_1) | instskip(NEXT) | instid1(SALU_CYCLE_1)
	s_and_b32 s4, s4, exec_lo
	s_or_b32 s49, s5, s4
	s_branch .LBB119_2114
.LBB119_2117:
	s_mov_b32 s21, -1
	s_mov_b32 s20, 0
	s_mov_b32 s1, s28
	s_branch .LBB119_2128
.LBB119_2118:
	s_or_b32 exec_lo, exec_lo, s0
	s_delay_alu instid0(SALU_CYCLE_1)
	s_or_b32 s0, s100, exec_lo
	s_or_not1_b32 s38, s37, exec_lo
.LBB119_2119:
	s_or_b32 exec_lo, exec_lo, s36
	s_mov_b32 s36, 0
	s_mov_b32 s37, s99
	s_and_saveexec_b32 s49, s38
	s_cbranch_execz .LBB119_3775
; %bb.2120:
	s_load_b256 s[4:11], s[2:3], 0x248
	v_mov_b32_e32 v3, 0
	s_and_b32 s57, s34, 0xff
	s_delay_alu instid0(SALU_CYCLE_1) | instskip(SKIP_1) | instid1(VALU_DEP_1)
	s_cmp_lt_i32 s57, 11
	s_wait_kmcnt 0x0
	v_add_nc_u64_e32 v[2:3], s[4:5], v[2:3]
	s_cbranch_scc1 .LBB119_3597
; %bb.2121:
	s_and_b32 s58, 0xffff, s57
	s_delay_alu instid0(SALU_CYCLE_1)
	s_cmp_gt_i32 s58, 25
	s_cbranch_scc0 .LBB119_3599
; %bb.2122:
	s_cmp_gt_i32 s58, 28
	s_cbranch_scc0 .LBB119_3601
; %bb.2123:
	;; [unrolled: 3-line block ×4, first 2 shown]
	s_mov_b32 s56, -1
	s_cmp_eq_u32 s58, 46
	s_mov_b32 s59, 0
	s_cbranch_scc0 .LBB119_3693
; %bb.2126:
	v_mov_b32_e32 v1, 0
	s_mov_b32 s59, -1
	s_mov_b32 s56, 0
	global_store_b32 v[2:3], v1, off
	s_branch .LBB119_3693
.LBB119_2127:
	s_mov_b32 s1, -1
	s_mov_b32 s20, 0
.LBB119_2128:
                                        ; implicit-def: $vgpr3
.LBB119_2129:
	s_and_b32 vcc_lo, exec_lo, s21
	s_cbranch_vccz .LBB119_2133
; %bb.2130:
	s_cmp_eq_u32 s6, 44
	s_cbranch_scc0 .LBB119_2132
; %bb.2131:
	global_load_u8 v0, v[12:13], off
	s_mov_b32 s1, 0
	s_mov_b32 s20, -1
	s_wait_loadcnt 0x0
	v_lshlrev_b32_e32 v1, 23, v0
	v_cmp_ne_u32_e32 vcc_lo, 0, v0
	s_delay_alu instid0(VALU_DEP_2) | instskip(NEXT) | instid1(VALU_DEP_1)
	v_cvt_i32_f32_e32 v1, v1
	v_cndmask_b32_e32 v3, 0, v1, vcc_lo
	s_branch .LBB119_2133
.LBB119_2132:
	s_mov_b32 s1, -1
                                        ; implicit-def: $vgpr3
.LBB119_2133:
	s_mov_b32 s21, 0
.LBB119_2134:
	s_delay_alu instid0(SALU_CYCLE_1)
	s_and_b32 vcc_lo, exec_lo, s21
	s_cbranch_vccz .LBB119_2138
; %bb.2135:
	s_cmp_eq_u32 s6, 29
	s_cbranch_scc0 .LBB119_2137
; %bb.2136:
	s_wait_loadcnt 0x0
	global_load_b32 v3, v[12:13], off
	s_mov_b32 s1, 0
	s_mov_b32 s20, -1
	s_branch .LBB119_2138
.LBB119_2137:
	s_mov_b32 s1, -1
                                        ; implicit-def: $vgpr3
.LBB119_2138:
	s_mov_b32 s21, 0
.LBB119_2139:
	s_delay_alu instid0(SALU_CYCLE_1)
	s_and_b32 vcc_lo, exec_lo, s21
	s_cbranch_vccz .LBB119_2155
; %bb.2140:
	s_cmp_lt_i32 s6, 27
	s_cbranch_scc1 .LBB119_2143
; %bb.2141:
	s_cmp_gt_i32 s6, 27
	s_cbranch_scc0 .LBB119_2144
; %bb.2142:
	s_wait_loadcnt 0x0
	global_load_b32 v3, v[12:13], off
	s_mov_b32 s20, 0
	s_branch .LBB119_2145
.LBB119_2143:
	s_mov_b32 s20, -1
                                        ; implicit-def: $vgpr3
	s_branch .LBB119_2148
.LBB119_2144:
	s_mov_b32 s20, -1
                                        ; implicit-def: $vgpr3
.LBB119_2145:
	s_delay_alu instid0(SALU_CYCLE_1)
	s_and_not1_b32 vcc_lo, exec_lo, s20
	s_cbranch_vccnz .LBB119_2147
; %bb.2146:
	s_wait_loadcnt 0x0
	global_load_u16 v3, v[12:13], off
.LBB119_2147:
	s_mov_b32 s20, 0
.LBB119_2148:
	s_delay_alu instid0(SALU_CYCLE_1)
	s_and_not1_b32 vcc_lo, exec_lo, s20
	s_cbranch_vccnz .LBB119_2154
; %bb.2149:
	global_load_u8 v0, v[12:13], off
	s_mov_b32 s21, 0
	s_mov_b32 s4, exec_lo
	s_wait_loadcnt 0x0
	v_cmpx_lt_i16_e32 0x7f, v0
	s_xor_b32 s20, exec_lo, s4
	s_cbranch_execz .LBB119_2166
; %bb.2150:
	v_cmp_ne_u16_e32 vcc_lo, 0x80, v0
	s_and_b32 s21, vcc_lo, exec_lo
	s_and_not1_saveexec_b32 s20, s20
	s_cbranch_execnz .LBB119_2167
.LBB119_2151:
	s_or_b32 exec_lo, exec_lo, s20
	v_mov_b32_e32 v3, 0
	s_and_saveexec_b32 s20, s21
	s_cbranch_execz .LBB119_2153
.LBB119_2152:
	v_and_b32_e32 v1, 0xffff, v0
	s_delay_alu instid0(VALU_DEP_1) | instskip(SKIP_1) | instid1(VALU_DEP_2)
	v_dual_lshlrev_b32 v0, 24, v0 :: v_dual_bitop2_b32 v3, 7, v1 bitop3:0x40
	v_bfe_u32 v9, v1, 3, 4
	v_and_b32_e32 v0, 0x80000000, v0
	s_delay_alu instid0(VALU_DEP_3) | instskip(NEXT) | instid1(VALU_DEP_3)
	v_clz_i32_u32_e32 v5, v3
	v_cmp_eq_u32_e32 vcc_lo, 0, v9
	s_delay_alu instid0(VALU_DEP_2) | instskip(NEXT) | instid1(VALU_DEP_1)
	v_min_u32_e32 v5, 32, v5
	v_subrev_nc_u32_e32 v7, 28, v5
	v_sub_nc_u32_e32 v5, 29, v5
	s_delay_alu instid0(VALU_DEP_2) | instskip(NEXT) | instid1(VALU_DEP_2)
	v_lshlrev_b32_e32 v1, v7, v1
	v_cndmask_b32_e32 v5, v9, v5, vcc_lo
	s_delay_alu instid0(VALU_DEP_2) | instskip(NEXT) | instid1(VALU_DEP_1)
	v_and_b32_e32 v1, 7, v1
	v_cndmask_b32_e32 v1, v3, v1, vcc_lo
	s_delay_alu instid0(VALU_DEP_3) | instskip(NEXT) | instid1(VALU_DEP_2)
	v_lshl_add_u32 v3, v5, 23, 0x3b800000
	v_lshlrev_b32_e32 v1, 20, v1
	s_delay_alu instid0(VALU_DEP_1) | instskip(NEXT) | instid1(VALU_DEP_1)
	v_or3_b32 v0, v0, v3, v1
	v_cvt_i32_f32_e32 v3, v0
.LBB119_2153:
	s_or_b32 exec_lo, exec_lo, s20
.LBB119_2154:
	s_mov_b32 s20, -1
.LBB119_2155:
	s_mov_b32 s21, 0
.LBB119_2156:
	s_delay_alu instid0(SALU_CYCLE_1)
	s_and_b32 vcc_lo, exec_lo, s21
	s_cbranch_vccz .LBB119_2187
; %bb.2157:
	s_cmp_gt_i32 s6, 22
	s_cbranch_scc0 .LBB119_2165
; %bb.2158:
	s_cmp_lt_i32 s6, 24
	s_cbranch_scc1 .LBB119_2168
; %bb.2159:
	s_cmp_gt_i32 s6, 24
	s_cbranch_scc0 .LBB119_2169
; %bb.2160:
	global_load_u8 v0, v[12:13], off
	s_mov_b32 s20, 0
	s_mov_b32 s4, exec_lo
	s_wait_loadcnt 0x0
	v_cmpx_lt_i16_e32 0x7f, v0
	s_xor_b32 s7, exec_lo, s4
	s_cbranch_execz .LBB119_2181
; %bb.2161:
	v_cmp_ne_u16_e32 vcc_lo, 0x80, v0
	s_and_b32 s20, vcc_lo, exec_lo
	s_and_not1_saveexec_b32 s7, s7
	s_cbranch_execnz .LBB119_2182
.LBB119_2162:
	s_or_b32 exec_lo, exec_lo, s7
	v_mov_b32_e32 v3, 0
	s_and_saveexec_b32 s7, s20
	s_cbranch_execz .LBB119_2164
.LBB119_2163:
	v_and_b32_e32 v1, 0xffff, v0
	s_delay_alu instid0(VALU_DEP_1) | instskip(SKIP_1) | instid1(VALU_DEP_2)
	v_dual_lshlrev_b32 v0, 24, v0 :: v_dual_bitop2_b32 v3, 3, v1 bitop3:0x40
	v_bfe_u32 v9, v1, 2, 5
	v_and_b32_e32 v0, 0x80000000, v0
	s_delay_alu instid0(VALU_DEP_3) | instskip(NEXT) | instid1(VALU_DEP_3)
	v_clz_i32_u32_e32 v5, v3
	v_cmp_eq_u32_e32 vcc_lo, 0, v9
	s_delay_alu instid0(VALU_DEP_2) | instskip(NEXT) | instid1(VALU_DEP_1)
	v_min_u32_e32 v5, 32, v5
	v_subrev_nc_u32_e32 v7, 29, v5
	v_sub_nc_u32_e32 v5, 30, v5
	s_delay_alu instid0(VALU_DEP_2) | instskip(NEXT) | instid1(VALU_DEP_2)
	v_lshlrev_b32_e32 v1, v7, v1
	v_cndmask_b32_e32 v5, v9, v5, vcc_lo
	s_delay_alu instid0(VALU_DEP_2) | instskip(NEXT) | instid1(VALU_DEP_1)
	v_and_b32_e32 v1, 3, v1
	v_cndmask_b32_e32 v1, v3, v1, vcc_lo
	s_delay_alu instid0(VALU_DEP_3) | instskip(NEXT) | instid1(VALU_DEP_2)
	v_lshl_add_u32 v3, v5, 23, 0x37800000
	v_lshlrev_b32_e32 v1, 21, v1
	s_delay_alu instid0(VALU_DEP_1) | instskip(NEXT) | instid1(VALU_DEP_1)
	v_or3_b32 v0, v0, v3, v1
	v_cvt_i32_f32_e32 v3, v0
.LBB119_2164:
	s_or_b32 exec_lo, exec_lo, s7
	s_mov_b32 s7, 0
	s_branch .LBB119_2170
.LBB119_2165:
	s_mov_b32 s7, -1
                                        ; implicit-def: $vgpr3
	s_branch .LBB119_2176
.LBB119_2166:
	s_and_not1_saveexec_b32 s20, s20
	s_cbranch_execz .LBB119_2151
.LBB119_2167:
	v_cmp_ne_u16_e32 vcc_lo, 0, v0
	s_and_not1_b32 s4, s21, exec_lo
	s_and_b32 s5, vcc_lo, exec_lo
	s_delay_alu instid0(SALU_CYCLE_1)
	s_or_b32 s21, s4, s5
	s_or_b32 exec_lo, exec_lo, s20
	v_mov_b32_e32 v3, 0
	s_and_saveexec_b32 s20, s21
	s_cbranch_execnz .LBB119_2152
	s_branch .LBB119_2153
.LBB119_2168:
	s_mov_b32 s7, -1
                                        ; implicit-def: $vgpr3
	s_branch .LBB119_2173
.LBB119_2169:
	s_mov_b32 s7, -1
                                        ; implicit-def: $vgpr3
.LBB119_2170:
	s_delay_alu instid0(SALU_CYCLE_1)
	s_and_b32 vcc_lo, exec_lo, s7
	s_cbranch_vccz .LBB119_2172
; %bb.2171:
	global_load_u8 v0, v[12:13], off
	s_wait_loadcnt 0x0
	v_lshlrev_b32_e32 v0, 24, v0
	s_delay_alu instid0(VALU_DEP_1) | instskip(NEXT) | instid1(VALU_DEP_1)
	v_and_b32_e32 v1, 0x7f000000, v0
	v_clz_i32_u32_e32 v3, v1
	v_add_nc_u32_e32 v7, 0x1000000, v1
	v_cmp_ne_u32_e32 vcc_lo, 0, v1
	s_delay_alu instid0(VALU_DEP_3) | instskip(NEXT) | instid1(VALU_DEP_1)
	v_min_u32_e32 v3, 32, v3
	v_sub_nc_u32_e64 v3, v3, 4 clamp
	s_delay_alu instid0(VALU_DEP_1) | instskip(NEXT) | instid1(VALU_DEP_1)
	v_dual_lshlrev_b32 v5, v3, v1 :: v_dual_lshlrev_b32 v3, 23, v3
	v_lshrrev_b32_e32 v5, 4, v5
	s_delay_alu instid0(VALU_DEP_1) | instskip(SKIP_1) | instid1(VALU_DEP_2)
	v_sub_nc_u32_e32 v3, v5, v3
	v_ashrrev_i32_e32 v5, 8, v7
	v_add_nc_u32_e32 v3, 0x3c000000, v3
	s_delay_alu instid0(VALU_DEP_1) | instskip(NEXT) | instid1(VALU_DEP_1)
	v_and_or_b32 v3, 0x7f800000, v5, v3
	v_cndmask_b32_e32 v1, 0, v3, vcc_lo
	s_delay_alu instid0(VALU_DEP_1) | instskip(NEXT) | instid1(VALU_DEP_1)
	v_and_or_b32 v0, 0x80000000, v0, v1
	v_cvt_i32_f32_e32 v3, v0
.LBB119_2172:
	s_mov_b32 s7, 0
.LBB119_2173:
	s_delay_alu instid0(SALU_CYCLE_1)
	s_and_not1_b32 vcc_lo, exec_lo, s7
	s_cbranch_vccnz .LBB119_2175
; %bb.2174:
	global_load_u8 v0, v[12:13], off
	s_wait_loadcnt 0x0
	v_lshlrev_b32_e32 v1, 25, v0
	v_lshlrev_b16 v0, 8, v0
	s_delay_alu instid0(VALU_DEP_1) | instskip(SKIP_1) | instid1(VALU_DEP_2)
	v_and_or_b32 v5, 0x7f00, v0, 0.5
	v_bfe_i32 v0, v0, 0, 16
	v_add_f32_e32 v5, -0.5, v5
	v_lshrrev_b32_e32 v3, 4, v1
	v_cmp_gt_u32_e32 vcc_lo, 0x8000000, v1
	s_delay_alu instid0(VALU_DEP_2) | instskip(NEXT) | instid1(VALU_DEP_1)
	v_or_b32_e32 v3, 0x70000000, v3
	v_mul_f32_e32 v3, 0x7800000, v3
	s_delay_alu instid0(VALU_DEP_1) | instskip(NEXT) | instid1(VALU_DEP_1)
	v_cndmask_b32_e32 v1, v3, v5, vcc_lo
	v_and_or_b32 v0, 0x80000000, v0, v1
	s_delay_alu instid0(VALU_DEP_1)
	v_cvt_i32_f32_e32 v3, v0
.LBB119_2175:
	s_mov_b32 s7, 0
	s_mov_b32 s20, -1
.LBB119_2176:
	s_and_not1_b32 vcc_lo, exec_lo, s7
	s_mov_b32 s7, 0
	s_cbranch_vccnz .LBB119_2187
; %bb.2177:
	s_cmp_gt_i32 s6, 14
	s_cbranch_scc0 .LBB119_2180
; %bb.2178:
	s_cmp_eq_u32 s6, 15
	s_cbranch_scc0 .LBB119_2183
; %bb.2179:
	global_load_u16 v0, v[12:13], off
	s_mov_b32 s1, 0
	s_mov_b32 s20, -1
	s_wait_loadcnt 0x0
	v_lshlrev_b32_e32 v0, 16, v0
	s_delay_alu instid0(VALU_DEP_1)
	v_cvt_i32_f32_e32 v3, v0
	s_branch .LBB119_2185
.LBB119_2180:
	s_mov_b32 s7, -1
	s_branch .LBB119_2184
.LBB119_2181:
	s_and_not1_saveexec_b32 s7, s7
	s_cbranch_execz .LBB119_2162
.LBB119_2182:
	v_cmp_ne_u16_e32 vcc_lo, 0, v0
	s_and_not1_b32 s4, s20, exec_lo
	s_and_b32 s5, vcc_lo, exec_lo
	s_delay_alu instid0(SALU_CYCLE_1)
	s_or_b32 s20, s4, s5
	s_or_b32 exec_lo, exec_lo, s7
	v_mov_b32_e32 v3, 0
	s_and_saveexec_b32 s7, s20
	s_cbranch_execnz .LBB119_2163
	s_branch .LBB119_2164
.LBB119_2183:
	s_mov_b32 s1, -1
.LBB119_2184:
                                        ; implicit-def: $vgpr3
.LBB119_2185:
	s_and_b32 vcc_lo, exec_lo, s7
	s_mov_b32 s7, 0
	s_cbranch_vccz .LBB119_2187
; %bb.2186:
	s_cmp_lg_u32 s6, 11
	s_mov_b32 s7, -1
	s_cselect_b32 s4, -1, 0
	s_and_not1_b32 s1, s1, exec_lo
	s_and_b32 s4, s4, exec_lo
	s_delay_alu instid0(SALU_CYCLE_1)
	s_or_b32 s1, s1, s4
.LBB119_2187:
	s_mov_b32 s6, 0
.LBB119_2188:
	s_and_not1_b32 s4, s28, exec_lo
	s_and_b32 s1, s1, exec_lo
	s_and_b32 s38, s20, exec_lo
	s_and_b32 s37, s6, exec_lo
	s_and_b32 s36, s7, exec_lo
	s_or_b32 s39, s4, s1
.LBB119_2189:
	s_wait_xcnt 0x0
	s_or_b32 exec_lo, exec_lo, s66
	s_delay_alu instid0(SALU_CYCLE_1)
	s_and_not1_b32 s1, s28, exec_lo
	s_and_b32 s4, s39, exec_lo
	s_and_b32 s38, s38, exec_lo
	;; [unrolled: 1-line block ×4, first 2 shown]
	s_or_b32 s28, s1, s4
.LBB119_2190:
	s_or_b32 exec_lo, exec_lo, s65
	s_delay_alu instid0(SALU_CYCLE_1)
	s_and_not1_b32 s1, s99, exec_lo
	s_and_b32 s4, s64, exec_lo
	s_and_not1_b32 s5, s101, exec_lo
	s_or_b32 s99, s1, s4
	s_and_not1_b32 s1, s100, exec_lo
	s_and_b32 s4, s61, exec_lo
	s_and_b32 s6, s63, exec_lo
	s_or_b32 s100, s1, s4
	s_and_not1_b32 s1, s97, exec_lo
	s_and_b32 s4, s60, exec_lo
	s_or_b32 s101, s5, s6
	s_and_not1_b32 s5, s98, exec_lo
	;; [unrolled: 3-line block ×7, first 2 shown]
	s_and_b32 s4, s28, exec_lo
	s_or_b32 s94, s5, s6
	s_and_b32 s31, s38, exec_lo
	s_and_b32 s30, s37, exec_lo
	;; [unrolled: 1-line block ×3, first 2 shown]
	s_or_b32 s92, s1, s4
.LBB119_2191:
	s_or_b32 exec_lo, exec_lo, s104
	s_delay_alu instid0(SALU_CYCLE_1)
	s_and_not1_b32 s1, s45, exec_lo
	s_and_b32 s4, s99, exec_lo
	s_and_not1_b32 s5, s69, exec_lo
	s_or_b32 s45, s1, s4
	s_and_not1_b32 s1, s68, exec_lo
	s_and_b32 s4, s100, exec_lo
	s_and_b32 s6, s101, exec_lo
	s_or_b32 s68, s1, s4
	s_and_not1_b32 s1, s84, exec_lo
	s_and_b32 s4, s97, exec_lo
	s_or_b32 s69, s5, s6
	s_and_not1_b32 s5, s85, exec_lo
	;; [unrolled: 3-line block ×7, first 2 shown]
	s_and_b32 s4, s92, exec_lo
	s_or_b32 s89, s5, s6
	s_and_b32 s28, s31, exec_lo
	s_and_b32 s30, s30, exec_lo
	s_and_b32 s53, s29, exec_lo
	s_or_b32 s90, s1, s4
	s_or_b32 exec_lo, exec_lo, s91
	s_mov_b32 s1, 0
	s_and_saveexec_b32 s6, s90
	s_cbranch_execz .LBB119_660
.LBB119_2192:
	s_mov_b32 s1, exec_lo
	s_and_not1_b32 s53, s53, exec_lo
	s_trap 2
	s_or_b32 exec_lo, exec_lo, s6
	s_and_saveexec_b32 s4, s53
	s_delay_alu instid0(SALU_CYCLE_1)
	s_xor_b32 s6, exec_lo, s4
	s_cbranch_execnz .LBB119_661
.LBB119_2193:
	s_or_b32 exec_lo, exec_lo, s6
	s_and_saveexec_b32 s6, s30
	s_cbranch_execz .LBB119_2239
.LBB119_2194:
	s_sext_i32_i16 s7, s0
	s_delay_alu instid0(SALU_CYCLE_1)
	s_cmp_lt_i32 s7, 5
	s_cbranch_scc1 .LBB119_2199
; %bb.2195:
	s_cmp_lt_i32 s7, 8
	s_cbranch_scc1 .LBB119_2200
; %bb.2196:
	;; [unrolled: 3-line block ×3, first 2 shown]
	s_cmp_gt_i32 s7, 9
	s_cbranch_scc0 .LBB119_2202
; %bb.2198:
	s_wait_loadcnt 0x0
	global_load_b64 v[0:1], v[12:13], off
	s_mov_b32 s7, 0
	s_wait_loadcnt 0x0
	v_cvt_i32_f64_e32 v3, v[0:1]
	s_branch .LBB119_2203
.LBB119_2199:
                                        ; implicit-def: $vgpr3
	s_branch .LBB119_2220
.LBB119_2200:
                                        ; implicit-def: $vgpr3
	s_branch .LBB119_2209
.LBB119_2201:
	s_mov_b32 s7, -1
                                        ; implicit-def: $vgpr3
	s_branch .LBB119_2206
.LBB119_2202:
	s_mov_b32 s7, -1
                                        ; implicit-def: $vgpr3
.LBB119_2203:
	s_delay_alu instid0(SALU_CYCLE_1)
	s_and_not1_b32 vcc_lo, exec_lo, s7
	s_cbranch_vccnz .LBB119_2205
; %bb.2204:
	global_load_b32 v0, v[12:13], off
	s_wait_loadcnt 0x0
	v_cvt_i32_f32_e32 v3, v0
.LBB119_2205:
	s_mov_b32 s7, 0
.LBB119_2206:
	s_delay_alu instid0(SALU_CYCLE_1)
	s_and_not1_b32 vcc_lo, exec_lo, s7
	s_cbranch_vccnz .LBB119_2208
; %bb.2207:
	global_load_b32 v0, v[12:13], off
	s_wait_loadcnt 0x0
	v_cvt_f32_f16_e32 v0, v0
	s_delay_alu instid0(VALU_DEP_1)
	v_cvt_i32_f32_e32 v3, v0
.LBB119_2208:
	s_cbranch_execnz .LBB119_2219
.LBB119_2209:
	s_sext_i32_i16 s7, s0
	s_delay_alu instid0(SALU_CYCLE_1)
	s_cmp_lt_i32 s7, 6
	s_cbranch_scc1 .LBB119_2212
; %bb.2210:
	s_cmp_gt_i32 s7, 6
	s_cbranch_scc0 .LBB119_2213
; %bb.2211:
	s_wait_loadcnt 0x0
	global_load_b64 v[0:1], v[12:13], off
	s_mov_b32 s7, 0
	s_wait_loadcnt 0x0
	v_cvt_i32_f64_e32 v3, v[0:1]
	s_branch .LBB119_2214
.LBB119_2212:
	s_mov_b32 s7, -1
                                        ; implicit-def: $vgpr3
	s_branch .LBB119_2217
.LBB119_2213:
	s_mov_b32 s7, -1
                                        ; implicit-def: $vgpr3
.LBB119_2214:
	s_delay_alu instid0(SALU_CYCLE_1)
	s_and_not1_b32 vcc_lo, exec_lo, s7
	s_cbranch_vccnz .LBB119_2216
; %bb.2215:
	global_load_b32 v0, v[12:13], off
	s_wait_loadcnt 0x0
	v_cvt_i32_f32_e32 v3, v0
.LBB119_2216:
	s_mov_b32 s7, 0
.LBB119_2217:
	s_delay_alu instid0(SALU_CYCLE_1)
	s_and_not1_b32 vcc_lo, exec_lo, s7
	s_cbranch_vccnz .LBB119_2219
; %bb.2218:
	global_load_u16 v0, v[12:13], off
	s_wait_loadcnt 0x0
	v_cvt_f32_f16_e32 v0, v0
	s_delay_alu instid0(VALU_DEP_1)
	v_cvt_i32_f32_e32 v3, v0
.LBB119_2219:
	s_cbranch_execnz .LBB119_2238
.LBB119_2220:
	s_sext_i32_i16 s7, s0
	s_delay_alu instid0(SALU_CYCLE_1)
	s_cmp_lt_i32 s7, 2
	s_cbranch_scc1 .LBB119_2224
; %bb.2221:
	s_cmp_lt_i32 s7, 3
	s_cbranch_scc1 .LBB119_2225
; %bb.2222:
	s_cmp_gt_i32 s7, 3
	s_cbranch_scc0 .LBB119_2226
; %bb.2223:
	s_wait_loadcnt 0x0
	global_load_b32 v3, v[12:13], off
	s_mov_b32 s7, 0
	s_branch .LBB119_2227
.LBB119_2224:
                                        ; implicit-def: $vgpr3
	s_branch .LBB119_2233
.LBB119_2225:
	s_mov_b32 s7, -1
                                        ; implicit-def: $vgpr3
	s_branch .LBB119_2230
.LBB119_2226:
	s_mov_b32 s7, -1
                                        ; implicit-def: $vgpr3
.LBB119_2227:
	s_delay_alu instid0(SALU_CYCLE_1)
	s_and_not1_b32 vcc_lo, exec_lo, s7
	s_cbranch_vccnz .LBB119_2229
; %bb.2228:
	s_wait_loadcnt 0x0
	global_load_b32 v3, v[12:13], off
.LBB119_2229:
	s_mov_b32 s7, 0
.LBB119_2230:
	s_delay_alu instid0(SALU_CYCLE_1)
	s_and_not1_b32 vcc_lo, exec_lo, s7
	s_cbranch_vccnz .LBB119_2232
; %bb.2231:
	s_wait_loadcnt 0x0
	global_load_i16 v3, v[12:13], off
.LBB119_2232:
	s_cbranch_execnz .LBB119_2238
.LBB119_2233:
	s_sext_i32_i16 s0, s0
	s_delay_alu instid0(SALU_CYCLE_1)
	s_cmp_gt_i32 s0, 0
	s_mov_b32 s0, 0
	s_cbranch_scc0 .LBB119_2235
; %bb.2234:
	s_wait_loadcnt 0x0
	global_load_i8 v3, v[12:13], off
	s_branch .LBB119_2236
.LBB119_2235:
	s_mov_b32 s0, -1
                                        ; implicit-def: $vgpr3
.LBB119_2236:
	s_delay_alu instid0(SALU_CYCLE_1)
	s_and_not1_b32 vcc_lo, exec_lo, s0
	s_cbranch_vccnz .LBB119_2238
; %bb.2237:
	s_wait_loadcnt 0x0
	global_load_u8 v3, v[12:13], off
.LBB119_2238:
	s_or_b32 s28, s28, exec_lo
.LBB119_2239:
	s_wait_xcnt 0x0
	s_or_b32 exec_lo, exec_lo, s6
	s_mov_b32 s7, 0
	s_mov_b32 s21, 0
	;; [unrolled: 1-line block ×3, first 2 shown]
                                        ; implicit-def: $sgpr0
                                        ; implicit-def: $vgpr0_vgpr1
                                        ; implicit-def: $vgpr12
	s_and_saveexec_b32 s6, s28
	s_cbranch_execz .LBB119_2247
; %bb.2240:
	s_load_b256 s[20:27], s[2:3], 0x248
	v_mov_b32_e32 v11, 0
	s_and_b32 s0, s75, 0xff
	s_delay_alu instid0(SALU_CYCLE_1)
	s_cmp_lt_i32 s0, 11
	s_wait_loadcnt 0x0
	s_wait_kmcnt 0x0
	v_add_nc_u64_e32 v[0:1], s[24:25], v[10:11]
	s_cbranch_scc1 .LBB119_2250
; %bb.2241:
	s_and_b32 s8, 0xffff, s0
	s_mov_b32 s9, 0
	s_cmp_gt_i32 s8, 25
	s_cbranch_scc0 .LBB119_2251
; %bb.2242:
	s_cmp_gt_i32 s8, 28
	s_cbranch_scc0 .LBB119_2252
; %bb.2243:
	;; [unrolled: 3-line block ×4, first 2 shown]
	s_cmp_eq_u32 s8, 46
	s_mov_b32 s21, 0
	s_cbranch_scc0 .LBB119_2255
; %bb.2246:
	global_load_b32 v5, v[0:1], off
	s_mov_b32 s20, -1
	s_wait_loadcnt 0x0
	v_lshlrev_b32_e32 v5, 16, v5
	s_delay_alu instid0(VALU_DEP_1)
	v_cvt_i32_f32_e32 v12, v5
	s_branch .LBB119_2257
.LBB119_2247:
	s_or_b32 exec_lo, exec_lo, s6
	s_and_saveexec_b32 s6, s89
	s_cbranch_execnz .LBB119_2316
.LBB119_2248:
	s_or_b32 exec_lo, exec_lo, s6
	s_and_saveexec_b32 s4, s7
	s_delay_alu instid0(SALU_CYCLE_1)
	s_xor_b32 s6, exec_lo, s4
	s_cbranch_execz .LBB119_2317
.LBB119_2249:
	s_wait_loadcnt 0x0
	global_load_u8 v5, v[0:1], off
	s_or_b32 s20, s20, exec_lo
	s_wait_loadcnt 0x0
	v_cmp_ne_u16_e32 vcc_lo, 0, v5
	v_cndmask_b32_e64 v12, 0, 1, vcc_lo
	s_wait_xcnt 0x0
	s_or_b32 exec_lo, exec_lo, s6
	s_and_saveexec_b32 s6, s21
	s_cbranch_execz .LBB119_2363
	s_branch .LBB119_2318
.LBB119_2250:
	s_mov_b32 s8, -1
	s_mov_b32 s20, 0
	s_mov_b32 s9, 0
	;; [unrolled: 1-line block ×3, first 2 shown]
                                        ; implicit-def: $vgpr12
	s_branch .LBB119_2315
.LBB119_2251:
	s_mov_b32 s20, 0
	s_mov_b32 s7, s89
                                        ; implicit-def: $vgpr12
	s_cbranch_execnz .LBB119_2284
	s_branch .LBB119_2314
.LBB119_2252:
	s_mov_b32 s21, -1
	s_mov_b32 s20, 0
	s_mov_b32 s7, s89
                                        ; implicit-def: $vgpr12
	s_branch .LBB119_2267
.LBB119_2253:
	s_mov_b32 s21, -1
	s_mov_b32 s20, 0
	s_mov_b32 s7, s89
                                        ; implicit-def: $vgpr12
	s_branch .LBB119_2262
.LBB119_2254:
	s_mov_b32 s21, -1
	s_mov_b32 s20, 0
	s_mov_b32 s7, s89
	s_branch .LBB119_2256
.LBB119_2255:
	s_mov_b32 s7, -1
	s_mov_b32 s20, 0
.LBB119_2256:
                                        ; implicit-def: $vgpr12
.LBB119_2257:
	s_and_b32 vcc_lo, exec_lo, s21
	s_cbranch_vccz .LBB119_2261
; %bb.2258:
	s_cmp_eq_u32 s8, 44
	s_cbranch_scc0 .LBB119_2260
; %bb.2259:
	global_load_u8 v5, v[0:1], off
	s_mov_b32 s7, 0
	s_mov_b32 s20, -1
	s_wait_loadcnt 0x0
	v_lshlrev_b32_e32 v7, 23, v5
	v_cmp_ne_u32_e32 vcc_lo, 0, v5
	s_delay_alu instid0(VALU_DEP_2) | instskip(NEXT) | instid1(VALU_DEP_1)
	v_cvt_i32_f32_e32 v7, v7
	v_cndmask_b32_e32 v12, 0, v7, vcc_lo
	s_branch .LBB119_2261
.LBB119_2260:
	s_mov_b32 s7, -1
                                        ; implicit-def: $vgpr12
.LBB119_2261:
	s_mov_b32 s21, 0
.LBB119_2262:
	s_delay_alu instid0(SALU_CYCLE_1)
	s_and_b32 vcc_lo, exec_lo, s21
	s_cbranch_vccz .LBB119_2266
; %bb.2263:
	s_cmp_eq_u32 s8, 29
	s_cbranch_scc0 .LBB119_2265
; %bb.2264:
	global_load_b32 v12, v[0:1], off
	s_mov_b32 s7, 0
	s_mov_b32 s20, -1
	s_branch .LBB119_2266
.LBB119_2265:
	s_mov_b32 s7, -1
                                        ; implicit-def: $vgpr12
.LBB119_2266:
	s_mov_b32 s21, 0
.LBB119_2267:
	s_delay_alu instid0(SALU_CYCLE_1)
	s_and_b32 vcc_lo, exec_lo, s21
	s_cbranch_vccz .LBB119_2283
; %bb.2268:
	s_cmp_lt_i32 s8, 27
	s_cbranch_scc1 .LBB119_2271
; %bb.2269:
	s_cmp_gt_i32 s8, 27
	s_cbranch_scc0 .LBB119_2272
; %bb.2270:
	s_wait_loadcnt 0x0
	global_load_b32 v12, v[0:1], off
	s_mov_b32 s20, 0
	s_branch .LBB119_2273
.LBB119_2271:
	s_mov_b32 s20, -1
                                        ; implicit-def: $vgpr12
	s_branch .LBB119_2276
.LBB119_2272:
	s_mov_b32 s20, -1
                                        ; implicit-def: $vgpr12
.LBB119_2273:
	s_delay_alu instid0(SALU_CYCLE_1)
	s_and_not1_b32 vcc_lo, exec_lo, s20
	s_cbranch_vccnz .LBB119_2275
; %bb.2274:
	s_wait_loadcnt 0x0
	global_load_u16 v12, v[0:1], off
.LBB119_2275:
	s_mov_b32 s20, 0
.LBB119_2276:
	s_delay_alu instid0(SALU_CYCLE_1)
	s_and_not1_b32 vcc_lo, exec_lo, s20
	s_cbranch_vccnz .LBB119_2282
; %bb.2277:
	global_load_u8 v5, v[0:1], off
	s_mov_b32 s21, 0
	s_mov_b32 s4, exec_lo
	s_wait_loadcnt 0x0
	v_cmpx_lt_i16_e32 0x7f, v5
	s_xor_b32 s20, exec_lo, s4
	s_cbranch_execz .LBB119_2293
; %bb.2278:
	v_cmp_ne_u16_e32 vcc_lo, 0x80, v5
	s_and_b32 s21, vcc_lo, exec_lo
	s_and_not1_saveexec_b32 s20, s20
	s_cbranch_execnz .LBB119_2294
.LBB119_2279:
	s_or_b32 exec_lo, exec_lo, s20
	v_mov_b32_e32 v12, 0
	s_and_saveexec_b32 s20, s21
	s_cbranch_execz .LBB119_2281
.LBB119_2280:
	v_and_b32_e32 v7, 0xffff, v5
	s_delay_alu instid0(VALU_DEP_1) | instskip(SKIP_1) | instid1(VALU_DEP_2)
	v_and_b32_e32 v9, 7, v7
	v_bfe_u32 v12, v7, 3, 4
	v_clz_i32_u32_e32 v10, v9
	s_delay_alu instid0(VALU_DEP_2) | instskip(NEXT) | instid1(VALU_DEP_2)
	v_cmp_eq_u32_e32 vcc_lo, 0, v12
	v_min_u32_e32 v10, 32, v10
	s_delay_alu instid0(VALU_DEP_1) | instskip(NEXT) | instid1(VALU_DEP_1)
	v_subrev_nc_u32_e32 v11, 28, v10
	v_dual_lshlrev_b32 v7, v11, v7 :: v_dual_sub_nc_u32 v10, 29, v10
	s_delay_alu instid0(VALU_DEP_1) | instskip(NEXT) | instid1(VALU_DEP_1)
	v_dual_lshlrev_b32 v5, 24, v5 :: v_dual_bitop2_b32 v7, 7, v7 bitop3:0x40
	v_dual_cndmask_b32 v10, v12, v10 :: v_dual_cndmask_b32 v7, v9, v7
	s_delay_alu instid0(VALU_DEP_2) | instskip(NEXT) | instid1(VALU_DEP_2)
	v_and_b32_e32 v5, 0x80000000, v5
	v_lshl_add_u32 v9, v10, 23, 0x3b800000
	s_delay_alu instid0(VALU_DEP_3) | instskip(NEXT) | instid1(VALU_DEP_1)
	v_lshlrev_b32_e32 v7, 20, v7
	v_or3_b32 v5, v5, v9, v7
	s_delay_alu instid0(VALU_DEP_1)
	v_cvt_i32_f32_e32 v12, v5
.LBB119_2281:
	s_or_b32 exec_lo, exec_lo, s20
.LBB119_2282:
	s_mov_b32 s20, -1
.LBB119_2283:
	s_branch .LBB119_2314
.LBB119_2284:
	s_cmp_gt_i32 s8, 22
	s_cbranch_scc0 .LBB119_2292
; %bb.2285:
	s_cmp_lt_i32 s8, 24
	s_cbranch_scc1 .LBB119_2295
; %bb.2286:
	s_cmp_gt_i32 s8, 24
	s_cbranch_scc0 .LBB119_2296
; %bb.2287:
	global_load_u8 v5, v[0:1], off
	s_mov_b32 s20, 0
	s_mov_b32 s4, exec_lo
	s_wait_loadcnt 0x0
	v_cmpx_lt_i16_e32 0x7f, v5
	s_xor_b32 s9, exec_lo, s4
	s_cbranch_execz .LBB119_2308
; %bb.2288:
	v_cmp_ne_u16_e32 vcc_lo, 0x80, v5
	s_and_b32 s20, vcc_lo, exec_lo
	s_and_not1_saveexec_b32 s9, s9
	s_cbranch_execnz .LBB119_2309
.LBB119_2289:
	s_or_b32 exec_lo, exec_lo, s9
	v_mov_b32_e32 v12, 0
	s_and_saveexec_b32 s9, s20
	s_cbranch_execz .LBB119_2291
.LBB119_2290:
	v_and_b32_e32 v7, 0xffff, v5
	s_delay_alu instid0(VALU_DEP_1) | instskip(SKIP_1) | instid1(VALU_DEP_2)
	v_and_b32_e32 v9, 3, v7
	v_bfe_u32 v12, v7, 2, 5
	v_clz_i32_u32_e32 v10, v9
	s_delay_alu instid0(VALU_DEP_2) | instskip(NEXT) | instid1(VALU_DEP_2)
	v_cmp_eq_u32_e32 vcc_lo, 0, v12
	v_min_u32_e32 v10, 32, v10
	s_delay_alu instid0(VALU_DEP_1) | instskip(NEXT) | instid1(VALU_DEP_1)
	v_subrev_nc_u32_e32 v11, 29, v10
	v_dual_lshlrev_b32 v7, v11, v7 :: v_dual_sub_nc_u32 v10, 30, v10
	s_delay_alu instid0(VALU_DEP_1) | instskip(NEXT) | instid1(VALU_DEP_1)
	v_dual_lshlrev_b32 v5, 24, v5 :: v_dual_bitop2_b32 v7, 3, v7 bitop3:0x40
	v_dual_cndmask_b32 v10, v12, v10 :: v_dual_cndmask_b32 v7, v9, v7
	s_delay_alu instid0(VALU_DEP_2) | instskip(NEXT) | instid1(VALU_DEP_2)
	v_and_b32_e32 v5, 0x80000000, v5
	v_lshl_add_u32 v9, v10, 23, 0x37800000
	s_delay_alu instid0(VALU_DEP_3) | instskip(NEXT) | instid1(VALU_DEP_1)
	v_lshlrev_b32_e32 v7, 21, v7
	v_or3_b32 v5, v5, v9, v7
	s_delay_alu instid0(VALU_DEP_1)
	v_cvt_i32_f32_e32 v12, v5
.LBB119_2291:
	s_or_b32 exec_lo, exec_lo, s9
	s_mov_b32 s9, 0
	s_branch .LBB119_2297
.LBB119_2292:
	s_mov_b32 s9, -1
                                        ; implicit-def: $vgpr12
	s_branch .LBB119_2303
.LBB119_2293:
	s_and_not1_saveexec_b32 s20, s20
	s_cbranch_execz .LBB119_2279
.LBB119_2294:
	v_cmp_ne_u16_e32 vcc_lo, 0, v5
	s_and_not1_b32 s4, s21, exec_lo
	s_and_b32 s5, vcc_lo, exec_lo
	s_delay_alu instid0(SALU_CYCLE_1)
	s_or_b32 s21, s4, s5
	s_or_b32 exec_lo, exec_lo, s20
	v_mov_b32_e32 v12, 0
	s_and_saveexec_b32 s20, s21
	s_cbranch_execnz .LBB119_2280
	s_branch .LBB119_2281
.LBB119_2295:
	s_mov_b32 s9, -1
                                        ; implicit-def: $vgpr12
	s_branch .LBB119_2300
.LBB119_2296:
	s_mov_b32 s9, -1
                                        ; implicit-def: $vgpr12
.LBB119_2297:
	s_delay_alu instid0(SALU_CYCLE_1)
	s_and_b32 vcc_lo, exec_lo, s9
	s_cbranch_vccz .LBB119_2299
; %bb.2298:
	global_load_u8 v5, v[0:1], off
	s_wait_loadcnt 0x0
	v_lshlrev_b32_e32 v5, 24, v5
	s_delay_alu instid0(VALU_DEP_1) | instskip(NEXT) | instid1(VALU_DEP_1)
	v_and_b32_e32 v7, 0x7f000000, v5
	v_clz_i32_u32_e32 v9, v7
	v_add_nc_u32_e32 v11, 0x1000000, v7
	v_cmp_ne_u32_e32 vcc_lo, 0, v7
	s_delay_alu instid0(VALU_DEP_3) | instskip(NEXT) | instid1(VALU_DEP_1)
	v_min_u32_e32 v9, 32, v9
	v_sub_nc_u32_e64 v9, v9, 4 clamp
	s_delay_alu instid0(VALU_DEP_1) | instskip(NEXT) | instid1(VALU_DEP_1)
	v_dual_lshlrev_b32 v10, v9, v7 :: v_dual_lshlrev_b32 v9, 23, v9
	v_lshrrev_b32_e32 v10, 4, v10
	s_delay_alu instid0(VALU_DEP_1) | instskip(NEXT) | instid1(VALU_DEP_1)
	v_dual_sub_nc_u32 v9, v10, v9 :: v_dual_ashrrev_i32 v10, 8, v11
	v_add_nc_u32_e32 v9, 0x3c000000, v9
	s_delay_alu instid0(VALU_DEP_1) | instskip(NEXT) | instid1(VALU_DEP_1)
	v_and_or_b32 v9, 0x7f800000, v10, v9
	v_cndmask_b32_e32 v7, 0, v9, vcc_lo
	s_delay_alu instid0(VALU_DEP_1) | instskip(NEXT) | instid1(VALU_DEP_1)
	v_and_or_b32 v5, 0x80000000, v5, v7
	v_cvt_i32_f32_e32 v12, v5
.LBB119_2299:
	s_mov_b32 s9, 0
.LBB119_2300:
	s_delay_alu instid0(SALU_CYCLE_1)
	s_and_not1_b32 vcc_lo, exec_lo, s9
	s_cbranch_vccnz .LBB119_2302
; %bb.2301:
	global_load_u8 v5, v[0:1], off
	s_wait_loadcnt 0x0
	v_lshlrev_b32_e32 v7, 25, v5
	v_lshlrev_b16 v5, 8, v5
	s_delay_alu instid0(VALU_DEP_1) | instskip(SKIP_1) | instid1(VALU_DEP_2)
	v_and_or_b32 v10, 0x7f00, v5, 0.5
	v_bfe_i32 v5, v5, 0, 16
	v_dual_add_f32 v10, -0.5, v10 :: v_dual_lshrrev_b32 v9, 4, v7
	v_cmp_gt_u32_e32 vcc_lo, 0x8000000, v7
	s_delay_alu instid0(VALU_DEP_2) | instskip(NEXT) | instid1(VALU_DEP_1)
	v_or_b32_e32 v9, 0x70000000, v9
	v_mul_f32_e32 v9, 0x7800000, v9
	s_delay_alu instid0(VALU_DEP_1) | instskip(NEXT) | instid1(VALU_DEP_1)
	v_cndmask_b32_e32 v7, v9, v10, vcc_lo
	v_and_or_b32 v5, 0x80000000, v5, v7
	s_delay_alu instid0(VALU_DEP_1)
	v_cvt_i32_f32_e32 v12, v5
.LBB119_2302:
	s_mov_b32 s9, 0
	s_mov_b32 s20, -1
.LBB119_2303:
	s_and_not1_b32 vcc_lo, exec_lo, s9
	s_mov_b32 s9, 0
	s_cbranch_vccnz .LBB119_2314
; %bb.2304:
	s_cmp_gt_i32 s8, 14
	s_cbranch_scc0 .LBB119_2307
; %bb.2305:
	s_cmp_eq_u32 s8, 15
	s_cbranch_scc0 .LBB119_2310
; %bb.2306:
	global_load_u16 v5, v[0:1], off
	s_mov_b32 s7, 0
	s_mov_b32 s20, -1
	s_wait_loadcnt 0x0
	v_lshlrev_b32_e32 v5, 16, v5
	s_delay_alu instid0(VALU_DEP_1)
	v_cvt_i32_f32_e32 v12, v5
	s_branch .LBB119_2312
.LBB119_2307:
	s_mov_b32 s9, -1
	s_branch .LBB119_2311
.LBB119_2308:
	s_and_not1_saveexec_b32 s9, s9
	s_cbranch_execz .LBB119_2289
.LBB119_2309:
	v_cmp_ne_u16_e32 vcc_lo, 0, v5
	s_and_not1_b32 s4, s20, exec_lo
	s_and_b32 s5, vcc_lo, exec_lo
	s_delay_alu instid0(SALU_CYCLE_1)
	s_or_b32 s20, s4, s5
	s_or_b32 exec_lo, exec_lo, s9
	v_mov_b32_e32 v12, 0
	s_and_saveexec_b32 s9, s20
	s_cbranch_execnz .LBB119_2290
	s_branch .LBB119_2291
.LBB119_2310:
	s_mov_b32 s7, -1
.LBB119_2311:
                                        ; implicit-def: $vgpr12
.LBB119_2312:
	s_and_b32 vcc_lo, exec_lo, s9
	s_mov_b32 s9, 0
	s_cbranch_vccz .LBB119_2314
; %bb.2313:
	s_cmp_lg_u32 s8, 11
	s_mov_b32 s9, -1
	s_cselect_b32 s4, -1, 0
	s_and_not1_b32 s5, s7, exec_lo
	s_and_b32 s4, s4, exec_lo
	s_delay_alu instid0(SALU_CYCLE_1)
	s_or_b32 s7, s5, s4
.LBB119_2314:
	s_mov_b32 s8, 0
.LBB119_2315:
	s_and_not1_b32 s4, s89, exec_lo
	s_and_b32 s5, s7, exec_lo
	s_and_b32 s20, s20, exec_lo
	;; [unrolled: 1-line block ×4, first 2 shown]
	s_or_b32 s89, s4, s5
	s_wait_xcnt 0x0
	s_or_b32 exec_lo, exec_lo, s6
	s_and_saveexec_b32 s6, s89
	s_cbranch_execz .LBB119_2248
.LBB119_2316:
	s_or_b32 s1, s1, exec_lo
	s_and_not1_b32 s7, s7, exec_lo
	s_trap 2
	s_or_b32 exec_lo, exec_lo, s6
	s_and_saveexec_b32 s4, s7
	s_delay_alu instid0(SALU_CYCLE_1)
	s_xor_b32 s6, exec_lo, s4
	s_cbranch_execnz .LBB119_2249
.LBB119_2317:
	s_or_b32 exec_lo, exec_lo, s6
	s_and_saveexec_b32 s6, s21
	s_cbranch_execz .LBB119_2363
.LBB119_2318:
	s_sext_i32_i16 s7, s0
	s_delay_alu instid0(SALU_CYCLE_1)
	s_cmp_lt_i32 s7, 5
	s_cbranch_scc1 .LBB119_2323
; %bb.2319:
	s_cmp_lt_i32 s7, 8
	s_cbranch_scc1 .LBB119_2324
; %bb.2320:
	s_cmp_lt_i32 s7, 9
	s_cbranch_scc1 .LBB119_2325
; %bb.2321:
	s_cmp_gt_i32 s7, 9
	s_cbranch_scc0 .LBB119_2326
; %bb.2322:
	s_wait_loadcnt 0x0
	global_load_b64 v[10:11], v[0:1], off
	s_mov_b32 s7, 0
	s_wait_loadcnt 0x0
	v_cvt_i32_f64_e32 v12, v[10:11]
	s_branch .LBB119_2327
.LBB119_2323:
                                        ; implicit-def: $vgpr12
	s_branch .LBB119_2344
.LBB119_2324:
                                        ; implicit-def: $vgpr12
	s_branch .LBB119_2333
.LBB119_2325:
	s_mov_b32 s7, -1
                                        ; implicit-def: $vgpr12
	s_branch .LBB119_2330
.LBB119_2326:
	s_mov_b32 s7, -1
                                        ; implicit-def: $vgpr12
.LBB119_2327:
	s_delay_alu instid0(SALU_CYCLE_1)
	s_and_not1_b32 vcc_lo, exec_lo, s7
	s_cbranch_vccnz .LBB119_2329
; %bb.2328:
	s_wait_loadcnt 0x0
	global_load_b32 v5, v[0:1], off
	s_wait_loadcnt 0x0
	v_cvt_i32_f32_e32 v12, v5
.LBB119_2329:
	s_mov_b32 s7, 0
.LBB119_2330:
	s_delay_alu instid0(SALU_CYCLE_1)
	s_and_not1_b32 vcc_lo, exec_lo, s7
	s_cbranch_vccnz .LBB119_2332
; %bb.2331:
	s_wait_loadcnt 0x0
	global_load_b32 v5, v[0:1], off
	s_wait_loadcnt 0x0
	v_cvt_f32_f16_e32 v5, v5
	s_delay_alu instid0(VALU_DEP_1)
	v_cvt_i32_f32_e32 v12, v5
.LBB119_2332:
	s_cbranch_execnz .LBB119_2343
.LBB119_2333:
	s_sext_i32_i16 s7, s0
	s_delay_alu instid0(SALU_CYCLE_1)
	s_cmp_lt_i32 s7, 6
	s_cbranch_scc1 .LBB119_2336
; %bb.2334:
	s_cmp_gt_i32 s7, 6
	s_cbranch_scc0 .LBB119_2337
; %bb.2335:
	s_wait_loadcnt 0x0
	global_load_b64 v[10:11], v[0:1], off
	s_mov_b32 s7, 0
	s_wait_loadcnt 0x0
	v_cvt_i32_f64_e32 v12, v[10:11]
	s_branch .LBB119_2338
.LBB119_2336:
	s_mov_b32 s7, -1
                                        ; implicit-def: $vgpr12
	s_branch .LBB119_2341
.LBB119_2337:
	s_mov_b32 s7, -1
                                        ; implicit-def: $vgpr12
.LBB119_2338:
	s_delay_alu instid0(SALU_CYCLE_1)
	s_and_not1_b32 vcc_lo, exec_lo, s7
	s_cbranch_vccnz .LBB119_2340
; %bb.2339:
	s_wait_loadcnt 0x0
	global_load_b32 v5, v[0:1], off
	s_wait_loadcnt 0x0
	v_cvt_i32_f32_e32 v12, v5
.LBB119_2340:
	s_mov_b32 s7, 0
.LBB119_2341:
	s_delay_alu instid0(SALU_CYCLE_1)
	s_and_not1_b32 vcc_lo, exec_lo, s7
	s_cbranch_vccnz .LBB119_2343
; %bb.2342:
	s_wait_loadcnt 0x0
	global_load_u16 v5, v[0:1], off
	s_wait_loadcnt 0x0
	v_cvt_f32_f16_e32 v5, v5
	s_delay_alu instid0(VALU_DEP_1)
	v_cvt_i32_f32_e32 v12, v5
.LBB119_2343:
	s_cbranch_execnz .LBB119_2362
.LBB119_2344:
	s_sext_i32_i16 s7, s0
	s_delay_alu instid0(SALU_CYCLE_1)
	s_cmp_lt_i32 s7, 2
	s_cbranch_scc1 .LBB119_2348
; %bb.2345:
	s_cmp_lt_i32 s7, 3
	s_cbranch_scc1 .LBB119_2349
; %bb.2346:
	s_cmp_gt_i32 s7, 3
	s_cbranch_scc0 .LBB119_2350
; %bb.2347:
	s_wait_loadcnt 0x0
	global_load_b32 v12, v[0:1], off
	s_mov_b32 s7, 0
	s_branch .LBB119_2351
.LBB119_2348:
                                        ; implicit-def: $vgpr12
	s_branch .LBB119_2357
.LBB119_2349:
	s_mov_b32 s7, -1
                                        ; implicit-def: $vgpr12
	s_branch .LBB119_2354
.LBB119_2350:
	s_mov_b32 s7, -1
                                        ; implicit-def: $vgpr12
.LBB119_2351:
	s_delay_alu instid0(SALU_CYCLE_1)
	s_and_not1_b32 vcc_lo, exec_lo, s7
	s_cbranch_vccnz .LBB119_2353
; %bb.2352:
	s_wait_loadcnt 0x0
	global_load_b32 v12, v[0:1], off
.LBB119_2353:
	s_mov_b32 s7, 0
.LBB119_2354:
	s_delay_alu instid0(SALU_CYCLE_1)
	s_and_not1_b32 vcc_lo, exec_lo, s7
	s_cbranch_vccnz .LBB119_2356
; %bb.2355:
	s_wait_loadcnt 0x0
	global_load_i16 v12, v[0:1], off
.LBB119_2356:
	s_cbranch_execnz .LBB119_2362
.LBB119_2357:
	s_sext_i32_i16 s0, s0
	s_delay_alu instid0(SALU_CYCLE_1)
	s_cmp_gt_i32 s0, 0
	s_mov_b32 s0, 0
	s_cbranch_scc0 .LBB119_2359
; %bb.2358:
	s_wait_loadcnt 0x0
	global_load_i8 v12, v[0:1], off
	s_branch .LBB119_2360
.LBB119_2359:
	s_mov_b32 s0, -1
                                        ; implicit-def: $vgpr12
.LBB119_2360:
	s_delay_alu instid0(SALU_CYCLE_1)
	s_and_not1_b32 vcc_lo, exec_lo, s0
	s_cbranch_vccnz .LBB119_2362
; %bb.2361:
	s_wait_loadcnt 0x0
	global_load_u8 v12, v[0:1], off
.LBB119_2362:
	s_or_b32 s20, s20, exec_lo
.LBB119_2363:
	s_wait_xcnt 0x0
	s_or_b32 exec_lo, exec_lo, s6
	s_mov_b32 s7, 0
	s_mov_b32 s21, 0
	;; [unrolled: 1-line block ×3, first 2 shown]
                                        ; implicit-def: $sgpr0
                                        ; implicit-def: $vgpr10_vgpr11
                                        ; implicit-def: $vgpr0
	s_and_saveexec_b32 s6, s20
	s_cbranch_execz .LBB119_2371
; %bb.2364:
	s_load_b256 s[20:27], s[2:3], 0x248
	v_mov_b32_e32 v9, 0
	s_and_b32 s0, s50, 0xff
	s_delay_alu instid0(SALU_CYCLE_1)
	s_cmp_lt_i32 s0, 11
	s_wait_loadcnt 0x0
	s_wait_kmcnt 0x0
	v_add_nc_u64_e32 v[10:11], s[26:27], v[8:9]
	s_cbranch_scc1 .LBB119_2374
; %bb.2365:
	s_and_b32 s8, 0xffff, s0
	s_mov_b32 s9, 0
	s_cmp_gt_i32 s8, 25
	s_cbranch_scc0 .LBB119_2375
; %bb.2366:
	s_cmp_gt_i32 s8, 28
	s_cbranch_scc0 .LBB119_2376
; %bb.2367:
	;; [unrolled: 3-line block ×4, first 2 shown]
	s_cmp_eq_u32 s8, 46
	s_mov_b32 s11, 0
	s_cbranch_scc0 .LBB119_2379
; %bb.2370:
	global_load_b32 v0, v[10:11], off
	s_mov_b32 s10, -1
	s_wait_loadcnt 0x0
	v_lshlrev_b32_e32 v0, 16, v0
	s_delay_alu instid0(VALU_DEP_1)
	v_cvt_i32_f32_e32 v0, v0
	s_branch .LBB119_2381
.LBB119_2371:
	s_or_b32 exec_lo, exec_lo, s6
	s_and_saveexec_b32 s6, s88
	s_cbranch_execnz .LBB119_2440
.LBB119_2372:
	s_or_b32 exec_lo, exec_lo, s6
	s_and_saveexec_b32 s4, s7
	s_delay_alu instid0(SALU_CYCLE_1)
	s_xor_b32 s6, exec_lo, s4
	s_cbranch_execz .LBB119_2441
.LBB119_2373:
	s_wait_loadcnt 0x0
	global_load_u8 v0, v[10:11], off
	s_or_b32 s8, s8, exec_lo
	s_wait_loadcnt 0x0
	v_cmp_ne_u16_e32 vcc_lo, 0, v0
	v_cndmask_b32_e64 v0, 0, 1, vcc_lo
	s_wait_xcnt 0x0
	s_or_b32 exec_lo, exec_lo, s6
	s_and_saveexec_b32 s6, s21
	s_cbranch_execz .LBB119_2487
	s_branch .LBB119_2442
.LBB119_2374:
	s_mov_b32 s11, -1
	s_mov_b32 s10, 0
	s_mov_b32 s9, 0
	;; [unrolled: 1-line block ×3, first 2 shown]
                                        ; implicit-def: $vgpr0
	s_branch .LBB119_2439
.LBB119_2375:
	s_mov_b32 s10, 0
	s_mov_b32 s7, s88
                                        ; implicit-def: $vgpr0
	s_cbranch_execnz .LBB119_2408
	s_branch .LBB119_2438
.LBB119_2376:
	s_mov_b32 s11, -1
	s_mov_b32 s10, 0
	s_mov_b32 s7, s88
                                        ; implicit-def: $vgpr0
	s_branch .LBB119_2391
.LBB119_2377:
	s_mov_b32 s11, -1
	s_mov_b32 s10, 0
	s_mov_b32 s7, s88
                                        ; implicit-def: $vgpr0
	s_branch .LBB119_2386
.LBB119_2378:
	s_mov_b32 s11, -1
	s_mov_b32 s10, 0
	s_mov_b32 s7, s88
	s_branch .LBB119_2380
.LBB119_2379:
	s_mov_b32 s7, -1
	s_mov_b32 s10, 0
.LBB119_2380:
                                        ; implicit-def: $vgpr0
.LBB119_2381:
	s_and_b32 vcc_lo, exec_lo, s11
	s_cbranch_vccz .LBB119_2385
; %bb.2382:
	s_cmp_eq_u32 s8, 44
	s_cbranch_scc0 .LBB119_2384
; %bb.2383:
	global_load_u8 v0, v[10:11], off
	s_mov_b32 s7, 0
	s_mov_b32 s10, -1
	s_wait_loadcnt 0x0
	v_lshlrev_b32_e32 v1, 23, v0
	v_cmp_ne_u32_e32 vcc_lo, 0, v0
	s_delay_alu instid0(VALU_DEP_2) | instskip(NEXT) | instid1(VALU_DEP_1)
	v_cvt_i32_f32_e32 v1, v1
	v_cndmask_b32_e32 v0, 0, v1, vcc_lo
	s_branch .LBB119_2385
.LBB119_2384:
	s_mov_b32 s7, -1
                                        ; implicit-def: $vgpr0
.LBB119_2385:
	s_mov_b32 s11, 0
.LBB119_2386:
	s_delay_alu instid0(SALU_CYCLE_1)
	s_and_b32 vcc_lo, exec_lo, s11
	s_cbranch_vccz .LBB119_2390
; %bb.2387:
	s_cmp_eq_u32 s8, 29
	s_cbranch_scc0 .LBB119_2389
; %bb.2388:
	global_load_b32 v0, v[10:11], off
	s_mov_b32 s7, 0
	s_mov_b32 s10, -1
	s_branch .LBB119_2390
.LBB119_2389:
	s_mov_b32 s7, -1
                                        ; implicit-def: $vgpr0
.LBB119_2390:
	s_mov_b32 s11, 0
.LBB119_2391:
	s_delay_alu instid0(SALU_CYCLE_1)
	s_and_b32 vcc_lo, exec_lo, s11
	s_cbranch_vccz .LBB119_2407
; %bb.2392:
	s_cmp_lt_i32 s8, 27
	s_cbranch_scc1 .LBB119_2395
; %bb.2393:
	s_cmp_gt_i32 s8, 27
	s_cbranch_scc0 .LBB119_2396
; %bb.2394:
	s_wait_loadcnt 0x0
	global_load_b32 v0, v[10:11], off
	s_mov_b32 s10, 0
	s_branch .LBB119_2397
.LBB119_2395:
	s_mov_b32 s10, -1
                                        ; implicit-def: $vgpr0
	s_branch .LBB119_2400
.LBB119_2396:
	s_mov_b32 s10, -1
                                        ; implicit-def: $vgpr0
.LBB119_2397:
	s_delay_alu instid0(SALU_CYCLE_1)
	s_and_not1_b32 vcc_lo, exec_lo, s10
	s_cbranch_vccnz .LBB119_2399
; %bb.2398:
	s_wait_loadcnt 0x0
	global_load_u16 v0, v[10:11], off
.LBB119_2399:
	s_mov_b32 s10, 0
.LBB119_2400:
	s_delay_alu instid0(SALU_CYCLE_1)
	s_and_not1_b32 vcc_lo, exec_lo, s10
	s_cbranch_vccnz .LBB119_2406
; %bb.2401:
	global_load_u8 v1, v[10:11], off
	s_mov_b32 s11, 0
	s_mov_b32 s4, exec_lo
	s_wait_loadcnt 0x0
	v_cmpx_lt_i16_e32 0x7f, v1
	s_xor_b32 s10, exec_lo, s4
	s_cbranch_execz .LBB119_2417
; %bb.2402:
	v_cmp_ne_u16_e32 vcc_lo, 0x80, v1
	s_and_b32 s11, vcc_lo, exec_lo
	s_and_not1_saveexec_b32 s10, s10
	s_cbranch_execnz .LBB119_2418
.LBB119_2403:
	s_or_b32 exec_lo, exec_lo, s10
	v_mov_b32_e32 v0, 0
	s_and_saveexec_b32 s10, s11
	s_cbranch_execz .LBB119_2405
.LBB119_2404:
	v_and_b32_e32 v0, 0xffff, v1
	s_delay_alu instid0(VALU_DEP_1) | instskip(SKIP_1) | instid1(VALU_DEP_2)
	v_and_b32_e32 v5, 7, v0
	v_bfe_u32 v9, v0, 3, 4
	v_clz_i32_u32_e32 v7, v5
	s_delay_alu instid0(VALU_DEP_2) | instskip(NEXT) | instid1(VALU_DEP_2)
	v_cmp_eq_u32_e32 vcc_lo, 0, v9
	v_min_u32_e32 v7, 32, v7
	s_delay_alu instid0(VALU_DEP_1) | instskip(NEXT) | instid1(VALU_DEP_1)
	v_subrev_nc_u32_e32 v8, 28, v7
	v_dual_lshlrev_b32 v0, v8, v0 :: v_dual_sub_nc_u32 v7, 29, v7
	s_delay_alu instid0(VALU_DEP_1) | instskip(NEXT) | instid1(VALU_DEP_2)
	v_dual_lshlrev_b32 v1, 24, v1 :: v_dual_bitop2_b32 v0, 7, v0 bitop3:0x40
	v_cndmask_b32_e32 v7, v9, v7, vcc_lo
	s_delay_alu instid0(VALU_DEP_2) | instskip(NEXT) | instid1(VALU_DEP_3)
	v_cndmask_b32_e32 v0, v5, v0, vcc_lo
	v_and_b32_e32 v1, 0x80000000, v1
	s_delay_alu instid0(VALU_DEP_3) | instskip(NEXT) | instid1(VALU_DEP_3)
	v_lshl_add_u32 v5, v7, 23, 0x3b800000
	v_lshlrev_b32_e32 v0, 20, v0
	s_delay_alu instid0(VALU_DEP_1) | instskip(NEXT) | instid1(VALU_DEP_1)
	v_or3_b32 v0, v1, v5, v0
	v_cvt_i32_f32_e32 v0, v0
.LBB119_2405:
	s_or_b32 exec_lo, exec_lo, s10
.LBB119_2406:
	s_mov_b32 s10, -1
.LBB119_2407:
	s_branch .LBB119_2438
.LBB119_2408:
	s_cmp_gt_i32 s8, 22
	s_cbranch_scc0 .LBB119_2416
; %bb.2409:
	s_cmp_lt_i32 s8, 24
	s_cbranch_scc1 .LBB119_2419
; %bb.2410:
	s_cmp_gt_i32 s8, 24
	s_cbranch_scc0 .LBB119_2420
; %bb.2411:
	global_load_u8 v1, v[10:11], off
	s_mov_b32 s10, 0
	s_mov_b32 s4, exec_lo
	s_wait_loadcnt 0x0
	v_cmpx_lt_i16_e32 0x7f, v1
	s_xor_b32 s9, exec_lo, s4
	s_cbranch_execz .LBB119_2432
; %bb.2412:
	v_cmp_ne_u16_e32 vcc_lo, 0x80, v1
	s_and_b32 s10, vcc_lo, exec_lo
	s_and_not1_saveexec_b32 s9, s9
	s_cbranch_execnz .LBB119_2433
.LBB119_2413:
	s_or_b32 exec_lo, exec_lo, s9
	v_mov_b32_e32 v0, 0
	s_and_saveexec_b32 s9, s10
	s_cbranch_execz .LBB119_2415
.LBB119_2414:
	v_and_b32_e32 v0, 0xffff, v1
	s_delay_alu instid0(VALU_DEP_1) | instskip(SKIP_1) | instid1(VALU_DEP_2)
	v_and_b32_e32 v5, 3, v0
	v_bfe_u32 v9, v0, 2, 5
	v_clz_i32_u32_e32 v7, v5
	s_delay_alu instid0(VALU_DEP_2) | instskip(NEXT) | instid1(VALU_DEP_2)
	v_cmp_eq_u32_e32 vcc_lo, 0, v9
	v_min_u32_e32 v7, 32, v7
	s_delay_alu instid0(VALU_DEP_1) | instskip(NEXT) | instid1(VALU_DEP_1)
	v_subrev_nc_u32_e32 v8, 29, v7
	v_dual_lshlrev_b32 v0, v8, v0 :: v_dual_sub_nc_u32 v7, 30, v7
	s_delay_alu instid0(VALU_DEP_1) | instskip(NEXT) | instid1(VALU_DEP_2)
	v_dual_lshlrev_b32 v1, 24, v1 :: v_dual_bitop2_b32 v0, 3, v0 bitop3:0x40
	v_cndmask_b32_e32 v7, v9, v7, vcc_lo
	s_delay_alu instid0(VALU_DEP_2) | instskip(NEXT) | instid1(VALU_DEP_3)
	v_cndmask_b32_e32 v0, v5, v0, vcc_lo
	v_and_b32_e32 v1, 0x80000000, v1
	s_delay_alu instid0(VALU_DEP_3) | instskip(NEXT) | instid1(VALU_DEP_3)
	v_lshl_add_u32 v5, v7, 23, 0x37800000
	v_lshlrev_b32_e32 v0, 21, v0
	s_delay_alu instid0(VALU_DEP_1) | instskip(NEXT) | instid1(VALU_DEP_1)
	v_or3_b32 v0, v1, v5, v0
	v_cvt_i32_f32_e32 v0, v0
.LBB119_2415:
	s_or_b32 exec_lo, exec_lo, s9
	s_mov_b32 s9, 0
	s_branch .LBB119_2421
.LBB119_2416:
	s_mov_b32 s9, -1
                                        ; implicit-def: $vgpr0
	s_branch .LBB119_2427
.LBB119_2417:
	s_and_not1_saveexec_b32 s10, s10
	s_cbranch_execz .LBB119_2403
.LBB119_2418:
	v_cmp_ne_u16_e32 vcc_lo, 0, v1
	s_and_not1_b32 s4, s11, exec_lo
	s_and_b32 s5, vcc_lo, exec_lo
	s_delay_alu instid0(SALU_CYCLE_1)
	s_or_b32 s11, s4, s5
	s_or_b32 exec_lo, exec_lo, s10
	v_mov_b32_e32 v0, 0
	s_and_saveexec_b32 s10, s11
	s_cbranch_execnz .LBB119_2404
	s_branch .LBB119_2405
.LBB119_2419:
	s_mov_b32 s9, -1
                                        ; implicit-def: $vgpr0
	s_branch .LBB119_2424
.LBB119_2420:
	s_mov_b32 s9, -1
                                        ; implicit-def: $vgpr0
.LBB119_2421:
	s_delay_alu instid0(SALU_CYCLE_1)
	s_and_b32 vcc_lo, exec_lo, s9
	s_cbranch_vccz .LBB119_2423
; %bb.2422:
	s_wait_loadcnt 0x0
	global_load_u8 v0, v[10:11], off
	s_wait_loadcnt 0x0
	v_lshlrev_b32_e32 v0, 24, v0
	s_delay_alu instid0(VALU_DEP_1) | instskip(NEXT) | instid1(VALU_DEP_1)
	v_and_b32_e32 v1, 0x7f000000, v0
	v_clz_i32_u32_e32 v5, v1
	v_add_nc_u32_e32 v8, 0x1000000, v1
	v_cmp_ne_u32_e32 vcc_lo, 0, v1
	s_delay_alu instid0(VALU_DEP_3) | instskip(NEXT) | instid1(VALU_DEP_1)
	v_min_u32_e32 v5, 32, v5
	v_sub_nc_u32_e64 v5, v5, 4 clamp
	s_delay_alu instid0(VALU_DEP_1) | instskip(NEXT) | instid1(VALU_DEP_1)
	v_lshlrev_b32_e32 v7, v5, v1
	v_dual_lshlrev_b32 v5, 23, v5 :: v_dual_lshrrev_b32 v7, 4, v7
	s_delay_alu instid0(VALU_DEP_1) | instskip(NEXT) | instid1(VALU_DEP_1)
	v_dual_sub_nc_u32 v5, v7, v5 :: v_dual_ashrrev_i32 v7, 8, v8
	v_add_nc_u32_e32 v5, 0x3c000000, v5
	s_delay_alu instid0(VALU_DEP_1) | instskip(NEXT) | instid1(VALU_DEP_1)
	v_and_or_b32 v5, 0x7f800000, v7, v5
	v_cndmask_b32_e32 v1, 0, v5, vcc_lo
	s_delay_alu instid0(VALU_DEP_1) | instskip(NEXT) | instid1(VALU_DEP_1)
	v_and_or_b32 v0, 0x80000000, v0, v1
	v_cvt_i32_f32_e32 v0, v0
.LBB119_2423:
	s_mov_b32 s9, 0
.LBB119_2424:
	s_delay_alu instid0(SALU_CYCLE_1)
	s_and_not1_b32 vcc_lo, exec_lo, s9
	s_cbranch_vccnz .LBB119_2426
; %bb.2425:
	s_wait_loadcnt 0x0
	global_load_u8 v0, v[10:11], off
	s_wait_loadcnt 0x0
	v_lshlrev_b32_e32 v1, 25, v0
	v_lshlrev_b16 v0, 8, v0
	s_delay_alu instid0(VALU_DEP_1) | instskip(SKIP_1) | instid1(VALU_DEP_2)
	v_and_or_b32 v7, 0x7f00, v0, 0.5
	v_bfe_i32 v0, v0, 0, 16
	v_dual_add_f32 v7, -0.5, v7 :: v_dual_lshrrev_b32 v5, 4, v1
	v_cmp_gt_u32_e32 vcc_lo, 0x8000000, v1
	s_delay_alu instid0(VALU_DEP_2) | instskip(NEXT) | instid1(VALU_DEP_1)
	v_or_b32_e32 v5, 0x70000000, v5
	v_mul_f32_e32 v5, 0x7800000, v5
	s_delay_alu instid0(VALU_DEP_1) | instskip(NEXT) | instid1(VALU_DEP_1)
	v_cndmask_b32_e32 v1, v5, v7, vcc_lo
	v_and_or_b32 v0, 0x80000000, v0, v1
	s_delay_alu instid0(VALU_DEP_1)
	v_cvt_i32_f32_e32 v0, v0
.LBB119_2426:
	s_mov_b32 s9, 0
	s_mov_b32 s10, -1
.LBB119_2427:
	s_and_not1_b32 vcc_lo, exec_lo, s9
	s_mov_b32 s9, 0
	s_cbranch_vccnz .LBB119_2438
; %bb.2428:
	s_cmp_gt_i32 s8, 14
	s_cbranch_scc0 .LBB119_2431
; %bb.2429:
	s_cmp_eq_u32 s8, 15
	s_cbranch_scc0 .LBB119_2434
; %bb.2430:
	s_wait_loadcnt 0x0
	global_load_u16 v0, v[10:11], off
	s_mov_b32 s7, 0
	s_mov_b32 s10, -1
	s_wait_loadcnt 0x0
	v_lshlrev_b32_e32 v0, 16, v0
	s_delay_alu instid0(VALU_DEP_1)
	v_cvt_i32_f32_e32 v0, v0
	s_branch .LBB119_2436
.LBB119_2431:
	s_mov_b32 s9, -1
	s_branch .LBB119_2435
.LBB119_2432:
	s_and_not1_saveexec_b32 s9, s9
	s_cbranch_execz .LBB119_2413
.LBB119_2433:
	v_cmp_ne_u16_e32 vcc_lo, 0, v1
	s_and_not1_b32 s4, s10, exec_lo
	s_and_b32 s5, vcc_lo, exec_lo
	s_delay_alu instid0(SALU_CYCLE_1)
	s_or_b32 s10, s4, s5
	s_or_b32 exec_lo, exec_lo, s9
	v_mov_b32_e32 v0, 0
	s_and_saveexec_b32 s9, s10
	s_cbranch_execnz .LBB119_2414
	s_branch .LBB119_2415
.LBB119_2434:
	s_mov_b32 s7, -1
.LBB119_2435:
                                        ; implicit-def: $vgpr0
.LBB119_2436:
	s_and_b32 vcc_lo, exec_lo, s9
	s_mov_b32 s9, 0
	s_cbranch_vccz .LBB119_2438
; %bb.2437:
	s_cmp_lg_u32 s8, 11
	s_mov_b32 s9, -1
	s_cselect_b32 s4, -1, 0
	s_and_not1_b32 s5, s7, exec_lo
	s_and_b32 s4, s4, exec_lo
	s_delay_alu instid0(SALU_CYCLE_1)
	s_or_b32 s7, s5, s4
.LBB119_2438:
	s_mov_b32 s11, 0
.LBB119_2439:
	s_and_not1_b32 s4, s88, exec_lo
	s_and_b32 s5, s7, exec_lo
	s_and_b32 s8, s10, exec_lo
	;; [unrolled: 1-line block ×4, first 2 shown]
	s_or_b32 s88, s4, s5
	s_wait_xcnt 0x0
	s_or_b32 exec_lo, exec_lo, s6
	s_and_saveexec_b32 s6, s88
	s_cbranch_execz .LBB119_2372
.LBB119_2440:
	s_or_b32 s1, s1, exec_lo
	s_and_not1_b32 s7, s7, exec_lo
	s_trap 2
	s_or_b32 exec_lo, exec_lo, s6
	s_and_saveexec_b32 s4, s7
	s_delay_alu instid0(SALU_CYCLE_1)
	s_xor_b32 s6, exec_lo, s4
	s_cbranch_execnz .LBB119_2373
.LBB119_2441:
	s_or_b32 exec_lo, exec_lo, s6
	s_and_saveexec_b32 s6, s21
	s_cbranch_execz .LBB119_2487
.LBB119_2442:
	s_sext_i32_i16 s7, s0
	s_delay_alu instid0(SALU_CYCLE_1)
	s_cmp_lt_i32 s7, 5
	s_cbranch_scc1 .LBB119_2447
; %bb.2443:
	s_cmp_lt_i32 s7, 8
	s_cbranch_scc1 .LBB119_2448
; %bb.2444:
	;; [unrolled: 3-line block ×3, first 2 shown]
	s_cmp_gt_i32 s7, 9
	s_cbranch_scc0 .LBB119_2450
; %bb.2446:
	s_wait_loadcnt 0x0
	global_load_b64 v[0:1], v[10:11], off
	s_mov_b32 s7, 0
	s_wait_loadcnt 0x0
	v_cvt_i32_f64_e32 v0, v[0:1]
	s_branch .LBB119_2451
.LBB119_2447:
                                        ; implicit-def: $vgpr0
	s_branch .LBB119_2468
.LBB119_2448:
                                        ; implicit-def: $vgpr0
	s_branch .LBB119_2457
.LBB119_2449:
	s_mov_b32 s7, -1
                                        ; implicit-def: $vgpr0
	s_branch .LBB119_2454
.LBB119_2450:
	s_mov_b32 s7, -1
                                        ; implicit-def: $vgpr0
.LBB119_2451:
	s_delay_alu instid0(SALU_CYCLE_1)
	s_and_not1_b32 vcc_lo, exec_lo, s7
	s_cbranch_vccnz .LBB119_2453
; %bb.2452:
	s_wait_loadcnt 0x0
	global_load_b32 v0, v[10:11], off
	s_wait_loadcnt 0x0
	v_cvt_i32_f32_e32 v0, v0
.LBB119_2453:
	s_mov_b32 s7, 0
.LBB119_2454:
	s_delay_alu instid0(SALU_CYCLE_1)
	s_and_not1_b32 vcc_lo, exec_lo, s7
	s_cbranch_vccnz .LBB119_2456
; %bb.2455:
	s_wait_loadcnt 0x0
	global_load_b32 v0, v[10:11], off
	s_wait_loadcnt 0x0
	v_cvt_f32_f16_e32 v0, v0
	s_delay_alu instid0(VALU_DEP_1)
	v_cvt_i32_f32_e32 v0, v0
.LBB119_2456:
	s_cbranch_execnz .LBB119_2467
.LBB119_2457:
	s_sext_i32_i16 s7, s0
	s_delay_alu instid0(SALU_CYCLE_1)
	s_cmp_lt_i32 s7, 6
	s_cbranch_scc1 .LBB119_2460
; %bb.2458:
	s_cmp_gt_i32 s7, 6
	s_cbranch_scc0 .LBB119_2461
; %bb.2459:
	s_wait_loadcnt 0x0
	global_load_b64 v[0:1], v[10:11], off
	s_mov_b32 s7, 0
	s_wait_loadcnt 0x0
	v_cvt_i32_f64_e32 v0, v[0:1]
	s_branch .LBB119_2462
.LBB119_2460:
	s_mov_b32 s7, -1
                                        ; implicit-def: $vgpr0
	s_branch .LBB119_2465
.LBB119_2461:
	s_mov_b32 s7, -1
                                        ; implicit-def: $vgpr0
.LBB119_2462:
	s_delay_alu instid0(SALU_CYCLE_1)
	s_and_not1_b32 vcc_lo, exec_lo, s7
	s_cbranch_vccnz .LBB119_2464
; %bb.2463:
	s_wait_loadcnt 0x0
	global_load_b32 v0, v[10:11], off
	s_wait_loadcnt 0x0
	v_cvt_i32_f32_e32 v0, v0
.LBB119_2464:
	s_mov_b32 s7, 0
.LBB119_2465:
	s_delay_alu instid0(SALU_CYCLE_1)
	s_and_not1_b32 vcc_lo, exec_lo, s7
	s_cbranch_vccnz .LBB119_2467
; %bb.2466:
	s_wait_loadcnt 0x0
	global_load_u16 v0, v[10:11], off
	s_wait_loadcnt 0x0
	v_cvt_f32_f16_e32 v0, v0
	s_delay_alu instid0(VALU_DEP_1)
	v_cvt_i32_f32_e32 v0, v0
.LBB119_2467:
	s_cbranch_execnz .LBB119_2486
.LBB119_2468:
	s_sext_i32_i16 s7, s0
	s_delay_alu instid0(SALU_CYCLE_1)
	s_cmp_lt_i32 s7, 2
	s_cbranch_scc1 .LBB119_2472
; %bb.2469:
	s_cmp_lt_i32 s7, 3
	s_cbranch_scc1 .LBB119_2473
; %bb.2470:
	s_cmp_gt_i32 s7, 3
	s_cbranch_scc0 .LBB119_2474
; %bb.2471:
	s_wait_loadcnt 0x0
	global_load_b32 v0, v[10:11], off
	s_mov_b32 s7, 0
	s_branch .LBB119_2475
.LBB119_2472:
                                        ; implicit-def: $vgpr0
	s_branch .LBB119_2481
.LBB119_2473:
	s_mov_b32 s7, -1
                                        ; implicit-def: $vgpr0
	s_branch .LBB119_2478
.LBB119_2474:
	s_mov_b32 s7, -1
                                        ; implicit-def: $vgpr0
.LBB119_2475:
	s_delay_alu instid0(SALU_CYCLE_1)
	s_and_not1_b32 vcc_lo, exec_lo, s7
	s_cbranch_vccnz .LBB119_2477
; %bb.2476:
	s_wait_loadcnt 0x0
	global_load_b32 v0, v[10:11], off
.LBB119_2477:
	s_mov_b32 s7, 0
.LBB119_2478:
	s_delay_alu instid0(SALU_CYCLE_1)
	s_and_not1_b32 vcc_lo, exec_lo, s7
	s_cbranch_vccnz .LBB119_2480
; %bb.2479:
	s_wait_loadcnt 0x0
	global_load_i16 v0, v[10:11], off
.LBB119_2480:
	s_cbranch_execnz .LBB119_2486
.LBB119_2481:
	s_sext_i32_i16 s0, s0
	s_delay_alu instid0(SALU_CYCLE_1)
	s_cmp_gt_i32 s0, 0
	s_mov_b32 s0, 0
	s_cbranch_scc0 .LBB119_2483
; %bb.2482:
	s_wait_loadcnt 0x0
	global_load_i8 v0, v[10:11], off
	s_branch .LBB119_2484
.LBB119_2483:
	s_mov_b32 s0, -1
                                        ; implicit-def: $vgpr0
.LBB119_2484:
	s_delay_alu instid0(SALU_CYCLE_1)
	s_and_not1_b32 vcc_lo, exec_lo, s0
	s_cbranch_vccnz .LBB119_2486
; %bb.2485:
	s_wait_loadcnt 0x0
	global_load_u8 v0, v[10:11], off
.LBB119_2486:
	s_or_b32 s8, s8, exec_lo
.LBB119_2487:
	s_wait_xcnt 0x0
	s_or_b32 exec_lo, exec_lo, s6
	s_mov_b32 s7, 0
	s_mov_b32 s11, 0
	;; [unrolled: 1-line block ×3, first 2 shown]
                                        ; implicit-def: $sgpr0
                                        ; implicit-def: $vgpr10_vgpr11
                                        ; implicit-def: $vgpr8
	s_and_saveexec_b32 s6, s8
	s_cbranch_execz .LBB119_2495
; %bb.2488:
	s_load_b128 s[8:11], s[2:3], 0x268
	v_mov_b32_e32 v7, 0
	s_and_b32 s0, s35, 0xff
	s_delay_alu instid0(SALU_CYCLE_1)
	s_cmp_lt_i32 s0, 11
	s_wait_loadcnt 0x0
	s_wait_kmcnt 0x0
	v_add_nc_u64_e32 v[10:11], s[8:9], v[6:7]
	s_cbranch_scc1 .LBB119_2498
; %bb.2489:
	s_and_b32 s8, 0xffff, s0
	s_mov_b32 s10, 0
	s_cmp_gt_i32 s8, 25
	s_cbranch_scc0 .LBB119_2499
; %bb.2490:
	s_cmp_gt_i32 s8, 28
	s_cbranch_scc0 .LBB119_2500
; %bb.2491:
	s_cmp_gt_i32 s8, 43
	s_cbranch_scc0 .LBB119_2501
; %bb.2492:
	s_cmp_gt_i32 s8, 45
	s_cbranch_scc0 .LBB119_2502
; %bb.2493:
	s_cmp_eq_u32 s8, 46
	s_mov_b32 s11, 0
	s_cbranch_scc0 .LBB119_2503
; %bb.2494:
	global_load_b32 v1, v[10:11], off
	s_mov_b32 s9, -1
	s_wait_loadcnt 0x0
	v_lshlrev_b32_e32 v1, 16, v1
	s_delay_alu instid0(VALU_DEP_1)
	v_cvt_i32_f32_e32 v8, v1
	s_branch .LBB119_2505
.LBB119_2495:
	s_or_b32 exec_lo, exec_lo, s6
	s_and_saveexec_b32 s6, s87
	s_cbranch_execnz .LBB119_2564
.LBB119_2496:
	s_or_b32 exec_lo, exec_lo, s6
	s_and_saveexec_b32 s4, s7
	s_delay_alu instid0(SALU_CYCLE_1)
	s_xor_b32 s6, exec_lo, s4
	s_cbranch_execz .LBB119_2565
.LBB119_2497:
	s_wait_loadcnt 0x0
	global_load_u8 v1, v[10:11], off
	s_or_b32 s9, s9, exec_lo
	s_wait_loadcnt 0x0
	v_cmp_ne_u16_e32 vcc_lo, 0, v1
	v_cndmask_b32_e64 v8, 0, 1, vcc_lo
	s_wait_xcnt 0x0
	s_or_b32 exec_lo, exec_lo, s6
	s_and_saveexec_b32 s6, s11
	s_cbranch_execz .LBB119_2611
	s_branch .LBB119_2566
.LBB119_2498:
	s_mov_b32 s8, -1
	s_mov_b32 s9, 0
	s_mov_b32 s10, 0
	;; [unrolled: 1-line block ×3, first 2 shown]
                                        ; implicit-def: $vgpr8
	s_branch .LBB119_2563
.LBB119_2499:
	s_mov_b32 s9, 0
	s_mov_b32 s7, s87
                                        ; implicit-def: $vgpr8
	s_cbranch_execnz .LBB119_2532
	s_branch .LBB119_2562
.LBB119_2500:
	s_mov_b32 s11, -1
	s_mov_b32 s9, 0
	s_mov_b32 s7, s87
                                        ; implicit-def: $vgpr8
	s_branch .LBB119_2515
.LBB119_2501:
	s_mov_b32 s11, -1
	s_mov_b32 s9, 0
	s_mov_b32 s7, s87
                                        ; implicit-def: $vgpr8
	s_branch .LBB119_2510
.LBB119_2502:
	s_mov_b32 s11, -1
	s_mov_b32 s9, 0
	s_mov_b32 s7, s87
	s_branch .LBB119_2504
.LBB119_2503:
	s_mov_b32 s7, -1
	s_mov_b32 s9, 0
.LBB119_2504:
                                        ; implicit-def: $vgpr8
.LBB119_2505:
	s_and_b32 vcc_lo, exec_lo, s11
	s_cbranch_vccz .LBB119_2509
; %bb.2506:
	s_cmp_eq_u32 s8, 44
	s_cbranch_scc0 .LBB119_2508
; %bb.2507:
	global_load_u8 v1, v[10:11], off
	s_mov_b32 s7, 0
	s_mov_b32 s9, -1
	s_wait_loadcnt 0x0
	v_lshlrev_b32_e32 v5, 23, v1
	v_cmp_ne_u32_e32 vcc_lo, 0, v1
	s_delay_alu instid0(VALU_DEP_2) | instskip(NEXT) | instid1(VALU_DEP_1)
	v_cvt_i32_f32_e32 v5, v5
	v_cndmask_b32_e32 v8, 0, v5, vcc_lo
	s_branch .LBB119_2509
.LBB119_2508:
	s_mov_b32 s7, -1
                                        ; implicit-def: $vgpr8
.LBB119_2509:
	s_mov_b32 s11, 0
.LBB119_2510:
	s_delay_alu instid0(SALU_CYCLE_1)
	s_and_b32 vcc_lo, exec_lo, s11
	s_cbranch_vccz .LBB119_2514
; %bb.2511:
	s_cmp_eq_u32 s8, 29
	s_cbranch_scc0 .LBB119_2513
; %bb.2512:
	global_load_b32 v8, v[10:11], off
	s_mov_b32 s7, 0
	s_mov_b32 s9, -1
	s_branch .LBB119_2514
.LBB119_2513:
	s_mov_b32 s7, -1
                                        ; implicit-def: $vgpr8
.LBB119_2514:
	s_mov_b32 s11, 0
.LBB119_2515:
	s_delay_alu instid0(SALU_CYCLE_1)
	s_and_b32 vcc_lo, exec_lo, s11
	s_cbranch_vccz .LBB119_2531
; %bb.2516:
	s_cmp_lt_i32 s8, 27
	s_cbranch_scc1 .LBB119_2519
; %bb.2517:
	s_cmp_gt_i32 s8, 27
	s_cbranch_scc0 .LBB119_2520
; %bb.2518:
	s_wait_loadcnt 0x0
	global_load_b32 v8, v[10:11], off
	s_mov_b32 s9, 0
	s_branch .LBB119_2521
.LBB119_2519:
	s_mov_b32 s9, -1
                                        ; implicit-def: $vgpr8
	s_branch .LBB119_2524
.LBB119_2520:
	s_mov_b32 s9, -1
                                        ; implicit-def: $vgpr8
.LBB119_2521:
	s_delay_alu instid0(SALU_CYCLE_1)
	s_and_not1_b32 vcc_lo, exec_lo, s9
	s_cbranch_vccnz .LBB119_2523
; %bb.2522:
	s_wait_loadcnt 0x0
	global_load_u16 v8, v[10:11], off
.LBB119_2523:
	s_mov_b32 s9, 0
.LBB119_2524:
	s_delay_alu instid0(SALU_CYCLE_1)
	s_and_not1_b32 vcc_lo, exec_lo, s9
	s_cbranch_vccnz .LBB119_2530
; %bb.2525:
	global_load_u8 v1, v[10:11], off
	s_mov_b32 s11, 0
	s_mov_b32 s4, exec_lo
	s_wait_loadcnt 0x0
	v_cmpx_lt_i16_e32 0x7f, v1
	s_xor_b32 s9, exec_lo, s4
	s_cbranch_execz .LBB119_2541
; %bb.2526:
	v_cmp_ne_u16_e32 vcc_lo, 0x80, v1
	s_and_b32 s11, vcc_lo, exec_lo
	s_and_not1_saveexec_b32 s9, s9
	s_cbranch_execnz .LBB119_2542
.LBB119_2527:
	s_or_b32 exec_lo, exec_lo, s9
	v_mov_b32_e32 v8, 0
	s_and_saveexec_b32 s9, s11
	s_cbranch_execz .LBB119_2529
.LBB119_2528:
	v_and_b32_e32 v5, 0xffff, v1
	s_delay_alu instid0(VALU_DEP_1) | instskip(SKIP_1) | instid1(VALU_DEP_2)
	v_and_b32_e32 v6, 7, v5
	v_bfe_u32 v9, v5, 3, 4
	v_clz_i32_u32_e32 v7, v6
	s_delay_alu instid0(VALU_DEP_2) | instskip(NEXT) | instid1(VALU_DEP_2)
	v_cmp_eq_u32_e32 vcc_lo, 0, v9
	v_min_u32_e32 v7, 32, v7
	s_delay_alu instid0(VALU_DEP_1) | instskip(NEXT) | instid1(VALU_DEP_1)
	v_subrev_nc_u32_e32 v8, 28, v7
	v_dual_lshlrev_b32 v5, v8, v5 :: v_dual_sub_nc_u32 v7, 29, v7
	s_delay_alu instid0(VALU_DEP_1) | instskip(NEXT) | instid1(VALU_DEP_2)
	v_and_b32_e32 v5, 7, v5
	v_dual_lshlrev_b32 v1, 24, v1 :: v_dual_cndmask_b32 v7, v9, v7, vcc_lo
	s_delay_alu instid0(VALU_DEP_2) | instskip(NEXT) | instid1(VALU_DEP_2)
	v_cndmask_b32_e32 v5, v6, v5, vcc_lo
	v_and_b32_e32 v1, 0x80000000, v1
	s_delay_alu instid0(VALU_DEP_3) | instskip(NEXT) | instid1(VALU_DEP_3)
	v_lshl_add_u32 v6, v7, 23, 0x3b800000
	v_lshlrev_b32_e32 v5, 20, v5
	s_delay_alu instid0(VALU_DEP_1) | instskip(NEXT) | instid1(VALU_DEP_1)
	v_or3_b32 v1, v1, v6, v5
	v_cvt_i32_f32_e32 v8, v1
.LBB119_2529:
	s_or_b32 exec_lo, exec_lo, s9
.LBB119_2530:
	s_mov_b32 s9, -1
.LBB119_2531:
	s_branch .LBB119_2562
.LBB119_2532:
	s_cmp_gt_i32 s8, 22
	s_cbranch_scc0 .LBB119_2540
; %bb.2533:
	s_cmp_lt_i32 s8, 24
	s_cbranch_scc1 .LBB119_2543
; %bb.2534:
	s_cmp_gt_i32 s8, 24
	s_cbranch_scc0 .LBB119_2544
; %bb.2535:
	global_load_u8 v1, v[10:11], off
	s_mov_b32 s4, exec_lo
	s_wait_loadcnt 0x0
	v_cmpx_lt_i16_e32 0x7f, v1
	s_xor_b32 s9, exec_lo, s4
	s_cbranch_execz .LBB119_2556
; %bb.2536:
	v_cmp_ne_u16_e32 vcc_lo, 0x80, v1
	s_and_b32 s10, vcc_lo, exec_lo
	s_and_not1_saveexec_b32 s9, s9
	s_cbranch_execnz .LBB119_2557
.LBB119_2537:
	s_or_b32 exec_lo, exec_lo, s9
	v_mov_b32_e32 v8, 0
	s_and_saveexec_b32 s9, s10
	s_cbranch_execz .LBB119_2539
.LBB119_2538:
	v_and_b32_e32 v5, 0xffff, v1
	s_delay_alu instid0(VALU_DEP_1) | instskip(SKIP_1) | instid1(VALU_DEP_2)
	v_and_b32_e32 v6, 3, v5
	v_bfe_u32 v9, v5, 2, 5
	v_clz_i32_u32_e32 v7, v6
	s_delay_alu instid0(VALU_DEP_2) | instskip(NEXT) | instid1(VALU_DEP_2)
	v_cmp_eq_u32_e32 vcc_lo, 0, v9
	v_min_u32_e32 v7, 32, v7
	s_delay_alu instid0(VALU_DEP_1) | instskip(NEXT) | instid1(VALU_DEP_1)
	v_subrev_nc_u32_e32 v8, 29, v7
	v_dual_lshlrev_b32 v5, v8, v5 :: v_dual_sub_nc_u32 v7, 30, v7
	s_delay_alu instid0(VALU_DEP_1) | instskip(NEXT) | instid1(VALU_DEP_2)
	v_and_b32_e32 v5, 3, v5
	v_dual_lshlrev_b32 v1, 24, v1 :: v_dual_cndmask_b32 v7, v9, v7, vcc_lo
	s_delay_alu instid0(VALU_DEP_2) | instskip(NEXT) | instid1(VALU_DEP_2)
	v_cndmask_b32_e32 v5, v6, v5, vcc_lo
	v_and_b32_e32 v1, 0x80000000, v1
	s_delay_alu instid0(VALU_DEP_3) | instskip(NEXT) | instid1(VALU_DEP_3)
	v_lshl_add_u32 v6, v7, 23, 0x37800000
	v_lshlrev_b32_e32 v5, 21, v5
	s_delay_alu instid0(VALU_DEP_1) | instskip(NEXT) | instid1(VALU_DEP_1)
	v_or3_b32 v1, v1, v6, v5
	v_cvt_i32_f32_e32 v8, v1
.LBB119_2539:
	s_or_b32 exec_lo, exec_lo, s9
	s_mov_b32 s9, 0
	s_branch .LBB119_2545
.LBB119_2540:
	s_mov_b32 s10, -1
                                        ; implicit-def: $vgpr8
	s_branch .LBB119_2551
.LBB119_2541:
	s_and_not1_saveexec_b32 s9, s9
	s_cbranch_execz .LBB119_2527
.LBB119_2542:
	v_cmp_ne_u16_e32 vcc_lo, 0, v1
	s_and_not1_b32 s4, s11, exec_lo
	s_and_b32 s5, vcc_lo, exec_lo
	s_delay_alu instid0(SALU_CYCLE_1)
	s_or_b32 s11, s4, s5
	s_or_b32 exec_lo, exec_lo, s9
	v_mov_b32_e32 v8, 0
	s_and_saveexec_b32 s9, s11
	s_cbranch_execnz .LBB119_2528
	s_branch .LBB119_2529
.LBB119_2543:
	s_mov_b32 s9, -1
                                        ; implicit-def: $vgpr8
	s_branch .LBB119_2548
.LBB119_2544:
	s_mov_b32 s9, -1
                                        ; implicit-def: $vgpr8
.LBB119_2545:
	s_delay_alu instid0(SALU_CYCLE_1)
	s_and_b32 vcc_lo, exec_lo, s9
	s_cbranch_vccz .LBB119_2547
; %bb.2546:
	global_load_u8 v1, v[10:11], off
	s_wait_loadcnt 0x0
	v_lshlrev_b32_e32 v1, 24, v1
	s_delay_alu instid0(VALU_DEP_1) | instskip(NEXT) | instid1(VALU_DEP_1)
	v_and_b32_e32 v5, 0x7f000000, v1
	v_clz_i32_u32_e32 v6, v5
	v_cmp_ne_u32_e32 vcc_lo, 0, v5
	v_add_nc_u32_e32 v8, 0x1000000, v5
	s_delay_alu instid0(VALU_DEP_3) | instskip(NEXT) | instid1(VALU_DEP_1)
	v_min_u32_e32 v6, 32, v6
	v_sub_nc_u32_e64 v6, v6, 4 clamp
	s_delay_alu instid0(VALU_DEP_1) | instskip(NEXT) | instid1(VALU_DEP_1)
	v_dual_lshlrev_b32 v7, v6, v5 :: v_dual_lshlrev_b32 v6, 23, v6
	v_lshrrev_b32_e32 v7, 4, v7
	s_delay_alu instid0(VALU_DEP_1) | instskip(NEXT) | instid1(VALU_DEP_1)
	v_dual_sub_nc_u32 v6, v7, v6 :: v_dual_ashrrev_i32 v7, 8, v8
	v_add_nc_u32_e32 v6, 0x3c000000, v6
	s_delay_alu instid0(VALU_DEP_1) | instskip(NEXT) | instid1(VALU_DEP_1)
	v_and_or_b32 v6, 0x7f800000, v7, v6
	v_cndmask_b32_e32 v5, 0, v6, vcc_lo
	s_delay_alu instid0(VALU_DEP_1) | instskip(NEXT) | instid1(VALU_DEP_1)
	v_and_or_b32 v1, 0x80000000, v1, v5
	v_cvt_i32_f32_e32 v8, v1
.LBB119_2547:
	s_mov_b32 s9, 0
.LBB119_2548:
	s_delay_alu instid0(SALU_CYCLE_1)
	s_and_not1_b32 vcc_lo, exec_lo, s9
	s_cbranch_vccnz .LBB119_2550
; %bb.2549:
	global_load_u8 v1, v[10:11], off
	s_wait_loadcnt 0x0
	v_lshlrev_b32_e32 v5, 25, v1
	v_lshlrev_b16 v1, 8, v1
	s_delay_alu instid0(VALU_DEP_1) | instskip(SKIP_1) | instid1(VALU_DEP_2)
	v_and_or_b32 v7, 0x7f00, v1, 0.5
	v_bfe_i32 v1, v1, 0, 16
	v_dual_add_f32 v7, -0.5, v7 :: v_dual_lshrrev_b32 v6, 4, v5
	v_cmp_gt_u32_e32 vcc_lo, 0x8000000, v5
	s_delay_alu instid0(VALU_DEP_2) | instskip(NEXT) | instid1(VALU_DEP_1)
	v_or_b32_e32 v6, 0x70000000, v6
	v_mul_f32_e32 v6, 0x7800000, v6
	s_delay_alu instid0(VALU_DEP_1) | instskip(NEXT) | instid1(VALU_DEP_1)
	v_cndmask_b32_e32 v5, v6, v7, vcc_lo
	v_and_or_b32 v1, 0x80000000, v1, v5
	s_delay_alu instid0(VALU_DEP_1)
	v_cvt_i32_f32_e32 v8, v1
.LBB119_2550:
	s_mov_b32 s10, 0
	s_mov_b32 s9, -1
.LBB119_2551:
	s_and_not1_b32 vcc_lo, exec_lo, s10
	s_mov_b32 s10, 0
	s_cbranch_vccnz .LBB119_2562
; %bb.2552:
	s_cmp_gt_i32 s8, 14
	s_cbranch_scc0 .LBB119_2555
; %bb.2553:
	s_cmp_eq_u32 s8, 15
	s_cbranch_scc0 .LBB119_2558
; %bb.2554:
	global_load_u16 v1, v[10:11], off
	s_mov_b32 s7, 0
	s_mov_b32 s9, -1
	s_wait_loadcnt 0x0
	v_lshlrev_b32_e32 v1, 16, v1
	s_delay_alu instid0(VALU_DEP_1)
	v_cvt_i32_f32_e32 v8, v1
	s_branch .LBB119_2560
.LBB119_2555:
	s_mov_b32 s10, -1
	s_branch .LBB119_2559
.LBB119_2556:
	s_and_not1_saveexec_b32 s9, s9
	s_cbranch_execz .LBB119_2537
.LBB119_2557:
	v_cmp_ne_u16_e32 vcc_lo, 0, v1
	s_and_not1_b32 s4, s10, exec_lo
	s_and_b32 s5, vcc_lo, exec_lo
	s_delay_alu instid0(SALU_CYCLE_1)
	s_or_b32 s10, s4, s5
	s_or_b32 exec_lo, exec_lo, s9
	v_mov_b32_e32 v8, 0
	s_and_saveexec_b32 s9, s10
	s_cbranch_execnz .LBB119_2538
	s_branch .LBB119_2539
.LBB119_2558:
	s_mov_b32 s7, -1
.LBB119_2559:
                                        ; implicit-def: $vgpr8
.LBB119_2560:
	s_and_b32 vcc_lo, exec_lo, s10
	s_mov_b32 s10, 0
	s_cbranch_vccz .LBB119_2562
; %bb.2561:
	s_cmp_lg_u32 s8, 11
	s_mov_b32 s10, -1
	s_cselect_b32 s4, -1, 0
	s_and_not1_b32 s5, s7, exec_lo
	s_and_b32 s4, s4, exec_lo
	s_delay_alu instid0(SALU_CYCLE_1)
	s_or_b32 s7, s5, s4
.LBB119_2562:
	s_mov_b32 s8, 0
.LBB119_2563:
	s_and_not1_b32 s4, s87, exec_lo
	s_and_b32 s5, s7, exec_lo
	s_and_b32 s9, s9, exec_lo
	;; [unrolled: 1-line block ×4, first 2 shown]
	s_or_b32 s87, s4, s5
	s_wait_xcnt 0x0
	s_or_b32 exec_lo, exec_lo, s6
	s_and_saveexec_b32 s6, s87
	s_cbranch_execz .LBB119_2496
.LBB119_2564:
	s_or_b32 s1, s1, exec_lo
	s_and_not1_b32 s7, s7, exec_lo
	s_trap 2
	s_or_b32 exec_lo, exec_lo, s6
	s_and_saveexec_b32 s4, s7
	s_delay_alu instid0(SALU_CYCLE_1)
	s_xor_b32 s6, exec_lo, s4
	s_cbranch_execnz .LBB119_2497
.LBB119_2565:
	s_or_b32 exec_lo, exec_lo, s6
	s_and_saveexec_b32 s6, s11
	s_cbranch_execz .LBB119_2611
.LBB119_2566:
	s_sext_i32_i16 s7, s0
	s_delay_alu instid0(SALU_CYCLE_1)
	s_cmp_lt_i32 s7, 5
	s_cbranch_scc1 .LBB119_2571
; %bb.2567:
	s_cmp_lt_i32 s7, 8
	s_cbranch_scc1 .LBB119_2572
; %bb.2568:
	;; [unrolled: 3-line block ×3, first 2 shown]
	s_cmp_gt_i32 s7, 9
	s_cbranch_scc0 .LBB119_2574
; %bb.2570:
	s_wait_loadcnt 0x0
	global_load_b64 v[6:7], v[10:11], off
	s_mov_b32 s7, 0
	s_wait_loadcnt 0x0
	v_cvt_i32_f64_e32 v8, v[6:7]
	s_branch .LBB119_2575
.LBB119_2571:
                                        ; implicit-def: $vgpr8
	s_branch .LBB119_2592
.LBB119_2572:
                                        ; implicit-def: $vgpr8
	s_branch .LBB119_2581
.LBB119_2573:
	s_mov_b32 s7, -1
                                        ; implicit-def: $vgpr8
	s_branch .LBB119_2578
.LBB119_2574:
	s_mov_b32 s7, -1
                                        ; implicit-def: $vgpr8
.LBB119_2575:
	s_delay_alu instid0(SALU_CYCLE_1)
	s_and_not1_b32 vcc_lo, exec_lo, s7
	s_cbranch_vccnz .LBB119_2577
; %bb.2576:
	s_wait_loadcnt 0x0
	global_load_b32 v1, v[10:11], off
	s_wait_loadcnt 0x0
	v_cvt_i32_f32_e32 v8, v1
.LBB119_2577:
	s_mov_b32 s7, 0
.LBB119_2578:
	s_delay_alu instid0(SALU_CYCLE_1)
	s_and_not1_b32 vcc_lo, exec_lo, s7
	s_cbranch_vccnz .LBB119_2580
; %bb.2579:
	s_wait_loadcnt 0x0
	global_load_b32 v1, v[10:11], off
	s_wait_loadcnt 0x0
	v_cvt_f32_f16_e32 v1, v1
	s_delay_alu instid0(VALU_DEP_1)
	v_cvt_i32_f32_e32 v8, v1
.LBB119_2580:
	s_cbranch_execnz .LBB119_2591
.LBB119_2581:
	s_sext_i32_i16 s7, s0
	s_delay_alu instid0(SALU_CYCLE_1)
	s_cmp_lt_i32 s7, 6
	s_cbranch_scc1 .LBB119_2584
; %bb.2582:
	s_cmp_gt_i32 s7, 6
	s_cbranch_scc0 .LBB119_2585
; %bb.2583:
	s_wait_loadcnt 0x0
	global_load_b64 v[6:7], v[10:11], off
	s_mov_b32 s7, 0
	s_wait_loadcnt 0x0
	v_cvt_i32_f64_e32 v8, v[6:7]
	s_branch .LBB119_2586
.LBB119_2584:
	s_mov_b32 s7, -1
                                        ; implicit-def: $vgpr8
	s_branch .LBB119_2589
.LBB119_2585:
	s_mov_b32 s7, -1
                                        ; implicit-def: $vgpr8
.LBB119_2586:
	s_delay_alu instid0(SALU_CYCLE_1)
	s_and_not1_b32 vcc_lo, exec_lo, s7
	s_cbranch_vccnz .LBB119_2588
; %bb.2587:
	s_wait_loadcnt 0x0
	global_load_b32 v1, v[10:11], off
	s_wait_loadcnt 0x0
	v_cvt_i32_f32_e32 v8, v1
.LBB119_2588:
	s_mov_b32 s7, 0
.LBB119_2589:
	s_delay_alu instid0(SALU_CYCLE_1)
	s_and_not1_b32 vcc_lo, exec_lo, s7
	s_cbranch_vccnz .LBB119_2591
; %bb.2590:
	s_wait_loadcnt 0x0
	global_load_u16 v1, v[10:11], off
	s_wait_loadcnt 0x0
	v_cvt_f32_f16_e32 v1, v1
	s_delay_alu instid0(VALU_DEP_1)
	v_cvt_i32_f32_e32 v8, v1
.LBB119_2591:
	s_cbranch_execnz .LBB119_2610
.LBB119_2592:
	s_sext_i32_i16 s7, s0
	s_delay_alu instid0(SALU_CYCLE_1)
	s_cmp_lt_i32 s7, 2
	s_cbranch_scc1 .LBB119_2596
; %bb.2593:
	s_cmp_lt_i32 s7, 3
	s_cbranch_scc1 .LBB119_2597
; %bb.2594:
	s_cmp_gt_i32 s7, 3
	s_cbranch_scc0 .LBB119_2598
; %bb.2595:
	s_wait_loadcnt 0x0
	global_load_b32 v8, v[10:11], off
	s_mov_b32 s7, 0
	s_branch .LBB119_2599
.LBB119_2596:
                                        ; implicit-def: $vgpr8
	s_branch .LBB119_2605
.LBB119_2597:
	s_mov_b32 s7, -1
                                        ; implicit-def: $vgpr8
	s_branch .LBB119_2602
.LBB119_2598:
	s_mov_b32 s7, -1
                                        ; implicit-def: $vgpr8
.LBB119_2599:
	s_delay_alu instid0(SALU_CYCLE_1)
	s_and_not1_b32 vcc_lo, exec_lo, s7
	s_cbranch_vccnz .LBB119_2601
; %bb.2600:
	s_wait_loadcnt 0x0
	global_load_b32 v8, v[10:11], off
.LBB119_2601:
	s_mov_b32 s7, 0
.LBB119_2602:
	s_delay_alu instid0(SALU_CYCLE_1)
	s_and_not1_b32 vcc_lo, exec_lo, s7
	s_cbranch_vccnz .LBB119_2604
; %bb.2603:
	s_wait_loadcnt 0x0
	global_load_i16 v8, v[10:11], off
.LBB119_2604:
	s_cbranch_execnz .LBB119_2610
.LBB119_2605:
	s_sext_i32_i16 s0, s0
	s_delay_alu instid0(SALU_CYCLE_1)
	s_cmp_gt_i32 s0, 0
	s_mov_b32 s0, 0
	s_cbranch_scc0 .LBB119_2607
; %bb.2606:
	s_wait_loadcnt 0x0
	global_load_i8 v8, v[10:11], off
	s_branch .LBB119_2608
.LBB119_2607:
	s_mov_b32 s0, -1
                                        ; implicit-def: $vgpr8
.LBB119_2608:
	s_delay_alu instid0(SALU_CYCLE_1)
	s_and_not1_b32 vcc_lo, exec_lo, s0
	s_cbranch_vccnz .LBB119_2610
; %bb.2609:
	s_wait_loadcnt 0x0
	global_load_u8 v8, v[10:11], off
.LBB119_2610:
	s_or_b32 s9, s9, exec_lo
.LBB119_2611:
	s_wait_xcnt 0x0
	s_or_b32 exec_lo, exec_lo, s6
	s_mov_b32 s7, 0
	s_mov_b32 s10, 0
	;; [unrolled: 1-line block ×3, first 2 shown]
                                        ; implicit-def: $sgpr0
                                        ; implicit-def: $vgpr6_vgpr7
                                        ; implicit-def: $vgpr10
	s_and_saveexec_b32 s6, s9
	s_cbranch_execz .LBB119_2619
; %bb.2612:
	s_load_b128 s[8:11], s[2:3], 0x268
	v_mov_b32_e32 v5, 0
	s_and_b32 s0, s80, 0xff
	s_delay_alu instid0(SALU_CYCLE_1)
	s_cmp_lt_i32 s0, 11
	s_wait_loadcnt 0x0
	s_wait_kmcnt 0x0
	v_add_nc_u64_e32 v[6:7], s[10:11], v[4:5]
	s_cbranch_scc1 .LBB119_2622
; %bb.2613:
	s_and_b32 s8, 0xffff, s0
	s_mov_b32 s9, 0
	s_cmp_gt_i32 s8, 25
	s_cbranch_scc0 .LBB119_2623
; %bb.2614:
	s_cmp_gt_i32 s8, 28
	s_cbranch_scc0 .LBB119_2624
; %bb.2615:
	;; [unrolled: 3-line block ×4, first 2 shown]
	s_cmp_eq_u32 s8, 46
	s_mov_b32 s11, 0
	s_cbranch_scc0 .LBB119_2627
; %bb.2618:
	global_load_b32 v1, v[6:7], off
	s_mov_b32 s10, -1
	s_wait_loadcnt 0x0
	v_lshlrev_b32_e32 v1, 16, v1
	s_delay_alu instid0(VALU_DEP_1)
	v_cvt_i32_f32_e32 v10, v1
	s_branch .LBB119_2629
.LBB119_2619:
	s_or_b32 exec_lo, exec_lo, s6
	s_and_saveexec_b32 s6, s86
	s_cbranch_execnz .LBB119_2688
.LBB119_2620:
	s_or_b32 exec_lo, exec_lo, s6
	s_and_saveexec_b32 s4, s7
	s_delay_alu instid0(SALU_CYCLE_1)
	s_xor_b32 s6, exec_lo, s4
	s_cbranch_execz .LBB119_2689
.LBB119_2621:
	s_wait_loadcnt 0x0
	global_load_u8 v1, v[6:7], off
	s_or_b32 s8, s8, exec_lo
	s_wait_loadcnt 0x0
	v_cmp_ne_u16_e32 vcc_lo, 0, v1
	v_cndmask_b32_e64 v10, 0, 1, vcc_lo
	s_wait_xcnt 0x0
	s_or_b32 exec_lo, exec_lo, s6
	s_and_saveexec_b32 s6, s10
	s_cbranch_execz .LBB119_2735
	s_branch .LBB119_2690
.LBB119_2622:
	s_mov_b32 s11, -1
	s_mov_b32 s10, 0
	s_mov_b32 s9, 0
	;; [unrolled: 1-line block ×3, first 2 shown]
                                        ; implicit-def: $vgpr10
	s_branch .LBB119_2687
.LBB119_2623:
	s_mov_b32 s10, 0
	s_mov_b32 s7, s86
                                        ; implicit-def: $vgpr10
	s_cbranch_execnz .LBB119_2656
	s_branch .LBB119_2686
.LBB119_2624:
	s_mov_b32 s11, -1
	s_mov_b32 s10, 0
	s_mov_b32 s7, s86
                                        ; implicit-def: $vgpr10
	s_branch .LBB119_2639
.LBB119_2625:
	s_mov_b32 s11, -1
	s_mov_b32 s10, 0
	s_mov_b32 s7, s86
                                        ; implicit-def: $vgpr10
	s_branch .LBB119_2634
.LBB119_2626:
	s_mov_b32 s11, -1
	s_mov_b32 s10, 0
	s_mov_b32 s7, s86
	s_branch .LBB119_2628
.LBB119_2627:
	s_mov_b32 s7, -1
	s_mov_b32 s10, 0
.LBB119_2628:
                                        ; implicit-def: $vgpr10
.LBB119_2629:
	s_and_b32 vcc_lo, exec_lo, s11
	s_cbranch_vccz .LBB119_2633
; %bb.2630:
	s_cmp_eq_u32 s8, 44
	s_cbranch_scc0 .LBB119_2632
; %bb.2631:
	global_load_u8 v1, v[6:7], off
	s_mov_b32 s7, 0
	s_mov_b32 s10, -1
	s_wait_loadcnt 0x0
	v_lshlrev_b32_e32 v4, 23, v1
	v_cmp_ne_u32_e32 vcc_lo, 0, v1
	s_delay_alu instid0(VALU_DEP_2) | instskip(NEXT) | instid1(VALU_DEP_1)
	v_cvt_i32_f32_e32 v4, v4
	v_cndmask_b32_e32 v10, 0, v4, vcc_lo
	s_branch .LBB119_2633
.LBB119_2632:
	s_mov_b32 s7, -1
                                        ; implicit-def: $vgpr10
.LBB119_2633:
	s_mov_b32 s11, 0
.LBB119_2634:
	s_delay_alu instid0(SALU_CYCLE_1)
	s_and_b32 vcc_lo, exec_lo, s11
	s_cbranch_vccz .LBB119_2638
; %bb.2635:
	s_cmp_eq_u32 s8, 29
	s_cbranch_scc0 .LBB119_2637
; %bb.2636:
	global_load_b32 v10, v[6:7], off
	s_mov_b32 s7, 0
	s_mov_b32 s10, -1
	s_branch .LBB119_2638
.LBB119_2637:
	s_mov_b32 s7, -1
                                        ; implicit-def: $vgpr10
.LBB119_2638:
	s_mov_b32 s11, 0
.LBB119_2639:
	s_delay_alu instid0(SALU_CYCLE_1)
	s_and_b32 vcc_lo, exec_lo, s11
	s_cbranch_vccz .LBB119_2655
; %bb.2640:
	s_cmp_lt_i32 s8, 27
	s_cbranch_scc1 .LBB119_2643
; %bb.2641:
	s_cmp_gt_i32 s8, 27
	s_cbranch_scc0 .LBB119_2644
; %bb.2642:
	s_wait_loadcnt 0x0
	global_load_b32 v10, v[6:7], off
	s_mov_b32 s10, 0
	s_branch .LBB119_2645
.LBB119_2643:
	s_mov_b32 s10, -1
                                        ; implicit-def: $vgpr10
	s_branch .LBB119_2648
.LBB119_2644:
	s_mov_b32 s10, -1
                                        ; implicit-def: $vgpr10
.LBB119_2645:
	s_delay_alu instid0(SALU_CYCLE_1)
	s_and_not1_b32 vcc_lo, exec_lo, s10
	s_cbranch_vccnz .LBB119_2647
; %bb.2646:
	s_wait_loadcnt 0x0
	global_load_u16 v10, v[6:7], off
.LBB119_2647:
	s_mov_b32 s10, 0
.LBB119_2648:
	s_delay_alu instid0(SALU_CYCLE_1)
	s_and_not1_b32 vcc_lo, exec_lo, s10
	s_cbranch_vccnz .LBB119_2654
; %bb.2649:
	global_load_u8 v1, v[6:7], off
	s_mov_b32 s11, 0
	s_mov_b32 s4, exec_lo
	s_wait_loadcnt 0x0
	v_cmpx_lt_i16_e32 0x7f, v1
	s_xor_b32 s10, exec_lo, s4
	s_cbranch_execz .LBB119_2665
; %bb.2650:
	v_cmp_ne_u16_e32 vcc_lo, 0x80, v1
	s_and_b32 s11, vcc_lo, exec_lo
	s_and_not1_saveexec_b32 s10, s10
	s_cbranch_execnz .LBB119_2666
.LBB119_2651:
	s_or_b32 exec_lo, exec_lo, s10
	v_mov_b32_e32 v10, 0
	s_and_saveexec_b32 s10, s11
	s_cbranch_execz .LBB119_2653
.LBB119_2652:
	v_and_b32_e32 v4, 0xffff, v1
	s_delay_alu instid0(VALU_DEP_1) | instskip(SKIP_1) | instid1(VALU_DEP_2)
	v_and_b32_e32 v5, 7, v4
	v_bfe_u32 v11, v4, 3, 4
	v_clz_i32_u32_e32 v9, v5
	s_delay_alu instid0(VALU_DEP_2) | instskip(NEXT) | instid1(VALU_DEP_2)
	v_cmp_eq_u32_e32 vcc_lo, 0, v11
	v_min_u32_e32 v9, 32, v9
	s_delay_alu instid0(VALU_DEP_1) | instskip(NEXT) | instid1(VALU_DEP_1)
	v_subrev_nc_u32_e32 v10, 28, v9
	v_dual_lshlrev_b32 v4, v10, v4 :: v_dual_sub_nc_u32 v9, 29, v9
	s_delay_alu instid0(VALU_DEP_1) | instskip(NEXT) | instid1(VALU_DEP_1)
	v_dual_lshlrev_b32 v1, 24, v1 :: v_dual_bitop2_b32 v4, 7, v4 bitop3:0x40
	v_dual_cndmask_b32 v4, v5, v4 :: v_dual_cndmask_b32 v9, v11, v9
	s_delay_alu instid0(VALU_DEP_2) | instskip(NEXT) | instid1(VALU_DEP_2)
	v_and_b32_e32 v1, 0x80000000, v1
	v_lshlrev_b32_e32 v4, 20, v4
	s_delay_alu instid0(VALU_DEP_3) | instskip(NEXT) | instid1(VALU_DEP_1)
	v_lshl_add_u32 v5, v9, 23, 0x3b800000
	v_or3_b32 v1, v1, v5, v4
	s_delay_alu instid0(VALU_DEP_1)
	v_cvt_i32_f32_e32 v10, v1
.LBB119_2653:
	s_or_b32 exec_lo, exec_lo, s10
.LBB119_2654:
	s_mov_b32 s10, -1
.LBB119_2655:
	s_branch .LBB119_2686
.LBB119_2656:
	s_cmp_gt_i32 s8, 22
	s_cbranch_scc0 .LBB119_2664
; %bb.2657:
	s_cmp_lt_i32 s8, 24
	s_cbranch_scc1 .LBB119_2667
; %bb.2658:
	s_cmp_gt_i32 s8, 24
	s_cbranch_scc0 .LBB119_2668
; %bb.2659:
	global_load_u8 v1, v[6:7], off
	s_mov_b32 s10, 0
	s_mov_b32 s4, exec_lo
	s_wait_loadcnt 0x0
	v_cmpx_lt_i16_e32 0x7f, v1
	s_xor_b32 s9, exec_lo, s4
	s_cbranch_execz .LBB119_2680
; %bb.2660:
	v_cmp_ne_u16_e32 vcc_lo, 0x80, v1
	s_and_b32 s10, vcc_lo, exec_lo
	s_and_not1_saveexec_b32 s9, s9
	s_cbranch_execnz .LBB119_2681
.LBB119_2661:
	s_or_b32 exec_lo, exec_lo, s9
	v_mov_b32_e32 v10, 0
	s_and_saveexec_b32 s9, s10
	s_cbranch_execz .LBB119_2663
.LBB119_2662:
	v_and_b32_e32 v4, 0xffff, v1
	s_delay_alu instid0(VALU_DEP_1) | instskip(SKIP_1) | instid1(VALU_DEP_2)
	v_and_b32_e32 v5, 3, v4
	v_bfe_u32 v11, v4, 2, 5
	v_clz_i32_u32_e32 v9, v5
	s_delay_alu instid0(VALU_DEP_2) | instskip(NEXT) | instid1(VALU_DEP_2)
	v_cmp_eq_u32_e32 vcc_lo, 0, v11
	v_min_u32_e32 v9, 32, v9
	s_delay_alu instid0(VALU_DEP_1) | instskip(NEXT) | instid1(VALU_DEP_1)
	v_subrev_nc_u32_e32 v10, 29, v9
	v_dual_lshlrev_b32 v4, v10, v4 :: v_dual_sub_nc_u32 v9, 30, v9
	s_delay_alu instid0(VALU_DEP_1) | instskip(NEXT) | instid1(VALU_DEP_1)
	v_dual_lshlrev_b32 v1, 24, v1 :: v_dual_bitop2_b32 v4, 3, v4 bitop3:0x40
	v_dual_cndmask_b32 v4, v5, v4 :: v_dual_cndmask_b32 v9, v11, v9
	s_delay_alu instid0(VALU_DEP_2) | instskip(NEXT) | instid1(VALU_DEP_2)
	v_and_b32_e32 v1, 0x80000000, v1
	v_lshlrev_b32_e32 v4, 21, v4
	s_delay_alu instid0(VALU_DEP_3) | instskip(NEXT) | instid1(VALU_DEP_1)
	v_lshl_add_u32 v5, v9, 23, 0x37800000
	v_or3_b32 v1, v1, v5, v4
	s_delay_alu instid0(VALU_DEP_1)
	v_cvt_i32_f32_e32 v10, v1
.LBB119_2663:
	s_or_b32 exec_lo, exec_lo, s9
	s_mov_b32 s9, 0
	s_branch .LBB119_2669
.LBB119_2664:
	s_mov_b32 s9, -1
                                        ; implicit-def: $vgpr10
	s_branch .LBB119_2675
.LBB119_2665:
	s_and_not1_saveexec_b32 s10, s10
	s_cbranch_execz .LBB119_2651
.LBB119_2666:
	v_cmp_ne_u16_e32 vcc_lo, 0, v1
	s_and_not1_b32 s4, s11, exec_lo
	s_and_b32 s5, vcc_lo, exec_lo
	s_delay_alu instid0(SALU_CYCLE_1)
	s_or_b32 s11, s4, s5
	s_or_b32 exec_lo, exec_lo, s10
	v_mov_b32_e32 v10, 0
	s_and_saveexec_b32 s10, s11
	s_cbranch_execnz .LBB119_2652
	s_branch .LBB119_2653
.LBB119_2667:
	s_mov_b32 s9, -1
                                        ; implicit-def: $vgpr10
	s_branch .LBB119_2672
.LBB119_2668:
	s_mov_b32 s9, -1
                                        ; implicit-def: $vgpr10
.LBB119_2669:
	s_delay_alu instid0(SALU_CYCLE_1)
	s_and_b32 vcc_lo, exec_lo, s9
	s_cbranch_vccz .LBB119_2671
; %bb.2670:
	global_load_u8 v1, v[6:7], off
	s_wait_loadcnt 0x0
	v_lshlrev_b32_e32 v1, 24, v1
	s_delay_alu instid0(VALU_DEP_1) | instskip(NEXT) | instid1(VALU_DEP_1)
	v_and_b32_e32 v4, 0x7f000000, v1
	v_clz_i32_u32_e32 v5, v4
	v_add_nc_u32_e32 v10, 0x1000000, v4
	v_cmp_ne_u32_e32 vcc_lo, 0, v4
	s_delay_alu instid0(VALU_DEP_3) | instskip(NEXT) | instid1(VALU_DEP_1)
	v_min_u32_e32 v5, 32, v5
	v_sub_nc_u32_e64 v5, v5, 4 clamp
	s_delay_alu instid0(VALU_DEP_1) | instskip(NEXT) | instid1(VALU_DEP_1)
	v_dual_lshlrev_b32 v9, v5, v4 :: v_dual_lshlrev_b32 v5, 23, v5
	v_lshrrev_b32_e32 v9, 4, v9
	s_delay_alu instid0(VALU_DEP_1) | instskip(NEXT) | instid1(VALU_DEP_1)
	v_dual_sub_nc_u32 v5, v9, v5 :: v_dual_ashrrev_i32 v9, 8, v10
	v_add_nc_u32_e32 v5, 0x3c000000, v5
	s_delay_alu instid0(VALU_DEP_1) | instskip(NEXT) | instid1(VALU_DEP_1)
	v_and_or_b32 v5, 0x7f800000, v9, v5
	v_cndmask_b32_e32 v4, 0, v5, vcc_lo
	s_delay_alu instid0(VALU_DEP_1) | instskip(NEXT) | instid1(VALU_DEP_1)
	v_and_or_b32 v1, 0x80000000, v1, v4
	v_cvt_i32_f32_e32 v10, v1
.LBB119_2671:
	s_mov_b32 s9, 0
.LBB119_2672:
	s_delay_alu instid0(SALU_CYCLE_1)
	s_and_not1_b32 vcc_lo, exec_lo, s9
	s_cbranch_vccnz .LBB119_2674
; %bb.2673:
	global_load_u8 v1, v[6:7], off
	s_wait_loadcnt 0x0
	v_lshlrev_b32_e32 v4, 25, v1
	v_lshlrev_b16 v1, 8, v1
	s_delay_alu instid0(VALU_DEP_2) | instskip(NEXT) | instid1(VALU_DEP_2)
	v_cmp_gt_u32_e32 vcc_lo, 0x8000000, v4
	v_and_or_b32 v9, 0x7f00, v1, 0.5
	v_lshrrev_b32_e32 v5, 4, v4
	v_bfe_i32 v1, v1, 0, 16
	s_delay_alu instid0(VALU_DEP_3) | instskip(NEXT) | instid1(VALU_DEP_3)
	v_add_f32_e32 v9, -0.5, v9
	v_or_b32_e32 v5, 0x70000000, v5
	s_delay_alu instid0(VALU_DEP_1) | instskip(NEXT) | instid1(VALU_DEP_1)
	v_mul_f32_e32 v5, 0x7800000, v5
	v_cndmask_b32_e32 v4, v5, v9, vcc_lo
	s_delay_alu instid0(VALU_DEP_1) | instskip(NEXT) | instid1(VALU_DEP_1)
	v_and_or_b32 v1, 0x80000000, v1, v4
	v_cvt_i32_f32_e32 v10, v1
.LBB119_2674:
	s_mov_b32 s9, 0
	s_mov_b32 s10, -1
.LBB119_2675:
	s_and_not1_b32 vcc_lo, exec_lo, s9
	s_mov_b32 s9, 0
	s_cbranch_vccnz .LBB119_2686
; %bb.2676:
	s_cmp_gt_i32 s8, 14
	s_cbranch_scc0 .LBB119_2679
; %bb.2677:
	s_cmp_eq_u32 s8, 15
	s_cbranch_scc0 .LBB119_2682
; %bb.2678:
	global_load_u16 v1, v[6:7], off
	s_mov_b32 s7, 0
	s_mov_b32 s10, -1
	s_wait_loadcnt 0x0
	v_lshlrev_b32_e32 v1, 16, v1
	s_delay_alu instid0(VALU_DEP_1)
	v_cvt_i32_f32_e32 v10, v1
	s_branch .LBB119_2684
.LBB119_2679:
	s_mov_b32 s9, -1
	s_branch .LBB119_2683
.LBB119_2680:
	s_and_not1_saveexec_b32 s9, s9
	s_cbranch_execz .LBB119_2661
.LBB119_2681:
	v_cmp_ne_u16_e32 vcc_lo, 0, v1
	s_and_not1_b32 s4, s10, exec_lo
	s_and_b32 s5, vcc_lo, exec_lo
	s_delay_alu instid0(SALU_CYCLE_1)
	s_or_b32 s10, s4, s5
	s_or_b32 exec_lo, exec_lo, s9
	v_mov_b32_e32 v10, 0
	s_and_saveexec_b32 s9, s10
	s_cbranch_execnz .LBB119_2662
	s_branch .LBB119_2663
.LBB119_2682:
	s_mov_b32 s7, -1
.LBB119_2683:
                                        ; implicit-def: $vgpr10
.LBB119_2684:
	s_and_b32 vcc_lo, exec_lo, s9
	s_mov_b32 s9, 0
	s_cbranch_vccz .LBB119_2686
; %bb.2685:
	s_cmp_lg_u32 s8, 11
	s_mov_b32 s9, -1
	s_cselect_b32 s4, -1, 0
	s_and_not1_b32 s5, s7, exec_lo
	s_and_b32 s4, s4, exec_lo
	s_delay_alu instid0(SALU_CYCLE_1)
	s_or_b32 s7, s5, s4
.LBB119_2686:
	s_mov_b32 s11, 0
.LBB119_2687:
	s_and_not1_b32 s4, s86, exec_lo
	s_and_b32 s5, s7, exec_lo
	s_and_b32 s8, s10, exec_lo
	;; [unrolled: 1-line block ×4, first 2 shown]
	s_or_b32 s86, s4, s5
	s_wait_xcnt 0x0
	s_or_b32 exec_lo, exec_lo, s6
	s_and_saveexec_b32 s6, s86
	s_cbranch_execz .LBB119_2620
.LBB119_2688:
	s_or_b32 s1, s1, exec_lo
	s_and_not1_b32 s7, s7, exec_lo
	s_trap 2
	s_or_b32 exec_lo, exec_lo, s6
	s_and_saveexec_b32 s4, s7
	s_delay_alu instid0(SALU_CYCLE_1)
	s_xor_b32 s6, exec_lo, s4
	s_cbranch_execnz .LBB119_2621
.LBB119_2689:
	s_or_b32 exec_lo, exec_lo, s6
	s_and_saveexec_b32 s6, s10
	s_cbranch_execz .LBB119_2735
.LBB119_2690:
	s_sext_i32_i16 s7, s0
	s_delay_alu instid0(SALU_CYCLE_1)
	s_cmp_lt_i32 s7, 5
	s_cbranch_scc1 .LBB119_2695
; %bb.2691:
	s_cmp_lt_i32 s7, 8
	s_cbranch_scc1 .LBB119_2696
; %bb.2692:
	;; [unrolled: 3-line block ×3, first 2 shown]
	s_cmp_gt_i32 s7, 9
	s_cbranch_scc0 .LBB119_2698
; %bb.2694:
	s_wait_loadcnt 0x0
	global_load_b64 v[4:5], v[6:7], off
	s_mov_b32 s7, 0
	s_wait_loadcnt 0x0
	v_cvt_i32_f64_e32 v10, v[4:5]
	s_branch .LBB119_2699
.LBB119_2695:
                                        ; implicit-def: $vgpr10
	s_branch .LBB119_2716
.LBB119_2696:
                                        ; implicit-def: $vgpr10
	s_branch .LBB119_2705
.LBB119_2697:
	s_mov_b32 s7, -1
                                        ; implicit-def: $vgpr10
	s_branch .LBB119_2702
.LBB119_2698:
	s_mov_b32 s7, -1
                                        ; implicit-def: $vgpr10
.LBB119_2699:
	s_delay_alu instid0(SALU_CYCLE_1)
	s_and_not1_b32 vcc_lo, exec_lo, s7
	s_cbranch_vccnz .LBB119_2701
; %bb.2700:
	s_wait_loadcnt 0x0
	global_load_b32 v1, v[6:7], off
	s_wait_loadcnt 0x0
	v_cvt_i32_f32_e32 v10, v1
.LBB119_2701:
	s_mov_b32 s7, 0
.LBB119_2702:
	s_delay_alu instid0(SALU_CYCLE_1)
	s_and_not1_b32 vcc_lo, exec_lo, s7
	s_cbranch_vccnz .LBB119_2704
; %bb.2703:
	s_wait_loadcnt 0x0
	global_load_b32 v1, v[6:7], off
	s_wait_loadcnt 0x0
	v_cvt_f32_f16_e32 v1, v1
	s_delay_alu instid0(VALU_DEP_1)
	v_cvt_i32_f32_e32 v10, v1
.LBB119_2704:
	s_cbranch_execnz .LBB119_2715
.LBB119_2705:
	s_sext_i32_i16 s7, s0
	s_delay_alu instid0(SALU_CYCLE_1)
	s_cmp_lt_i32 s7, 6
	s_cbranch_scc1 .LBB119_2708
; %bb.2706:
	s_cmp_gt_i32 s7, 6
	s_cbranch_scc0 .LBB119_2709
; %bb.2707:
	s_wait_loadcnt 0x0
	global_load_b64 v[4:5], v[6:7], off
	s_mov_b32 s7, 0
	s_wait_loadcnt 0x0
	v_cvt_i32_f64_e32 v10, v[4:5]
	s_branch .LBB119_2710
.LBB119_2708:
	s_mov_b32 s7, -1
                                        ; implicit-def: $vgpr10
	s_branch .LBB119_2713
.LBB119_2709:
	s_mov_b32 s7, -1
                                        ; implicit-def: $vgpr10
.LBB119_2710:
	s_delay_alu instid0(SALU_CYCLE_1)
	s_and_not1_b32 vcc_lo, exec_lo, s7
	s_cbranch_vccnz .LBB119_2712
; %bb.2711:
	s_wait_loadcnt 0x0
	global_load_b32 v1, v[6:7], off
	s_wait_loadcnt 0x0
	v_cvt_i32_f32_e32 v10, v1
.LBB119_2712:
	s_mov_b32 s7, 0
.LBB119_2713:
	s_delay_alu instid0(SALU_CYCLE_1)
	s_and_not1_b32 vcc_lo, exec_lo, s7
	s_cbranch_vccnz .LBB119_2715
; %bb.2714:
	s_wait_loadcnt 0x0
	global_load_u16 v1, v[6:7], off
	s_wait_loadcnt 0x0
	v_cvt_f32_f16_e32 v1, v1
	s_delay_alu instid0(VALU_DEP_1)
	v_cvt_i32_f32_e32 v10, v1
.LBB119_2715:
	s_cbranch_execnz .LBB119_2734
.LBB119_2716:
	s_sext_i32_i16 s7, s0
	s_delay_alu instid0(SALU_CYCLE_1)
	s_cmp_lt_i32 s7, 2
	s_cbranch_scc1 .LBB119_2720
; %bb.2717:
	s_cmp_lt_i32 s7, 3
	s_cbranch_scc1 .LBB119_2721
; %bb.2718:
	s_cmp_gt_i32 s7, 3
	s_cbranch_scc0 .LBB119_2722
; %bb.2719:
	s_wait_loadcnt 0x0
	global_load_b32 v10, v[6:7], off
	s_mov_b32 s7, 0
	s_branch .LBB119_2723
.LBB119_2720:
                                        ; implicit-def: $vgpr10
	s_branch .LBB119_2729
.LBB119_2721:
	s_mov_b32 s7, -1
                                        ; implicit-def: $vgpr10
	s_branch .LBB119_2726
.LBB119_2722:
	s_mov_b32 s7, -1
                                        ; implicit-def: $vgpr10
.LBB119_2723:
	s_delay_alu instid0(SALU_CYCLE_1)
	s_and_not1_b32 vcc_lo, exec_lo, s7
	s_cbranch_vccnz .LBB119_2725
; %bb.2724:
	s_wait_loadcnt 0x0
	global_load_b32 v10, v[6:7], off
.LBB119_2725:
	s_mov_b32 s7, 0
.LBB119_2726:
	s_delay_alu instid0(SALU_CYCLE_1)
	s_and_not1_b32 vcc_lo, exec_lo, s7
	s_cbranch_vccnz .LBB119_2728
; %bb.2727:
	s_wait_loadcnt 0x0
	global_load_i16 v10, v[6:7], off
.LBB119_2728:
	s_cbranch_execnz .LBB119_2734
.LBB119_2729:
	s_sext_i32_i16 s0, s0
	s_delay_alu instid0(SALU_CYCLE_1)
	s_cmp_gt_i32 s0, 0
	s_mov_b32 s0, 0
	s_cbranch_scc0 .LBB119_2731
; %bb.2730:
	s_wait_loadcnt 0x0
	global_load_i8 v10, v[6:7], off
	s_branch .LBB119_2732
.LBB119_2731:
	s_mov_b32 s0, -1
                                        ; implicit-def: $vgpr10
.LBB119_2732:
	s_delay_alu instid0(SALU_CYCLE_1)
	s_and_not1_b32 vcc_lo, exec_lo, s0
	s_cbranch_vccnz .LBB119_2734
; %bb.2733:
	s_wait_loadcnt 0x0
	global_load_u8 v10, v[6:7], off
.LBB119_2734:
	s_or_b32 s8, s8, exec_lo
.LBB119_2735:
	s_wait_xcnt 0x0
	s_or_b32 exec_lo, exec_lo, s6
	s_mov_b32 s0, 0
	s_and_saveexec_b32 s4, s8
	s_delay_alu instid0(SALU_CYCLE_1)
	s_xor_b32 s6, exec_lo, s4
	s_cbranch_execz .LBB119_2737
; %bb.2736:
	s_wait_loadcnt 0x0
	v_cmp_ne_u32_e32 vcc_lo, s79, v3
	s_xor_b32 s4, s17, -1
	s_and_not1_b32 s5, s85, exec_lo
	s_mov_b32 s0, exec_lo
	s_or_b32 s4, s4, vcc_lo
	s_delay_alu instid0(SALU_CYCLE_1) | instskip(NEXT) | instid1(SALU_CYCLE_1)
	s_and_b32 s4, s4, exec_lo
	s_or_b32 s85, s5, s4
.LBB119_2737:
	s_or_b32 exec_lo, exec_lo, s6
	s_and_saveexec_b32 s6, s85
	s_cbranch_execnz .LBB119_2774
.LBB119_2738:
	s_or_b32 exec_lo, exec_lo, s6
	s_mov_b32 s7, 0
	s_and_saveexec_b32 s4, s0
	s_delay_alu instid0(SALU_CYCLE_1)
	s_xor_b32 s0, exec_lo, s4
	s_cbranch_execz .LBB119_2740
; %bb.2739:
	s_wait_loadcnt 0x0
	v_cmp_ne_u32_e32 vcc_lo, s14, v12
	s_xor_b32 s4, s51, -1
	s_and_not1_b32 s5, s84, exec_lo
	s_mov_b32 s7, exec_lo
	s_or_b32 s4, s4, vcc_lo
	s_delay_alu instid0(SALU_CYCLE_1) | instskip(NEXT) | instid1(SALU_CYCLE_1)
	s_and_b32 s4, s4, exec_lo
	s_or_b32 s84, s5, s4
.LBB119_2740:
	s_or_b32 exec_lo, exec_lo, s0
	s_and_saveexec_b32 s0, s84
	s_cbranch_execnz .LBB119_2775
.LBB119_2741:
	s_or_b32 exec_lo, exec_lo, s0
	s_mov_b32 s6, 0
	s_and_saveexec_b32 s0, s7
	s_delay_alu instid0(SALU_CYCLE_1)
	s_xor_b32 s7, exec_lo, s0
	s_cbranch_execz .LBB119_2753
; %bb.2742:
	s_wait_loadcnt 0x0
	v_sub_nc_u32_e32 v1, v8, v0
	s_and_not1_b32 s4, s69, exec_lo
	s_mov_b32 s6, exec_lo
	s_delay_alu instid0(VALU_DEP_1) | instskip(SKIP_2) | instid1(SALU_CYCLE_1)
	v_cmp_le_i32_e32 vcc_lo, s79, v1
	v_cmp_ge_i32_e64 s0, s12, v1
	s_and_b32 s0, vcc_lo, s0
	s_and_b32 s0, s78, s0
	s_delay_alu instid0(SALU_CYCLE_1) | instskip(NEXT) | instid1(SALU_CYCLE_1)
	s_xor_b32 s0, s0, -1
	s_and_b32 s0, s0, exec_lo
	s_delay_alu instid0(SALU_CYCLE_1)
	s_or_b32 s69, s4, s0
	s_or_b32 exec_lo, exec_lo, s7
	s_and_saveexec_b32 s0, s69
	s_cbranch_execz .LBB119_2754
.LBB119_2743:
	s_or_b32 s1, s1, exec_lo
	s_and_not1_b32 s6, s6, exec_lo
	s_trap 2
	s_or_b32 exec_lo, exec_lo, s0
	s_mov_b32 s8, 0
	s_and_saveexec_b32 s20, s6
	s_cbranch_execnz .LBB119_2755
.LBB119_2744:
	s_or_b32 exec_lo, exec_lo, s20
	s_and_saveexec_b32 s0, s68
	s_cbranch_execnz .LBB119_2773
.LBB119_2745:
	s_or_b32 exec_lo, exec_lo, s0
	s_mov_b32 s9, 0
	s_mov_b32 s7, 0
                                        ; implicit-def: $sgpr0
                                        ; implicit-def: $vgpr0_vgpr1
	s_and_saveexec_b32 s6, s8
	s_cbranch_execz .LBB119_2762
; %bb.2746:
	s_load_b256 s[8:15], s[2:3], 0x248
	s_wait_loadcnt 0x0
	v_mov_b32_e32 v3, 0
	s_and_b32 s0, s34, 0xff
	s_delay_alu instid0(SALU_CYCLE_1) | instskip(SKIP_1) | instid1(VALU_DEP_1)
	s_cmp_lt_i32 s0, 11
	s_wait_kmcnt 0x0
	v_add_nc_u64_e32 v[0:1], s[8:9], v[2:3]
	s_cbranch_scc1 .LBB119_2770
; %bb.2747:
	s_and_b32 s5, 0xffff, s0
	s_mov_b32 s7, -1
	s_cmp_gt_i32 s5, 25
	s_mov_b32 s4, s45
	s_cbranch_scc0 .LBB119_2795
; %bb.2748:
	s_cmp_gt_i32 s5, 28
	s_mov_b32 s4, s45
	s_cbranch_scc0 .LBB119_2785
; %bb.2749:
	;; [unrolled: 4-line block ×4, first 2 shown]
	s_cmp_eq_u32 s5, 46
	s_mov_b32 s4, -1
	s_cbranch_scc0 .LBB119_2776
; %bb.2752:
	v_mov_b32_e32 v2, 0
	s_mov_b32 s4, 0
	s_mov_b32 s7, 0
	global_store_b32 v[0:1], v2, off
	s_branch .LBB119_2777
.LBB119_2753:
	s_or_b32 exec_lo, exec_lo, s7
	s_and_saveexec_b32 s0, s69
	s_cbranch_execnz .LBB119_2743
.LBB119_2754:
	s_or_b32 exec_lo, exec_lo, s0
	s_mov_b32 s8, 0
	s_and_saveexec_b32 s20, s6
	s_cbranch_execz .LBB119_2744
.LBB119_2755:
	v_mov_b64_e32 v[4:5], 0
	s_and_not1_b32 vcc_lo, exec_lo, s77
	s_cbranch_vccnz .LBB119_2765
; %bb.2756:
	s_wait_loadcnt 0x0
	v_dual_mov_b32 v6, 0 :: v_dual_ashrrev_i32 v11, 31, v10
	v_mov_b64_e32 v[4:5], 0
	s_mov_b32 s49, 0
	s_mov_b64 s[6:7], 0xffffffff
	s_delay_alu instid0(VALU_DEP_2) | instskip(SKIP_1) | instid1(SALU_CYCLE_1)
	v_mul_u64_e32 v[10:11], s[14:15], v[10:11]
	s_lshl_b64 s[4:5], s[48:49], 3
	s_add_nc_u64 s[8:9], s[18:19], s[4:5]
	s_add_nc_u64 s[10:11], s[40:41], s[4:5]
	s_branch .LBB119_2758
.LBB119_2757:                           ;   in Loop: Header=BB119_2758 Depth=1
	s_or_b32 exec_lo, exec_lo, s0
	global_load_b64 v[14:15], v6, s[10:11]
	v_mul_u64_e32 v[16:17], s[12:13], v[12:13]
	s_add_co_i32 s16, s16, -1
	s_add_nc_u64 s[8:9], s[8:9], -8
	s_cmp_lg_u32 s16, 0
	s_wait_xcnt 0x0
	s_add_nc_u64 s[10:11], s[10:11], -8
	s_delay_alu instid0(VALU_DEP_1) | instskip(SKIP_1) | instid1(VALU_DEP_1)
	v_sub_nc_u64_e32 v[10:11], v[10:11], v[16:17]
	s_wait_loadcnt 0x0
	v_mad_nc_u64_u32 v[4:5], v10, v14, v[4:5]
	s_delay_alu instid0(VALU_DEP_1) | instskip(NEXT) | instid1(VALU_DEP_1)
	v_mad_u32 v1, v11, v14, v5
	v_mad_u32 v5, v10, v15, v1
	v_mov_b64_e32 v[10:11], v[12:13]
	s_cbranch_scc0 .LBB119_2765
.LBB119_2758:                           ; =>This Inner Loop Header: Depth=1
	global_load_b64 v[12:13], v6, s[8:9]
	s_mov_b32 s0, exec_lo
	s_wait_loadcnt 0x0
	v_or_b32_e32 v7, v11, v13
	v_readfirstlane_b32 s12, v12
	v_readfirstlane_b32 s13, v13
                                        ; implicit-def: $vgpr12_vgpr13
	s_wait_xcnt 0x0
	s_delay_alu instid0(VALU_DEP_3)
	v_cmpx_ne_u64_e32 0, v[6:7]
	s_xor_b32 s21, exec_lo, s0
	s_cbranch_execz .LBB119_2760
; %bb.2759:                             ;   in Loop: Header=BB119_2758 Depth=1
	s_ashr_i32 s14, s13, 31
	v_dual_mov_b32 v17, v6 :: v_dual_ashrrev_i32 v12, 31, v11
	s_mov_b32 s15, s14
	s_delay_alu instid0(SALU_CYCLE_1) | instskip(NEXT) | instid1(VALU_DEP_1)
	s_add_nc_u64 s[4:5], s[12:13], s[14:15]
	v_mov_b32_e32 v13, v12
	s_xor_b64 s[18:19], s[4:5], s[14:15]
	s_delay_alu instid0(SALU_CYCLE_1)
	s_cvt_f32_u32 s0, s18
	s_cvt_f32_u32 s4, s19
	s_sub_nc_u64 s[22:23], 0, s[18:19]
	v_add_nc_u64_e32 v[14:15], v[10:11], v[12:13]
	v_mov_b32_e32 v21, v6
	s_fmamk_f32 s0, s4, 0x4f800000, s0
	s_delay_alu instid0(SALU_CYCLE_3) | instskip(NEXT) | instid1(VALU_DEP_2)
	v_s_rcp_f32 s0, s0
	v_xor_b32_e32 v16, v14, v12
	s_delay_alu instid0(VALU_DEP_3) | instskip(NEXT) | instid1(TRANS32_DEP_1)
	v_dual_mov_b32 v25, v6 :: v_dual_bitop2_b32 v20, v15, v12 bitop3:0x14
	s_mul_f32 s0, s0, 0x5f7ffffc
	s_delay_alu instid0(SALU_CYCLE_3) | instskip(NEXT) | instid1(SALU_CYCLE_3)
	s_mul_f32 s4, s0, 0x2f800000
	s_trunc_f32 s4, s4
	s_delay_alu instid0(SALU_CYCLE_3) | instskip(SKIP_1) | instid1(SALU_CYCLE_2)
	s_fmamk_f32 s0, s4, 0xcf800000, s0
	s_cvt_u32_f32 s5, s4
	s_cvt_u32_f32 s4, s0
	s_delay_alu instid0(SALU_CYCLE_3) | instskip(NEXT) | instid1(SALU_CYCLE_1)
	s_mul_u64 s[24:25], s[22:23], s[4:5]
	s_mul_hi_u32 s27, s4, s25
	s_mul_i32 s26, s4, s25
	s_mul_hi_u32 s48, s4, s24
	s_mul_i32 s15, s5, s24
	s_add_nc_u64 s[26:27], s[48:49], s[26:27]
	s_mul_hi_u32 s0, s5, s24
	s_mul_hi_u32 s28, s5, s25
	s_add_co_u32 s15, s26, s15
	s_add_co_ci_u32 s48, s27, s0
	s_mul_i32 s24, s5, s25
	s_add_co_ci_u32 s25, s28, 0
	s_delay_alu instid0(SALU_CYCLE_1) | instskip(NEXT) | instid1(SALU_CYCLE_1)
	s_add_nc_u64 s[24:25], s[48:49], s[24:25]
	s_add_co_u32 s4, s4, s24
	s_cselect_b32 s0, -1, 0
	s_delay_alu instid0(SALU_CYCLE_1) | instskip(SKIP_1) | instid1(SALU_CYCLE_1)
	s_cmp_lg_u32 s0, 0
	s_add_co_ci_u32 s5, s5, s25
	s_mul_u64 s[22:23], s[22:23], s[4:5]
	s_delay_alu instid0(SALU_CYCLE_1)
	s_mul_hi_u32 s25, s4, s23
	s_mul_i32 s24, s4, s23
	s_mul_hi_u32 s48, s4, s22
	s_mul_i32 s15, s5, s22
	s_add_nc_u64 s[24:25], s[48:49], s[24:25]
	s_mul_hi_u32 s0, s5, s22
	s_mul_hi_u32 s26, s5, s23
	s_add_co_u32 s15, s24, s15
	s_add_co_ci_u32 s48, s25, s0
	s_mul_i32 s22, s5, s23
	s_add_co_ci_u32 s23, s26, 0
	s_delay_alu instid0(SALU_CYCLE_1) | instskip(NEXT) | instid1(SALU_CYCLE_1)
	s_add_nc_u64 s[22:23], s[48:49], s[22:23]
	s_add_co_u32 s0, s4, s22
	s_cselect_b32 s4, -1, 0
	v_mul_hi_u32 v24, v16, s0
	s_cmp_lg_u32 s4, 0
	s_add_co_ci_u32 s48, s5, s23
	s_and_b64 s[4:5], s[0:1], s[6:7]
	v_mul_u64_e32 v[18:19], s[48:49], v[16:17]
	v_mul_u64_e32 v[14:15], s[4:5], v[20:21]
	;; [unrolled: 1-line block ×3, first 2 shown]
	s_delay_alu instid0(VALU_DEP_3) | instskip(NEXT) | instid1(VALU_DEP_1)
	v_add_nc_u64_e32 v[18:19], v[24:25], v[18:19]
	v_add_co_u32 v1, vcc_lo, v18, v14
	s_delay_alu instid0(VALU_DEP_2) | instskip(NEXT) | instid1(VALU_DEP_4)
	v_add_co_ci_u32_e32 v24, vcc_lo, v19, v15, vcc_lo
	v_add_co_ci_u32_e32 v23, vcc_lo, 0, v23, vcc_lo
	s_delay_alu instid0(VALU_DEP_1) | instskip(NEXT) | instid1(VALU_DEP_1)
	v_add_nc_u64_e32 v[14:15], v[24:25], v[22:23]
	v_mul_u64_e32 v[18:19], s[18:19], v[14:15]
	s_delay_alu instid0(VALU_DEP_1) | instskip(NEXT) | instid1(VALU_DEP_2)
	v_sub_nc_u32_e32 v1, v20, v19
	v_sub_co_u32 v3, vcc_lo, v16, v18
	s_delay_alu instid0(VALU_DEP_1) | instskip(NEXT) | instid1(VALU_DEP_3)
	v_sub_co_ci_u32_e64 v9, null, v20, v19, vcc_lo
	v_subrev_co_ci_u32_e64 v1, null, s19, v1, vcc_lo
	s_delay_alu instid0(VALU_DEP_3) | instskip(SKIP_1) | instid1(VALU_DEP_3)
	v_sub_co_u32 v7, s0, v3, s18
	v_add_nc_u64_e32 v[16:17], 2, v[14:15]
	v_subrev_co_ci_u32_e64 v1, null, 0, v1, s0
	s_delay_alu instid0(VALU_DEP_3) | instskip(SKIP_2) | instid1(VALU_DEP_4)
	v_cmp_le_u32_e32 vcc_lo, s18, v7
	v_add_nc_u64_e32 v[18:19], 1, v[14:15]
	v_cndmask_b32_e64 v7, 0, -1, vcc_lo
	v_cmp_le_u32_e32 vcc_lo, s19, v1
	v_cndmask_b32_e64 v13, 0, -1, vcc_lo
	v_cmp_le_u32_e32 vcc_lo, s18, v3
	;; [unrolled: 2-line block ×3, first 2 shown]
	v_cndmask_b32_e64 v20, 0, -1, vcc_lo
	v_cmp_eq_u32_e32 vcc_lo, s19, v1
	v_cndmask_b32_e32 v1, v13, v7, vcc_lo
	v_cmp_eq_u32_e32 vcc_lo, s19, v9
	s_delay_alu instid0(VALU_DEP_4) | instskip(NEXT) | instid1(VALU_DEP_3)
	v_cndmask_b32_e32 v3, v20, v3, vcc_lo
	v_cmp_ne_u32_e32 vcc_lo, 0, v1
	v_cndmask_b32_e32 v1, v19, v17, vcc_lo
	s_delay_alu instid0(VALU_DEP_3) | instskip(SKIP_1) | instid1(VALU_DEP_2)
	v_cmp_ne_u32_e64 s0, 0, v3
	v_cndmask_b32_e32 v3, v18, v16, vcc_lo
	v_dual_cndmask_b32 v1, v15, v1, s0 :: v_dual_bitop2_b32 v12, s14, v12 bitop3:0x14
	s_delay_alu instid0(VALU_DEP_1) | instskip(NEXT) | instid1(VALU_DEP_2)
	v_dual_cndmask_b32 v3, v14, v3, s0 :: v_dual_mov_b32 v13, v12
	v_xor_b32_e32 v15, v1, v12
	s_delay_alu instid0(VALU_DEP_2) | instskip(NEXT) | instid1(VALU_DEP_1)
	v_xor_b32_e32 v14, v3, v12
	v_sub_nc_u64_e32 v[12:13], v[14:15], v[12:13]
.LBB119_2760:                           ;   in Loop: Header=BB119_2758 Depth=1
	s_and_not1_saveexec_b32 s0, s21
	s_cbranch_execz .LBB119_2757
; %bb.2761:                             ;   in Loop: Header=BB119_2758 Depth=1
	v_cvt_f32_u32_e32 v1, s12
	s_sub_co_i32 s4, 0, s12
	v_mov_b32_e32 v13, v6
	s_delay_alu instid0(VALU_DEP_2) | instskip(SKIP_1) | instid1(TRANS32_DEP_1)
	v_rcp_iflag_f32_e32 v1, v1
	v_nop
	v_mul_f32_e32 v1, 0x4f7ffffe, v1
	s_delay_alu instid0(VALU_DEP_1) | instskip(NEXT) | instid1(VALU_DEP_1)
	v_cvt_u32_f32_e32 v1, v1
	v_mul_lo_u32 v3, s4, v1
	s_delay_alu instid0(VALU_DEP_1) | instskip(NEXT) | instid1(VALU_DEP_1)
	v_mul_hi_u32 v3, v1, v3
	v_add_nc_u32_e32 v1, v1, v3
	s_delay_alu instid0(VALU_DEP_1) | instskip(NEXT) | instid1(VALU_DEP_1)
	v_mul_hi_u32 v1, v10, v1
	v_mul_lo_u32 v3, v1, s12
	s_delay_alu instid0(VALU_DEP_1) | instskip(NEXT) | instid1(VALU_DEP_1)
	v_dual_add_nc_u32 v7, 1, v1 :: v_dual_sub_nc_u32 v3, v10, v3
	v_subrev_nc_u32_e32 v9, s12, v3
	v_cmp_le_u32_e32 vcc_lo, s12, v3
	s_delay_alu instid0(VALU_DEP_2) | instskip(NEXT) | instid1(VALU_DEP_1)
	v_dual_cndmask_b32 v3, v3, v9, vcc_lo :: v_dual_cndmask_b32 v1, v1, v7, vcc_lo
	v_cmp_le_u32_e32 vcc_lo, s12, v3
	s_delay_alu instid0(VALU_DEP_2) | instskip(NEXT) | instid1(VALU_DEP_1)
	v_add_nc_u32_e32 v7, 1, v1
	v_cndmask_b32_e32 v12, v1, v7, vcc_lo
	s_branch .LBB119_2757
.LBB119_2762:
	s_or_b32 exec_lo, exec_lo, s6
	s_and_saveexec_b32 s4, s45
	s_cbranch_execnz .LBB119_2815
.LBB119_2763:
	s_or_b32 exec_lo, exec_lo, s4
	s_and_saveexec_b32 s4, s9
	s_delay_alu instid0(SALU_CYCLE_1)
	s_xor_b32 s4, exec_lo, s4
	s_cbranch_execz .LBB119_2816
.LBB119_2764:
	v_mov_b32_e32 v2, 0
	s_wait_loadcnt 0x0
	global_store_b8 v[0:1], v2, off
	s_wait_xcnt 0x0
	s_or_b32 exec_lo, exec_lo, s4
	s_and_saveexec_b32 s4, s7
	s_delay_alu instid0(SALU_CYCLE_1)
	s_xor_b32 s4, exec_lo, s4
	s_cbranch_execz .LBB119_2854
	s_branch .LBB119_2817
.LBB119_2765:
	s_mov_b32 s6, s68
	s_mov_b32 s0, exec_lo
	s_wait_loadcnt 0x0
	v_cmpx_gt_i32_e64 v8, v0
	s_cbranch_execz .LBB119_2772
; %bb.2766:
	s_delay_alu instid0(VALU_DEP_2) | instskip(SKIP_4) | instid1(VALU_DEP_2)
	v_lshlrev_b64_e32 v[4:5], 2, v[4:5]
	v_ashrrev_i32_e32 v1, 31, v0
	v_ashrrev_i32_e32 v9, 31, v8
	s_mov_b32 s6, 0
	s_xor_b32 s8, s76, -1
                                        ; implicit-def: $sgpr7
                                        ; implicit-def: $sgpr10
                                        ; implicit-def: $sgpr9
	v_lshl_add_u64 v[0:1], v[0:1], 2, v[4:5]
	v_add_nc_u64_e32 v[4:5], s[42:43], v[4:5]
	s_delay_alu instid0(VALU_DEP_2) | instskip(NEXT) | instid1(VALU_DEP_2)
	v_add_nc_u64_e32 v[0:1], s[42:43], v[0:1]
	v_lshl_add_u64 v[4:5], v[8:9], 2, v[4:5]
	s_delay_alu instid0(VALU_DEP_2)
	v_add_nc_u64_e32 v[0:1], 4, v[0:1]
	s_branch .LBB119_2768
.LBB119_2767:                           ;   in Loop: Header=BB119_2768 Depth=1
	s_or_b32 exec_lo, exec_lo, s11
	s_xor_b32 s4, s9, -1
	s_and_b32 s5, exec_lo, s10
	s_delay_alu instid0(SALU_CYCLE_1) | instskip(SKIP_2) | instid1(SALU_CYCLE_1)
	s_or_b32 s6, s5, s6
	s_and_not1_b32 s5, s7, exec_lo
	s_and_b32 s4, s4, exec_lo
	s_or_b32 s7, s5, s4
	s_and_not1_b32 exec_lo, exec_lo, s6
	s_cbranch_execz .LBB119_2771
.LBB119_2768:                           ; =>This Inner Loop Header: Depth=1
	s_or_b32 s9, s9, exec_lo
	s_or_b32 s10, s10, exec_lo
	s_mov_b32 s11, exec_lo
	s_delay_alu instid0(VALU_DEP_1)
	v_cmpx_lt_u64_e64 v[0:1], v[4:5]
	s_cbranch_execz .LBB119_2767
; %bb.2769:                             ;   in Loop: Header=BB119_2768 Depth=1
	global_load_b64 v[6:7], v[0:1], off offset:-4
	s_wait_xcnt 0x0
	v_add_nc_u64_e32 v[0:1], 4, v[0:1]
	s_and_not1_b32 s5, s10, exec_lo
	s_and_not1_b32 s9, s9, exec_lo
	s_wait_loadcnt 0x0
	v_cmp_ge_i32_e32 vcc_lo, v6, v7
	s_or_b32 s4, s8, vcc_lo
	s_delay_alu instid0(SALU_CYCLE_1) | instskip(NEXT) | instid1(SALU_CYCLE_1)
	s_and_b32 s4, s4, exec_lo
	s_or_b32 s10, s5, s4
	s_branch .LBB119_2767
.LBB119_2770:
	s_mov_b32 s8, 0
	s_mov_b32 s7, -1
	s_mov_b32 s4, s45
	s_branch .LBB119_2814
.LBB119_2771:
	s_or_b32 exec_lo, exec_lo, s6
	s_delay_alu instid0(SALU_CYCLE_1) | instskip(SKIP_1) | instid1(SALU_CYCLE_1)
	s_and_not1_b32 s4, s68, exec_lo
	s_and_b32 s5, s7, exec_lo
	s_or_b32 s6, s4, s5
.LBB119_2772:
	s_or_b32 exec_lo, exec_lo, s0
	s_delay_alu instid0(SALU_CYCLE_1)
	s_and_not1_b32 s0, s68, exec_lo
	s_and_b32 s4, s6, exec_lo
	s_mov_b32 s8, exec_lo
	s_or_b32 s68, s0, s4
	s_or_b32 exec_lo, exec_lo, s20
	s_and_saveexec_b32 s0, s68
	s_cbranch_execz .LBB119_2745
.LBB119_2773:
	s_or_b32 s1, s1, exec_lo
	s_and_not1_b32 s8, s8, exec_lo
	s_trap 2
	s_branch .LBB119_2745
.LBB119_2774:
	s_or_b32 s1, s1, exec_lo
	s_and_not1_b32 s0, s0, exec_lo
	s_trap 2
	s_branch .LBB119_2738
.LBB119_2775:
	s_or_b32 s1, s1, exec_lo
	s_and_not1_b32 s7, s7, exec_lo
	s_trap 2
	s_branch .LBB119_2741
.LBB119_2776:
	s_mov_b32 s7, 0
.LBB119_2777:
	s_delay_alu instid0(SALU_CYCLE_1)
	s_and_b32 vcc_lo, exec_lo, s7
	s_cbranch_vccz .LBB119_2780
; %bb.2778:
	s_cmp_eq_u32 s5, 44
	s_mov_b32 s4, -1
	s_cbranch_scc0 .LBB119_2780
; %bb.2779:
	s_wait_xcnt 0x0
	v_mov_b32_e32 v2, 0
	s_mov_b32 s4, 0
	s_mov_b32 s7, 0
	global_store_b8 v[0:1], v2, off
	s_branch .LBB119_2781
.LBB119_2780:
	s_mov_b32 s7, 0
.LBB119_2781:
	s_delay_alu instid0(SALU_CYCLE_1)
	s_and_b32 vcc_lo, exec_lo, s7
	s_cbranch_vccz .LBB119_2784
; %bb.2782:
	s_cmp_eq_u32 s5, 29
	s_mov_b32 s4, -1
	s_cbranch_scc0 .LBB119_2784
; %bb.2783:
	s_wait_xcnt 0x0
	v_mov_b64_e32 v[2:3], 0
	s_mov_b32 s4, 0
	s_mov_b32 s7, 0
	global_store_b64 v[0:1], v[2:3], off
	s_branch .LBB119_2785
.LBB119_2784:
	s_mov_b32 s7, 0
.LBB119_2785:
	s_delay_alu instid0(SALU_CYCLE_1)
	s_and_b32 vcc_lo, exec_lo, s7
	s_cbranch_vccz .LBB119_2794
; %bb.2786:
	s_cmp_lt_i32 s5, 27
	s_mov_b32 s7, -1
	s_cbranch_scc1 .LBB119_2792
; %bb.2787:
	s_cmp_gt_i32 s5, 27
	s_cbranch_scc0 .LBB119_2789
; %bb.2788:
	s_wait_xcnt 0x0
	v_mov_b32_e32 v2, 0
	s_mov_b32 s7, 0
	global_store_b32 v[0:1], v2, off
.LBB119_2789:
	s_and_not1_b32 vcc_lo, exec_lo, s7
	s_cbranch_vccnz .LBB119_2791
; %bb.2790:
	s_wait_xcnt 0x0
	v_mov_b32_e32 v2, 0
	global_store_b16 v[0:1], v2, off
.LBB119_2791:
	s_mov_b32 s7, 0
.LBB119_2792:
	s_delay_alu instid0(SALU_CYCLE_1)
	s_and_not1_b32 vcc_lo, exec_lo, s7
	s_cbranch_vccnz .LBB119_2794
; %bb.2793:
	s_wait_xcnt 0x0
	v_mov_b32_e32 v2, 0
	global_store_b8 v[0:1], v2, off
.LBB119_2794:
	s_mov_b32 s7, 0
.LBB119_2795:
	s_delay_alu instid0(SALU_CYCLE_1)
	s_and_b32 vcc_lo, exec_lo, s7
	s_mov_b32 s7, 0
	s_cbranch_vccz .LBB119_2813
; %bb.2796:
	s_cmp_gt_i32 s5, 22
	s_mov_b32 s8, -1
	s_cbranch_scc0 .LBB119_2806
; %bb.2797:
	s_cmp_lt_i32 s5, 24
	s_cbranch_scc1 .LBB119_2803
; %bb.2798:
	s_cmp_gt_i32 s5, 24
	s_cbranch_scc0 .LBB119_2800
; %bb.2799:
	s_wait_xcnt 0x0
	v_mov_b32_e32 v2, 0
	s_mov_b32 s8, 0
	global_store_b8 v[0:1], v2, off
.LBB119_2800:
	s_and_not1_b32 vcc_lo, exec_lo, s8
	s_cbranch_vccnz .LBB119_2802
; %bb.2801:
	s_wait_xcnt 0x0
	v_mov_b32_e32 v2, 0
	global_store_b8 v[0:1], v2, off
.LBB119_2802:
	s_mov_b32 s8, 0
.LBB119_2803:
	s_delay_alu instid0(SALU_CYCLE_1)
	s_and_not1_b32 vcc_lo, exec_lo, s8
	s_cbranch_vccnz .LBB119_2805
; %bb.2804:
	s_wait_xcnt 0x0
	v_mov_b32_e32 v2, 0
	global_store_b8 v[0:1], v2, off
.LBB119_2805:
	s_mov_b32 s8, 0
.LBB119_2806:
	s_delay_alu instid0(SALU_CYCLE_1)
	s_and_not1_b32 vcc_lo, exec_lo, s8
	s_mov_b32 s8, 0
	s_cbranch_vccnz .LBB119_2814
; %bb.2807:
	s_cmp_gt_i32 s5, 14
	s_mov_b32 s8, -1
	s_cbranch_scc0 .LBB119_2811
; %bb.2808:
	s_cmp_eq_u32 s5, 15
	s_mov_b32 s4, -1
	s_cbranch_scc0 .LBB119_2810
; %bb.2809:
	s_wait_xcnt 0x0
	v_mov_b32_e32 v2, 0
	s_mov_b32 s4, 0
	global_store_b16 v[0:1], v2, off
.LBB119_2810:
	s_mov_b32 s8, 0
.LBB119_2811:
	s_delay_alu instid0(SALU_CYCLE_1)
	s_and_b32 vcc_lo, exec_lo, s8
	s_mov_b32 s8, 0
	s_cbranch_vccz .LBB119_2814
; %bb.2812:
	s_cmp_lg_u32 s5, 11
	s_mov_b32 s8, -1
	s_cselect_b32 s5, -1, 0
	s_and_not1_b32 s4, s4, exec_lo
	s_and_b32 s5, s5, exec_lo
	s_delay_alu instid0(SALU_CYCLE_1)
	s_or_b32 s4, s4, s5
	s_branch .LBB119_2814
.LBB119_2813:
	s_mov_b32 s8, 0
.LBB119_2814:
	s_and_not1_b32 s5, s45, exec_lo
	s_and_b32 s4, s4, exec_lo
	s_and_b32 s7, s7, exec_lo
	;; [unrolled: 1-line block ×3, first 2 shown]
	s_or_b32 s45, s5, s4
	s_wait_xcnt 0x0
	s_or_b32 exec_lo, exec_lo, s6
	s_and_saveexec_b32 s4, s45
	s_cbranch_execz .LBB119_2763
.LBB119_2815:
	s_or_b32 s1, s1, exec_lo
	s_and_not1_b32 s9, s9, exec_lo
	s_trap 2
	s_or_b32 exec_lo, exec_lo, s4
	s_and_saveexec_b32 s4, s9
	s_delay_alu instid0(SALU_CYCLE_1)
	s_xor_b32 s4, exec_lo, s4
	s_cbranch_execnz .LBB119_2764
.LBB119_2816:
	s_or_b32 exec_lo, exec_lo, s4
	s_and_saveexec_b32 s4, s7
	s_delay_alu instid0(SALU_CYCLE_1)
	s_xor_b32 s4, exec_lo, s4
	s_cbranch_execz .LBB119_2854
.LBB119_2817:
	s_sext_i32_i16 s6, s0
	s_mov_b32 s5, -1
	s_cmp_lt_i32 s6, 5
	s_cbranch_scc1 .LBB119_2838
; %bb.2818:
	s_cmp_lt_i32 s6, 8
	s_cbranch_scc1 .LBB119_2828
; %bb.2819:
	;; [unrolled: 3-line block ×3, first 2 shown]
	s_cmp_gt_i32 s6, 9
	s_cbranch_scc0 .LBB119_2822
; %bb.2821:
	v_mov_b32_e32 v2, 0
	s_mov_b32 s5, 0
	s_wait_loadcnt 0x0
	s_delay_alu instid0(VALU_DEP_1)
	v_dual_mov_b32 v3, v2 :: v_dual_mov_b32 v4, v2
	v_mov_b32_e32 v5, v2
	global_store_b128 v[0:1], v[2:5], off
.LBB119_2822:
	s_and_not1_b32 vcc_lo, exec_lo, s5
	s_cbranch_vccnz .LBB119_2824
; %bb.2823:
	s_wait_loadcnt 0x0
	v_mov_b64_e32 v[2:3], 0
	global_store_b64 v[0:1], v[2:3], off
.LBB119_2824:
	s_mov_b32 s5, 0
.LBB119_2825:
	s_delay_alu instid0(SALU_CYCLE_1)
	s_and_not1_b32 vcc_lo, exec_lo, s5
	s_cbranch_vccnz .LBB119_2827
; %bb.2826:
	s_wait_xcnt 0x0
	v_mov_b32_e32 v2, 0
	s_wait_loadcnt 0x0
	global_store_b32 v[0:1], v2, off
.LBB119_2827:
	s_mov_b32 s5, 0
.LBB119_2828:
	s_delay_alu instid0(SALU_CYCLE_1)
	s_and_not1_b32 vcc_lo, exec_lo, s5
	s_cbranch_vccnz .LBB119_2837
; %bb.2829:
	s_sext_i32_i16 s6, s0
	s_mov_b32 s5, -1
	s_cmp_lt_i32 s6, 6
	s_cbranch_scc1 .LBB119_2835
; %bb.2830:
	s_cmp_gt_i32 s6, 6
	s_cbranch_scc0 .LBB119_2832
; %bb.2831:
	s_wait_loadcnt 0x0
	v_mov_b64_e32 v[2:3], 0
	s_mov_b32 s5, 0
	global_store_b64 v[0:1], v[2:3], off
.LBB119_2832:
	s_and_not1_b32 vcc_lo, exec_lo, s5
	s_cbranch_vccnz .LBB119_2834
; %bb.2833:
	s_wait_xcnt 0x0
	v_mov_b32_e32 v2, 0
	s_wait_loadcnt 0x0
	global_store_b32 v[0:1], v2, off
.LBB119_2834:
	s_mov_b32 s5, 0
.LBB119_2835:
	s_delay_alu instid0(SALU_CYCLE_1)
	s_and_not1_b32 vcc_lo, exec_lo, s5
	s_cbranch_vccnz .LBB119_2837
; %bb.2836:
	s_wait_xcnt 0x0
	v_mov_b32_e32 v2, 0
	s_wait_loadcnt 0x0
	global_store_b16 v[0:1], v2, off
.LBB119_2837:
	s_mov_b32 s5, 0
.LBB119_2838:
	s_delay_alu instid0(SALU_CYCLE_1)
	s_and_not1_b32 vcc_lo, exec_lo, s5
	s_cbranch_vccnz .LBB119_2854
; %bb.2839:
	s_sext_i32_i16 s6, s0
	s_mov_b32 s5, -1
	s_cmp_lt_i32 s6, 2
	s_cbranch_scc1 .LBB119_2849
; %bb.2840:
	s_cmp_lt_i32 s6, 3
	s_cbranch_scc1 .LBB119_2846
; %bb.2841:
	s_cmp_gt_i32 s6, 3
	s_cbranch_scc0 .LBB119_2843
; %bb.2842:
	s_wait_loadcnt 0x0
	v_mov_b64_e32 v[2:3], 0
	s_mov_b32 s5, 0
	global_store_b64 v[0:1], v[2:3], off
.LBB119_2843:
	s_and_not1_b32 vcc_lo, exec_lo, s5
	s_cbranch_vccnz .LBB119_2845
; %bb.2844:
	s_wait_xcnt 0x0
	v_mov_b32_e32 v2, 0
	s_wait_loadcnt 0x0
	global_store_b32 v[0:1], v2, off
.LBB119_2845:
	s_mov_b32 s5, 0
.LBB119_2846:
	s_delay_alu instid0(SALU_CYCLE_1)
	s_and_not1_b32 vcc_lo, exec_lo, s5
	s_cbranch_vccnz .LBB119_2848
; %bb.2847:
	s_wait_xcnt 0x0
	v_mov_b32_e32 v2, 0
	s_wait_loadcnt 0x0
	global_store_b16 v[0:1], v2, off
.LBB119_2848:
	s_mov_b32 s5, 0
.LBB119_2849:
	s_delay_alu instid0(SALU_CYCLE_1)
	s_and_not1_b32 vcc_lo, exec_lo, s5
	s_cbranch_vccnz .LBB119_2854
; %bb.2850:
	s_sext_i32_i16 s0, s0
	s_delay_alu instid0(SALU_CYCLE_1)
	s_cmp_gt_i32 s0, 0
	s_mov_b32 s0, -1
	s_cbranch_scc0 .LBB119_2852
; %bb.2851:
	s_wait_xcnt 0x0
	v_mov_b32_e32 v2, 0
	s_mov_b32 s0, 0
	s_wait_loadcnt 0x0
	global_store_b8 v[0:1], v2, off
.LBB119_2852:
	s_and_not1_b32 vcc_lo, exec_lo, s0
	s_cbranch_vccnz .LBB119_2854
; %bb.2853:
	s_wait_xcnt 0x0
	v_mov_b32_e32 v2, 0
	s_wait_loadcnt 0x0
	global_store_b8 v[0:1], v2, off
.LBB119_2854:
	s_wait_xcnt 0x0
	s_or_b32 exec_lo, exec_lo, s4
	s_delay_alu instid0(SALU_CYCLE_1)
	s_and_b32 s38, s1, exec_lo
                                        ; implicit-def: $vgpr1
                                        ; implicit-def: $vgpr0
.LBB119_2855:
	s_or_saveexec_b32 s39, s73
	s_mov_b32 s4, 0
                                        ; implicit-def: $vgpr38_vgpr39
                                        ; implicit-def: $sgpr0
	s_xor_b32 exec_lo, exec_lo, s39
	s_cbranch_execz .LBB119_3532
; %bb.2856:
	s_wait_loadcnt 0x0
	v_cndmask_b32_e64 v3, 0, 1, s72
	s_and_not1_b32 vcc_lo, exec_lo, s72
	s_cbranch_vccnz .LBB119_2862
; %bb.2857:
	s_cmp_lg_u32 s33, 0
	s_mov_b32 s6, 0
	s_cbranch_scc0 .LBB119_2866
; %bb.2858:
	s_min_u32 s7, s70, 15
	v_dual_mov_b32 v40, 0 :: v_dual_mov_b32 v2, v0
	v_dual_mov_b32 v38, 0 :: v_dual_mov_b32 v44, 0
	;; [unrolled: 1-line block ×3, first 2 shown]
	v_mov_b32_e32 v46, 0
	s_add_co_i32 s4, s7, 1
	s_mov_b64 s[0:1], 0xffffffffffffffd0
	s_and_b32 s8, s4, 30
	s_add_nc_u64 s[0:1], s[2:3], s[0:1]
	s_mov_b64 s[4:5], s[2:3]
.LBB119_2859:                           ; =>This Inner Loop Header: Depth=1
	s_clause 0x1
	s_load_b128 s[20:23], s[4:5], 0x4
	s_load_b64 s[10:11], s[4:5], 0x14
	s_clause 0x1
	s_load_b256 s[12:19], s[0:1], 0xf4
	s_load_b128 s[24:27], s[0:1], 0x114
	s_add_co_i32 s8, s8, -2
	s_wait_xcnt 0x0
	s_add_nc_u64 s[4:5], s[4:5], 24
	s_cmp_lg_u32 s8, 0
	s_add_nc_u64 s[0:1], s[0:1], 48
	s_wait_kmcnt 0x0
	v_mul_hi_u32 v4, s21, v2
	s_delay_alu instid0(VALU_DEP_1) | instskip(NEXT) | instid1(VALU_DEP_1)
	v_add_nc_u32_e32 v4, v2, v4
	v_lshrrev_b32_e32 v4, s22, v4
	s_delay_alu instid0(VALU_DEP_1) | instskip(SKIP_1) | instid1(VALU_DEP_1)
	v_mul_hi_u32 v5, s10, v4
	v_mul_lo_u32 v7, v4, s20
	v_dual_add_nc_u32 v5, v4, v5 :: v_dual_sub_nc_u32 v7, v2, v7
	s_delay_alu instid0(VALU_DEP_1) | instskip(NEXT) | instid1(VALU_DEP_2)
	v_lshrrev_b32_e32 v2, s11, v5
	v_mad_u32 v5, v7, s13, v46
	v_mad_u32 v6, v7, s12, v6
	v_mad_u32 v9, v7, s15, v42
	v_mad_u32 v10, v7, s14, v44
	v_mul_lo_u32 v8, v2, s23
	v_mad_u32 v11, s17, v7, v38
	v_mad_u32 v7, s16, v7, v40
	s_delay_alu instid0(VALU_DEP_3) | instskip(NEXT) | instid1(VALU_DEP_1)
	v_sub_nc_u32_e32 v4, v4, v8
	v_mad_u32 v46, v4, s19, v5
	v_mad_u32 v6, v4, s18, v6
	;; [unrolled: 1-line block ×6, first 2 shown]
	s_cbranch_scc1 .LBB119_2859
; %bb.2860:
	s_bitcmp1_b32 s7, 0
	s_cselect_b32 s7, -1, 0
	s_delay_alu instid0(SALU_CYCLE_1)
	s_and_b32 vcc_lo, exec_lo, s7
	s_cbranch_vccnz .LBB119_2863
; %bb.2861:
	s_load_b96 s[12:14], s[4:5], 0x4
	s_load_b128 s[8:11], s[0:1], 0xf4
	s_wait_xcnt 0x0
	s_load_b64 s[4:5], s[0:1], 0x104
	s_wait_kmcnt 0x0
	v_mul_hi_u32 v4, s13, v2
	s_delay_alu instid0(VALU_DEP_1) | instskip(NEXT) | instid1(VALU_DEP_1)
	v_add_nc_u32_e32 v4, v2, v4
	v_lshrrev_b32_e32 v4, s14, v4
	s_delay_alu instid0(VALU_DEP_1) | instskip(NEXT) | instid1(VALU_DEP_1)
	v_mul_lo_u32 v4, v4, s12
	v_sub_nc_u32_e32 v2, v2, v4
	s_delay_alu instid0(VALU_DEP_1)
	v_mad_u32 v6, v2, s8, v6
	v_mad_u32 v46, v2, s9, v46
	;; [unrolled: 1-line block ×6, first 2 shown]
	s_and_not1_b32 vcc_lo, exec_lo, s6
	s_cbranch_vccz .LBB119_2864
	s_branch .LBB119_2867
.LBB119_2862:
	s_mov_b32 s6, -1
                                        ; implicit-def: $vgpr46
                                        ; implicit-def: $vgpr6
                                        ; implicit-def: $vgpr42
                                        ; implicit-def: $vgpr44
                                        ; implicit-def: $vgpr38
                                        ; implicit-def: $vgpr40
.LBB119_2863:
	s_delay_alu instid0(SALU_CYCLE_1)
	s_and_not1_b32 vcc_lo, exec_lo, s6
	s_cbranch_vccnz .LBB119_2867
.LBB119_2864:
	s_clause 0x2
	s_load_b96 s[8:10], s[2:3], 0x4
	s_load_b128 s[4:7], s[2:3], 0xc4
	s_load_b64 s[0:1], s[2:3], 0xd4
	s_cmp_lt_u32 s33, 2
	s_wait_kmcnt 0x0
	v_mul_hi_u32 v2, s9, v0
	s_delay_alu instid0(VALU_DEP_1) | instskip(NEXT) | instid1(VALU_DEP_1)
	v_add_nc_u32_e32 v2, v0, v2
	v_lshrrev_b32_e32 v2, s10, v2
	s_delay_alu instid0(VALU_DEP_1) | instskip(NEXT) | instid1(VALU_DEP_1)
	v_mul_lo_u32 v4, v2, s8
	v_sub_nc_u32_e32 v4, v0, v4
	s_delay_alu instid0(VALU_DEP_1)
	v_mul_lo_u32 v46, v4, s5
	v_mul_lo_u32 v6, v4, s4
	;; [unrolled: 1-line block ×6, first 2 shown]
	s_cbranch_scc1 .LBB119_2867
; %bb.2865:
	s_clause 0x2
	s_load_b96 s[8:10], s[2:3], 0x10
	s_load_b128 s[4:7], s[2:3], 0xdc
	s_load_b64 s[0:1], s[2:3], 0xec
	s_wait_kmcnt 0x0
	v_mul_hi_u32 v4, s9, v2
	s_delay_alu instid0(VALU_DEP_1) | instskip(NEXT) | instid1(VALU_DEP_1)
	v_add_nc_u32_e32 v4, v2, v4
	v_lshrrev_b32_e32 v4, s10, v4
	s_delay_alu instid0(VALU_DEP_1) | instskip(NEXT) | instid1(VALU_DEP_1)
	v_mul_lo_u32 v4, v4, s8
	v_sub_nc_u32_e32 v2, v2, v4
	s_delay_alu instid0(VALU_DEP_1)
	v_mad_u32 v6, v2, s4, v6
	v_mad_u32 v46, v2, s5, v46
	;; [unrolled: 1-line block ×6, first 2 shown]
	s_branch .LBB119_2867
.LBB119_2866:
	v_dual_mov_b32 v46, 0 :: v_dual_mov_b32 v6, 0
	v_dual_mov_b32 v42, 0 :: v_dual_mov_b32 v44, 0
	;; [unrolled: 1-line block ×3, first 2 shown]
	s_and_not1_b32 vcc_lo, exec_lo, s6
	s_cbranch_vccz .LBB119_2864
.LBB119_2867:
	v_cmp_ne_u32_e32 vcc_lo, 1, v3
	v_add_nc_u32_e32 v2, 0x80, v0
	s_cbranch_vccnz .LBB119_2873
; %bb.2868:
	s_cmp_lg_u32 s33, 0
	s_mov_b32 s6, 0
	s_cbranch_scc0 .LBB119_2877
; %bb.2869:
	s_min_u32 s7, s70, 15
	v_dual_mov_b32 v30, 0 :: v_dual_mov_b32 v5, v2
	v_dual_mov_b32 v28, 0 :: v_dual_mov_b32 v34, 0
	;; [unrolled: 1-line block ×3, first 2 shown]
	v_mov_b32_e32 v36, 0
	s_add_co_i32 s4, s7, 1
	s_mov_b64 s[0:1], 0xffffffffffffffd0
	s_and_b32 s8, s4, 30
	s_add_nc_u64 s[0:1], s[2:3], s[0:1]
	s_mov_b64 s[4:5], s[2:3]
.LBB119_2870:                           ; =>This Inner Loop Header: Depth=1
	s_clause 0x1
	s_load_b128 s[20:23], s[4:5], 0x4
	s_load_b64 s[10:11], s[4:5], 0x14
	s_clause 0x1
	s_load_b256 s[12:19], s[0:1], 0xf4
	s_load_b128 s[24:27], s[0:1], 0x114
	s_add_co_i32 s8, s8, -2
	s_wait_xcnt 0x0
	s_add_nc_u64 s[4:5], s[4:5], 24
	s_cmp_lg_u32 s8, 0
	s_add_nc_u64 s[0:1], s[0:1], 48
	s_wait_kmcnt 0x0
	v_mul_hi_u32 v7, s21, v5
	s_delay_alu instid0(VALU_DEP_1) | instskip(NEXT) | instid1(VALU_DEP_1)
	v_add_nc_u32_e32 v7, v5, v7
	v_lshrrev_b32_e32 v7, s22, v7
	s_delay_alu instid0(VALU_DEP_1) | instskip(SKIP_1) | instid1(VALU_DEP_1)
	v_mul_hi_u32 v8, s10, v7
	v_mul_lo_u32 v9, v7, s20
	v_dual_add_nc_u32 v8, v7, v8 :: v_dual_sub_nc_u32 v9, v5, v9
	s_delay_alu instid0(VALU_DEP_1) | instskip(NEXT) | instid1(VALU_DEP_2)
	v_lshrrev_b32_e32 v5, s11, v8
	v_mad_u32 v8, v9, s13, v36
	v_mad_u32 v4, v9, s12, v4
	;; [unrolled: 1-line block ×4, first 2 shown]
	v_mul_lo_u32 v10, v5, s23
	v_mad_u32 v13, s17, v9, v28
	v_mad_u32 v9, s16, v9, v30
	s_delay_alu instid0(VALU_DEP_3) | instskip(NEXT) | instid1(VALU_DEP_1)
	v_sub_nc_u32_e32 v7, v7, v10
	v_mad_u32 v36, v7, s19, v8
	v_mad_u32 v4, v7, s18, v4
	;; [unrolled: 1-line block ×6, first 2 shown]
	s_cbranch_scc1 .LBB119_2870
; %bb.2871:
	s_bitcmp1_b32 s7, 0
	s_cselect_b32 s7, -1, 0
	s_delay_alu instid0(SALU_CYCLE_1)
	s_and_b32 vcc_lo, exec_lo, s7
	s_cbranch_vccnz .LBB119_2874
; %bb.2872:
	s_load_b96 s[12:14], s[4:5], 0x4
	s_load_b128 s[8:11], s[0:1], 0xf4
	s_wait_xcnt 0x0
	s_load_b64 s[4:5], s[0:1], 0x104
	s_wait_kmcnt 0x0
	v_mul_hi_u32 v7, s13, v5
	s_delay_alu instid0(VALU_DEP_1) | instskip(NEXT) | instid1(VALU_DEP_1)
	v_add_nc_u32_e32 v7, v5, v7
	v_lshrrev_b32_e32 v7, s14, v7
	s_delay_alu instid0(VALU_DEP_1) | instskip(NEXT) | instid1(VALU_DEP_1)
	v_mul_lo_u32 v7, v7, s12
	v_sub_nc_u32_e32 v5, v5, v7
	s_delay_alu instid0(VALU_DEP_1)
	v_mad_u32 v4, v5, s8, v4
	v_mad_u32 v36, v5, s9, v36
	;; [unrolled: 1-line block ×6, first 2 shown]
	s_and_not1_b32 vcc_lo, exec_lo, s6
	s_cbranch_vccz .LBB119_2875
	s_branch .LBB119_2878
.LBB119_2873:
	s_mov_b32 s6, -1
                                        ; implicit-def: $vgpr36
                                        ; implicit-def: $vgpr4
                                        ; implicit-def: $vgpr32
                                        ; implicit-def: $vgpr34
                                        ; implicit-def: $vgpr28
                                        ; implicit-def: $vgpr30
.LBB119_2874:
	s_delay_alu instid0(SALU_CYCLE_1)
	s_and_not1_b32 vcc_lo, exec_lo, s6
	s_cbranch_vccnz .LBB119_2878
.LBB119_2875:
	s_clause 0x2
	s_load_b96 s[8:10], s[2:3], 0x4
	s_load_b128 s[4:7], s[2:3], 0xc4
	s_load_b64 s[0:1], s[2:3], 0xd4
	s_cmp_lt_u32 s33, 2
	s_wait_kmcnt 0x0
	v_mul_hi_u32 v4, s9, v2
	s_delay_alu instid0(VALU_DEP_1) | instskip(NEXT) | instid1(VALU_DEP_1)
	v_add_nc_u32_e32 v4, v2, v4
	v_lshrrev_b32_e32 v5, s10, v4
	s_delay_alu instid0(VALU_DEP_1) | instskip(NEXT) | instid1(VALU_DEP_1)
	v_mul_lo_u32 v4, v5, s8
	v_sub_nc_u32_e32 v2, v2, v4
	s_delay_alu instid0(VALU_DEP_1)
	v_mul_lo_u32 v36, v2, s5
	v_mul_lo_u32 v4, v2, s4
	;; [unrolled: 1-line block ×6, first 2 shown]
	s_cbranch_scc1 .LBB119_2878
; %bb.2876:
	s_clause 0x2
	s_load_b96 s[8:10], s[2:3], 0x10
	s_load_b128 s[4:7], s[2:3], 0xdc
	s_load_b64 s[0:1], s[2:3], 0xec
	s_wait_kmcnt 0x0
	v_mul_hi_u32 v2, s9, v5
	s_delay_alu instid0(VALU_DEP_1) | instskip(NEXT) | instid1(VALU_DEP_1)
	v_add_nc_u32_e32 v2, v5, v2
	v_lshrrev_b32_e32 v2, s10, v2
	s_delay_alu instid0(VALU_DEP_1) | instskip(NEXT) | instid1(VALU_DEP_1)
	v_mul_lo_u32 v2, v2, s8
	v_sub_nc_u32_e32 v2, v5, v2
	s_delay_alu instid0(VALU_DEP_1)
	v_mad_u32 v4, v2, s4, v4
	v_mad_u32 v36, v2, s5, v36
	;; [unrolled: 1-line block ×6, first 2 shown]
	s_branch .LBB119_2878
.LBB119_2877:
	v_dual_mov_b32 v36, 0 :: v_dual_mov_b32 v4, 0
	v_dual_mov_b32 v32, 0 :: v_dual_mov_b32 v34, 0
	;; [unrolled: 1-line block ×3, first 2 shown]
	s_and_not1_b32 vcc_lo, exec_lo, s6
	s_cbranch_vccz .LBB119_2875
.LBB119_2878:
	v_cmp_ne_u32_e32 vcc_lo, 1, v3
	v_add_nc_u32_e32 v0, 0x100, v0
	s_cbranch_vccnz .LBB119_2884
; %bb.2879:
	s_cmp_lg_u32 s33, 0
	s_mov_b32 s6, 0
	s_cbranch_scc0 .LBB119_2888
; %bb.2880:
	s_min_u32 s7, s70, 15
	v_dual_mov_b32 v20, 0 :: v_dual_mov_b32 v5, v0
	v_dual_mov_b32 v18, 0 :: v_dual_mov_b32 v24, 0
	v_dual_mov_b32 v22, 0 :: v_dual_mov_b32 v2, 0
	v_mov_b32_e32 v26, 0
	s_add_co_i32 s4, s7, 1
	s_mov_b64 s[0:1], 0xffffffffffffffd0
	s_and_b32 s8, s4, 30
	s_add_nc_u64 s[0:1], s[2:3], s[0:1]
	s_mov_b64 s[4:5], s[2:3]
.LBB119_2881:                           ; =>This Inner Loop Header: Depth=1
	s_clause 0x1
	s_load_b128 s[20:23], s[4:5], 0x4
	s_load_b64 s[10:11], s[4:5], 0x14
	s_clause 0x1
	s_load_b256 s[12:19], s[0:1], 0xf4
	s_load_b128 s[24:27], s[0:1], 0x114
	s_add_co_i32 s8, s8, -2
	s_wait_xcnt 0x0
	s_add_nc_u64 s[4:5], s[4:5], 24
	s_cmp_lg_u32 s8, 0
	s_add_nc_u64 s[0:1], s[0:1], 48
	s_wait_kmcnt 0x0
	v_mul_hi_u32 v7, s21, v5
	s_delay_alu instid0(VALU_DEP_1) | instskip(NEXT) | instid1(VALU_DEP_1)
	v_add_nc_u32_e32 v7, v5, v7
	v_lshrrev_b32_e32 v7, s22, v7
	s_delay_alu instid0(VALU_DEP_1) | instskip(SKIP_1) | instid1(VALU_DEP_1)
	v_mul_hi_u32 v8, s10, v7
	v_mul_lo_u32 v9, v7, s20
	v_dual_add_nc_u32 v8, v7, v8 :: v_dual_sub_nc_u32 v9, v5, v9
	s_delay_alu instid0(VALU_DEP_1) | instskip(NEXT) | instid1(VALU_DEP_2)
	v_lshrrev_b32_e32 v5, s11, v8
	v_mad_u32 v8, v9, s13, v26
	v_mad_u32 v2, v9, s12, v2
	;; [unrolled: 1-line block ×4, first 2 shown]
	v_mul_lo_u32 v10, v5, s23
	v_mad_u32 v13, s17, v9, v18
	v_mad_u32 v9, s16, v9, v20
	s_delay_alu instid0(VALU_DEP_3) | instskip(NEXT) | instid1(VALU_DEP_1)
	v_sub_nc_u32_e32 v7, v7, v10
	v_mad_u32 v26, v7, s19, v8
	v_mad_u32 v2, v7, s18, v2
	;; [unrolled: 1-line block ×6, first 2 shown]
	s_cbranch_scc1 .LBB119_2881
; %bb.2882:
	s_bitcmp1_b32 s7, 0
	s_cselect_b32 s7, -1, 0
	s_delay_alu instid0(SALU_CYCLE_1)
	s_and_b32 vcc_lo, exec_lo, s7
	s_cbranch_vccnz .LBB119_2885
; %bb.2883:
	s_load_b96 s[12:14], s[4:5], 0x4
	s_load_b128 s[8:11], s[0:1], 0xf4
	s_wait_xcnt 0x0
	s_load_b64 s[4:5], s[0:1], 0x104
	s_wait_kmcnt 0x0
	v_mul_hi_u32 v7, s13, v5
	s_delay_alu instid0(VALU_DEP_1) | instskip(NEXT) | instid1(VALU_DEP_1)
	v_add_nc_u32_e32 v7, v5, v7
	v_lshrrev_b32_e32 v7, s14, v7
	s_delay_alu instid0(VALU_DEP_1) | instskip(NEXT) | instid1(VALU_DEP_1)
	v_mul_lo_u32 v7, v7, s12
	v_sub_nc_u32_e32 v5, v5, v7
	s_delay_alu instid0(VALU_DEP_1)
	v_mad_u32 v2, v5, s8, v2
	v_mad_u32 v26, v5, s9, v26
	;; [unrolled: 1-line block ×6, first 2 shown]
	s_and_not1_b32 vcc_lo, exec_lo, s6
	s_cbranch_vccz .LBB119_2886
	s_branch .LBB119_2889
.LBB119_2884:
	s_mov_b32 s6, -1
                                        ; implicit-def: $vgpr26
                                        ; implicit-def: $vgpr2
                                        ; implicit-def: $vgpr22
                                        ; implicit-def: $vgpr24
                                        ; implicit-def: $vgpr18
                                        ; implicit-def: $vgpr20
.LBB119_2885:
	s_delay_alu instid0(SALU_CYCLE_1)
	s_and_not1_b32 vcc_lo, exec_lo, s6
	s_cbranch_vccnz .LBB119_2889
.LBB119_2886:
	s_clause 0x2
	s_load_b96 s[8:10], s[2:3], 0x4
	s_load_b128 s[4:7], s[2:3], 0xc4
	s_load_b64 s[0:1], s[2:3], 0xd4
	s_cmp_lt_u32 s33, 2
	s_wait_kmcnt 0x0
	v_mul_hi_u32 v2, s9, v0
	s_delay_alu instid0(VALU_DEP_1) | instskip(NEXT) | instid1(VALU_DEP_1)
	v_add_nc_u32_e32 v2, v0, v2
	v_lshrrev_b32_e32 v5, s10, v2
	s_delay_alu instid0(VALU_DEP_1) | instskip(NEXT) | instid1(VALU_DEP_1)
	v_mul_lo_u32 v2, v5, s8
	v_sub_nc_u32_e32 v0, v0, v2
	s_delay_alu instid0(VALU_DEP_1)
	v_mul_lo_u32 v26, v0, s5
	v_mul_lo_u32 v2, v0, s4
	;; [unrolled: 1-line block ×6, first 2 shown]
	s_cbranch_scc1 .LBB119_2889
; %bb.2887:
	s_clause 0x2
	s_load_b96 s[8:10], s[2:3], 0x10
	s_load_b128 s[4:7], s[2:3], 0xdc
	s_load_b64 s[0:1], s[2:3], 0xec
	s_wait_kmcnt 0x0
	v_mul_hi_u32 v0, s9, v5
	s_delay_alu instid0(VALU_DEP_1) | instskip(NEXT) | instid1(VALU_DEP_1)
	v_add_nc_u32_e32 v0, v5, v0
	v_lshrrev_b32_e32 v0, s10, v0
	s_delay_alu instid0(VALU_DEP_1) | instskip(NEXT) | instid1(VALU_DEP_1)
	v_mul_lo_u32 v0, v0, s8
	v_sub_nc_u32_e32 v0, v5, v0
	s_delay_alu instid0(VALU_DEP_1)
	v_mad_u32 v2, v0, s4, v2
	v_mad_u32 v26, v0, s5, v26
	;; [unrolled: 1-line block ×6, first 2 shown]
	s_branch .LBB119_2889
.LBB119_2888:
	v_dual_mov_b32 v26, 0 :: v_dual_mov_b32 v2, 0
	v_dual_mov_b32 v22, 0 :: v_dual_mov_b32 v24, 0
	;; [unrolled: 1-line block ×3, first 2 shown]
	s_and_not1_b32 vcc_lo, exec_lo, s6
	s_cbranch_vccz .LBB119_2886
.LBB119_2889:
	v_cmp_ne_u32_e32 vcc_lo, 1, v3
	s_cbranch_vccnz .LBB119_2895
; %bb.2890:
	s_cmp_lg_u32 s33, 0
	s_mov_b32 s6, 0
	s_cbranch_scc0 .LBB119_2899
; %bb.2891:
	s_min_u32 s7, s70, 15
	v_dual_mov_b32 v10, 0 :: v_dual_mov_b32 v3, v1
	v_dual_mov_b32 v8, 0 :: v_dual_mov_b32 v14, 0
	;; [unrolled: 1-line block ×3, first 2 shown]
	v_mov_b32_e32 v16, 0
	s_add_co_i32 s4, s7, 1
	s_mov_b64 s[0:1], 0xffffffffffffffd0
	s_and_b32 s8, s4, 30
	s_add_nc_u64 s[0:1], s[2:3], s[0:1]
	s_mov_b64 s[4:5], s[2:3]
.LBB119_2892:                           ; =>This Inner Loop Header: Depth=1
	s_clause 0x1
	s_load_b128 s[20:23], s[4:5], 0x4
	s_load_b64 s[10:11], s[4:5], 0x14
	s_clause 0x1
	s_load_b256 s[12:19], s[0:1], 0xf4
	s_load_b128 s[24:27], s[0:1], 0x114
	s_add_co_i32 s8, s8, -2
	s_wait_xcnt 0x0
	s_add_nc_u64 s[4:5], s[4:5], 24
	s_cmp_lg_u32 s8, 0
	s_add_nc_u64 s[0:1], s[0:1], 48
	s_wait_kmcnt 0x0
	v_mul_hi_u32 v5, s21, v3
	s_delay_alu instid0(VALU_DEP_1) | instskip(NEXT) | instid1(VALU_DEP_1)
	v_add_nc_u32_e32 v5, v3, v5
	v_lshrrev_b32_e32 v5, s22, v5
	s_delay_alu instid0(VALU_DEP_1) | instskip(SKIP_1) | instid1(VALU_DEP_1)
	v_mul_hi_u32 v7, s10, v5
	v_mul_lo_u32 v9, v5, s20
	v_dual_add_nc_u32 v7, v5, v7 :: v_dual_sub_nc_u32 v9, v3, v9
	s_delay_alu instid0(VALU_DEP_1) | instskip(NEXT) | instid1(VALU_DEP_2)
	v_lshrrev_b32_e32 v3, s11, v7
	v_mad_u32 v7, v9, s13, v16
	v_mad_u32 v0, v9, s12, v0
	;; [unrolled: 1-line block ×4, first 2 shown]
	v_mul_lo_u32 v11, v3, s23
	v_mad_u32 v8, s17, v9, v8
	v_mad_u32 v9, s16, v9, v10
	s_delay_alu instid0(VALU_DEP_3) | instskip(NEXT) | instid1(VALU_DEP_1)
	v_sub_nc_u32_e32 v5, v5, v11
	v_mad_u32 v16, v5, s19, v7
	v_mad_u32 v0, v5, s18, v0
	;; [unrolled: 1-line block ×6, first 2 shown]
	s_cbranch_scc1 .LBB119_2892
; %bb.2893:
	s_bitcmp1_b32 s7, 0
	s_cselect_b32 s7, -1, 0
	s_delay_alu instid0(SALU_CYCLE_1)
	s_and_b32 vcc_lo, exec_lo, s7
	s_cbranch_vccnz .LBB119_2896
; %bb.2894:
	s_load_b96 s[12:14], s[4:5], 0x4
	s_load_b128 s[8:11], s[0:1], 0xf4
	s_wait_xcnt 0x0
	s_load_b64 s[4:5], s[0:1], 0x104
	s_wait_kmcnt 0x0
	v_mul_hi_u32 v5, s13, v3
	s_delay_alu instid0(VALU_DEP_1) | instskip(NEXT) | instid1(VALU_DEP_1)
	v_add_nc_u32_e32 v5, v3, v5
	v_lshrrev_b32_e32 v5, s14, v5
	s_delay_alu instid0(VALU_DEP_1) | instskip(NEXT) | instid1(VALU_DEP_1)
	v_mul_lo_u32 v5, v5, s12
	v_sub_nc_u32_e32 v3, v3, v5
	s_delay_alu instid0(VALU_DEP_1)
	v_mad_u32 v0, v3, s8, v0
	v_mad_u32 v16, v3, s9, v16
	;; [unrolled: 1-line block ×6, first 2 shown]
	s_and_not1_b32 vcc_lo, exec_lo, s6
	s_cbranch_vccz .LBB119_2897
	s_branch .LBB119_2900
.LBB119_2895:
	s_mov_b32 s6, -1
                                        ; implicit-def: $vgpr16
                                        ; implicit-def: $vgpr0
                                        ; implicit-def: $vgpr12
                                        ; implicit-def: $vgpr14
                                        ; implicit-def: $vgpr8
                                        ; implicit-def: $vgpr10
.LBB119_2896:
	s_delay_alu instid0(SALU_CYCLE_1)
	s_and_not1_b32 vcc_lo, exec_lo, s6
	s_cbranch_vccnz .LBB119_2900
.LBB119_2897:
	s_clause 0x2
	s_load_b96 s[8:10], s[2:3], 0x4
	s_load_b128 s[4:7], s[2:3], 0xc4
	s_load_b64 s[0:1], s[2:3], 0xd4
	s_cmp_lt_u32 s33, 2
	s_wait_kmcnt 0x0
	v_mul_hi_u32 v0, s9, v1
	s_delay_alu instid0(VALU_DEP_1) | instskip(NEXT) | instid1(VALU_DEP_1)
	v_add_nc_u32_e32 v0, v1, v0
	v_lshrrev_b32_e32 v3, s10, v0
	s_delay_alu instid0(VALU_DEP_1) | instskip(NEXT) | instid1(VALU_DEP_1)
	v_mul_lo_u32 v0, v3, s8
	v_sub_nc_u32_e32 v1, v1, v0
	s_delay_alu instid0(VALU_DEP_1)
	v_mul_lo_u32 v16, v1, s5
	v_mul_lo_u32 v0, v1, s4
	;; [unrolled: 1-line block ×6, first 2 shown]
	s_cbranch_scc1 .LBB119_2900
; %bb.2898:
	s_clause 0x2
	s_load_b96 s[8:10], s[2:3], 0x10
	s_load_b128 s[4:7], s[2:3], 0xdc
	s_load_b64 s[0:1], s[2:3], 0xec
	s_wait_kmcnt 0x0
	v_mul_hi_u32 v1, s9, v3
	s_delay_alu instid0(VALU_DEP_1) | instskip(NEXT) | instid1(VALU_DEP_1)
	v_add_nc_u32_e32 v1, v3, v1
	v_lshrrev_b32_e32 v1, s10, v1
	s_delay_alu instid0(VALU_DEP_1) | instskip(NEXT) | instid1(VALU_DEP_1)
	v_mul_lo_u32 v1, v1, s8
	v_sub_nc_u32_e32 v1, v3, v1
	s_delay_alu instid0(VALU_DEP_1)
	v_mad_u32 v0, v1, s4, v0
	v_mad_u32 v16, v1, s5, v16
	;; [unrolled: 1-line block ×6, first 2 shown]
	s_branch .LBB119_2900
.LBB119_2899:
	v_dual_mov_b32 v16, 0 :: v_dual_mov_b32 v0, 0
	v_dual_mov_b32 v12, 0 :: v_dual_mov_b32 v14, 0
	v_dual_mov_b32 v8, 0 :: v_dual_mov_b32 v10, 0
	s_and_not1_b32 vcc_lo, exec_lo, s6
	s_cbranch_vccz .LBB119_2897
.LBB119_2900:
	v_mov_b32_e32 v47, 0
	s_load_b128 s[4:7], s[2:3], 0x248
	global_load_u8 v1, v47, s[2:3] offset:689
	s_wait_kmcnt 0x0
	v_add_nc_u64_e32 v[46:47], s[6:7], v[46:47]
	s_wait_loadcnt 0x0
	v_and_b32_e32 v3, 0xffff, v1
	v_readfirstlane_b32 s36, v1
	s_delay_alu instid0(VALU_DEP_2)
	v_cmp_gt_i32_e32 vcc_lo, 11, v3
	s_cbranch_vccnz .LBB119_2907
; %bb.2901:
	s_and_b32 s0, 0xffff, s36
	s_mov_b32 s8, 0
	s_cmp_gt_i32 s0, 25
	s_cbranch_scc0 .LBB119_2909
; %bb.2902:
	s_cmp_gt_i32 s0, 28
	s_cbranch_scc0 .LBB119_2910
; %bb.2903:
	;; [unrolled: 3-line block ×4, first 2 shown]
	s_cmp_eq_u32 s0, 46
	s_mov_b32 s10, 0
	s_cbranch_scc0 .LBB119_2913
; %bb.2906:
	global_load_b32 v1, v[46:47], off
	s_mov_b32 s1, 0
	s_mov_b32 s9, -1
	s_wait_loadcnt 0x0
	v_lshlrev_b32_e32 v1, 16, v1
	s_delay_alu instid0(VALU_DEP_1)
	v_cvt_i32_f32_e32 v1, v1
	s_branch .LBB119_2915
.LBB119_2907:
	s_mov_b32 s9, 0
	s_mov_b32 s33, s38
                                        ; implicit-def: $vgpr1
	s_cbranch_execnz .LBB119_2973
.LBB119_2908:
	s_and_not1_b32 vcc_lo, exec_lo, s9
	s_cbranch_vccz .LBB119_3018
	s_branch .LBB119_3530
.LBB119_2909:
	s_mov_b32 s9, 0
	s_mov_b32 s1, 0
                                        ; implicit-def: $vgpr1
	s_cbranch_execnz .LBB119_2940
	s_branch .LBB119_2969
.LBB119_2910:
	s_mov_b32 s9, 0
	s_mov_b32 s1, 0
                                        ; implicit-def: $vgpr1
	s_cbranch_execz .LBB119_2939
	s_branch .LBB119_2924
.LBB119_2911:
	s_mov_b32 s9, 0
	s_mov_b32 s1, 0
                                        ; implicit-def: $vgpr1
	s_cbranch_execnz .LBB119_2920
	s_branch .LBB119_2923
.LBB119_2912:
	s_mov_b32 s10, -1
	s_mov_b32 s9, 0
	s_mov_b32 s1, 0
	s_branch .LBB119_2914
.LBB119_2913:
	s_mov_b32 s1, -1
	s_mov_b32 s9, 0
.LBB119_2914:
                                        ; implicit-def: $vgpr1
.LBB119_2915:
	s_and_b32 vcc_lo, exec_lo, s10
	s_cbranch_vccz .LBB119_2918
; %bb.2916:
	s_cmp_eq_u32 s0, 44
	s_cbranch_scc0 .LBB119_2919
; %bb.2917:
	global_load_u8 v1, v[46:47], off
	s_mov_b32 s1, 0
	s_mov_b32 s9, -1
	s_wait_loadcnt 0x0
	v_lshlrev_b32_e32 v3, 23, v1
	v_cmp_ne_u32_e32 vcc_lo, 0, v1
	s_delay_alu instid0(VALU_DEP_2) | instskip(NEXT) | instid1(VALU_DEP_1)
	v_cvt_i32_f32_e32 v3, v3
	v_cndmask_b32_e32 v1, 0, v3, vcc_lo
.LBB119_2918:
	s_branch .LBB119_2923
.LBB119_2919:
	s_mov_b32 s1, -1
                                        ; implicit-def: $vgpr1
	s_branch .LBB119_2923
.LBB119_2920:
	s_cmp_eq_u32 s0, 29
	s_cbranch_scc0 .LBB119_2922
; %bb.2921:
	global_load_b32 v1, v[46:47], off
	s_mov_b32 s1, 0
	s_mov_b32 s9, -1
	s_branch .LBB119_2923
.LBB119_2922:
	s_mov_b32 s1, -1
                                        ; implicit-def: $vgpr1
.LBB119_2923:
	s_branch .LBB119_2939
.LBB119_2924:
	s_cmp_lt_i32 s0, 27
	s_cbranch_scc1 .LBB119_2927
; %bb.2925:
	s_cmp_gt_i32 s0, 27
	s_cbranch_scc0 .LBB119_2928
; %bb.2926:
	s_wait_loadcnt 0x0
	global_load_b32 v1, v[46:47], off
	s_mov_b32 s9, 0
	s_branch .LBB119_2929
.LBB119_2927:
	s_mov_b32 s9, -1
                                        ; implicit-def: $vgpr1
	s_branch .LBB119_2932
.LBB119_2928:
	s_mov_b32 s9, -1
                                        ; implicit-def: $vgpr1
.LBB119_2929:
	s_delay_alu instid0(SALU_CYCLE_1)
	s_and_not1_b32 vcc_lo, exec_lo, s9
	s_cbranch_vccnz .LBB119_2931
; %bb.2930:
	s_wait_loadcnt 0x0
	global_load_u16 v1, v[46:47], off
.LBB119_2931:
	s_mov_b32 s9, 0
.LBB119_2932:
	s_delay_alu instid0(SALU_CYCLE_1)
	s_and_not1_b32 vcc_lo, exec_lo, s9
	s_cbranch_vccnz .LBB119_2938
; %bb.2933:
	global_load_u8 v3, v[46:47], off
	s_mov_b32 s10, 0
	s_mov_b32 s9, exec_lo
	s_wait_loadcnt 0x0
	v_cmpx_lt_i16_e32 0x7f, v3
	s_xor_b32 s9, exec_lo, s9
	s_cbranch_execz .LBB119_2949
; %bb.2934:
	v_cmp_ne_u16_e32 vcc_lo, 0x80, v3
	s_and_b32 s10, vcc_lo, exec_lo
	s_and_not1_saveexec_b32 s9, s9
	s_cbranch_execnz .LBB119_2950
.LBB119_2935:
	s_or_b32 exec_lo, exec_lo, s9
	v_mov_b32_e32 v1, 0
	s_and_saveexec_b32 s9, s10
	s_cbranch_execz .LBB119_2937
.LBB119_2936:
	v_and_b32_e32 v1, 0xffff, v3
	s_delay_alu instid0(VALU_DEP_1) | instskip(SKIP_1) | instid1(VALU_DEP_2)
	v_and_b32_e32 v5, 7, v1
	v_bfe_u32 v11, v1, 3, 4
	v_clz_i32_u32_e32 v7, v5
	s_delay_alu instid0(VALU_DEP_2) | instskip(NEXT) | instid1(VALU_DEP_2)
	v_cmp_eq_u32_e32 vcc_lo, 0, v11
	v_min_u32_e32 v7, 32, v7
	s_delay_alu instid0(VALU_DEP_1) | instskip(NEXT) | instid1(VALU_DEP_1)
	v_subrev_nc_u32_e32 v9, 28, v7
	v_dual_lshlrev_b32 v1, v9, v1 :: v_dual_sub_nc_u32 v7, 29, v7
	s_delay_alu instid0(VALU_DEP_1) | instskip(NEXT) | instid1(VALU_DEP_1)
	v_dual_lshlrev_b32 v3, 24, v3 :: v_dual_bitop2_b32 v1, 7, v1 bitop3:0x40
	v_dual_cndmask_b32 v1, v5, v1, vcc_lo :: v_dual_cndmask_b32 v7, v11, v7, vcc_lo
	s_delay_alu instid0(VALU_DEP_2) | instskip(NEXT) | instid1(VALU_DEP_2)
	v_and_b32_e32 v3, 0x80000000, v3
	v_lshlrev_b32_e32 v1, 20, v1
	s_delay_alu instid0(VALU_DEP_3) | instskip(NEXT) | instid1(VALU_DEP_1)
	v_lshl_add_u32 v5, v7, 23, 0x3b800000
	v_or3_b32 v1, v3, v5, v1
	s_delay_alu instid0(VALU_DEP_1)
	v_cvt_i32_f32_e32 v1, v1
.LBB119_2937:
	s_or_b32 exec_lo, exec_lo, s9
.LBB119_2938:
	s_mov_b32 s9, -1
.LBB119_2939:
	s_branch .LBB119_2969
.LBB119_2940:
	s_cmp_gt_i32 s0, 22
	s_cbranch_scc0 .LBB119_2948
; %bb.2941:
	s_cmp_lt_i32 s0, 24
	s_cbranch_scc1 .LBB119_2951
; %bb.2942:
	s_cmp_gt_i32 s0, 24
	s_cbranch_scc0 .LBB119_2952
; %bb.2943:
	global_load_u8 v3, v[46:47], off
	s_mov_b32 s9, 0
	s_mov_b32 s8, exec_lo
	s_wait_loadcnt 0x0
	v_cmpx_lt_i16_e32 0x7f, v3
	s_xor_b32 s8, exec_lo, s8
	s_cbranch_execz .LBB119_2963
; %bb.2944:
	v_cmp_ne_u16_e32 vcc_lo, 0x80, v3
	s_and_b32 s9, vcc_lo, exec_lo
	s_and_not1_saveexec_b32 s8, s8
	s_cbranch_execnz .LBB119_2964
.LBB119_2945:
	s_or_b32 exec_lo, exec_lo, s8
	v_mov_b32_e32 v1, 0
	s_and_saveexec_b32 s8, s9
	s_cbranch_execz .LBB119_2947
.LBB119_2946:
	v_and_b32_e32 v1, 0xffff, v3
	s_delay_alu instid0(VALU_DEP_1) | instskip(SKIP_1) | instid1(VALU_DEP_2)
	v_and_b32_e32 v5, 3, v1
	v_bfe_u32 v11, v1, 2, 5
	v_clz_i32_u32_e32 v7, v5
	s_delay_alu instid0(VALU_DEP_2) | instskip(NEXT) | instid1(VALU_DEP_2)
	v_cmp_eq_u32_e32 vcc_lo, 0, v11
	v_min_u32_e32 v7, 32, v7
	s_delay_alu instid0(VALU_DEP_1) | instskip(NEXT) | instid1(VALU_DEP_1)
	v_subrev_nc_u32_e32 v9, 29, v7
	v_dual_lshlrev_b32 v1, v9, v1 :: v_dual_sub_nc_u32 v7, 30, v7
	s_delay_alu instid0(VALU_DEP_1) | instskip(NEXT) | instid1(VALU_DEP_1)
	v_dual_lshlrev_b32 v3, 24, v3 :: v_dual_bitop2_b32 v1, 3, v1 bitop3:0x40
	v_dual_cndmask_b32 v1, v5, v1, vcc_lo :: v_dual_cndmask_b32 v7, v11, v7, vcc_lo
	s_delay_alu instid0(VALU_DEP_2) | instskip(NEXT) | instid1(VALU_DEP_2)
	v_and_b32_e32 v3, 0x80000000, v3
	v_lshlrev_b32_e32 v1, 21, v1
	s_delay_alu instid0(VALU_DEP_3) | instskip(NEXT) | instid1(VALU_DEP_1)
	v_lshl_add_u32 v5, v7, 23, 0x37800000
	v_or3_b32 v1, v3, v5, v1
	s_delay_alu instid0(VALU_DEP_1)
	v_cvt_i32_f32_e32 v1, v1
.LBB119_2947:
	s_or_b32 exec_lo, exec_lo, s8
	s_mov_b32 s8, 0
	s_branch .LBB119_2953
.LBB119_2948:
                                        ; implicit-def: $vgpr1
	s_mov_b32 s8, 0
	s_branch .LBB119_2959
.LBB119_2949:
	s_and_not1_saveexec_b32 s9, s9
	s_cbranch_execz .LBB119_2935
.LBB119_2950:
	v_cmp_ne_u16_e32 vcc_lo, 0, v3
	s_and_not1_b32 s10, s10, exec_lo
	s_and_b32 s11, vcc_lo, exec_lo
	s_delay_alu instid0(SALU_CYCLE_1)
	s_or_b32 s10, s10, s11
	s_or_b32 exec_lo, exec_lo, s9
	v_mov_b32_e32 v1, 0
	s_and_saveexec_b32 s9, s10
	s_cbranch_execnz .LBB119_2936
	s_branch .LBB119_2937
.LBB119_2951:
	s_mov_b32 s8, -1
                                        ; implicit-def: $vgpr1
	s_branch .LBB119_2956
.LBB119_2952:
	s_mov_b32 s8, -1
                                        ; implicit-def: $vgpr1
.LBB119_2953:
	s_delay_alu instid0(SALU_CYCLE_1)
	s_and_b32 vcc_lo, exec_lo, s8
	s_cbranch_vccz .LBB119_2955
; %bb.2954:
	s_wait_loadcnt 0x0
	global_load_u8 v1, v[46:47], off
	s_wait_loadcnt 0x0
	v_lshlrev_b32_e32 v1, 24, v1
	s_delay_alu instid0(VALU_DEP_1) | instskip(NEXT) | instid1(VALU_DEP_1)
	v_and_b32_e32 v3, 0x7f000000, v1
	v_clz_i32_u32_e32 v5, v3
	v_add_nc_u32_e32 v9, 0x1000000, v3
	v_cmp_ne_u32_e32 vcc_lo, 0, v3
	s_delay_alu instid0(VALU_DEP_3) | instskip(NEXT) | instid1(VALU_DEP_1)
	v_min_u32_e32 v5, 32, v5
	v_sub_nc_u32_e64 v5, v5, 4 clamp
	s_delay_alu instid0(VALU_DEP_1) | instskip(NEXT) | instid1(VALU_DEP_1)
	v_dual_lshlrev_b32 v7, v5, v3 :: v_dual_lshlrev_b32 v5, 23, v5
	v_lshrrev_b32_e32 v7, 4, v7
	s_delay_alu instid0(VALU_DEP_1) | instskip(SKIP_1) | instid1(VALU_DEP_2)
	v_sub_nc_u32_e32 v5, v7, v5
	v_ashrrev_i32_e32 v7, 8, v9
	v_add_nc_u32_e32 v5, 0x3c000000, v5
	s_delay_alu instid0(VALU_DEP_1) | instskip(NEXT) | instid1(VALU_DEP_1)
	v_and_or_b32 v5, 0x7f800000, v7, v5
	v_cndmask_b32_e32 v3, 0, v5, vcc_lo
	s_delay_alu instid0(VALU_DEP_1) | instskip(NEXT) | instid1(VALU_DEP_1)
	v_and_or_b32 v1, 0x80000000, v1, v3
	v_cvt_i32_f32_e32 v1, v1
.LBB119_2955:
	s_mov_b32 s8, 0
.LBB119_2956:
	s_delay_alu instid0(SALU_CYCLE_1)
	s_and_not1_b32 vcc_lo, exec_lo, s8
	s_cbranch_vccnz .LBB119_2958
; %bb.2957:
	s_wait_loadcnt 0x0
	global_load_u8 v1, v[46:47], off
	s_wait_loadcnt 0x0
	v_lshlrev_b32_e32 v3, 25, v1
	v_lshlrev_b16 v1, 8, v1
	s_delay_alu instid0(VALU_DEP_1) | instskip(SKIP_1) | instid1(VALU_DEP_2)
	v_and_or_b32 v7, 0x7f00, v1, 0.5
	v_bfe_i32 v1, v1, 0, 16
	v_add_f32_e32 v7, -0.5, v7
	v_lshrrev_b32_e32 v5, 4, v3
	v_cmp_gt_u32_e32 vcc_lo, 0x8000000, v3
	s_delay_alu instid0(VALU_DEP_2) | instskip(NEXT) | instid1(VALU_DEP_1)
	v_or_b32_e32 v5, 0x70000000, v5
	v_mul_f32_e32 v5, 0x7800000, v5
	s_delay_alu instid0(VALU_DEP_1) | instskip(NEXT) | instid1(VALU_DEP_1)
	v_cndmask_b32_e32 v3, v5, v7, vcc_lo
	v_and_or_b32 v1, 0x80000000, v1, v3
	s_delay_alu instid0(VALU_DEP_1)
	v_cvt_i32_f32_e32 v1, v1
.LBB119_2958:
	s_mov_b32 s9, -1
	s_mov_b32 s8, 0
	s_cbranch_execnz .LBB119_2969
.LBB119_2959:
	s_cmp_gt_i32 s0, 14
	s_cbranch_scc0 .LBB119_2962
; %bb.2960:
	s_cmp_eq_u32 s0, 15
	s_cbranch_scc0 .LBB119_2965
; %bb.2961:
	s_wait_loadcnt 0x0
	global_load_u16 v1, v[46:47], off
	s_mov_b32 s1, 0
	s_mov_b32 s9, -1
	s_wait_loadcnt 0x0
	v_lshlrev_b32_e32 v1, 16, v1
	s_delay_alu instid0(VALU_DEP_1)
	v_cvt_i32_f32_e32 v1, v1
	s_branch .LBB119_2967
.LBB119_2962:
	s_mov_b32 s8, -1
	s_branch .LBB119_2966
.LBB119_2963:
	s_and_not1_saveexec_b32 s8, s8
	s_cbranch_execz .LBB119_2945
.LBB119_2964:
	v_cmp_ne_u16_e32 vcc_lo, 0, v3
	s_and_not1_b32 s9, s9, exec_lo
	s_and_b32 s10, vcc_lo, exec_lo
	s_delay_alu instid0(SALU_CYCLE_1)
	s_or_b32 s9, s9, s10
	s_or_b32 exec_lo, exec_lo, s8
	v_mov_b32_e32 v1, 0
	s_and_saveexec_b32 s8, s9
	s_cbranch_execnz .LBB119_2946
	s_branch .LBB119_2947
.LBB119_2965:
	s_mov_b32 s1, -1
.LBB119_2966:
                                        ; implicit-def: $vgpr1
.LBB119_2967:
	s_and_b32 vcc_lo, exec_lo, s8
	s_mov_b32 s8, 0
	s_cbranch_vccz .LBB119_2969
; %bb.2968:
	s_cmp_lg_u32 s0, 11
	s_mov_b32 s8, -1
	s_cselect_b32 s1, -1, 0
.LBB119_2969:
	s_delay_alu instid0(SALU_CYCLE_1)
	s_and_b32 vcc_lo, exec_lo, s1
	s_mov_b32 s33, s38
	s_cbranch_vccnz .LBB119_3030
; %bb.2970:
	s_and_not1_b32 vcc_lo, exec_lo, s8
	s_cbranch_vccnz .LBB119_2972
.LBB119_2971:
	s_wait_loadcnt 0x0
	global_load_u8 v1, v[46:47], off
	s_mov_b32 s9, -1
	s_wait_loadcnt 0x0
	v_cmp_ne_u16_e32 vcc_lo, 0, v1
	v_cndmask_b32_e64 v1, 0, 1, vcc_lo
.LBB119_2972:
	s_branch .LBB119_2908
.LBB119_2973:
	s_and_b32 s0, 0xffff, s36
	s_delay_alu instid0(SALU_CYCLE_1)
	s_cmp_lt_i32 s0, 5
	s_cbranch_scc1 .LBB119_2978
; %bb.2974:
	s_cmp_lt_i32 s0, 8
	s_cbranch_scc1 .LBB119_2979
; %bb.2975:
	;; [unrolled: 3-line block ×3, first 2 shown]
	s_cmp_gt_i32 s0, 9
	s_cbranch_scc0 .LBB119_2981
; %bb.2977:
	global_load_b64 v[48:49], v[46:47], off
	s_mov_b32 s1, 0
	s_wait_loadcnt 0x0
	v_cvt_i32_f64_e32 v1, v[48:49]
	s_branch .LBB119_2982
.LBB119_2978:
                                        ; implicit-def: $vgpr1
	s_branch .LBB119_2999
.LBB119_2979:
                                        ; implicit-def: $vgpr1
	s_branch .LBB119_2988
.LBB119_2980:
	s_mov_b32 s1, -1
                                        ; implicit-def: $vgpr1
	s_branch .LBB119_2985
.LBB119_2981:
	s_mov_b32 s1, -1
                                        ; implicit-def: $vgpr1
.LBB119_2982:
	s_delay_alu instid0(SALU_CYCLE_1)
	s_and_not1_b32 vcc_lo, exec_lo, s1
	s_cbranch_vccnz .LBB119_2984
; %bb.2983:
	s_wait_loadcnt 0x0
	global_load_b32 v1, v[46:47], off
	s_wait_loadcnt 0x0
	v_cvt_i32_f32_e32 v1, v1
.LBB119_2984:
	s_mov_b32 s1, 0
.LBB119_2985:
	s_delay_alu instid0(SALU_CYCLE_1)
	s_and_not1_b32 vcc_lo, exec_lo, s1
	s_cbranch_vccnz .LBB119_2987
; %bb.2986:
	s_wait_loadcnt 0x0
	global_load_b32 v1, v[46:47], off
	s_wait_loadcnt 0x0
	v_cvt_f32_f16_e32 v1, v1
	s_delay_alu instid0(VALU_DEP_1)
	v_cvt_i32_f32_e32 v1, v1
.LBB119_2987:
	s_cbranch_execnz .LBB119_2998
.LBB119_2988:
	s_cmp_lt_i32 s0, 6
	s_cbranch_scc1 .LBB119_2991
; %bb.2989:
	s_cmp_gt_i32 s0, 6
	s_cbranch_scc0 .LBB119_2992
; %bb.2990:
	global_load_b64 v[48:49], v[46:47], off
	s_mov_b32 s1, 0
	s_wait_loadcnt 0x0
	v_cvt_i32_f64_e32 v1, v[48:49]
	s_branch .LBB119_2993
.LBB119_2991:
	s_mov_b32 s1, -1
                                        ; implicit-def: $vgpr1
	s_branch .LBB119_2996
.LBB119_2992:
	s_mov_b32 s1, -1
                                        ; implicit-def: $vgpr1
.LBB119_2993:
	s_delay_alu instid0(SALU_CYCLE_1)
	s_and_not1_b32 vcc_lo, exec_lo, s1
	s_cbranch_vccnz .LBB119_2995
; %bb.2994:
	s_wait_loadcnt 0x0
	global_load_b32 v1, v[46:47], off
	s_wait_loadcnt 0x0
	v_cvt_i32_f32_e32 v1, v1
.LBB119_2995:
	s_mov_b32 s1, 0
.LBB119_2996:
	s_delay_alu instid0(SALU_CYCLE_1)
	s_and_not1_b32 vcc_lo, exec_lo, s1
	s_cbranch_vccnz .LBB119_2998
; %bb.2997:
	s_wait_loadcnt 0x0
	global_load_u16 v1, v[46:47], off
	s_wait_loadcnt 0x0
	v_cvt_f32_f16_e32 v1, v1
	s_delay_alu instid0(VALU_DEP_1)
	v_cvt_i32_f32_e32 v1, v1
.LBB119_2998:
	s_cbranch_execnz .LBB119_3017
.LBB119_2999:
	s_cmp_lt_i32 s0, 2
	s_cbranch_scc1 .LBB119_3003
; %bb.3000:
	s_cmp_lt_i32 s0, 3
	s_cbranch_scc1 .LBB119_3004
; %bb.3001:
	s_cmp_gt_i32 s0, 3
	s_cbranch_scc0 .LBB119_3005
; %bb.3002:
	s_wait_loadcnt 0x0
	global_load_b32 v1, v[46:47], off
	s_mov_b32 s1, 0
	s_branch .LBB119_3006
.LBB119_3003:
                                        ; implicit-def: $vgpr1
	s_branch .LBB119_3012
.LBB119_3004:
	s_mov_b32 s1, -1
                                        ; implicit-def: $vgpr1
	s_branch .LBB119_3009
.LBB119_3005:
	s_mov_b32 s1, -1
                                        ; implicit-def: $vgpr1
.LBB119_3006:
	s_delay_alu instid0(SALU_CYCLE_1)
	s_and_not1_b32 vcc_lo, exec_lo, s1
	s_cbranch_vccnz .LBB119_3008
; %bb.3007:
	s_wait_loadcnt 0x0
	global_load_b32 v1, v[46:47], off
.LBB119_3008:
	s_mov_b32 s1, 0
.LBB119_3009:
	s_delay_alu instid0(SALU_CYCLE_1)
	s_and_not1_b32 vcc_lo, exec_lo, s1
	s_cbranch_vccnz .LBB119_3011
; %bb.3010:
	s_wait_loadcnt 0x0
	global_load_i16 v1, v[46:47], off
.LBB119_3011:
	s_cbranch_execnz .LBB119_3017
.LBB119_3012:
	s_cmp_gt_i32 s0, 0
	s_mov_b32 s0, 0
	s_cbranch_scc0 .LBB119_3014
; %bb.3013:
	s_wait_loadcnt 0x0
	global_load_i8 v1, v[46:47], off
	s_branch .LBB119_3015
.LBB119_3014:
	s_mov_b32 s0, -1
                                        ; implicit-def: $vgpr1
.LBB119_3015:
	s_delay_alu instid0(SALU_CYCLE_1)
	s_and_not1_b32 vcc_lo, exec_lo, s0
	s_cbranch_vccnz .LBB119_3017
; %bb.3016:
	s_wait_loadcnt 0x0
	global_load_u8 v1, v[46:47], off
.LBB119_3017:
.LBB119_3018:
	v_mov_b32_e32 v45, 0
	s_load_b64 s[12:13], s[2:3], 0x258
	global_load_u8 v3, v45, s[2:3] offset:690
	s_wait_kmcnt 0x0
	v_add_nc_u64_e32 v[44:45], s[12:13], v[44:45]
	s_wait_loadcnt 0x0
	v_and_b32_e32 v5, 0xffff, v3
	v_readfirstlane_b32 s37, v3
	s_delay_alu instid0(VALU_DEP_2)
	v_cmp_gt_i32_e32 vcc_lo, 11, v5
	s_cbranch_vccnz .LBB119_3025
; %bb.3019:
	s_and_b32 s0, 0xffff, s37
	s_mov_b32 s8, 0
	s_cmp_gt_i32 s0, 25
	s_cbranch_scc0 .LBB119_3027
; %bb.3020:
	s_cmp_gt_i32 s0, 28
	s_cbranch_scc0 .LBB119_3028
; %bb.3021:
	;; [unrolled: 3-line block ×4, first 2 shown]
	s_cmp_eq_u32 s0, 46
	s_mov_b32 s10, 0
	s_cbranch_scc0 .LBB119_3032
; %bb.3024:
	global_load_b32 v3, v[44:45], off
	s_mov_b32 s1, 0
	s_mov_b32 s9, -1
	s_wait_loadcnt 0x0
	v_lshlrev_b32_e32 v3, 16, v3
	s_delay_alu instid0(VALU_DEP_1)
	v_cvt_i32_f32_e32 v3, v3
	s_branch .LBB119_3034
.LBB119_3025:
	s_mov_b32 s9, 0
                                        ; implicit-def: $vgpr3
	s_cbranch_execnz .LBB119_3095
.LBB119_3026:
	s_and_not1_b32 vcc_lo, exec_lo, s9
	s_cbranch_vccnz .LBB119_3530
	s_branch .LBB119_3142
.LBB119_3027:
	s_mov_b32 s9, 0
	s_mov_b32 s1, 0
                                        ; implicit-def: $vgpr3
	s_cbranch_execnz .LBB119_3061
	s_branch .LBB119_3091
.LBB119_3028:
	s_mov_b32 s10, -1
	s_mov_b32 s9, 0
	s_mov_b32 s1, 0
                                        ; implicit-def: $vgpr3
	s_branch .LBB119_3044
.LBB119_3029:
	s_mov_b32 s10, -1
	s_mov_b32 s9, 0
	s_mov_b32 s1, 0
                                        ; implicit-def: $vgpr3
	s_branch .LBB119_3039
.LBB119_3030:
	s_or_b32 s33, s38, exec_lo
	s_trap 2
	s_cbranch_execz .LBB119_2971
	s_branch .LBB119_2972
.LBB119_3031:
	s_mov_b32 s10, -1
	s_mov_b32 s9, 0
	s_mov_b32 s1, 0
	s_branch .LBB119_3033
.LBB119_3032:
	s_mov_b32 s1, -1
	s_mov_b32 s9, 0
.LBB119_3033:
                                        ; implicit-def: $vgpr3
.LBB119_3034:
	s_and_b32 vcc_lo, exec_lo, s10
	s_cbranch_vccz .LBB119_3038
; %bb.3035:
	s_cmp_eq_u32 s0, 44
	s_cbranch_scc0 .LBB119_3037
; %bb.3036:
	global_load_u8 v3, v[44:45], off
	s_mov_b32 s1, 0
	s_mov_b32 s9, -1
	s_wait_loadcnt 0x0
	v_lshlrev_b32_e32 v5, 23, v3
	v_cmp_ne_u32_e32 vcc_lo, 0, v3
	s_delay_alu instid0(VALU_DEP_2) | instskip(NEXT) | instid1(VALU_DEP_1)
	v_cvt_i32_f32_e32 v5, v5
	v_cndmask_b32_e32 v3, 0, v5, vcc_lo
	s_branch .LBB119_3038
.LBB119_3037:
	s_mov_b32 s1, -1
                                        ; implicit-def: $vgpr3
.LBB119_3038:
	s_mov_b32 s10, 0
.LBB119_3039:
	s_delay_alu instid0(SALU_CYCLE_1)
	s_and_b32 vcc_lo, exec_lo, s10
	s_cbranch_vccz .LBB119_3043
; %bb.3040:
	s_cmp_eq_u32 s0, 29
	s_cbranch_scc0 .LBB119_3042
; %bb.3041:
	global_load_b32 v3, v[44:45], off
	s_mov_b32 s1, 0
	s_mov_b32 s9, -1
	s_branch .LBB119_3043
.LBB119_3042:
	s_mov_b32 s1, -1
                                        ; implicit-def: $vgpr3
.LBB119_3043:
	s_mov_b32 s10, 0
.LBB119_3044:
	s_delay_alu instid0(SALU_CYCLE_1)
	s_and_b32 vcc_lo, exec_lo, s10
	s_cbranch_vccz .LBB119_3060
; %bb.3045:
	s_cmp_lt_i32 s0, 27
	s_cbranch_scc1 .LBB119_3048
; %bb.3046:
	s_cmp_gt_i32 s0, 27
	s_cbranch_scc0 .LBB119_3049
; %bb.3047:
	s_wait_loadcnt 0x0
	global_load_b32 v3, v[44:45], off
	s_mov_b32 s9, 0
	s_branch .LBB119_3050
.LBB119_3048:
	s_mov_b32 s9, -1
                                        ; implicit-def: $vgpr3
	s_branch .LBB119_3053
.LBB119_3049:
	s_mov_b32 s9, -1
                                        ; implicit-def: $vgpr3
.LBB119_3050:
	s_delay_alu instid0(SALU_CYCLE_1)
	s_and_not1_b32 vcc_lo, exec_lo, s9
	s_cbranch_vccnz .LBB119_3052
; %bb.3051:
	s_wait_loadcnt 0x0
	global_load_u16 v3, v[44:45], off
.LBB119_3052:
	s_mov_b32 s9, 0
.LBB119_3053:
	s_delay_alu instid0(SALU_CYCLE_1)
	s_and_not1_b32 vcc_lo, exec_lo, s9
	s_cbranch_vccnz .LBB119_3059
; %bb.3054:
	global_load_u8 v5, v[44:45], off
	s_mov_b32 s10, 0
	s_mov_b32 s9, exec_lo
	s_wait_loadcnt 0x0
	v_cmpx_lt_i16_e32 0x7f, v5
	s_xor_b32 s9, exec_lo, s9
	s_cbranch_execz .LBB119_3070
; %bb.3055:
	v_cmp_ne_u16_e32 vcc_lo, 0x80, v5
	s_and_b32 s10, vcc_lo, exec_lo
	s_and_not1_saveexec_b32 s9, s9
	s_cbranch_execnz .LBB119_3071
.LBB119_3056:
	s_or_b32 exec_lo, exec_lo, s9
	v_mov_b32_e32 v3, 0
	s_and_saveexec_b32 s9, s10
	s_cbranch_execz .LBB119_3058
.LBB119_3057:
	v_and_b32_e32 v3, 0xffff, v5
	s_delay_alu instid0(VALU_DEP_1) | instskip(SKIP_1) | instid1(VALU_DEP_2)
	v_and_b32_e32 v7, 7, v3
	v_bfe_u32 v13, v3, 3, 4
	v_clz_i32_u32_e32 v9, v7
	s_delay_alu instid0(VALU_DEP_2) | instskip(NEXT) | instid1(VALU_DEP_2)
	v_cmp_eq_u32_e32 vcc_lo, 0, v13
	v_min_u32_e32 v9, 32, v9
	s_delay_alu instid0(VALU_DEP_1) | instskip(NEXT) | instid1(VALU_DEP_1)
	v_subrev_nc_u32_e32 v11, 28, v9
	v_dual_lshlrev_b32 v3, v11, v3 :: v_dual_sub_nc_u32 v9, 29, v9
	s_delay_alu instid0(VALU_DEP_1) | instskip(NEXT) | instid1(VALU_DEP_1)
	v_dual_lshlrev_b32 v5, 24, v5 :: v_dual_bitop2_b32 v3, 7, v3 bitop3:0x40
	v_dual_cndmask_b32 v3, v7, v3, vcc_lo :: v_dual_cndmask_b32 v9, v13, v9, vcc_lo
	s_delay_alu instid0(VALU_DEP_2) | instskip(NEXT) | instid1(VALU_DEP_2)
	v_and_b32_e32 v5, 0x80000000, v5
	v_lshlrev_b32_e32 v3, 20, v3
	s_delay_alu instid0(VALU_DEP_3) | instskip(NEXT) | instid1(VALU_DEP_1)
	v_lshl_add_u32 v7, v9, 23, 0x3b800000
	v_or3_b32 v3, v5, v7, v3
	s_delay_alu instid0(VALU_DEP_1)
	v_cvt_i32_f32_e32 v3, v3
.LBB119_3058:
	s_or_b32 exec_lo, exec_lo, s9
.LBB119_3059:
	s_mov_b32 s9, -1
.LBB119_3060:
	s_branch .LBB119_3091
.LBB119_3061:
	s_cmp_gt_i32 s0, 22
	s_cbranch_scc0 .LBB119_3069
; %bb.3062:
	s_cmp_lt_i32 s0, 24
	s_cbranch_scc1 .LBB119_3072
; %bb.3063:
	s_cmp_gt_i32 s0, 24
	s_cbranch_scc0 .LBB119_3073
; %bb.3064:
	global_load_u8 v5, v[44:45], off
	s_mov_b32 s9, 0
	s_mov_b32 s8, exec_lo
	s_wait_loadcnt 0x0
	v_cmpx_lt_i16_e32 0x7f, v5
	s_xor_b32 s8, exec_lo, s8
	s_cbranch_execz .LBB119_3085
; %bb.3065:
	v_cmp_ne_u16_e32 vcc_lo, 0x80, v5
	s_and_b32 s9, vcc_lo, exec_lo
	s_and_not1_saveexec_b32 s8, s8
	s_cbranch_execnz .LBB119_3086
.LBB119_3066:
	s_or_b32 exec_lo, exec_lo, s8
	v_mov_b32_e32 v3, 0
	s_and_saveexec_b32 s8, s9
	s_cbranch_execz .LBB119_3068
.LBB119_3067:
	v_and_b32_e32 v3, 0xffff, v5
	s_delay_alu instid0(VALU_DEP_1) | instskip(SKIP_1) | instid1(VALU_DEP_2)
	v_and_b32_e32 v7, 3, v3
	v_bfe_u32 v13, v3, 2, 5
	v_clz_i32_u32_e32 v9, v7
	s_delay_alu instid0(VALU_DEP_2) | instskip(NEXT) | instid1(VALU_DEP_2)
	v_cmp_eq_u32_e32 vcc_lo, 0, v13
	v_min_u32_e32 v9, 32, v9
	s_delay_alu instid0(VALU_DEP_1) | instskip(NEXT) | instid1(VALU_DEP_1)
	v_subrev_nc_u32_e32 v11, 29, v9
	v_dual_lshlrev_b32 v3, v11, v3 :: v_dual_sub_nc_u32 v9, 30, v9
	s_delay_alu instid0(VALU_DEP_1) | instskip(NEXT) | instid1(VALU_DEP_1)
	v_dual_lshlrev_b32 v5, 24, v5 :: v_dual_bitop2_b32 v3, 3, v3 bitop3:0x40
	v_dual_cndmask_b32 v3, v7, v3, vcc_lo :: v_dual_cndmask_b32 v9, v13, v9, vcc_lo
	s_delay_alu instid0(VALU_DEP_2) | instskip(NEXT) | instid1(VALU_DEP_2)
	v_and_b32_e32 v5, 0x80000000, v5
	v_lshlrev_b32_e32 v3, 21, v3
	s_delay_alu instid0(VALU_DEP_3) | instskip(NEXT) | instid1(VALU_DEP_1)
	v_lshl_add_u32 v7, v9, 23, 0x37800000
	v_or3_b32 v3, v5, v7, v3
	s_delay_alu instid0(VALU_DEP_1)
	v_cvt_i32_f32_e32 v3, v3
.LBB119_3068:
	s_or_b32 exec_lo, exec_lo, s8
	s_mov_b32 s8, 0
	s_branch .LBB119_3074
.LBB119_3069:
	s_mov_b32 s8, -1
                                        ; implicit-def: $vgpr3
	s_branch .LBB119_3080
.LBB119_3070:
	s_and_not1_saveexec_b32 s9, s9
	s_cbranch_execz .LBB119_3056
.LBB119_3071:
	v_cmp_ne_u16_e32 vcc_lo, 0, v5
	s_and_not1_b32 s10, s10, exec_lo
	s_and_b32 s11, vcc_lo, exec_lo
	s_delay_alu instid0(SALU_CYCLE_1)
	s_or_b32 s10, s10, s11
	s_or_b32 exec_lo, exec_lo, s9
	v_mov_b32_e32 v3, 0
	s_and_saveexec_b32 s9, s10
	s_cbranch_execnz .LBB119_3057
	s_branch .LBB119_3058
.LBB119_3072:
	s_mov_b32 s8, -1
                                        ; implicit-def: $vgpr3
	s_branch .LBB119_3077
.LBB119_3073:
	s_mov_b32 s8, -1
                                        ; implicit-def: $vgpr3
.LBB119_3074:
	s_delay_alu instid0(SALU_CYCLE_1)
	s_and_b32 vcc_lo, exec_lo, s8
	s_cbranch_vccz .LBB119_3076
; %bb.3075:
	s_wait_loadcnt 0x0
	global_load_u8 v3, v[44:45], off
	s_wait_loadcnt 0x0
	v_lshlrev_b32_e32 v3, 24, v3
	s_delay_alu instid0(VALU_DEP_1) | instskip(NEXT) | instid1(VALU_DEP_1)
	v_and_b32_e32 v5, 0x7f000000, v3
	v_clz_i32_u32_e32 v7, v5
	v_add_nc_u32_e32 v11, 0x1000000, v5
	v_cmp_ne_u32_e32 vcc_lo, 0, v5
	s_delay_alu instid0(VALU_DEP_3) | instskip(NEXT) | instid1(VALU_DEP_1)
	v_min_u32_e32 v7, 32, v7
	v_sub_nc_u32_e64 v7, v7, 4 clamp
	s_delay_alu instid0(VALU_DEP_1) | instskip(NEXT) | instid1(VALU_DEP_1)
	v_dual_lshlrev_b32 v9, v7, v5 :: v_dual_lshlrev_b32 v7, 23, v7
	v_lshrrev_b32_e32 v9, 4, v9
	s_delay_alu instid0(VALU_DEP_1) | instskip(SKIP_1) | instid1(VALU_DEP_2)
	v_sub_nc_u32_e32 v7, v9, v7
	v_ashrrev_i32_e32 v9, 8, v11
	v_add_nc_u32_e32 v7, 0x3c000000, v7
	s_delay_alu instid0(VALU_DEP_1) | instskip(NEXT) | instid1(VALU_DEP_1)
	v_and_or_b32 v7, 0x7f800000, v9, v7
	v_cndmask_b32_e32 v5, 0, v7, vcc_lo
	s_delay_alu instid0(VALU_DEP_1) | instskip(NEXT) | instid1(VALU_DEP_1)
	v_and_or_b32 v3, 0x80000000, v3, v5
	v_cvt_i32_f32_e32 v3, v3
.LBB119_3076:
	s_mov_b32 s8, 0
.LBB119_3077:
	s_delay_alu instid0(SALU_CYCLE_1)
	s_and_not1_b32 vcc_lo, exec_lo, s8
	s_cbranch_vccnz .LBB119_3079
; %bb.3078:
	s_wait_loadcnt 0x0
	global_load_u8 v3, v[44:45], off
	s_wait_loadcnt 0x0
	v_lshlrev_b32_e32 v5, 25, v3
	v_lshlrev_b16 v3, 8, v3
	s_delay_alu instid0(VALU_DEP_1) | instskip(SKIP_1) | instid1(VALU_DEP_2)
	v_and_or_b32 v9, 0x7f00, v3, 0.5
	v_bfe_i32 v3, v3, 0, 16
	v_add_f32_e32 v9, -0.5, v9
	v_lshrrev_b32_e32 v7, 4, v5
	v_cmp_gt_u32_e32 vcc_lo, 0x8000000, v5
	s_delay_alu instid0(VALU_DEP_2) | instskip(NEXT) | instid1(VALU_DEP_1)
	v_or_b32_e32 v7, 0x70000000, v7
	v_mul_f32_e32 v7, 0x7800000, v7
	s_delay_alu instid0(VALU_DEP_1) | instskip(NEXT) | instid1(VALU_DEP_1)
	v_cndmask_b32_e32 v5, v7, v9, vcc_lo
	v_and_or_b32 v3, 0x80000000, v3, v5
	s_delay_alu instid0(VALU_DEP_1)
	v_cvt_i32_f32_e32 v3, v3
.LBB119_3079:
	s_mov_b32 s8, 0
	s_mov_b32 s9, -1
.LBB119_3080:
	s_and_not1_b32 vcc_lo, exec_lo, s8
	s_mov_b32 s8, 0
	s_cbranch_vccnz .LBB119_3091
; %bb.3081:
	s_cmp_gt_i32 s0, 14
	s_cbranch_scc0 .LBB119_3084
; %bb.3082:
	s_cmp_eq_u32 s0, 15
	s_cbranch_scc0 .LBB119_3087
; %bb.3083:
	s_wait_loadcnt 0x0
	global_load_u16 v3, v[44:45], off
	s_mov_b32 s1, 0
	s_mov_b32 s9, -1
	s_wait_loadcnt 0x0
	v_lshlrev_b32_e32 v3, 16, v3
	s_delay_alu instid0(VALU_DEP_1)
	v_cvt_i32_f32_e32 v3, v3
	s_branch .LBB119_3089
.LBB119_3084:
	s_mov_b32 s8, -1
	s_branch .LBB119_3088
.LBB119_3085:
	s_and_not1_saveexec_b32 s8, s8
	s_cbranch_execz .LBB119_3066
.LBB119_3086:
	v_cmp_ne_u16_e32 vcc_lo, 0, v5
	s_and_not1_b32 s9, s9, exec_lo
	s_and_b32 s10, vcc_lo, exec_lo
	s_delay_alu instid0(SALU_CYCLE_1)
	s_or_b32 s9, s9, s10
	s_or_b32 exec_lo, exec_lo, s8
	v_mov_b32_e32 v3, 0
	s_and_saveexec_b32 s8, s9
	s_cbranch_execnz .LBB119_3067
	s_branch .LBB119_3068
.LBB119_3087:
	s_mov_b32 s1, -1
.LBB119_3088:
                                        ; implicit-def: $vgpr3
.LBB119_3089:
	s_and_b32 vcc_lo, exec_lo, s8
	s_mov_b32 s8, 0
	s_cbranch_vccz .LBB119_3091
; %bb.3090:
	s_cmp_lg_u32 s0, 11
	s_mov_b32 s8, -1
	s_cselect_b32 s1, -1, 0
.LBB119_3091:
	s_delay_alu instid0(SALU_CYCLE_1)
	s_and_b32 vcc_lo, exec_lo, s1
	s_cbranch_vccnz .LBB119_3154
; %bb.3092:
	s_and_not1_b32 vcc_lo, exec_lo, s8
	s_cbranch_vccnz .LBB119_3094
.LBB119_3093:
	s_wait_loadcnt 0x0
	global_load_u8 v3, v[44:45], off
	s_mov_b32 s9, -1
	s_wait_loadcnt 0x0
	v_cmp_ne_u16_e32 vcc_lo, 0, v3
	v_cndmask_b32_e64 v3, 0, 1, vcc_lo
.LBB119_3094:
	s_branch .LBB119_3026
.LBB119_3095:
	s_and_b32 s0, 0xffff, s37
	s_delay_alu instid0(SALU_CYCLE_1)
	s_cmp_lt_i32 s0, 5
	s_cbranch_scc1 .LBB119_3100
; %bb.3096:
	s_cmp_lt_i32 s0, 8
	s_cbranch_scc1 .LBB119_3101
; %bb.3097:
	;; [unrolled: 3-line block ×3, first 2 shown]
	s_cmp_gt_i32 s0, 9
	s_cbranch_scc0 .LBB119_3103
; %bb.3099:
	global_load_b64 v[46:47], v[44:45], off
	s_mov_b32 s1, 0
	s_wait_loadcnt 0x0
	v_cvt_i32_f64_e32 v3, v[46:47]
	s_branch .LBB119_3104
.LBB119_3100:
                                        ; implicit-def: $vgpr3
	s_branch .LBB119_3122
.LBB119_3101:
	s_mov_b32 s1, -1
                                        ; implicit-def: $vgpr3
	s_branch .LBB119_3110
.LBB119_3102:
	s_mov_b32 s1, -1
                                        ; implicit-def: $vgpr3
	s_branch .LBB119_3107
.LBB119_3103:
	s_mov_b32 s1, -1
                                        ; implicit-def: $vgpr3
.LBB119_3104:
	s_delay_alu instid0(SALU_CYCLE_1)
	s_and_not1_b32 vcc_lo, exec_lo, s1
	s_cbranch_vccnz .LBB119_3106
; %bb.3105:
	s_wait_loadcnt 0x0
	global_load_b32 v3, v[44:45], off
	s_wait_loadcnt 0x0
	v_cvt_i32_f32_e32 v3, v3
.LBB119_3106:
	s_mov_b32 s1, 0
.LBB119_3107:
	s_delay_alu instid0(SALU_CYCLE_1)
	s_and_not1_b32 vcc_lo, exec_lo, s1
	s_cbranch_vccnz .LBB119_3109
; %bb.3108:
	s_wait_loadcnt 0x0
	global_load_b32 v3, v[44:45], off
	s_wait_loadcnt 0x0
	v_cvt_f32_f16_e32 v3, v3
	s_delay_alu instid0(VALU_DEP_1)
	v_cvt_i32_f32_e32 v3, v3
.LBB119_3109:
	s_mov_b32 s1, 0
.LBB119_3110:
	s_delay_alu instid0(SALU_CYCLE_1)
	s_and_not1_b32 vcc_lo, exec_lo, s1
	s_cbranch_vccnz .LBB119_3121
; %bb.3111:
	s_cmp_lt_i32 s0, 6
	s_cbranch_scc1 .LBB119_3114
; %bb.3112:
	s_cmp_gt_i32 s0, 6
	s_cbranch_scc0 .LBB119_3115
; %bb.3113:
	global_load_b64 v[46:47], v[44:45], off
	s_mov_b32 s1, 0
	s_wait_loadcnt 0x0
	v_cvt_i32_f64_e32 v3, v[46:47]
	s_branch .LBB119_3116
.LBB119_3114:
	s_mov_b32 s1, -1
                                        ; implicit-def: $vgpr3
	s_branch .LBB119_3119
.LBB119_3115:
	s_mov_b32 s1, -1
                                        ; implicit-def: $vgpr3
.LBB119_3116:
	s_delay_alu instid0(SALU_CYCLE_1)
	s_and_not1_b32 vcc_lo, exec_lo, s1
	s_cbranch_vccnz .LBB119_3118
; %bb.3117:
	s_wait_loadcnt 0x0
	global_load_b32 v3, v[44:45], off
	s_wait_loadcnt 0x0
	v_cvt_i32_f32_e32 v3, v3
.LBB119_3118:
	s_mov_b32 s1, 0
.LBB119_3119:
	s_delay_alu instid0(SALU_CYCLE_1)
	s_and_not1_b32 vcc_lo, exec_lo, s1
	s_cbranch_vccnz .LBB119_3121
; %bb.3120:
	s_wait_loadcnt 0x0
	global_load_u16 v3, v[44:45], off
	s_wait_loadcnt 0x0
	v_cvt_f32_f16_e32 v3, v3
	s_delay_alu instid0(VALU_DEP_1)
	v_cvt_i32_f32_e32 v3, v3
.LBB119_3121:
	s_cbranch_execnz .LBB119_3141
.LBB119_3122:
	s_cmp_lt_i32 s0, 2
	s_cbranch_scc1 .LBB119_3126
; %bb.3123:
	s_cmp_lt_i32 s0, 3
	s_cbranch_scc1 .LBB119_3127
; %bb.3124:
	s_cmp_gt_i32 s0, 3
	s_cbranch_scc0 .LBB119_3128
; %bb.3125:
	s_wait_loadcnt 0x0
	global_load_b32 v3, v[44:45], off
	s_mov_b32 s1, 0
	s_branch .LBB119_3129
.LBB119_3126:
	s_mov_b32 s1, -1
                                        ; implicit-def: $vgpr3
	s_branch .LBB119_3135
.LBB119_3127:
	s_mov_b32 s1, -1
                                        ; implicit-def: $vgpr3
	s_branch .LBB119_3132
.LBB119_3128:
	s_mov_b32 s1, -1
                                        ; implicit-def: $vgpr3
.LBB119_3129:
	s_delay_alu instid0(SALU_CYCLE_1)
	s_and_not1_b32 vcc_lo, exec_lo, s1
	s_cbranch_vccnz .LBB119_3131
; %bb.3130:
	s_wait_loadcnt 0x0
	global_load_b32 v3, v[44:45], off
.LBB119_3131:
	s_mov_b32 s1, 0
.LBB119_3132:
	s_delay_alu instid0(SALU_CYCLE_1)
	s_and_not1_b32 vcc_lo, exec_lo, s1
	s_cbranch_vccnz .LBB119_3134
; %bb.3133:
	s_wait_loadcnt 0x0
	global_load_i16 v3, v[44:45], off
.LBB119_3134:
	s_mov_b32 s1, 0
.LBB119_3135:
	s_delay_alu instid0(SALU_CYCLE_1)
	s_and_not1_b32 vcc_lo, exec_lo, s1
	s_cbranch_vccnz .LBB119_3141
; %bb.3136:
	s_cmp_gt_i32 s0, 0
	s_mov_b32 s0, 0
	s_cbranch_scc0 .LBB119_3138
; %bb.3137:
	s_wait_loadcnt 0x0
	global_load_i8 v3, v[44:45], off
	s_branch .LBB119_3139
.LBB119_3138:
	s_mov_b32 s0, -1
                                        ; implicit-def: $vgpr3
.LBB119_3139:
	s_delay_alu instid0(SALU_CYCLE_1)
	s_and_not1_b32 vcc_lo, exec_lo, s0
	s_cbranch_vccnz .LBB119_3141
; %bb.3140:
	s_wait_loadcnt 0x0
	global_load_u8 v3, v[44:45], off
.LBB119_3141:
.LBB119_3142:
	v_mov_b32_e32 v43, 0
	s_load_b64 s[14:15], s[2:3], 0x260
	global_load_u8 v5, v43, s[2:3] offset:691
	s_wait_kmcnt 0x0
	v_add_nc_u64_e32 v[44:45], s[14:15], v[42:43]
	s_wait_loadcnt 0x0
	v_and_b32_e32 v7, 0xffff, v5
	v_readfirstlane_b32 s49, v5
	s_delay_alu instid0(VALU_DEP_2)
	v_cmp_gt_i32_e32 vcc_lo, 11, v7
	s_cbranch_vccnz .LBB119_3149
; %bb.3143:
	s_and_b32 s0, 0xffff, s49
	s_mov_b32 s8, 0
	s_cmp_gt_i32 s0, 25
	s_cbranch_scc0 .LBB119_3151
; %bb.3144:
	s_cmp_gt_i32 s0, 28
	s_cbranch_scc0 .LBB119_3152
; %bb.3145:
	;; [unrolled: 3-line block ×4, first 2 shown]
	s_cmp_eq_u32 s0, 46
	s_mov_b32 s10, 0
	s_cbranch_scc0 .LBB119_3156
; %bb.3148:
	global_load_b32 v5, v[44:45], off
	s_mov_b32 s1, 0
	s_mov_b32 s9, -1
	s_wait_loadcnt 0x0
	v_lshlrev_b32_e32 v5, 16, v5
	s_delay_alu instid0(VALU_DEP_1)
	v_cvt_i32_f32_e32 v42, v5
	s_branch .LBB119_3158
.LBB119_3149:
	s_mov_b32 s9, 0
                                        ; implicit-def: $vgpr42
	s_cbranch_execnz .LBB119_3220
.LBB119_3150:
	s_and_not1_b32 vcc_lo, exec_lo, s9
	s_cbranch_vccnz .LBB119_3530
	s_branch .LBB119_3268
.LBB119_3151:
	s_mov_b32 s10, -1
	s_mov_b32 s9, 0
	s_mov_b32 s1, 0
                                        ; implicit-def: $vgpr42
	s_branch .LBB119_3185
.LBB119_3152:
	s_mov_b32 s10, -1
	s_mov_b32 s9, 0
	s_mov_b32 s1, 0
                                        ; implicit-def: $vgpr42
	s_branch .LBB119_3168
.LBB119_3153:
	s_mov_b32 s10, -1
	s_mov_b32 s9, 0
	s_mov_b32 s1, 0
                                        ; implicit-def: $vgpr42
	s_branch .LBB119_3163
.LBB119_3154:
	s_or_b32 s33, s33, exec_lo
	s_trap 2
	s_cbranch_execz .LBB119_3093
	s_branch .LBB119_3094
.LBB119_3155:
	s_mov_b32 s10, -1
	s_mov_b32 s9, 0
	s_mov_b32 s1, 0
	s_branch .LBB119_3157
.LBB119_3156:
	s_mov_b32 s1, -1
	s_mov_b32 s9, 0
.LBB119_3157:
                                        ; implicit-def: $vgpr42
.LBB119_3158:
	s_and_b32 vcc_lo, exec_lo, s10
	s_cbranch_vccz .LBB119_3162
; %bb.3159:
	s_cmp_eq_u32 s0, 44
	s_cbranch_scc0 .LBB119_3161
; %bb.3160:
	global_load_u8 v5, v[44:45], off
	s_mov_b32 s1, 0
	s_mov_b32 s9, -1
	s_wait_loadcnt 0x0
	v_lshlrev_b32_e32 v7, 23, v5
	v_cmp_ne_u32_e32 vcc_lo, 0, v5
	s_delay_alu instid0(VALU_DEP_2) | instskip(NEXT) | instid1(VALU_DEP_1)
	v_cvt_i32_f32_e32 v7, v7
	v_cndmask_b32_e32 v42, 0, v7, vcc_lo
	s_branch .LBB119_3162
.LBB119_3161:
	s_mov_b32 s1, -1
                                        ; implicit-def: $vgpr42
.LBB119_3162:
	s_mov_b32 s10, 0
.LBB119_3163:
	s_delay_alu instid0(SALU_CYCLE_1)
	s_and_b32 vcc_lo, exec_lo, s10
	s_cbranch_vccz .LBB119_3167
; %bb.3164:
	s_cmp_eq_u32 s0, 29
	s_cbranch_scc0 .LBB119_3166
; %bb.3165:
	global_load_b32 v42, v[44:45], off
	s_mov_b32 s1, 0
	s_mov_b32 s9, -1
	s_branch .LBB119_3167
.LBB119_3166:
	s_mov_b32 s1, -1
                                        ; implicit-def: $vgpr42
.LBB119_3167:
	s_mov_b32 s10, 0
.LBB119_3168:
	s_delay_alu instid0(SALU_CYCLE_1)
	s_and_b32 vcc_lo, exec_lo, s10
	s_cbranch_vccz .LBB119_3184
; %bb.3169:
	s_cmp_lt_i32 s0, 27
	s_cbranch_scc1 .LBB119_3172
; %bb.3170:
	s_cmp_gt_i32 s0, 27
	s_cbranch_scc0 .LBB119_3173
; %bb.3171:
	s_wait_loadcnt 0x0
	global_load_b32 v42, v[44:45], off
	s_mov_b32 s9, 0
	s_branch .LBB119_3174
.LBB119_3172:
	s_mov_b32 s9, -1
                                        ; implicit-def: $vgpr42
	s_branch .LBB119_3177
.LBB119_3173:
	s_mov_b32 s9, -1
                                        ; implicit-def: $vgpr42
.LBB119_3174:
	s_delay_alu instid0(SALU_CYCLE_1)
	s_and_not1_b32 vcc_lo, exec_lo, s9
	s_cbranch_vccnz .LBB119_3176
; %bb.3175:
	s_wait_loadcnt 0x0
	global_load_u16 v42, v[44:45], off
.LBB119_3176:
	s_mov_b32 s9, 0
.LBB119_3177:
	s_delay_alu instid0(SALU_CYCLE_1)
	s_and_not1_b32 vcc_lo, exec_lo, s9
	s_cbranch_vccnz .LBB119_3183
; %bb.3178:
	global_load_u8 v5, v[44:45], off
	s_mov_b32 s10, 0
	s_mov_b32 s9, exec_lo
	s_wait_loadcnt 0x0
	v_cmpx_lt_i16_e32 0x7f, v5
	s_xor_b32 s9, exec_lo, s9
	s_cbranch_execz .LBB119_3195
; %bb.3179:
	v_cmp_ne_u16_e32 vcc_lo, 0x80, v5
	s_and_b32 s10, vcc_lo, exec_lo
	s_and_not1_saveexec_b32 s9, s9
	s_cbranch_execnz .LBB119_3196
.LBB119_3180:
	s_or_b32 exec_lo, exec_lo, s9
	v_mov_b32_e32 v42, 0
	s_and_saveexec_b32 s9, s10
	s_cbranch_execz .LBB119_3182
.LBB119_3181:
	v_and_b32_e32 v7, 0xffff, v5
	s_delay_alu instid0(VALU_DEP_1) | instskip(SKIP_1) | instid1(VALU_DEP_2)
	v_dual_lshlrev_b32 v5, 24, v5 :: v_dual_bitop2_b32 v9, 7, v7 bitop3:0x40
	v_bfe_u32 v15, v7, 3, 4
	v_and_b32_e32 v5, 0x80000000, v5
	s_delay_alu instid0(VALU_DEP_3) | instskip(NEXT) | instid1(VALU_DEP_3)
	v_clz_i32_u32_e32 v11, v9
	v_cmp_eq_u32_e32 vcc_lo, 0, v15
	s_delay_alu instid0(VALU_DEP_2) | instskip(NEXT) | instid1(VALU_DEP_1)
	v_min_u32_e32 v11, 32, v11
	v_subrev_nc_u32_e32 v13, 28, v11
	v_sub_nc_u32_e32 v11, 29, v11
	s_delay_alu instid0(VALU_DEP_2) | instskip(NEXT) | instid1(VALU_DEP_2)
	v_lshlrev_b32_e32 v7, v13, v7
	v_cndmask_b32_e32 v11, v15, v11, vcc_lo
	s_delay_alu instid0(VALU_DEP_2) | instskip(NEXT) | instid1(VALU_DEP_1)
	v_and_b32_e32 v7, 7, v7
	v_cndmask_b32_e32 v7, v9, v7, vcc_lo
	s_delay_alu instid0(VALU_DEP_3) | instskip(NEXT) | instid1(VALU_DEP_2)
	v_lshl_add_u32 v9, v11, 23, 0x3b800000
	v_lshlrev_b32_e32 v7, 20, v7
	s_delay_alu instid0(VALU_DEP_1) | instskip(NEXT) | instid1(VALU_DEP_1)
	v_or3_b32 v5, v5, v9, v7
	v_cvt_i32_f32_e32 v42, v5
.LBB119_3182:
	s_or_b32 exec_lo, exec_lo, s9
.LBB119_3183:
	s_mov_b32 s9, -1
.LBB119_3184:
	s_mov_b32 s10, 0
.LBB119_3185:
	s_delay_alu instid0(SALU_CYCLE_1)
	s_and_b32 vcc_lo, exec_lo, s10
	s_cbranch_vccz .LBB119_3216
; %bb.3186:
	s_cmp_gt_i32 s0, 22
	s_cbranch_scc0 .LBB119_3194
; %bb.3187:
	s_cmp_lt_i32 s0, 24
	s_cbranch_scc1 .LBB119_3197
; %bb.3188:
	s_cmp_gt_i32 s0, 24
	s_cbranch_scc0 .LBB119_3198
; %bb.3189:
	global_load_u8 v5, v[44:45], off
	s_mov_b32 s9, 0
	s_mov_b32 s8, exec_lo
	s_wait_loadcnt 0x0
	v_cmpx_lt_i16_e32 0x7f, v5
	s_xor_b32 s8, exec_lo, s8
	s_cbranch_execz .LBB119_3210
; %bb.3190:
	v_cmp_ne_u16_e32 vcc_lo, 0x80, v5
	s_and_b32 s9, vcc_lo, exec_lo
	s_and_not1_saveexec_b32 s8, s8
	s_cbranch_execnz .LBB119_3211
.LBB119_3191:
	s_or_b32 exec_lo, exec_lo, s8
	v_mov_b32_e32 v42, 0
	s_and_saveexec_b32 s8, s9
	s_cbranch_execz .LBB119_3193
.LBB119_3192:
	v_and_b32_e32 v7, 0xffff, v5
	s_delay_alu instid0(VALU_DEP_1) | instskip(SKIP_1) | instid1(VALU_DEP_2)
	v_dual_lshlrev_b32 v5, 24, v5 :: v_dual_bitop2_b32 v9, 3, v7 bitop3:0x40
	v_bfe_u32 v15, v7, 2, 5
	v_and_b32_e32 v5, 0x80000000, v5
	s_delay_alu instid0(VALU_DEP_3) | instskip(NEXT) | instid1(VALU_DEP_3)
	v_clz_i32_u32_e32 v11, v9
	v_cmp_eq_u32_e32 vcc_lo, 0, v15
	s_delay_alu instid0(VALU_DEP_2) | instskip(NEXT) | instid1(VALU_DEP_1)
	v_min_u32_e32 v11, 32, v11
	v_subrev_nc_u32_e32 v13, 29, v11
	v_sub_nc_u32_e32 v11, 30, v11
	s_delay_alu instid0(VALU_DEP_2) | instskip(NEXT) | instid1(VALU_DEP_2)
	v_lshlrev_b32_e32 v7, v13, v7
	v_cndmask_b32_e32 v11, v15, v11, vcc_lo
	s_delay_alu instid0(VALU_DEP_2) | instskip(NEXT) | instid1(VALU_DEP_1)
	v_and_b32_e32 v7, 3, v7
	v_cndmask_b32_e32 v7, v9, v7, vcc_lo
	s_delay_alu instid0(VALU_DEP_3) | instskip(NEXT) | instid1(VALU_DEP_2)
	v_lshl_add_u32 v9, v11, 23, 0x37800000
	v_lshlrev_b32_e32 v7, 21, v7
	s_delay_alu instid0(VALU_DEP_1) | instskip(NEXT) | instid1(VALU_DEP_1)
	v_or3_b32 v5, v5, v9, v7
	v_cvt_i32_f32_e32 v42, v5
.LBB119_3193:
	s_or_b32 exec_lo, exec_lo, s8
	s_mov_b32 s8, 0
	s_branch .LBB119_3199
.LBB119_3194:
	s_mov_b32 s8, -1
                                        ; implicit-def: $vgpr42
	s_branch .LBB119_3205
.LBB119_3195:
	s_and_not1_saveexec_b32 s9, s9
	s_cbranch_execz .LBB119_3180
.LBB119_3196:
	v_cmp_ne_u16_e32 vcc_lo, 0, v5
	s_and_not1_b32 s10, s10, exec_lo
	s_and_b32 s11, vcc_lo, exec_lo
	s_delay_alu instid0(SALU_CYCLE_1)
	s_or_b32 s10, s10, s11
	s_or_b32 exec_lo, exec_lo, s9
	v_mov_b32_e32 v42, 0
	s_and_saveexec_b32 s9, s10
	s_cbranch_execnz .LBB119_3181
	s_branch .LBB119_3182
.LBB119_3197:
	s_mov_b32 s8, -1
                                        ; implicit-def: $vgpr42
	s_branch .LBB119_3202
.LBB119_3198:
	s_mov_b32 s8, -1
                                        ; implicit-def: $vgpr42
.LBB119_3199:
	s_delay_alu instid0(SALU_CYCLE_1)
	s_and_b32 vcc_lo, exec_lo, s8
	s_cbranch_vccz .LBB119_3201
; %bb.3200:
	global_load_u8 v5, v[44:45], off
	s_wait_loadcnt 0x0
	v_lshlrev_b32_e32 v5, 24, v5
	s_delay_alu instid0(VALU_DEP_1) | instskip(NEXT) | instid1(VALU_DEP_1)
	v_and_b32_e32 v7, 0x7f000000, v5
	v_clz_i32_u32_e32 v9, v7
	v_add_nc_u32_e32 v13, 0x1000000, v7
	v_cmp_ne_u32_e32 vcc_lo, 0, v7
	s_delay_alu instid0(VALU_DEP_3) | instskip(NEXT) | instid1(VALU_DEP_1)
	v_min_u32_e32 v9, 32, v9
	v_sub_nc_u32_e64 v9, v9, 4 clamp
	s_delay_alu instid0(VALU_DEP_1) | instskip(NEXT) | instid1(VALU_DEP_1)
	v_dual_lshlrev_b32 v11, v9, v7 :: v_dual_lshlrev_b32 v9, 23, v9
	v_lshrrev_b32_e32 v11, 4, v11
	s_delay_alu instid0(VALU_DEP_1) | instskip(SKIP_1) | instid1(VALU_DEP_2)
	v_sub_nc_u32_e32 v9, v11, v9
	v_ashrrev_i32_e32 v11, 8, v13
	v_add_nc_u32_e32 v9, 0x3c000000, v9
	s_delay_alu instid0(VALU_DEP_1) | instskip(NEXT) | instid1(VALU_DEP_1)
	v_and_or_b32 v9, 0x7f800000, v11, v9
	v_cndmask_b32_e32 v7, 0, v9, vcc_lo
	s_delay_alu instid0(VALU_DEP_1) | instskip(NEXT) | instid1(VALU_DEP_1)
	v_and_or_b32 v5, 0x80000000, v5, v7
	v_cvt_i32_f32_e32 v42, v5
.LBB119_3201:
	s_mov_b32 s8, 0
.LBB119_3202:
	s_delay_alu instid0(SALU_CYCLE_1)
	s_and_not1_b32 vcc_lo, exec_lo, s8
	s_cbranch_vccnz .LBB119_3204
; %bb.3203:
	global_load_u8 v5, v[44:45], off
	s_wait_loadcnt 0x0
	v_lshlrev_b32_e32 v7, 25, v5
	v_lshlrev_b16 v5, 8, v5
	s_delay_alu instid0(VALU_DEP_1) | instskip(SKIP_1) | instid1(VALU_DEP_2)
	v_and_or_b32 v11, 0x7f00, v5, 0.5
	v_bfe_i32 v5, v5, 0, 16
	v_add_f32_e32 v11, -0.5, v11
	v_lshrrev_b32_e32 v9, 4, v7
	v_cmp_gt_u32_e32 vcc_lo, 0x8000000, v7
	s_delay_alu instid0(VALU_DEP_2) | instskip(NEXT) | instid1(VALU_DEP_1)
	v_or_b32_e32 v9, 0x70000000, v9
	v_mul_f32_e32 v9, 0x7800000, v9
	s_delay_alu instid0(VALU_DEP_1) | instskip(NEXT) | instid1(VALU_DEP_1)
	v_cndmask_b32_e32 v7, v9, v11, vcc_lo
	v_and_or_b32 v5, 0x80000000, v5, v7
	s_delay_alu instid0(VALU_DEP_1)
	v_cvt_i32_f32_e32 v42, v5
.LBB119_3204:
	s_mov_b32 s8, 0
	s_mov_b32 s9, -1
.LBB119_3205:
	s_and_not1_b32 vcc_lo, exec_lo, s8
	s_mov_b32 s8, 0
	s_cbranch_vccnz .LBB119_3216
; %bb.3206:
	s_cmp_gt_i32 s0, 14
	s_cbranch_scc0 .LBB119_3209
; %bb.3207:
	s_cmp_eq_u32 s0, 15
	s_cbranch_scc0 .LBB119_3212
; %bb.3208:
	global_load_u16 v5, v[44:45], off
	s_mov_b32 s1, 0
	s_mov_b32 s9, -1
	s_wait_loadcnt 0x0
	v_lshlrev_b32_e32 v5, 16, v5
	s_delay_alu instid0(VALU_DEP_1)
	v_cvt_i32_f32_e32 v42, v5
	s_branch .LBB119_3214
.LBB119_3209:
	s_mov_b32 s8, -1
	s_branch .LBB119_3213
.LBB119_3210:
	s_and_not1_saveexec_b32 s8, s8
	s_cbranch_execz .LBB119_3191
.LBB119_3211:
	v_cmp_ne_u16_e32 vcc_lo, 0, v5
	s_and_not1_b32 s9, s9, exec_lo
	s_and_b32 s10, vcc_lo, exec_lo
	s_delay_alu instid0(SALU_CYCLE_1)
	s_or_b32 s9, s9, s10
	s_or_b32 exec_lo, exec_lo, s8
	v_mov_b32_e32 v42, 0
	s_and_saveexec_b32 s8, s9
	s_cbranch_execnz .LBB119_3192
	s_branch .LBB119_3193
.LBB119_3212:
	s_mov_b32 s1, -1
.LBB119_3213:
                                        ; implicit-def: $vgpr42
.LBB119_3214:
	s_and_b32 vcc_lo, exec_lo, s8
	s_mov_b32 s8, 0
	s_cbranch_vccz .LBB119_3216
; %bb.3215:
	s_cmp_lg_u32 s0, 11
	s_mov_b32 s8, -1
	s_cselect_b32 s1, -1, 0
.LBB119_3216:
	s_delay_alu instid0(SALU_CYCLE_1)
	s_and_b32 vcc_lo, exec_lo, s1
	s_cbranch_vccnz .LBB119_3279
; %bb.3217:
	s_and_not1_b32 vcc_lo, exec_lo, s8
	s_cbranch_vccnz .LBB119_3219
.LBB119_3218:
	global_load_u8 v5, v[44:45], off
	s_mov_b32 s9, -1
	s_wait_loadcnt 0x0
	v_cmp_ne_u16_e32 vcc_lo, 0, v5
	v_cndmask_b32_e64 v42, 0, 1, vcc_lo
.LBB119_3219:
	s_branch .LBB119_3150
.LBB119_3220:
	s_and_b32 s0, 0xffff, s49
	s_delay_alu instid0(SALU_CYCLE_1)
	s_cmp_lt_i32 s0, 5
	s_cbranch_scc1 .LBB119_3225
; %bb.3221:
	s_cmp_lt_i32 s0, 8
	s_cbranch_scc1 .LBB119_3226
; %bb.3222:
	;; [unrolled: 3-line block ×3, first 2 shown]
	s_cmp_gt_i32 s0, 9
	s_cbranch_scc0 .LBB119_3228
; %bb.3224:
	s_wait_loadcnt 0x0
	global_load_b64 v[42:43], v[44:45], off
	s_mov_b32 s1, 0
	s_wait_loadcnt 0x0
	v_cvt_i32_f64_e32 v42, v[42:43]
	s_branch .LBB119_3229
.LBB119_3225:
	s_mov_b32 s1, -1
                                        ; implicit-def: $vgpr42
	s_branch .LBB119_3247
.LBB119_3226:
	s_mov_b32 s1, -1
                                        ; implicit-def: $vgpr42
	s_branch .LBB119_3235
.LBB119_3227:
	s_mov_b32 s1, -1
                                        ; implicit-def: $vgpr42
	s_branch .LBB119_3232
.LBB119_3228:
	s_mov_b32 s1, -1
                                        ; implicit-def: $vgpr42
.LBB119_3229:
	s_delay_alu instid0(SALU_CYCLE_1)
	s_and_not1_b32 vcc_lo, exec_lo, s1
	s_cbranch_vccnz .LBB119_3231
; %bb.3230:
	global_load_b32 v5, v[44:45], off
	s_wait_loadcnt 0x0
	v_cvt_i32_f32_e32 v42, v5
.LBB119_3231:
	s_mov_b32 s1, 0
.LBB119_3232:
	s_delay_alu instid0(SALU_CYCLE_1)
	s_and_not1_b32 vcc_lo, exec_lo, s1
	s_cbranch_vccnz .LBB119_3234
; %bb.3233:
	global_load_b32 v5, v[44:45], off
	s_wait_loadcnt 0x0
	v_cvt_f32_f16_e32 v5, v5
	s_delay_alu instid0(VALU_DEP_1)
	v_cvt_i32_f32_e32 v42, v5
.LBB119_3234:
	s_mov_b32 s1, 0
.LBB119_3235:
	s_delay_alu instid0(SALU_CYCLE_1)
	s_and_not1_b32 vcc_lo, exec_lo, s1
	s_cbranch_vccnz .LBB119_3246
; %bb.3236:
	s_cmp_lt_i32 s0, 6
	s_cbranch_scc1 .LBB119_3239
; %bb.3237:
	s_cmp_gt_i32 s0, 6
	s_cbranch_scc0 .LBB119_3240
; %bb.3238:
	s_wait_loadcnt 0x0
	global_load_b64 v[42:43], v[44:45], off
	s_mov_b32 s1, 0
	s_wait_loadcnt 0x0
	v_cvt_i32_f64_e32 v42, v[42:43]
	s_branch .LBB119_3241
.LBB119_3239:
	s_mov_b32 s1, -1
                                        ; implicit-def: $vgpr42
	s_branch .LBB119_3244
.LBB119_3240:
	s_mov_b32 s1, -1
                                        ; implicit-def: $vgpr42
.LBB119_3241:
	s_delay_alu instid0(SALU_CYCLE_1)
	s_and_not1_b32 vcc_lo, exec_lo, s1
	s_cbranch_vccnz .LBB119_3243
; %bb.3242:
	global_load_b32 v5, v[44:45], off
	s_wait_loadcnt 0x0
	v_cvt_i32_f32_e32 v42, v5
.LBB119_3243:
	s_mov_b32 s1, 0
.LBB119_3244:
	s_delay_alu instid0(SALU_CYCLE_1)
	s_and_not1_b32 vcc_lo, exec_lo, s1
	s_cbranch_vccnz .LBB119_3246
; %bb.3245:
	global_load_u16 v5, v[44:45], off
	s_wait_loadcnt 0x0
	v_cvt_f32_f16_e32 v5, v5
	s_delay_alu instid0(VALU_DEP_1)
	v_cvt_i32_f32_e32 v42, v5
.LBB119_3246:
	s_mov_b32 s1, 0
.LBB119_3247:
	s_delay_alu instid0(SALU_CYCLE_1)
	s_and_not1_b32 vcc_lo, exec_lo, s1
	s_cbranch_vccnz .LBB119_3267
; %bb.3248:
	s_cmp_lt_i32 s0, 2
	s_cbranch_scc1 .LBB119_3252
; %bb.3249:
	s_cmp_lt_i32 s0, 3
	s_cbranch_scc1 .LBB119_3253
; %bb.3250:
	s_cmp_gt_i32 s0, 3
	s_cbranch_scc0 .LBB119_3254
; %bb.3251:
	s_wait_loadcnt 0x0
	global_load_b32 v42, v[44:45], off
	s_mov_b32 s1, 0
	s_branch .LBB119_3255
.LBB119_3252:
	s_mov_b32 s1, -1
                                        ; implicit-def: $vgpr42
	s_branch .LBB119_3261
.LBB119_3253:
	s_mov_b32 s1, -1
                                        ; implicit-def: $vgpr42
	s_branch .LBB119_3258
.LBB119_3254:
	s_mov_b32 s1, -1
                                        ; implicit-def: $vgpr42
.LBB119_3255:
	s_delay_alu instid0(SALU_CYCLE_1)
	s_and_not1_b32 vcc_lo, exec_lo, s1
	s_cbranch_vccnz .LBB119_3257
; %bb.3256:
	s_wait_loadcnt 0x0
	global_load_b32 v42, v[44:45], off
.LBB119_3257:
	s_mov_b32 s1, 0
.LBB119_3258:
	s_delay_alu instid0(SALU_CYCLE_1)
	s_and_not1_b32 vcc_lo, exec_lo, s1
	s_cbranch_vccnz .LBB119_3260
; %bb.3259:
	s_wait_loadcnt 0x0
	global_load_i16 v42, v[44:45], off
.LBB119_3260:
	s_mov_b32 s1, 0
.LBB119_3261:
	s_delay_alu instid0(SALU_CYCLE_1)
	s_and_not1_b32 vcc_lo, exec_lo, s1
	s_cbranch_vccnz .LBB119_3267
; %bb.3262:
	s_cmp_gt_i32 s0, 0
	s_mov_b32 s0, 0
	s_cbranch_scc0 .LBB119_3264
; %bb.3263:
	s_wait_loadcnt 0x0
	global_load_i8 v42, v[44:45], off
	s_branch .LBB119_3265
.LBB119_3264:
	s_mov_b32 s0, -1
                                        ; implicit-def: $vgpr42
.LBB119_3265:
	s_delay_alu instid0(SALU_CYCLE_1)
	s_and_not1_b32 vcc_lo, exec_lo, s0
	s_cbranch_vccnz .LBB119_3267
; %bb.3266:
	s_wait_loadcnt 0x0
	global_load_u8 v42, v[44:45], off
.LBB119_3267:
.LBB119_3268:
	s_clause 0x1
	s_load_b64 s[16:17], s[2:3], 0x268
	s_load_b32 s0, s[2:3], 0x2b4
	v_mov_b32_e32 v41, 0
	s_wait_kmcnt 0x0
	s_delay_alu instid0(VALU_DEP_1) | instskip(SKIP_1) | instid1(SALU_CYCLE_1)
	v_add_nc_u64_e32 v[44:45], s[16:17], v[40:41]
	s_and_b32 s50, s0, 0xff
	s_cmp_lt_i32 s50, 11
	s_cbranch_scc1 .LBB119_3275
; %bb.3269:
	s_and_b32 s0, 0xffff, s50
	s_mov_b32 s8, 0
	s_cmp_gt_i32 s0, 25
	s_cbranch_scc0 .LBB119_3276
; %bb.3270:
	s_cmp_gt_i32 s0, 28
	s_cbranch_scc0 .LBB119_3277
; %bb.3271:
	;; [unrolled: 3-line block ×4, first 2 shown]
	s_cmp_eq_u32 s0, 46
	s_mov_b32 s10, 0
	s_cbranch_scc0 .LBB119_3281
; %bb.3274:
	global_load_b32 v5, v[44:45], off
	s_mov_b32 s1, 0
	s_mov_b32 s9, -1
	s_wait_loadcnt 0x0
	v_lshlrev_b32_e32 v5, 16, v5
	s_delay_alu instid0(VALU_DEP_1)
	v_cvt_i32_f32_e32 v40, v5
	s_branch .LBB119_3283
.LBB119_3275:
	s_mov_b32 s0, -1
	s_mov_b32 s9, 0
                                        ; implicit-def: $vgpr40
	s_branch .LBB119_3345
.LBB119_3276:
	s_mov_b32 s10, -1
	s_mov_b32 s9, 0
	s_mov_b32 s1, 0
                                        ; implicit-def: $vgpr40
	s_branch .LBB119_3310
.LBB119_3277:
	s_mov_b32 s10, -1
	s_mov_b32 s9, 0
	s_mov_b32 s1, 0
                                        ; implicit-def: $vgpr40
	s_branch .LBB119_3293
.LBB119_3278:
	s_mov_b32 s10, -1
	s_mov_b32 s9, 0
	s_mov_b32 s1, 0
                                        ; implicit-def: $vgpr40
	s_branch .LBB119_3288
.LBB119_3279:
	s_or_b32 s33, s33, exec_lo
	s_trap 2
	s_cbranch_execz .LBB119_3218
	s_branch .LBB119_3219
.LBB119_3280:
	s_mov_b32 s10, -1
	s_mov_b32 s9, 0
	s_mov_b32 s1, 0
	s_branch .LBB119_3282
.LBB119_3281:
	s_mov_b32 s1, -1
	s_mov_b32 s9, 0
.LBB119_3282:
                                        ; implicit-def: $vgpr40
.LBB119_3283:
	s_and_b32 vcc_lo, exec_lo, s10
	s_cbranch_vccz .LBB119_3287
; %bb.3284:
	s_cmp_eq_u32 s0, 44
	s_cbranch_scc0 .LBB119_3286
; %bb.3285:
	global_load_u8 v5, v[44:45], off
	s_mov_b32 s1, 0
	s_mov_b32 s9, -1
	s_wait_loadcnt 0x0
	v_lshlrev_b32_e32 v7, 23, v5
	v_cmp_ne_u32_e32 vcc_lo, 0, v5
	s_delay_alu instid0(VALU_DEP_2) | instskip(NEXT) | instid1(VALU_DEP_1)
	v_cvt_i32_f32_e32 v7, v7
	v_cndmask_b32_e32 v40, 0, v7, vcc_lo
	s_branch .LBB119_3287
.LBB119_3286:
	s_mov_b32 s1, -1
                                        ; implicit-def: $vgpr40
.LBB119_3287:
	s_mov_b32 s10, 0
.LBB119_3288:
	s_delay_alu instid0(SALU_CYCLE_1)
	s_and_b32 vcc_lo, exec_lo, s10
	s_cbranch_vccz .LBB119_3292
; %bb.3289:
	s_cmp_eq_u32 s0, 29
	s_cbranch_scc0 .LBB119_3291
; %bb.3290:
	global_load_b32 v40, v[44:45], off
	s_mov_b32 s1, 0
	s_mov_b32 s9, -1
	s_branch .LBB119_3292
.LBB119_3291:
	s_mov_b32 s1, -1
                                        ; implicit-def: $vgpr40
.LBB119_3292:
	s_mov_b32 s10, 0
.LBB119_3293:
	s_delay_alu instid0(SALU_CYCLE_1)
	s_and_b32 vcc_lo, exec_lo, s10
	s_cbranch_vccz .LBB119_3309
; %bb.3294:
	s_cmp_lt_i32 s0, 27
	s_cbranch_scc1 .LBB119_3297
; %bb.3295:
	s_cmp_gt_i32 s0, 27
	s_cbranch_scc0 .LBB119_3298
; %bb.3296:
	s_wait_loadcnt 0x0
	global_load_b32 v40, v[44:45], off
	s_mov_b32 s9, 0
	s_branch .LBB119_3299
.LBB119_3297:
	s_mov_b32 s9, -1
                                        ; implicit-def: $vgpr40
	s_branch .LBB119_3302
.LBB119_3298:
	s_mov_b32 s9, -1
                                        ; implicit-def: $vgpr40
.LBB119_3299:
	s_delay_alu instid0(SALU_CYCLE_1)
	s_and_not1_b32 vcc_lo, exec_lo, s9
	s_cbranch_vccnz .LBB119_3301
; %bb.3300:
	s_wait_loadcnt 0x0
	global_load_u16 v40, v[44:45], off
.LBB119_3301:
	s_mov_b32 s9, 0
.LBB119_3302:
	s_delay_alu instid0(SALU_CYCLE_1)
	s_and_not1_b32 vcc_lo, exec_lo, s9
	s_cbranch_vccnz .LBB119_3308
; %bb.3303:
	global_load_u8 v5, v[44:45], off
	s_mov_b32 s10, 0
	s_mov_b32 s9, exec_lo
	s_wait_loadcnt 0x0
	v_cmpx_lt_i16_e32 0x7f, v5
	s_xor_b32 s9, exec_lo, s9
	s_cbranch_execz .LBB119_3320
; %bb.3304:
	v_cmp_ne_u16_e32 vcc_lo, 0x80, v5
	s_and_b32 s10, vcc_lo, exec_lo
	s_and_not1_saveexec_b32 s9, s9
	s_cbranch_execnz .LBB119_3321
.LBB119_3305:
	s_or_b32 exec_lo, exec_lo, s9
	v_mov_b32_e32 v40, 0
	s_and_saveexec_b32 s9, s10
	s_cbranch_execz .LBB119_3307
.LBB119_3306:
	v_and_b32_e32 v7, 0xffff, v5
	s_delay_alu instid0(VALU_DEP_1) | instskip(SKIP_1) | instid1(VALU_DEP_2)
	v_dual_lshlrev_b32 v5, 24, v5 :: v_dual_bitop2_b32 v9, 7, v7 bitop3:0x40
	v_bfe_u32 v15, v7, 3, 4
	v_and_b32_e32 v5, 0x80000000, v5
	s_delay_alu instid0(VALU_DEP_3) | instskip(NEXT) | instid1(VALU_DEP_3)
	v_clz_i32_u32_e32 v11, v9
	v_cmp_eq_u32_e32 vcc_lo, 0, v15
	s_delay_alu instid0(VALU_DEP_2) | instskip(NEXT) | instid1(VALU_DEP_1)
	v_min_u32_e32 v11, 32, v11
	v_subrev_nc_u32_e32 v13, 28, v11
	v_sub_nc_u32_e32 v11, 29, v11
	s_delay_alu instid0(VALU_DEP_2) | instskip(NEXT) | instid1(VALU_DEP_2)
	v_lshlrev_b32_e32 v7, v13, v7
	v_cndmask_b32_e32 v11, v15, v11, vcc_lo
	s_delay_alu instid0(VALU_DEP_2) | instskip(NEXT) | instid1(VALU_DEP_1)
	v_and_b32_e32 v7, 7, v7
	v_cndmask_b32_e32 v7, v9, v7, vcc_lo
	s_delay_alu instid0(VALU_DEP_3) | instskip(NEXT) | instid1(VALU_DEP_2)
	v_lshl_add_u32 v9, v11, 23, 0x3b800000
	v_lshlrev_b32_e32 v7, 20, v7
	s_delay_alu instid0(VALU_DEP_1) | instskip(NEXT) | instid1(VALU_DEP_1)
	v_or3_b32 v5, v5, v9, v7
	v_cvt_i32_f32_e32 v40, v5
.LBB119_3307:
	s_or_b32 exec_lo, exec_lo, s9
.LBB119_3308:
	s_mov_b32 s9, -1
.LBB119_3309:
	s_mov_b32 s10, 0
.LBB119_3310:
	s_delay_alu instid0(SALU_CYCLE_1)
	s_and_b32 vcc_lo, exec_lo, s10
	s_cbranch_vccz .LBB119_3341
; %bb.3311:
	s_cmp_gt_i32 s0, 22
	s_cbranch_scc0 .LBB119_3319
; %bb.3312:
	s_cmp_lt_i32 s0, 24
	s_cbranch_scc1 .LBB119_3322
; %bb.3313:
	s_cmp_gt_i32 s0, 24
	s_cbranch_scc0 .LBB119_3323
; %bb.3314:
	global_load_u8 v5, v[44:45], off
	s_mov_b32 s9, 0
	s_mov_b32 s8, exec_lo
	s_wait_loadcnt 0x0
	v_cmpx_lt_i16_e32 0x7f, v5
	s_xor_b32 s8, exec_lo, s8
	s_cbranch_execz .LBB119_3335
; %bb.3315:
	v_cmp_ne_u16_e32 vcc_lo, 0x80, v5
	s_and_b32 s9, vcc_lo, exec_lo
	s_and_not1_saveexec_b32 s8, s8
	s_cbranch_execnz .LBB119_3336
.LBB119_3316:
	s_or_b32 exec_lo, exec_lo, s8
	v_mov_b32_e32 v40, 0
	s_and_saveexec_b32 s8, s9
	s_cbranch_execz .LBB119_3318
.LBB119_3317:
	v_and_b32_e32 v7, 0xffff, v5
	s_delay_alu instid0(VALU_DEP_1) | instskip(SKIP_1) | instid1(VALU_DEP_2)
	v_dual_lshlrev_b32 v5, 24, v5 :: v_dual_bitop2_b32 v9, 3, v7 bitop3:0x40
	v_bfe_u32 v15, v7, 2, 5
	v_and_b32_e32 v5, 0x80000000, v5
	s_delay_alu instid0(VALU_DEP_3) | instskip(NEXT) | instid1(VALU_DEP_3)
	v_clz_i32_u32_e32 v11, v9
	v_cmp_eq_u32_e32 vcc_lo, 0, v15
	s_delay_alu instid0(VALU_DEP_2) | instskip(NEXT) | instid1(VALU_DEP_1)
	v_min_u32_e32 v11, 32, v11
	v_subrev_nc_u32_e32 v13, 29, v11
	v_sub_nc_u32_e32 v11, 30, v11
	s_delay_alu instid0(VALU_DEP_2) | instskip(NEXT) | instid1(VALU_DEP_2)
	v_lshlrev_b32_e32 v7, v13, v7
	v_cndmask_b32_e32 v11, v15, v11, vcc_lo
	s_delay_alu instid0(VALU_DEP_2) | instskip(NEXT) | instid1(VALU_DEP_1)
	v_and_b32_e32 v7, 3, v7
	v_cndmask_b32_e32 v7, v9, v7, vcc_lo
	s_delay_alu instid0(VALU_DEP_3) | instskip(NEXT) | instid1(VALU_DEP_2)
	v_lshl_add_u32 v9, v11, 23, 0x37800000
	v_lshlrev_b32_e32 v7, 21, v7
	s_delay_alu instid0(VALU_DEP_1) | instskip(NEXT) | instid1(VALU_DEP_1)
	v_or3_b32 v5, v5, v9, v7
	v_cvt_i32_f32_e32 v40, v5
.LBB119_3318:
	s_or_b32 exec_lo, exec_lo, s8
	s_mov_b32 s8, 0
	s_branch .LBB119_3324
.LBB119_3319:
	s_mov_b32 s8, -1
                                        ; implicit-def: $vgpr40
	s_branch .LBB119_3330
.LBB119_3320:
	s_and_not1_saveexec_b32 s9, s9
	s_cbranch_execz .LBB119_3305
.LBB119_3321:
	v_cmp_ne_u16_e32 vcc_lo, 0, v5
	s_and_not1_b32 s10, s10, exec_lo
	s_and_b32 s11, vcc_lo, exec_lo
	s_delay_alu instid0(SALU_CYCLE_1)
	s_or_b32 s10, s10, s11
	s_or_b32 exec_lo, exec_lo, s9
	v_mov_b32_e32 v40, 0
	s_and_saveexec_b32 s9, s10
	s_cbranch_execnz .LBB119_3306
	s_branch .LBB119_3307
.LBB119_3322:
	s_mov_b32 s8, -1
                                        ; implicit-def: $vgpr40
	s_branch .LBB119_3327
.LBB119_3323:
	s_mov_b32 s8, -1
                                        ; implicit-def: $vgpr40
.LBB119_3324:
	s_delay_alu instid0(SALU_CYCLE_1)
	s_and_b32 vcc_lo, exec_lo, s8
	s_cbranch_vccz .LBB119_3326
; %bb.3325:
	global_load_u8 v5, v[44:45], off
	s_wait_loadcnt 0x0
	v_lshlrev_b32_e32 v5, 24, v5
	s_delay_alu instid0(VALU_DEP_1) | instskip(NEXT) | instid1(VALU_DEP_1)
	v_and_b32_e32 v7, 0x7f000000, v5
	v_clz_i32_u32_e32 v9, v7
	v_add_nc_u32_e32 v13, 0x1000000, v7
	v_cmp_ne_u32_e32 vcc_lo, 0, v7
	s_delay_alu instid0(VALU_DEP_3) | instskip(NEXT) | instid1(VALU_DEP_1)
	v_min_u32_e32 v9, 32, v9
	v_sub_nc_u32_e64 v9, v9, 4 clamp
	s_delay_alu instid0(VALU_DEP_1) | instskip(NEXT) | instid1(VALU_DEP_1)
	v_dual_lshlrev_b32 v11, v9, v7 :: v_dual_lshlrev_b32 v9, 23, v9
	v_lshrrev_b32_e32 v11, 4, v11
	s_delay_alu instid0(VALU_DEP_1) | instskip(SKIP_1) | instid1(VALU_DEP_2)
	v_sub_nc_u32_e32 v9, v11, v9
	v_ashrrev_i32_e32 v11, 8, v13
	v_add_nc_u32_e32 v9, 0x3c000000, v9
	s_delay_alu instid0(VALU_DEP_1) | instskip(NEXT) | instid1(VALU_DEP_1)
	v_and_or_b32 v9, 0x7f800000, v11, v9
	v_cndmask_b32_e32 v7, 0, v9, vcc_lo
	s_delay_alu instid0(VALU_DEP_1) | instskip(NEXT) | instid1(VALU_DEP_1)
	v_and_or_b32 v5, 0x80000000, v5, v7
	v_cvt_i32_f32_e32 v40, v5
.LBB119_3326:
	s_mov_b32 s8, 0
.LBB119_3327:
	s_delay_alu instid0(SALU_CYCLE_1)
	s_and_not1_b32 vcc_lo, exec_lo, s8
	s_cbranch_vccnz .LBB119_3329
; %bb.3328:
	global_load_u8 v5, v[44:45], off
	s_wait_loadcnt 0x0
	v_lshlrev_b32_e32 v7, 25, v5
	v_lshlrev_b16 v5, 8, v5
	s_delay_alu instid0(VALU_DEP_1) | instskip(SKIP_1) | instid1(VALU_DEP_2)
	v_and_or_b32 v11, 0x7f00, v5, 0.5
	v_bfe_i32 v5, v5, 0, 16
	v_add_f32_e32 v11, -0.5, v11
	v_lshrrev_b32_e32 v9, 4, v7
	v_cmp_gt_u32_e32 vcc_lo, 0x8000000, v7
	s_delay_alu instid0(VALU_DEP_2) | instskip(NEXT) | instid1(VALU_DEP_1)
	v_or_b32_e32 v9, 0x70000000, v9
	v_mul_f32_e32 v9, 0x7800000, v9
	s_delay_alu instid0(VALU_DEP_1) | instskip(NEXT) | instid1(VALU_DEP_1)
	v_cndmask_b32_e32 v7, v9, v11, vcc_lo
	v_and_or_b32 v5, 0x80000000, v5, v7
	s_delay_alu instid0(VALU_DEP_1)
	v_cvt_i32_f32_e32 v40, v5
.LBB119_3329:
	s_mov_b32 s8, 0
	s_mov_b32 s9, -1
.LBB119_3330:
	s_and_not1_b32 vcc_lo, exec_lo, s8
	s_mov_b32 s8, 0
	s_cbranch_vccnz .LBB119_3341
; %bb.3331:
	s_cmp_gt_i32 s0, 14
	s_cbranch_scc0 .LBB119_3334
; %bb.3332:
	s_cmp_eq_u32 s0, 15
	s_cbranch_scc0 .LBB119_3337
; %bb.3333:
	global_load_u16 v5, v[44:45], off
	s_mov_b32 s1, 0
	s_mov_b32 s9, -1
	s_wait_loadcnt 0x0
	v_lshlrev_b32_e32 v5, 16, v5
	s_delay_alu instid0(VALU_DEP_1)
	v_cvt_i32_f32_e32 v40, v5
	s_branch .LBB119_3339
.LBB119_3334:
	s_mov_b32 s8, -1
	s_branch .LBB119_3338
.LBB119_3335:
	s_and_not1_saveexec_b32 s8, s8
	s_cbranch_execz .LBB119_3316
.LBB119_3336:
	v_cmp_ne_u16_e32 vcc_lo, 0, v5
	s_and_not1_b32 s9, s9, exec_lo
	s_and_b32 s10, vcc_lo, exec_lo
	s_delay_alu instid0(SALU_CYCLE_1)
	s_or_b32 s9, s9, s10
	s_or_b32 exec_lo, exec_lo, s8
	v_mov_b32_e32 v40, 0
	s_and_saveexec_b32 s8, s9
	s_cbranch_execnz .LBB119_3317
	s_branch .LBB119_3318
.LBB119_3337:
	s_mov_b32 s1, -1
.LBB119_3338:
                                        ; implicit-def: $vgpr40
.LBB119_3339:
	s_and_b32 vcc_lo, exec_lo, s8
	s_mov_b32 s8, 0
	s_cbranch_vccz .LBB119_3341
; %bb.3340:
	s_cmp_lg_u32 s0, 11
	s_mov_b32 s8, -1
	s_cselect_b32 s1, -1, 0
.LBB119_3341:
	s_delay_alu instid0(SALU_CYCLE_1)
	s_and_b32 vcc_lo, exec_lo, s1
	s_cbranch_vccnz .LBB119_3406
; %bb.3342:
	s_and_not1_b32 vcc_lo, exec_lo, s8
	s_cbranch_vccnz .LBB119_3344
.LBB119_3343:
	global_load_u8 v5, v[44:45], off
	s_mov_b32 s9, -1
	s_wait_loadcnt 0x0
	v_cmp_ne_u16_e32 vcc_lo, 0, v5
	v_cndmask_b32_e64 v40, 0, 1, vcc_lo
.LBB119_3344:
	s_mov_b32 s0, 0
.LBB119_3345:
	s_delay_alu instid0(SALU_CYCLE_1)
	s_and_b32 vcc_lo, exec_lo, s0
	s_cbranch_vccz .LBB119_3394
; %bb.3346:
	s_and_b32 s0, 0xffff, s50
	s_delay_alu instid0(SALU_CYCLE_1)
	s_cmp_lt_i32 s0, 5
	s_cbranch_scc1 .LBB119_3351
; %bb.3347:
	s_cmp_lt_i32 s0, 8
	s_cbranch_scc1 .LBB119_3352
; %bb.3348:
	;; [unrolled: 3-line block ×3, first 2 shown]
	s_cmp_gt_i32 s0, 9
	s_cbranch_scc0 .LBB119_3354
; %bb.3350:
	s_wait_loadcnt 0x0
	global_load_b64 v[40:41], v[44:45], off
	s_mov_b32 s1, 0
	s_wait_loadcnt 0x0
	v_cvt_i32_f64_e32 v40, v[40:41]
	s_branch .LBB119_3355
.LBB119_3351:
	s_mov_b32 s1, -1
                                        ; implicit-def: $vgpr40
	s_branch .LBB119_3373
.LBB119_3352:
	s_mov_b32 s1, -1
                                        ; implicit-def: $vgpr40
	s_branch .LBB119_3361
.LBB119_3353:
	s_mov_b32 s1, -1
                                        ; implicit-def: $vgpr40
	s_branch .LBB119_3358
.LBB119_3354:
	s_mov_b32 s1, -1
                                        ; implicit-def: $vgpr40
.LBB119_3355:
	s_delay_alu instid0(SALU_CYCLE_1)
	s_and_not1_b32 vcc_lo, exec_lo, s1
	s_cbranch_vccnz .LBB119_3357
; %bb.3356:
	global_load_b32 v5, v[44:45], off
	s_wait_loadcnt 0x0
	v_cvt_i32_f32_e32 v40, v5
.LBB119_3357:
	s_mov_b32 s1, 0
.LBB119_3358:
	s_delay_alu instid0(SALU_CYCLE_1)
	s_and_not1_b32 vcc_lo, exec_lo, s1
	s_cbranch_vccnz .LBB119_3360
; %bb.3359:
	global_load_b32 v5, v[44:45], off
	s_wait_loadcnt 0x0
	v_cvt_f32_f16_e32 v5, v5
	s_delay_alu instid0(VALU_DEP_1)
	v_cvt_i32_f32_e32 v40, v5
.LBB119_3360:
	s_mov_b32 s1, 0
.LBB119_3361:
	s_delay_alu instid0(SALU_CYCLE_1)
	s_and_not1_b32 vcc_lo, exec_lo, s1
	s_cbranch_vccnz .LBB119_3372
; %bb.3362:
	s_cmp_lt_i32 s0, 6
	s_cbranch_scc1 .LBB119_3365
; %bb.3363:
	s_cmp_gt_i32 s0, 6
	s_cbranch_scc0 .LBB119_3366
; %bb.3364:
	s_wait_loadcnt 0x0
	global_load_b64 v[40:41], v[44:45], off
	s_mov_b32 s1, 0
	s_wait_loadcnt 0x0
	v_cvt_i32_f64_e32 v40, v[40:41]
	s_branch .LBB119_3367
.LBB119_3365:
	s_mov_b32 s1, -1
                                        ; implicit-def: $vgpr40
	s_branch .LBB119_3370
.LBB119_3366:
	s_mov_b32 s1, -1
                                        ; implicit-def: $vgpr40
.LBB119_3367:
	s_delay_alu instid0(SALU_CYCLE_1)
	s_and_not1_b32 vcc_lo, exec_lo, s1
	s_cbranch_vccnz .LBB119_3369
; %bb.3368:
	global_load_b32 v5, v[44:45], off
	s_wait_loadcnt 0x0
	v_cvt_i32_f32_e32 v40, v5
.LBB119_3369:
	s_mov_b32 s1, 0
.LBB119_3370:
	s_delay_alu instid0(SALU_CYCLE_1)
	s_and_not1_b32 vcc_lo, exec_lo, s1
	s_cbranch_vccnz .LBB119_3372
; %bb.3371:
	global_load_u16 v5, v[44:45], off
	s_wait_loadcnt 0x0
	v_cvt_f32_f16_e32 v5, v5
	s_delay_alu instid0(VALU_DEP_1)
	v_cvt_i32_f32_e32 v40, v5
.LBB119_3372:
	s_mov_b32 s1, 0
.LBB119_3373:
	s_delay_alu instid0(SALU_CYCLE_1)
	s_and_not1_b32 vcc_lo, exec_lo, s1
	s_cbranch_vccnz .LBB119_3393
; %bb.3374:
	s_cmp_lt_i32 s0, 2
	s_cbranch_scc1 .LBB119_3378
; %bb.3375:
	s_cmp_lt_i32 s0, 3
	s_cbranch_scc1 .LBB119_3379
; %bb.3376:
	s_cmp_gt_i32 s0, 3
	s_cbranch_scc0 .LBB119_3380
; %bb.3377:
	s_wait_loadcnt 0x0
	global_load_b32 v40, v[44:45], off
	s_mov_b32 s1, 0
	s_branch .LBB119_3381
.LBB119_3378:
	s_mov_b32 s1, -1
                                        ; implicit-def: $vgpr40
	s_branch .LBB119_3387
.LBB119_3379:
	s_mov_b32 s1, -1
                                        ; implicit-def: $vgpr40
	s_branch .LBB119_3384
.LBB119_3380:
	s_mov_b32 s1, -1
                                        ; implicit-def: $vgpr40
.LBB119_3381:
	s_delay_alu instid0(SALU_CYCLE_1)
	s_and_not1_b32 vcc_lo, exec_lo, s1
	s_cbranch_vccnz .LBB119_3383
; %bb.3382:
	s_wait_loadcnt 0x0
	global_load_b32 v40, v[44:45], off
.LBB119_3383:
	s_mov_b32 s1, 0
.LBB119_3384:
	s_delay_alu instid0(SALU_CYCLE_1)
	s_and_not1_b32 vcc_lo, exec_lo, s1
	s_cbranch_vccnz .LBB119_3386
; %bb.3385:
	s_wait_loadcnt 0x0
	global_load_i16 v40, v[44:45], off
.LBB119_3386:
	s_mov_b32 s1, 0
.LBB119_3387:
	s_delay_alu instid0(SALU_CYCLE_1)
	s_and_not1_b32 vcc_lo, exec_lo, s1
	s_cbranch_vccnz .LBB119_3393
; %bb.3388:
	s_cmp_gt_i32 s0, 0
	s_mov_b32 s0, 0
	s_cbranch_scc0 .LBB119_3390
; %bb.3389:
	s_wait_loadcnt 0x0
	global_load_i8 v40, v[44:45], off
	s_branch .LBB119_3391
.LBB119_3390:
	s_mov_b32 s0, -1
                                        ; implicit-def: $vgpr40
.LBB119_3391:
	s_delay_alu instid0(SALU_CYCLE_1)
	s_and_not1_b32 vcc_lo, exec_lo, s0
	s_cbranch_vccnz .LBB119_3393
; %bb.3392:
	s_wait_loadcnt 0x0
	global_load_u8 v40, v[44:45], off
.LBB119_3393:
	s_mov_b32 s9, -1
.LBB119_3394:
	s_delay_alu instid0(SALU_CYCLE_1)
	s_and_not1_b32 vcc_lo, exec_lo, s9
	s_cbranch_vccnz .LBB119_3530
; %bb.3395:
	v_mov_b32_e32 v39, 0
	s_load_b64 s[18:19], s[2:3], 0x270
	global_load_u8 v5, v39, s[2:3] offset:693
	s_wait_kmcnt 0x0
	v_add_nc_u64_e32 v[38:39], s[18:19], v[38:39]
	s_wait_loadcnt 0x0
	v_and_b32_e32 v7, 0xffff, v5
	v_readfirstlane_b32 s51, v5
	s_delay_alu instid0(VALU_DEP_2)
	v_cmp_gt_i32_e32 vcc_lo, 11, v7
	s_cbranch_vccnz .LBB119_3402
; %bb.3396:
	s_and_b32 s0, 0xffff, s51
	s_mov_b32 s8, 0
	s_cmp_gt_i32 s0, 25
	s_cbranch_scc0 .LBB119_3403
; %bb.3397:
	s_cmp_gt_i32 s0, 28
	s_cbranch_scc0 .LBB119_3404
; %bb.3398:
	;; [unrolled: 3-line block ×4, first 2 shown]
	s_cmp_eq_u32 s0, 46
	s_mov_b32 s10, 0
	s_cbranch_scc0 .LBB119_3408
; %bb.3401:
	global_load_b32 v5, v[38:39], off
	s_mov_b32 s1, 0
	s_mov_b32 s9, -1
	s_wait_loadcnt 0x0
	v_lshlrev_b32_e32 v5, 16, v5
	s_delay_alu instid0(VALU_DEP_1)
	v_cvt_i32_f32_e32 v44, v5
	s_branch .LBB119_3410
.LBB119_3402:
	s_mov_b32 s0, -1
	s_mov_b32 s9, 0
                                        ; implicit-def: $vgpr44
	s_branch .LBB119_3472
.LBB119_3403:
	s_mov_b32 s10, -1
	s_mov_b32 s9, 0
	s_mov_b32 s1, 0
                                        ; implicit-def: $vgpr44
	s_branch .LBB119_3437
.LBB119_3404:
	s_mov_b32 s10, -1
	s_mov_b32 s9, 0
	s_mov_b32 s1, 0
                                        ; implicit-def: $vgpr44
	s_branch .LBB119_3420
.LBB119_3405:
	s_mov_b32 s10, -1
	s_mov_b32 s9, 0
	s_mov_b32 s1, 0
                                        ; implicit-def: $vgpr44
	s_branch .LBB119_3415
.LBB119_3406:
	s_or_b32 s33, s33, exec_lo
	s_trap 2
	s_cbranch_execz .LBB119_3343
	s_branch .LBB119_3344
.LBB119_3407:
	s_mov_b32 s10, -1
	s_mov_b32 s9, 0
	s_mov_b32 s1, 0
	s_branch .LBB119_3409
.LBB119_3408:
	s_mov_b32 s1, -1
	s_mov_b32 s9, 0
.LBB119_3409:
                                        ; implicit-def: $vgpr44
.LBB119_3410:
	s_and_b32 vcc_lo, exec_lo, s10
	s_cbranch_vccz .LBB119_3414
; %bb.3411:
	s_cmp_eq_u32 s0, 44
	s_cbranch_scc0 .LBB119_3413
; %bb.3412:
	global_load_u8 v5, v[38:39], off
	s_mov_b32 s1, 0
	s_mov_b32 s9, -1
	s_wait_loadcnt 0x0
	v_lshlrev_b32_e32 v7, 23, v5
	v_cmp_ne_u32_e32 vcc_lo, 0, v5
	s_delay_alu instid0(VALU_DEP_2) | instskip(NEXT) | instid1(VALU_DEP_1)
	v_cvt_i32_f32_e32 v7, v7
	v_cndmask_b32_e32 v44, 0, v7, vcc_lo
	s_branch .LBB119_3414
.LBB119_3413:
	s_mov_b32 s1, -1
                                        ; implicit-def: $vgpr44
.LBB119_3414:
	s_mov_b32 s10, 0
.LBB119_3415:
	s_delay_alu instid0(SALU_CYCLE_1)
	s_and_b32 vcc_lo, exec_lo, s10
	s_cbranch_vccz .LBB119_3419
; %bb.3416:
	s_cmp_eq_u32 s0, 29
	s_cbranch_scc0 .LBB119_3418
; %bb.3417:
	global_load_b32 v44, v[38:39], off
	s_mov_b32 s1, 0
	s_mov_b32 s9, -1
	s_branch .LBB119_3419
.LBB119_3418:
	s_mov_b32 s1, -1
                                        ; implicit-def: $vgpr44
.LBB119_3419:
	s_mov_b32 s10, 0
.LBB119_3420:
	s_delay_alu instid0(SALU_CYCLE_1)
	s_and_b32 vcc_lo, exec_lo, s10
	s_cbranch_vccz .LBB119_3436
; %bb.3421:
	s_cmp_lt_i32 s0, 27
	s_cbranch_scc1 .LBB119_3424
; %bb.3422:
	s_cmp_gt_i32 s0, 27
	s_cbranch_scc0 .LBB119_3425
; %bb.3423:
	s_wait_loadcnt 0x0
	global_load_b32 v44, v[38:39], off
	s_mov_b32 s9, 0
	s_branch .LBB119_3426
.LBB119_3424:
	s_mov_b32 s9, -1
                                        ; implicit-def: $vgpr44
	s_branch .LBB119_3429
.LBB119_3425:
	s_mov_b32 s9, -1
                                        ; implicit-def: $vgpr44
.LBB119_3426:
	s_delay_alu instid0(SALU_CYCLE_1)
	s_and_not1_b32 vcc_lo, exec_lo, s9
	s_cbranch_vccnz .LBB119_3428
; %bb.3427:
	s_wait_loadcnt 0x0
	global_load_u16 v44, v[38:39], off
.LBB119_3428:
	s_mov_b32 s9, 0
.LBB119_3429:
	s_delay_alu instid0(SALU_CYCLE_1)
	s_and_not1_b32 vcc_lo, exec_lo, s9
	s_cbranch_vccnz .LBB119_3435
; %bb.3430:
	global_load_u8 v5, v[38:39], off
	s_mov_b32 s10, 0
	s_mov_b32 s9, exec_lo
	s_wait_loadcnt 0x0
	v_cmpx_lt_i16_e32 0x7f, v5
	s_xor_b32 s9, exec_lo, s9
	s_cbranch_execz .LBB119_3447
; %bb.3431:
	v_cmp_ne_u16_e32 vcc_lo, 0x80, v5
	s_and_b32 s10, vcc_lo, exec_lo
	s_and_not1_saveexec_b32 s9, s9
	s_cbranch_execnz .LBB119_3448
.LBB119_3432:
	s_or_b32 exec_lo, exec_lo, s9
	v_mov_b32_e32 v44, 0
	s_and_saveexec_b32 s9, s10
	s_cbranch_execz .LBB119_3434
.LBB119_3433:
	v_and_b32_e32 v7, 0xffff, v5
	s_delay_alu instid0(VALU_DEP_1) | instskip(SKIP_1) | instid1(VALU_DEP_2)
	v_dual_lshlrev_b32 v5, 24, v5 :: v_dual_bitop2_b32 v9, 7, v7 bitop3:0x40
	v_bfe_u32 v15, v7, 3, 4
	v_and_b32_e32 v5, 0x80000000, v5
	s_delay_alu instid0(VALU_DEP_3) | instskip(NEXT) | instid1(VALU_DEP_3)
	v_clz_i32_u32_e32 v11, v9
	v_cmp_eq_u32_e32 vcc_lo, 0, v15
	s_delay_alu instid0(VALU_DEP_2) | instskip(NEXT) | instid1(VALU_DEP_1)
	v_min_u32_e32 v11, 32, v11
	v_subrev_nc_u32_e32 v13, 28, v11
	v_sub_nc_u32_e32 v11, 29, v11
	s_delay_alu instid0(VALU_DEP_2) | instskip(NEXT) | instid1(VALU_DEP_2)
	v_lshlrev_b32_e32 v7, v13, v7
	v_cndmask_b32_e32 v11, v15, v11, vcc_lo
	s_delay_alu instid0(VALU_DEP_2) | instskip(NEXT) | instid1(VALU_DEP_1)
	v_and_b32_e32 v7, 7, v7
	v_cndmask_b32_e32 v7, v9, v7, vcc_lo
	s_delay_alu instid0(VALU_DEP_3) | instskip(NEXT) | instid1(VALU_DEP_2)
	v_lshl_add_u32 v9, v11, 23, 0x3b800000
	v_lshlrev_b32_e32 v7, 20, v7
	s_delay_alu instid0(VALU_DEP_1) | instskip(NEXT) | instid1(VALU_DEP_1)
	v_or3_b32 v5, v5, v9, v7
	v_cvt_i32_f32_e32 v44, v5
.LBB119_3434:
	s_or_b32 exec_lo, exec_lo, s9
.LBB119_3435:
	s_mov_b32 s9, -1
.LBB119_3436:
	s_mov_b32 s10, 0
.LBB119_3437:
	s_delay_alu instid0(SALU_CYCLE_1)
	s_and_b32 vcc_lo, exec_lo, s10
	s_cbranch_vccz .LBB119_3468
; %bb.3438:
	s_cmp_gt_i32 s0, 22
	s_cbranch_scc0 .LBB119_3446
; %bb.3439:
	s_cmp_lt_i32 s0, 24
	s_cbranch_scc1 .LBB119_3449
; %bb.3440:
	s_cmp_gt_i32 s0, 24
	s_cbranch_scc0 .LBB119_3450
; %bb.3441:
	global_load_u8 v5, v[38:39], off
	s_mov_b32 s9, 0
	s_mov_b32 s8, exec_lo
	s_wait_loadcnt 0x0
	v_cmpx_lt_i16_e32 0x7f, v5
	s_xor_b32 s8, exec_lo, s8
	s_cbranch_execz .LBB119_3462
; %bb.3442:
	v_cmp_ne_u16_e32 vcc_lo, 0x80, v5
	s_and_b32 s9, vcc_lo, exec_lo
	s_and_not1_saveexec_b32 s8, s8
	s_cbranch_execnz .LBB119_3463
.LBB119_3443:
	s_or_b32 exec_lo, exec_lo, s8
	v_mov_b32_e32 v44, 0
	s_and_saveexec_b32 s8, s9
	s_cbranch_execz .LBB119_3445
.LBB119_3444:
	v_and_b32_e32 v7, 0xffff, v5
	s_delay_alu instid0(VALU_DEP_1) | instskip(SKIP_1) | instid1(VALU_DEP_2)
	v_dual_lshlrev_b32 v5, 24, v5 :: v_dual_bitop2_b32 v9, 3, v7 bitop3:0x40
	v_bfe_u32 v15, v7, 2, 5
	v_and_b32_e32 v5, 0x80000000, v5
	s_delay_alu instid0(VALU_DEP_3) | instskip(NEXT) | instid1(VALU_DEP_3)
	v_clz_i32_u32_e32 v11, v9
	v_cmp_eq_u32_e32 vcc_lo, 0, v15
	s_delay_alu instid0(VALU_DEP_2) | instskip(NEXT) | instid1(VALU_DEP_1)
	v_min_u32_e32 v11, 32, v11
	v_subrev_nc_u32_e32 v13, 29, v11
	v_sub_nc_u32_e32 v11, 30, v11
	s_delay_alu instid0(VALU_DEP_2) | instskip(NEXT) | instid1(VALU_DEP_2)
	v_lshlrev_b32_e32 v7, v13, v7
	v_cndmask_b32_e32 v11, v15, v11, vcc_lo
	s_delay_alu instid0(VALU_DEP_2) | instskip(NEXT) | instid1(VALU_DEP_1)
	v_and_b32_e32 v7, 3, v7
	v_cndmask_b32_e32 v7, v9, v7, vcc_lo
	s_delay_alu instid0(VALU_DEP_3) | instskip(NEXT) | instid1(VALU_DEP_2)
	v_lshl_add_u32 v9, v11, 23, 0x37800000
	v_lshlrev_b32_e32 v7, 21, v7
	s_delay_alu instid0(VALU_DEP_1) | instskip(NEXT) | instid1(VALU_DEP_1)
	v_or3_b32 v5, v5, v9, v7
	v_cvt_i32_f32_e32 v44, v5
.LBB119_3445:
	s_or_b32 exec_lo, exec_lo, s8
	s_mov_b32 s8, 0
	s_branch .LBB119_3451
.LBB119_3446:
	s_mov_b32 s8, -1
                                        ; implicit-def: $vgpr44
	s_branch .LBB119_3457
.LBB119_3447:
	s_and_not1_saveexec_b32 s9, s9
	s_cbranch_execz .LBB119_3432
.LBB119_3448:
	v_cmp_ne_u16_e32 vcc_lo, 0, v5
	s_and_not1_b32 s10, s10, exec_lo
	s_and_b32 s11, vcc_lo, exec_lo
	s_delay_alu instid0(SALU_CYCLE_1)
	s_or_b32 s10, s10, s11
	s_or_b32 exec_lo, exec_lo, s9
	v_mov_b32_e32 v44, 0
	s_and_saveexec_b32 s9, s10
	s_cbranch_execnz .LBB119_3433
	s_branch .LBB119_3434
.LBB119_3449:
	s_mov_b32 s8, -1
                                        ; implicit-def: $vgpr44
	s_branch .LBB119_3454
.LBB119_3450:
	s_mov_b32 s8, -1
                                        ; implicit-def: $vgpr44
.LBB119_3451:
	s_delay_alu instid0(SALU_CYCLE_1)
	s_and_b32 vcc_lo, exec_lo, s8
	s_cbranch_vccz .LBB119_3453
; %bb.3452:
	global_load_u8 v5, v[38:39], off
	s_wait_loadcnt 0x0
	v_lshlrev_b32_e32 v5, 24, v5
	s_delay_alu instid0(VALU_DEP_1) | instskip(NEXT) | instid1(VALU_DEP_1)
	v_and_b32_e32 v7, 0x7f000000, v5
	v_clz_i32_u32_e32 v9, v7
	v_add_nc_u32_e32 v13, 0x1000000, v7
	v_cmp_ne_u32_e32 vcc_lo, 0, v7
	s_delay_alu instid0(VALU_DEP_3) | instskip(NEXT) | instid1(VALU_DEP_1)
	v_min_u32_e32 v9, 32, v9
	v_sub_nc_u32_e64 v9, v9, 4 clamp
	s_delay_alu instid0(VALU_DEP_1) | instskip(NEXT) | instid1(VALU_DEP_1)
	v_dual_lshlrev_b32 v11, v9, v7 :: v_dual_lshlrev_b32 v9, 23, v9
	v_lshrrev_b32_e32 v11, 4, v11
	s_delay_alu instid0(VALU_DEP_1) | instskip(SKIP_1) | instid1(VALU_DEP_2)
	v_sub_nc_u32_e32 v9, v11, v9
	v_ashrrev_i32_e32 v11, 8, v13
	v_add_nc_u32_e32 v9, 0x3c000000, v9
	s_delay_alu instid0(VALU_DEP_1) | instskip(NEXT) | instid1(VALU_DEP_1)
	v_and_or_b32 v9, 0x7f800000, v11, v9
	v_cndmask_b32_e32 v7, 0, v9, vcc_lo
	s_delay_alu instid0(VALU_DEP_1) | instskip(NEXT) | instid1(VALU_DEP_1)
	v_and_or_b32 v5, 0x80000000, v5, v7
	v_cvt_i32_f32_e32 v44, v5
.LBB119_3453:
	s_mov_b32 s8, 0
.LBB119_3454:
	s_delay_alu instid0(SALU_CYCLE_1)
	s_and_not1_b32 vcc_lo, exec_lo, s8
	s_cbranch_vccnz .LBB119_3456
; %bb.3455:
	global_load_u8 v5, v[38:39], off
	s_wait_loadcnt 0x0
	v_lshlrev_b32_e32 v7, 25, v5
	v_lshlrev_b16 v5, 8, v5
	s_delay_alu instid0(VALU_DEP_1) | instskip(SKIP_1) | instid1(VALU_DEP_2)
	v_and_or_b32 v11, 0x7f00, v5, 0.5
	v_bfe_i32 v5, v5, 0, 16
	v_add_f32_e32 v11, -0.5, v11
	v_lshrrev_b32_e32 v9, 4, v7
	v_cmp_gt_u32_e32 vcc_lo, 0x8000000, v7
	s_delay_alu instid0(VALU_DEP_2) | instskip(NEXT) | instid1(VALU_DEP_1)
	v_or_b32_e32 v9, 0x70000000, v9
	v_mul_f32_e32 v9, 0x7800000, v9
	s_delay_alu instid0(VALU_DEP_1) | instskip(NEXT) | instid1(VALU_DEP_1)
	v_cndmask_b32_e32 v7, v9, v11, vcc_lo
	v_and_or_b32 v5, 0x80000000, v5, v7
	s_delay_alu instid0(VALU_DEP_1)
	v_cvt_i32_f32_e32 v44, v5
.LBB119_3456:
	s_mov_b32 s8, 0
	s_mov_b32 s9, -1
.LBB119_3457:
	s_and_not1_b32 vcc_lo, exec_lo, s8
	s_mov_b32 s8, 0
	s_cbranch_vccnz .LBB119_3468
; %bb.3458:
	s_cmp_gt_i32 s0, 14
	s_cbranch_scc0 .LBB119_3461
; %bb.3459:
	s_cmp_eq_u32 s0, 15
	s_cbranch_scc0 .LBB119_3464
; %bb.3460:
	global_load_u16 v5, v[38:39], off
	s_mov_b32 s1, 0
	s_mov_b32 s9, -1
	s_wait_loadcnt 0x0
	v_lshlrev_b32_e32 v5, 16, v5
	s_delay_alu instid0(VALU_DEP_1)
	v_cvt_i32_f32_e32 v44, v5
	s_branch .LBB119_3466
.LBB119_3461:
	s_mov_b32 s8, -1
	s_branch .LBB119_3465
.LBB119_3462:
	s_and_not1_saveexec_b32 s8, s8
	s_cbranch_execz .LBB119_3443
.LBB119_3463:
	v_cmp_ne_u16_e32 vcc_lo, 0, v5
	s_and_not1_b32 s9, s9, exec_lo
	s_and_b32 s10, vcc_lo, exec_lo
	s_delay_alu instid0(SALU_CYCLE_1)
	s_or_b32 s9, s9, s10
	s_or_b32 exec_lo, exec_lo, s8
	v_mov_b32_e32 v44, 0
	s_and_saveexec_b32 s8, s9
	s_cbranch_execnz .LBB119_3444
	s_branch .LBB119_3445
.LBB119_3464:
	s_mov_b32 s1, -1
.LBB119_3465:
                                        ; implicit-def: $vgpr44
.LBB119_3466:
	s_and_b32 vcc_lo, exec_lo, s8
	s_mov_b32 s8, 0
	s_cbranch_vccz .LBB119_3468
; %bb.3467:
	s_cmp_lg_u32 s0, 11
	s_mov_b32 s8, -1
	s_cselect_b32 s1, -1, 0
.LBB119_3468:
	s_delay_alu instid0(SALU_CYCLE_1)
	s_and_b32 vcc_lo, exec_lo, s1
	s_cbranch_vccnz .LBB119_3595
; %bb.3469:
	s_and_not1_b32 vcc_lo, exec_lo, s8
	s_cbranch_vccnz .LBB119_3471
.LBB119_3470:
	global_load_u8 v5, v[38:39], off
	s_mov_b32 s9, -1
	s_wait_loadcnt 0x0
	v_cmp_ne_u16_e32 vcc_lo, 0, v5
	v_cndmask_b32_e64 v44, 0, 1, vcc_lo
.LBB119_3471:
	s_mov_b32 s0, 0
.LBB119_3472:
	s_delay_alu instid0(SALU_CYCLE_1)
	s_and_b32 vcc_lo, exec_lo, s0
	s_cbranch_vccz .LBB119_3521
; %bb.3473:
	s_and_b32 s0, 0xffff, s51
	s_delay_alu instid0(SALU_CYCLE_1)
	s_cmp_lt_i32 s0, 5
	s_cbranch_scc1 .LBB119_3478
; %bb.3474:
	s_cmp_lt_i32 s0, 8
	s_cbranch_scc1 .LBB119_3479
; %bb.3475:
	;; [unrolled: 3-line block ×3, first 2 shown]
	s_cmp_gt_i32 s0, 9
	s_cbranch_scc0 .LBB119_3481
; %bb.3477:
	s_wait_loadcnt 0x0
	global_load_b64 v[44:45], v[38:39], off
	s_mov_b32 s1, 0
	s_wait_loadcnt 0x0
	v_cvt_i32_f64_e32 v44, v[44:45]
	s_branch .LBB119_3482
.LBB119_3478:
	s_mov_b32 s1, -1
                                        ; implicit-def: $vgpr44
	s_branch .LBB119_3500
.LBB119_3479:
	s_mov_b32 s1, -1
                                        ; implicit-def: $vgpr44
	s_branch .LBB119_3488
.LBB119_3480:
	s_mov_b32 s1, -1
                                        ; implicit-def: $vgpr44
	s_branch .LBB119_3485
.LBB119_3481:
	s_mov_b32 s1, -1
                                        ; implicit-def: $vgpr44
.LBB119_3482:
	s_delay_alu instid0(SALU_CYCLE_1)
	s_and_not1_b32 vcc_lo, exec_lo, s1
	s_cbranch_vccnz .LBB119_3484
; %bb.3483:
	global_load_b32 v5, v[38:39], off
	s_wait_loadcnt 0x0
	v_cvt_i32_f32_e32 v44, v5
.LBB119_3484:
	s_mov_b32 s1, 0
.LBB119_3485:
	s_delay_alu instid0(SALU_CYCLE_1)
	s_and_not1_b32 vcc_lo, exec_lo, s1
	s_cbranch_vccnz .LBB119_3487
; %bb.3486:
	global_load_b32 v5, v[38:39], off
	s_wait_loadcnt 0x0
	v_cvt_f32_f16_e32 v5, v5
	s_delay_alu instid0(VALU_DEP_1)
	v_cvt_i32_f32_e32 v44, v5
.LBB119_3487:
	s_mov_b32 s1, 0
.LBB119_3488:
	s_delay_alu instid0(SALU_CYCLE_1)
	s_and_not1_b32 vcc_lo, exec_lo, s1
	s_cbranch_vccnz .LBB119_3499
; %bb.3489:
	s_cmp_lt_i32 s0, 6
	s_cbranch_scc1 .LBB119_3492
; %bb.3490:
	s_cmp_gt_i32 s0, 6
	s_cbranch_scc0 .LBB119_3493
; %bb.3491:
	s_wait_loadcnt 0x0
	global_load_b64 v[44:45], v[38:39], off
	s_mov_b32 s1, 0
	s_wait_loadcnt 0x0
	v_cvt_i32_f64_e32 v44, v[44:45]
	s_branch .LBB119_3494
.LBB119_3492:
	s_mov_b32 s1, -1
                                        ; implicit-def: $vgpr44
	s_branch .LBB119_3497
.LBB119_3493:
	s_mov_b32 s1, -1
                                        ; implicit-def: $vgpr44
.LBB119_3494:
	s_delay_alu instid0(SALU_CYCLE_1)
	s_and_not1_b32 vcc_lo, exec_lo, s1
	s_cbranch_vccnz .LBB119_3496
; %bb.3495:
	global_load_b32 v5, v[38:39], off
	s_wait_loadcnt 0x0
	v_cvt_i32_f32_e32 v44, v5
.LBB119_3496:
	s_mov_b32 s1, 0
.LBB119_3497:
	s_delay_alu instid0(SALU_CYCLE_1)
	s_and_not1_b32 vcc_lo, exec_lo, s1
	s_cbranch_vccnz .LBB119_3499
; %bb.3498:
	global_load_u16 v5, v[38:39], off
	s_wait_loadcnt 0x0
	v_cvt_f32_f16_e32 v5, v5
	s_delay_alu instid0(VALU_DEP_1)
	v_cvt_i32_f32_e32 v44, v5
.LBB119_3499:
	s_mov_b32 s1, 0
.LBB119_3500:
	s_delay_alu instid0(SALU_CYCLE_1)
	s_and_not1_b32 vcc_lo, exec_lo, s1
	s_cbranch_vccnz .LBB119_3520
; %bb.3501:
	s_cmp_lt_i32 s0, 2
	s_cbranch_scc1 .LBB119_3505
; %bb.3502:
	s_cmp_lt_i32 s0, 3
	s_cbranch_scc1 .LBB119_3506
; %bb.3503:
	s_cmp_gt_i32 s0, 3
	s_cbranch_scc0 .LBB119_3507
; %bb.3504:
	s_wait_loadcnt 0x0
	global_load_b32 v44, v[38:39], off
	s_mov_b32 s1, 0
	s_branch .LBB119_3508
.LBB119_3505:
	s_mov_b32 s1, -1
                                        ; implicit-def: $vgpr44
	s_branch .LBB119_3514
.LBB119_3506:
	s_mov_b32 s1, -1
                                        ; implicit-def: $vgpr44
	s_branch .LBB119_3511
.LBB119_3507:
	s_mov_b32 s1, -1
                                        ; implicit-def: $vgpr44
.LBB119_3508:
	s_delay_alu instid0(SALU_CYCLE_1)
	s_and_not1_b32 vcc_lo, exec_lo, s1
	s_cbranch_vccnz .LBB119_3510
; %bb.3509:
	s_wait_loadcnt 0x0
	global_load_b32 v44, v[38:39], off
.LBB119_3510:
	s_mov_b32 s1, 0
.LBB119_3511:
	s_delay_alu instid0(SALU_CYCLE_1)
	s_and_not1_b32 vcc_lo, exec_lo, s1
	s_cbranch_vccnz .LBB119_3513
; %bb.3512:
	s_wait_loadcnt 0x0
	global_load_i16 v44, v[38:39], off
.LBB119_3513:
	s_mov_b32 s1, 0
.LBB119_3514:
	s_delay_alu instid0(SALU_CYCLE_1)
	s_and_not1_b32 vcc_lo, exec_lo, s1
	s_cbranch_vccnz .LBB119_3520
; %bb.3515:
	s_cmp_gt_i32 s0, 0
	s_mov_b32 s0, 0
	s_cbranch_scc0 .LBB119_3517
; %bb.3516:
	s_wait_loadcnt 0x0
	global_load_i8 v44, v[38:39], off
	s_branch .LBB119_3518
.LBB119_3517:
	s_mov_b32 s0, -1
                                        ; implicit-def: $vgpr44
.LBB119_3518:
	s_delay_alu instid0(SALU_CYCLE_1)
	s_and_not1_b32 vcc_lo, exec_lo, s0
	s_cbranch_vccnz .LBB119_3520
; %bb.3519:
	s_wait_loadcnt 0x0
	global_load_u8 v44, v[38:39], off
.LBB119_3520:
	s_mov_b32 s9, -1
.LBB119_3521:
	s_delay_alu instid0(SALU_CYCLE_1)
	s_and_not1_b32 vcc_lo, exec_lo, s9
	s_cbranch_vccnz .LBB119_3530
; %bb.3522:
	s_load_b32 s8, s[2:3], 0x278
	s_get_pc_i64 s[0:1]
	s_add_nc_u64 s[0:1], s[0:1], .str.6@rel64+4
	s_delay_alu instid0(SALU_CYCLE_1) | instskip(SKIP_4) | instid1(SALU_CYCLE_1)
	s_cmp_eq_u64 s[0:1], 0
	s_cselect_b32 s0, -1, 0
	s_wait_kmcnt 0x0
	v_cmp_ne_u32_e32 vcc_lo, s8, v1
	s_or_b32 s0, s0, vcc_lo
	s_and_saveexec_b32 s1, s0
	s_delay_alu instid0(SALU_CYCLE_1)
	s_xor_b32 s0, exec_lo, s1
	s_cbranch_execnz .LBB119_3905
.LBB119_3523:
	s_or_saveexec_b32 s40, s0
	s_mov_b32 s1, 0
	s_mov_b32 s8, 0
                                        ; implicit-def: $vgpr38_vgpr39
                                        ; implicit-def: $sgpr0
	s_xor_b32 exec_lo, exec_lo, s40
	s_cbranch_execz .LBB119_4419
; %bb.3524:
	s_load_b64 s[10:11], s[2:3], 0x288
	s_get_pc_i64 s[0:1]
	s_add_nc_u64 s[0:1], s[0:1], .str.7@rel64+4
	s_mov_b32 s41, s33
	s_cmp_eq_u64 s[0:1], 0
	s_cselect_b32 s0, -1, 0
	s_wait_kmcnt 0x0
	v_cmp_ne_u32_e32 vcc_lo, s10, v3
	s_or_b32 s0, s0, vcc_lo
	s_delay_alu instid0(SALU_CYCLE_1) | instskip(NEXT) | instid1(SALU_CYCLE_1)
	s_and_saveexec_b32 s1, s0
	s_xor_b32 s0, exec_lo, s1
	s_cbranch_execnz .LBB119_4034
; %bb.3525:
	s_or_saveexec_b32 s42, s0
	s_mov_b32 s1, 0
                                        ; implicit-def: $vgpr38_vgpr39
                                        ; implicit-def: $sgpr0
	s_xor_b32 exec_lo, exec_lo, s42
	s_cbranch_execz .LBB119_4418
.LBB119_3526:
	s_load_b64 s[20:21], s[2:3], 0x280
	v_sub_nc_u32_e32 v5, v40, v42
	s_get_pc_i64 s[8:9]
	s_add_nc_u64 s[8:9], s[8:9], .str.8@rel64+4
	s_wait_kmcnt 0x0
	s_mov_b32 s21, s41
	v_cmp_gt_i32_e32 vcc_lo, v1, v5
	v_cmp_lt_i32_e64 s0, s20, v5
	s_or_b32 s0, vcc_lo, s0
	s_cmp_eq_u64 s[8:9], 0
	s_cselect_b32 s1, -1, 0
	s_delay_alu instid0(SALU_CYCLE_1) | instskip(NEXT) | instid1(SALU_CYCLE_1)
	s_or_b32 s0, s1, s0
	s_and_saveexec_b32 s1, s0
	s_delay_alu instid0(SALU_CYCLE_1)
	s_xor_b32 s0, exec_lo, s1
	s_cbranch_execnz .LBB119_4163
.LBB119_3527:
	s_or_saveexec_b32 s43, s0
	s_mov_b32 s1, 0
	s_mov_b32 s8, 0
                                        ; implicit-def: $vgpr38_vgpr39
                                        ; implicit-def: $sgpr0
	s_xor_b32 exec_lo, exec_lo, s43
	s_cbranch_execz .LBB119_4417
; %bb.3528:
	s_load_b32 s47, s[2:3], 0x290
	v_cmp_gt_i64_e64 s0, s[10:11], 0
	v_mov_b64_e32 v[38:39], 0
	s_wait_kmcnt 0x0
	s_add_co_i32 s8, s47, -1
	s_delay_alu instid0(SALU_CYCLE_1) | instskip(SKIP_1) | instid1(SALU_CYCLE_1)
	s_cmp_gt_i32 s8, -1
	s_cselect_b32 s1, -1, 0
	s_and_b32 s0, s0, s1
	s_delay_alu instid0(SALU_CYCLE_1) | instskip(NEXT) | instid1(VALU_DEP_1)
	v_cndmask_b32_e64 v5, 0, 1, s0
	v_cmp_ne_u32_e32 vcc_lo, 1, v5
	s_cbranch_vccnz .LBB119_3580
; %bb.3529:
	s_wait_loadcnt 0x0
	v_dual_mov_b32 v46, 0 :: v_dual_ashrrev_i32 v45, 31, v44
	s_load_b128 s[24:27], s[2:3], 0x298
	s_mov_b32 s1, 0
	v_mov_b64_e32 v[38:39], 0
	s_delay_alu instid0(VALU_DEP_2)
	v_mul_u64_e32 v[44:45], s[10:11], v[44:45]
	s_mov_b32 s9, s1
	s_mov_b64 s[22:23], 0xffffffff
	s_lshl_b64 s[28:29], s[8:9], 3
	s_mov_b32 s9, s47
	s_wait_kmcnt 0x0
	s_add_nc_u64 s[24:25], s[24:25], s[28:29]
	s_add_nc_u64 s[26:27], s[26:27], s[28:29]
	s_branch .LBB119_3576
.LBB119_3530:
	s_mov_b32 s1, 0
	s_mov_b32 s8, 0
                                        ; implicit-def: $vgpr38_vgpr39
                                        ; implicit-def: $sgpr0
.LBB119_3531:
	s_wait_xcnt 0x0
	s_and_not1_b32 s2, s38, exec_lo
	s_and_b32 s3, s33, exec_lo
	s_and_b32 s4, s8, exec_lo
	;; [unrolled: 1-line block ×3, first 2 shown]
	s_or_b32 s38, s2, s3
.LBB119_3532:
	s_or_b32 exec_lo, exec_lo, s39
	s_and_saveexec_b32 s1, s38
	s_cbranch_execz .LBB119_3535
; %bb.3533:
	; divergent unreachable
	s_or_b32 exec_lo, exec_lo, s1
	s_and_saveexec_b32 s1, s71
	s_delay_alu instid0(SALU_CYCLE_1)
	s_xor_b32 s1, exec_lo, s1
	s_cbranch_execnz .LBB119_3536
.LBB119_3534:
	s_or_b32 exec_lo, exec_lo, s1
	s_and_saveexec_b32 s1, s4
	s_cbranch_execnz .LBB119_3537
	s_branch .LBB119_3574
.LBB119_3535:
	s_or_b32 exec_lo, exec_lo, s1
	s_and_saveexec_b32 s1, s71
	s_delay_alu instid0(SALU_CYCLE_1)
	s_xor_b32 s1, exec_lo, s1
	s_cbranch_execz .LBB119_3534
.LBB119_3536:
	s_wait_loadcnt 0x0
	v_mov_b32_e32 v0, 0
	global_store_b8 v[38:39], v0, off
	s_wait_xcnt 0x0
	s_or_b32 exec_lo, exec_lo, s1
	s_and_saveexec_b32 s1, s4
	s_cbranch_execz .LBB119_3574
.LBB119_3537:
	s_sext_i32_i16 s2, s0
	s_mov_b32 s1, -1
	s_cmp_lt_i32 s2, 5
	s_cbranch_scc1 .LBB119_3558
; %bb.3538:
	s_cmp_lt_i32 s2, 8
	s_cbranch_scc1 .LBB119_3548
; %bb.3539:
	;; [unrolled: 3-line block ×3, first 2 shown]
	s_cmp_gt_i32 s2, 9
	s_cbranch_scc0 .LBB119_3542
; %bb.3541:
	s_wait_loadcnt 0x0
	v_mov_b32_e32 v0, 0
	s_mov_b32 s1, 0
	s_delay_alu instid0(VALU_DEP_1)
	v_dual_mov_b32 v1, v0 :: v_dual_mov_b32 v2, v0
	v_mov_b32_e32 v3, v0
	global_store_b128 v[38:39], v[0:3], off
.LBB119_3542:
	s_and_not1_b32 vcc_lo, exec_lo, s1
	s_cbranch_vccnz .LBB119_3544
; %bb.3543:
	s_wait_loadcnt 0x0
	v_mov_b64_e32 v[0:1], 0
	global_store_b64 v[38:39], v[0:1], off
.LBB119_3544:
	s_mov_b32 s1, 0
.LBB119_3545:
	s_delay_alu instid0(SALU_CYCLE_1)
	s_and_not1_b32 vcc_lo, exec_lo, s1
	s_cbranch_vccnz .LBB119_3547
; %bb.3546:
	s_wait_loadcnt 0x0
	v_mov_b32_e32 v0, 0
	global_store_b32 v[38:39], v0, off
.LBB119_3547:
	s_mov_b32 s1, 0
.LBB119_3548:
	s_delay_alu instid0(SALU_CYCLE_1)
	s_and_not1_b32 vcc_lo, exec_lo, s1
	s_cbranch_vccnz .LBB119_3557
; %bb.3549:
	s_sext_i32_i16 s2, s0
	s_mov_b32 s1, -1
	s_cmp_lt_i32 s2, 6
	s_cbranch_scc1 .LBB119_3555
; %bb.3550:
	s_cmp_gt_i32 s2, 6
	s_cbranch_scc0 .LBB119_3552
; %bb.3551:
	s_wait_loadcnt 0x0
	v_mov_b64_e32 v[0:1], 0
	s_mov_b32 s1, 0
	global_store_b64 v[38:39], v[0:1], off
.LBB119_3552:
	s_and_not1_b32 vcc_lo, exec_lo, s1
	s_cbranch_vccnz .LBB119_3554
; %bb.3553:
	s_wait_loadcnt 0x0
	v_mov_b32_e32 v0, 0
	global_store_b32 v[38:39], v0, off
.LBB119_3554:
	s_mov_b32 s1, 0
.LBB119_3555:
	s_delay_alu instid0(SALU_CYCLE_1)
	s_and_not1_b32 vcc_lo, exec_lo, s1
	s_cbranch_vccnz .LBB119_3557
; %bb.3556:
	s_wait_loadcnt 0x0
	v_mov_b32_e32 v0, 0
	global_store_b16 v[38:39], v0, off
.LBB119_3557:
	s_mov_b32 s1, 0
.LBB119_3558:
	s_delay_alu instid0(SALU_CYCLE_1)
	s_and_not1_b32 vcc_lo, exec_lo, s1
	s_cbranch_vccnz .LBB119_3574
; %bb.3559:
	s_sext_i32_i16 s2, s0
	s_mov_b32 s1, -1
	s_cmp_lt_i32 s2, 2
	s_cbranch_scc1 .LBB119_3569
; %bb.3560:
	s_cmp_lt_i32 s2, 3
	s_cbranch_scc1 .LBB119_3566
; %bb.3561:
	s_cmp_gt_i32 s2, 3
	s_cbranch_scc0 .LBB119_3563
; %bb.3562:
	s_wait_loadcnt 0x0
	v_mov_b64_e32 v[0:1], 0
	s_mov_b32 s1, 0
	global_store_b64 v[38:39], v[0:1], off
.LBB119_3563:
	s_and_not1_b32 vcc_lo, exec_lo, s1
	s_cbranch_vccnz .LBB119_3565
; %bb.3564:
	s_wait_loadcnt 0x0
	v_mov_b32_e32 v0, 0
	global_store_b32 v[38:39], v0, off
.LBB119_3565:
	s_mov_b32 s1, 0
.LBB119_3566:
	s_delay_alu instid0(SALU_CYCLE_1)
	s_and_not1_b32 vcc_lo, exec_lo, s1
	s_cbranch_vccnz .LBB119_3568
; %bb.3567:
	s_wait_loadcnt 0x0
	v_mov_b32_e32 v0, 0
	global_store_b16 v[38:39], v0, off
.LBB119_3568:
	s_mov_b32 s1, 0
.LBB119_3569:
	s_delay_alu instid0(SALU_CYCLE_1)
	s_and_not1_b32 vcc_lo, exec_lo, s1
	s_cbranch_vccnz .LBB119_3574
; %bb.3570:
	s_sext_i32_i16 s0, s0
	s_delay_alu instid0(SALU_CYCLE_1)
	s_cmp_gt_i32 s0, 0
	s_mov_b32 s0, -1
	s_cbranch_scc0 .LBB119_3572
; %bb.3571:
	s_wait_loadcnt 0x0
	v_mov_b32_e32 v0, 0
	s_mov_b32 s0, 0
	global_store_b8 v[38:39], v0, off
.LBB119_3572:
	s_and_not1_b32 vcc_lo, exec_lo, s0
	s_cbranch_vccnz .LBB119_3574
; %bb.3573:
	s_wait_loadcnt 0x0
	v_mov_b32_e32 v0, 0
	global_store_b8 v[38:39], v0, off
	s_endpgm
.LBB119_3574:
	s_endpgm
.LBB119_3575:                           ;   in Loop: Header=BB119_3576 Depth=1
	s_or_b32 exec_lo, exec_lo, s0
	global_load_b64 v[50:51], v46, s[26:27]
	v_mul_u64_e32 v[52:53], s[28:29], v[48:49]
	s_add_co_i32 s9, s9, -1
	s_add_nc_u64 s[24:25], s[24:25], -8
	s_cmp_eq_u32 s9, 0
	s_wait_xcnt 0x0
	s_add_nc_u64 s[26:27], s[26:27], -8
	s_delay_alu instid0(VALU_DEP_1) | instskip(SKIP_1) | instid1(VALU_DEP_1)
	v_sub_nc_u64_e32 v[44:45], v[44:45], v[52:53]
	s_wait_loadcnt 0x0
	v_mad_nc_u64_u32 v[38:39], v44, v50, v[38:39]
	s_delay_alu instid0(VALU_DEP_1) | instskip(NEXT) | instid1(VALU_DEP_1)
	v_mad_u32 v7, v45, v50, v39
	v_mad_u32 v39, v44, v51, v7
	v_mov_b64_e32 v[44:45], v[48:49]
	s_cbranch_scc1 .LBB119_3580
.LBB119_3576:                           ; =>This Inner Loop Header: Depth=1
	global_load_b64 v[48:49], v46, s[24:25]
	s_mov_b32 s0, exec_lo
	s_wait_loadcnt 0x0
	v_or_b32_e32 v47, v45, v49
	v_readfirstlane_b32 s28, v48
	v_readfirstlane_b32 s29, v49
                                        ; implicit-def: $vgpr48_vgpr49
	s_wait_xcnt 0x0
	s_delay_alu instid0(VALU_DEP_3)
	v_cmpx_ne_u64_e32 0, v[46:47]
	s_xor_b32 s44, exec_lo, s0
	s_cbranch_execz .LBB119_3578
; %bb.3577:                             ;   in Loop: Header=BB119_3576 Depth=1
	s_ashr_i32 s30, s29, 31
	v_dual_mov_b32 v53, v46 :: v_dual_ashrrev_i32 v48, 31, v45
	s_mov_b32 s31, s30
	s_delay_alu instid0(SALU_CYCLE_1) | instskip(NEXT) | instid1(VALU_DEP_1)
	s_add_nc_u64 s[34:35], s[28:29], s[30:31]
	v_mov_b32_e32 v49, v48
	s_xor_b64 s[34:35], s[34:35], s[30:31]
	s_delay_alu instid0(SALU_CYCLE_1)
	s_cvt_f32_u32 s0, s34
	s_cvt_f32_u32 s31, s35
	s_sub_nc_u64 s[54:55], 0, s[34:35]
	v_add_nc_u64_e32 v[50:51], v[44:45], v[48:49]
	v_mov_b32_e32 v57, v46
	s_fmamk_f32 s0, s31, 0x4f800000, s0
	s_delay_alu instid0(SALU_CYCLE_3) | instskip(NEXT) | instid1(VALU_DEP_2)
	v_s_rcp_f32 s0, s0
	v_xor_b32_e32 v52, v50, v48
	s_delay_alu instid0(VALU_DEP_3) | instskip(NEXT) | instid1(TRANS32_DEP_1)
	v_dual_mov_b32 v61, v46 :: v_dual_bitop2_b32 v56, v51, v48 bitop3:0x14
	s_mul_f32 s0, s0, 0x5f7ffffc
	s_delay_alu instid0(SALU_CYCLE_3) | instskip(NEXT) | instid1(SALU_CYCLE_3)
	s_mul_f32 s31, s0, 0x2f800000
	s_trunc_f32 s31, s31
	s_delay_alu instid0(SALU_CYCLE_3) | instskip(SKIP_1) | instid1(SALU_CYCLE_2)
	s_fmamk_f32 s0, s31, 0xcf800000, s0
	s_cvt_u32_f32 s53, s31
	s_cvt_u32_f32 s52, s0
	s_delay_alu instid0(SALU_CYCLE_3) | instskip(NEXT) | instid1(SALU_CYCLE_1)
	s_mul_u64 s[56:57], s[54:55], s[52:53]
	s_mul_hi_u32 s59, s52, s57
	s_mul_i32 s58, s52, s57
	s_mul_hi_u32 s0, s52, s56
	s_mul_i32 s45, s53, s56
	s_add_nc_u64 s[58:59], s[0:1], s[58:59]
	s_mul_hi_u32 s31, s53, s56
	s_mul_hi_u32 s46, s53, s57
	s_add_co_u32 s0, s58, s45
	s_add_co_ci_u32 s0, s59, s31
	s_mul_i32 s56, s53, s57
	s_add_co_ci_u32 s57, s46, 0
	s_delay_alu instid0(SALU_CYCLE_1) | instskip(NEXT) | instid1(SALU_CYCLE_1)
	s_add_nc_u64 s[56:57], s[0:1], s[56:57]
	s_add_co_u32 s52, s52, s56
	s_cselect_b32 s0, -1, 0
	s_delay_alu instid0(SALU_CYCLE_1) | instskip(SKIP_1) | instid1(SALU_CYCLE_1)
	s_cmp_lg_u32 s0, 0
	s_add_co_ci_u32 s53, s53, s57
	s_mul_u64 s[54:55], s[54:55], s[52:53]
	s_delay_alu instid0(SALU_CYCLE_1)
	s_mul_hi_u32 s57, s52, s55
	s_mul_i32 s56, s52, s55
	s_mul_hi_u32 s0, s52, s54
	s_mul_i32 s45, s53, s54
	s_add_nc_u64 s[56:57], s[0:1], s[56:57]
	s_mul_hi_u32 s31, s53, s54
	s_mul_hi_u32 s46, s53, s55
	s_add_co_u32 s0, s56, s45
	s_add_co_ci_u32 s0, s57, s31
	s_mul_i32 s54, s53, s55
	s_add_co_ci_u32 s55, s46, 0
	s_delay_alu instid0(SALU_CYCLE_1) | instskip(NEXT) | instid1(SALU_CYCLE_1)
	s_add_nc_u64 s[54:55], s[0:1], s[54:55]
	s_add_co_u32 s46, s52, s54
	s_cselect_b32 s0, -1, 0
	v_mul_hi_u32 v60, v52, s46
	s_cmp_lg_u32 s0, 0
	s_add_co_ci_u32 s0, s53, s55
	s_and_b64 s[52:53], s[46:47], s[22:23]
	v_mul_u64_e32 v[54:55], s[0:1], v[52:53]
	v_mul_u64_e32 v[50:51], s[52:53], v[56:57]
	;; [unrolled: 1-line block ×3, first 2 shown]
	s_delay_alu instid0(VALU_DEP_3) | instskip(NEXT) | instid1(VALU_DEP_1)
	v_add_nc_u64_e32 v[54:55], v[60:61], v[54:55]
	v_add_co_u32 v7, vcc_lo, v54, v50
	s_delay_alu instid0(VALU_DEP_2) | instskip(NEXT) | instid1(VALU_DEP_4)
	v_add_co_ci_u32_e32 v60, vcc_lo, v55, v51, vcc_lo
	v_add_co_ci_u32_e32 v59, vcc_lo, 0, v59, vcc_lo
	s_delay_alu instid0(VALU_DEP_1) | instskip(NEXT) | instid1(VALU_DEP_1)
	v_add_nc_u64_e32 v[50:51], v[60:61], v[58:59]
	v_mul_u64_e32 v[54:55], s[34:35], v[50:51]
	s_delay_alu instid0(VALU_DEP_1) | instskip(NEXT) | instid1(VALU_DEP_2)
	v_sub_nc_u32_e32 v7, v56, v55
	v_sub_co_u32 v9, vcc_lo, v52, v54
	s_delay_alu instid0(VALU_DEP_1) | instskip(NEXT) | instid1(VALU_DEP_3)
	v_sub_co_ci_u32_e64 v13, null, v56, v55, vcc_lo
	v_subrev_co_ci_u32_e64 v7, null, s35, v7, vcc_lo
	s_delay_alu instid0(VALU_DEP_3) | instskip(SKIP_1) | instid1(VALU_DEP_3)
	v_sub_co_u32 v11, s0, v9, s34
	v_add_nc_u64_e32 v[52:53], 2, v[50:51]
	v_subrev_co_ci_u32_e64 v7, null, 0, v7, s0
	s_delay_alu instid0(VALU_DEP_3) | instskip(SKIP_2) | instid1(VALU_DEP_4)
	v_cmp_le_u32_e32 vcc_lo, s34, v11
	v_add_nc_u64_e32 v[54:55], 1, v[50:51]
	v_cndmask_b32_e64 v11, 0, -1, vcc_lo
	v_cmp_le_u32_e32 vcc_lo, s35, v7
	v_cndmask_b32_e64 v15, 0, -1, vcc_lo
	v_cmp_le_u32_e32 vcc_lo, s34, v9
	;; [unrolled: 2-line block ×3, first 2 shown]
	v_cndmask_b32_e64 v17, 0, -1, vcc_lo
	v_cmp_eq_u32_e32 vcc_lo, s35, v7
	v_cndmask_b32_e32 v7, v15, v11, vcc_lo
	v_cmp_eq_u32_e32 vcc_lo, s35, v13
	s_delay_alu instid0(VALU_DEP_4) | instskip(NEXT) | instid1(VALU_DEP_3)
	v_cndmask_b32_e32 v9, v17, v9, vcc_lo
	v_cmp_ne_u32_e32 vcc_lo, 0, v7
	s_delay_alu instid0(VALU_DEP_2) | instskip(SKIP_1) | instid1(VALU_DEP_1)
	v_cmp_ne_u32_e64 s0, 0, v9
	v_dual_cndmask_b32 v7, v55, v53, vcc_lo :: v_dual_cndmask_b32 v9, v54, v52, vcc_lo
	v_dual_cndmask_b32 v7, v51, v7, s0 :: v_dual_bitop2_b32 v48, s30, v48 bitop3:0x14
	s_delay_alu instid0(VALU_DEP_1) | instskip(NEXT) | instid1(VALU_DEP_2)
	v_dual_cndmask_b32 v9, v50, v9, s0 :: v_dual_mov_b32 v49, v48
	v_xor_b32_e32 v51, v7, v48
	s_delay_alu instid0(VALU_DEP_2) | instskip(NEXT) | instid1(VALU_DEP_1)
	v_xor_b32_e32 v50, v9, v48
	v_sub_nc_u64_e32 v[48:49], v[50:51], v[48:49]
.LBB119_3578:                           ;   in Loop: Header=BB119_3576 Depth=1
	s_and_not1_saveexec_b32 s0, s44
	s_cbranch_execz .LBB119_3575
; %bb.3579:                             ;   in Loop: Header=BB119_3576 Depth=1
	v_cvt_f32_u32_e32 v7, s28
	s_sub_co_i32 s30, 0, s28
	v_mov_b32_e32 v49, v46
	s_delay_alu instid0(VALU_DEP_2) | instskip(SKIP_1) | instid1(TRANS32_DEP_1)
	v_rcp_iflag_f32_e32 v7, v7
	v_nop
	v_mul_f32_e32 v7, 0x4f7ffffe, v7
	s_delay_alu instid0(VALU_DEP_1) | instskip(NEXT) | instid1(VALU_DEP_1)
	v_cvt_u32_f32_e32 v7, v7
	v_mul_lo_u32 v9, s30, v7
	s_delay_alu instid0(VALU_DEP_1) | instskip(NEXT) | instid1(VALU_DEP_1)
	v_mul_hi_u32 v9, v7, v9
	v_add_nc_u32_e32 v7, v7, v9
	s_delay_alu instid0(VALU_DEP_1) | instskip(NEXT) | instid1(VALU_DEP_1)
	v_mul_hi_u32 v7, v44, v7
	v_mul_lo_u32 v9, v7, s28
	s_delay_alu instid0(VALU_DEP_1) | instskip(NEXT) | instid1(VALU_DEP_1)
	v_sub_nc_u32_e32 v9, v44, v9
	v_subrev_nc_u32_e32 v13, s28, v9
	v_cmp_le_u32_e32 vcc_lo, s28, v9
	s_delay_alu instid0(VALU_DEP_2) | instskip(NEXT) | instid1(VALU_DEP_1)
	v_dual_add_nc_u32 v11, 1, v7 :: v_dual_cndmask_b32 v9, v9, v13, vcc_lo
	v_cndmask_b32_e32 v7, v7, v11, vcc_lo
	s_delay_alu instid0(VALU_DEP_2) | instskip(NEXT) | instid1(VALU_DEP_2)
	v_cmp_le_u32_e32 vcc_lo, s28, v9
	v_add_nc_u32_e32 v11, 1, v7
	s_delay_alu instid0(VALU_DEP_1)
	v_cndmask_b32_e32 v48, v7, v11, vcc_lo
	s_branch .LBB119_3575
.LBB119_3580:
	s_load_b64 s[22:23], s[2:3], 0x2a8
	s_get_pc_i64 s[0:1]
	s_add_nc_u64 s[0:1], s[0:1], .str.9@rel64+4
	s_mov_b32 s24, -1
	s_cmp_lg_u64 s[0:1], 0
	s_mov_b32 s44, s21
	s_cselect_b32 s48, -1, 0
	s_mov_b32 s0, exec_lo
	v_cmpx_gt_i32_e64 v40, v42
	s_cbranch_execz .LBB119_3587
; %bb.3581:
	v_lshlrev_b64_e32 v[38:39], 2, v[38:39]
	v_dual_ashrrev_i32 v43, 31, v42 :: v_dual_ashrrev_i32 v41, 31, v40
	s_mov_b32 s9, 0
	s_xor_b32 s24, s48, -1
                                        ; implicit-def: $sgpr1
                                        ; implicit-def: $sgpr26
                                        ; implicit-def: $sgpr25
	s_delay_alu instid0(VALU_DEP_1) | instskip(SKIP_3) | instid1(VALU_DEP_2)
	v_lshl_add_u64 v[42:43], v[42:43], 2, v[38:39]
	s_wait_loadcnt 0x0
	s_wait_kmcnt 0x0
	v_add_nc_u64_e32 v[44:45], s[22:23], v[38:39]
	v_add_nc_u64_e32 v[42:43], s[22:23], v[42:43]
	s_delay_alu instid0(VALU_DEP_2) | instskip(NEXT) | instid1(VALU_DEP_2)
	v_lshl_add_u64 v[40:41], v[40:41], 2, v[44:45]
	v_add_nc_u64_e32 v[38:39], 4, v[42:43]
	s_branch .LBB119_3583
.LBB119_3582:                           ;   in Loop: Header=BB119_3583 Depth=1
	s_or_b32 exec_lo, exec_lo, s27
	s_xor_b32 s27, s25, -1
	s_and_b32 s28, exec_lo, s26
	s_delay_alu instid0(SALU_CYCLE_1) | instskip(SKIP_2) | instid1(SALU_CYCLE_1)
	s_or_b32 s9, s28, s9
	s_and_not1_b32 s1, s1, exec_lo
	s_and_b32 s27, s27, exec_lo
	s_or_b32 s1, s1, s27
	s_and_not1_b32 exec_lo, exec_lo, s9
	s_cbranch_execz .LBB119_3585
.LBB119_3583:                           ; =>This Inner Loop Header: Depth=1
	s_or_b32 s25, s25, exec_lo
	s_or_b32 s26, s26, exec_lo
	s_mov_b32 s27, exec_lo
	s_delay_alu instid0(VALU_DEP_1)
	v_cmpx_lt_u64_e64 v[38:39], v[40:41]
	s_cbranch_execz .LBB119_3582
; %bb.3584:                             ;   in Loop: Header=BB119_3583 Depth=1
	global_load_b64 v[42:43], v[38:39], off offset:-4
	s_wait_xcnt 0x0
	v_add_nc_u64_e32 v[38:39], 4, v[38:39]
	s_and_not1_b32 s26, s26, exec_lo
	s_and_not1_b32 s25, s25, exec_lo
	s_wait_loadcnt 0x0
	v_cmp_ge_i32_e32 vcc_lo, v42, v43
	s_or_b32 s28, s24, vcc_lo
	s_delay_alu instid0(SALU_CYCLE_1) | instskip(NEXT) | instid1(SALU_CYCLE_1)
	s_and_b32 s28, s28, exec_lo
	s_or_b32 s26, s26, s28
	s_branch .LBB119_3582
.LBB119_3585:
	s_or_b32 exec_lo, exec_lo, s9
	s_mov_b32 s9, -1
	s_mov_b32 s24, s21
	s_and_saveexec_b32 s25, s1
	s_delay_alu instid0(SALU_CYCLE_1)
	s_xor_b32 s1, exec_lo, s25
	s_cbranch_execnz .LBB119_3690
.LBB119_3586:
	s_or_b32 exec_lo, exec_lo, s1
	s_delay_alu instid0(SALU_CYCLE_1) | instskip(SKIP_1) | instid1(SALU_CYCLE_1)
	s_and_not1_b32 s1, s21, exec_lo
	s_and_b32 s24, s24, exec_lo
	s_or_b32 s44, s1, s24
	s_or_not1_b32 s24, s9, exec_lo
.LBB119_3587:
	s_or_b32 exec_lo, exec_lo, s0
	s_mov_b32 s1, 0
	s_mov_b32 s9, 0
                                        ; implicit-def: $vgpr38_vgpr39
                                        ; implicit-def: $sgpr0
	s_and_saveexec_b32 s45, s24
	s_cbranch_execz .LBB119_4416
; %bb.3588:
	v_mov_b32_e32 v37, 0
	s_and_b32 s57, 0xffff, s36
	s_delay_alu instid0(SALU_CYCLE_1) | instskip(NEXT) | instid1(VALU_DEP_1)
	s_cmp_lt_i32 s57, 11
	v_add_nc_u64_e32 v[36:37], s[6:7], v[36:37]
	s_cbranch_scc1 .LBB119_3596
; %bb.3589:
	s_cmp_gt_i32 s57, 25
	s_cbranch_scc0 .LBB119_3598
; %bb.3590:
	s_cmp_gt_i32 s57, 28
	s_cbranch_scc0 .LBB119_3600
	;; [unrolled: 3-line block ×4, first 2 shown]
; %bb.3593:
	s_cmp_eq_u32 s57, 46
	s_mov_b32 s24, 0
	s_cbranch_scc0 .LBB119_3778
; %bb.3594:
	global_load_b32 v7, v[36:37], off
	s_mov_b32 s0, 0
	s_mov_b32 s9, -1
	s_wait_loadcnt 0x0
	v_lshlrev_b32_e32 v7, 16, v7
	s_delay_alu instid0(VALU_DEP_1)
	v_cvt_i32_f32_e32 v7, v7
	s_branch .LBB119_3780
.LBB119_3595:
	s_or_b32 s33, s33, exec_lo
	s_trap 2
	s_cbranch_execz .LBB119_3470
	s_branch .LBB119_3471
.LBB119_3596:
	s_mov_b32 s0, -1
	s_mov_b32 s46, s44
                                        ; implicit-def: $vgpr7
	s_branch .LBB119_3842
.LBB119_3597:
	s_mov_b32 s36, -1
	s_mov_b32 s59, 0
	s_mov_b32 s56, s99
	s_branch .LBB119_3732
.LBB119_3598:
	s_mov_b32 s24, -1
	s_mov_b32 s0, 0
                                        ; implicit-def: $vgpr7
	s_branch .LBB119_3807
.LBB119_3599:
	s_mov_b32 s36, -1
	s_mov_b32 s59, 0
	s_mov_b32 s56, s99
	s_branch .LBB119_3712
.LBB119_3600:
	s_mov_b32 s24, -1
	s_mov_b32 s0, 0
                                        ; implicit-def: $vgpr7
	s_branch .LBB119_3790
.LBB119_3601:
	s_mov_b32 s36, -1
	s_mov_b32 s59, 0
	s_mov_b32 s56, s99
	s_branch .LBB119_3701
.LBB119_3602:
	s_mov_b32 s24, -1
	s_mov_b32 s0, 0
                                        ; implicit-def: $vgpr7
	s_branch .LBB119_3785
.LBB119_3603:
	s_mov_b32 s36, -1
	s_mov_b32 s59, 0
	s_mov_b32 s56, s45
.LBB119_3604:
	s_and_b32 vcc_lo, exec_lo, s36
	s_cbranch_vccz .LBB119_3607
; %bb.3605:
	s_cmp_eq_u32 s58, 44
	s_mov_b32 s56, -1
	s_cbranch_scc0 .LBB119_3607
; %bb.3606:
	s_wait_xcnt 0x0
	v_mov_b32_e32 v1, 0
	s_mov_b32 s59, -1
	s_mov_b32 s56, 0
	global_store_b8 v[2:3], v1, off
.LBB119_3607:
	s_mov_b32 s36, 0
.LBB119_3608:
	s_delay_alu instid0(SALU_CYCLE_1)
	s_and_b32 vcc_lo, exec_lo, s36
	s_cbranch_vccz .LBB119_3611
; %bb.3609:
	s_cmp_eq_u32 s58, 29
	s_mov_b32 s56, -1
	s_cbranch_scc0 .LBB119_3611
; %bb.3610:
	v_mov_b64_e32 v[4:5], 0
	s_mov_b32 s59, -1
	s_mov_b32 s56, 0
	s_mov_b32 s36, 0
	global_store_b64 v[2:3], v[4:5], off
	s_branch .LBB119_3612
.LBB119_3611:
	s_mov_b32 s36, 0
.LBB119_3612:
	s_delay_alu instid0(SALU_CYCLE_1)
	s_and_b32 vcc_lo, exec_lo, s36
	s_cbranch_vccz .LBB119_3622
; %bb.3613:
	s_cmp_lt_i32 s58, 27
	s_mov_b32 s36, -1
	s_cbranch_scc1 .LBB119_3619
; %bb.3614:
	s_cmp_gt_i32 s58, 27
	s_cbranch_scc0 .LBB119_3616
; %bb.3615:
	s_wait_xcnt 0x0
	v_mov_b32_e32 v1, 0
	s_mov_b32 s36, 0
	global_store_b32 v[2:3], v1, off
.LBB119_3616:
	s_and_not1_b32 vcc_lo, exec_lo, s36
	s_cbranch_vccnz .LBB119_3618
; %bb.3617:
	s_wait_xcnt 0x0
	v_mov_b32_e32 v1, 0
	global_store_b16 v[2:3], v1, off
.LBB119_3618:
	s_mov_b32 s36, 0
.LBB119_3619:
	s_delay_alu instid0(SALU_CYCLE_1)
	s_and_not1_b32 vcc_lo, exec_lo, s36
	s_cbranch_vccnz .LBB119_3621
; %bb.3620:
	s_wait_xcnt 0x0
	v_mov_b32_e32 v1, 0
	global_store_b8 v[2:3], v1, off
.LBB119_3621:
	s_mov_b32 s59, -1
.LBB119_3622:
	s_mov_b32 s36, 0
.LBB119_3623:
	s_delay_alu instid0(SALU_CYCLE_1)
	s_and_b32 vcc_lo, exec_lo, s36
	s_cbranch_vccz .LBB119_3642
; %bb.3624:
	s_cmp_gt_i32 s58, 22
	s_mov_b32 s36, -1
	s_cbranch_scc0 .LBB119_3634
; %bb.3625:
	s_cmp_lt_i32 s58, 24
	s_cbranch_scc1 .LBB119_3631
; %bb.3626:
	s_cmp_gt_i32 s58, 24
	s_cbranch_scc0 .LBB119_3628
; %bb.3627:
	s_wait_xcnt 0x0
	v_mov_b32_e32 v1, 0
	s_mov_b32 s36, 0
	global_store_b8 v[2:3], v1, off
.LBB119_3628:
	s_and_not1_b32 vcc_lo, exec_lo, s36
	s_cbranch_vccnz .LBB119_3630
; %bb.3629:
	s_wait_xcnt 0x0
	v_mov_b32_e32 v1, 0
	global_store_b8 v[2:3], v1, off
.LBB119_3630:
	s_mov_b32 s36, 0
.LBB119_3631:
	s_delay_alu instid0(SALU_CYCLE_1)
	s_and_not1_b32 vcc_lo, exec_lo, s36
	s_cbranch_vccnz .LBB119_3633
; %bb.3632:
	s_wait_xcnt 0x0
	v_mov_b32_e32 v1, 0
	global_store_b8 v[2:3], v1, off
.LBB119_3633:
	s_mov_b32 s36, 0
	s_mov_b32 s59, -1
.LBB119_3634:
	s_and_not1_b32 vcc_lo, exec_lo, s36
	s_cbranch_vccnz .LBB119_3642
; %bb.3635:
	s_cmp_gt_i32 s58, 14
	s_mov_b32 s36, -1
	s_cbranch_scc0 .LBB119_3639
; %bb.3636:
	s_cmp_eq_u32 s58, 15
	s_mov_b32 s56, -1
	s_cbranch_scc0 .LBB119_3638
; %bb.3637:
	s_wait_xcnt 0x0
	v_mov_b32_e32 v1, 0
	s_mov_b32 s59, -1
	s_mov_b32 s56, 0
	global_store_b16 v[2:3], v1, off
.LBB119_3638:
	s_mov_b32 s36, 0
.LBB119_3639:
	s_delay_alu instid0(SALU_CYCLE_1)
	s_and_b32 vcc_lo, exec_lo, s36
	s_cbranch_vccz .LBB119_3642
; %bb.3640:
	s_cmp_eq_u32 s58, 11
	s_mov_b32 s56, -1
	s_cbranch_scc0 .LBB119_3642
; %bb.3641:
	s_wait_xcnt 0x0
	v_mov_b32_e32 v1, 0
	s_mov_b32 s59, -1
	s_mov_b32 s56, 0
	global_store_b8 v[2:3], v1, off
.LBB119_3642:
	s_mov_b32 s36, 0
.LBB119_3643:
	s_delay_alu instid0(SALU_CYCLE_1)
	s_and_b32 vcc_lo, exec_lo, s36
	s_cbranch_vccz .LBB119_3682
; %bb.3644:
	s_and_b32 s36, 0xffff, s57
	s_mov_b32 s37, -1
	s_cmp_lt_i32 s36, 5
	s_cbranch_scc1 .LBB119_3665
; %bb.3645:
	s_cmp_lt_i32 s36, 8
	s_cbranch_scc1 .LBB119_3655
; %bb.3646:
	;; [unrolled: 3-line block ×3, first 2 shown]
	s_cmp_gt_i32 s36, 9
	s_cbranch_scc0 .LBB119_3649
; %bb.3648:
	s_wait_xcnt 0x0
	v_mov_b32_e32 v4, 0
	s_mov_b32 s37, 0
	s_delay_alu instid0(VALU_DEP_1)
	v_dual_mov_b32 v5, v4 :: v_dual_mov_b32 v6, v4
	v_mov_b32_e32 v7, v4
	global_store_b128 v[2:3], v[4:7], off
.LBB119_3649:
	s_and_not1_b32 vcc_lo, exec_lo, s37
	s_cbranch_vccnz .LBB119_3651
; %bb.3650:
	s_wait_xcnt 0x0
	v_mov_b64_e32 v[4:5], 0
	global_store_b64 v[2:3], v[4:5], off
.LBB119_3651:
	s_mov_b32 s37, 0
.LBB119_3652:
	s_delay_alu instid0(SALU_CYCLE_1)
	s_and_not1_b32 vcc_lo, exec_lo, s37
	s_cbranch_vccnz .LBB119_3654
; %bb.3653:
	s_wait_xcnt 0x0
	v_mov_b32_e32 v1, 0
	global_store_b32 v[2:3], v1, off
.LBB119_3654:
	s_mov_b32 s37, 0
.LBB119_3655:
	s_delay_alu instid0(SALU_CYCLE_1)
	s_and_not1_b32 vcc_lo, exec_lo, s37
	s_cbranch_vccnz .LBB119_3664
; %bb.3656:
	s_cmp_lt_i32 s36, 6
	s_mov_b32 s37, -1
	s_cbranch_scc1 .LBB119_3662
; %bb.3657:
	s_cmp_gt_i32 s36, 6
	s_cbranch_scc0 .LBB119_3659
; %bb.3658:
	s_wait_xcnt 0x0
	v_mov_b64_e32 v[4:5], 0
	s_mov_b32 s37, 0
	global_store_b64 v[2:3], v[4:5], off
.LBB119_3659:
	s_and_not1_b32 vcc_lo, exec_lo, s37
	s_cbranch_vccnz .LBB119_3661
; %bb.3660:
	s_wait_xcnt 0x0
	v_mov_b32_e32 v1, 0
	global_store_b32 v[2:3], v1, off
.LBB119_3661:
	s_mov_b32 s37, 0
.LBB119_3662:
	s_delay_alu instid0(SALU_CYCLE_1)
	s_and_not1_b32 vcc_lo, exec_lo, s37
	s_cbranch_vccnz .LBB119_3664
; %bb.3663:
	s_wait_xcnt 0x0
	v_mov_b32_e32 v1, 0
	global_store_b16 v[2:3], v1, off
.LBB119_3664:
	s_mov_b32 s37, 0
.LBB119_3665:
	s_delay_alu instid0(SALU_CYCLE_1)
	s_and_not1_b32 vcc_lo, exec_lo, s37
	s_cbranch_vccnz .LBB119_3681
; %bb.3666:
	s_cmp_lt_i32 s36, 2
	s_mov_b32 s37, -1
	s_cbranch_scc1 .LBB119_3676
; %bb.3667:
	s_cmp_lt_i32 s36, 3
	s_cbranch_scc1 .LBB119_3673
; %bb.3668:
	s_cmp_gt_i32 s36, 3
	s_cbranch_scc0 .LBB119_3670
; %bb.3669:
	s_wait_xcnt 0x0
	v_mov_b64_e32 v[4:5], 0
	s_mov_b32 s37, 0
	global_store_b64 v[2:3], v[4:5], off
.LBB119_3670:
	s_and_not1_b32 vcc_lo, exec_lo, s37
	s_cbranch_vccnz .LBB119_3672
; %bb.3671:
	s_wait_xcnt 0x0
	v_mov_b32_e32 v1, 0
	global_store_b32 v[2:3], v1, off
.LBB119_3672:
	s_mov_b32 s37, 0
.LBB119_3673:
	s_delay_alu instid0(SALU_CYCLE_1)
	s_and_not1_b32 vcc_lo, exec_lo, s37
	s_cbranch_vccnz .LBB119_3675
; %bb.3674:
	s_wait_xcnt 0x0
	v_mov_b32_e32 v1, 0
	global_store_b16 v[2:3], v1, off
.LBB119_3675:
	s_mov_b32 s37, 0
.LBB119_3676:
	s_delay_alu instid0(SALU_CYCLE_1)
	s_and_not1_b32 vcc_lo, exec_lo, s37
	s_cbranch_vccnz .LBB119_3681
; %bb.3677:
	s_cmp_gt_i32 s36, 0
	s_mov_b32 s36, -1
	s_cbranch_scc0 .LBB119_3679
; %bb.3678:
	s_wait_xcnt 0x0
	v_mov_b32_e32 v1, 0
	s_mov_b32 s36, 0
	global_store_b8 v[2:3], v1, off
.LBB119_3679:
	s_and_not1_b32 vcc_lo, exec_lo, s36
	s_cbranch_vccnz .LBB119_3681
; %bb.3680:
	s_wait_xcnt 0x0
	v_mov_b32_e32 v1, 0
	global_store_b8 v[2:3], v1, off
.LBB119_3681:
	s_mov_b32 s59, -1
.LBB119_3682:
	s_delay_alu instid0(SALU_CYCLE_1)
	s_and_not1_b32 vcc_lo, exec_lo, s59
	s_cbranch_vccnz .LBB119_3684
; %bb.3683:
	v_add_nc_u32_e32 v0, 0x80, v0
	s_mov_b32 s36, -1
	s_branch .LBB119_3685
.LBB119_3684:
	s_mov_b32 s36, 0
                                        ; implicit-def: $vgpr0
.LBB119_3685:
	s_and_not1_b32 s4, s45, exec_lo
	s_and_b32 s5, s56, exec_lo
	s_and_not1_b32 s0, s0, exec_lo
	s_or_b32 s37, s4, s5
	s_and_b32 s36, s36, exec_lo
.LBB119_3686:
	s_wait_xcnt 0x0
	s_or_b32 exec_lo, exec_lo, s49
	s_delay_alu instid0(SALU_CYCLE_1)
	s_and_not1_b32 s4, s45, exec_lo
	s_and_b32 s5, s37, exec_lo
	s_and_not1_b32 s6, s68, exec_lo
	s_and_b32 s0, s0, exec_lo
	s_or_b32 s38, s4, s5
	s_or_b32 s0, s6, s0
	s_xor_b32 s37, exec_lo, -1
	s_and_b32 s36, s36, exec_lo
.LBB119_3687:
	s_or_b32 exec_lo, exec_lo, s94
	s_delay_alu instid0(SALU_CYCLE_1)
	s_and_not1_b32 s4, s45, exec_lo
	s_and_b32 s5, s38, exec_lo
	s_and_b32 s0, s0, exec_lo
	s_or_b32 s49, s4, s5
	s_and_not1_b32 s4, s68, exec_lo
	s_and_not1_b32 s5, s69, exec_lo
	s_and_b32 s6, s37, exec_lo
	s_or_b32 s37, s4, s0
	s_or_b32 s39, s5, s6
	s_xor_b32 s38, exec_lo, -1
	s_and_b32 s0, s36, exec_lo
.LBB119_3688:
	s_or_b32 exec_lo, exec_lo, s93
	s_delay_alu instid0(SALU_CYCLE_1)
	s_and_not1_b32 s4, s45, exec_lo
	s_and_b32 s5, s49, exec_lo
	s_and_not1_b32 s6, s68, exec_lo
	s_and_b32 s7, s37, exec_lo
	s_or_b32 s36, s4, s5
	s_or_b32 s37, s6, s7
	s_and_not1_b32 s4, s69, exec_lo
	s_and_b32 s5, s39, exec_lo
	s_and_not1_b32 s6, s84, exec_lo
	s_and_b32 s7, s38, exec_lo
	s_or_b32 s38, s4, s5
	s_or_b32 s49, s6, s7
	s_xor_b32 s39, exec_lo, -1
	s_and_b32 s0, s0, exec_lo
	s_or_b32 exec_lo, exec_lo, s92
	s_branch .LBB119_1325
.LBB119_3689:
	s_mov_b32 s36, -1
	s_mov_b32 s59, 0
	s_mov_b32 s56, s99
	s_branch .LBB119_3697
.LBB119_3690:
	s_or_b32 s24, s21, exec_lo
	s_xor_b32 s9, exec_lo, -1
	s_trap 2
	s_branch .LBB119_3586
.LBB119_3691:
	s_mov_b32 s24, -1
	s_mov_b32 s0, 0
	s_branch .LBB119_3779
.LBB119_3692:
	s_mov_b32 s36, -1
	s_mov_b32 s59, 0
	s_mov_b32 s56, s99
.LBB119_3693:
	s_and_b32 vcc_lo, exec_lo, s36
	s_cbranch_vccz .LBB119_3696
; %bb.3694:
	s_cmp_eq_u32 s58, 44
	s_mov_b32 s56, -1
	s_cbranch_scc0 .LBB119_3696
; %bb.3695:
	s_wait_xcnt 0x0
	v_mov_b32_e32 v1, 0
	s_mov_b32 s59, -1
	s_mov_b32 s56, 0
	global_store_b8 v[2:3], v1, off
.LBB119_3696:
	s_mov_b32 s36, 0
.LBB119_3697:
	s_delay_alu instid0(SALU_CYCLE_1)
	s_and_b32 vcc_lo, exec_lo, s36
	s_cbranch_vccz .LBB119_3700
; %bb.3698:
	s_cmp_eq_u32 s58, 29
	s_mov_b32 s56, -1
	s_cbranch_scc0 .LBB119_3700
; %bb.3699:
	v_mov_b64_e32 v[4:5], 0
	s_mov_b32 s59, -1
	s_mov_b32 s56, 0
	s_mov_b32 s36, 0
	global_store_b64 v[2:3], v[4:5], off
	s_branch .LBB119_3701
.LBB119_3700:
	s_mov_b32 s36, 0
.LBB119_3701:
	s_delay_alu instid0(SALU_CYCLE_1)
	s_and_b32 vcc_lo, exec_lo, s36
	s_cbranch_vccz .LBB119_3711
; %bb.3702:
	s_cmp_lt_i32 s58, 27
	s_mov_b32 s36, -1
	s_cbranch_scc1 .LBB119_3708
; %bb.3703:
	s_cmp_gt_i32 s58, 27
	s_cbranch_scc0 .LBB119_3705
; %bb.3704:
	s_wait_xcnt 0x0
	v_mov_b32_e32 v1, 0
	s_mov_b32 s36, 0
	global_store_b32 v[2:3], v1, off
.LBB119_3705:
	s_and_not1_b32 vcc_lo, exec_lo, s36
	s_cbranch_vccnz .LBB119_3707
; %bb.3706:
	s_wait_xcnt 0x0
	v_mov_b32_e32 v1, 0
	global_store_b16 v[2:3], v1, off
.LBB119_3707:
	s_mov_b32 s36, 0
.LBB119_3708:
	s_delay_alu instid0(SALU_CYCLE_1)
	s_and_not1_b32 vcc_lo, exec_lo, s36
	s_cbranch_vccnz .LBB119_3710
; %bb.3709:
	s_wait_xcnt 0x0
	v_mov_b32_e32 v1, 0
	global_store_b8 v[2:3], v1, off
.LBB119_3710:
	s_mov_b32 s59, -1
.LBB119_3711:
	s_mov_b32 s36, 0
.LBB119_3712:
	s_delay_alu instid0(SALU_CYCLE_1)
	s_and_b32 vcc_lo, exec_lo, s36
	s_cbranch_vccz .LBB119_3731
; %bb.3713:
	s_cmp_gt_i32 s58, 22
	s_mov_b32 s36, -1
	s_cbranch_scc0 .LBB119_3723
; %bb.3714:
	s_cmp_lt_i32 s58, 24
	s_cbranch_scc1 .LBB119_3720
; %bb.3715:
	s_cmp_gt_i32 s58, 24
	s_cbranch_scc0 .LBB119_3717
; %bb.3716:
	s_wait_xcnt 0x0
	v_mov_b32_e32 v1, 0
	s_mov_b32 s36, 0
	global_store_b8 v[2:3], v1, off
.LBB119_3717:
	s_and_not1_b32 vcc_lo, exec_lo, s36
	s_cbranch_vccnz .LBB119_3719
; %bb.3718:
	s_wait_xcnt 0x0
	v_mov_b32_e32 v1, 0
	global_store_b8 v[2:3], v1, off
.LBB119_3719:
	s_mov_b32 s36, 0
.LBB119_3720:
	s_delay_alu instid0(SALU_CYCLE_1)
	s_and_not1_b32 vcc_lo, exec_lo, s36
	s_cbranch_vccnz .LBB119_3722
; %bb.3721:
	s_wait_xcnt 0x0
	v_mov_b32_e32 v1, 0
	global_store_b8 v[2:3], v1, off
.LBB119_3722:
	s_mov_b32 s36, 0
	s_mov_b32 s59, -1
.LBB119_3723:
	s_and_not1_b32 vcc_lo, exec_lo, s36
	s_cbranch_vccnz .LBB119_3731
; %bb.3724:
	s_cmp_gt_i32 s58, 14
	s_mov_b32 s36, -1
	s_cbranch_scc0 .LBB119_3728
; %bb.3725:
	s_cmp_eq_u32 s58, 15
	s_mov_b32 s56, -1
	s_cbranch_scc0 .LBB119_3727
; %bb.3726:
	s_wait_xcnt 0x0
	v_mov_b32_e32 v1, 0
	s_mov_b32 s59, -1
	s_mov_b32 s56, 0
	global_store_b16 v[2:3], v1, off
.LBB119_3727:
	s_mov_b32 s36, 0
.LBB119_3728:
	s_delay_alu instid0(SALU_CYCLE_1)
	s_and_b32 vcc_lo, exec_lo, s36
	s_cbranch_vccz .LBB119_3731
; %bb.3729:
	s_cmp_eq_u32 s58, 11
	s_mov_b32 s56, -1
	s_cbranch_scc0 .LBB119_3731
; %bb.3730:
	s_wait_xcnt 0x0
	v_mov_b32_e32 v1, 0
	s_mov_b32 s59, -1
	s_mov_b32 s56, 0
	global_store_b8 v[2:3], v1, off
.LBB119_3731:
	s_mov_b32 s36, 0
.LBB119_3732:
	s_delay_alu instid0(SALU_CYCLE_1)
	s_and_b32 vcc_lo, exec_lo, s36
	s_cbranch_vccz .LBB119_3771
; %bb.3733:
	s_and_b32 s36, 0xffff, s57
	s_mov_b32 s37, -1
	s_cmp_lt_i32 s36, 5
	s_cbranch_scc1 .LBB119_3754
; %bb.3734:
	s_cmp_lt_i32 s36, 8
	s_cbranch_scc1 .LBB119_3744
; %bb.3735:
	;; [unrolled: 3-line block ×3, first 2 shown]
	s_cmp_gt_i32 s36, 9
	s_cbranch_scc0 .LBB119_3738
; %bb.3737:
	s_wait_xcnt 0x0
	v_mov_b32_e32 v4, 0
	s_mov_b32 s37, 0
	s_delay_alu instid0(VALU_DEP_1)
	v_dual_mov_b32 v5, v4 :: v_dual_mov_b32 v6, v4
	v_mov_b32_e32 v7, v4
	global_store_b128 v[2:3], v[4:7], off
.LBB119_3738:
	s_and_not1_b32 vcc_lo, exec_lo, s37
	s_cbranch_vccnz .LBB119_3740
; %bb.3739:
	s_wait_xcnt 0x0
	v_mov_b64_e32 v[4:5], 0
	global_store_b64 v[2:3], v[4:5], off
.LBB119_3740:
	s_mov_b32 s37, 0
.LBB119_3741:
	s_delay_alu instid0(SALU_CYCLE_1)
	s_and_not1_b32 vcc_lo, exec_lo, s37
	s_cbranch_vccnz .LBB119_3743
; %bb.3742:
	s_wait_xcnt 0x0
	v_mov_b32_e32 v1, 0
	global_store_b32 v[2:3], v1, off
.LBB119_3743:
	s_mov_b32 s37, 0
.LBB119_3744:
	s_delay_alu instid0(SALU_CYCLE_1)
	s_and_not1_b32 vcc_lo, exec_lo, s37
	s_cbranch_vccnz .LBB119_3753
; %bb.3745:
	s_cmp_lt_i32 s36, 6
	s_mov_b32 s37, -1
	s_cbranch_scc1 .LBB119_3751
; %bb.3746:
	s_cmp_gt_i32 s36, 6
	s_cbranch_scc0 .LBB119_3748
; %bb.3747:
	s_wait_xcnt 0x0
	v_mov_b64_e32 v[4:5], 0
	s_mov_b32 s37, 0
	global_store_b64 v[2:3], v[4:5], off
.LBB119_3748:
	s_and_not1_b32 vcc_lo, exec_lo, s37
	s_cbranch_vccnz .LBB119_3750
; %bb.3749:
	s_wait_xcnt 0x0
	v_mov_b32_e32 v1, 0
	global_store_b32 v[2:3], v1, off
.LBB119_3750:
	s_mov_b32 s37, 0
.LBB119_3751:
	s_delay_alu instid0(SALU_CYCLE_1)
	s_and_not1_b32 vcc_lo, exec_lo, s37
	s_cbranch_vccnz .LBB119_3753
; %bb.3752:
	s_wait_xcnt 0x0
	v_mov_b32_e32 v1, 0
	global_store_b16 v[2:3], v1, off
.LBB119_3753:
	s_mov_b32 s37, 0
.LBB119_3754:
	s_delay_alu instid0(SALU_CYCLE_1)
	s_and_not1_b32 vcc_lo, exec_lo, s37
	s_cbranch_vccnz .LBB119_3770
; %bb.3755:
	s_cmp_lt_i32 s36, 2
	s_mov_b32 s37, -1
	s_cbranch_scc1 .LBB119_3765
; %bb.3756:
	s_cmp_lt_i32 s36, 3
	s_cbranch_scc1 .LBB119_3762
; %bb.3757:
	s_cmp_gt_i32 s36, 3
	s_cbranch_scc0 .LBB119_3759
; %bb.3758:
	s_wait_xcnt 0x0
	v_mov_b64_e32 v[4:5], 0
	s_mov_b32 s37, 0
	global_store_b64 v[2:3], v[4:5], off
.LBB119_3759:
	s_and_not1_b32 vcc_lo, exec_lo, s37
	s_cbranch_vccnz .LBB119_3761
; %bb.3760:
	s_wait_xcnt 0x0
	v_mov_b32_e32 v1, 0
	global_store_b32 v[2:3], v1, off
.LBB119_3761:
	s_mov_b32 s37, 0
.LBB119_3762:
	s_delay_alu instid0(SALU_CYCLE_1)
	s_and_not1_b32 vcc_lo, exec_lo, s37
	s_cbranch_vccnz .LBB119_3764
; %bb.3763:
	s_wait_xcnt 0x0
	v_mov_b32_e32 v1, 0
	global_store_b16 v[2:3], v1, off
.LBB119_3764:
	s_mov_b32 s37, 0
.LBB119_3765:
	s_delay_alu instid0(SALU_CYCLE_1)
	s_and_not1_b32 vcc_lo, exec_lo, s37
	s_cbranch_vccnz .LBB119_3770
; %bb.3766:
	s_cmp_gt_i32 s36, 0
	s_mov_b32 s36, -1
	s_cbranch_scc0 .LBB119_3768
; %bb.3767:
	s_wait_xcnt 0x0
	v_mov_b32_e32 v1, 0
	s_mov_b32 s36, 0
	global_store_b8 v[2:3], v1, off
.LBB119_3768:
	s_and_not1_b32 vcc_lo, exec_lo, s36
	s_cbranch_vccnz .LBB119_3770
; %bb.3769:
	s_wait_xcnt 0x0
	v_mov_b32_e32 v1, 0
	global_store_b8 v[2:3], v1, off
.LBB119_3770:
	s_mov_b32 s59, -1
.LBB119_3771:
	s_delay_alu instid0(SALU_CYCLE_1)
	s_and_not1_b32 vcc_lo, exec_lo, s59
	s_cbranch_vccnz .LBB119_3773
; %bb.3772:
	v_add_nc_u32_e32 v0, 0x80, v0
	s_mov_b32 s36, -1
	s_branch .LBB119_3774
.LBB119_3773:
	s_mov_b32 s36, 0
                                        ; implicit-def: $vgpr0
.LBB119_3774:
	s_and_not1_b32 s4, s99, exec_lo
	s_and_b32 s5, s56, exec_lo
	s_and_not1_b32 s0, s0, exec_lo
	s_or_b32 s37, s4, s5
	s_and_b32 s36, s36, exec_lo
.LBB119_3775:
	s_wait_xcnt 0x0
	s_or_b32 exec_lo, exec_lo, s49
	s_delay_alu instid0(SALU_CYCLE_1)
	s_and_not1_b32 s4, s99, exec_lo
	s_and_b32 s5, s37, exec_lo
	s_and_not1_b32 s6, s100, exec_lo
	s_and_b32 s0, s0, exec_lo
	s_or_b32 s38, s4, s5
	s_or_b32 s0, s6, s0
	s_xor_b32 s37, exec_lo, -1
	s_and_b32 s36, s36, exec_lo
.LBB119_3776:
	s_or_b32 exec_lo, exec_lo, s25
	s_delay_alu instid0(SALU_CYCLE_1)
	s_and_not1_b32 s4, s99, exec_lo
	s_and_b32 s5, s38, exec_lo
	s_and_b32 s0, s0, exec_lo
	s_or_b32 s49, s4, s5
	s_and_not1_b32 s4, s100, exec_lo
	s_and_not1_b32 s5, s101, exec_lo
	s_and_b32 s6, s37, exec_lo
	s_or_b32 s37, s4, s0
	s_or_b32 s39, s5, s6
	s_xor_b32 s38, exec_lo, -1
	s_and_b32 s0, s36, exec_lo
.LBB119_3777:
	s_or_b32 exec_lo, exec_lo, s24
	s_delay_alu instid0(SALU_CYCLE_1)
	s_and_not1_b32 s4, s99, exec_lo
	s_and_b32 s5, s49, exec_lo
	s_and_not1_b32 s6, s100, exec_lo
	s_and_b32 s7, s37, exec_lo
	s_or_b32 s36, s4, s5
	s_or_b32 s37, s6, s7
	s_and_not1_b32 s4, s101, exec_lo
	s_and_b32 s5, s39, exec_lo
	s_and_not1_b32 s6, s97, exec_lo
	s_and_b32 s7, s38, exec_lo
	s_or_b32 s38, s4, s5
	s_or_b32 s49, s6, s7
	s_xor_b32 s39, exec_lo, -1
	s_and_b32 s0, s0, exec_lo
	s_or_b32 exec_lo, exec_lo, s21
	s_branch .LBB119_2085
.LBB119_3778:
	s_mov_b32 s0, -1
.LBB119_3779:
                                        ; implicit-def: $vgpr7
.LBB119_3780:
	s_and_b32 vcc_lo, exec_lo, s24
	s_cbranch_vccz .LBB119_3784
; %bb.3781:
	s_cmp_eq_u32 s57, 44
	s_cbranch_scc0 .LBB119_3783
; %bb.3782:
	global_load_u8 v7, v[36:37], off
	s_mov_b32 s0, 0
	s_mov_b32 s9, -1
	s_wait_loadcnt 0x0
	v_lshlrev_b32_e32 v9, 23, v7
	v_cmp_ne_u32_e32 vcc_lo, 0, v7
	s_delay_alu instid0(VALU_DEP_2) | instskip(NEXT) | instid1(VALU_DEP_1)
	v_cvt_i32_f32_e32 v9, v9
	v_cndmask_b32_e32 v7, 0, v9, vcc_lo
	s_branch .LBB119_3784
.LBB119_3783:
	s_mov_b32 s0, -1
                                        ; implicit-def: $vgpr7
.LBB119_3784:
	s_mov_b32 s24, 0
.LBB119_3785:
	s_delay_alu instid0(SALU_CYCLE_1)
	s_and_b32 vcc_lo, exec_lo, s24
	s_cbranch_vccz .LBB119_3789
; %bb.3786:
	s_cmp_eq_u32 s57, 29
	s_cbranch_scc0 .LBB119_3788
; %bb.3787:
	global_load_b32 v7, v[36:37], off
	s_mov_b32 s0, 0
	s_mov_b32 s9, -1
	s_branch .LBB119_3789
.LBB119_3788:
	s_mov_b32 s0, -1
                                        ; implicit-def: $vgpr7
.LBB119_3789:
	s_mov_b32 s24, 0
.LBB119_3790:
	s_delay_alu instid0(SALU_CYCLE_1)
	s_and_b32 vcc_lo, exec_lo, s24
	s_cbranch_vccz .LBB119_3806
; %bb.3791:
	s_cmp_lt_i32 s57, 27
	s_cbranch_scc1 .LBB119_3794
; %bb.3792:
	s_cmp_gt_i32 s57, 27
	s_cbranch_scc0 .LBB119_3795
; %bb.3793:
	s_wait_loadcnt 0x0
	global_load_b32 v7, v[36:37], off
	s_mov_b32 s9, 0
	s_branch .LBB119_3796
.LBB119_3794:
	s_mov_b32 s9, -1
                                        ; implicit-def: $vgpr7
	s_branch .LBB119_3799
.LBB119_3795:
	s_mov_b32 s9, -1
                                        ; implicit-def: $vgpr7
.LBB119_3796:
	s_delay_alu instid0(SALU_CYCLE_1)
	s_and_not1_b32 vcc_lo, exec_lo, s9
	s_cbranch_vccnz .LBB119_3798
; %bb.3797:
	s_wait_loadcnt 0x0
	global_load_u16 v7, v[36:37], off
.LBB119_3798:
	s_mov_b32 s9, 0
.LBB119_3799:
	s_delay_alu instid0(SALU_CYCLE_1)
	s_and_not1_b32 vcc_lo, exec_lo, s9
	s_cbranch_vccnz .LBB119_3805
; %bb.3800:
	global_load_u8 v9, v[36:37], off
	s_mov_b32 s24, 0
	s_mov_b32 s9, exec_lo
	s_wait_loadcnt 0x0
	v_cmpx_lt_i16_e32 0x7f, v9
	s_xor_b32 s9, exec_lo, s9
	s_cbranch_execz .LBB119_3817
; %bb.3801:
	v_cmp_ne_u16_e32 vcc_lo, 0x80, v9
	s_and_b32 s24, vcc_lo, exec_lo
	s_and_not1_saveexec_b32 s9, s9
	s_cbranch_execnz .LBB119_3818
.LBB119_3802:
	s_or_b32 exec_lo, exec_lo, s9
	v_mov_b32_e32 v7, 0
	s_and_saveexec_b32 s9, s24
	s_cbranch_execz .LBB119_3804
.LBB119_3803:
	v_and_b32_e32 v7, 0xffff, v9
	s_delay_alu instid0(VALU_DEP_1) | instskip(SKIP_1) | instid1(VALU_DEP_2)
	v_and_b32_e32 v11, 7, v7
	v_bfe_u32 v17, v7, 3, 4
	v_clz_i32_u32_e32 v13, v11
	s_delay_alu instid0(VALU_DEP_2) | instskip(NEXT) | instid1(VALU_DEP_2)
	v_cmp_eq_u32_e32 vcc_lo, 0, v17
	v_min_u32_e32 v13, 32, v13
	s_delay_alu instid0(VALU_DEP_1) | instskip(NEXT) | instid1(VALU_DEP_1)
	v_subrev_nc_u32_e32 v15, 28, v13
	v_dual_lshlrev_b32 v7, v15, v7 :: v_dual_sub_nc_u32 v13, 29, v13
	s_delay_alu instid0(VALU_DEP_1) | instskip(NEXT) | instid1(VALU_DEP_1)
	v_dual_lshlrev_b32 v9, 24, v9 :: v_dual_bitop2_b32 v7, 7, v7 bitop3:0x40
	v_dual_cndmask_b32 v7, v11, v7, vcc_lo :: v_dual_cndmask_b32 v13, v17, v13, vcc_lo
	s_delay_alu instid0(VALU_DEP_2) | instskip(NEXT) | instid1(VALU_DEP_2)
	v_and_b32_e32 v9, 0x80000000, v9
	v_lshlrev_b32_e32 v7, 20, v7
	s_delay_alu instid0(VALU_DEP_3) | instskip(NEXT) | instid1(VALU_DEP_1)
	v_lshl_add_u32 v11, v13, 23, 0x3b800000
	v_or3_b32 v7, v9, v11, v7
	s_delay_alu instid0(VALU_DEP_1)
	v_cvt_i32_f32_e32 v7, v7
.LBB119_3804:
	s_or_b32 exec_lo, exec_lo, s9
.LBB119_3805:
	s_mov_b32 s9, -1
.LBB119_3806:
	s_mov_b32 s24, 0
.LBB119_3807:
	s_delay_alu instid0(SALU_CYCLE_1)
	s_and_b32 vcc_lo, exec_lo, s24
	s_cbranch_vccz .LBB119_3838
; %bb.3808:
	s_cmp_gt_i32 s57, 22
	s_cbranch_scc0 .LBB119_3816
; %bb.3809:
	s_cmp_lt_i32 s57, 24
	s_cbranch_scc1 .LBB119_3819
; %bb.3810:
	s_cmp_gt_i32 s57, 24
	s_cbranch_scc0 .LBB119_3820
; %bb.3811:
	global_load_u8 v9, v[36:37], off
	s_mov_b32 s9, 0
	s_mov_b32 s1, exec_lo
	s_wait_loadcnt 0x0
	v_cmpx_lt_i16_e32 0x7f, v9
	s_xor_b32 s1, exec_lo, s1
	s_cbranch_execz .LBB119_3832
; %bb.3812:
	v_cmp_ne_u16_e32 vcc_lo, 0x80, v9
	s_and_b32 s9, vcc_lo, exec_lo
	s_and_not1_saveexec_b32 s1, s1
	s_cbranch_execnz .LBB119_3833
.LBB119_3813:
	s_or_b32 exec_lo, exec_lo, s1
	v_mov_b32_e32 v7, 0
	s_and_saveexec_b32 s1, s9
	s_cbranch_execz .LBB119_3815
.LBB119_3814:
	v_and_b32_e32 v7, 0xffff, v9
	s_delay_alu instid0(VALU_DEP_1) | instskip(SKIP_1) | instid1(VALU_DEP_2)
	v_and_b32_e32 v11, 3, v7
	v_bfe_u32 v17, v7, 2, 5
	v_clz_i32_u32_e32 v13, v11
	s_delay_alu instid0(VALU_DEP_2) | instskip(NEXT) | instid1(VALU_DEP_2)
	v_cmp_eq_u32_e32 vcc_lo, 0, v17
	v_min_u32_e32 v13, 32, v13
	s_delay_alu instid0(VALU_DEP_1) | instskip(NEXT) | instid1(VALU_DEP_1)
	v_subrev_nc_u32_e32 v15, 29, v13
	v_dual_lshlrev_b32 v7, v15, v7 :: v_dual_sub_nc_u32 v13, 30, v13
	s_delay_alu instid0(VALU_DEP_1) | instskip(NEXT) | instid1(VALU_DEP_1)
	v_dual_lshlrev_b32 v9, 24, v9 :: v_dual_bitop2_b32 v7, 3, v7 bitop3:0x40
	v_dual_cndmask_b32 v7, v11, v7, vcc_lo :: v_dual_cndmask_b32 v13, v17, v13, vcc_lo
	s_delay_alu instid0(VALU_DEP_2) | instskip(NEXT) | instid1(VALU_DEP_2)
	v_and_b32_e32 v9, 0x80000000, v9
	v_lshlrev_b32_e32 v7, 21, v7
	s_delay_alu instid0(VALU_DEP_3) | instskip(NEXT) | instid1(VALU_DEP_1)
	v_lshl_add_u32 v11, v13, 23, 0x37800000
	v_or3_b32 v7, v9, v11, v7
	s_delay_alu instid0(VALU_DEP_1)
	v_cvt_i32_f32_e32 v7, v7
.LBB119_3815:
	s_or_b32 exec_lo, exec_lo, s1
	s_mov_b32 s1, 0
	s_branch .LBB119_3821
.LBB119_3816:
	s_mov_b32 s1, -1
                                        ; implicit-def: $vgpr7
	s_branch .LBB119_3827
.LBB119_3817:
	s_and_not1_saveexec_b32 s9, s9
	s_cbranch_execz .LBB119_3802
.LBB119_3818:
	v_cmp_ne_u16_e32 vcc_lo, 0, v9
	s_and_not1_b32 s24, s24, exec_lo
	s_and_b32 s25, vcc_lo, exec_lo
	s_delay_alu instid0(SALU_CYCLE_1)
	s_or_b32 s24, s24, s25
	s_or_b32 exec_lo, exec_lo, s9
	v_mov_b32_e32 v7, 0
	s_and_saveexec_b32 s9, s24
	s_cbranch_execnz .LBB119_3803
	s_branch .LBB119_3804
.LBB119_3819:
	s_mov_b32 s1, -1
                                        ; implicit-def: $vgpr7
	s_branch .LBB119_3824
.LBB119_3820:
	s_mov_b32 s1, -1
                                        ; implicit-def: $vgpr7
.LBB119_3821:
	s_delay_alu instid0(SALU_CYCLE_1)
	s_and_b32 vcc_lo, exec_lo, s1
	s_cbranch_vccz .LBB119_3823
; %bb.3822:
	s_wait_loadcnt 0x0
	global_load_u8 v7, v[36:37], off
	s_wait_loadcnt 0x0
	v_lshlrev_b32_e32 v7, 24, v7
	s_delay_alu instid0(VALU_DEP_1) | instskip(NEXT) | instid1(VALU_DEP_1)
	v_and_b32_e32 v9, 0x7f000000, v7
	v_clz_i32_u32_e32 v11, v9
	v_add_nc_u32_e32 v15, 0x1000000, v9
	v_cmp_ne_u32_e32 vcc_lo, 0, v9
	s_delay_alu instid0(VALU_DEP_3) | instskip(NEXT) | instid1(VALU_DEP_1)
	v_min_u32_e32 v11, 32, v11
	v_sub_nc_u32_e64 v11, v11, 4 clamp
	s_delay_alu instid0(VALU_DEP_1) | instskip(NEXT) | instid1(VALU_DEP_1)
	v_dual_lshlrev_b32 v13, v11, v9 :: v_dual_lshlrev_b32 v11, 23, v11
	v_lshrrev_b32_e32 v13, 4, v13
	s_delay_alu instid0(VALU_DEP_1) | instskip(SKIP_1) | instid1(VALU_DEP_2)
	v_sub_nc_u32_e32 v11, v13, v11
	v_ashrrev_i32_e32 v13, 8, v15
	v_add_nc_u32_e32 v11, 0x3c000000, v11
	s_delay_alu instid0(VALU_DEP_1) | instskip(NEXT) | instid1(VALU_DEP_1)
	v_and_or_b32 v11, 0x7f800000, v13, v11
	v_cndmask_b32_e32 v9, 0, v11, vcc_lo
	s_delay_alu instid0(VALU_DEP_1) | instskip(NEXT) | instid1(VALU_DEP_1)
	v_and_or_b32 v7, 0x80000000, v7, v9
	v_cvt_i32_f32_e32 v7, v7
.LBB119_3823:
	s_mov_b32 s1, 0
.LBB119_3824:
	s_delay_alu instid0(SALU_CYCLE_1)
	s_and_not1_b32 vcc_lo, exec_lo, s1
	s_cbranch_vccnz .LBB119_3826
; %bb.3825:
	s_wait_loadcnt 0x0
	global_load_u8 v7, v[36:37], off
	s_wait_loadcnt 0x0
	v_lshlrev_b32_e32 v9, 25, v7
	v_lshlrev_b16 v7, 8, v7
	s_delay_alu instid0(VALU_DEP_1) | instskip(SKIP_1) | instid1(VALU_DEP_2)
	v_and_or_b32 v13, 0x7f00, v7, 0.5
	v_bfe_i32 v7, v7, 0, 16
	v_add_f32_e32 v13, -0.5, v13
	v_lshrrev_b32_e32 v11, 4, v9
	v_cmp_gt_u32_e32 vcc_lo, 0x8000000, v9
	s_delay_alu instid0(VALU_DEP_2) | instskip(NEXT) | instid1(VALU_DEP_1)
	v_or_b32_e32 v11, 0x70000000, v11
	v_mul_f32_e32 v11, 0x7800000, v11
	s_delay_alu instid0(VALU_DEP_1) | instskip(NEXT) | instid1(VALU_DEP_1)
	v_cndmask_b32_e32 v9, v11, v13, vcc_lo
	v_and_or_b32 v7, 0x80000000, v7, v9
	s_delay_alu instid0(VALU_DEP_1)
	v_cvt_i32_f32_e32 v7, v7
.LBB119_3826:
	s_mov_b32 s1, 0
	s_mov_b32 s9, -1
.LBB119_3827:
	s_and_not1_b32 vcc_lo, exec_lo, s1
	s_mov_b32 s1, 0
	s_cbranch_vccnz .LBB119_3838
; %bb.3828:
	s_cmp_gt_i32 s57, 14
	s_cbranch_scc0 .LBB119_3831
; %bb.3829:
	s_cmp_eq_u32 s57, 15
	s_cbranch_scc0 .LBB119_3834
; %bb.3830:
	s_wait_loadcnt 0x0
	global_load_u16 v7, v[36:37], off
	s_mov_b32 s0, 0
	s_mov_b32 s9, -1
	s_wait_loadcnt 0x0
	v_lshlrev_b32_e32 v7, 16, v7
	s_delay_alu instid0(VALU_DEP_1)
	v_cvt_i32_f32_e32 v7, v7
	s_branch .LBB119_3836
.LBB119_3831:
	s_mov_b32 s1, -1
	s_branch .LBB119_3835
.LBB119_3832:
	s_and_not1_saveexec_b32 s1, s1
	s_cbranch_execz .LBB119_3813
.LBB119_3833:
	v_cmp_ne_u16_e32 vcc_lo, 0, v9
	s_and_not1_b32 s9, s9, exec_lo
	s_and_b32 s24, vcc_lo, exec_lo
	s_delay_alu instid0(SALU_CYCLE_1)
	s_or_b32 s9, s9, s24
	s_or_b32 exec_lo, exec_lo, s1
	v_mov_b32_e32 v7, 0
	s_and_saveexec_b32 s1, s9
	s_cbranch_execnz .LBB119_3814
	s_branch .LBB119_3815
.LBB119_3834:
	s_mov_b32 s0, -1
.LBB119_3835:
                                        ; implicit-def: $vgpr7
.LBB119_3836:
	s_and_b32 vcc_lo, exec_lo, s1
	s_mov_b32 s1, 0
	s_cbranch_vccz .LBB119_3838
; %bb.3837:
	s_cmp_lg_u32 s57, 11
	s_mov_b32 s1, -1
	s_cselect_b32 s0, -1, 0
.LBB119_3838:
	s_delay_alu instid0(SALU_CYCLE_1)
	s_and_b32 vcc_lo, exec_lo, s0
	s_mov_b32 s46, s44
	s_cbranch_vccnz .LBB119_3903
; %bb.3839:
	s_and_not1_b32 vcc_lo, exec_lo, s1
	s_cbranch_vccnz .LBB119_3841
.LBB119_3840:
	s_wait_loadcnt 0x0
	global_load_u8 v7, v[36:37], off
	s_mov_b32 s9, -1
	s_wait_loadcnt 0x0
	v_cmp_ne_u16_e32 vcc_lo, 0, v7
	v_cndmask_b32_e64 v7, 0, 1, vcc_lo
.LBB119_3841:
	s_mov_b32 s0, 0
.LBB119_3842:
	s_delay_alu instid0(SALU_CYCLE_1)
	s_and_b32 vcc_lo, exec_lo, s0
	s_cbranch_vccz .LBB119_3891
; %bb.3843:
	s_cmp_lt_i32 s57, 5
	s_cbranch_scc1 .LBB119_3848
; %bb.3844:
	s_cmp_lt_i32 s57, 8
	s_cbranch_scc1 .LBB119_3849
	;; [unrolled: 3-line block ×3, first 2 shown]
; %bb.3846:
	s_cmp_gt_i32 s57, 9
	s_cbranch_scc0 .LBB119_3851
; %bb.3847:
	global_load_b64 v[38:39], v[36:37], off
	s_mov_b32 s0, 0
	s_wait_loadcnt 0x0
	v_cvt_i32_f64_e32 v7, v[38:39]
	s_branch .LBB119_3852
.LBB119_3848:
	s_mov_b32 s0, -1
                                        ; implicit-def: $vgpr7
	s_branch .LBB119_3870
.LBB119_3849:
	s_mov_b32 s0, -1
                                        ; implicit-def: $vgpr7
	s_branch .LBB119_3858
.LBB119_3850:
	s_mov_b32 s0, -1
                                        ; implicit-def: $vgpr7
	s_branch .LBB119_3855
.LBB119_3851:
	s_mov_b32 s0, -1
                                        ; implicit-def: $vgpr7
.LBB119_3852:
	s_delay_alu instid0(SALU_CYCLE_1)
	s_and_not1_b32 vcc_lo, exec_lo, s0
	s_cbranch_vccnz .LBB119_3854
; %bb.3853:
	s_wait_loadcnt 0x0
	global_load_b32 v7, v[36:37], off
	s_wait_loadcnt 0x0
	v_cvt_i32_f32_e32 v7, v7
.LBB119_3854:
	s_mov_b32 s0, 0
.LBB119_3855:
	s_delay_alu instid0(SALU_CYCLE_1)
	s_and_not1_b32 vcc_lo, exec_lo, s0
	s_cbranch_vccnz .LBB119_3857
; %bb.3856:
	s_wait_loadcnt 0x0
	global_load_b32 v7, v[36:37], off
	s_wait_loadcnt 0x0
	v_cvt_f32_f16_e32 v7, v7
	s_delay_alu instid0(VALU_DEP_1)
	v_cvt_i32_f32_e32 v7, v7
.LBB119_3857:
	s_mov_b32 s0, 0
.LBB119_3858:
	s_delay_alu instid0(SALU_CYCLE_1)
	s_and_not1_b32 vcc_lo, exec_lo, s0
	s_cbranch_vccnz .LBB119_3869
; %bb.3859:
	s_cmp_lt_i32 s57, 6
	s_cbranch_scc1 .LBB119_3862
; %bb.3860:
	s_cmp_gt_i32 s57, 6
	s_cbranch_scc0 .LBB119_3863
; %bb.3861:
	global_load_b64 v[38:39], v[36:37], off
	s_mov_b32 s0, 0
	s_wait_loadcnt 0x0
	v_cvt_i32_f64_e32 v7, v[38:39]
	s_branch .LBB119_3864
.LBB119_3862:
	s_mov_b32 s0, -1
                                        ; implicit-def: $vgpr7
	s_branch .LBB119_3867
.LBB119_3863:
	s_mov_b32 s0, -1
                                        ; implicit-def: $vgpr7
.LBB119_3864:
	s_delay_alu instid0(SALU_CYCLE_1)
	s_and_not1_b32 vcc_lo, exec_lo, s0
	s_cbranch_vccnz .LBB119_3866
; %bb.3865:
	s_wait_loadcnt 0x0
	global_load_b32 v7, v[36:37], off
	s_wait_loadcnt 0x0
	v_cvt_i32_f32_e32 v7, v7
.LBB119_3866:
	s_mov_b32 s0, 0
.LBB119_3867:
	s_delay_alu instid0(SALU_CYCLE_1)
	s_and_not1_b32 vcc_lo, exec_lo, s0
	s_cbranch_vccnz .LBB119_3869
; %bb.3868:
	s_wait_loadcnt 0x0
	global_load_u16 v7, v[36:37], off
	s_wait_loadcnt 0x0
	v_cvt_f32_f16_e32 v7, v7
	s_delay_alu instid0(VALU_DEP_1)
	v_cvt_i32_f32_e32 v7, v7
.LBB119_3869:
	s_mov_b32 s0, 0
.LBB119_3870:
	s_delay_alu instid0(SALU_CYCLE_1)
	s_and_not1_b32 vcc_lo, exec_lo, s0
	s_cbranch_vccnz .LBB119_3890
; %bb.3871:
	s_cmp_lt_i32 s57, 2
	s_cbranch_scc1 .LBB119_3875
; %bb.3872:
	s_cmp_lt_i32 s57, 3
	s_cbranch_scc1 .LBB119_3876
; %bb.3873:
	s_cmp_gt_i32 s57, 3
	s_cbranch_scc0 .LBB119_3877
; %bb.3874:
	s_wait_loadcnt 0x0
	global_load_b32 v7, v[36:37], off
	s_mov_b32 s0, 0
	s_branch .LBB119_3878
.LBB119_3875:
	s_mov_b32 s0, -1
                                        ; implicit-def: $vgpr7
	s_branch .LBB119_3884
.LBB119_3876:
	s_mov_b32 s0, -1
                                        ; implicit-def: $vgpr7
	s_branch .LBB119_3881
.LBB119_3877:
	s_mov_b32 s0, -1
                                        ; implicit-def: $vgpr7
.LBB119_3878:
	s_delay_alu instid0(SALU_CYCLE_1)
	s_and_not1_b32 vcc_lo, exec_lo, s0
	s_cbranch_vccnz .LBB119_3880
; %bb.3879:
	s_wait_loadcnt 0x0
	global_load_b32 v7, v[36:37], off
.LBB119_3880:
	s_mov_b32 s0, 0
.LBB119_3881:
	s_delay_alu instid0(SALU_CYCLE_1)
	s_and_not1_b32 vcc_lo, exec_lo, s0
	s_cbranch_vccnz .LBB119_3883
; %bb.3882:
	s_wait_loadcnt 0x0
	global_load_i16 v7, v[36:37], off
.LBB119_3883:
	s_mov_b32 s0, 0
.LBB119_3884:
	s_delay_alu instid0(SALU_CYCLE_1)
	s_and_not1_b32 vcc_lo, exec_lo, s0
	s_cbranch_vccnz .LBB119_3890
; %bb.3885:
	s_cmp_gt_i32 s57, 0
	s_mov_b32 s0, 0
	s_cbranch_scc0 .LBB119_3887
; %bb.3886:
	s_wait_loadcnt 0x0
	global_load_i8 v7, v[36:37], off
	s_branch .LBB119_3888
.LBB119_3887:
	s_mov_b32 s0, -1
                                        ; implicit-def: $vgpr7
.LBB119_3888:
	s_delay_alu instid0(SALU_CYCLE_1)
	s_and_not1_b32 vcc_lo, exec_lo, s0
	s_cbranch_vccnz .LBB119_3890
; %bb.3889:
	s_wait_loadcnt 0x0
	global_load_u8 v7, v[36:37], off
.LBB119_3890:
	s_mov_b32 s9, -1
.LBB119_3891:
	s_delay_alu instid0(SALU_CYCLE_1)
	s_and_not1_b32 vcc_lo, exec_lo, s9
	s_cbranch_vccnz .LBB119_4414
; %bb.3892:
	v_mov_b32_e32 v35, 0
	s_and_b32 s58, 0xffff, s37
	s_delay_alu instid0(SALU_CYCLE_1) | instskip(NEXT) | instid1(VALU_DEP_1)
	s_cmp_lt_i32 s58, 11
	v_add_nc_u64_e32 v[34:35], s[12:13], v[34:35]
	s_cbranch_scc1 .LBB119_3899
; %bb.3893:
	s_cmp_gt_i32 s58, 25
	s_mov_b32 s1, 0
	s_cbranch_scc0 .LBB119_3900
; %bb.3894:
	s_cmp_gt_i32 s58, 28
	s_cbranch_scc0 .LBB119_3901
; %bb.3895:
	s_cmp_gt_i32 s58, 43
	;; [unrolled: 3-line block ×3, first 2 shown]
	s_cbranch_scc0 .LBB119_3904
; %bb.3897:
	s_cmp_eq_u32 s58, 46
	s_mov_b32 s24, 0
	s_cbranch_scc0 .LBB119_3906
; %bb.3898:
	global_load_b32 v9, v[34:35], off
	s_mov_b32 s0, 0
	s_mov_b32 s9, -1
	s_wait_loadcnt 0x0
	v_lshlrev_b32_e32 v9, 16, v9
	s_delay_alu instid0(VALU_DEP_1)
	v_cvt_i32_f32_e32 v9, v9
	s_branch .LBB119_3908
.LBB119_3899:
	s_mov_b32 s0, -1
	s_mov_b32 s9, 0
                                        ; implicit-def: $vgpr9
	s_branch .LBB119_3970
.LBB119_3900:
	s_mov_b32 s24, -1
	s_mov_b32 s9, 0
	s_mov_b32 s0, 0
                                        ; implicit-def: $vgpr9
	s_branch .LBB119_3935
.LBB119_3901:
	s_mov_b32 s24, -1
	s_mov_b32 s9, 0
	s_mov_b32 s0, 0
                                        ; implicit-def: $vgpr9
	s_branch .LBB119_3918
.LBB119_3902:
	s_mov_b32 s24, -1
	s_mov_b32 s9, 0
	s_mov_b32 s0, 0
                                        ; implicit-def: $vgpr9
	s_branch .LBB119_3913
.LBB119_3903:
	s_or_b32 s46, s44, exec_lo
	s_trap 2
	s_cbranch_execz .LBB119_3840
	s_branch .LBB119_3841
.LBB119_3904:
	s_mov_b32 s24, -1
	s_mov_b32 s9, 0
	s_mov_b32 s0, 0
	s_branch .LBB119_3907
.LBB119_3905:
	s_or_b32 s33, s33, exec_lo
	s_trap 2
                                        ; implicit-def: $vgpr6
                                        ; implicit-def: $vgpr30
                                        ; implicit-def: $vgpr28
                                        ; implicit-def: $vgpr34
                                        ; implicit-def: $vgpr32
                                        ; implicit-def: $vgpr4
                                        ; implicit-def: $vgpr36
                                        ; implicit-def: $vgpr20
                                        ; implicit-def: $vgpr18
                                        ; implicit-def: $vgpr24
                                        ; implicit-def: $vgpr22
                                        ; implicit-def: $vgpr2
                                        ; implicit-def: $vgpr26
                                        ; implicit-def: $vgpr10
                                        ; implicit-def: $vgpr8
                                        ; implicit-def: $vgpr14
                                        ; implicit-def: $vgpr12
                                        ; implicit-def: $vgpr0
                                        ; implicit-def: $vgpr16
                                        ; implicit-def: $vgpr1
                                        ; implicit-def: $vgpr3
                                        ; implicit-def: $vgpr42
                                        ; implicit-def: $vgpr40
                                        ; implicit-def: $vgpr44
	s_branch .LBB119_3523
.LBB119_3906:
	s_mov_b32 s0, -1
	s_mov_b32 s9, 0
.LBB119_3907:
                                        ; implicit-def: $vgpr9
.LBB119_3908:
	s_and_b32 vcc_lo, exec_lo, s24
	s_cbranch_vccz .LBB119_3912
; %bb.3909:
	s_cmp_eq_u32 s58, 44
	s_cbranch_scc0 .LBB119_3911
; %bb.3910:
	global_load_u8 v9, v[34:35], off
	s_mov_b32 s0, 0
	s_mov_b32 s9, -1
	s_wait_loadcnt 0x0
	v_lshlrev_b32_e32 v11, 23, v9
	v_cmp_ne_u32_e32 vcc_lo, 0, v9
	s_delay_alu instid0(VALU_DEP_2) | instskip(NEXT) | instid1(VALU_DEP_1)
	v_cvt_i32_f32_e32 v11, v11
	v_cndmask_b32_e32 v9, 0, v11, vcc_lo
	s_branch .LBB119_3912
.LBB119_3911:
	s_mov_b32 s0, -1
                                        ; implicit-def: $vgpr9
.LBB119_3912:
	s_mov_b32 s24, 0
.LBB119_3913:
	s_delay_alu instid0(SALU_CYCLE_1)
	s_and_b32 vcc_lo, exec_lo, s24
	s_cbranch_vccz .LBB119_3917
; %bb.3914:
	s_cmp_eq_u32 s58, 29
	s_cbranch_scc0 .LBB119_3916
; %bb.3915:
	global_load_b32 v9, v[34:35], off
	s_mov_b32 s0, 0
	s_mov_b32 s9, -1
	s_branch .LBB119_3917
.LBB119_3916:
	s_mov_b32 s0, -1
                                        ; implicit-def: $vgpr9
.LBB119_3917:
	s_mov_b32 s24, 0
.LBB119_3918:
	s_delay_alu instid0(SALU_CYCLE_1)
	s_and_b32 vcc_lo, exec_lo, s24
	s_cbranch_vccz .LBB119_3934
; %bb.3919:
	s_cmp_lt_i32 s58, 27
	s_cbranch_scc1 .LBB119_3922
; %bb.3920:
	s_cmp_gt_i32 s58, 27
	s_cbranch_scc0 .LBB119_3923
; %bb.3921:
	s_wait_loadcnt 0x0
	global_load_b32 v9, v[34:35], off
	s_mov_b32 s9, 0
	s_branch .LBB119_3924
.LBB119_3922:
	s_mov_b32 s9, -1
                                        ; implicit-def: $vgpr9
	s_branch .LBB119_3927
.LBB119_3923:
	s_mov_b32 s9, -1
                                        ; implicit-def: $vgpr9
.LBB119_3924:
	s_delay_alu instid0(SALU_CYCLE_1)
	s_and_not1_b32 vcc_lo, exec_lo, s9
	s_cbranch_vccnz .LBB119_3926
; %bb.3925:
	s_wait_loadcnt 0x0
	global_load_u16 v9, v[34:35], off
.LBB119_3926:
	s_mov_b32 s9, 0
.LBB119_3927:
	s_delay_alu instid0(SALU_CYCLE_1)
	s_and_not1_b32 vcc_lo, exec_lo, s9
	s_cbranch_vccnz .LBB119_3933
; %bb.3928:
	global_load_u8 v11, v[34:35], off
	s_mov_b32 s24, 0
	s_mov_b32 s9, exec_lo
	s_wait_loadcnt 0x0
	v_cmpx_lt_i16_e32 0x7f, v11
	s_xor_b32 s9, exec_lo, s9
	s_cbranch_execz .LBB119_3945
; %bb.3929:
	v_cmp_ne_u16_e32 vcc_lo, 0x80, v11
	s_and_b32 s24, vcc_lo, exec_lo
	s_and_not1_saveexec_b32 s9, s9
	s_cbranch_execnz .LBB119_3946
.LBB119_3930:
	s_or_b32 exec_lo, exec_lo, s9
	v_mov_b32_e32 v9, 0
	s_and_saveexec_b32 s9, s24
	s_cbranch_execz .LBB119_3932
.LBB119_3931:
	v_and_b32_e32 v9, 0xffff, v11
	s_delay_alu instid0(VALU_DEP_1) | instskip(SKIP_1) | instid1(VALU_DEP_2)
	v_and_b32_e32 v13, 7, v9
	v_bfe_u32 v19, v9, 3, 4
	v_clz_i32_u32_e32 v15, v13
	s_delay_alu instid0(VALU_DEP_2) | instskip(NEXT) | instid1(VALU_DEP_2)
	v_cmp_eq_u32_e32 vcc_lo, 0, v19
	v_min_u32_e32 v15, 32, v15
	s_delay_alu instid0(VALU_DEP_1) | instskip(NEXT) | instid1(VALU_DEP_1)
	v_subrev_nc_u32_e32 v17, 28, v15
	v_dual_lshlrev_b32 v9, v17, v9 :: v_dual_sub_nc_u32 v15, 29, v15
	s_delay_alu instid0(VALU_DEP_1) | instskip(NEXT) | instid1(VALU_DEP_1)
	v_dual_lshlrev_b32 v11, 24, v11 :: v_dual_bitop2_b32 v9, 7, v9 bitop3:0x40
	v_dual_cndmask_b32 v9, v13, v9, vcc_lo :: v_dual_cndmask_b32 v15, v19, v15, vcc_lo
	s_delay_alu instid0(VALU_DEP_2) | instskip(NEXT) | instid1(VALU_DEP_2)
	v_and_b32_e32 v11, 0x80000000, v11
	v_lshlrev_b32_e32 v9, 20, v9
	s_delay_alu instid0(VALU_DEP_3) | instskip(NEXT) | instid1(VALU_DEP_1)
	v_lshl_add_u32 v13, v15, 23, 0x3b800000
	v_or3_b32 v9, v11, v13, v9
	s_delay_alu instid0(VALU_DEP_1)
	v_cvt_i32_f32_e32 v9, v9
.LBB119_3932:
	s_or_b32 exec_lo, exec_lo, s9
.LBB119_3933:
	s_mov_b32 s9, -1
.LBB119_3934:
	s_mov_b32 s24, 0
.LBB119_3935:
	s_delay_alu instid0(SALU_CYCLE_1)
	s_and_b32 vcc_lo, exec_lo, s24
	s_cbranch_vccz .LBB119_3966
; %bb.3936:
	s_cmp_gt_i32 s58, 22
	s_cbranch_scc0 .LBB119_3944
; %bb.3937:
	s_cmp_lt_i32 s58, 24
	s_cbranch_scc1 .LBB119_3947
; %bb.3938:
	s_cmp_gt_i32 s58, 24
	s_cbranch_scc0 .LBB119_3948
; %bb.3939:
	global_load_u8 v11, v[34:35], off
	s_mov_b32 s9, 0
	s_mov_b32 s1, exec_lo
	s_wait_loadcnt 0x0
	v_cmpx_lt_i16_e32 0x7f, v11
	s_xor_b32 s1, exec_lo, s1
	s_cbranch_execz .LBB119_3960
; %bb.3940:
	v_cmp_ne_u16_e32 vcc_lo, 0x80, v11
	s_and_b32 s9, vcc_lo, exec_lo
	s_and_not1_saveexec_b32 s1, s1
	s_cbranch_execnz .LBB119_3961
.LBB119_3941:
	s_or_b32 exec_lo, exec_lo, s1
	v_mov_b32_e32 v9, 0
	s_and_saveexec_b32 s1, s9
	s_cbranch_execz .LBB119_3943
.LBB119_3942:
	v_and_b32_e32 v9, 0xffff, v11
	s_delay_alu instid0(VALU_DEP_1) | instskip(SKIP_1) | instid1(VALU_DEP_2)
	v_and_b32_e32 v13, 3, v9
	v_bfe_u32 v19, v9, 2, 5
	v_clz_i32_u32_e32 v15, v13
	s_delay_alu instid0(VALU_DEP_2) | instskip(NEXT) | instid1(VALU_DEP_2)
	v_cmp_eq_u32_e32 vcc_lo, 0, v19
	v_min_u32_e32 v15, 32, v15
	s_delay_alu instid0(VALU_DEP_1) | instskip(NEXT) | instid1(VALU_DEP_1)
	v_subrev_nc_u32_e32 v17, 29, v15
	v_dual_lshlrev_b32 v9, v17, v9 :: v_dual_sub_nc_u32 v15, 30, v15
	s_delay_alu instid0(VALU_DEP_1) | instskip(NEXT) | instid1(VALU_DEP_1)
	v_dual_lshlrev_b32 v11, 24, v11 :: v_dual_bitop2_b32 v9, 3, v9 bitop3:0x40
	v_dual_cndmask_b32 v9, v13, v9, vcc_lo :: v_dual_cndmask_b32 v15, v19, v15, vcc_lo
	s_delay_alu instid0(VALU_DEP_2) | instskip(NEXT) | instid1(VALU_DEP_2)
	v_and_b32_e32 v11, 0x80000000, v11
	v_lshlrev_b32_e32 v9, 21, v9
	s_delay_alu instid0(VALU_DEP_3) | instskip(NEXT) | instid1(VALU_DEP_1)
	v_lshl_add_u32 v13, v15, 23, 0x37800000
	v_or3_b32 v9, v11, v13, v9
	s_delay_alu instid0(VALU_DEP_1)
	v_cvt_i32_f32_e32 v9, v9
.LBB119_3943:
	s_or_b32 exec_lo, exec_lo, s1
	s_mov_b32 s1, 0
	s_branch .LBB119_3949
.LBB119_3944:
	s_mov_b32 s1, -1
                                        ; implicit-def: $vgpr9
	s_branch .LBB119_3955
.LBB119_3945:
	s_and_not1_saveexec_b32 s9, s9
	s_cbranch_execz .LBB119_3930
.LBB119_3946:
	v_cmp_ne_u16_e32 vcc_lo, 0, v11
	s_and_not1_b32 s24, s24, exec_lo
	s_and_b32 s25, vcc_lo, exec_lo
	s_delay_alu instid0(SALU_CYCLE_1)
	s_or_b32 s24, s24, s25
	s_or_b32 exec_lo, exec_lo, s9
	v_mov_b32_e32 v9, 0
	s_and_saveexec_b32 s9, s24
	s_cbranch_execnz .LBB119_3931
	s_branch .LBB119_3932
.LBB119_3947:
	s_mov_b32 s1, -1
                                        ; implicit-def: $vgpr9
	s_branch .LBB119_3952
.LBB119_3948:
	s_mov_b32 s1, -1
                                        ; implicit-def: $vgpr9
.LBB119_3949:
	s_delay_alu instid0(SALU_CYCLE_1)
	s_and_b32 vcc_lo, exec_lo, s1
	s_cbranch_vccz .LBB119_3951
; %bb.3950:
	s_wait_loadcnt 0x0
	global_load_u8 v9, v[34:35], off
	s_wait_loadcnt 0x0
	v_lshlrev_b32_e32 v9, 24, v9
	s_delay_alu instid0(VALU_DEP_1) | instskip(NEXT) | instid1(VALU_DEP_1)
	v_and_b32_e32 v11, 0x7f000000, v9
	v_clz_i32_u32_e32 v13, v11
	v_add_nc_u32_e32 v17, 0x1000000, v11
	v_cmp_ne_u32_e32 vcc_lo, 0, v11
	s_delay_alu instid0(VALU_DEP_3) | instskip(NEXT) | instid1(VALU_DEP_1)
	v_min_u32_e32 v13, 32, v13
	v_sub_nc_u32_e64 v13, v13, 4 clamp
	s_delay_alu instid0(VALU_DEP_1) | instskip(NEXT) | instid1(VALU_DEP_1)
	v_dual_lshlrev_b32 v15, v13, v11 :: v_dual_lshlrev_b32 v13, 23, v13
	v_lshrrev_b32_e32 v15, 4, v15
	s_delay_alu instid0(VALU_DEP_1) | instskip(SKIP_1) | instid1(VALU_DEP_2)
	v_sub_nc_u32_e32 v13, v15, v13
	v_ashrrev_i32_e32 v15, 8, v17
	v_add_nc_u32_e32 v13, 0x3c000000, v13
	s_delay_alu instid0(VALU_DEP_1) | instskip(NEXT) | instid1(VALU_DEP_1)
	v_and_or_b32 v13, 0x7f800000, v15, v13
	v_cndmask_b32_e32 v11, 0, v13, vcc_lo
	s_delay_alu instid0(VALU_DEP_1) | instskip(NEXT) | instid1(VALU_DEP_1)
	v_and_or_b32 v9, 0x80000000, v9, v11
	v_cvt_i32_f32_e32 v9, v9
.LBB119_3951:
	s_mov_b32 s1, 0
.LBB119_3952:
	s_delay_alu instid0(SALU_CYCLE_1)
	s_and_not1_b32 vcc_lo, exec_lo, s1
	s_cbranch_vccnz .LBB119_3954
; %bb.3953:
	s_wait_loadcnt 0x0
	global_load_u8 v9, v[34:35], off
	s_wait_loadcnt 0x0
	v_lshlrev_b32_e32 v11, 25, v9
	v_lshlrev_b16 v9, 8, v9
	s_delay_alu instid0(VALU_DEP_1) | instskip(SKIP_1) | instid1(VALU_DEP_2)
	v_and_or_b32 v15, 0x7f00, v9, 0.5
	v_bfe_i32 v9, v9, 0, 16
	v_add_f32_e32 v15, -0.5, v15
	v_lshrrev_b32_e32 v13, 4, v11
	v_cmp_gt_u32_e32 vcc_lo, 0x8000000, v11
	s_delay_alu instid0(VALU_DEP_2) | instskip(NEXT) | instid1(VALU_DEP_1)
	v_or_b32_e32 v13, 0x70000000, v13
	v_mul_f32_e32 v13, 0x7800000, v13
	s_delay_alu instid0(VALU_DEP_1) | instskip(NEXT) | instid1(VALU_DEP_1)
	v_cndmask_b32_e32 v11, v13, v15, vcc_lo
	v_and_or_b32 v9, 0x80000000, v9, v11
	s_delay_alu instid0(VALU_DEP_1)
	v_cvt_i32_f32_e32 v9, v9
.LBB119_3954:
	s_mov_b32 s1, 0
	s_mov_b32 s9, -1
.LBB119_3955:
	s_and_not1_b32 vcc_lo, exec_lo, s1
	s_mov_b32 s1, 0
	s_cbranch_vccnz .LBB119_3966
; %bb.3956:
	s_cmp_gt_i32 s58, 14
	s_cbranch_scc0 .LBB119_3959
; %bb.3957:
	s_cmp_eq_u32 s58, 15
	s_cbranch_scc0 .LBB119_3962
; %bb.3958:
	s_wait_loadcnt 0x0
	global_load_u16 v9, v[34:35], off
	s_mov_b32 s0, 0
	s_mov_b32 s9, -1
	s_wait_loadcnt 0x0
	v_lshlrev_b32_e32 v9, 16, v9
	s_delay_alu instid0(VALU_DEP_1)
	v_cvt_i32_f32_e32 v9, v9
	s_branch .LBB119_3964
.LBB119_3959:
	s_mov_b32 s1, -1
	s_branch .LBB119_3963
.LBB119_3960:
	s_and_not1_saveexec_b32 s1, s1
	s_cbranch_execz .LBB119_3941
.LBB119_3961:
	v_cmp_ne_u16_e32 vcc_lo, 0, v11
	s_and_not1_b32 s9, s9, exec_lo
	s_and_b32 s24, vcc_lo, exec_lo
	s_delay_alu instid0(SALU_CYCLE_1)
	s_or_b32 s9, s9, s24
	s_or_b32 exec_lo, exec_lo, s1
	v_mov_b32_e32 v9, 0
	s_and_saveexec_b32 s1, s9
	s_cbranch_execnz .LBB119_3942
	s_branch .LBB119_3943
.LBB119_3962:
	s_mov_b32 s0, -1
.LBB119_3963:
                                        ; implicit-def: $vgpr9
.LBB119_3964:
	s_and_b32 vcc_lo, exec_lo, s1
	s_mov_b32 s1, 0
	s_cbranch_vccz .LBB119_3966
; %bb.3965:
	s_cmp_lg_u32 s58, 11
	s_mov_b32 s1, -1
	s_cselect_b32 s0, -1, 0
.LBB119_3966:
	s_delay_alu instid0(SALU_CYCLE_1)
	s_and_b32 vcc_lo, exec_lo, s0
	s_cbranch_vccnz .LBB119_4031
; %bb.3967:
	s_and_not1_b32 vcc_lo, exec_lo, s1
	s_cbranch_vccnz .LBB119_3969
.LBB119_3968:
	s_wait_loadcnt 0x0
	global_load_u8 v9, v[34:35], off
	s_mov_b32 s9, -1
	s_wait_loadcnt 0x0
	v_cmp_ne_u16_e32 vcc_lo, 0, v9
	v_cndmask_b32_e64 v9, 0, 1, vcc_lo
.LBB119_3969:
	s_mov_b32 s0, 0
.LBB119_3970:
	s_delay_alu instid0(SALU_CYCLE_1)
	s_and_b32 vcc_lo, exec_lo, s0
	s_cbranch_vccz .LBB119_4019
; %bb.3971:
	s_cmp_lt_i32 s58, 5
	s_cbranch_scc1 .LBB119_3976
; %bb.3972:
	s_cmp_lt_i32 s58, 8
	s_cbranch_scc1 .LBB119_3977
	;; [unrolled: 3-line block ×3, first 2 shown]
; %bb.3974:
	s_cmp_gt_i32 s58, 9
	s_cbranch_scc0 .LBB119_3979
; %bb.3975:
	global_load_b64 v[36:37], v[34:35], off
	s_mov_b32 s0, 0
	s_wait_loadcnt 0x0
	v_cvt_i32_f64_e32 v9, v[36:37]
	s_branch .LBB119_3980
.LBB119_3976:
	s_mov_b32 s0, -1
                                        ; implicit-def: $vgpr9
	s_branch .LBB119_3998
.LBB119_3977:
	s_mov_b32 s0, -1
                                        ; implicit-def: $vgpr9
	s_branch .LBB119_3986
.LBB119_3978:
	s_mov_b32 s0, -1
                                        ; implicit-def: $vgpr9
	s_branch .LBB119_3983
.LBB119_3979:
	s_mov_b32 s0, -1
                                        ; implicit-def: $vgpr9
.LBB119_3980:
	s_delay_alu instid0(SALU_CYCLE_1)
	s_and_not1_b32 vcc_lo, exec_lo, s0
	s_cbranch_vccnz .LBB119_3982
; %bb.3981:
	s_wait_loadcnt 0x0
	global_load_b32 v9, v[34:35], off
	s_wait_loadcnt 0x0
	v_cvt_i32_f32_e32 v9, v9
.LBB119_3982:
	s_mov_b32 s0, 0
.LBB119_3983:
	s_delay_alu instid0(SALU_CYCLE_1)
	s_and_not1_b32 vcc_lo, exec_lo, s0
	s_cbranch_vccnz .LBB119_3985
; %bb.3984:
	s_wait_loadcnt 0x0
	global_load_b32 v9, v[34:35], off
	s_wait_loadcnt 0x0
	v_cvt_f32_f16_e32 v9, v9
	s_delay_alu instid0(VALU_DEP_1)
	v_cvt_i32_f32_e32 v9, v9
.LBB119_3985:
	s_mov_b32 s0, 0
.LBB119_3986:
	s_delay_alu instid0(SALU_CYCLE_1)
	s_and_not1_b32 vcc_lo, exec_lo, s0
	s_cbranch_vccnz .LBB119_3997
; %bb.3987:
	s_cmp_lt_i32 s58, 6
	s_cbranch_scc1 .LBB119_3990
; %bb.3988:
	s_cmp_gt_i32 s58, 6
	s_cbranch_scc0 .LBB119_3991
; %bb.3989:
	global_load_b64 v[36:37], v[34:35], off
	s_mov_b32 s0, 0
	s_wait_loadcnt 0x0
	v_cvt_i32_f64_e32 v9, v[36:37]
	s_branch .LBB119_3992
.LBB119_3990:
	s_mov_b32 s0, -1
                                        ; implicit-def: $vgpr9
	s_branch .LBB119_3995
.LBB119_3991:
	s_mov_b32 s0, -1
                                        ; implicit-def: $vgpr9
.LBB119_3992:
	s_delay_alu instid0(SALU_CYCLE_1)
	s_and_not1_b32 vcc_lo, exec_lo, s0
	s_cbranch_vccnz .LBB119_3994
; %bb.3993:
	s_wait_loadcnt 0x0
	global_load_b32 v9, v[34:35], off
	s_wait_loadcnt 0x0
	v_cvt_i32_f32_e32 v9, v9
.LBB119_3994:
	s_mov_b32 s0, 0
.LBB119_3995:
	s_delay_alu instid0(SALU_CYCLE_1)
	s_and_not1_b32 vcc_lo, exec_lo, s0
	s_cbranch_vccnz .LBB119_3997
; %bb.3996:
	s_wait_loadcnt 0x0
	global_load_u16 v9, v[34:35], off
	s_wait_loadcnt 0x0
	v_cvt_f32_f16_e32 v9, v9
	s_delay_alu instid0(VALU_DEP_1)
	v_cvt_i32_f32_e32 v9, v9
.LBB119_3997:
	s_mov_b32 s0, 0
.LBB119_3998:
	s_delay_alu instid0(SALU_CYCLE_1)
	s_and_not1_b32 vcc_lo, exec_lo, s0
	s_cbranch_vccnz .LBB119_4018
; %bb.3999:
	s_cmp_lt_i32 s58, 2
	s_cbranch_scc1 .LBB119_4003
; %bb.4000:
	s_cmp_lt_i32 s58, 3
	s_cbranch_scc1 .LBB119_4004
; %bb.4001:
	s_cmp_gt_i32 s58, 3
	s_cbranch_scc0 .LBB119_4005
; %bb.4002:
	s_wait_loadcnt 0x0
	global_load_b32 v9, v[34:35], off
	s_mov_b32 s0, 0
	s_branch .LBB119_4006
.LBB119_4003:
	s_mov_b32 s0, -1
                                        ; implicit-def: $vgpr9
	s_branch .LBB119_4012
.LBB119_4004:
	s_mov_b32 s0, -1
                                        ; implicit-def: $vgpr9
	s_branch .LBB119_4009
.LBB119_4005:
	s_mov_b32 s0, -1
                                        ; implicit-def: $vgpr9
.LBB119_4006:
	s_delay_alu instid0(SALU_CYCLE_1)
	s_and_not1_b32 vcc_lo, exec_lo, s0
	s_cbranch_vccnz .LBB119_4008
; %bb.4007:
	s_wait_loadcnt 0x0
	global_load_b32 v9, v[34:35], off
.LBB119_4008:
	s_mov_b32 s0, 0
.LBB119_4009:
	s_delay_alu instid0(SALU_CYCLE_1)
	s_and_not1_b32 vcc_lo, exec_lo, s0
	s_cbranch_vccnz .LBB119_4011
; %bb.4010:
	s_wait_loadcnt 0x0
	global_load_i16 v9, v[34:35], off
.LBB119_4011:
	s_mov_b32 s0, 0
.LBB119_4012:
	s_delay_alu instid0(SALU_CYCLE_1)
	s_and_not1_b32 vcc_lo, exec_lo, s0
	s_cbranch_vccnz .LBB119_4018
; %bb.4013:
	s_cmp_gt_i32 s58, 0
	s_mov_b32 s0, 0
	s_cbranch_scc0 .LBB119_4015
; %bb.4014:
	s_wait_loadcnt 0x0
	global_load_i8 v9, v[34:35], off
	s_branch .LBB119_4016
.LBB119_4015:
	s_mov_b32 s0, -1
                                        ; implicit-def: $vgpr9
.LBB119_4016:
	s_delay_alu instid0(SALU_CYCLE_1)
	s_and_not1_b32 vcc_lo, exec_lo, s0
	s_cbranch_vccnz .LBB119_4018
; %bb.4017:
	s_wait_loadcnt 0x0
	global_load_u8 v9, v[34:35], off
.LBB119_4018:
	s_mov_b32 s9, -1
.LBB119_4019:
	s_delay_alu instid0(SALU_CYCLE_1)
	s_and_not1_b32 vcc_lo, exec_lo, s9
	s_cbranch_vccnz .LBB119_4414
; %bb.4020:
	v_mov_b32_e32 v33, 0
	s_and_b32 s59, 0xffff, s49
	s_delay_alu instid0(SALU_CYCLE_1) | instskip(SKIP_1) | instid1(VALU_DEP_1)
	s_cmp_lt_i32 s59, 11
	s_wait_xcnt 0x0
	v_add_nc_u64_e32 v[34:35], s[14:15], v[32:33]
	s_cbranch_scc1 .LBB119_4027
; %bb.4021:
	s_cmp_gt_i32 s59, 25
	s_mov_b32 s1, 0
	s_cbranch_scc0 .LBB119_4028
; %bb.4022:
	s_cmp_gt_i32 s59, 28
	s_cbranch_scc0 .LBB119_4029
; %bb.4023:
	s_cmp_gt_i32 s59, 43
	s_cbranch_scc0 .LBB119_4030
; %bb.4024:
	s_cmp_gt_i32 s59, 45
	s_cbranch_scc0 .LBB119_4032
; %bb.4025:
	s_cmp_eq_u32 s59, 46
	s_mov_b32 s24, 0
	s_cbranch_scc0 .LBB119_4035
; %bb.4026:
	global_load_b32 v11, v[34:35], off
	s_mov_b32 s0, 0
	s_mov_b32 s9, -1
	s_wait_loadcnt 0x0
	v_lshlrev_b32_e32 v11, 16, v11
	s_delay_alu instid0(VALU_DEP_1)
	v_cvt_i32_f32_e32 v32, v11
	s_branch .LBB119_4037
.LBB119_4027:
	s_mov_b32 s0, -1
	s_mov_b32 s9, 0
                                        ; implicit-def: $vgpr32
	s_branch .LBB119_4099
.LBB119_4028:
	s_mov_b32 s24, -1
	s_mov_b32 s9, 0
	s_mov_b32 s0, 0
                                        ; implicit-def: $vgpr32
	s_branch .LBB119_4064
.LBB119_4029:
	s_mov_b32 s24, -1
	s_mov_b32 s9, 0
	s_mov_b32 s0, 0
                                        ; implicit-def: $vgpr32
	s_branch .LBB119_4047
.LBB119_4030:
	s_mov_b32 s24, -1
	s_mov_b32 s9, 0
	s_mov_b32 s0, 0
                                        ; implicit-def: $vgpr32
	s_branch .LBB119_4042
.LBB119_4031:
	s_or_b32 s46, s46, exec_lo
	s_trap 2
	s_cbranch_execz .LBB119_3968
	s_branch .LBB119_3969
.LBB119_4032:
	s_mov_b32 s24, -1
	s_mov_b32 s9, 0
	s_mov_b32 s0, 0
	s_branch .LBB119_4036
.LBB119_4033:
	s_or_b32 exec_lo, exec_lo, s45
	s_branch .LBB119_650
.LBB119_4034:
	s_or_b32 s41, s33, exec_lo
	s_trap 2
                                        ; implicit-def: $vgpr6
                                        ; implicit-def: $vgpr30
                                        ; implicit-def: $vgpr28
                                        ; implicit-def: $vgpr34
                                        ; implicit-def: $vgpr32
                                        ; implicit-def: $vgpr4
                                        ; implicit-def: $vgpr36
                                        ; implicit-def: $vgpr20
                                        ; implicit-def: $vgpr18
                                        ; implicit-def: $vgpr24
                                        ; implicit-def: $vgpr22
                                        ; implicit-def: $vgpr2
                                        ; implicit-def: $vgpr26
                                        ; implicit-def: $vgpr10
                                        ; implicit-def: $vgpr8
                                        ; implicit-def: $vgpr14
                                        ; implicit-def: $vgpr12
                                        ; implicit-def: $vgpr0
                                        ; implicit-def: $vgpr16
                                        ; implicit-def: $vgpr1
                                        ; implicit-def: $vgpr3
                                        ; implicit-def: $vgpr42
                                        ; implicit-def: $vgpr40
                                        ; implicit-def: $vgpr44
	s_or_saveexec_b32 s42, s0
	s_mov_b32 s1, 0
                                        ; implicit-def: $vgpr38_vgpr39
                                        ; implicit-def: $sgpr0
	s_xor_b32 exec_lo, exec_lo, s42
	s_cbranch_execz .LBB119_4418
	s_branch .LBB119_3526
.LBB119_4035:
	s_mov_b32 s0, -1
	s_mov_b32 s9, 0
.LBB119_4036:
                                        ; implicit-def: $vgpr32
.LBB119_4037:
	s_and_b32 vcc_lo, exec_lo, s24
	s_cbranch_vccz .LBB119_4041
; %bb.4038:
	s_cmp_eq_u32 s59, 44
	s_cbranch_scc0 .LBB119_4040
; %bb.4039:
	global_load_u8 v11, v[34:35], off
	s_mov_b32 s0, 0
	s_mov_b32 s9, -1
	s_wait_loadcnt 0x0
	v_lshlrev_b32_e32 v13, 23, v11
	v_cmp_ne_u32_e32 vcc_lo, 0, v11
	s_delay_alu instid0(VALU_DEP_2) | instskip(NEXT) | instid1(VALU_DEP_1)
	v_cvt_i32_f32_e32 v13, v13
	v_cndmask_b32_e32 v32, 0, v13, vcc_lo
	s_branch .LBB119_4041
.LBB119_4040:
	s_mov_b32 s0, -1
                                        ; implicit-def: $vgpr32
.LBB119_4041:
	s_mov_b32 s24, 0
.LBB119_4042:
	s_delay_alu instid0(SALU_CYCLE_1)
	s_and_b32 vcc_lo, exec_lo, s24
	s_cbranch_vccz .LBB119_4046
; %bb.4043:
	s_cmp_eq_u32 s59, 29
	s_cbranch_scc0 .LBB119_4045
; %bb.4044:
	global_load_b32 v32, v[34:35], off
	s_mov_b32 s0, 0
	s_mov_b32 s9, -1
	s_branch .LBB119_4046
.LBB119_4045:
	s_mov_b32 s0, -1
                                        ; implicit-def: $vgpr32
.LBB119_4046:
	s_mov_b32 s24, 0
.LBB119_4047:
	s_delay_alu instid0(SALU_CYCLE_1)
	s_and_b32 vcc_lo, exec_lo, s24
	s_cbranch_vccz .LBB119_4063
; %bb.4048:
	s_cmp_lt_i32 s59, 27
	s_cbranch_scc1 .LBB119_4051
; %bb.4049:
	s_cmp_gt_i32 s59, 27
	s_cbranch_scc0 .LBB119_4052
; %bb.4050:
	s_wait_loadcnt 0x0
	global_load_b32 v32, v[34:35], off
	s_mov_b32 s9, 0
	s_branch .LBB119_4053
.LBB119_4051:
	s_mov_b32 s9, -1
                                        ; implicit-def: $vgpr32
	s_branch .LBB119_4056
.LBB119_4052:
	s_mov_b32 s9, -1
                                        ; implicit-def: $vgpr32
.LBB119_4053:
	s_delay_alu instid0(SALU_CYCLE_1)
	s_and_not1_b32 vcc_lo, exec_lo, s9
	s_cbranch_vccnz .LBB119_4055
; %bb.4054:
	s_wait_loadcnt 0x0
	global_load_u16 v32, v[34:35], off
.LBB119_4055:
	s_mov_b32 s9, 0
.LBB119_4056:
	s_delay_alu instid0(SALU_CYCLE_1)
	s_and_not1_b32 vcc_lo, exec_lo, s9
	s_cbranch_vccnz .LBB119_4062
; %bb.4057:
	global_load_u8 v11, v[34:35], off
	s_mov_b32 s24, 0
	s_mov_b32 s9, exec_lo
	s_wait_loadcnt 0x0
	v_cmpx_lt_i16_e32 0x7f, v11
	s_xor_b32 s9, exec_lo, s9
	s_cbranch_execz .LBB119_4074
; %bb.4058:
	v_cmp_ne_u16_e32 vcc_lo, 0x80, v11
	s_and_b32 s24, vcc_lo, exec_lo
	s_and_not1_saveexec_b32 s9, s9
	s_cbranch_execnz .LBB119_4075
.LBB119_4059:
	s_or_b32 exec_lo, exec_lo, s9
	v_mov_b32_e32 v32, 0
	s_and_saveexec_b32 s9, s24
	s_cbranch_execz .LBB119_4061
.LBB119_4060:
	v_and_b32_e32 v13, 0xffff, v11
	s_delay_alu instid0(VALU_DEP_1) | instskip(SKIP_1) | instid1(VALU_DEP_2)
	v_dual_lshlrev_b32 v11, 24, v11 :: v_dual_bitop2_b32 v15, 7, v13 bitop3:0x40
	v_bfe_u32 v21, v13, 3, 4
	v_and_b32_e32 v11, 0x80000000, v11
	s_delay_alu instid0(VALU_DEP_3) | instskip(NEXT) | instid1(VALU_DEP_3)
	v_clz_i32_u32_e32 v17, v15
	v_cmp_eq_u32_e32 vcc_lo, 0, v21
	s_delay_alu instid0(VALU_DEP_2) | instskip(NEXT) | instid1(VALU_DEP_1)
	v_min_u32_e32 v17, 32, v17
	v_subrev_nc_u32_e32 v19, 28, v17
	v_sub_nc_u32_e32 v17, 29, v17
	s_delay_alu instid0(VALU_DEP_2) | instskip(NEXT) | instid1(VALU_DEP_2)
	v_lshlrev_b32_e32 v13, v19, v13
	v_cndmask_b32_e32 v17, v21, v17, vcc_lo
	s_delay_alu instid0(VALU_DEP_2) | instskip(NEXT) | instid1(VALU_DEP_1)
	v_and_b32_e32 v13, 7, v13
	v_cndmask_b32_e32 v13, v15, v13, vcc_lo
	s_delay_alu instid0(VALU_DEP_3) | instskip(NEXT) | instid1(VALU_DEP_2)
	v_lshl_add_u32 v15, v17, 23, 0x3b800000
	v_lshlrev_b32_e32 v13, 20, v13
	s_delay_alu instid0(VALU_DEP_1) | instskip(NEXT) | instid1(VALU_DEP_1)
	v_or3_b32 v11, v11, v15, v13
	v_cvt_i32_f32_e32 v32, v11
.LBB119_4061:
	s_or_b32 exec_lo, exec_lo, s9
.LBB119_4062:
	s_mov_b32 s9, -1
.LBB119_4063:
	s_mov_b32 s24, 0
.LBB119_4064:
	s_delay_alu instid0(SALU_CYCLE_1)
	s_and_b32 vcc_lo, exec_lo, s24
	s_cbranch_vccz .LBB119_4095
; %bb.4065:
	s_cmp_gt_i32 s59, 22
	s_cbranch_scc0 .LBB119_4073
; %bb.4066:
	s_cmp_lt_i32 s59, 24
	s_cbranch_scc1 .LBB119_4076
; %bb.4067:
	s_cmp_gt_i32 s59, 24
	s_cbranch_scc0 .LBB119_4077
; %bb.4068:
	global_load_u8 v11, v[34:35], off
	s_mov_b32 s9, 0
	s_mov_b32 s1, exec_lo
	s_wait_loadcnt 0x0
	v_cmpx_lt_i16_e32 0x7f, v11
	s_xor_b32 s1, exec_lo, s1
	s_cbranch_execz .LBB119_4089
; %bb.4069:
	v_cmp_ne_u16_e32 vcc_lo, 0x80, v11
	s_and_b32 s9, vcc_lo, exec_lo
	s_and_not1_saveexec_b32 s1, s1
	s_cbranch_execnz .LBB119_4090
.LBB119_4070:
	s_or_b32 exec_lo, exec_lo, s1
	v_mov_b32_e32 v32, 0
	s_and_saveexec_b32 s1, s9
	s_cbranch_execz .LBB119_4072
.LBB119_4071:
	v_and_b32_e32 v13, 0xffff, v11
	s_delay_alu instid0(VALU_DEP_1) | instskip(SKIP_1) | instid1(VALU_DEP_2)
	v_dual_lshlrev_b32 v11, 24, v11 :: v_dual_bitop2_b32 v15, 3, v13 bitop3:0x40
	v_bfe_u32 v21, v13, 2, 5
	v_and_b32_e32 v11, 0x80000000, v11
	s_delay_alu instid0(VALU_DEP_3) | instskip(NEXT) | instid1(VALU_DEP_3)
	v_clz_i32_u32_e32 v17, v15
	v_cmp_eq_u32_e32 vcc_lo, 0, v21
	s_delay_alu instid0(VALU_DEP_2) | instskip(NEXT) | instid1(VALU_DEP_1)
	v_min_u32_e32 v17, 32, v17
	v_subrev_nc_u32_e32 v19, 29, v17
	v_sub_nc_u32_e32 v17, 30, v17
	s_delay_alu instid0(VALU_DEP_2) | instskip(NEXT) | instid1(VALU_DEP_2)
	v_lshlrev_b32_e32 v13, v19, v13
	v_cndmask_b32_e32 v17, v21, v17, vcc_lo
	s_delay_alu instid0(VALU_DEP_2) | instskip(NEXT) | instid1(VALU_DEP_1)
	v_and_b32_e32 v13, 3, v13
	v_cndmask_b32_e32 v13, v15, v13, vcc_lo
	s_delay_alu instid0(VALU_DEP_3) | instskip(NEXT) | instid1(VALU_DEP_2)
	v_lshl_add_u32 v15, v17, 23, 0x37800000
	v_lshlrev_b32_e32 v13, 21, v13
	s_delay_alu instid0(VALU_DEP_1) | instskip(NEXT) | instid1(VALU_DEP_1)
	v_or3_b32 v11, v11, v15, v13
	v_cvt_i32_f32_e32 v32, v11
.LBB119_4072:
	s_or_b32 exec_lo, exec_lo, s1
	s_mov_b32 s1, 0
	s_branch .LBB119_4078
.LBB119_4073:
	s_mov_b32 s1, -1
                                        ; implicit-def: $vgpr32
	s_branch .LBB119_4084
.LBB119_4074:
	s_and_not1_saveexec_b32 s9, s9
	s_cbranch_execz .LBB119_4059
.LBB119_4075:
	v_cmp_ne_u16_e32 vcc_lo, 0, v11
	s_and_not1_b32 s24, s24, exec_lo
	s_and_b32 s25, vcc_lo, exec_lo
	s_delay_alu instid0(SALU_CYCLE_1)
	s_or_b32 s24, s24, s25
	s_or_b32 exec_lo, exec_lo, s9
	v_mov_b32_e32 v32, 0
	s_and_saveexec_b32 s9, s24
	s_cbranch_execnz .LBB119_4060
	s_branch .LBB119_4061
.LBB119_4076:
	s_mov_b32 s1, -1
                                        ; implicit-def: $vgpr32
	s_branch .LBB119_4081
.LBB119_4077:
	s_mov_b32 s1, -1
                                        ; implicit-def: $vgpr32
.LBB119_4078:
	s_delay_alu instid0(SALU_CYCLE_1)
	s_and_b32 vcc_lo, exec_lo, s1
	s_cbranch_vccz .LBB119_4080
; %bb.4079:
	global_load_u8 v11, v[34:35], off
	s_wait_loadcnt 0x0
	v_lshlrev_b32_e32 v11, 24, v11
	s_delay_alu instid0(VALU_DEP_1) | instskip(NEXT) | instid1(VALU_DEP_1)
	v_and_b32_e32 v13, 0x7f000000, v11
	v_clz_i32_u32_e32 v15, v13
	v_add_nc_u32_e32 v19, 0x1000000, v13
	v_cmp_ne_u32_e32 vcc_lo, 0, v13
	s_delay_alu instid0(VALU_DEP_3) | instskip(NEXT) | instid1(VALU_DEP_1)
	v_min_u32_e32 v15, 32, v15
	v_sub_nc_u32_e64 v15, v15, 4 clamp
	s_delay_alu instid0(VALU_DEP_1) | instskip(NEXT) | instid1(VALU_DEP_1)
	v_dual_lshlrev_b32 v17, v15, v13 :: v_dual_lshlrev_b32 v15, 23, v15
	v_lshrrev_b32_e32 v17, 4, v17
	s_delay_alu instid0(VALU_DEP_1) | instskip(SKIP_1) | instid1(VALU_DEP_2)
	v_sub_nc_u32_e32 v15, v17, v15
	v_ashrrev_i32_e32 v17, 8, v19
	v_add_nc_u32_e32 v15, 0x3c000000, v15
	s_delay_alu instid0(VALU_DEP_1) | instskip(NEXT) | instid1(VALU_DEP_1)
	v_and_or_b32 v15, 0x7f800000, v17, v15
	v_cndmask_b32_e32 v13, 0, v15, vcc_lo
	s_delay_alu instid0(VALU_DEP_1) | instskip(NEXT) | instid1(VALU_DEP_1)
	v_and_or_b32 v11, 0x80000000, v11, v13
	v_cvt_i32_f32_e32 v32, v11
.LBB119_4080:
	s_mov_b32 s1, 0
.LBB119_4081:
	s_delay_alu instid0(SALU_CYCLE_1)
	s_and_not1_b32 vcc_lo, exec_lo, s1
	s_cbranch_vccnz .LBB119_4083
; %bb.4082:
	global_load_u8 v11, v[34:35], off
	s_wait_loadcnt 0x0
	v_lshlrev_b32_e32 v13, 25, v11
	v_lshlrev_b16 v11, 8, v11
	s_delay_alu instid0(VALU_DEP_1) | instskip(SKIP_1) | instid1(VALU_DEP_2)
	v_and_or_b32 v17, 0x7f00, v11, 0.5
	v_bfe_i32 v11, v11, 0, 16
	v_add_f32_e32 v17, -0.5, v17
	v_lshrrev_b32_e32 v15, 4, v13
	v_cmp_gt_u32_e32 vcc_lo, 0x8000000, v13
	s_delay_alu instid0(VALU_DEP_2) | instskip(NEXT) | instid1(VALU_DEP_1)
	v_or_b32_e32 v15, 0x70000000, v15
	v_mul_f32_e32 v15, 0x7800000, v15
	s_delay_alu instid0(VALU_DEP_1) | instskip(NEXT) | instid1(VALU_DEP_1)
	v_cndmask_b32_e32 v13, v15, v17, vcc_lo
	v_and_or_b32 v11, 0x80000000, v11, v13
	s_delay_alu instid0(VALU_DEP_1)
	v_cvt_i32_f32_e32 v32, v11
.LBB119_4083:
	s_mov_b32 s1, 0
	s_mov_b32 s9, -1
.LBB119_4084:
	s_and_not1_b32 vcc_lo, exec_lo, s1
	s_mov_b32 s1, 0
	s_cbranch_vccnz .LBB119_4095
; %bb.4085:
	s_cmp_gt_i32 s59, 14
	s_cbranch_scc0 .LBB119_4088
; %bb.4086:
	s_cmp_eq_u32 s59, 15
	s_cbranch_scc0 .LBB119_4091
; %bb.4087:
	global_load_u16 v11, v[34:35], off
	s_mov_b32 s0, 0
	s_mov_b32 s9, -1
	s_wait_loadcnt 0x0
	v_lshlrev_b32_e32 v11, 16, v11
	s_delay_alu instid0(VALU_DEP_1)
	v_cvt_i32_f32_e32 v32, v11
	s_branch .LBB119_4093
.LBB119_4088:
	s_mov_b32 s1, -1
	s_branch .LBB119_4092
.LBB119_4089:
	s_and_not1_saveexec_b32 s1, s1
	s_cbranch_execz .LBB119_4070
.LBB119_4090:
	v_cmp_ne_u16_e32 vcc_lo, 0, v11
	s_and_not1_b32 s9, s9, exec_lo
	s_and_b32 s24, vcc_lo, exec_lo
	s_delay_alu instid0(SALU_CYCLE_1)
	s_or_b32 s9, s9, s24
	s_or_b32 exec_lo, exec_lo, s1
	v_mov_b32_e32 v32, 0
	s_and_saveexec_b32 s1, s9
	s_cbranch_execnz .LBB119_4071
	s_branch .LBB119_4072
.LBB119_4091:
	s_mov_b32 s0, -1
.LBB119_4092:
                                        ; implicit-def: $vgpr32
.LBB119_4093:
	s_and_b32 vcc_lo, exec_lo, s1
	s_mov_b32 s1, 0
	s_cbranch_vccz .LBB119_4095
; %bb.4094:
	s_cmp_lg_u32 s59, 11
	s_mov_b32 s1, -1
	s_cselect_b32 s0, -1, 0
.LBB119_4095:
	s_delay_alu instid0(SALU_CYCLE_1)
	s_and_b32 vcc_lo, exec_lo, s0
	s_cbranch_vccnz .LBB119_4160
; %bb.4096:
	s_and_not1_b32 vcc_lo, exec_lo, s1
	s_cbranch_vccnz .LBB119_4098
.LBB119_4097:
	global_load_u8 v11, v[34:35], off
	s_mov_b32 s9, -1
	s_wait_loadcnt 0x0
	v_cmp_ne_u16_e32 vcc_lo, 0, v11
	v_cndmask_b32_e64 v32, 0, 1, vcc_lo
.LBB119_4098:
	s_mov_b32 s0, 0
.LBB119_4099:
	s_delay_alu instid0(SALU_CYCLE_1)
	s_and_b32 vcc_lo, exec_lo, s0
	s_cbranch_vccz .LBB119_4148
; %bb.4100:
	s_cmp_lt_i32 s59, 5
	s_cbranch_scc1 .LBB119_4105
; %bb.4101:
	s_cmp_lt_i32 s59, 8
	s_cbranch_scc1 .LBB119_4106
	;; [unrolled: 3-line block ×3, first 2 shown]
; %bb.4103:
	s_cmp_gt_i32 s59, 9
	s_cbranch_scc0 .LBB119_4108
; %bb.4104:
	s_wait_loadcnt 0x0
	global_load_b64 v[32:33], v[34:35], off
	s_mov_b32 s0, 0
	s_wait_loadcnt 0x0
	v_cvt_i32_f64_e32 v32, v[32:33]
	s_branch .LBB119_4109
.LBB119_4105:
	s_mov_b32 s0, -1
                                        ; implicit-def: $vgpr32
	s_branch .LBB119_4127
.LBB119_4106:
	s_mov_b32 s0, -1
                                        ; implicit-def: $vgpr32
	s_branch .LBB119_4115
.LBB119_4107:
	s_mov_b32 s0, -1
                                        ; implicit-def: $vgpr32
	s_branch .LBB119_4112
.LBB119_4108:
	s_mov_b32 s0, -1
                                        ; implicit-def: $vgpr32
.LBB119_4109:
	s_delay_alu instid0(SALU_CYCLE_1)
	s_and_not1_b32 vcc_lo, exec_lo, s0
	s_cbranch_vccnz .LBB119_4111
; %bb.4110:
	global_load_b32 v11, v[34:35], off
	s_wait_loadcnt 0x0
	v_cvt_i32_f32_e32 v32, v11
.LBB119_4111:
	s_mov_b32 s0, 0
.LBB119_4112:
	s_delay_alu instid0(SALU_CYCLE_1)
	s_and_not1_b32 vcc_lo, exec_lo, s0
	s_cbranch_vccnz .LBB119_4114
; %bb.4113:
	global_load_b32 v11, v[34:35], off
	s_wait_loadcnt 0x0
	v_cvt_f32_f16_e32 v11, v11
	s_delay_alu instid0(VALU_DEP_1)
	v_cvt_i32_f32_e32 v32, v11
.LBB119_4114:
	s_mov_b32 s0, 0
.LBB119_4115:
	s_delay_alu instid0(SALU_CYCLE_1)
	s_and_not1_b32 vcc_lo, exec_lo, s0
	s_cbranch_vccnz .LBB119_4126
; %bb.4116:
	s_cmp_lt_i32 s59, 6
	s_cbranch_scc1 .LBB119_4119
; %bb.4117:
	s_cmp_gt_i32 s59, 6
	s_cbranch_scc0 .LBB119_4120
; %bb.4118:
	s_wait_loadcnt 0x0
	global_load_b64 v[32:33], v[34:35], off
	s_mov_b32 s0, 0
	s_wait_loadcnt 0x0
	v_cvt_i32_f64_e32 v32, v[32:33]
	s_branch .LBB119_4121
.LBB119_4119:
	s_mov_b32 s0, -1
                                        ; implicit-def: $vgpr32
	s_branch .LBB119_4124
.LBB119_4120:
	s_mov_b32 s0, -1
                                        ; implicit-def: $vgpr32
.LBB119_4121:
	s_delay_alu instid0(SALU_CYCLE_1)
	s_and_not1_b32 vcc_lo, exec_lo, s0
	s_cbranch_vccnz .LBB119_4123
; %bb.4122:
	global_load_b32 v11, v[34:35], off
	s_wait_loadcnt 0x0
	v_cvt_i32_f32_e32 v32, v11
.LBB119_4123:
	s_mov_b32 s0, 0
.LBB119_4124:
	s_delay_alu instid0(SALU_CYCLE_1)
	s_and_not1_b32 vcc_lo, exec_lo, s0
	s_cbranch_vccnz .LBB119_4126
; %bb.4125:
	global_load_u16 v11, v[34:35], off
	s_wait_loadcnt 0x0
	v_cvt_f32_f16_e32 v11, v11
	s_delay_alu instid0(VALU_DEP_1)
	v_cvt_i32_f32_e32 v32, v11
.LBB119_4126:
	s_mov_b32 s0, 0
.LBB119_4127:
	s_delay_alu instid0(SALU_CYCLE_1)
	s_and_not1_b32 vcc_lo, exec_lo, s0
	s_cbranch_vccnz .LBB119_4147
; %bb.4128:
	s_cmp_lt_i32 s59, 2
	s_cbranch_scc1 .LBB119_4132
; %bb.4129:
	s_cmp_lt_i32 s59, 3
	s_cbranch_scc1 .LBB119_4133
; %bb.4130:
	s_cmp_gt_i32 s59, 3
	s_cbranch_scc0 .LBB119_4134
; %bb.4131:
	s_wait_loadcnt 0x0
	global_load_b32 v32, v[34:35], off
	s_mov_b32 s0, 0
	s_branch .LBB119_4135
.LBB119_4132:
	s_mov_b32 s0, -1
                                        ; implicit-def: $vgpr32
	s_branch .LBB119_4141
.LBB119_4133:
	s_mov_b32 s0, -1
                                        ; implicit-def: $vgpr32
	s_branch .LBB119_4138
.LBB119_4134:
	s_mov_b32 s0, -1
                                        ; implicit-def: $vgpr32
.LBB119_4135:
	s_delay_alu instid0(SALU_CYCLE_1)
	s_and_not1_b32 vcc_lo, exec_lo, s0
	s_cbranch_vccnz .LBB119_4137
; %bb.4136:
	s_wait_loadcnt 0x0
	global_load_b32 v32, v[34:35], off
.LBB119_4137:
	s_mov_b32 s0, 0
.LBB119_4138:
	s_delay_alu instid0(SALU_CYCLE_1)
	s_and_not1_b32 vcc_lo, exec_lo, s0
	s_cbranch_vccnz .LBB119_4140
; %bb.4139:
	s_wait_loadcnt 0x0
	global_load_i16 v32, v[34:35], off
.LBB119_4140:
	s_mov_b32 s0, 0
.LBB119_4141:
	s_delay_alu instid0(SALU_CYCLE_1)
	s_and_not1_b32 vcc_lo, exec_lo, s0
	s_cbranch_vccnz .LBB119_4147
; %bb.4142:
	s_cmp_gt_i32 s59, 0
	s_mov_b32 s0, 0
	s_cbranch_scc0 .LBB119_4144
; %bb.4143:
	s_wait_loadcnt 0x0
	global_load_i8 v32, v[34:35], off
	s_branch .LBB119_4145
.LBB119_4144:
	s_mov_b32 s0, -1
                                        ; implicit-def: $vgpr32
.LBB119_4145:
	s_delay_alu instid0(SALU_CYCLE_1)
	s_and_not1_b32 vcc_lo, exec_lo, s0
	s_cbranch_vccnz .LBB119_4147
; %bb.4146:
	s_wait_loadcnt 0x0
	global_load_u8 v32, v[34:35], off
.LBB119_4147:
	s_mov_b32 s9, -1
.LBB119_4148:
	s_delay_alu instid0(SALU_CYCLE_1)
	s_and_not1_b32 vcc_lo, exec_lo, s9
	s_cbranch_vccnz .LBB119_4414
; %bb.4149:
	v_mov_b32_e32 v31, 0
	s_and_b32 s60, 0xffff, s50
	s_delay_alu instid0(SALU_CYCLE_1) | instskip(SKIP_1) | instid1(VALU_DEP_1)
	s_cmp_lt_i32 s60, 11
	s_wait_xcnt 0x0
	v_add_nc_u64_e32 v[34:35], s[16:17], v[30:31]
	s_cbranch_scc1 .LBB119_4156
; %bb.4150:
	s_cmp_gt_i32 s60, 25
	s_mov_b32 s1, 0
	s_cbranch_scc0 .LBB119_4157
; %bb.4151:
	s_cmp_gt_i32 s60, 28
	s_cbranch_scc0 .LBB119_4158
; %bb.4152:
	s_cmp_gt_i32 s60, 43
	s_cbranch_scc0 .LBB119_4159
; %bb.4153:
	s_cmp_gt_i32 s60, 45
	s_cbranch_scc0 .LBB119_4161
; %bb.4154:
	s_cmp_eq_u32 s60, 46
	s_mov_b32 s24, 0
	s_cbranch_scc0 .LBB119_4164
; %bb.4155:
	global_load_b32 v11, v[34:35], off
	s_mov_b32 s0, 0
	s_mov_b32 s9, -1
	s_wait_loadcnt 0x0
	v_lshlrev_b32_e32 v11, 16, v11
	s_delay_alu instid0(VALU_DEP_1)
	v_cvt_i32_f32_e32 v30, v11
	s_branch .LBB119_4166
.LBB119_4156:
	s_mov_b32 s0, -1
	s_mov_b32 s9, 0
                                        ; implicit-def: $vgpr30
	s_branch .LBB119_4228
.LBB119_4157:
	s_mov_b32 s24, -1
	s_mov_b32 s9, 0
	s_mov_b32 s0, 0
                                        ; implicit-def: $vgpr30
	s_branch .LBB119_4193
.LBB119_4158:
	s_mov_b32 s24, -1
	s_mov_b32 s9, 0
	s_mov_b32 s0, 0
                                        ; implicit-def: $vgpr30
	s_branch .LBB119_4176
.LBB119_4159:
	s_mov_b32 s24, -1
	s_mov_b32 s9, 0
	s_mov_b32 s0, 0
                                        ; implicit-def: $vgpr30
	s_branch .LBB119_4171
.LBB119_4160:
	s_or_b32 s46, s46, exec_lo
	s_trap 2
	s_cbranch_execz .LBB119_4097
	s_branch .LBB119_4098
.LBB119_4161:
	s_mov_b32 s24, -1
	s_mov_b32 s9, 0
	s_mov_b32 s0, 0
	s_branch .LBB119_4165
.LBB119_4162:
	s_or_b32 exec_lo, exec_lo, s92
	s_branch .LBB119_1325
.LBB119_4163:
	s_or_b32 s21, s41, exec_lo
	s_trap 2
                                        ; implicit-def: $vgpr6
                                        ; implicit-def: $vgpr30
                                        ; implicit-def: $vgpr28
                                        ; implicit-def: $vgpr34
                                        ; implicit-def: $vgpr32
                                        ; implicit-def: $vgpr4
                                        ; implicit-def: $vgpr36
                                        ; implicit-def: $vgpr20
                                        ; implicit-def: $vgpr18
                                        ; implicit-def: $vgpr24
                                        ; implicit-def: $vgpr22
                                        ; implicit-def: $vgpr2
                                        ; implicit-def: $vgpr26
                                        ; implicit-def: $vgpr10
                                        ; implicit-def: $vgpr8
                                        ; implicit-def: $vgpr14
                                        ; implicit-def: $vgpr12
                                        ; implicit-def: $vgpr0
                                        ; implicit-def: $vgpr16
                                        ; implicit-def: $vgpr1
                                        ; implicit-def: $vgpr3
                                        ; implicit-def: $vgpr42
                                        ; implicit-def: $vgpr40
                                        ; implicit-def: $vgpr44
	s_branch .LBB119_3527
.LBB119_4164:
	s_mov_b32 s0, -1
	s_mov_b32 s9, 0
.LBB119_4165:
                                        ; implicit-def: $vgpr30
.LBB119_4166:
	s_and_b32 vcc_lo, exec_lo, s24
	s_cbranch_vccz .LBB119_4170
; %bb.4167:
	s_cmp_eq_u32 s60, 44
	s_cbranch_scc0 .LBB119_4169
; %bb.4168:
	global_load_u8 v11, v[34:35], off
	s_mov_b32 s0, 0
	s_mov_b32 s9, -1
	s_wait_loadcnt 0x0
	v_lshlrev_b32_e32 v13, 23, v11
	v_cmp_ne_u32_e32 vcc_lo, 0, v11
	s_delay_alu instid0(VALU_DEP_2) | instskip(NEXT) | instid1(VALU_DEP_1)
	v_cvt_i32_f32_e32 v13, v13
	v_cndmask_b32_e32 v30, 0, v13, vcc_lo
	s_branch .LBB119_4170
.LBB119_4169:
	s_mov_b32 s0, -1
                                        ; implicit-def: $vgpr30
.LBB119_4170:
	s_mov_b32 s24, 0
.LBB119_4171:
	s_delay_alu instid0(SALU_CYCLE_1)
	s_and_b32 vcc_lo, exec_lo, s24
	s_cbranch_vccz .LBB119_4175
; %bb.4172:
	s_cmp_eq_u32 s60, 29
	s_cbranch_scc0 .LBB119_4174
; %bb.4173:
	global_load_b32 v30, v[34:35], off
	s_mov_b32 s0, 0
	s_mov_b32 s9, -1
	s_branch .LBB119_4175
.LBB119_4174:
	s_mov_b32 s0, -1
                                        ; implicit-def: $vgpr30
.LBB119_4175:
	s_mov_b32 s24, 0
.LBB119_4176:
	s_delay_alu instid0(SALU_CYCLE_1)
	s_and_b32 vcc_lo, exec_lo, s24
	s_cbranch_vccz .LBB119_4192
; %bb.4177:
	s_cmp_lt_i32 s60, 27
	s_cbranch_scc1 .LBB119_4180
; %bb.4178:
	s_cmp_gt_i32 s60, 27
	s_cbranch_scc0 .LBB119_4181
; %bb.4179:
	s_wait_loadcnt 0x0
	global_load_b32 v30, v[34:35], off
	s_mov_b32 s9, 0
	s_branch .LBB119_4182
.LBB119_4180:
	s_mov_b32 s9, -1
                                        ; implicit-def: $vgpr30
	s_branch .LBB119_4185
.LBB119_4181:
	s_mov_b32 s9, -1
                                        ; implicit-def: $vgpr30
.LBB119_4182:
	s_delay_alu instid0(SALU_CYCLE_1)
	s_and_not1_b32 vcc_lo, exec_lo, s9
	s_cbranch_vccnz .LBB119_4184
; %bb.4183:
	s_wait_loadcnt 0x0
	global_load_u16 v30, v[34:35], off
.LBB119_4184:
	s_mov_b32 s9, 0
.LBB119_4185:
	s_delay_alu instid0(SALU_CYCLE_1)
	s_and_not1_b32 vcc_lo, exec_lo, s9
	s_cbranch_vccnz .LBB119_4191
; %bb.4186:
	global_load_u8 v11, v[34:35], off
	s_mov_b32 s24, 0
	s_mov_b32 s9, exec_lo
	s_wait_loadcnt 0x0
	v_cmpx_lt_i16_e32 0x7f, v11
	s_xor_b32 s9, exec_lo, s9
	s_cbranch_execz .LBB119_4203
; %bb.4187:
	v_cmp_ne_u16_e32 vcc_lo, 0x80, v11
	s_and_b32 s24, vcc_lo, exec_lo
	s_and_not1_saveexec_b32 s9, s9
	s_cbranch_execnz .LBB119_4204
.LBB119_4188:
	s_or_b32 exec_lo, exec_lo, s9
	v_mov_b32_e32 v30, 0
	s_and_saveexec_b32 s9, s24
	s_cbranch_execz .LBB119_4190
.LBB119_4189:
	v_and_b32_e32 v13, 0xffff, v11
	s_delay_alu instid0(VALU_DEP_1) | instskip(SKIP_1) | instid1(VALU_DEP_2)
	v_dual_lshlrev_b32 v11, 24, v11 :: v_dual_bitop2_b32 v15, 7, v13 bitop3:0x40
	v_bfe_u32 v21, v13, 3, 4
	v_and_b32_e32 v11, 0x80000000, v11
	s_delay_alu instid0(VALU_DEP_3) | instskip(NEXT) | instid1(VALU_DEP_3)
	v_clz_i32_u32_e32 v17, v15
	v_cmp_eq_u32_e32 vcc_lo, 0, v21
	s_delay_alu instid0(VALU_DEP_2) | instskip(NEXT) | instid1(VALU_DEP_1)
	v_min_u32_e32 v17, 32, v17
	v_subrev_nc_u32_e32 v19, 28, v17
	v_sub_nc_u32_e32 v17, 29, v17
	s_delay_alu instid0(VALU_DEP_2) | instskip(NEXT) | instid1(VALU_DEP_2)
	v_lshlrev_b32_e32 v13, v19, v13
	v_cndmask_b32_e32 v17, v21, v17, vcc_lo
	s_delay_alu instid0(VALU_DEP_2) | instskip(NEXT) | instid1(VALU_DEP_1)
	v_and_b32_e32 v13, 7, v13
	v_cndmask_b32_e32 v13, v15, v13, vcc_lo
	s_delay_alu instid0(VALU_DEP_3) | instskip(NEXT) | instid1(VALU_DEP_2)
	v_lshl_add_u32 v15, v17, 23, 0x3b800000
	v_lshlrev_b32_e32 v13, 20, v13
	s_delay_alu instid0(VALU_DEP_1) | instskip(NEXT) | instid1(VALU_DEP_1)
	v_or3_b32 v11, v11, v15, v13
	v_cvt_i32_f32_e32 v30, v11
.LBB119_4190:
	s_or_b32 exec_lo, exec_lo, s9
.LBB119_4191:
	s_mov_b32 s9, -1
.LBB119_4192:
	s_mov_b32 s24, 0
.LBB119_4193:
	s_delay_alu instid0(SALU_CYCLE_1)
	s_and_b32 vcc_lo, exec_lo, s24
	s_cbranch_vccz .LBB119_4224
; %bb.4194:
	s_cmp_gt_i32 s60, 22
	s_cbranch_scc0 .LBB119_4202
; %bb.4195:
	s_cmp_lt_i32 s60, 24
	s_cbranch_scc1 .LBB119_4205
; %bb.4196:
	s_cmp_gt_i32 s60, 24
	s_cbranch_scc0 .LBB119_4206
; %bb.4197:
	global_load_u8 v11, v[34:35], off
	s_mov_b32 s9, 0
	s_mov_b32 s1, exec_lo
	s_wait_loadcnt 0x0
	v_cmpx_lt_i16_e32 0x7f, v11
	s_xor_b32 s1, exec_lo, s1
	s_cbranch_execz .LBB119_4218
; %bb.4198:
	v_cmp_ne_u16_e32 vcc_lo, 0x80, v11
	s_and_b32 s9, vcc_lo, exec_lo
	s_and_not1_saveexec_b32 s1, s1
	s_cbranch_execnz .LBB119_4219
.LBB119_4199:
	s_or_b32 exec_lo, exec_lo, s1
	v_mov_b32_e32 v30, 0
	s_and_saveexec_b32 s1, s9
	s_cbranch_execz .LBB119_4201
.LBB119_4200:
	v_and_b32_e32 v13, 0xffff, v11
	s_delay_alu instid0(VALU_DEP_1) | instskip(SKIP_1) | instid1(VALU_DEP_2)
	v_dual_lshlrev_b32 v11, 24, v11 :: v_dual_bitop2_b32 v15, 3, v13 bitop3:0x40
	v_bfe_u32 v21, v13, 2, 5
	v_and_b32_e32 v11, 0x80000000, v11
	s_delay_alu instid0(VALU_DEP_3) | instskip(NEXT) | instid1(VALU_DEP_3)
	v_clz_i32_u32_e32 v17, v15
	v_cmp_eq_u32_e32 vcc_lo, 0, v21
	s_delay_alu instid0(VALU_DEP_2) | instskip(NEXT) | instid1(VALU_DEP_1)
	v_min_u32_e32 v17, 32, v17
	v_subrev_nc_u32_e32 v19, 29, v17
	v_sub_nc_u32_e32 v17, 30, v17
	s_delay_alu instid0(VALU_DEP_2) | instskip(NEXT) | instid1(VALU_DEP_2)
	v_lshlrev_b32_e32 v13, v19, v13
	v_cndmask_b32_e32 v17, v21, v17, vcc_lo
	s_delay_alu instid0(VALU_DEP_2) | instskip(NEXT) | instid1(VALU_DEP_1)
	v_and_b32_e32 v13, 3, v13
	v_cndmask_b32_e32 v13, v15, v13, vcc_lo
	s_delay_alu instid0(VALU_DEP_3) | instskip(NEXT) | instid1(VALU_DEP_2)
	v_lshl_add_u32 v15, v17, 23, 0x37800000
	v_lshlrev_b32_e32 v13, 21, v13
	s_delay_alu instid0(VALU_DEP_1) | instskip(NEXT) | instid1(VALU_DEP_1)
	v_or3_b32 v11, v11, v15, v13
	v_cvt_i32_f32_e32 v30, v11
.LBB119_4201:
	s_or_b32 exec_lo, exec_lo, s1
	s_mov_b32 s1, 0
	s_branch .LBB119_4207
.LBB119_4202:
	s_mov_b32 s1, -1
                                        ; implicit-def: $vgpr30
	s_branch .LBB119_4213
.LBB119_4203:
	s_and_not1_saveexec_b32 s9, s9
	s_cbranch_execz .LBB119_4188
.LBB119_4204:
	v_cmp_ne_u16_e32 vcc_lo, 0, v11
	s_and_not1_b32 s24, s24, exec_lo
	s_and_b32 s25, vcc_lo, exec_lo
	s_delay_alu instid0(SALU_CYCLE_1)
	s_or_b32 s24, s24, s25
	s_or_b32 exec_lo, exec_lo, s9
	v_mov_b32_e32 v30, 0
	s_and_saveexec_b32 s9, s24
	s_cbranch_execnz .LBB119_4189
	s_branch .LBB119_4190
.LBB119_4205:
	s_mov_b32 s1, -1
                                        ; implicit-def: $vgpr30
	s_branch .LBB119_4210
.LBB119_4206:
	s_mov_b32 s1, -1
                                        ; implicit-def: $vgpr30
.LBB119_4207:
	s_delay_alu instid0(SALU_CYCLE_1)
	s_and_b32 vcc_lo, exec_lo, s1
	s_cbranch_vccz .LBB119_4209
; %bb.4208:
	global_load_u8 v11, v[34:35], off
	s_wait_loadcnt 0x0
	v_lshlrev_b32_e32 v11, 24, v11
	s_delay_alu instid0(VALU_DEP_1) | instskip(NEXT) | instid1(VALU_DEP_1)
	v_and_b32_e32 v13, 0x7f000000, v11
	v_clz_i32_u32_e32 v15, v13
	v_add_nc_u32_e32 v19, 0x1000000, v13
	v_cmp_ne_u32_e32 vcc_lo, 0, v13
	s_delay_alu instid0(VALU_DEP_3) | instskip(NEXT) | instid1(VALU_DEP_1)
	v_min_u32_e32 v15, 32, v15
	v_sub_nc_u32_e64 v15, v15, 4 clamp
	s_delay_alu instid0(VALU_DEP_1) | instskip(NEXT) | instid1(VALU_DEP_1)
	v_dual_lshlrev_b32 v17, v15, v13 :: v_dual_lshlrev_b32 v15, 23, v15
	v_lshrrev_b32_e32 v17, 4, v17
	s_delay_alu instid0(VALU_DEP_1) | instskip(SKIP_1) | instid1(VALU_DEP_2)
	v_sub_nc_u32_e32 v15, v17, v15
	v_ashrrev_i32_e32 v17, 8, v19
	v_add_nc_u32_e32 v15, 0x3c000000, v15
	s_delay_alu instid0(VALU_DEP_1) | instskip(NEXT) | instid1(VALU_DEP_1)
	v_and_or_b32 v15, 0x7f800000, v17, v15
	v_cndmask_b32_e32 v13, 0, v15, vcc_lo
	s_delay_alu instid0(VALU_DEP_1) | instskip(NEXT) | instid1(VALU_DEP_1)
	v_and_or_b32 v11, 0x80000000, v11, v13
	v_cvt_i32_f32_e32 v30, v11
.LBB119_4209:
	s_mov_b32 s1, 0
.LBB119_4210:
	s_delay_alu instid0(SALU_CYCLE_1)
	s_and_not1_b32 vcc_lo, exec_lo, s1
	s_cbranch_vccnz .LBB119_4212
; %bb.4211:
	global_load_u8 v11, v[34:35], off
	s_wait_loadcnt 0x0
	v_lshlrev_b32_e32 v13, 25, v11
	v_lshlrev_b16 v11, 8, v11
	s_delay_alu instid0(VALU_DEP_1) | instskip(SKIP_1) | instid1(VALU_DEP_2)
	v_and_or_b32 v17, 0x7f00, v11, 0.5
	v_bfe_i32 v11, v11, 0, 16
	v_add_f32_e32 v17, -0.5, v17
	v_lshrrev_b32_e32 v15, 4, v13
	v_cmp_gt_u32_e32 vcc_lo, 0x8000000, v13
	s_delay_alu instid0(VALU_DEP_2) | instskip(NEXT) | instid1(VALU_DEP_1)
	v_or_b32_e32 v15, 0x70000000, v15
	v_mul_f32_e32 v15, 0x7800000, v15
	s_delay_alu instid0(VALU_DEP_1) | instskip(NEXT) | instid1(VALU_DEP_1)
	v_cndmask_b32_e32 v13, v15, v17, vcc_lo
	v_and_or_b32 v11, 0x80000000, v11, v13
	s_delay_alu instid0(VALU_DEP_1)
	v_cvt_i32_f32_e32 v30, v11
.LBB119_4212:
	s_mov_b32 s1, 0
	s_mov_b32 s9, -1
.LBB119_4213:
	s_and_not1_b32 vcc_lo, exec_lo, s1
	s_mov_b32 s1, 0
	s_cbranch_vccnz .LBB119_4224
; %bb.4214:
	s_cmp_gt_i32 s60, 14
	s_cbranch_scc0 .LBB119_4217
; %bb.4215:
	s_cmp_eq_u32 s60, 15
	s_cbranch_scc0 .LBB119_4220
; %bb.4216:
	global_load_u16 v11, v[34:35], off
	s_mov_b32 s0, 0
	s_mov_b32 s9, -1
	s_wait_loadcnt 0x0
	v_lshlrev_b32_e32 v11, 16, v11
	s_delay_alu instid0(VALU_DEP_1)
	v_cvt_i32_f32_e32 v30, v11
	s_branch .LBB119_4222
.LBB119_4217:
	s_mov_b32 s1, -1
	s_branch .LBB119_4221
.LBB119_4218:
	s_and_not1_saveexec_b32 s1, s1
	s_cbranch_execz .LBB119_4199
.LBB119_4219:
	v_cmp_ne_u16_e32 vcc_lo, 0, v11
	s_and_not1_b32 s9, s9, exec_lo
	s_and_b32 s24, vcc_lo, exec_lo
	s_delay_alu instid0(SALU_CYCLE_1)
	s_or_b32 s9, s9, s24
	s_or_b32 exec_lo, exec_lo, s1
	v_mov_b32_e32 v30, 0
	s_and_saveexec_b32 s1, s9
	s_cbranch_execnz .LBB119_4200
	s_branch .LBB119_4201
.LBB119_4220:
	s_mov_b32 s0, -1
.LBB119_4221:
                                        ; implicit-def: $vgpr30
.LBB119_4222:
	s_and_b32 vcc_lo, exec_lo, s1
	s_mov_b32 s1, 0
	s_cbranch_vccz .LBB119_4224
; %bb.4223:
	s_cmp_lg_u32 s60, 11
	s_mov_b32 s1, -1
	s_cselect_b32 s0, -1, 0
.LBB119_4224:
	s_delay_alu instid0(SALU_CYCLE_1)
	s_and_b32 vcc_lo, exec_lo, s0
	s_cbranch_vccnz .LBB119_4289
; %bb.4225:
	s_and_not1_b32 vcc_lo, exec_lo, s1
	s_cbranch_vccnz .LBB119_4227
.LBB119_4226:
	global_load_u8 v11, v[34:35], off
	s_mov_b32 s9, -1
	s_wait_loadcnt 0x0
	v_cmp_ne_u16_e32 vcc_lo, 0, v11
	v_cndmask_b32_e64 v30, 0, 1, vcc_lo
.LBB119_4227:
	s_mov_b32 s0, 0
.LBB119_4228:
	s_delay_alu instid0(SALU_CYCLE_1)
	s_and_b32 vcc_lo, exec_lo, s0
	s_cbranch_vccz .LBB119_4277
; %bb.4229:
	s_cmp_lt_i32 s60, 5
	s_cbranch_scc1 .LBB119_4234
; %bb.4230:
	s_cmp_lt_i32 s60, 8
	s_cbranch_scc1 .LBB119_4235
	;; [unrolled: 3-line block ×3, first 2 shown]
; %bb.4232:
	s_cmp_gt_i32 s60, 9
	s_cbranch_scc0 .LBB119_4237
; %bb.4233:
	s_wait_loadcnt 0x0
	global_load_b64 v[30:31], v[34:35], off
	s_mov_b32 s0, 0
	s_wait_loadcnt 0x0
	v_cvt_i32_f64_e32 v30, v[30:31]
	s_branch .LBB119_4238
.LBB119_4234:
	s_mov_b32 s0, -1
                                        ; implicit-def: $vgpr30
	s_branch .LBB119_4256
.LBB119_4235:
	s_mov_b32 s0, -1
                                        ; implicit-def: $vgpr30
	s_branch .LBB119_4244
.LBB119_4236:
	s_mov_b32 s0, -1
                                        ; implicit-def: $vgpr30
	s_branch .LBB119_4241
.LBB119_4237:
	s_mov_b32 s0, -1
                                        ; implicit-def: $vgpr30
.LBB119_4238:
	s_delay_alu instid0(SALU_CYCLE_1)
	s_and_not1_b32 vcc_lo, exec_lo, s0
	s_cbranch_vccnz .LBB119_4240
; %bb.4239:
	global_load_b32 v11, v[34:35], off
	s_wait_loadcnt 0x0
	v_cvt_i32_f32_e32 v30, v11
.LBB119_4240:
	s_mov_b32 s0, 0
.LBB119_4241:
	s_delay_alu instid0(SALU_CYCLE_1)
	s_and_not1_b32 vcc_lo, exec_lo, s0
	s_cbranch_vccnz .LBB119_4243
; %bb.4242:
	global_load_b32 v11, v[34:35], off
	s_wait_loadcnt 0x0
	v_cvt_f32_f16_e32 v11, v11
	s_delay_alu instid0(VALU_DEP_1)
	v_cvt_i32_f32_e32 v30, v11
.LBB119_4243:
	s_mov_b32 s0, 0
.LBB119_4244:
	s_delay_alu instid0(SALU_CYCLE_1)
	s_and_not1_b32 vcc_lo, exec_lo, s0
	s_cbranch_vccnz .LBB119_4255
; %bb.4245:
	s_cmp_lt_i32 s60, 6
	s_cbranch_scc1 .LBB119_4248
; %bb.4246:
	s_cmp_gt_i32 s60, 6
	s_cbranch_scc0 .LBB119_4249
; %bb.4247:
	s_wait_loadcnt 0x0
	global_load_b64 v[30:31], v[34:35], off
	s_mov_b32 s0, 0
	s_wait_loadcnt 0x0
	v_cvt_i32_f64_e32 v30, v[30:31]
	s_branch .LBB119_4250
.LBB119_4248:
	s_mov_b32 s0, -1
                                        ; implicit-def: $vgpr30
	s_branch .LBB119_4253
.LBB119_4249:
	s_mov_b32 s0, -1
                                        ; implicit-def: $vgpr30
.LBB119_4250:
	s_delay_alu instid0(SALU_CYCLE_1)
	s_and_not1_b32 vcc_lo, exec_lo, s0
	s_cbranch_vccnz .LBB119_4252
; %bb.4251:
	global_load_b32 v11, v[34:35], off
	s_wait_loadcnt 0x0
	v_cvt_i32_f32_e32 v30, v11
.LBB119_4252:
	s_mov_b32 s0, 0
.LBB119_4253:
	s_delay_alu instid0(SALU_CYCLE_1)
	s_and_not1_b32 vcc_lo, exec_lo, s0
	s_cbranch_vccnz .LBB119_4255
; %bb.4254:
	global_load_u16 v11, v[34:35], off
	s_wait_loadcnt 0x0
	v_cvt_f32_f16_e32 v11, v11
	s_delay_alu instid0(VALU_DEP_1)
	v_cvt_i32_f32_e32 v30, v11
.LBB119_4255:
	s_mov_b32 s0, 0
.LBB119_4256:
	s_delay_alu instid0(SALU_CYCLE_1)
	s_and_not1_b32 vcc_lo, exec_lo, s0
	s_cbranch_vccnz .LBB119_4276
; %bb.4257:
	s_cmp_lt_i32 s60, 2
	s_cbranch_scc1 .LBB119_4261
; %bb.4258:
	s_cmp_lt_i32 s60, 3
	s_cbranch_scc1 .LBB119_4262
; %bb.4259:
	s_cmp_gt_i32 s60, 3
	s_cbranch_scc0 .LBB119_4263
; %bb.4260:
	s_wait_loadcnt 0x0
	global_load_b32 v30, v[34:35], off
	s_mov_b32 s0, 0
	s_branch .LBB119_4264
.LBB119_4261:
	s_mov_b32 s0, -1
                                        ; implicit-def: $vgpr30
	s_branch .LBB119_4270
.LBB119_4262:
	s_mov_b32 s0, -1
                                        ; implicit-def: $vgpr30
	s_branch .LBB119_4267
.LBB119_4263:
	s_mov_b32 s0, -1
                                        ; implicit-def: $vgpr30
.LBB119_4264:
	s_delay_alu instid0(SALU_CYCLE_1)
	s_and_not1_b32 vcc_lo, exec_lo, s0
	s_cbranch_vccnz .LBB119_4266
; %bb.4265:
	s_wait_loadcnt 0x0
	global_load_b32 v30, v[34:35], off
.LBB119_4266:
	s_mov_b32 s0, 0
.LBB119_4267:
	s_delay_alu instid0(SALU_CYCLE_1)
	s_and_not1_b32 vcc_lo, exec_lo, s0
	s_cbranch_vccnz .LBB119_4269
; %bb.4268:
	s_wait_loadcnt 0x0
	global_load_i16 v30, v[34:35], off
.LBB119_4269:
	s_mov_b32 s0, 0
.LBB119_4270:
	s_delay_alu instid0(SALU_CYCLE_1)
	s_and_not1_b32 vcc_lo, exec_lo, s0
	s_cbranch_vccnz .LBB119_4276
; %bb.4271:
	s_cmp_gt_i32 s60, 0
	s_mov_b32 s0, 0
	s_cbranch_scc0 .LBB119_4273
; %bb.4272:
	s_wait_loadcnt 0x0
	global_load_i8 v30, v[34:35], off
	s_branch .LBB119_4274
.LBB119_4273:
	s_mov_b32 s0, -1
                                        ; implicit-def: $vgpr30
.LBB119_4274:
	s_delay_alu instid0(SALU_CYCLE_1)
	s_and_not1_b32 vcc_lo, exec_lo, s0
	s_cbranch_vccnz .LBB119_4276
; %bb.4275:
	s_wait_loadcnt 0x0
	global_load_u8 v30, v[34:35], off
.LBB119_4276:
	s_mov_b32 s9, -1
.LBB119_4277:
	s_delay_alu instid0(SALU_CYCLE_1)
	s_and_not1_b32 vcc_lo, exec_lo, s9
	s_cbranch_vccnz .LBB119_4414
; %bb.4278:
	v_mov_b32_e32 v29, 0
	s_and_b32 s61, 0xffff, s51
	s_delay_alu instid0(SALU_CYCLE_1) | instskip(NEXT) | instid1(VALU_DEP_1)
	s_cmp_lt_i32 s61, 11
	v_add_nc_u64_e32 v[28:29], s[18:19], v[28:29]
	s_cbranch_scc1 .LBB119_4285
; %bb.4279:
	s_cmp_gt_i32 s61, 25
	s_mov_b32 s1, 0
	s_cbranch_scc0 .LBB119_4286
; %bb.4280:
	s_cmp_gt_i32 s61, 28
	s_cbranch_scc0 .LBB119_4287
; %bb.4281:
	s_cmp_gt_i32 s61, 43
	;; [unrolled: 3-line block ×3, first 2 shown]
	s_cbranch_scc0 .LBB119_4290
; %bb.4283:
	s_cmp_eq_u32 s61, 46
	s_mov_b32 s24, 0
	s_cbranch_scc0 .LBB119_4292
; %bb.4284:
	global_load_b32 v11, v[28:29], off
	s_mov_b32 s0, 0
	s_mov_b32 s9, -1
	s_wait_loadcnt 0x0
	v_lshlrev_b32_e32 v11, 16, v11
	s_wait_xcnt 0x1
	s_delay_alu instid0(VALU_DEP_1)
	v_cvt_i32_f32_e32 v34, v11
	s_branch .LBB119_4294
.LBB119_4285:
	s_mov_b32 s0, -1
	s_mov_b32 s9, 0
                                        ; implicit-def: $vgpr34
	s_branch .LBB119_4356
.LBB119_4286:
	s_mov_b32 s24, -1
	s_mov_b32 s9, 0
	s_mov_b32 s0, 0
                                        ; implicit-def: $vgpr34
	s_branch .LBB119_4321
.LBB119_4287:
	s_mov_b32 s24, -1
	s_mov_b32 s9, 0
	s_mov_b32 s0, 0
                                        ; implicit-def: $vgpr34
	s_branch .LBB119_4304
.LBB119_4288:
	s_mov_b32 s24, -1
	s_mov_b32 s9, 0
	s_mov_b32 s0, 0
                                        ; implicit-def: $vgpr34
	s_branch .LBB119_4299
.LBB119_4289:
	s_or_b32 s46, s46, exec_lo
	s_trap 2
	s_cbranch_execz .LBB119_4226
	s_branch .LBB119_4227
.LBB119_4290:
	s_mov_b32 s24, -1
	s_mov_b32 s9, 0
	s_mov_b32 s0, 0
	s_branch .LBB119_4293
.LBB119_4291:
	s_or_b32 exec_lo, exec_lo, s21
	s_branch .LBB119_2085
.LBB119_4292:
	s_mov_b32 s0, -1
	s_mov_b32 s9, 0
.LBB119_4293:
                                        ; implicit-def: $vgpr34
.LBB119_4294:
	s_and_b32 vcc_lo, exec_lo, s24
	s_cbranch_vccz .LBB119_4298
; %bb.4295:
	s_cmp_eq_u32 s61, 44
	s_cbranch_scc0 .LBB119_4297
; %bb.4296:
	global_load_u8 v11, v[28:29], off
	s_mov_b32 s0, 0
	s_mov_b32 s9, -1
	s_wait_loadcnt 0x0
	v_lshlrev_b32_e32 v13, 23, v11
	v_cmp_ne_u32_e32 vcc_lo, 0, v11
	s_delay_alu instid0(VALU_DEP_2) | instskip(SKIP_1) | instid1(VALU_DEP_1)
	v_cvt_i32_f32_e32 v13, v13
	s_wait_xcnt 0x1
	v_cndmask_b32_e32 v34, 0, v13, vcc_lo
	s_branch .LBB119_4298
.LBB119_4297:
	s_mov_b32 s0, -1
                                        ; implicit-def: $vgpr34
.LBB119_4298:
	s_mov_b32 s24, 0
.LBB119_4299:
	s_delay_alu instid0(SALU_CYCLE_1)
	s_and_b32 vcc_lo, exec_lo, s24
	s_cbranch_vccz .LBB119_4303
; %bb.4300:
	s_cmp_eq_u32 s61, 29
	s_cbranch_scc0 .LBB119_4302
; %bb.4301:
	global_load_b32 v34, v[28:29], off
	s_mov_b32 s0, 0
	s_mov_b32 s9, -1
	s_branch .LBB119_4303
.LBB119_4302:
	s_mov_b32 s0, -1
                                        ; implicit-def: $vgpr34
.LBB119_4303:
	s_mov_b32 s24, 0
.LBB119_4304:
	s_delay_alu instid0(SALU_CYCLE_1)
	s_and_b32 vcc_lo, exec_lo, s24
	s_cbranch_vccz .LBB119_4320
; %bb.4305:
	s_cmp_lt_i32 s61, 27
	s_cbranch_scc1 .LBB119_4308
; %bb.4306:
	s_cmp_gt_i32 s61, 27
	s_cbranch_scc0 .LBB119_4309
; %bb.4307:
	s_wait_loadcnt 0x0
	global_load_b32 v34, v[28:29], off
	s_mov_b32 s9, 0
	s_branch .LBB119_4310
.LBB119_4308:
	s_mov_b32 s9, -1
                                        ; implicit-def: $vgpr34
	s_branch .LBB119_4313
.LBB119_4309:
	s_mov_b32 s9, -1
                                        ; implicit-def: $vgpr34
.LBB119_4310:
	s_delay_alu instid0(SALU_CYCLE_1)
	s_and_not1_b32 vcc_lo, exec_lo, s9
	s_cbranch_vccnz .LBB119_4312
; %bb.4311:
	s_wait_loadcnt 0x0
	global_load_u16 v34, v[28:29], off
.LBB119_4312:
	s_mov_b32 s9, 0
.LBB119_4313:
	s_delay_alu instid0(SALU_CYCLE_1)
	s_and_not1_b32 vcc_lo, exec_lo, s9
	s_cbranch_vccnz .LBB119_4319
; %bb.4314:
	global_load_u8 v11, v[28:29], off
	s_mov_b32 s24, 0
	s_mov_b32 s9, exec_lo
	s_wait_loadcnt 0x0
	v_cmpx_lt_i16_e32 0x7f, v11
	s_xor_b32 s9, exec_lo, s9
	s_cbranch_execz .LBB119_4331
; %bb.4315:
	v_cmp_ne_u16_e32 vcc_lo, 0x80, v11
	s_and_b32 s24, vcc_lo, exec_lo
	s_and_not1_saveexec_b32 s9, s9
	s_cbranch_execnz .LBB119_4332
.LBB119_4316:
	s_or_b32 exec_lo, exec_lo, s9
	v_mov_b32_e32 v34, 0
	s_and_saveexec_b32 s9, s24
	s_cbranch_execz .LBB119_4318
.LBB119_4317:
	v_and_b32_e32 v13, 0xffff, v11
	s_delay_alu instid0(VALU_DEP_1) | instskip(SKIP_1) | instid1(VALU_DEP_2)
	v_dual_lshlrev_b32 v11, 24, v11 :: v_dual_bitop2_b32 v15, 7, v13 bitop3:0x40
	v_bfe_u32 v21, v13, 3, 4
	v_and_b32_e32 v11, 0x80000000, v11
	s_delay_alu instid0(VALU_DEP_3) | instskip(NEXT) | instid1(VALU_DEP_3)
	v_clz_i32_u32_e32 v17, v15
	v_cmp_eq_u32_e32 vcc_lo, 0, v21
	s_delay_alu instid0(VALU_DEP_2) | instskip(NEXT) | instid1(VALU_DEP_1)
	v_min_u32_e32 v17, 32, v17
	v_subrev_nc_u32_e32 v19, 28, v17
	v_sub_nc_u32_e32 v17, 29, v17
	s_delay_alu instid0(VALU_DEP_2) | instskip(NEXT) | instid1(VALU_DEP_2)
	v_lshlrev_b32_e32 v13, v19, v13
	v_cndmask_b32_e32 v17, v21, v17, vcc_lo
	s_delay_alu instid0(VALU_DEP_2) | instskip(NEXT) | instid1(VALU_DEP_1)
	v_and_b32_e32 v13, 7, v13
	v_cndmask_b32_e32 v13, v15, v13, vcc_lo
	s_delay_alu instid0(VALU_DEP_3) | instskip(NEXT) | instid1(VALU_DEP_2)
	v_lshl_add_u32 v15, v17, 23, 0x3b800000
	v_lshlrev_b32_e32 v13, 20, v13
	s_delay_alu instid0(VALU_DEP_1) | instskip(NEXT) | instid1(VALU_DEP_1)
	v_or3_b32 v11, v11, v15, v13
	v_cvt_i32_f32_e32 v34, v11
.LBB119_4318:
	s_or_b32 exec_lo, exec_lo, s9
.LBB119_4319:
	s_mov_b32 s9, -1
.LBB119_4320:
	s_mov_b32 s24, 0
.LBB119_4321:
	s_delay_alu instid0(SALU_CYCLE_1)
	s_and_b32 vcc_lo, exec_lo, s24
	s_cbranch_vccz .LBB119_4352
; %bb.4322:
	s_cmp_gt_i32 s61, 22
	s_cbranch_scc0 .LBB119_4330
; %bb.4323:
	s_cmp_lt_i32 s61, 24
	s_cbranch_scc1 .LBB119_4333
; %bb.4324:
	s_cmp_gt_i32 s61, 24
	s_cbranch_scc0 .LBB119_4334
; %bb.4325:
	global_load_u8 v11, v[28:29], off
	s_mov_b32 s9, 0
	s_mov_b32 s1, exec_lo
	s_wait_loadcnt 0x0
	v_cmpx_lt_i16_e32 0x7f, v11
	s_xor_b32 s1, exec_lo, s1
	s_cbranch_execz .LBB119_4346
; %bb.4326:
	v_cmp_ne_u16_e32 vcc_lo, 0x80, v11
	s_and_b32 s9, vcc_lo, exec_lo
	s_and_not1_saveexec_b32 s1, s1
	s_cbranch_execnz .LBB119_4347
.LBB119_4327:
	s_or_b32 exec_lo, exec_lo, s1
	v_mov_b32_e32 v34, 0
	s_and_saveexec_b32 s1, s9
	s_cbranch_execz .LBB119_4329
.LBB119_4328:
	v_and_b32_e32 v13, 0xffff, v11
	s_delay_alu instid0(VALU_DEP_1) | instskip(SKIP_1) | instid1(VALU_DEP_2)
	v_dual_lshlrev_b32 v11, 24, v11 :: v_dual_bitop2_b32 v15, 3, v13 bitop3:0x40
	v_bfe_u32 v21, v13, 2, 5
	v_and_b32_e32 v11, 0x80000000, v11
	s_delay_alu instid0(VALU_DEP_3) | instskip(NEXT) | instid1(VALU_DEP_3)
	v_clz_i32_u32_e32 v17, v15
	v_cmp_eq_u32_e32 vcc_lo, 0, v21
	s_delay_alu instid0(VALU_DEP_2) | instskip(NEXT) | instid1(VALU_DEP_1)
	v_min_u32_e32 v17, 32, v17
	v_subrev_nc_u32_e32 v19, 29, v17
	v_sub_nc_u32_e32 v17, 30, v17
	s_delay_alu instid0(VALU_DEP_2) | instskip(NEXT) | instid1(VALU_DEP_2)
	v_lshlrev_b32_e32 v13, v19, v13
	v_cndmask_b32_e32 v17, v21, v17, vcc_lo
	s_delay_alu instid0(VALU_DEP_2) | instskip(NEXT) | instid1(VALU_DEP_1)
	v_and_b32_e32 v13, 3, v13
	v_cndmask_b32_e32 v13, v15, v13, vcc_lo
	s_delay_alu instid0(VALU_DEP_3) | instskip(NEXT) | instid1(VALU_DEP_2)
	v_lshl_add_u32 v15, v17, 23, 0x37800000
	v_lshlrev_b32_e32 v13, 21, v13
	s_delay_alu instid0(VALU_DEP_1) | instskip(NEXT) | instid1(VALU_DEP_1)
	v_or3_b32 v11, v11, v15, v13
	v_cvt_i32_f32_e32 v34, v11
.LBB119_4329:
	s_or_b32 exec_lo, exec_lo, s1
	s_mov_b32 s1, 0
	s_branch .LBB119_4335
.LBB119_4330:
	s_mov_b32 s1, -1
                                        ; implicit-def: $vgpr34
	s_branch .LBB119_4341
.LBB119_4331:
	s_and_not1_saveexec_b32 s9, s9
	s_cbranch_execz .LBB119_4316
.LBB119_4332:
	v_cmp_ne_u16_e32 vcc_lo, 0, v11
	s_and_not1_b32 s24, s24, exec_lo
	s_and_b32 s25, vcc_lo, exec_lo
	s_delay_alu instid0(SALU_CYCLE_1)
	s_or_b32 s24, s24, s25
	s_or_b32 exec_lo, exec_lo, s9
	v_mov_b32_e32 v34, 0
	s_and_saveexec_b32 s9, s24
	s_cbranch_execnz .LBB119_4317
	s_branch .LBB119_4318
.LBB119_4333:
	s_mov_b32 s1, -1
                                        ; implicit-def: $vgpr34
	s_branch .LBB119_4338
.LBB119_4334:
	s_mov_b32 s1, -1
                                        ; implicit-def: $vgpr34
.LBB119_4335:
	s_delay_alu instid0(SALU_CYCLE_1)
	s_and_b32 vcc_lo, exec_lo, s1
	s_cbranch_vccz .LBB119_4337
; %bb.4336:
	global_load_u8 v11, v[28:29], off
	s_wait_loadcnt 0x0
	v_lshlrev_b32_e32 v11, 24, v11
	s_delay_alu instid0(VALU_DEP_1) | instskip(NEXT) | instid1(VALU_DEP_1)
	v_and_b32_e32 v13, 0x7f000000, v11
	v_clz_i32_u32_e32 v15, v13
	v_add_nc_u32_e32 v19, 0x1000000, v13
	v_cmp_ne_u32_e32 vcc_lo, 0, v13
	s_delay_alu instid0(VALU_DEP_3) | instskip(NEXT) | instid1(VALU_DEP_1)
	v_min_u32_e32 v15, 32, v15
	v_sub_nc_u32_e64 v15, v15, 4 clamp
	s_delay_alu instid0(VALU_DEP_1) | instskip(NEXT) | instid1(VALU_DEP_1)
	v_dual_lshlrev_b32 v17, v15, v13 :: v_dual_lshlrev_b32 v15, 23, v15
	v_lshrrev_b32_e32 v17, 4, v17
	s_delay_alu instid0(VALU_DEP_1) | instskip(SKIP_1) | instid1(VALU_DEP_2)
	v_sub_nc_u32_e32 v15, v17, v15
	v_ashrrev_i32_e32 v17, 8, v19
	v_add_nc_u32_e32 v15, 0x3c000000, v15
	s_delay_alu instid0(VALU_DEP_1) | instskip(NEXT) | instid1(VALU_DEP_1)
	v_and_or_b32 v15, 0x7f800000, v17, v15
	v_cndmask_b32_e32 v13, 0, v15, vcc_lo
	s_delay_alu instid0(VALU_DEP_1) | instskip(SKIP_1) | instid1(VALU_DEP_1)
	v_and_or_b32 v11, 0x80000000, v11, v13
	s_wait_xcnt 0x1
	v_cvt_i32_f32_e32 v34, v11
.LBB119_4337:
	s_mov_b32 s1, 0
.LBB119_4338:
	s_delay_alu instid0(SALU_CYCLE_1)
	s_and_not1_b32 vcc_lo, exec_lo, s1
	s_cbranch_vccnz .LBB119_4340
; %bb.4339:
	global_load_u8 v11, v[28:29], off
	s_wait_loadcnt 0x0
	v_lshlrev_b32_e32 v13, 25, v11
	v_lshlrev_b16 v11, 8, v11
	s_delay_alu instid0(VALU_DEP_1) | instskip(SKIP_1) | instid1(VALU_DEP_2)
	v_and_or_b32 v17, 0x7f00, v11, 0.5
	v_bfe_i32 v11, v11, 0, 16
	v_add_f32_e32 v17, -0.5, v17
	v_lshrrev_b32_e32 v15, 4, v13
	v_cmp_gt_u32_e32 vcc_lo, 0x8000000, v13
	s_delay_alu instid0(VALU_DEP_2) | instskip(NEXT) | instid1(VALU_DEP_1)
	v_or_b32_e32 v15, 0x70000000, v15
	v_mul_f32_e32 v15, 0x7800000, v15
	s_delay_alu instid0(VALU_DEP_1) | instskip(NEXT) | instid1(VALU_DEP_1)
	v_cndmask_b32_e32 v13, v15, v17, vcc_lo
	v_and_or_b32 v11, 0x80000000, v11, v13
	s_wait_xcnt 0x1
	s_delay_alu instid0(VALU_DEP_1)
	v_cvt_i32_f32_e32 v34, v11
.LBB119_4340:
	s_mov_b32 s1, 0
	s_mov_b32 s9, -1
.LBB119_4341:
	s_and_not1_b32 vcc_lo, exec_lo, s1
	s_mov_b32 s1, 0
	s_cbranch_vccnz .LBB119_4352
; %bb.4342:
	s_cmp_gt_i32 s61, 14
	s_cbranch_scc0 .LBB119_4345
; %bb.4343:
	s_cmp_eq_u32 s61, 15
	s_cbranch_scc0 .LBB119_4348
; %bb.4344:
	global_load_u16 v11, v[28:29], off
	s_mov_b32 s0, 0
	s_mov_b32 s9, -1
	s_wait_loadcnt 0x0
	v_lshlrev_b32_e32 v11, 16, v11
	s_wait_xcnt 0x1
	s_delay_alu instid0(VALU_DEP_1)
	v_cvt_i32_f32_e32 v34, v11
	s_branch .LBB119_4350
.LBB119_4345:
	s_mov_b32 s1, -1
	s_branch .LBB119_4349
.LBB119_4346:
	s_and_not1_saveexec_b32 s1, s1
	s_cbranch_execz .LBB119_4327
.LBB119_4347:
	v_cmp_ne_u16_e32 vcc_lo, 0, v11
	s_and_not1_b32 s9, s9, exec_lo
	s_and_b32 s24, vcc_lo, exec_lo
	s_delay_alu instid0(SALU_CYCLE_1)
	s_or_b32 s9, s9, s24
	s_or_b32 exec_lo, exec_lo, s1
	v_mov_b32_e32 v34, 0
	s_and_saveexec_b32 s1, s9
	s_cbranch_execnz .LBB119_4328
	s_branch .LBB119_4329
.LBB119_4348:
	s_mov_b32 s0, -1
.LBB119_4349:
                                        ; implicit-def: $vgpr34
.LBB119_4350:
	s_and_b32 vcc_lo, exec_lo, s1
	s_mov_b32 s1, 0
	s_cbranch_vccz .LBB119_4352
; %bb.4351:
	s_cmp_lg_u32 s61, 11
	s_mov_b32 s1, -1
	s_cselect_b32 s0, -1, 0
.LBB119_4352:
	s_delay_alu instid0(SALU_CYCLE_1)
	s_and_b32 vcc_lo, exec_lo, s0
	s_cbranch_vccnz .LBB119_4440
; %bb.4353:
	s_and_not1_b32 vcc_lo, exec_lo, s1
	s_cbranch_vccnz .LBB119_4355
.LBB119_4354:
	global_load_u8 v11, v[28:29], off
	s_mov_b32 s9, -1
	s_wait_loadcnt 0x0
	v_cmp_ne_u16_e32 vcc_lo, 0, v11
	s_wait_xcnt 0x1
	v_cndmask_b32_e64 v34, 0, 1, vcc_lo
.LBB119_4355:
	s_mov_b32 s0, 0
.LBB119_4356:
	s_delay_alu instid0(SALU_CYCLE_1)
	s_and_b32 vcc_lo, exec_lo, s0
	s_cbranch_vccz .LBB119_4405
; %bb.4357:
	s_cmp_lt_i32 s61, 5
	s_cbranch_scc1 .LBB119_4362
; %bb.4358:
	s_cmp_lt_i32 s61, 8
	s_cbranch_scc1 .LBB119_4363
	;; [unrolled: 3-line block ×3, first 2 shown]
; %bb.4360:
	s_cmp_gt_i32 s61, 9
	s_cbranch_scc0 .LBB119_4365
; %bb.4361:
	s_wait_loadcnt 0x0
	global_load_b64 v[34:35], v[28:29], off
	s_mov_b32 s0, 0
	s_wait_loadcnt 0x0
	v_cvt_i32_f64_e32 v34, v[34:35]
	s_branch .LBB119_4366
.LBB119_4362:
	s_mov_b32 s0, -1
                                        ; implicit-def: $vgpr34
	s_branch .LBB119_4384
.LBB119_4363:
	s_mov_b32 s0, -1
                                        ; implicit-def: $vgpr34
	s_branch .LBB119_4372
.LBB119_4364:
	s_mov_b32 s0, -1
                                        ; implicit-def: $vgpr34
	s_branch .LBB119_4369
.LBB119_4365:
	s_mov_b32 s0, -1
                                        ; implicit-def: $vgpr34
.LBB119_4366:
	s_delay_alu instid0(SALU_CYCLE_1)
	s_and_not1_b32 vcc_lo, exec_lo, s0
	s_cbranch_vccnz .LBB119_4368
; %bb.4367:
	global_load_b32 v11, v[28:29], off
	s_wait_loadcnt 0x0
	s_wait_xcnt 0x1
	v_cvt_i32_f32_e32 v34, v11
.LBB119_4368:
	s_mov_b32 s0, 0
.LBB119_4369:
	s_delay_alu instid0(SALU_CYCLE_1)
	s_and_not1_b32 vcc_lo, exec_lo, s0
	s_cbranch_vccnz .LBB119_4371
; %bb.4370:
	global_load_b32 v11, v[28:29], off
	s_wait_loadcnt 0x0
	v_cvt_f32_f16_e32 v11, v11
	s_wait_xcnt 0x1
	s_delay_alu instid0(VALU_DEP_1)
	v_cvt_i32_f32_e32 v34, v11
.LBB119_4371:
	s_mov_b32 s0, 0
.LBB119_4372:
	s_delay_alu instid0(SALU_CYCLE_1)
	s_and_not1_b32 vcc_lo, exec_lo, s0
	s_cbranch_vccnz .LBB119_4383
; %bb.4373:
	s_cmp_lt_i32 s61, 6
	s_cbranch_scc1 .LBB119_4376
; %bb.4374:
	s_cmp_gt_i32 s61, 6
	s_cbranch_scc0 .LBB119_4377
; %bb.4375:
	s_wait_loadcnt 0x0
	global_load_b64 v[34:35], v[28:29], off
	s_mov_b32 s0, 0
	s_wait_loadcnt 0x0
	v_cvt_i32_f64_e32 v34, v[34:35]
	s_branch .LBB119_4378
.LBB119_4376:
	s_mov_b32 s0, -1
                                        ; implicit-def: $vgpr34
	s_branch .LBB119_4381
.LBB119_4377:
	s_mov_b32 s0, -1
                                        ; implicit-def: $vgpr34
.LBB119_4378:
	s_delay_alu instid0(SALU_CYCLE_1)
	s_and_not1_b32 vcc_lo, exec_lo, s0
	s_cbranch_vccnz .LBB119_4380
; %bb.4379:
	global_load_b32 v11, v[28:29], off
	s_wait_loadcnt 0x0
	s_wait_xcnt 0x1
	v_cvt_i32_f32_e32 v34, v11
.LBB119_4380:
	s_mov_b32 s0, 0
.LBB119_4381:
	s_delay_alu instid0(SALU_CYCLE_1)
	s_and_not1_b32 vcc_lo, exec_lo, s0
	s_cbranch_vccnz .LBB119_4383
; %bb.4382:
	global_load_u16 v11, v[28:29], off
	s_wait_loadcnt 0x0
	v_cvt_f32_f16_e32 v11, v11
	s_wait_xcnt 0x1
	s_delay_alu instid0(VALU_DEP_1)
	v_cvt_i32_f32_e32 v34, v11
.LBB119_4383:
	s_mov_b32 s0, 0
.LBB119_4384:
	s_delay_alu instid0(SALU_CYCLE_1)
	s_and_not1_b32 vcc_lo, exec_lo, s0
	s_cbranch_vccnz .LBB119_4404
; %bb.4385:
	s_cmp_lt_i32 s61, 2
	s_cbranch_scc1 .LBB119_4389
; %bb.4386:
	s_cmp_lt_i32 s61, 3
	s_cbranch_scc1 .LBB119_4390
; %bb.4387:
	s_cmp_gt_i32 s61, 3
	s_cbranch_scc0 .LBB119_4391
; %bb.4388:
	s_wait_loadcnt 0x0
	global_load_b32 v34, v[28:29], off
	s_mov_b32 s0, 0
	s_branch .LBB119_4392
.LBB119_4389:
	s_mov_b32 s0, -1
                                        ; implicit-def: $vgpr34
	s_branch .LBB119_4398
.LBB119_4390:
	s_mov_b32 s0, -1
                                        ; implicit-def: $vgpr34
	s_branch .LBB119_4395
.LBB119_4391:
	s_mov_b32 s0, -1
                                        ; implicit-def: $vgpr34
.LBB119_4392:
	s_delay_alu instid0(SALU_CYCLE_1)
	s_and_not1_b32 vcc_lo, exec_lo, s0
	s_cbranch_vccnz .LBB119_4394
; %bb.4393:
	s_wait_loadcnt 0x0
	global_load_b32 v34, v[28:29], off
.LBB119_4394:
	s_mov_b32 s0, 0
.LBB119_4395:
	s_delay_alu instid0(SALU_CYCLE_1)
	s_and_not1_b32 vcc_lo, exec_lo, s0
	s_cbranch_vccnz .LBB119_4397
; %bb.4396:
	s_wait_loadcnt 0x0
	global_load_i16 v34, v[28:29], off
.LBB119_4397:
	s_mov_b32 s0, 0
.LBB119_4398:
	s_delay_alu instid0(SALU_CYCLE_1)
	s_and_not1_b32 vcc_lo, exec_lo, s0
	s_cbranch_vccnz .LBB119_4404
; %bb.4399:
	s_cmp_gt_i32 s61, 0
	s_mov_b32 s0, 0
	s_cbranch_scc0 .LBB119_4401
; %bb.4400:
	s_wait_loadcnt 0x0
	global_load_i8 v34, v[28:29], off
	s_branch .LBB119_4402
.LBB119_4401:
	s_mov_b32 s0, -1
                                        ; implicit-def: $vgpr34
.LBB119_4402:
	s_delay_alu instid0(SALU_CYCLE_1)
	s_and_not1_b32 vcc_lo, exec_lo, s0
	s_cbranch_vccnz .LBB119_4404
; %bb.4403:
	s_wait_loadcnt 0x0
	global_load_u8 v34, v[28:29], off
.LBB119_4404:
	s_mov_b32 s9, -1
.LBB119_4405:
	s_delay_alu instid0(SALU_CYCLE_1)
	s_and_not1_b32 vcc_lo, exec_lo, s9
	s_cbranch_vccnz .LBB119_4414
; %bb.4406:
	s_mov_b32 s0, exec_lo
	s_wait_loadcnt 0x0
	v_cmpx_ne_u32_e64 v7, v1
	s_xor_b32 s0, exec_lo, s0
	s_cbranch_execnz .LBB119_4574
.LBB119_4407:
	s_or_saveexec_b32 s49, s0
	s_mov_b32 s1, 0
	s_mov_b32 s9, 0
                                        ; implicit-def: $vgpr38_vgpr39
                                        ; implicit-def: $sgpr0
	s_xor_b32 exec_lo, exec_lo, s49
	s_cbranch_execz .LBB119_5085
; %bb.4408:
	s_mov_b32 s50, s46
	s_mov_b32 s0, exec_lo
	v_cmpx_ne_u32_e64 v9, v3
	s_xor_b32 s0, exec_lo, s0
	s_cbranch_execnz .LBB119_4702
; %bb.4409:
	s_or_saveexec_b32 s51, s0
                                        ; implicit-def: $vgpr38_vgpr39
                                        ; implicit-def: $sgpr0
	s_delay_alu instid0(SALU_CYCLE_1)
	s_xor_b32 exec_lo, exec_lo, s51
	s_cbranch_execz .LBB119_5084
.LBB119_4410:
	v_sub_nc_u32_e32 v7, v30, v32
	s_mov_b32 s52, s50
	s_delay_alu instid0(VALU_DEP_1) | instskip(SKIP_2) | instid1(SALU_CYCLE_1)
	v_cmp_gt_i32_e32 vcc_lo, v1, v7
	v_cmp_lt_i32_e64 s0, s20, v7
	s_or_b32 s0, vcc_lo, s0
	s_and_saveexec_b32 s1, s0
	s_delay_alu instid0(SALU_CYCLE_1)
	s_xor_b32 s0, exec_lo, s1
	s_cbranch_execnz .LBB119_4830
; %bb.4411:
	s_or_saveexec_b32 s53, s0
	s_mov_b32 s1, 0
                                        ; implicit-def: $vgpr38_vgpr39
                                        ; implicit-def: $sgpr0
	s_xor_b32 exec_lo, exec_lo, s53
	s_cbranch_execz .LBB119_5083
.LBB119_4412:
	v_cmp_ne_u32_e32 vcc_lo, 1, v5
	v_mov_b64_e32 v[28:29], 0
	s_cbranch_vccnz .LBB119_4425
; %bb.4413:
	v_dual_mov_b32 v36, 0 :: v_dual_ashrrev_i32 v35, 31, v34
	s_load_b128 s[28:31], s[2:3], 0x298
	v_mov_b64_e32 v[28:29], 0
	s_mov_b32 s9, s1
	s_delay_alu instid0(VALU_DEP_2)
	v_mul_u64_e32 v[34:35], s[10:11], v[34:35]
	s_lshl_b64 s[34:35], s[8:9], 3
	s_mov_b64 s[24:25], 0xffffffff
	s_mov_b32 s9, s47
	s_wait_kmcnt 0x0
	s_add_nc_u64 s[26:27], s[28:29], s[34:35]
	s_add_nc_u64 s[28:29], s[30:31], s[34:35]
	s_branch .LBB119_4421
.LBB119_4414:
	s_mov_b32 s1, 0
	s_mov_b32 s9, 0
                                        ; implicit-def: $vgpr38_vgpr39
                                        ; implicit-def: $sgpr0
.LBB119_4415:
	s_wait_xcnt 0x0
	s_and_not1_b32 s2, s44, exec_lo
	s_and_b32 s3, s46, exec_lo
	s_and_b32 s9, s9, exec_lo
	;; [unrolled: 1-line block ×3, first 2 shown]
	s_or_b32 s44, s2, s3
.LBB119_4416:
	s_or_b32 exec_lo, exec_lo, s45
	s_wait_xcnt 0x0
	s_and_not1_b32 s2, s21, exec_lo
	s_and_b32 s3, s44, exec_lo
	s_and_b32 s8, s9, exec_lo
	s_and_b32 s1, s1, exec_lo
	s_or_b32 s21, s2, s3
.LBB119_4417:
	s_or_b32 exec_lo, exec_lo, s43
	s_delay_alu instid0(SALU_CYCLE_1)
	s_and_not1_b32 s2, s41, exec_lo
	s_and_b32 s3, s21, exec_lo
	s_and_b32 s8, s8, exec_lo
	;; [unrolled: 1-line block ×3, first 2 shown]
	s_or_b32 s41, s2, s3
.LBB119_4418:
	s_or_b32 exec_lo, exec_lo, s42
	s_delay_alu instid0(SALU_CYCLE_1)
	s_and_not1_b32 s2, s33, exec_lo
	s_and_b32 s3, s41, exec_lo
	s_and_b32 s8, s8, exec_lo
	;; [unrolled: 1-line block ×3, first 2 shown]
	s_or_b32 s33, s2, s3
.LBB119_4419:
	s_or_b32 exec_lo, exec_lo, s40
	s_branch .LBB119_3531
.LBB119_4420:                           ;   in Loop: Header=BB119_4421 Depth=1
	s_or_b32 exec_lo, exec_lo, s0
	global_load_b64 v[40:41], v36, s[28:29]
	v_mul_u64_e32 v[42:43], s[30:31], v[38:39]
	s_add_co_i32 s9, s9, -1
	s_add_nc_u64 s[26:27], s[26:27], -8
	s_cmp_eq_u32 s9, 0
	s_wait_xcnt 0x0
	s_add_nc_u64 s[28:29], s[28:29], -8
	s_delay_alu instid0(VALU_DEP_1) | instskip(SKIP_1) | instid1(VALU_DEP_1)
	v_sub_nc_u64_e32 v[34:35], v[34:35], v[42:43]
	s_wait_loadcnt 0x0
	v_mad_nc_u64_u32 v[28:29], v34, v40, v[28:29]
	s_delay_alu instid0(VALU_DEP_1) | instskip(NEXT) | instid1(VALU_DEP_1)
	v_mad_u32 v7, v35, v40, v29
	v_mad_u32 v29, v34, v41, v7
	v_mov_b64_e32 v[34:35], v[38:39]
	s_cbranch_scc1 .LBB119_4425
.LBB119_4421:                           ; =>This Inner Loop Header: Depth=1
	global_load_b64 v[38:39], v36, s[26:27]
	s_mov_b32 s0, exec_lo
	s_wait_loadcnt 0x0
	v_or_b32_e32 v37, v35, v39
	v_readfirstlane_b32 s30, v38
	v_readfirstlane_b32 s31, v39
                                        ; implicit-def: $vgpr38_vgpr39
	s_wait_xcnt 0x0
	s_delay_alu instid0(VALU_DEP_3)
	v_cmpx_ne_u64_e32 0, v[36:37]
	s_xor_b32 s54, exec_lo, s0
	s_cbranch_execz .LBB119_4423
; %bb.4422:                             ;   in Loop: Header=BB119_4421 Depth=1
	s_ashr_i32 s34, s31, 31
	v_dual_mov_b32 v43, v36 :: v_dual_ashrrev_i32 v38, 31, v35
	s_mov_b32 s35, s34
	s_delay_alu instid0(SALU_CYCLE_1) | instskip(NEXT) | instid1(VALU_DEP_1)
	s_add_nc_u64 s[36:37], s[30:31], s[34:35]
	v_mov_b32_e32 v39, v38
	s_xor_b64 s[36:37], s[36:37], s[34:35]
	s_delay_alu instid0(SALU_CYCLE_1)
	s_cvt_f32_u32 s0, s36
	s_cvt_f32_u32 s35, s37
	s_sub_nc_u64 s[64:65], 0, s[36:37]
	v_add_nc_u64_e32 v[40:41], v[34:35], v[38:39]
	v_mov_b32_e32 v47, v36
	s_fmamk_f32 s0, s35, 0x4f800000, s0
	s_delay_alu instid0(SALU_CYCLE_3) | instskip(NEXT) | instid1(VALU_DEP_2)
	v_s_rcp_f32 s0, s0
	v_xor_b32_e32 v42, v40, v38
	s_delay_alu instid0(VALU_DEP_3) | instskip(NEXT) | instid1(TRANS32_DEP_1)
	v_dual_mov_b32 v51, v36 :: v_dual_bitop2_b32 v46, v41, v38 bitop3:0x14
	s_mul_f32 s0, s0, 0x5f7ffffc
	s_delay_alu instid0(SALU_CYCLE_3) | instskip(NEXT) | instid1(SALU_CYCLE_3)
	s_mul_f32 s35, s0, 0x2f800000
	s_trunc_f32 s35, s35
	s_delay_alu instid0(SALU_CYCLE_3) | instskip(SKIP_1) | instid1(SALU_CYCLE_2)
	s_fmamk_f32 s0, s35, 0xcf800000, s0
	s_cvt_u32_f32 s63, s35
	s_cvt_u32_f32 s62, s0
	s_delay_alu instid0(SALU_CYCLE_3) | instskip(NEXT) | instid1(SALU_CYCLE_1)
	s_mul_u64 s[66:67], s[64:65], s[62:63]
	s_mul_hi_u32 s69, s62, s67
	s_mul_i32 s68, s62, s67
	s_mul_hi_u32 s0, s62, s66
	s_mul_i32 s55, s63, s66
	s_add_nc_u64 s[68:69], s[0:1], s[68:69]
	s_mul_hi_u32 s35, s63, s66
	s_mul_hi_u32 s56, s63, s67
	s_add_co_u32 s0, s68, s55
	s_add_co_ci_u32 s0, s69, s35
	s_mul_i32 s66, s63, s67
	s_add_co_ci_u32 s67, s56, 0
	s_delay_alu instid0(SALU_CYCLE_1) | instskip(NEXT) | instid1(SALU_CYCLE_1)
	s_add_nc_u64 s[66:67], s[0:1], s[66:67]
	s_add_co_u32 s62, s62, s66
	s_cselect_b32 s0, -1, 0
	s_delay_alu instid0(SALU_CYCLE_1) | instskip(SKIP_1) | instid1(SALU_CYCLE_1)
	s_cmp_lg_u32 s0, 0
	s_add_co_ci_u32 s63, s63, s67
	s_mul_u64 s[64:65], s[64:65], s[62:63]
	s_delay_alu instid0(SALU_CYCLE_1)
	s_mul_hi_u32 s67, s62, s65
	s_mul_i32 s66, s62, s65
	s_mul_hi_u32 s0, s62, s64
	s_mul_i32 s55, s63, s64
	s_add_nc_u64 s[66:67], s[0:1], s[66:67]
	s_mul_hi_u32 s35, s63, s64
	s_mul_hi_u32 s56, s63, s65
	s_add_co_u32 s0, s66, s55
	s_add_co_ci_u32 s0, s67, s35
	s_mul_i32 s64, s63, s65
	s_add_co_ci_u32 s65, s56, 0
	s_delay_alu instid0(SALU_CYCLE_1) | instskip(NEXT) | instid1(SALU_CYCLE_1)
	s_add_nc_u64 s[64:65], s[0:1], s[64:65]
	s_add_co_u32 s56, s62, s64
	s_cselect_b32 s0, -1, 0
	v_mul_hi_u32 v50, v42, s56
	s_cmp_lg_u32 s0, 0
	s_add_co_ci_u32 s0, s63, s65
	s_and_b64 s[62:63], s[56:57], s[24:25]
	v_mul_u64_e32 v[44:45], s[0:1], v[42:43]
	v_mul_u64_e32 v[40:41], s[62:63], v[46:47]
	v_mul_u64_e32 v[48:49], s[0:1], v[46:47]
	s_delay_alu instid0(VALU_DEP_3) | instskip(NEXT) | instid1(VALU_DEP_1)
	v_add_nc_u64_e32 v[44:45], v[50:51], v[44:45]
	v_add_co_u32 v7, vcc_lo, v44, v40
	s_delay_alu instid0(VALU_DEP_2) | instskip(NEXT) | instid1(VALU_DEP_4)
	v_add_co_ci_u32_e32 v50, vcc_lo, v45, v41, vcc_lo
	v_add_co_ci_u32_e32 v49, vcc_lo, 0, v49, vcc_lo
	s_delay_alu instid0(VALU_DEP_1) | instskip(NEXT) | instid1(VALU_DEP_1)
	v_add_nc_u64_e32 v[40:41], v[50:51], v[48:49]
	v_mul_u64_e32 v[44:45], s[36:37], v[40:41]
	s_delay_alu instid0(VALU_DEP_1) | instskip(NEXT) | instid1(VALU_DEP_2)
	v_sub_nc_u32_e32 v7, v46, v45
	v_sub_co_u32 v9, vcc_lo, v42, v44
	s_delay_alu instid0(VALU_DEP_1) | instskip(NEXT) | instid1(VALU_DEP_3)
	v_sub_co_ci_u32_e64 v13, null, v46, v45, vcc_lo
	v_subrev_co_ci_u32_e64 v7, null, s37, v7, vcc_lo
	s_delay_alu instid0(VALU_DEP_3) | instskip(SKIP_1) | instid1(VALU_DEP_3)
	v_sub_co_u32 v11, s0, v9, s36
	v_add_nc_u64_e32 v[42:43], 2, v[40:41]
	v_subrev_co_ci_u32_e64 v7, null, 0, v7, s0
	s_delay_alu instid0(VALU_DEP_3) | instskip(SKIP_2) | instid1(VALU_DEP_4)
	v_cmp_le_u32_e32 vcc_lo, s36, v11
	v_add_nc_u64_e32 v[44:45], 1, v[40:41]
	v_cndmask_b32_e64 v11, 0, -1, vcc_lo
	v_cmp_le_u32_e32 vcc_lo, s37, v7
	v_cndmask_b32_e64 v15, 0, -1, vcc_lo
	v_cmp_le_u32_e32 vcc_lo, s36, v9
	;; [unrolled: 2-line block ×3, first 2 shown]
	v_cndmask_b32_e64 v17, 0, -1, vcc_lo
	v_cmp_eq_u32_e32 vcc_lo, s37, v7
	v_cndmask_b32_e32 v7, v15, v11, vcc_lo
	v_cmp_eq_u32_e32 vcc_lo, s37, v13
	s_delay_alu instid0(VALU_DEP_4) | instskip(NEXT) | instid1(VALU_DEP_3)
	v_cndmask_b32_e32 v9, v17, v9, vcc_lo
	v_cmp_ne_u32_e32 vcc_lo, 0, v7
	s_delay_alu instid0(VALU_DEP_2) | instskip(SKIP_1) | instid1(VALU_DEP_1)
	v_cmp_ne_u32_e64 s0, 0, v9
	v_dual_cndmask_b32 v7, v45, v43, vcc_lo :: v_dual_cndmask_b32 v9, v44, v42, vcc_lo
	v_dual_cndmask_b32 v7, v41, v7, s0 :: v_dual_bitop2_b32 v38, s34, v38 bitop3:0x14
	s_delay_alu instid0(VALU_DEP_1) | instskip(NEXT) | instid1(VALU_DEP_2)
	v_dual_cndmask_b32 v9, v40, v9, s0 :: v_dual_mov_b32 v39, v38
	v_xor_b32_e32 v41, v7, v38
	s_delay_alu instid0(VALU_DEP_2) | instskip(NEXT) | instid1(VALU_DEP_1)
	v_xor_b32_e32 v40, v9, v38
	v_sub_nc_u64_e32 v[38:39], v[40:41], v[38:39]
.LBB119_4423:                           ;   in Loop: Header=BB119_4421 Depth=1
	s_and_not1_saveexec_b32 s0, s54
	s_cbranch_execz .LBB119_4420
; %bb.4424:                             ;   in Loop: Header=BB119_4421 Depth=1
	v_cvt_f32_u32_e32 v7, s30
	s_sub_co_i32 s34, 0, s30
	v_mov_b32_e32 v39, v36
	s_delay_alu instid0(VALU_DEP_2) | instskip(SKIP_1) | instid1(TRANS32_DEP_1)
	v_rcp_iflag_f32_e32 v7, v7
	v_nop
	v_mul_f32_e32 v7, 0x4f7ffffe, v7
	s_delay_alu instid0(VALU_DEP_1) | instskip(NEXT) | instid1(VALU_DEP_1)
	v_cvt_u32_f32_e32 v7, v7
	v_mul_lo_u32 v9, s34, v7
	s_delay_alu instid0(VALU_DEP_1) | instskip(NEXT) | instid1(VALU_DEP_1)
	v_mul_hi_u32 v9, v7, v9
	v_add_nc_u32_e32 v7, v7, v9
	s_delay_alu instid0(VALU_DEP_1) | instskip(NEXT) | instid1(VALU_DEP_1)
	v_mul_hi_u32 v7, v34, v7
	v_mul_lo_u32 v9, v7, s30
	s_delay_alu instid0(VALU_DEP_1) | instskip(NEXT) | instid1(VALU_DEP_1)
	v_sub_nc_u32_e32 v9, v34, v9
	v_subrev_nc_u32_e32 v13, s30, v9
	v_cmp_le_u32_e32 vcc_lo, s30, v9
	s_delay_alu instid0(VALU_DEP_2) | instskip(NEXT) | instid1(VALU_DEP_1)
	v_dual_add_nc_u32 v11, 1, v7 :: v_dual_cndmask_b32 v9, v9, v13, vcc_lo
	v_cndmask_b32_e32 v7, v7, v11, vcc_lo
	s_delay_alu instid0(VALU_DEP_2) | instskip(NEXT) | instid1(VALU_DEP_2)
	v_cmp_le_u32_e32 vcc_lo, s30, v9
	v_add_nc_u32_e32 v11, 1, v7
	s_delay_alu instid0(VALU_DEP_1)
	v_cndmask_b32_e32 v38, v7, v11, vcc_lo
	s_branch .LBB119_4420
.LBB119_4425:
	s_mov_b32 s24, -1
	s_mov_b32 s54, s52
	s_mov_b32 s0, exec_lo
	v_cmpx_gt_i32_e64 v30, v32
	s_cbranch_execz .LBB119_4432
; %bb.4426:
	s_delay_alu instid0(VALU_DEP_2) | instskip(SKIP_3) | instid1(VALU_DEP_1)
	v_lshlrev_b64_e32 v[28:29], 2, v[28:29]
	v_dual_ashrrev_i32 v33, 31, v32 :: v_dual_ashrrev_i32 v31, 31, v30
	s_mov_b32 s9, 0
	s_xor_b32 s24, s48, -1
                                        ; implicit-def: $sgpr1
                                        ; implicit-def: $sgpr26
                                        ; implicit-def: $sgpr25
	v_lshl_add_u64 v[32:33], v[32:33], 2, v[28:29]
	s_wait_kmcnt 0x0
	v_add_nc_u64_e32 v[34:35], s[22:23], v[28:29]
	s_delay_alu instid0(VALU_DEP_2) | instskip(NEXT) | instid1(VALU_DEP_2)
	v_add_nc_u64_e32 v[32:33], s[22:23], v[32:33]
	v_lshl_add_u64 v[30:31], v[30:31], 2, v[34:35]
	s_delay_alu instid0(VALU_DEP_2)
	v_add_nc_u64_e32 v[28:29], 4, v[32:33]
	s_branch .LBB119_4428
.LBB119_4427:                           ;   in Loop: Header=BB119_4428 Depth=1
	s_or_b32 exec_lo, exec_lo, s27
	s_xor_b32 s27, s25, -1
	s_and_b32 s28, exec_lo, s26
	s_delay_alu instid0(SALU_CYCLE_1) | instskip(SKIP_2) | instid1(SALU_CYCLE_1)
	s_or_b32 s9, s28, s9
	s_and_not1_b32 s1, s1, exec_lo
	s_and_b32 s27, s27, exec_lo
	s_or_b32 s1, s1, s27
	s_and_not1_b32 exec_lo, exec_lo, s9
	s_cbranch_execz .LBB119_4430
.LBB119_4428:                           ; =>This Inner Loop Header: Depth=1
	s_or_b32 s25, s25, exec_lo
	s_or_b32 s26, s26, exec_lo
	s_mov_b32 s27, exec_lo
	s_delay_alu instid0(VALU_DEP_1)
	v_cmpx_lt_u64_e64 v[28:29], v[30:31]
	s_cbranch_execz .LBB119_4427
; %bb.4429:                             ;   in Loop: Header=BB119_4428 Depth=1
	global_load_b64 v[32:33], v[28:29], off offset:-4
	s_wait_xcnt 0x0
	v_add_nc_u64_e32 v[28:29], 4, v[28:29]
	s_and_not1_b32 s26, s26, exec_lo
	s_and_not1_b32 s25, s25, exec_lo
	s_wait_loadcnt 0x0
	v_cmp_ge_i32_e32 vcc_lo, v32, v33
	s_or_b32 s28, s24, vcc_lo
	s_delay_alu instid0(SALU_CYCLE_1) | instskip(NEXT) | instid1(SALU_CYCLE_1)
	s_and_b32 s28, s28, exec_lo
	s_or_b32 s26, s26, s28
	s_branch .LBB119_4427
.LBB119_4430:
	s_or_b32 exec_lo, exec_lo, s9
	s_mov_b32 s9, -1
	s_mov_b32 s24, s52
	s_and_saveexec_b32 s25, s1
	s_delay_alu instid0(SALU_CYCLE_1)
	s_xor_b32 s1, exec_lo, s25
	s_cbranch_execnz .LBB119_4445
.LBB119_4431:
	s_or_b32 exec_lo, exec_lo, s1
	s_delay_alu instid0(SALU_CYCLE_1) | instskip(SKIP_1) | instid1(SALU_CYCLE_1)
	s_and_not1_b32 s1, s52, exec_lo
	s_and_b32 s24, s24, exec_lo
	s_or_b32 s54, s1, s24
	s_or_not1_b32 s24, s9, exec_lo
.LBB119_4432:
	s_or_b32 exec_lo, exec_lo, s0
	s_mov_b32 s1, 0
	s_mov_b32 s9, 0
                                        ; implicit-def: $vgpr38_vgpr39
                                        ; implicit-def: $sgpr0
	s_and_saveexec_b32 s55, s24
	s_cbranch_execz .LBB119_5082
; %bb.4433:
	v_mov_b32_e32 v27, 0
	s_cmp_lt_i32 s57, 11
	s_delay_alu instid0(VALU_DEP_1)
	v_add_nc_u64_e32 v[26:27], s[6:7], v[26:27]
	s_cbranch_scc1 .LBB119_4441
; %bb.4434:
	s_cmp_gt_i32 s57, 25
	s_cbranch_scc0 .LBB119_4442
; %bb.4435:
	s_cmp_gt_i32 s57, 28
	s_cbranch_scc0 .LBB119_4443
	;; [unrolled: 3-line block ×4, first 2 shown]
; %bb.4438:
	s_cmp_eq_u32 s57, 46
	s_mov_b32 s24, 0
	s_cbranch_scc0 .LBB119_4447
; %bb.4439:
	global_load_b32 v7, v[26:27], off
	s_mov_b32 s0, 0
	s_mov_b32 s9, -1
	s_wait_loadcnt 0x0
	v_lshlrev_b32_e32 v7, 16, v7
	s_delay_alu instid0(VALU_DEP_1)
	v_cvt_i32_f32_e32 v7, v7
	s_branch .LBB119_4449
.LBB119_4440:
	s_or_b32 s46, s46, exec_lo
	s_trap 2
	s_cbranch_execz .LBB119_4354
	s_branch .LBB119_4355
.LBB119_4441:
	s_mov_b32 s0, -1
	s_mov_b32 s56, s54
                                        ; implicit-def: $vgpr7
	s_branch .LBB119_4511
.LBB119_4442:
	s_mov_b32 s24, -1
	s_mov_b32 s0, 0
                                        ; implicit-def: $vgpr7
	s_branch .LBB119_4476
.LBB119_4443:
	s_mov_b32 s24, -1
	s_mov_b32 s0, 0
                                        ; implicit-def: $vgpr7
	s_branch .LBB119_4459
.LBB119_4444:
	s_mov_b32 s24, -1
	s_mov_b32 s0, 0
                                        ; implicit-def: $vgpr7
	s_branch .LBB119_4454
.LBB119_4445:
	s_or_b32 s24, s52, exec_lo
	s_xor_b32 s9, exec_lo, -1
	s_trap 2
	s_branch .LBB119_4431
.LBB119_4446:
	s_mov_b32 s24, -1
	s_mov_b32 s0, 0
	s_branch .LBB119_4448
.LBB119_4447:
	s_mov_b32 s0, -1
.LBB119_4448:
                                        ; implicit-def: $vgpr7
.LBB119_4449:
	s_and_b32 vcc_lo, exec_lo, s24
	s_cbranch_vccz .LBB119_4453
; %bb.4450:
	s_cmp_eq_u32 s57, 44
	s_cbranch_scc0 .LBB119_4452
; %bb.4451:
	global_load_u8 v7, v[26:27], off
	s_mov_b32 s0, 0
	s_mov_b32 s9, -1
	s_wait_loadcnt 0x0
	v_lshlrev_b32_e32 v9, 23, v7
	v_cmp_ne_u32_e32 vcc_lo, 0, v7
	s_delay_alu instid0(VALU_DEP_2) | instskip(NEXT) | instid1(VALU_DEP_1)
	v_cvt_i32_f32_e32 v9, v9
	v_cndmask_b32_e32 v7, 0, v9, vcc_lo
	s_branch .LBB119_4453
.LBB119_4452:
	s_mov_b32 s0, -1
                                        ; implicit-def: $vgpr7
.LBB119_4453:
	s_mov_b32 s24, 0
.LBB119_4454:
	s_delay_alu instid0(SALU_CYCLE_1)
	s_and_b32 vcc_lo, exec_lo, s24
	s_cbranch_vccz .LBB119_4458
; %bb.4455:
	s_cmp_eq_u32 s57, 29
	s_cbranch_scc0 .LBB119_4457
; %bb.4456:
	global_load_b32 v7, v[26:27], off
	s_mov_b32 s0, 0
	s_mov_b32 s9, -1
	s_branch .LBB119_4458
.LBB119_4457:
	s_mov_b32 s0, -1
                                        ; implicit-def: $vgpr7
.LBB119_4458:
	s_mov_b32 s24, 0
.LBB119_4459:
	s_delay_alu instid0(SALU_CYCLE_1)
	s_and_b32 vcc_lo, exec_lo, s24
	s_cbranch_vccz .LBB119_4475
; %bb.4460:
	s_cmp_lt_i32 s57, 27
	s_cbranch_scc1 .LBB119_4463
; %bb.4461:
	s_cmp_gt_i32 s57, 27
	s_cbranch_scc0 .LBB119_4464
; %bb.4462:
	s_wait_loadcnt 0x0
	global_load_b32 v7, v[26:27], off
	s_mov_b32 s9, 0
	s_branch .LBB119_4465
.LBB119_4463:
	s_mov_b32 s9, -1
                                        ; implicit-def: $vgpr7
	s_branch .LBB119_4468
.LBB119_4464:
	s_mov_b32 s9, -1
                                        ; implicit-def: $vgpr7
.LBB119_4465:
	s_delay_alu instid0(SALU_CYCLE_1)
	s_and_not1_b32 vcc_lo, exec_lo, s9
	s_cbranch_vccnz .LBB119_4467
; %bb.4466:
	s_wait_loadcnt 0x0
	global_load_u16 v7, v[26:27], off
.LBB119_4467:
	s_mov_b32 s9, 0
.LBB119_4468:
	s_delay_alu instid0(SALU_CYCLE_1)
	s_and_not1_b32 vcc_lo, exec_lo, s9
	s_cbranch_vccnz .LBB119_4474
; %bb.4469:
	global_load_u8 v9, v[26:27], off
	s_mov_b32 s24, 0
	s_mov_b32 s9, exec_lo
	s_wait_loadcnt 0x0
	v_cmpx_lt_i16_e32 0x7f, v9
	s_xor_b32 s9, exec_lo, s9
	s_cbranch_execz .LBB119_4486
; %bb.4470:
	v_cmp_ne_u16_e32 vcc_lo, 0x80, v9
	s_and_b32 s24, vcc_lo, exec_lo
	s_and_not1_saveexec_b32 s9, s9
	s_cbranch_execnz .LBB119_4487
.LBB119_4471:
	s_or_b32 exec_lo, exec_lo, s9
	v_mov_b32_e32 v7, 0
	s_and_saveexec_b32 s9, s24
	s_cbranch_execz .LBB119_4473
.LBB119_4472:
	v_and_b32_e32 v7, 0xffff, v9
	s_delay_alu instid0(VALU_DEP_1) | instskip(SKIP_1) | instid1(VALU_DEP_2)
	v_and_b32_e32 v11, 7, v7
	v_bfe_u32 v17, v7, 3, 4
	v_clz_i32_u32_e32 v13, v11
	s_delay_alu instid0(VALU_DEP_2) | instskip(NEXT) | instid1(VALU_DEP_2)
	v_cmp_eq_u32_e32 vcc_lo, 0, v17
	v_min_u32_e32 v13, 32, v13
	s_delay_alu instid0(VALU_DEP_1) | instskip(NEXT) | instid1(VALU_DEP_1)
	v_subrev_nc_u32_e32 v15, 28, v13
	v_dual_lshlrev_b32 v7, v15, v7 :: v_dual_sub_nc_u32 v13, 29, v13
	s_delay_alu instid0(VALU_DEP_1) | instskip(NEXT) | instid1(VALU_DEP_1)
	v_dual_lshlrev_b32 v9, 24, v9 :: v_dual_bitop2_b32 v7, 7, v7 bitop3:0x40
	v_dual_cndmask_b32 v7, v11, v7, vcc_lo :: v_dual_cndmask_b32 v13, v17, v13, vcc_lo
	s_delay_alu instid0(VALU_DEP_2) | instskip(NEXT) | instid1(VALU_DEP_2)
	v_and_b32_e32 v9, 0x80000000, v9
	v_lshlrev_b32_e32 v7, 20, v7
	s_delay_alu instid0(VALU_DEP_3) | instskip(NEXT) | instid1(VALU_DEP_1)
	v_lshl_add_u32 v11, v13, 23, 0x3b800000
	v_or3_b32 v7, v9, v11, v7
	s_delay_alu instid0(VALU_DEP_1)
	v_cvt_i32_f32_e32 v7, v7
.LBB119_4473:
	s_or_b32 exec_lo, exec_lo, s9
.LBB119_4474:
	s_mov_b32 s9, -1
.LBB119_4475:
	s_mov_b32 s24, 0
.LBB119_4476:
	s_delay_alu instid0(SALU_CYCLE_1)
	s_and_b32 vcc_lo, exec_lo, s24
	s_cbranch_vccz .LBB119_4507
; %bb.4477:
	s_cmp_gt_i32 s57, 22
	s_cbranch_scc0 .LBB119_4485
; %bb.4478:
	s_cmp_lt_i32 s57, 24
	s_cbranch_scc1 .LBB119_4488
; %bb.4479:
	s_cmp_gt_i32 s57, 24
	s_cbranch_scc0 .LBB119_4489
; %bb.4480:
	global_load_u8 v9, v[26:27], off
	s_mov_b32 s9, 0
	s_mov_b32 s1, exec_lo
	s_wait_loadcnt 0x0
	v_cmpx_lt_i16_e32 0x7f, v9
	s_xor_b32 s1, exec_lo, s1
	s_cbranch_execz .LBB119_4501
; %bb.4481:
	v_cmp_ne_u16_e32 vcc_lo, 0x80, v9
	s_and_b32 s9, vcc_lo, exec_lo
	s_and_not1_saveexec_b32 s1, s1
	s_cbranch_execnz .LBB119_4502
.LBB119_4482:
	s_or_b32 exec_lo, exec_lo, s1
	v_mov_b32_e32 v7, 0
	s_and_saveexec_b32 s1, s9
	s_cbranch_execz .LBB119_4484
.LBB119_4483:
	v_and_b32_e32 v7, 0xffff, v9
	s_delay_alu instid0(VALU_DEP_1) | instskip(SKIP_1) | instid1(VALU_DEP_2)
	v_and_b32_e32 v11, 3, v7
	v_bfe_u32 v17, v7, 2, 5
	v_clz_i32_u32_e32 v13, v11
	s_delay_alu instid0(VALU_DEP_2) | instskip(NEXT) | instid1(VALU_DEP_2)
	v_cmp_eq_u32_e32 vcc_lo, 0, v17
	v_min_u32_e32 v13, 32, v13
	s_delay_alu instid0(VALU_DEP_1) | instskip(NEXT) | instid1(VALU_DEP_1)
	v_subrev_nc_u32_e32 v15, 29, v13
	v_dual_lshlrev_b32 v7, v15, v7 :: v_dual_sub_nc_u32 v13, 30, v13
	s_delay_alu instid0(VALU_DEP_1) | instskip(NEXT) | instid1(VALU_DEP_1)
	v_dual_lshlrev_b32 v9, 24, v9 :: v_dual_bitop2_b32 v7, 3, v7 bitop3:0x40
	v_dual_cndmask_b32 v7, v11, v7, vcc_lo :: v_dual_cndmask_b32 v13, v17, v13, vcc_lo
	s_delay_alu instid0(VALU_DEP_2) | instskip(NEXT) | instid1(VALU_DEP_2)
	v_and_b32_e32 v9, 0x80000000, v9
	v_lshlrev_b32_e32 v7, 21, v7
	s_delay_alu instid0(VALU_DEP_3) | instskip(NEXT) | instid1(VALU_DEP_1)
	v_lshl_add_u32 v11, v13, 23, 0x37800000
	v_or3_b32 v7, v9, v11, v7
	s_delay_alu instid0(VALU_DEP_1)
	v_cvt_i32_f32_e32 v7, v7
.LBB119_4484:
	s_or_b32 exec_lo, exec_lo, s1
	s_mov_b32 s1, 0
	s_branch .LBB119_4490
.LBB119_4485:
	s_mov_b32 s1, -1
                                        ; implicit-def: $vgpr7
	s_branch .LBB119_4496
.LBB119_4486:
	s_and_not1_saveexec_b32 s9, s9
	s_cbranch_execz .LBB119_4471
.LBB119_4487:
	v_cmp_ne_u16_e32 vcc_lo, 0, v9
	s_and_not1_b32 s24, s24, exec_lo
	s_and_b32 s25, vcc_lo, exec_lo
	s_delay_alu instid0(SALU_CYCLE_1)
	s_or_b32 s24, s24, s25
	s_or_b32 exec_lo, exec_lo, s9
	v_mov_b32_e32 v7, 0
	s_and_saveexec_b32 s9, s24
	s_cbranch_execnz .LBB119_4472
	s_branch .LBB119_4473
.LBB119_4488:
	s_mov_b32 s1, -1
                                        ; implicit-def: $vgpr7
	s_branch .LBB119_4493
.LBB119_4489:
	s_mov_b32 s1, -1
                                        ; implicit-def: $vgpr7
.LBB119_4490:
	s_delay_alu instid0(SALU_CYCLE_1)
	s_and_b32 vcc_lo, exec_lo, s1
	s_cbranch_vccz .LBB119_4492
; %bb.4491:
	s_wait_loadcnt 0x0
	global_load_u8 v7, v[26:27], off
	s_wait_loadcnt 0x0
	v_lshlrev_b32_e32 v7, 24, v7
	s_delay_alu instid0(VALU_DEP_1) | instskip(NEXT) | instid1(VALU_DEP_1)
	v_and_b32_e32 v9, 0x7f000000, v7
	v_clz_i32_u32_e32 v11, v9
	v_add_nc_u32_e32 v15, 0x1000000, v9
	v_cmp_ne_u32_e32 vcc_lo, 0, v9
	s_delay_alu instid0(VALU_DEP_3) | instskip(NEXT) | instid1(VALU_DEP_1)
	v_min_u32_e32 v11, 32, v11
	v_sub_nc_u32_e64 v11, v11, 4 clamp
	s_delay_alu instid0(VALU_DEP_1) | instskip(NEXT) | instid1(VALU_DEP_1)
	v_dual_lshlrev_b32 v13, v11, v9 :: v_dual_lshlrev_b32 v11, 23, v11
	v_lshrrev_b32_e32 v13, 4, v13
	s_delay_alu instid0(VALU_DEP_1) | instskip(SKIP_1) | instid1(VALU_DEP_2)
	v_sub_nc_u32_e32 v11, v13, v11
	v_ashrrev_i32_e32 v13, 8, v15
	v_add_nc_u32_e32 v11, 0x3c000000, v11
	s_delay_alu instid0(VALU_DEP_1) | instskip(NEXT) | instid1(VALU_DEP_1)
	v_and_or_b32 v11, 0x7f800000, v13, v11
	v_cndmask_b32_e32 v9, 0, v11, vcc_lo
	s_delay_alu instid0(VALU_DEP_1) | instskip(NEXT) | instid1(VALU_DEP_1)
	v_and_or_b32 v7, 0x80000000, v7, v9
	v_cvt_i32_f32_e32 v7, v7
.LBB119_4492:
	s_mov_b32 s1, 0
.LBB119_4493:
	s_delay_alu instid0(SALU_CYCLE_1)
	s_and_not1_b32 vcc_lo, exec_lo, s1
	s_cbranch_vccnz .LBB119_4495
; %bb.4494:
	s_wait_loadcnt 0x0
	global_load_u8 v7, v[26:27], off
	s_wait_loadcnt 0x0
	v_lshlrev_b32_e32 v9, 25, v7
	v_lshlrev_b16 v7, 8, v7
	s_delay_alu instid0(VALU_DEP_1) | instskip(SKIP_1) | instid1(VALU_DEP_2)
	v_and_or_b32 v13, 0x7f00, v7, 0.5
	v_bfe_i32 v7, v7, 0, 16
	v_add_f32_e32 v13, -0.5, v13
	v_lshrrev_b32_e32 v11, 4, v9
	v_cmp_gt_u32_e32 vcc_lo, 0x8000000, v9
	s_delay_alu instid0(VALU_DEP_2) | instskip(NEXT) | instid1(VALU_DEP_1)
	v_or_b32_e32 v11, 0x70000000, v11
	v_mul_f32_e32 v11, 0x7800000, v11
	s_delay_alu instid0(VALU_DEP_1) | instskip(NEXT) | instid1(VALU_DEP_1)
	v_cndmask_b32_e32 v9, v11, v13, vcc_lo
	v_and_or_b32 v7, 0x80000000, v7, v9
	s_delay_alu instid0(VALU_DEP_1)
	v_cvt_i32_f32_e32 v7, v7
.LBB119_4495:
	s_mov_b32 s1, 0
	s_mov_b32 s9, -1
.LBB119_4496:
	s_and_not1_b32 vcc_lo, exec_lo, s1
	s_mov_b32 s1, 0
	s_cbranch_vccnz .LBB119_4507
; %bb.4497:
	s_cmp_gt_i32 s57, 14
	s_cbranch_scc0 .LBB119_4500
; %bb.4498:
	s_cmp_eq_u32 s57, 15
	s_cbranch_scc0 .LBB119_4503
; %bb.4499:
	s_wait_loadcnt 0x0
	global_load_u16 v7, v[26:27], off
	s_mov_b32 s0, 0
	s_mov_b32 s9, -1
	s_wait_loadcnt 0x0
	v_lshlrev_b32_e32 v7, 16, v7
	s_delay_alu instid0(VALU_DEP_1)
	v_cvt_i32_f32_e32 v7, v7
	s_branch .LBB119_4505
.LBB119_4500:
	s_mov_b32 s1, -1
	s_branch .LBB119_4504
.LBB119_4501:
	s_and_not1_saveexec_b32 s1, s1
	s_cbranch_execz .LBB119_4482
.LBB119_4502:
	v_cmp_ne_u16_e32 vcc_lo, 0, v9
	s_and_not1_b32 s9, s9, exec_lo
	s_and_b32 s24, vcc_lo, exec_lo
	s_delay_alu instid0(SALU_CYCLE_1)
	s_or_b32 s9, s9, s24
	s_or_b32 exec_lo, exec_lo, s1
	v_mov_b32_e32 v7, 0
	s_and_saveexec_b32 s1, s9
	s_cbranch_execnz .LBB119_4483
	s_branch .LBB119_4484
.LBB119_4503:
	s_mov_b32 s0, -1
.LBB119_4504:
                                        ; implicit-def: $vgpr7
.LBB119_4505:
	s_and_b32 vcc_lo, exec_lo, s1
	s_mov_b32 s1, 0
	s_cbranch_vccz .LBB119_4507
; %bb.4506:
	s_cmp_lg_u32 s57, 11
	s_mov_b32 s1, -1
	s_cselect_b32 s0, -1, 0
.LBB119_4507:
	s_delay_alu instid0(SALU_CYCLE_1)
	s_and_b32 vcc_lo, exec_lo, s0
	s_mov_b32 s56, s54
	s_cbranch_vccnz .LBB119_4572
; %bb.4508:
	s_and_not1_b32 vcc_lo, exec_lo, s1
	s_cbranch_vccnz .LBB119_4510
.LBB119_4509:
	s_wait_loadcnt 0x0
	global_load_u8 v7, v[26:27], off
	s_mov_b32 s9, -1
	s_wait_loadcnt 0x0
	v_cmp_ne_u16_e32 vcc_lo, 0, v7
	v_cndmask_b32_e64 v7, 0, 1, vcc_lo
.LBB119_4510:
	s_mov_b32 s0, 0
.LBB119_4511:
	s_delay_alu instid0(SALU_CYCLE_1)
	s_and_b32 vcc_lo, exec_lo, s0
	s_cbranch_vccz .LBB119_4560
; %bb.4512:
	s_cmp_lt_i32 s57, 5
	s_cbranch_scc1 .LBB119_4517
; %bb.4513:
	s_cmp_lt_i32 s57, 8
	s_cbranch_scc1 .LBB119_4518
	;; [unrolled: 3-line block ×3, first 2 shown]
; %bb.4515:
	s_cmp_gt_i32 s57, 9
	s_cbranch_scc0 .LBB119_4520
; %bb.4516:
	global_load_b64 v[28:29], v[26:27], off
	s_mov_b32 s0, 0
	s_wait_loadcnt 0x0
	v_cvt_i32_f64_e32 v7, v[28:29]
	s_branch .LBB119_4521
.LBB119_4517:
	s_mov_b32 s0, -1
                                        ; implicit-def: $vgpr7
	s_branch .LBB119_4539
.LBB119_4518:
	s_mov_b32 s0, -1
                                        ; implicit-def: $vgpr7
	s_branch .LBB119_4527
.LBB119_4519:
	s_mov_b32 s0, -1
                                        ; implicit-def: $vgpr7
	s_branch .LBB119_4524
.LBB119_4520:
	s_mov_b32 s0, -1
                                        ; implicit-def: $vgpr7
.LBB119_4521:
	s_delay_alu instid0(SALU_CYCLE_1)
	s_and_not1_b32 vcc_lo, exec_lo, s0
	s_cbranch_vccnz .LBB119_4523
; %bb.4522:
	s_wait_loadcnt 0x0
	global_load_b32 v7, v[26:27], off
	s_wait_loadcnt 0x0
	v_cvt_i32_f32_e32 v7, v7
.LBB119_4523:
	s_mov_b32 s0, 0
.LBB119_4524:
	s_delay_alu instid0(SALU_CYCLE_1)
	s_and_not1_b32 vcc_lo, exec_lo, s0
	s_cbranch_vccnz .LBB119_4526
; %bb.4525:
	s_wait_loadcnt 0x0
	global_load_b32 v7, v[26:27], off
	s_wait_loadcnt 0x0
	v_cvt_f32_f16_e32 v7, v7
	s_delay_alu instid0(VALU_DEP_1)
	v_cvt_i32_f32_e32 v7, v7
.LBB119_4526:
	s_mov_b32 s0, 0
.LBB119_4527:
	s_delay_alu instid0(SALU_CYCLE_1)
	s_and_not1_b32 vcc_lo, exec_lo, s0
	s_cbranch_vccnz .LBB119_4538
; %bb.4528:
	s_cmp_lt_i32 s57, 6
	s_cbranch_scc1 .LBB119_4531
; %bb.4529:
	s_cmp_gt_i32 s57, 6
	s_cbranch_scc0 .LBB119_4532
; %bb.4530:
	global_load_b64 v[28:29], v[26:27], off
	s_mov_b32 s0, 0
	s_wait_loadcnt 0x0
	v_cvt_i32_f64_e32 v7, v[28:29]
	s_branch .LBB119_4533
.LBB119_4531:
	s_mov_b32 s0, -1
                                        ; implicit-def: $vgpr7
	s_branch .LBB119_4536
.LBB119_4532:
	s_mov_b32 s0, -1
                                        ; implicit-def: $vgpr7
.LBB119_4533:
	s_delay_alu instid0(SALU_CYCLE_1)
	s_and_not1_b32 vcc_lo, exec_lo, s0
	s_cbranch_vccnz .LBB119_4535
; %bb.4534:
	s_wait_loadcnt 0x0
	global_load_b32 v7, v[26:27], off
	s_wait_loadcnt 0x0
	v_cvt_i32_f32_e32 v7, v7
.LBB119_4535:
	s_mov_b32 s0, 0
.LBB119_4536:
	s_delay_alu instid0(SALU_CYCLE_1)
	s_and_not1_b32 vcc_lo, exec_lo, s0
	s_cbranch_vccnz .LBB119_4538
; %bb.4537:
	s_wait_loadcnt 0x0
	global_load_u16 v7, v[26:27], off
	s_wait_loadcnt 0x0
	v_cvt_f32_f16_e32 v7, v7
	s_delay_alu instid0(VALU_DEP_1)
	v_cvt_i32_f32_e32 v7, v7
.LBB119_4538:
	s_mov_b32 s0, 0
.LBB119_4539:
	s_delay_alu instid0(SALU_CYCLE_1)
	s_and_not1_b32 vcc_lo, exec_lo, s0
	s_cbranch_vccnz .LBB119_4559
; %bb.4540:
	s_cmp_lt_i32 s57, 2
	s_cbranch_scc1 .LBB119_4544
; %bb.4541:
	s_cmp_lt_i32 s57, 3
	s_cbranch_scc1 .LBB119_4545
; %bb.4542:
	s_cmp_gt_i32 s57, 3
	s_cbranch_scc0 .LBB119_4546
; %bb.4543:
	s_wait_loadcnt 0x0
	global_load_b32 v7, v[26:27], off
	s_mov_b32 s0, 0
	s_branch .LBB119_4547
.LBB119_4544:
	s_mov_b32 s0, -1
                                        ; implicit-def: $vgpr7
	s_branch .LBB119_4553
.LBB119_4545:
	s_mov_b32 s0, -1
                                        ; implicit-def: $vgpr7
	s_branch .LBB119_4550
.LBB119_4546:
	s_mov_b32 s0, -1
                                        ; implicit-def: $vgpr7
.LBB119_4547:
	s_delay_alu instid0(SALU_CYCLE_1)
	s_and_not1_b32 vcc_lo, exec_lo, s0
	s_cbranch_vccnz .LBB119_4549
; %bb.4548:
	s_wait_loadcnt 0x0
	global_load_b32 v7, v[26:27], off
.LBB119_4549:
	s_mov_b32 s0, 0
.LBB119_4550:
	s_delay_alu instid0(SALU_CYCLE_1)
	s_and_not1_b32 vcc_lo, exec_lo, s0
	s_cbranch_vccnz .LBB119_4552
; %bb.4551:
	s_wait_loadcnt 0x0
	global_load_i16 v7, v[26:27], off
.LBB119_4552:
	s_mov_b32 s0, 0
.LBB119_4553:
	s_delay_alu instid0(SALU_CYCLE_1)
	s_and_not1_b32 vcc_lo, exec_lo, s0
	s_cbranch_vccnz .LBB119_4559
; %bb.4554:
	s_cmp_gt_i32 s57, 0
	s_mov_b32 s0, 0
	s_cbranch_scc0 .LBB119_4556
; %bb.4555:
	s_wait_loadcnt 0x0
	global_load_i8 v7, v[26:27], off
	s_branch .LBB119_4557
.LBB119_4556:
	s_mov_b32 s0, -1
                                        ; implicit-def: $vgpr7
.LBB119_4557:
	s_delay_alu instid0(SALU_CYCLE_1)
	s_and_not1_b32 vcc_lo, exec_lo, s0
	s_cbranch_vccnz .LBB119_4559
; %bb.4558:
	s_wait_loadcnt 0x0
	global_load_u8 v7, v[26:27], off
.LBB119_4559:
	s_mov_b32 s9, -1
.LBB119_4560:
	s_delay_alu instid0(SALU_CYCLE_1)
	s_and_not1_b32 vcc_lo, exec_lo, s9
	s_cbranch_vccnz .LBB119_5080
; %bb.4561:
	v_mov_b32_e32 v25, 0
	s_cmp_lt_i32 s58, 11
	s_delay_alu instid0(VALU_DEP_1)
	v_add_nc_u64_e32 v[24:25], s[12:13], v[24:25]
	s_cbranch_scc1 .LBB119_4568
; %bb.4562:
	s_cmp_gt_i32 s58, 25
	s_mov_b32 s1, 0
	s_cbranch_scc0 .LBB119_4569
; %bb.4563:
	s_cmp_gt_i32 s58, 28
	s_cbranch_scc0 .LBB119_4570
; %bb.4564:
	s_cmp_gt_i32 s58, 43
	;; [unrolled: 3-line block ×3, first 2 shown]
	s_cbranch_scc0 .LBB119_4573
; %bb.4566:
	s_cmp_eq_u32 s58, 46
	s_mov_b32 s24, 0
	s_cbranch_scc0 .LBB119_4575
; %bb.4567:
	global_load_b32 v9, v[24:25], off
	s_mov_b32 s0, 0
	s_mov_b32 s9, -1
	s_wait_loadcnt 0x0
	v_lshlrev_b32_e32 v9, 16, v9
	s_delay_alu instid0(VALU_DEP_1)
	v_cvt_i32_f32_e32 v9, v9
	s_branch .LBB119_4577
.LBB119_4568:
	s_mov_b32 s0, -1
	s_mov_b32 s9, 0
                                        ; implicit-def: $vgpr9
	s_branch .LBB119_4639
.LBB119_4569:
	s_mov_b32 s24, -1
	s_mov_b32 s9, 0
	s_mov_b32 s0, 0
                                        ; implicit-def: $vgpr9
	s_branch .LBB119_4604
.LBB119_4570:
	s_mov_b32 s24, -1
	s_mov_b32 s9, 0
	s_mov_b32 s0, 0
                                        ; implicit-def: $vgpr9
	s_branch .LBB119_4587
.LBB119_4571:
	s_mov_b32 s24, -1
	s_mov_b32 s9, 0
	s_mov_b32 s0, 0
                                        ; implicit-def: $vgpr9
	s_branch .LBB119_4582
.LBB119_4572:
	s_or_b32 s56, s54, exec_lo
	s_trap 2
	s_cbranch_execz .LBB119_4509
	s_branch .LBB119_4510
.LBB119_4573:
	s_mov_b32 s24, -1
	s_mov_b32 s9, 0
	s_mov_b32 s0, 0
	s_branch .LBB119_4576
.LBB119_4574:
	s_or_b32 s46, s46, exec_lo
	s_trap 2
                                        ; implicit-def: $vgpr9
                                        ; implicit-def: $vgpr32
                                        ; implicit-def: $vgpr30
                                        ; implicit-def: $vgpr34
                                        ; implicit-def: $vgpr5
                                        ; implicit-def: $vgpr6
                                        ; implicit-def: $vgpr4
                                        ; implicit-def: $vgpr20
                                        ; implicit-def: $vgpr18
                                        ; implicit-def: $vgpr24
                                        ; implicit-def: $vgpr22
                                        ; implicit-def: $vgpr2
                                        ; implicit-def: $vgpr26
                                        ; implicit-def: $vgpr10
                                        ; implicit-def: $vgpr8
                                        ; implicit-def: $vgpr14
                                        ; implicit-def: $vgpr12
                                        ; implicit-def: $vgpr0
                                        ; implicit-def: $vgpr16
                                        ; implicit-def: $vgpr1
                                        ; implicit-def: $vgpr3
	s_branch .LBB119_4407
.LBB119_4575:
	s_mov_b32 s0, -1
	s_mov_b32 s9, 0
.LBB119_4576:
                                        ; implicit-def: $vgpr9
.LBB119_4577:
	s_and_b32 vcc_lo, exec_lo, s24
	s_cbranch_vccz .LBB119_4581
; %bb.4578:
	s_cmp_eq_u32 s58, 44
	s_cbranch_scc0 .LBB119_4580
; %bb.4579:
	global_load_u8 v9, v[24:25], off
	s_mov_b32 s0, 0
	s_mov_b32 s9, -1
	s_wait_loadcnt 0x0
	v_lshlrev_b32_e32 v11, 23, v9
	v_cmp_ne_u32_e32 vcc_lo, 0, v9
	s_delay_alu instid0(VALU_DEP_2) | instskip(NEXT) | instid1(VALU_DEP_1)
	v_cvt_i32_f32_e32 v11, v11
	v_cndmask_b32_e32 v9, 0, v11, vcc_lo
	s_branch .LBB119_4581
.LBB119_4580:
	s_mov_b32 s0, -1
                                        ; implicit-def: $vgpr9
.LBB119_4581:
	s_mov_b32 s24, 0
.LBB119_4582:
	s_delay_alu instid0(SALU_CYCLE_1)
	s_and_b32 vcc_lo, exec_lo, s24
	s_cbranch_vccz .LBB119_4586
; %bb.4583:
	s_cmp_eq_u32 s58, 29
	s_cbranch_scc0 .LBB119_4585
; %bb.4584:
	global_load_b32 v9, v[24:25], off
	s_mov_b32 s0, 0
	s_mov_b32 s9, -1
	s_branch .LBB119_4586
.LBB119_4585:
	s_mov_b32 s0, -1
                                        ; implicit-def: $vgpr9
.LBB119_4586:
	s_mov_b32 s24, 0
.LBB119_4587:
	s_delay_alu instid0(SALU_CYCLE_1)
	s_and_b32 vcc_lo, exec_lo, s24
	s_cbranch_vccz .LBB119_4603
; %bb.4588:
	s_cmp_lt_i32 s58, 27
	s_cbranch_scc1 .LBB119_4591
; %bb.4589:
	s_cmp_gt_i32 s58, 27
	s_cbranch_scc0 .LBB119_4592
; %bb.4590:
	s_wait_loadcnt 0x0
	global_load_b32 v9, v[24:25], off
	s_mov_b32 s9, 0
	s_branch .LBB119_4593
.LBB119_4591:
	s_mov_b32 s9, -1
                                        ; implicit-def: $vgpr9
	s_branch .LBB119_4596
.LBB119_4592:
	s_mov_b32 s9, -1
                                        ; implicit-def: $vgpr9
.LBB119_4593:
	s_delay_alu instid0(SALU_CYCLE_1)
	s_and_not1_b32 vcc_lo, exec_lo, s9
	s_cbranch_vccnz .LBB119_4595
; %bb.4594:
	s_wait_loadcnt 0x0
	global_load_u16 v9, v[24:25], off
.LBB119_4595:
	s_mov_b32 s9, 0
.LBB119_4596:
	s_delay_alu instid0(SALU_CYCLE_1)
	s_and_not1_b32 vcc_lo, exec_lo, s9
	s_cbranch_vccnz .LBB119_4602
; %bb.4597:
	global_load_u8 v11, v[24:25], off
	s_mov_b32 s24, 0
	s_mov_b32 s9, exec_lo
	s_wait_loadcnt 0x0
	v_cmpx_lt_i16_e32 0x7f, v11
	s_xor_b32 s9, exec_lo, s9
	s_cbranch_execz .LBB119_4614
; %bb.4598:
	v_cmp_ne_u16_e32 vcc_lo, 0x80, v11
	s_and_b32 s24, vcc_lo, exec_lo
	s_and_not1_saveexec_b32 s9, s9
	s_cbranch_execnz .LBB119_4615
.LBB119_4599:
	s_or_b32 exec_lo, exec_lo, s9
	v_mov_b32_e32 v9, 0
	s_and_saveexec_b32 s9, s24
	s_cbranch_execz .LBB119_4601
.LBB119_4600:
	v_and_b32_e32 v9, 0xffff, v11
	s_delay_alu instid0(VALU_DEP_1) | instskip(SKIP_1) | instid1(VALU_DEP_2)
	v_and_b32_e32 v13, 7, v9
	v_bfe_u32 v19, v9, 3, 4
	v_clz_i32_u32_e32 v15, v13
	s_delay_alu instid0(VALU_DEP_2) | instskip(NEXT) | instid1(VALU_DEP_2)
	v_cmp_eq_u32_e32 vcc_lo, 0, v19
	v_min_u32_e32 v15, 32, v15
	s_delay_alu instid0(VALU_DEP_1) | instskip(NEXT) | instid1(VALU_DEP_1)
	v_subrev_nc_u32_e32 v17, 28, v15
	v_dual_lshlrev_b32 v9, v17, v9 :: v_dual_sub_nc_u32 v15, 29, v15
	s_delay_alu instid0(VALU_DEP_1) | instskip(NEXT) | instid1(VALU_DEP_1)
	v_dual_lshlrev_b32 v11, 24, v11 :: v_dual_bitop2_b32 v9, 7, v9 bitop3:0x40
	v_dual_cndmask_b32 v9, v13, v9, vcc_lo :: v_dual_cndmask_b32 v15, v19, v15, vcc_lo
	s_delay_alu instid0(VALU_DEP_2) | instskip(NEXT) | instid1(VALU_DEP_2)
	v_and_b32_e32 v11, 0x80000000, v11
	v_lshlrev_b32_e32 v9, 20, v9
	s_delay_alu instid0(VALU_DEP_3) | instskip(NEXT) | instid1(VALU_DEP_1)
	v_lshl_add_u32 v13, v15, 23, 0x3b800000
	v_or3_b32 v9, v11, v13, v9
	s_delay_alu instid0(VALU_DEP_1)
	v_cvt_i32_f32_e32 v9, v9
.LBB119_4601:
	s_or_b32 exec_lo, exec_lo, s9
.LBB119_4602:
	s_mov_b32 s9, -1
.LBB119_4603:
	s_mov_b32 s24, 0
.LBB119_4604:
	s_delay_alu instid0(SALU_CYCLE_1)
	s_and_b32 vcc_lo, exec_lo, s24
	s_cbranch_vccz .LBB119_4635
; %bb.4605:
	s_cmp_gt_i32 s58, 22
	s_cbranch_scc0 .LBB119_4613
; %bb.4606:
	s_cmp_lt_i32 s58, 24
	s_cbranch_scc1 .LBB119_4616
; %bb.4607:
	s_cmp_gt_i32 s58, 24
	s_cbranch_scc0 .LBB119_4617
; %bb.4608:
	global_load_u8 v11, v[24:25], off
	s_mov_b32 s9, 0
	s_mov_b32 s1, exec_lo
	s_wait_loadcnt 0x0
	v_cmpx_lt_i16_e32 0x7f, v11
	s_xor_b32 s1, exec_lo, s1
	s_cbranch_execz .LBB119_4629
; %bb.4609:
	v_cmp_ne_u16_e32 vcc_lo, 0x80, v11
	s_and_b32 s9, vcc_lo, exec_lo
	s_and_not1_saveexec_b32 s1, s1
	s_cbranch_execnz .LBB119_4630
.LBB119_4610:
	s_or_b32 exec_lo, exec_lo, s1
	v_mov_b32_e32 v9, 0
	s_and_saveexec_b32 s1, s9
	s_cbranch_execz .LBB119_4612
.LBB119_4611:
	v_and_b32_e32 v9, 0xffff, v11
	s_delay_alu instid0(VALU_DEP_1) | instskip(SKIP_1) | instid1(VALU_DEP_2)
	v_and_b32_e32 v13, 3, v9
	v_bfe_u32 v19, v9, 2, 5
	v_clz_i32_u32_e32 v15, v13
	s_delay_alu instid0(VALU_DEP_2) | instskip(NEXT) | instid1(VALU_DEP_2)
	v_cmp_eq_u32_e32 vcc_lo, 0, v19
	v_min_u32_e32 v15, 32, v15
	s_delay_alu instid0(VALU_DEP_1) | instskip(NEXT) | instid1(VALU_DEP_1)
	v_subrev_nc_u32_e32 v17, 29, v15
	v_dual_lshlrev_b32 v9, v17, v9 :: v_dual_sub_nc_u32 v15, 30, v15
	s_delay_alu instid0(VALU_DEP_1) | instskip(NEXT) | instid1(VALU_DEP_1)
	v_dual_lshlrev_b32 v11, 24, v11 :: v_dual_bitop2_b32 v9, 3, v9 bitop3:0x40
	v_dual_cndmask_b32 v9, v13, v9, vcc_lo :: v_dual_cndmask_b32 v15, v19, v15, vcc_lo
	s_delay_alu instid0(VALU_DEP_2) | instskip(NEXT) | instid1(VALU_DEP_2)
	v_and_b32_e32 v11, 0x80000000, v11
	v_lshlrev_b32_e32 v9, 21, v9
	s_delay_alu instid0(VALU_DEP_3) | instskip(NEXT) | instid1(VALU_DEP_1)
	v_lshl_add_u32 v13, v15, 23, 0x37800000
	v_or3_b32 v9, v11, v13, v9
	s_delay_alu instid0(VALU_DEP_1)
	v_cvt_i32_f32_e32 v9, v9
.LBB119_4612:
	s_or_b32 exec_lo, exec_lo, s1
	s_mov_b32 s1, 0
	s_branch .LBB119_4618
.LBB119_4613:
	s_mov_b32 s1, -1
                                        ; implicit-def: $vgpr9
	s_branch .LBB119_4624
.LBB119_4614:
	s_and_not1_saveexec_b32 s9, s9
	s_cbranch_execz .LBB119_4599
.LBB119_4615:
	v_cmp_ne_u16_e32 vcc_lo, 0, v11
	s_and_not1_b32 s24, s24, exec_lo
	s_and_b32 s25, vcc_lo, exec_lo
	s_delay_alu instid0(SALU_CYCLE_1)
	s_or_b32 s24, s24, s25
	s_or_b32 exec_lo, exec_lo, s9
	v_mov_b32_e32 v9, 0
	s_and_saveexec_b32 s9, s24
	s_cbranch_execnz .LBB119_4600
	s_branch .LBB119_4601
.LBB119_4616:
	s_mov_b32 s1, -1
                                        ; implicit-def: $vgpr9
	s_branch .LBB119_4621
.LBB119_4617:
	s_mov_b32 s1, -1
                                        ; implicit-def: $vgpr9
.LBB119_4618:
	s_delay_alu instid0(SALU_CYCLE_1)
	s_and_b32 vcc_lo, exec_lo, s1
	s_cbranch_vccz .LBB119_4620
; %bb.4619:
	s_wait_loadcnt 0x0
	global_load_u8 v9, v[24:25], off
	s_wait_loadcnt 0x0
	v_lshlrev_b32_e32 v9, 24, v9
	s_delay_alu instid0(VALU_DEP_1) | instskip(NEXT) | instid1(VALU_DEP_1)
	v_and_b32_e32 v11, 0x7f000000, v9
	v_clz_i32_u32_e32 v13, v11
	v_add_nc_u32_e32 v17, 0x1000000, v11
	v_cmp_ne_u32_e32 vcc_lo, 0, v11
	s_delay_alu instid0(VALU_DEP_3) | instskip(NEXT) | instid1(VALU_DEP_1)
	v_min_u32_e32 v13, 32, v13
	v_sub_nc_u32_e64 v13, v13, 4 clamp
	s_delay_alu instid0(VALU_DEP_1) | instskip(NEXT) | instid1(VALU_DEP_1)
	v_dual_lshlrev_b32 v15, v13, v11 :: v_dual_lshlrev_b32 v13, 23, v13
	v_lshrrev_b32_e32 v15, 4, v15
	s_delay_alu instid0(VALU_DEP_1) | instskip(SKIP_1) | instid1(VALU_DEP_2)
	v_sub_nc_u32_e32 v13, v15, v13
	v_ashrrev_i32_e32 v15, 8, v17
	v_add_nc_u32_e32 v13, 0x3c000000, v13
	s_delay_alu instid0(VALU_DEP_1) | instskip(NEXT) | instid1(VALU_DEP_1)
	v_and_or_b32 v13, 0x7f800000, v15, v13
	v_cndmask_b32_e32 v11, 0, v13, vcc_lo
	s_delay_alu instid0(VALU_DEP_1) | instskip(NEXT) | instid1(VALU_DEP_1)
	v_and_or_b32 v9, 0x80000000, v9, v11
	v_cvt_i32_f32_e32 v9, v9
.LBB119_4620:
	s_mov_b32 s1, 0
.LBB119_4621:
	s_delay_alu instid0(SALU_CYCLE_1)
	s_and_not1_b32 vcc_lo, exec_lo, s1
	s_cbranch_vccnz .LBB119_4623
; %bb.4622:
	s_wait_loadcnt 0x0
	global_load_u8 v9, v[24:25], off
	s_wait_loadcnt 0x0
	v_lshlrev_b32_e32 v11, 25, v9
	v_lshlrev_b16 v9, 8, v9
	s_delay_alu instid0(VALU_DEP_1) | instskip(SKIP_1) | instid1(VALU_DEP_2)
	v_and_or_b32 v15, 0x7f00, v9, 0.5
	v_bfe_i32 v9, v9, 0, 16
	v_add_f32_e32 v15, -0.5, v15
	v_lshrrev_b32_e32 v13, 4, v11
	v_cmp_gt_u32_e32 vcc_lo, 0x8000000, v11
	s_delay_alu instid0(VALU_DEP_2) | instskip(NEXT) | instid1(VALU_DEP_1)
	v_or_b32_e32 v13, 0x70000000, v13
	v_mul_f32_e32 v13, 0x7800000, v13
	s_delay_alu instid0(VALU_DEP_1) | instskip(NEXT) | instid1(VALU_DEP_1)
	v_cndmask_b32_e32 v11, v13, v15, vcc_lo
	v_and_or_b32 v9, 0x80000000, v9, v11
	s_delay_alu instid0(VALU_DEP_1)
	v_cvt_i32_f32_e32 v9, v9
.LBB119_4623:
	s_mov_b32 s1, 0
	s_mov_b32 s9, -1
.LBB119_4624:
	s_and_not1_b32 vcc_lo, exec_lo, s1
	s_mov_b32 s1, 0
	s_cbranch_vccnz .LBB119_4635
; %bb.4625:
	s_cmp_gt_i32 s58, 14
	s_cbranch_scc0 .LBB119_4628
; %bb.4626:
	s_cmp_eq_u32 s58, 15
	s_cbranch_scc0 .LBB119_4631
; %bb.4627:
	s_wait_loadcnt 0x0
	global_load_u16 v9, v[24:25], off
	s_mov_b32 s0, 0
	s_mov_b32 s9, -1
	s_wait_loadcnt 0x0
	v_lshlrev_b32_e32 v9, 16, v9
	s_delay_alu instid0(VALU_DEP_1)
	v_cvt_i32_f32_e32 v9, v9
	s_branch .LBB119_4633
.LBB119_4628:
	s_mov_b32 s1, -1
	s_branch .LBB119_4632
.LBB119_4629:
	s_and_not1_saveexec_b32 s1, s1
	s_cbranch_execz .LBB119_4610
.LBB119_4630:
	v_cmp_ne_u16_e32 vcc_lo, 0, v11
	s_and_not1_b32 s9, s9, exec_lo
	s_and_b32 s24, vcc_lo, exec_lo
	s_delay_alu instid0(SALU_CYCLE_1)
	s_or_b32 s9, s9, s24
	s_or_b32 exec_lo, exec_lo, s1
	v_mov_b32_e32 v9, 0
	s_and_saveexec_b32 s1, s9
	s_cbranch_execnz .LBB119_4611
	s_branch .LBB119_4612
.LBB119_4631:
	s_mov_b32 s0, -1
.LBB119_4632:
                                        ; implicit-def: $vgpr9
.LBB119_4633:
	s_and_b32 vcc_lo, exec_lo, s1
	s_mov_b32 s1, 0
	s_cbranch_vccz .LBB119_4635
; %bb.4634:
	s_cmp_lg_u32 s58, 11
	s_mov_b32 s1, -1
	s_cselect_b32 s0, -1, 0
.LBB119_4635:
	s_delay_alu instid0(SALU_CYCLE_1)
	s_and_b32 vcc_lo, exec_lo, s0
	s_cbranch_vccnz .LBB119_4700
; %bb.4636:
	s_and_not1_b32 vcc_lo, exec_lo, s1
	s_cbranch_vccnz .LBB119_4638
.LBB119_4637:
	s_wait_loadcnt 0x0
	global_load_u8 v9, v[24:25], off
	s_mov_b32 s9, -1
	s_wait_loadcnt 0x0
	v_cmp_ne_u16_e32 vcc_lo, 0, v9
	v_cndmask_b32_e64 v9, 0, 1, vcc_lo
.LBB119_4638:
	s_mov_b32 s0, 0
.LBB119_4639:
	s_delay_alu instid0(SALU_CYCLE_1)
	s_and_b32 vcc_lo, exec_lo, s0
	s_cbranch_vccz .LBB119_4688
; %bb.4640:
	s_cmp_lt_i32 s58, 5
	s_cbranch_scc1 .LBB119_4645
; %bb.4641:
	s_cmp_lt_i32 s58, 8
	s_cbranch_scc1 .LBB119_4646
	;; [unrolled: 3-line block ×3, first 2 shown]
; %bb.4643:
	s_cmp_gt_i32 s58, 9
	s_cbranch_scc0 .LBB119_4648
; %bb.4644:
	global_load_b64 v[26:27], v[24:25], off
	s_mov_b32 s0, 0
	s_wait_loadcnt 0x0
	v_cvt_i32_f64_e32 v9, v[26:27]
	s_branch .LBB119_4649
.LBB119_4645:
	s_mov_b32 s0, -1
                                        ; implicit-def: $vgpr9
	s_branch .LBB119_4667
.LBB119_4646:
	s_mov_b32 s0, -1
                                        ; implicit-def: $vgpr9
	s_branch .LBB119_4655
.LBB119_4647:
	s_mov_b32 s0, -1
                                        ; implicit-def: $vgpr9
	s_branch .LBB119_4652
.LBB119_4648:
	s_mov_b32 s0, -1
                                        ; implicit-def: $vgpr9
.LBB119_4649:
	s_delay_alu instid0(SALU_CYCLE_1)
	s_and_not1_b32 vcc_lo, exec_lo, s0
	s_cbranch_vccnz .LBB119_4651
; %bb.4650:
	s_wait_loadcnt 0x0
	global_load_b32 v9, v[24:25], off
	s_wait_loadcnt 0x0
	v_cvt_i32_f32_e32 v9, v9
.LBB119_4651:
	s_mov_b32 s0, 0
.LBB119_4652:
	s_delay_alu instid0(SALU_CYCLE_1)
	s_and_not1_b32 vcc_lo, exec_lo, s0
	s_cbranch_vccnz .LBB119_4654
; %bb.4653:
	s_wait_loadcnt 0x0
	global_load_b32 v9, v[24:25], off
	s_wait_loadcnt 0x0
	v_cvt_f32_f16_e32 v9, v9
	s_delay_alu instid0(VALU_DEP_1)
	v_cvt_i32_f32_e32 v9, v9
.LBB119_4654:
	s_mov_b32 s0, 0
.LBB119_4655:
	s_delay_alu instid0(SALU_CYCLE_1)
	s_and_not1_b32 vcc_lo, exec_lo, s0
	s_cbranch_vccnz .LBB119_4666
; %bb.4656:
	s_cmp_lt_i32 s58, 6
	s_cbranch_scc1 .LBB119_4659
; %bb.4657:
	s_cmp_gt_i32 s58, 6
	s_cbranch_scc0 .LBB119_4660
; %bb.4658:
	global_load_b64 v[26:27], v[24:25], off
	s_mov_b32 s0, 0
	s_wait_loadcnt 0x0
	v_cvt_i32_f64_e32 v9, v[26:27]
	s_branch .LBB119_4661
.LBB119_4659:
	s_mov_b32 s0, -1
                                        ; implicit-def: $vgpr9
	s_branch .LBB119_4664
.LBB119_4660:
	s_mov_b32 s0, -1
                                        ; implicit-def: $vgpr9
.LBB119_4661:
	s_delay_alu instid0(SALU_CYCLE_1)
	s_and_not1_b32 vcc_lo, exec_lo, s0
	s_cbranch_vccnz .LBB119_4663
; %bb.4662:
	s_wait_loadcnt 0x0
	global_load_b32 v9, v[24:25], off
	s_wait_loadcnt 0x0
	v_cvt_i32_f32_e32 v9, v9
.LBB119_4663:
	s_mov_b32 s0, 0
.LBB119_4664:
	s_delay_alu instid0(SALU_CYCLE_1)
	s_and_not1_b32 vcc_lo, exec_lo, s0
	s_cbranch_vccnz .LBB119_4666
; %bb.4665:
	s_wait_loadcnt 0x0
	global_load_u16 v9, v[24:25], off
	s_wait_loadcnt 0x0
	v_cvt_f32_f16_e32 v9, v9
	s_delay_alu instid0(VALU_DEP_1)
	v_cvt_i32_f32_e32 v9, v9
.LBB119_4666:
	s_mov_b32 s0, 0
.LBB119_4667:
	s_delay_alu instid0(SALU_CYCLE_1)
	s_and_not1_b32 vcc_lo, exec_lo, s0
	s_cbranch_vccnz .LBB119_4687
; %bb.4668:
	s_cmp_lt_i32 s58, 2
	s_cbranch_scc1 .LBB119_4672
; %bb.4669:
	s_cmp_lt_i32 s58, 3
	s_cbranch_scc1 .LBB119_4673
; %bb.4670:
	s_cmp_gt_i32 s58, 3
	s_cbranch_scc0 .LBB119_4674
; %bb.4671:
	s_wait_loadcnt 0x0
	global_load_b32 v9, v[24:25], off
	s_mov_b32 s0, 0
	s_branch .LBB119_4675
.LBB119_4672:
	s_mov_b32 s0, -1
                                        ; implicit-def: $vgpr9
	s_branch .LBB119_4681
.LBB119_4673:
	s_mov_b32 s0, -1
                                        ; implicit-def: $vgpr9
	s_branch .LBB119_4678
.LBB119_4674:
	s_mov_b32 s0, -1
                                        ; implicit-def: $vgpr9
.LBB119_4675:
	s_delay_alu instid0(SALU_CYCLE_1)
	s_and_not1_b32 vcc_lo, exec_lo, s0
	s_cbranch_vccnz .LBB119_4677
; %bb.4676:
	s_wait_loadcnt 0x0
	global_load_b32 v9, v[24:25], off
.LBB119_4677:
	s_mov_b32 s0, 0
.LBB119_4678:
	s_delay_alu instid0(SALU_CYCLE_1)
	s_and_not1_b32 vcc_lo, exec_lo, s0
	s_cbranch_vccnz .LBB119_4680
; %bb.4679:
	s_wait_loadcnt 0x0
	global_load_i16 v9, v[24:25], off
.LBB119_4680:
	s_mov_b32 s0, 0
.LBB119_4681:
	s_delay_alu instid0(SALU_CYCLE_1)
	s_and_not1_b32 vcc_lo, exec_lo, s0
	s_cbranch_vccnz .LBB119_4687
; %bb.4682:
	s_cmp_gt_i32 s58, 0
	s_mov_b32 s0, 0
	s_cbranch_scc0 .LBB119_4684
; %bb.4683:
	s_wait_loadcnt 0x0
	global_load_i8 v9, v[24:25], off
	s_branch .LBB119_4685
.LBB119_4684:
	s_mov_b32 s0, -1
                                        ; implicit-def: $vgpr9
.LBB119_4685:
	s_delay_alu instid0(SALU_CYCLE_1)
	s_and_not1_b32 vcc_lo, exec_lo, s0
	s_cbranch_vccnz .LBB119_4687
; %bb.4686:
	s_wait_loadcnt 0x0
	global_load_u8 v9, v[24:25], off
.LBB119_4687:
	s_mov_b32 s9, -1
.LBB119_4688:
	s_delay_alu instid0(SALU_CYCLE_1)
	s_and_not1_b32 vcc_lo, exec_lo, s9
	s_cbranch_vccnz .LBB119_5080
; %bb.4689:
	v_mov_b32_e32 v23, 0
	s_cmp_lt_i32 s59, 11
	s_wait_xcnt 0x0
	s_delay_alu instid0(VALU_DEP_1)
	v_add_nc_u64_e32 v[24:25], s[14:15], v[22:23]
	s_cbranch_scc1 .LBB119_4696
; %bb.4690:
	s_cmp_gt_i32 s59, 25
	s_mov_b32 s1, 0
	s_cbranch_scc0 .LBB119_4697
; %bb.4691:
	s_cmp_gt_i32 s59, 28
	s_cbranch_scc0 .LBB119_4698
; %bb.4692:
	s_cmp_gt_i32 s59, 43
	;; [unrolled: 3-line block ×3, first 2 shown]
	s_cbranch_scc0 .LBB119_4701
; %bb.4694:
	s_cmp_eq_u32 s59, 46
	s_mov_b32 s24, 0
	s_cbranch_scc0 .LBB119_4703
; %bb.4695:
	global_load_b32 v11, v[24:25], off
	s_mov_b32 s0, 0
	s_mov_b32 s9, -1
	s_wait_loadcnt 0x0
	v_lshlrev_b32_e32 v11, 16, v11
	s_delay_alu instid0(VALU_DEP_1)
	v_cvt_i32_f32_e32 v22, v11
	s_branch .LBB119_4705
.LBB119_4696:
	s_mov_b32 s0, -1
	s_mov_b32 s9, 0
                                        ; implicit-def: $vgpr22
	s_branch .LBB119_4767
.LBB119_4697:
	s_mov_b32 s24, -1
	s_mov_b32 s9, 0
	s_mov_b32 s0, 0
                                        ; implicit-def: $vgpr22
	s_branch .LBB119_4732
.LBB119_4698:
	s_mov_b32 s24, -1
	s_mov_b32 s9, 0
	s_mov_b32 s0, 0
                                        ; implicit-def: $vgpr22
	s_branch .LBB119_4715
.LBB119_4699:
	s_mov_b32 s24, -1
	s_mov_b32 s9, 0
	s_mov_b32 s0, 0
                                        ; implicit-def: $vgpr22
	s_branch .LBB119_4710
.LBB119_4700:
	s_or_b32 s56, s56, exec_lo
	s_trap 2
	s_cbranch_execz .LBB119_4637
	s_branch .LBB119_4638
.LBB119_4701:
	s_mov_b32 s24, -1
	s_mov_b32 s9, 0
	s_mov_b32 s0, 0
	s_branch .LBB119_4704
.LBB119_4702:
	s_or_b32 s50, s46, exec_lo
	s_trap 2
                                        ; implicit-def: $vgpr32
                                        ; implicit-def: $vgpr30
                                        ; implicit-def: $vgpr34
                                        ; implicit-def: $vgpr5
                                        ; implicit-def: $vgpr6
                                        ; implicit-def: $vgpr4
                                        ; implicit-def: $vgpr20
                                        ; implicit-def: $vgpr18
                                        ; implicit-def: $vgpr24
                                        ; implicit-def: $vgpr22
                                        ; implicit-def: $vgpr2
                                        ; implicit-def: $vgpr26
                                        ; implicit-def: $vgpr10
                                        ; implicit-def: $vgpr8
                                        ; implicit-def: $vgpr14
                                        ; implicit-def: $vgpr12
                                        ; implicit-def: $vgpr0
                                        ; implicit-def: $vgpr16
                                        ; implicit-def: $vgpr1
                                        ; implicit-def: $vgpr3
	s_or_saveexec_b32 s51, s0
                                        ; implicit-def: $vgpr38_vgpr39
                                        ; implicit-def: $sgpr0
	s_delay_alu instid0(SALU_CYCLE_1)
	s_xor_b32 exec_lo, exec_lo, s51
	s_cbranch_execz .LBB119_5084
	s_branch .LBB119_4410
.LBB119_4703:
	s_mov_b32 s0, -1
	s_mov_b32 s9, 0
.LBB119_4704:
                                        ; implicit-def: $vgpr22
.LBB119_4705:
	s_and_b32 vcc_lo, exec_lo, s24
	s_cbranch_vccz .LBB119_4709
; %bb.4706:
	s_cmp_eq_u32 s59, 44
	s_cbranch_scc0 .LBB119_4708
; %bb.4707:
	global_load_u8 v11, v[24:25], off
	s_mov_b32 s0, 0
	s_mov_b32 s9, -1
	s_wait_loadcnt 0x0
	v_lshlrev_b32_e32 v13, 23, v11
	v_cmp_ne_u32_e32 vcc_lo, 0, v11
	s_delay_alu instid0(VALU_DEP_2) | instskip(NEXT) | instid1(VALU_DEP_1)
	v_cvt_i32_f32_e32 v13, v13
	v_cndmask_b32_e32 v22, 0, v13, vcc_lo
	s_branch .LBB119_4709
.LBB119_4708:
	s_mov_b32 s0, -1
                                        ; implicit-def: $vgpr22
.LBB119_4709:
	s_mov_b32 s24, 0
.LBB119_4710:
	s_delay_alu instid0(SALU_CYCLE_1)
	s_and_b32 vcc_lo, exec_lo, s24
	s_cbranch_vccz .LBB119_4714
; %bb.4711:
	s_cmp_eq_u32 s59, 29
	s_cbranch_scc0 .LBB119_4713
; %bb.4712:
	global_load_b32 v22, v[24:25], off
	s_mov_b32 s0, 0
	s_mov_b32 s9, -1
	s_branch .LBB119_4714
.LBB119_4713:
	s_mov_b32 s0, -1
                                        ; implicit-def: $vgpr22
.LBB119_4714:
	s_mov_b32 s24, 0
.LBB119_4715:
	s_delay_alu instid0(SALU_CYCLE_1)
	s_and_b32 vcc_lo, exec_lo, s24
	s_cbranch_vccz .LBB119_4731
; %bb.4716:
	s_cmp_lt_i32 s59, 27
	s_cbranch_scc1 .LBB119_4719
; %bb.4717:
	s_cmp_gt_i32 s59, 27
	s_cbranch_scc0 .LBB119_4720
; %bb.4718:
	s_wait_loadcnt 0x0
	global_load_b32 v22, v[24:25], off
	s_mov_b32 s9, 0
	s_branch .LBB119_4721
.LBB119_4719:
	s_mov_b32 s9, -1
                                        ; implicit-def: $vgpr22
	s_branch .LBB119_4724
.LBB119_4720:
	s_mov_b32 s9, -1
                                        ; implicit-def: $vgpr22
.LBB119_4721:
	s_delay_alu instid0(SALU_CYCLE_1)
	s_and_not1_b32 vcc_lo, exec_lo, s9
	s_cbranch_vccnz .LBB119_4723
; %bb.4722:
	s_wait_loadcnt 0x0
	global_load_u16 v22, v[24:25], off
.LBB119_4723:
	s_mov_b32 s9, 0
.LBB119_4724:
	s_delay_alu instid0(SALU_CYCLE_1)
	s_and_not1_b32 vcc_lo, exec_lo, s9
	s_cbranch_vccnz .LBB119_4730
; %bb.4725:
	global_load_u8 v11, v[24:25], off
	s_mov_b32 s24, 0
	s_mov_b32 s9, exec_lo
	s_wait_loadcnt 0x0
	v_cmpx_lt_i16_e32 0x7f, v11
	s_xor_b32 s9, exec_lo, s9
	s_cbranch_execz .LBB119_4742
; %bb.4726:
	v_cmp_ne_u16_e32 vcc_lo, 0x80, v11
	s_and_b32 s24, vcc_lo, exec_lo
	s_and_not1_saveexec_b32 s9, s9
	s_cbranch_execnz .LBB119_4743
.LBB119_4727:
	s_or_b32 exec_lo, exec_lo, s9
	v_mov_b32_e32 v22, 0
	s_and_saveexec_b32 s9, s24
	s_cbranch_execz .LBB119_4729
.LBB119_4728:
	v_and_b32_e32 v13, 0xffff, v11
	s_delay_alu instid0(VALU_DEP_1) | instskip(SKIP_1) | instid1(VALU_DEP_2)
	v_dual_lshlrev_b32 v11, 24, v11 :: v_dual_bitop2_b32 v15, 7, v13 bitop3:0x40
	v_bfe_u32 v21, v13, 3, 4
	v_and_b32_e32 v11, 0x80000000, v11
	s_delay_alu instid0(VALU_DEP_3) | instskip(NEXT) | instid1(VALU_DEP_3)
	v_clz_i32_u32_e32 v17, v15
	v_cmp_eq_u32_e32 vcc_lo, 0, v21
	s_delay_alu instid0(VALU_DEP_2) | instskip(NEXT) | instid1(VALU_DEP_1)
	v_min_u32_e32 v17, 32, v17
	v_subrev_nc_u32_e32 v19, 28, v17
	v_sub_nc_u32_e32 v17, 29, v17
	s_delay_alu instid0(VALU_DEP_2) | instskip(NEXT) | instid1(VALU_DEP_2)
	v_lshlrev_b32_e32 v13, v19, v13
	v_cndmask_b32_e32 v17, v21, v17, vcc_lo
	s_delay_alu instid0(VALU_DEP_2) | instskip(NEXT) | instid1(VALU_DEP_1)
	v_and_b32_e32 v13, 7, v13
	v_cndmask_b32_e32 v13, v15, v13, vcc_lo
	s_delay_alu instid0(VALU_DEP_3) | instskip(NEXT) | instid1(VALU_DEP_2)
	v_lshl_add_u32 v15, v17, 23, 0x3b800000
	v_lshlrev_b32_e32 v13, 20, v13
	s_delay_alu instid0(VALU_DEP_1) | instskip(NEXT) | instid1(VALU_DEP_1)
	v_or3_b32 v11, v11, v15, v13
	v_cvt_i32_f32_e32 v22, v11
.LBB119_4729:
	s_or_b32 exec_lo, exec_lo, s9
.LBB119_4730:
	s_mov_b32 s9, -1
.LBB119_4731:
	s_mov_b32 s24, 0
.LBB119_4732:
	s_delay_alu instid0(SALU_CYCLE_1)
	s_and_b32 vcc_lo, exec_lo, s24
	s_cbranch_vccz .LBB119_4763
; %bb.4733:
	s_cmp_gt_i32 s59, 22
	s_cbranch_scc0 .LBB119_4741
; %bb.4734:
	s_cmp_lt_i32 s59, 24
	s_cbranch_scc1 .LBB119_4744
; %bb.4735:
	s_cmp_gt_i32 s59, 24
	s_cbranch_scc0 .LBB119_4745
; %bb.4736:
	global_load_u8 v11, v[24:25], off
	s_mov_b32 s9, 0
	s_mov_b32 s1, exec_lo
	s_wait_loadcnt 0x0
	v_cmpx_lt_i16_e32 0x7f, v11
	s_xor_b32 s1, exec_lo, s1
	s_cbranch_execz .LBB119_4757
; %bb.4737:
	v_cmp_ne_u16_e32 vcc_lo, 0x80, v11
	s_and_b32 s9, vcc_lo, exec_lo
	s_and_not1_saveexec_b32 s1, s1
	s_cbranch_execnz .LBB119_4758
.LBB119_4738:
	s_or_b32 exec_lo, exec_lo, s1
	v_mov_b32_e32 v22, 0
	s_and_saveexec_b32 s1, s9
	s_cbranch_execz .LBB119_4740
.LBB119_4739:
	v_and_b32_e32 v13, 0xffff, v11
	s_delay_alu instid0(VALU_DEP_1) | instskip(SKIP_1) | instid1(VALU_DEP_2)
	v_dual_lshlrev_b32 v11, 24, v11 :: v_dual_bitop2_b32 v15, 3, v13 bitop3:0x40
	v_bfe_u32 v21, v13, 2, 5
	v_and_b32_e32 v11, 0x80000000, v11
	s_delay_alu instid0(VALU_DEP_3) | instskip(NEXT) | instid1(VALU_DEP_3)
	v_clz_i32_u32_e32 v17, v15
	v_cmp_eq_u32_e32 vcc_lo, 0, v21
	s_delay_alu instid0(VALU_DEP_2) | instskip(NEXT) | instid1(VALU_DEP_1)
	v_min_u32_e32 v17, 32, v17
	v_subrev_nc_u32_e32 v19, 29, v17
	v_sub_nc_u32_e32 v17, 30, v17
	s_delay_alu instid0(VALU_DEP_2) | instskip(NEXT) | instid1(VALU_DEP_2)
	v_lshlrev_b32_e32 v13, v19, v13
	v_cndmask_b32_e32 v17, v21, v17, vcc_lo
	s_delay_alu instid0(VALU_DEP_2) | instskip(NEXT) | instid1(VALU_DEP_1)
	v_and_b32_e32 v13, 3, v13
	v_cndmask_b32_e32 v13, v15, v13, vcc_lo
	s_delay_alu instid0(VALU_DEP_3) | instskip(NEXT) | instid1(VALU_DEP_2)
	v_lshl_add_u32 v15, v17, 23, 0x37800000
	v_lshlrev_b32_e32 v13, 21, v13
	s_delay_alu instid0(VALU_DEP_1) | instskip(NEXT) | instid1(VALU_DEP_1)
	v_or3_b32 v11, v11, v15, v13
	v_cvt_i32_f32_e32 v22, v11
.LBB119_4740:
	s_or_b32 exec_lo, exec_lo, s1
	s_mov_b32 s1, 0
	s_branch .LBB119_4746
.LBB119_4741:
	s_mov_b32 s1, -1
                                        ; implicit-def: $vgpr22
	s_branch .LBB119_4752
.LBB119_4742:
	s_and_not1_saveexec_b32 s9, s9
	s_cbranch_execz .LBB119_4727
.LBB119_4743:
	v_cmp_ne_u16_e32 vcc_lo, 0, v11
	s_and_not1_b32 s24, s24, exec_lo
	s_and_b32 s25, vcc_lo, exec_lo
	s_delay_alu instid0(SALU_CYCLE_1)
	s_or_b32 s24, s24, s25
	s_or_b32 exec_lo, exec_lo, s9
	v_mov_b32_e32 v22, 0
	s_and_saveexec_b32 s9, s24
	s_cbranch_execnz .LBB119_4728
	s_branch .LBB119_4729
.LBB119_4744:
	s_mov_b32 s1, -1
                                        ; implicit-def: $vgpr22
	s_branch .LBB119_4749
.LBB119_4745:
	s_mov_b32 s1, -1
                                        ; implicit-def: $vgpr22
.LBB119_4746:
	s_delay_alu instid0(SALU_CYCLE_1)
	s_and_b32 vcc_lo, exec_lo, s1
	s_cbranch_vccz .LBB119_4748
; %bb.4747:
	global_load_u8 v11, v[24:25], off
	s_wait_loadcnt 0x0
	v_lshlrev_b32_e32 v11, 24, v11
	s_delay_alu instid0(VALU_DEP_1) | instskip(NEXT) | instid1(VALU_DEP_1)
	v_and_b32_e32 v13, 0x7f000000, v11
	v_clz_i32_u32_e32 v15, v13
	v_add_nc_u32_e32 v19, 0x1000000, v13
	v_cmp_ne_u32_e32 vcc_lo, 0, v13
	s_delay_alu instid0(VALU_DEP_3) | instskip(NEXT) | instid1(VALU_DEP_1)
	v_min_u32_e32 v15, 32, v15
	v_sub_nc_u32_e64 v15, v15, 4 clamp
	s_delay_alu instid0(VALU_DEP_1) | instskip(NEXT) | instid1(VALU_DEP_1)
	v_dual_lshlrev_b32 v17, v15, v13 :: v_dual_lshlrev_b32 v15, 23, v15
	v_lshrrev_b32_e32 v17, 4, v17
	s_delay_alu instid0(VALU_DEP_1) | instskip(SKIP_1) | instid1(VALU_DEP_2)
	v_sub_nc_u32_e32 v15, v17, v15
	v_ashrrev_i32_e32 v17, 8, v19
	v_add_nc_u32_e32 v15, 0x3c000000, v15
	s_delay_alu instid0(VALU_DEP_1) | instskip(NEXT) | instid1(VALU_DEP_1)
	v_and_or_b32 v15, 0x7f800000, v17, v15
	v_cndmask_b32_e32 v13, 0, v15, vcc_lo
	s_delay_alu instid0(VALU_DEP_1) | instskip(NEXT) | instid1(VALU_DEP_1)
	v_and_or_b32 v11, 0x80000000, v11, v13
	v_cvt_i32_f32_e32 v22, v11
.LBB119_4748:
	s_mov_b32 s1, 0
.LBB119_4749:
	s_delay_alu instid0(SALU_CYCLE_1)
	s_and_not1_b32 vcc_lo, exec_lo, s1
	s_cbranch_vccnz .LBB119_4751
; %bb.4750:
	global_load_u8 v11, v[24:25], off
	s_wait_loadcnt 0x0
	v_lshlrev_b32_e32 v13, 25, v11
	v_lshlrev_b16 v11, 8, v11
	s_delay_alu instid0(VALU_DEP_1) | instskip(SKIP_1) | instid1(VALU_DEP_2)
	v_and_or_b32 v17, 0x7f00, v11, 0.5
	v_bfe_i32 v11, v11, 0, 16
	v_add_f32_e32 v17, -0.5, v17
	v_lshrrev_b32_e32 v15, 4, v13
	v_cmp_gt_u32_e32 vcc_lo, 0x8000000, v13
	s_delay_alu instid0(VALU_DEP_2) | instskip(NEXT) | instid1(VALU_DEP_1)
	v_or_b32_e32 v15, 0x70000000, v15
	v_mul_f32_e32 v15, 0x7800000, v15
	s_delay_alu instid0(VALU_DEP_1) | instskip(NEXT) | instid1(VALU_DEP_1)
	v_cndmask_b32_e32 v13, v15, v17, vcc_lo
	v_and_or_b32 v11, 0x80000000, v11, v13
	s_delay_alu instid0(VALU_DEP_1)
	v_cvt_i32_f32_e32 v22, v11
.LBB119_4751:
	s_mov_b32 s1, 0
	s_mov_b32 s9, -1
.LBB119_4752:
	s_and_not1_b32 vcc_lo, exec_lo, s1
	s_mov_b32 s1, 0
	s_cbranch_vccnz .LBB119_4763
; %bb.4753:
	s_cmp_gt_i32 s59, 14
	s_cbranch_scc0 .LBB119_4756
; %bb.4754:
	s_cmp_eq_u32 s59, 15
	s_cbranch_scc0 .LBB119_4759
; %bb.4755:
	global_load_u16 v11, v[24:25], off
	s_mov_b32 s0, 0
	s_mov_b32 s9, -1
	s_wait_loadcnt 0x0
	v_lshlrev_b32_e32 v11, 16, v11
	s_delay_alu instid0(VALU_DEP_1)
	v_cvt_i32_f32_e32 v22, v11
	s_branch .LBB119_4761
.LBB119_4756:
	s_mov_b32 s1, -1
	s_branch .LBB119_4760
.LBB119_4757:
	s_and_not1_saveexec_b32 s1, s1
	s_cbranch_execz .LBB119_4738
.LBB119_4758:
	v_cmp_ne_u16_e32 vcc_lo, 0, v11
	s_and_not1_b32 s9, s9, exec_lo
	s_and_b32 s24, vcc_lo, exec_lo
	s_delay_alu instid0(SALU_CYCLE_1)
	s_or_b32 s9, s9, s24
	s_or_b32 exec_lo, exec_lo, s1
	v_mov_b32_e32 v22, 0
	s_and_saveexec_b32 s1, s9
	s_cbranch_execnz .LBB119_4739
	s_branch .LBB119_4740
.LBB119_4759:
	s_mov_b32 s0, -1
.LBB119_4760:
                                        ; implicit-def: $vgpr22
.LBB119_4761:
	s_and_b32 vcc_lo, exec_lo, s1
	s_mov_b32 s1, 0
	s_cbranch_vccz .LBB119_4763
; %bb.4762:
	s_cmp_lg_u32 s59, 11
	s_mov_b32 s1, -1
	s_cselect_b32 s0, -1, 0
.LBB119_4763:
	s_delay_alu instid0(SALU_CYCLE_1)
	s_and_b32 vcc_lo, exec_lo, s0
	s_cbranch_vccnz .LBB119_4828
; %bb.4764:
	s_and_not1_b32 vcc_lo, exec_lo, s1
	s_cbranch_vccnz .LBB119_4766
.LBB119_4765:
	global_load_u8 v11, v[24:25], off
	s_mov_b32 s9, -1
	s_wait_loadcnt 0x0
	v_cmp_ne_u16_e32 vcc_lo, 0, v11
	v_cndmask_b32_e64 v22, 0, 1, vcc_lo
.LBB119_4766:
	s_mov_b32 s0, 0
.LBB119_4767:
	s_delay_alu instid0(SALU_CYCLE_1)
	s_and_b32 vcc_lo, exec_lo, s0
	s_cbranch_vccz .LBB119_4816
; %bb.4768:
	s_cmp_lt_i32 s59, 5
	s_cbranch_scc1 .LBB119_4773
; %bb.4769:
	s_cmp_lt_i32 s59, 8
	s_cbranch_scc1 .LBB119_4774
	;; [unrolled: 3-line block ×3, first 2 shown]
; %bb.4771:
	s_cmp_gt_i32 s59, 9
	s_cbranch_scc0 .LBB119_4776
; %bb.4772:
	s_wait_loadcnt 0x0
	global_load_b64 v[22:23], v[24:25], off
	s_mov_b32 s0, 0
	s_wait_loadcnt 0x0
	v_cvt_i32_f64_e32 v22, v[22:23]
	s_branch .LBB119_4777
.LBB119_4773:
	s_mov_b32 s0, -1
                                        ; implicit-def: $vgpr22
	s_branch .LBB119_4795
.LBB119_4774:
	s_mov_b32 s0, -1
                                        ; implicit-def: $vgpr22
	s_branch .LBB119_4783
.LBB119_4775:
	s_mov_b32 s0, -1
                                        ; implicit-def: $vgpr22
	s_branch .LBB119_4780
.LBB119_4776:
	s_mov_b32 s0, -1
                                        ; implicit-def: $vgpr22
.LBB119_4777:
	s_delay_alu instid0(SALU_CYCLE_1)
	s_and_not1_b32 vcc_lo, exec_lo, s0
	s_cbranch_vccnz .LBB119_4779
; %bb.4778:
	global_load_b32 v11, v[24:25], off
	s_wait_loadcnt 0x0
	v_cvt_i32_f32_e32 v22, v11
.LBB119_4779:
	s_mov_b32 s0, 0
.LBB119_4780:
	s_delay_alu instid0(SALU_CYCLE_1)
	s_and_not1_b32 vcc_lo, exec_lo, s0
	s_cbranch_vccnz .LBB119_4782
; %bb.4781:
	global_load_b32 v11, v[24:25], off
	s_wait_loadcnt 0x0
	v_cvt_f32_f16_e32 v11, v11
	s_delay_alu instid0(VALU_DEP_1)
	v_cvt_i32_f32_e32 v22, v11
.LBB119_4782:
	s_mov_b32 s0, 0
.LBB119_4783:
	s_delay_alu instid0(SALU_CYCLE_1)
	s_and_not1_b32 vcc_lo, exec_lo, s0
	s_cbranch_vccnz .LBB119_4794
; %bb.4784:
	s_cmp_lt_i32 s59, 6
	s_cbranch_scc1 .LBB119_4787
; %bb.4785:
	s_cmp_gt_i32 s59, 6
	s_cbranch_scc0 .LBB119_4788
; %bb.4786:
	s_wait_loadcnt 0x0
	global_load_b64 v[22:23], v[24:25], off
	s_mov_b32 s0, 0
	s_wait_loadcnt 0x0
	v_cvt_i32_f64_e32 v22, v[22:23]
	s_branch .LBB119_4789
.LBB119_4787:
	s_mov_b32 s0, -1
                                        ; implicit-def: $vgpr22
	s_branch .LBB119_4792
.LBB119_4788:
	s_mov_b32 s0, -1
                                        ; implicit-def: $vgpr22
.LBB119_4789:
	s_delay_alu instid0(SALU_CYCLE_1)
	s_and_not1_b32 vcc_lo, exec_lo, s0
	s_cbranch_vccnz .LBB119_4791
; %bb.4790:
	global_load_b32 v11, v[24:25], off
	s_wait_loadcnt 0x0
	v_cvt_i32_f32_e32 v22, v11
.LBB119_4791:
	s_mov_b32 s0, 0
.LBB119_4792:
	s_delay_alu instid0(SALU_CYCLE_1)
	s_and_not1_b32 vcc_lo, exec_lo, s0
	s_cbranch_vccnz .LBB119_4794
; %bb.4793:
	global_load_u16 v11, v[24:25], off
	s_wait_loadcnt 0x0
	v_cvt_f32_f16_e32 v11, v11
	s_delay_alu instid0(VALU_DEP_1)
	v_cvt_i32_f32_e32 v22, v11
.LBB119_4794:
	s_mov_b32 s0, 0
.LBB119_4795:
	s_delay_alu instid0(SALU_CYCLE_1)
	s_and_not1_b32 vcc_lo, exec_lo, s0
	s_cbranch_vccnz .LBB119_4815
; %bb.4796:
	s_cmp_lt_i32 s59, 2
	s_cbranch_scc1 .LBB119_4800
; %bb.4797:
	s_cmp_lt_i32 s59, 3
	s_cbranch_scc1 .LBB119_4801
; %bb.4798:
	s_cmp_gt_i32 s59, 3
	s_cbranch_scc0 .LBB119_4802
; %bb.4799:
	s_wait_loadcnt 0x0
	global_load_b32 v22, v[24:25], off
	s_mov_b32 s0, 0
	s_branch .LBB119_4803
.LBB119_4800:
	s_mov_b32 s0, -1
                                        ; implicit-def: $vgpr22
	s_branch .LBB119_4809
.LBB119_4801:
	s_mov_b32 s0, -1
                                        ; implicit-def: $vgpr22
	s_branch .LBB119_4806
.LBB119_4802:
	s_mov_b32 s0, -1
                                        ; implicit-def: $vgpr22
.LBB119_4803:
	s_delay_alu instid0(SALU_CYCLE_1)
	s_and_not1_b32 vcc_lo, exec_lo, s0
	s_cbranch_vccnz .LBB119_4805
; %bb.4804:
	s_wait_loadcnt 0x0
	global_load_b32 v22, v[24:25], off
.LBB119_4805:
	s_mov_b32 s0, 0
.LBB119_4806:
	s_delay_alu instid0(SALU_CYCLE_1)
	s_and_not1_b32 vcc_lo, exec_lo, s0
	s_cbranch_vccnz .LBB119_4808
; %bb.4807:
	s_wait_loadcnt 0x0
	global_load_i16 v22, v[24:25], off
.LBB119_4808:
	s_mov_b32 s0, 0
.LBB119_4809:
	s_delay_alu instid0(SALU_CYCLE_1)
	s_and_not1_b32 vcc_lo, exec_lo, s0
	s_cbranch_vccnz .LBB119_4815
; %bb.4810:
	s_cmp_gt_i32 s59, 0
	s_mov_b32 s0, 0
	s_cbranch_scc0 .LBB119_4812
; %bb.4811:
	s_wait_loadcnt 0x0
	global_load_i8 v22, v[24:25], off
	s_branch .LBB119_4813
.LBB119_4812:
	s_mov_b32 s0, -1
                                        ; implicit-def: $vgpr22
.LBB119_4813:
	s_delay_alu instid0(SALU_CYCLE_1)
	s_and_not1_b32 vcc_lo, exec_lo, s0
	s_cbranch_vccnz .LBB119_4815
; %bb.4814:
	s_wait_loadcnt 0x0
	global_load_u8 v22, v[24:25], off
.LBB119_4815:
	s_mov_b32 s9, -1
.LBB119_4816:
	s_delay_alu instid0(SALU_CYCLE_1)
	s_and_not1_b32 vcc_lo, exec_lo, s9
	s_cbranch_vccnz .LBB119_5080
; %bb.4817:
	v_mov_b32_e32 v21, 0
	s_cmp_lt_i32 s60, 11
	s_wait_xcnt 0x0
	s_delay_alu instid0(VALU_DEP_1)
	v_add_nc_u64_e32 v[24:25], s[16:17], v[20:21]
	s_cbranch_scc1 .LBB119_4824
; %bb.4818:
	s_cmp_gt_i32 s60, 25
	s_mov_b32 s1, 0
	s_cbranch_scc0 .LBB119_4825
; %bb.4819:
	s_cmp_gt_i32 s60, 28
	s_cbranch_scc0 .LBB119_4826
; %bb.4820:
	s_cmp_gt_i32 s60, 43
	;; [unrolled: 3-line block ×3, first 2 shown]
	s_cbranch_scc0 .LBB119_4829
; %bb.4822:
	s_cmp_eq_u32 s60, 46
	s_mov_b32 s24, 0
	s_cbranch_scc0 .LBB119_4831
; %bb.4823:
	global_load_b32 v11, v[24:25], off
	s_mov_b32 s0, 0
	s_mov_b32 s9, -1
	s_wait_loadcnt 0x0
	v_lshlrev_b32_e32 v11, 16, v11
	s_delay_alu instid0(VALU_DEP_1)
	v_cvt_i32_f32_e32 v20, v11
	s_branch .LBB119_4833
.LBB119_4824:
	s_mov_b32 s0, -1
	s_mov_b32 s9, 0
                                        ; implicit-def: $vgpr20
	s_branch .LBB119_4895
.LBB119_4825:
	s_mov_b32 s24, -1
	s_mov_b32 s9, 0
	s_mov_b32 s0, 0
                                        ; implicit-def: $vgpr20
	s_branch .LBB119_4860
.LBB119_4826:
	s_mov_b32 s24, -1
	s_mov_b32 s9, 0
	s_mov_b32 s0, 0
                                        ; implicit-def: $vgpr20
	s_branch .LBB119_4843
.LBB119_4827:
	s_mov_b32 s24, -1
	s_mov_b32 s9, 0
	s_mov_b32 s0, 0
                                        ; implicit-def: $vgpr20
	s_branch .LBB119_4838
.LBB119_4828:
	s_or_b32 s56, s56, exec_lo
	s_trap 2
	s_cbranch_execz .LBB119_4765
	s_branch .LBB119_4766
.LBB119_4829:
	s_mov_b32 s24, -1
	s_mov_b32 s9, 0
	s_mov_b32 s0, 0
	s_branch .LBB119_4832
.LBB119_4830:
	s_or_b32 s52, s50, exec_lo
	s_trap 2
                                        ; implicit-def: $vgpr32
                                        ; implicit-def: $vgpr30
                                        ; implicit-def: $vgpr34
                                        ; implicit-def: $vgpr5
                                        ; implicit-def: $vgpr6
                                        ; implicit-def: $vgpr4
                                        ; implicit-def: $vgpr20
                                        ; implicit-def: $vgpr18
                                        ; implicit-def: $vgpr24
                                        ; implicit-def: $vgpr22
                                        ; implicit-def: $vgpr2
                                        ; implicit-def: $vgpr26
                                        ; implicit-def: $vgpr10
                                        ; implicit-def: $vgpr8
                                        ; implicit-def: $vgpr14
                                        ; implicit-def: $vgpr12
                                        ; implicit-def: $vgpr0
                                        ; implicit-def: $vgpr16
                                        ; implicit-def: $vgpr1
                                        ; implicit-def: $vgpr3
	s_or_saveexec_b32 s53, s0
	s_mov_b32 s1, 0
                                        ; implicit-def: $vgpr38_vgpr39
                                        ; implicit-def: $sgpr0
	s_xor_b32 exec_lo, exec_lo, s53
	s_cbranch_execz .LBB119_5083
	s_branch .LBB119_4412
.LBB119_4831:
	s_mov_b32 s0, -1
	s_mov_b32 s9, 0
.LBB119_4832:
                                        ; implicit-def: $vgpr20
.LBB119_4833:
	s_and_b32 vcc_lo, exec_lo, s24
	s_cbranch_vccz .LBB119_4837
; %bb.4834:
	s_cmp_eq_u32 s60, 44
	s_cbranch_scc0 .LBB119_4836
; %bb.4835:
	global_load_u8 v11, v[24:25], off
	s_mov_b32 s0, 0
	s_mov_b32 s9, -1
	s_wait_loadcnt 0x0
	v_lshlrev_b32_e32 v13, 23, v11
	v_cmp_ne_u32_e32 vcc_lo, 0, v11
	s_delay_alu instid0(VALU_DEP_2) | instskip(NEXT) | instid1(VALU_DEP_1)
	v_cvt_i32_f32_e32 v13, v13
	v_cndmask_b32_e32 v20, 0, v13, vcc_lo
	s_branch .LBB119_4837
.LBB119_4836:
	s_mov_b32 s0, -1
                                        ; implicit-def: $vgpr20
.LBB119_4837:
	s_mov_b32 s24, 0
.LBB119_4838:
	s_delay_alu instid0(SALU_CYCLE_1)
	s_and_b32 vcc_lo, exec_lo, s24
	s_cbranch_vccz .LBB119_4842
; %bb.4839:
	s_cmp_eq_u32 s60, 29
	s_cbranch_scc0 .LBB119_4841
; %bb.4840:
	global_load_b32 v20, v[24:25], off
	s_mov_b32 s0, 0
	s_mov_b32 s9, -1
	s_branch .LBB119_4842
.LBB119_4841:
	s_mov_b32 s0, -1
                                        ; implicit-def: $vgpr20
.LBB119_4842:
	s_mov_b32 s24, 0
.LBB119_4843:
	s_delay_alu instid0(SALU_CYCLE_1)
	s_and_b32 vcc_lo, exec_lo, s24
	s_cbranch_vccz .LBB119_4859
; %bb.4844:
	s_cmp_lt_i32 s60, 27
	s_cbranch_scc1 .LBB119_4847
; %bb.4845:
	s_cmp_gt_i32 s60, 27
	s_cbranch_scc0 .LBB119_4848
; %bb.4846:
	s_wait_loadcnt 0x0
	global_load_b32 v20, v[24:25], off
	s_mov_b32 s9, 0
	s_branch .LBB119_4849
.LBB119_4847:
	s_mov_b32 s9, -1
                                        ; implicit-def: $vgpr20
	s_branch .LBB119_4852
.LBB119_4848:
	s_mov_b32 s9, -1
                                        ; implicit-def: $vgpr20
.LBB119_4849:
	s_delay_alu instid0(SALU_CYCLE_1)
	s_and_not1_b32 vcc_lo, exec_lo, s9
	s_cbranch_vccnz .LBB119_4851
; %bb.4850:
	s_wait_loadcnt 0x0
	global_load_u16 v20, v[24:25], off
.LBB119_4851:
	s_mov_b32 s9, 0
.LBB119_4852:
	s_delay_alu instid0(SALU_CYCLE_1)
	s_and_not1_b32 vcc_lo, exec_lo, s9
	s_cbranch_vccnz .LBB119_4858
; %bb.4853:
	global_load_u8 v11, v[24:25], off
	s_mov_b32 s24, 0
	s_mov_b32 s9, exec_lo
	s_wait_loadcnt 0x0
	v_cmpx_lt_i16_e32 0x7f, v11
	s_xor_b32 s9, exec_lo, s9
	s_cbranch_execz .LBB119_4870
; %bb.4854:
	v_cmp_ne_u16_e32 vcc_lo, 0x80, v11
	s_and_b32 s24, vcc_lo, exec_lo
	s_and_not1_saveexec_b32 s9, s9
	s_cbranch_execnz .LBB119_4871
.LBB119_4855:
	s_or_b32 exec_lo, exec_lo, s9
	v_mov_b32_e32 v20, 0
	s_and_saveexec_b32 s9, s24
	s_cbranch_execz .LBB119_4857
.LBB119_4856:
	v_and_b32_e32 v13, 0xffff, v11
	s_delay_alu instid0(VALU_DEP_1) | instskip(SKIP_1) | instid1(VALU_DEP_2)
	v_dual_lshlrev_b32 v11, 24, v11 :: v_dual_bitop2_b32 v15, 7, v13 bitop3:0x40
	v_bfe_u32 v20, v13, 3, 4
	v_and_b32_e32 v11, 0x80000000, v11
	s_delay_alu instid0(VALU_DEP_3) | instskip(NEXT) | instid1(VALU_DEP_3)
	v_clz_i32_u32_e32 v17, v15
	v_cmp_eq_u32_e32 vcc_lo, 0, v20
	s_delay_alu instid0(VALU_DEP_2) | instskip(NEXT) | instid1(VALU_DEP_1)
	v_min_u32_e32 v17, 32, v17
	v_subrev_nc_u32_e32 v19, 28, v17
	v_sub_nc_u32_e32 v17, 29, v17
	s_delay_alu instid0(VALU_DEP_2) | instskip(NEXT) | instid1(VALU_DEP_2)
	v_lshlrev_b32_e32 v13, v19, v13
	v_cndmask_b32_e32 v17, v20, v17, vcc_lo
	s_delay_alu instid0(VALU_DEP_2) | instskip(NEXT) | instid1(VALU_DEP_1)
	v_and_b32_e32 v13, 7, v13
	v_cndmask_b32_e32 v13, v15, v13, vcc_lo
	s_delay_alu instid0(VALU_DEP_3) | instskip(NEXT) | instid1(VALU_DEP_2)
	v_lshl_add_u32 v15, v17, 23, 0x3b800000
	v_lshlrev_b32_e32 v13, 20, v13
	s_delay_alu instid0(VALU_DEP_1) | instskip(NEXT) | instid1(VALU_DEP_1)
	v_or3_b32 v11, v11, v15, v13
	v_cvt_i32_f32_e32 v20, v11
.LBB119_4857:
	s_or_b32 exec_lo, exec_lo, s9
.LBB119_4858:
	s_mov_b32 s9, -1
.LBB119_4859:
	s_mov_b32 s24, 0
.LBB119_4860:
	s_delay_alu instid0(SALU_CYCLE_1)
	s_and_b32 vcc_lo, exec_lo, s24
	s_cbranch_vccz .LBB119_4891
; %bb.4861:
	s_cmp_gt_i32 s60, 22
	s_cbranch_scc0 .LBB119_4869
; %bb.4862:
	s_cmp_lt_i32 s60, 24
	s_cbranch_scc1 .LBB119_4872
; %bb.4863:
	s_cmp_gt_i32 s60, 24
	s_cbranch_scc0 .LBB119_4873
; %bb.4864:
	global_load_u8 v11, v[24:25], off
	s_mov_b32 s9, 0
	s_mov_b32 s1, exec_lo
	s_wait_loadcnt 0x0
	v_cmpx_lt_i16_e32 0x7f, v11
	s_xor_b32 s1, exec_lo, s1
	s_cbranch_execz .LBB119_4885
; %bb.4865:
	v_cmp_ne_u16_e32 vcc_lo, 0x80, v11
	s_and_b32 s9, vcc_lo, exec_lo
	s_and_not1_saveexec_b32 s1, s1
	s_cbranch_execnz .LBB119_4886
.LBB119_4866:
	s_or_b32 exec_lo, exec_lo, s1
	v_mov_b32_e32 v20, 0
	s_and_saveexec_b32 s1, s9
	s_cbranch_execz .LBB119_4868
.LBB119_4867:
	v_and_b32_e32 v13, 0xffff, v11
	s_delay_alu instid0(VALU_DEP_1) | instskip(SKIP_1) | instid1(VALU_DEP_2)
	v_dual_lshlrev_b32 v11, 24, v11 :: v_dual_bitop2_b32 v15, 3, v13 bitop3:0x40
	v_bfe_u32 v20, v13, 2, 5
	v_and_b32_e32 v11, 0x80000000, v11
	s_delay_alu instid0(VALU_DEP_3) | instskip(NEXT) | instid1(VALU_DEP_3)
	v_clz_i32_u32_e32 v17, v15
	v_cmp_eq_u32_e32 vcc_lo, 0, v20
	s_delay_alu instid0(VALU_DEP_2) | instskip(NEXT) | instid1(VALU_DEP_1)
	v_min_u32_e32 v17, 32, v17
	v_subrev_nc_u32_e32 v19, 29, v17
	v_sub_nc_u32_e32 v17, 30, v17
	s_delay_alu instid0(VALU_DEP_2) | instskip(NEXT) | instid1(VALU_DEP_2)
	v_lshlrev_b32_e32 v13, v19, v13
	v_cndmask_b32_e32 v17, v20, v17, vcc_lo
	s_delay_alu instid0(VALU_DEP_2) | instskip(NEXT) | instid1(VALU_DEP_1)
	v_and_b32_e32 v13, 3, v13
	v_cndmask_b32_e32 v13, v15, v13, vcc_lo
	s_delay_alu instid0(VALU_DEP_3) | instskip(NEXT) | instid1(VALU_DEP_2)
	v_lshl_add_u32 v15, v17, 23, 0x37800000
	v_lshlrev_b32_e32 v13, 21, v13
	s_delay_alu instid0(VALU_DEP_1) | instskip(NEXT) | instid1(VALU_DEP_1)
	v_or3_b32 v11, v11, v15, v13
	v_cvt_i32_f32_e32 v20, v11
.LBB119_4868:
	s_or_b32 exec_lo, exec_lo, s1
	s_mov_b32 s1, 0
	s_branch .LBB119_4874
.LBB119_4869:
	s_mov_b32 s1, -1
                                        ; implicit-def: $vgpr20
	s_branch .LBB119_4880
.LBB119_4870:
	s_and_not1_saveexec_b32 s9, s9
	s_cbranch_execz .LBB119_4855
.LBB119_4871:
	v_cmp_ne_u16_e32 vcc_lo, 0, v11
	s_and_not1_b32 s24, s24, exec_lo
	s_and_b32 s25, vcc_lo, exec_lo
	s_delay_alu instid0(SALU_CYCLE_1)
	s_or_b32 s24, s24, s25
	s_or_b32 exec_lo, exec_lo, s9
	v_mov_b32_e32 v20, 0
	s_and_saveexec_b32 s9, s24
	s_cbranch_execnz .LBB119_4856
	s_branch .LBB119_4857
.LBB119_4872:
	s_mov_b32 s1, -1
                                        ; implicit-def: $vgpr20
	s_branch .LBB119_4877
.LBB119_4873:
	s_mov_b32 s1, -1
                                        ; implicit-def: $vgpr20
.LBB119_4874:
	s_delay_alu instid0(SALU_CYCLE_1)
	s_and_b32 vcc_lo, exec_lo, s1
	s_cbranch_vccz .LBB119_4876
; %bb.4875:
	global_load_u8 v11, v[24:25], off
	s_wait_loadcnt 0x0
	v_lshlrev_b32_e32 v11, 24, v11
	s_delay_alu instid0(VALU_DEP_1) | instskip(NEXT) | instid1(VALU_DEP_1)
	v_and_b32_e32 v13, 0x7f000000, v11
	v_clz_i32_u32_e32 v15, v13
	v_add_nc_u32_e32 v19, 0x1000000, v13
	v_cmp_ne_u32_e32 vcc_lo, 0, v13
	s_delay_alu instid0(VALU_DEP_3) | instskip(NEXT) | instid1(VALU_DEP_1)
	v_min_u32_e32 v15, 32, v15
	v_sub_nc_u32_e64 v15, v15, 4 clamp
	s_delay_alu instid0(VALU_DEP_1) | instskip(NEXT) | instid1(VALU_DEP_1)
	v_dual_lshlrev_b32 v17, v15, v13 :: v_dual_lshlrev_b32 v15, 23, v15
	v_lshrrev_b32_e32 v17, 4, v17
	s_delay_alu instid0(VALU_DEP_1) | instskip(SKIP_1) | instid1(VALU_DEP_2)
	v_sub_nc_u32_e32 v15, v17, v15
	v_ashrrev_i32_e32 v17, 8, v19
	v_add_nc_u32_e32 v15, 0x3c000000, v15
	s_delay_alu instid0(VALU_DEP_1) | instskip(NEXT) | instid1(VALU_DEP_1)
	v_and_or_b32 v15, 0x7f800000, v17, v15
	v_cndmask_b32_e32 v13, 0, v15, vcc_lo
	s_delay_alu instid0(VALU_DEP_1) | instskip(NEXT) | instid1(VALU_DEP_1)
	v_and_or_b32 v11, 0x80000000, v11, v13
	v_cvt_i32_f32_e32 v20, v11
.LBB119_4876:
	s_mov_b32 s1, 0
.LBB119_4877:
	s_delay_alu instid0(SALU_CYCLE_1)
	s_and_not1_b32 vcc_lo, exec_lo, s1
	s_cbranch_vccnz .LBB119_4879
; %bb.4878:
	global_load_u8 v11, v[24:25], off
	s_wait_loadcnt 0x0
	v_lshlrev_b32_e32 v13, 25, v11
	v_lshlrev_b16 v11, 8, v11
	s_delay_alu instid0(VALU_DEP_1) | instskip(SKIP_1) | instid1(VALU_DEP_2)
	v_and_or_b32 v17, 0x7f00, v11, 0.5
	v_bfe_i32 v11, v11, 0, 16
	v_add_f32_e32 v17, -0.5, v17
	v_lshrrev_b32_e32 v15, 4, v13
	v_cmp_gt_u32_e32 vcc_lo, 0x8000000, v13
	s_delay_alu instid0(VALU_DEP_2) | instskip(NEXT) | instid1(VALU_DEP_1)
	v_or_b32_e32 v15, 0x70000000, v15
	v_mul_f32_e32 v15, 0x7800000, v15
	s_delay_alu instid0(VALU_DEP_1) | instskip(NEXT) | instid1(VALU_DEP_1)
	v_cndmask_b32_e32 v13, v15, v17, vcc_lo
	v_and_or_b32 v11, 0x80000000, v11, v13
	s_delay_alu instid0(VALU_DEP_1)
	v_cvt_i32_f32_e32 v20, v11
.LBB119_4879:
	s_mov_b32 s1, 0
	s_mov_b32 s9, -1
.LBB119_4880:
	s_and_not1_b32 vcc_lo, exec_lo, s1
	s_mov_b32 s1, 0
	s_cbranch_vccnz .LBB119_4891
; %bb.4881:
	s_cmp_gt_i32 s60, 14
	s_cbranch_scc0 .LBB119_4884
; %bb.4882:
	s_cmp_eq_u32 s60, 15
	s_cbranch_scc0 .LBB119_4887
; %bb.4883:
	global_load_u16 v11, v[24:25], off
	s_mov_b32 s0, 0
	s_mov_b32 s9, -1
	s_wait_loadcnt 0x0
	v_lshlrev_b32_e32 v11, 16, v11
	s_delay_alu instid0(VALU_DEP_1)
	v_cvt_i32_f32_e32 v20, v11
	s_branch .LBB119_4889
.LBB119_4884:
	s_mov_b32 s1, -1
	s_branch .LBB119_4888
.LBB119_4885:
	s_and_not1_saveexec_b32 s1, s1
	s_cbranch_execz .LBB119_4866
.LBB119_4886:
	v_cmp_ne_u16_e32 vcc_lo, 0, v11
	s_and_not1_b32 s9, s9, exec_lo
	s_and_b32 s24, vcc_lo, exec_lo
	s_delay_alu instid0(SALU_CYCLE_1)
	s_or_b32 s9, s9, s24
	s_or_b32 exec_lo, exec_lo, s1
	v_mov_b32_e32 v20, 0
	s_and_saveexec_b32 s1, s9
	s_cbranch_execnz .LBB119_4867
	s_branch .LBB119_4868
.LBB119_4887:
	s_mov_b32 s0, -1
.LBB119_4888:
                                        ; implicit-def: $vgpr20
.LBB119_4889:
	s_and_b32 vcc_lo, exec_lo, s1
	s_mov_b32 s1, 0
	s_cbranch_vccz .LBB119_4891
; %bb.4890:
	s_cmp_lg_u32 s60, 11
	s_mov_b32 s1, -1
	s_cselect_b32 s0, -1, 0
.LBB119_4891:
	s_delay_alu instid0(SALU_CYCLE_1)
	s_and_b32 vcc_lo, exec_lo, s0
	s_cbranch_vccnz .LBB119_4956
; %bb.4892:
	s_and_not1_b32 vcc_lo, exec_lo, s1
	s_cbranch_vccnz .LBB119_4894
.LBB119_4893:
	global_load_u8 v11, v[24:25], off
	s_mov_b32 s9, -1
	s_wait_loadcnt 0x0
	v_cmp_ne_u16_e32 vcc_lo, 0, v11
	v_cndmask_b32_e64 v20, 0, 1, vcc_lo
.LBB119_4894:
	s_mov_b32 s0, 0
.LBB119_4895:
	s_delay_alu instid0(SALU_CYCLE_1)
	s_and_b32 vcc_lo, exec_lo, s0
	s_cbranch_vccz .LBB119_4944
; %bb.4896:
	s_cmp_lt_i32 s60, 5
	s_cbranch_scc1 .LBB119_4901
; %bb.4897:
	s_cmp_lt_i32 s60, 8
	s_cbranch_scc1 .LBB119_4902
	;; [unrolled: 3-line block ×3, first 2 shown]
; %bb.4899:
	s_cmp_gt_i32 s60, 9
	s_cbranch_scc0 .LBB119_4904
; %bb.4900:
	s_wait_loadcnt 0x0
	global_load_b64 v[20:21], v[24:25], off
	s_mov_b32 s0, 0
	s_wait_loadcnt 0x0
	v_cvt_i32_f64_e32 v20, v[20:21]
	s_branch .LBB119_4905
.LBB119_4901:
	s_mov_b32 s0, -1
                                        ; implicit-def: $vgpr20
	s_branch .LBB119_4923
.LBB119_4902:
	s_mov_b32 s0, -1
                                        ; implicit-def: $vgpr20
	s_branch .LBB119_4911
.LBB119_4903:
	s_mov_b32 s0, -1
                                        ; implicit-def: $vgpr20
	s_branch .LBB119_4908
.LBB119_4904:
	s_mov_b32 s0, -1
                                        ; implicit-def: $vgpr20
.LBB119_4905:
	s_delay_alu instid0(SALU_CYCLE_1)
	s_and_not1_b32 vcc_lo, exec_lo, s0
	s_cbranch_vccnz .LBB119_4907
; %bb.4906:
	global_load_b32 v11, v[24:25], off
	s_wait_loadcnt 0x0
	v_cvt_i32_f32_e32 v20, v11
.LBB119_4907:
	s_mov_b32 s0, 0
.LBB119_4908:
	s_delay_alu instid0(SALU_CYCLE_1)
	s_and_not1_b32 vcc_lo, exec_lo, s0
	s_cbranch_vccnz .LBB119_4910
; %bb.4909:
	global_load_b32 v11, v[24:25], off
	s_wait_loadcnt 0x0
	v_cvt_f32_f16_e32 v11, v11
	s_delay_alu instid0(VALU_DEP_1)
	v_cvt_i32_f32_e32 v20, v11
.LBB119_4910:
	s_mov_b32 s0, 0
.LBB119_4911:
	s_delay_alu instid0(SALU_CYCLE_1)
	s_and_not1_b32 vcc_lo, exec_lo, s0
	s_cbranch_vccnz .LBB119_4922
; %bb.4912:
	s_cmp_lt_i32 s60, 6
	s_cbranch_scc1 .LBB119_4915
; %bb.4913:
	s_cmp_gt_i32 s60, 6
	s_cbranch_scc0 .LBB119_4916
; %bb.4914:
	s_wait_loadcnt 0x0
	global_load_b64 v[20:21], v[24:25], off
	s_mov_b32 s0, 0
	s_wait_loadcnt 0x0
	v_cvt_i32_f64_e32 v20, v[20:21]
	s_branch .LBB119_4917
.LBB119_4915:
	s_mov_b32 s0, -1
                                        ; implicit-def: $vgpr20
	s_branch .LBB119_4920
.LBB119_4916:
	s_mov_b32 s0, -1
                                        ; implicit-def: $vgpr20
.LBB119_4917:
	s_delay_alu instid0(SALU_CYCLE_1)
	s_and_not1_b32 vcc_lo, exec_lo, s0
	s_cbranch_vccnz .LBB119_4919
; %bb.4918:
	global_load_b32 v11, v[24:25], off
	s_wait_loadcnt 0x0
	v_cvt_i32_f32_e32 v20, v11
.LBB119_4919:
	s_mov_b32 s0, 0
.LBB119_4920:
	s_delay_alu instid0(SALU_CYCLE_1)
	s_and_not1_b32 vcc_lo, exec_lo, s0
	s_cbranch_vccnz .LBB119_4922
; %bb.4921:
	global_load_u16 v11, v[24:25], off
	s_wait_loadcnt 0x0
	v_cvt_f32_f16_e32 v11, v11
	s_delay_alu instid0(VALU_DEP_1)
	v_cvt_i32_f32_e32 v20, v11
.LBB119_4922:
	s_mov_b32 s0, 0
.LBB119_4923:
	s_delay_alu instid0(SALU_CYCLE_1)
	s_and_not1_b32 vcc_lo, exec_lo, s0
	s_cbranch_vccnz .LBB119_4943
; %bb.4924:
	s_cmp_lt_i32 s60, 2
	s_cbranch_scc1 .LBB119_4928
; %bb.4925:
	s_cmp_lt_i32 s60, 3
	s_cbranch_scc1 .LBB119_4929
; %bb.4926:
	s_cmp_gt_i32 s60, 3
	s_cbranch_scc0 .LBB119_4930
; %bb.4927:
	s_wait_loadcnt 0x0
	global_load_b32 v20, v[24:25], off
	s_mov_b32 s0, 0
	s_branch .LBB119_4931
.LBB119_4928:
	s_mov_b32 s0, -1
                                        ; implicit-def: $vgpr20
	s_branch .LBB119_4937
.LBB119_4929:
	s_mov_b32 s0, -1
                                        ; implicit-def: $vgpr20
	s_branch .LBB119_4934
.LBB119_4930:
	s_mov_b32 s0, -1
                                        ; implicit-def: $vgpr20
.LBB119_4931:
	s_delay_alu instid0(SALU_CYCLE_1)
	s_and_not1_b32 vcc_lo, exec_lo, s0
	s_cbranch_vccnz .LBB119_4933
; %bb.4932:
	s_wait_loadcnt 0x0
	global_load_b32 v20, v[24:25], off
.LBB119_4933:
	s_mov_b32 s0, 0
.LBB119_4934:
	s_delay_alu instid0(SALU_CYCLE_1)
	s_and_not1_b32 vcc_lo, exec_lo, s0
	s_cbranch_vccnz .LBB119_4936
; %bb.4935:
	s_wait_loadcnt 0x0
	global_load_i16 v20, v[24:25], off
.LBB119_4936:
	s_mov_b32 s0, 0
.LBB119_4937:
	s_delay_alu instid0(SALU_CYCLE_1)
	s_and_not1_b32 vcc_lo, exec_lo, s0
	s_cbranch_vccnz .LBB119_4943
; %bb.4938:
	s_cmp_gt_i32 s60, 0
	s_mov_b32 s0, 0
	s_cbranch_scc0 .LBB119_4940
; %bb.4939:
	s_wait_loadcnt 0x0
	global_load_i8 v20, v[24:25], off
	s_branch .LBB119_4941
.LBB119_4940:
	s_mov_b32 s0, -1
                                        ; implicit-def: $vgpr20
.LBB119_4941:
	s_delay_alu instid0(SALU_CYCLE_1)
	s_and_not1_b32 vcc_lo, exec_lo, s0
	s_cbranch_vccnz .LBB119_4943
; %bb.4942:
	s_wait_loadcnt 0x0
	global_load_u8 v20, v[24:25], off
.LBB119_4943:
	s_mov_b32 s9, -1
.LBB119_4944:
	s_delay_alu instid0(SALU_CYCLE_1)
	s_and_not1_b32 vcc_lo, exec_lo, s9
	s_cbranch_vccnz .LBB119_5080
; %bb.4945:
	v_mov_b32_e32 v19, 0
	s_cmp_lt_i32 s61, 11
	s_delay_alu instid0(VALU_DEP_1)
	v_add_nc_u64_e32 v[18:19], s[18:19], v[18:19]
	s_cbranch_scc1 .LBB119_4952
; %bb.4946:
	s_cmp_gt_i32 s61, 25
	s_mov_b32 s1, 0
	s_cbranch_scc0 .LBB119_4953
; %bb.4947:
	s_cmp_gt_i32 s61, 28
	s_cbranch_scc0 .LBB119_4954
; %bb.4948:
	s_cmp_gt_i32 s61, 43
	;; [unrolled: 3-line block ×3, first 2 shown]
	s_cbranch_scc0 .LBB119_4957
; %bb.4950:
	s_cmp_eq_u32 s61, 46
	s_mov_b32 s24, 0
	s_cbranch_scc0 .LBB119_4958
; %bb.4951:
	global_load_b32 v11, v[18:19], off
	s_mov_b32 s0, 0
	s_mov_b32 s9, -1
	s_wait_loadcnt 0x0
	v_lshlrev_b32_e32 v11, 16, v11
	s_wait_xcnt 0x1
	s_delay_alu instid0(VALU_DEP_1)
	v_cvt_i32_f32_e32 v24, v11
	s_branch .LBB119_4960
.LBB119_4952:
	s_mov_b32 s0, -1
	s_mov_b32 s9, 0
                                        ; implicit-def: $vgpr24
	s_branch .LBB119_5022
.LBB119_4953:
	s_mov_b32 s24, -1
	s_mov_b32 s9, 0
	s_mov_b32 s0, 0
                                        ; implicit-def: $vgpr24
	s_branch .LBB119_4987
.LBB119_4954:
	s_mov_b32 s24, -1
	s_mov_b32 s9, 0
	s_mov_b32 s0, 0
                                        ; implicit-def: $vgpr24
	s_branch .LBB119_4970
.LBB119_4955:
	s_mov_b32 s24, -1
	s_mov_b32 s9, 0
	s_mov_b32 s0, 0
                                        ; implicit-def: $vgpr24
	s_branch .LBB119_4965
.LBB119_4956:
	s_or_b32 s56, s56, exec_lo
	s_trap 2
	s_cbranch_execz .LBB119_4893
	s_branch .LBB119_4894
.LBB119_4957:
	s_mov_b32 s24, -1
	s_mov_b32 s9, 0
	s_mov_b32 s0, 0
	s_branch .LBB119_4959
.LBB119_4958:
	s_mov_b32 s0, -1
	s_mov_b32 s9, 0
.LBB119_4959:
                                        ; implicit-def: $vgpr24
.LBB119_4960:
	s_and_b32 vcc_lo, exec_lo, s24
	s_cbranch_vccz .LBB119_4964
; %bb.4961:
	s_cmp_eq_u32 s61, 44
	s_cbranch_scc0 .LBB119_4963
; %bb.4962:
	global_load_u8 v11, v[18:19], off
	s_mov_b32 s0, 0
	s_mov_b32 s9, -1
	s_wait_loadcnt 0x0
	v_lshlrev_b32_e32 v13, 23, v11
	v_cmp_ne_u32_e32 vcc_lo, 0, v11
	s_delay_alu instid0(VALU_DEP_2) | instskip(SKIP_1) | instid1(VALU_DEP_1)
	v_cvt_i32_f32_e32 v13, v13
	s_wait_xcnt 0x1
	v_cndmask_b32_e32 v24, 0, v13, vcc_lo
	s_branch .LBB119_4964
.LBB119_4963:
	s_mov_b32 s0, -1
                                        ; implicit-def: $vgpr24
.LBB119_4964:
	s_mov_b32 s24, 0
.LBB119_4965:
	s_delay_alu instid0(SALU_CYCLE_1)
	s_and_b32 vcc_lo, exec_lo, s24
	s_cbranch_vccz .LBB119_4969
; %bb.4966:
	s_cmp_eq_u32 s61, 29
	s_cbranch_scc0 .LBB119_4968
; %bb.4967:
	global_load_b32 v24, v[18:19], off
	s_mov_b32 s0, 0
	s_mov_b32 s9, -1
	s_branch .LBB119_4969
.LBB119_4968:
	s_mov_b32 s0, -1
                                        ; implicit-def: $vgpr24
.LBB119_4969:
	s_mov_b32 s24, 0
.LBB119_4970:
	s_delay_alu instid0(SALU_CYCLE_1)
	s_and_b32 vcc_lo, exec_lo, s24
	s_cbranch_vccz .LBB119_4986
; %bb.4971:
	s_cmp_lt_i32 s61, 27
	s_cbranch_scc1 .LBB119_4974
; %bb.4972:
	s_cmp_gt_i32 s61, 27
	s_cbranch_scc0 .LBB119_4975
; %bb.4973:
	s_wait_loadcnt 0x0
	global_load_b32 v24, v[18:19], off
	s_mov_b32 s9, 0
	s_branch .LBB119_4976
.LBB119_4974:
	s_mov_b32 s9, -1
                                        ; implicit-def: $vgpr24
	s_branch .LBB119_4979
.LBB119_4975:
	s_mov_b32 s9, -1
                                        ; implicit-def: $vgpr24
.LBB119_4976:
	s_delay_alu instid0(SALU_CYCLE_1)
	s_and_not1_b32 vcc_lo, exec_lo, s9
	s_cbranch_vccnz .LBB119_4978
; %bb.4977:
	s_wait_loadcnt 0x0
	global_load_u16 v24, v[18:19], off
.LBB119_4978:
	s_mov_b32 s9, 0
.LBB119_4979:
	s_delay_alu instid0(SALU_CYCLE_1)
	s_and_not1_b32 vcc_lo, exec_lo, s9
	s_cbranch_vccnz .LBB119_4985
; %bb.4980:
	global_load_u8 v11, v[18:19], off
	s_mov_b32 s24, 0
	s_mov_b32 s9, exec_lo
	s_wait_loadcnt 0x0
	v_cmpx_lt_i16_e32 0x7f, v11
	s_xor_b32 s9, exec_lo, s9
	s_cbranch_execz .LBB119_4997
; %bb.4981:
	v_cmp_ne_u16_e32 vcc_lo, 0x80, v11
	s_and_b32 s24, vcc_lo, exec_lo
	s_and_not1_saveexec_b32 s9, s9
	s_cbranch_execnz .LBB119_4998
.LBB119_4982:
	s_or_b32 exec_lo, exec_lo, s9
	v_mov_b32_e32 v24, 0
	s_and_saveexec_b32 s9, s24
	s_cbranch_execz .LBB119_4984
.LBB119_4983:
	v_and_b32_e32 v13, 0xffff, v11
	s_delay_alu instid0(VALU_DEP_1) | instskip(SKIP_1) | instid1(VALU_DEP_2)
	v_dual_lshlrev_b32 v11, 24, v11 :: v_dual_bitop2_b32 v15, 7, v13 bitop3:0x40
	v_bfe_u32 v23, v13, 3, 4
	v_and_b32_e32 v11, 0x80000000, v11
	s_delay_alu instid0(VALU_DEP_3) | instskip(NEXT) | instid1(VALU_DEP_3)
	v_clz_i32_u32_e32 v17, v15
	v_cmp_eq_u32_e32 vcc_lo, 0, v23
	s_delay_alu instid0(VALU_DEP_2) | instskip(NEXT) | instid1(VALU_DEP_1)
	v_min_u32_e32 v17, 32, v17
	v_subrev_nc_u32_e32 v21, 28, v17
	v_sub_nc_u32_e32 v17, 29, v17
	s_delay_alu instid0(VALU_DEP_2) | instskip(NEXT) | instid1(VALU_DEP_2)
	v_lshlrev_b32_e32 v13, v21, v13
	v_cndmask_b32_e32 v17, v23, v17, vcc_lo
	s_delay_alu instid0(VALU_DEP_2) | instskip(NEXT) | instid1(VALU_DEP_1)
	v_and_b32_e32 v13, 7, v13
	v_cndmask_b32_e32 v13, v15, v13, vcc_lo
	s_delay_alu instid0(VALU_DEP_3) | instskip(NEXT) | instid1(VALU_DEP_2)
	v_lshl_add_u32 v15, v17, 23, 0x3b800000
	v_lshlrev_b32_e32 v13, 20, v13
	s_delay_alu instid0(VALU_DEP_1) | instskip(NEXT) | instid1(VALU_DEP_1)
	v_or3_b32 v11, v11, v15, v13
	v_cvt_i32_f32_e32 v24, v11
.LBB119_4984:
	s_or_b32 exec_lo, exec_lo, s9
.LBB119_4985:
	s_mov_b32 s9, -1
.LBB119_4986:
	s_mov_b32 s24, 0
.LBB119_4987:
	s_delay_alu instid0(SALU_CYCLE_1)
	s_and_b32 vcc_lo, exec_lo, s24
	s_cbranch_vccz .LBB119_5018
; %bb.4988:
	s_cmp_gt_i32 s61, 22
	s_cbranch_scc0 .LBB119_4996
; %bb.4989:
	s_cmp_lt_i32 s61, 24
	s_cbranch_scc1 .LBB119_4999
; %bb.4990:
	s_cmp_gt_i32 s61, 24
	s_cbranch_scc0 .LBB119_5000
; %bb.4991:
	global_load_u8 v11, v[18:19], off
	s_mov_b32 s9, 0
	s_mov_b32 s1, exec_lo
	s_wait_loadcnt 0x0
	v_cmpx_lt_i16_e32 0x7f, v11
	s_xor_b32 s1, exec_lo, s1
	s_cbranch_execz .LBB119_5012
; %bb.4992:
	v_cmp_ne_u16_e32 vcc_lo, 0x80, v11
	s_and_b32 s9, vcc_lo, exec_lo
	s_and_not1_saveexec_b32 s1, s1
	s_cbranch_execnz .LBB119_5013
.LBB119_4993:
	s_or_b32 exec_lo, exec_lo, s1
	v_mov_b32_e32 v24, 0
	s_and_saveexec_b32 s1, s9
	s_cbranch_execz .LBB119_4995
.LBB119_4994:
	v_and_b32_e32 v13, 0xffff, v11
	s_delay_alu instid0(VALU_DEP_1) | instskip(SKIP_1) | instid1(VALU_DEP_2)
	v_dual_lshlrev_b32 v11, 24, v11 :: v_dual_bitop2_b32 v15, 3, v13 bitop3:0x40
	v_bfe_u32 v23, v13, 2, 5
	v_and_b32_e32 v11, 0x80000000, v11
	s_delay_alu instid0(VALU_DEP_3) | instskip(NEXT) | instid1(VALU_DEP_3)
	v_clz_i32_u32_e32 v17, v15
	v_cmp_eq_u32_e32 vcc_lo, 0, v23
	s_delay_alu instid0(VALU_DEP_2) | instskip(NEXT) | instid1(VALU_DEP_1)
	v_min_u32_e32 v17, 32, v17
	v_subrev_nc_u32_e32 v21, 29, v17
	v_sub_nc_u32_e32 v17, 30, v17
	s_delay_alu instid0(VALU_DEP_2) | instskip(NEXT) | instid1(VALU_DEP_2)
	v_lshlrev_b32_e32 v13, v21, v13
	v_cndmask_b32_e32 v17, v23, v17, vcc_lo
	s_delay_alu instid0(VALU_DEP_2) | instskip(NEXT) | instid1(VALU_DEP_1)
	v_and_b32_e32 v13, 3, v13
	v_cndmask_b32_e32 v13, v15, v13, vcc_lo
	s_delay_alu instid0(VALU_DEP_3) | instskip(NEXT) | instid1(VALU_DEP_2)
	v_lshl_add_u32 v15, v17, 23, 0x37800000
	v_lshlrev_b32_e32 v13, 21, v13
	s_delay_alu instid0(VALU_DEP_1) | instskip(NEXT) | instid1(VALU_DEP_1)
	v_or3_b32 v11, v11, v15, v13
	v_cvt_i32_f32_e32 v24, v11
.LBB119_4995:
	s_or_b32 exec_lo, exec_lo, s1
	s_mov_b32 s1, 0
	s_branch .LBB119_5001
.LBB119_4996:
	s_mov_b32 s1, -1
                                        ; implicit-def: $vgpr24
	s_branch .LBB119_5007
.LBB119_4997:
	s_and_not1_saveexec_b32 s9, s9
	s_cbranch_execz .LBB119_4982
.LBB119_4998:
	v_cmp_ne_u16_e32 vcc_lo, 0, v11
	s_and_not1_b32 s24, s24, exec_lo
	s_and_b32 s25, vcc_lo, exec_lo
	s_delay_alu instid0(SALU_CYCLE_1)
	s_or_b32 s24, s24, s25
	s_or_b32 exec_lo, exec_lo, s9
	v_mov_b32_e32 v24, 0
	s_and_saveexec_b32 s9, s24
	s_cbranch_execnz .LBB119_4983
	s_branch .LBB119_4984
.LBB119_4999:
	s_mov_b32 s1, -1
                                        ; implicit-def: $vgpr24
	s_branch .LBB119_5004
.LBB119_5000:
	s_mov_b32 s1, -1
                                        ; implicit-def: $vgpr24
.LBB119_5001:
	s_delay_alu instid0(SALU_CYCLE_1)
	s_and_b32 vcc_lo, exec_lo, s1
	s_cbranch_vccz .LBB119_5003
; %bb.5002:
	global_load_u8 v11, v[18:19], off
	s_wait_loadcnt 0x0
	v_lshlrev_b32_e32 v11, 24, v11
	s_delay_alu instid0(VALU_DEP_1) | instskip(NEXT) | instid1(VALU_DEP_1)
	v_and_b32_e32 v13, 0x7f000000, v11
	v_clz_i32_u32_e32 v15, v13
	v_add_nc_u32_e32 v21, 0x1000000, v13
	v_cmp_ne_u32_e32 vcc_lo, 0, v13
	s_delay_alu instid0(VALU_DEP_3) | instskip(NEXT) | instid1(VALU_DEP_1)
	v_min_u32_e32 v15, 32, v15
	v_sub_nc_u32_e64 v15, v15, 4 clamp
	s_delay_alu instid0(VALU_DEP_1) | instskip(NEXT) | instid1(VALU_DEP_1)
	v_dual_lshlrev_b32 v17, v15, v13 :: v_dual_lshlrev_b32 v15, 23, v15
	v_lshrrev_b32_e32 v17, 4, v17
	s_delay_alu instid0(VALU_DEP_1) | instskip(NEXT) | instid1(VALU_DEP_1)
	v_dual_sub_nc_u32 v15, v17, v15 :: v_dual_ashrrev_i32 v17, 8, v21
	v_add_nc_u32_e32 v15, 0x3c000000, v15
	s_delay_alu instid0(VALU_DEP_1) | instskip(NEXT) | instid1(VALU_DEP_1)
	v_and_or_b32 v15, 0x7f800000, v17, v15
	v_cndmask_b32_e32 v13, 0, v15, vcc_lo
	s_delay_alu instid0(VALU_DEP_1) | instskip(SKIP_1) | instid1(VALU_DEP_1)
	v_and_or_b32 v11, 0x80000000, v11, v13
	s_wait_xcnt 0x1
	v_cvt_i32_f32_e32 v24, v11
.LBB119_5003:
	s_mov_b32 s1, 0
.LBB119_5004:
	s_delay_alu instid0(SALU_CYCLE_1)
	s_and_not1_b32 vcc_lo, exec_lo, s1
	s_cbranch_vccnz .LBB119_5006
; %bb.5005:
	global_load_u8 v11, v[18:19], off
	s_wait_loadcnt 0x0
	v_lshlrev_b32_e32 v13, 25, v11
	v_lshlrev_b16 v11, 8, v11
	s_delay_alu instid0(VALU_DEP_1) | instskip(SKIP_1) | instid1(VALU_DEP_2)
	v_and_or_b32 v17, 0x7f00, v11, 0.5
	v_bfe_i32 v11, v11, 0, 16
	v_add_f32_e32 v17, -0.5, v17
	v_lshrrev_b32_e32 v15, 4, v13
	v_cmp_gt_u32_e32 vcc_lo, 0x8000000, v13
	s_delay_alu instid0(VALU_DEP_2) | instskip(NEXT) | instid1(VALU_DEP_1)
	v_or_b32_e32 v15, 0x70000000, v15
	v_mul_f32_e32 v15, 0x7800000, v15
	s_delay_alu instid0(VALU_DEP_1) | instskip(NEXT) | instid1(VALU_DEP_1)
	v_cndmask_b32_e32 v13, v15, v17, vcc_lo
	v_and_or_b32 v11, 0x80000000, v11, v13
	s_wait_xcnt 0x1
	s_delay_alu instid0(VALU_DEP_1)
	v_cvt_i32_f32_e32 v24, v11
.LBB119_5006:
	s_mov_b32 s1, 0
	s_mov_b32 s9, -1
.LBB119_5007:
	s_and_not1_b32 vcc_lo, exec_lo, s1
	s_mov_b32 s1, 0
	s_cbranch_vccnz .LBB119_5018
; %bb.5008:
	s_cmp_gt_i32 s61, 14
	s_cbranch_scc0 .LBB119_5011
; %bb.5009:
	s_cmp_eq_u32 s61, 15
	s_cbranch_scc0 .LBB119_5014
; %bb.5010:
	global_load_u16 v11, v[18:19], off
	s_mov_b32 s0, 0
	s_mov_b32 s9, -1
	s_wait_loadcnt 0x0
	v_lshlrev_b32_e32 v11, 16, v11
	s_wait_xcnt 0x1
	s_delay_alu instid0(VALU_DEP_1)
	v_cvt_i32_f32_e32 v24, v11
	s_branch .LBB119_5016
.LBB119_5011:
	s_mov_b32 s1, -1
	s_branch .LBB119_5015
.LBB119_5012:
	s_and_not1_saveexec_b32 s1, s1
	s_cbranch_execz .LBB119_4993
.LBB119_5013:
	v_cmp_ne_u16_e32 vcc_lo, 0, v11
	s_and_not1_b32 s9, s9, exec_lo
	s_and_b32 s24, vcc_lo, exec_lo
	s_delay_alu instid0(SALU_CYCLE_1)
	s_or_b32 s9, s9, s24
	s_or_b32 exec_lo, exec_lo, s1
	v_mov_b32_e32 v24, 0
	s_and_saveexec_b32 s1, s9
	s_cbranch_execnz .LBB119_4994
	s_branch .LBB119_4995
.LBB119_5014:
	s_mov_b32 s0, -1
.LBB119_5015:
                                        ; implicit-def: $vgpr24
.LBB119_5016:
	s_and_b32 vcc_lo, exec_lo, s1
	s_mov_b32 s1, 0
	s_cbranch_vccz .LBB119_5018
; %bb.5017:
	s_cmp_lg_u32 s61, 11
	s_mov_b32 s1, -1
	s_cselect_b32 s0, -1, 0
.LBB119_5018:
	s_delay_alu instid0(SALU_CYCLE_1)
	s_and_b32 vcc_lo, exec_lo, s0
	s_cbranch_vccnz .LBB119_5106
; %bb.5019:
	s_and_not1_b32 vcc_lo, exec_lo, s1
	s_cbranch_vccnz .LBB119_5021
.LBB119_5020:
	global_load_u8 v11, v[18:19], off
	s_mov_b32 s9, -1
	s_wait_loadcnt 0x0
	v_cmp_ne_u16_e32 vcc_lo, 0, v11
	s_wait_xcnt 0x1
	v_cndmask_b32_e64 v24, 0, 1, vcc_lo
.LBB119_5021:
	s_mov_b32 s0, 0
.LBB119_5022:
	s_delay_alu instid0(SALU_CYCLE_1)
	s_and_b32 vcc_lo, exec_lo, s0
	s_cbranch_vccz .LBB119_5071
; %bb.5023:
	s_cmp_lt_i32 s61, 5
	s_cbranch_scc1 .LBB119_5028
; %bb.5024:
	s_cmp_lt_i32 s61, 8
	s_cbranch_scc1 .LBB119_5029
	;; [unrolled: 3-line block ×3, first 2 shown]
; %bb.5026:
	s_cmp_gt_i32 s61, 9
	s_cbranch_scc0 .LBB119_5031
; %bb.5027:
	s_wait_loadcnt 0x0
	global_load_b64 v[24:25], v[18:19], off
	s_mov_b32 s0, 0
	s_wait_loadcnt 0x0
	v_cvt_i32_f64_e32 v24, v[24:25]
	s_branch .LBB119_5032
.LBB119_5028:
	s_mov_b32 s0, -1
                                        ; implicit-def: $vgpr24
	s_branch .LBB119_5050
.LBB119_5029:
	s_mov_b32 s0, -1
                                        ; implicit-def: $vgpr24
	s_branch .LBB119_5038
.LBB119_5030:
	s_mov_b32 s0, -1
                                        ; implicit-def: $vgpr24
	s_branch .LBB119_5035
.LBB119_5031:
	s_mov_b32 s0, -1
                                        ; implicit-def: $vgpr24
.LBB119_5032:
	s_delay_alu instid0(SALU_CYCLE_1)
	s_and_not1_b32 vcc_lo, exec_lo, s0
	s_cbranch_vccnz .LBB119_5034
; %bb.5033:
	global_load_b32 v11, v[18:19], off
	s_wait_loadcnt 0x0
	s_wait_xcnt 0x1
	v_cvt_i32_f32_e32 v24, v11
.LBB119_5034:
	s_mov_b32 s0, 0
.LBB119_5035:
	s_delay_alu instid0(SALU_CYCLE_1)
	s_and_not1_b32 vcc_lo, exec_lo, s0
	s_cbranch_vccnz .LBB119_5037
; %bb.5036:
	global_load_b32 v11, v[18:19], off
	s_wait_loadcnt 0x0
	v_cvt_f32_f16_e32 v11, v11
	s_wait_xcnt 0x1
	s_delay_alu instid0(VALU_DEP_1)
	v_cvt_i32_f32_e32 v24, v11
.LBB119_5037:
	s_mov_b32 s0, 0
.LBB119_5038:
	s_delay_alu instid0(SALU_CYCLE_1)
	s_and_not1_b32 vcc_lo, exec_lo, s0
	s_cbranch_vccnz .LBB119_5049
; %bb.5039:
	s_cmp_lt_i32 s61, 6
	s_cbranch_scc1 .LBB119_5042
; %bb.5040:
	s_cmp_gt_i32 s61, 6
	s_cbranch_scc0 .LBB119_5043
; %bb.5041:
	s_wait_loadcnt 0x0
	global_load_b64 v[24:25], v[18:19], off
	s_mov_b32 s0, 0
	s_wait_loadcnt 0x0
	v_cvt_i32_f64_e32 v24, v[24:25]
	s_branch .LBB119_5044
.LBB119_5042:
	s_mov_b32 s0, -1
                                        ; implicit-def: $vgpr24
	s_branch .LBB119_5047
.LBB119_5043:
	s_mov_b32 s0, -1
                                        ; implicit-def: $vgpr24
.LBB119_5044:
	s_delay_alu instid0(SALU_CYCLE_1)
	s_and_not1_b32 vcc_lo, exec_lo, s0
	s_cbranch_vccnz .LBB119_5046
; %bb.5045:
	global_load_b32 v11, v[18:19], off
	s_wait_loadcnt 0x0
	s_wait_xcnt 0x1
	v_cvt_i32_f32_e32 v24, v11
.LBB119_5046:
	s_mov_b32 s0, 0
.LBB119_5047:
	s_delay_alu instid0(SALU_CYCLE_1)
	s_and_not1_b32 vcc_lo, exec_lo, s0
	s_cbranch_vccnz .LBB119_5049
; %bb.5048:
	global_load_u16 v11, v[18:19], off
	s_wait_loadcnt 0x0
	v_cvt_f32_f16_e32 v11, v11
	s_wait_xcnt 0x1
	s_delay_alu instid0(VALU_DEP_1)
	v_cvt_i32_f32_e32 v24, v11
.LBB119_5049:
	s_mov_b32 s0, 0
.LBB119_5050:
	s_delay_alu instid0(SALU_CYCLE_1)
	s_and_not1_b32 vcc_lo, exec_lo, s0
	s_cbranch_vccnz .LBB119_5070
; %bb.5051:
	s_cmp_lt_i32 s61, 2
	s_cbranch_scc1 .LBB119_5055
; %bb.5052:
	s_cmp_lt_i32 s61, 3
	s_cbranch_scc1 .LBB119_5056
; %bb.5053:
	s_cmp_gt_i32 s61, 3
	s_cbranch_scc0 .LBB119_5057
; %bb.5054:
	s_wait_loadcnt 0x0
	global_load_b32 v24, v[18:19], off
	s_mov_b32 s0, 0
	s_branch .LBB119_5058
.LBB119_5055:
	s_mov_b32 s0, -1
                                        ; implicit-def: $vgpr24
	s_branch .LBB119_5064
.LBB119_5056:
	s_mov_b32 s0, -1
                                        ; implicit-def: $vgpr24
	s_branch .LBB119_5061
.LBB119_5057:
	s_mov_b32 s0, -1
                                        ; implicit-def: $vgpr24
.LBB119_5058:
	s_delay_alu instid0(SALU_CYCLE_1)
	s_and_not1_b32 vcc_lo, exec_lo, s0
	s_cbranch_vccnz .LBB119_5060
; %bb.5059:
	s_wait_loadcnt 0x0
	global_load_b32 v24, v[18:19], off
.LBB119_5060:
	s_mov_b32 s0, 0
.LBB119_5061:
	s_delay_alu instid0(SALU_CYCLE_1)
	s_and_not1_b32 vcc_lo, exec_lo, s0
	s_cbranch_vccnz .LBB119_5063
; %bb.5062:
	s_wait_loadcnt 0x0
	global_load_i16 v24, v[18:19], off
.LBB119_5063:
	s_mov_b32 s0, 0
.LBB119_5064:
	s_delay_alu instid0(SALU_CYCLE_1)
	s_and_not1_b32 vcc_lo, exec_lo, s0
	s_cbranch_vccnz .LBB119_5070
; %bb.5065:
	s_cmp_gt_i32 s61, 0
	s_mov_b32 s0, 0
	s_cbranch_scc0 .LBB119_5067
; %bb.5066:
	s_wait_loadcnt 0x0
	global_load_i8 v24, v[18:19], off
	s_branch .LBB119_5068
.LBB119_5067:
	s_mov_b32 s0, -1
                                        ; implicit-def: $vgpr24
.LBB119_5068:
	s_delay_alu instid0(SALU_CYCLE_1)
	s_and_not1_b32 vcc_lo, exec_lo, s0
	s_cbranch_vccnz .LBB119_5070
; %bb.5069:
	s_wait_loadcnt 0x0
	global_load_u8 v24, v[18:19], off
.LBB119_5070:
	s_mov_b32 s9, -1
.LBB119_5071:
	s_delay_alu instid0(SALU_CYCLE_1)
	s_and_not1_b32 vcc_lo, exec_lo, s9
	s_cbranch_vccnz .LBB119_5080
; %bb.5072:
	s_mov_b32 s0, exec_lo
	s_wait_loadcnt 0x0
	v_cmpx_ne_u32_e64 v7, v1
	s_xor_b32 s0, exec_lo, s0
	s_cbranch_execnz .LBB119_5240
.LBB119_5073:
	s_or_saveexec_b32 s62, s0
	s_mov_b32 s1, 0
	s_mov_b32 s9, 0
                                        ; implicit-def: $vgpr38_vgpr39
                                        ; implicit-def: $sgpr0
	s_xor_b32 exec_lo, exec_lo, s62
	s_cbranch_execz .LBB119_5751
; %bb.5074:
	s_mov_b32 s63, s56
	s_mov_b32 s0, exec_lo
	v_cmpx_ne_u32_e64 v9, v3
	s_xor_b32 s0, exec_lo, s0
	s_cbranch_execnz .LBB119_5368
; %bb.5075:
	s_or_saveexec_b32 s64, s0
                                        ; implicit-def: $vgpr38_vgpr39
                                        ; implicit-def: $sgpr0
	s_delay_alu instid0(SALU_CYCLE_1)
	s_xor_b32 exec_lo, exec_lo, s64
	s_cbranch_execz .LBB119_5750
.LBB119_5076:
	v_sub_nc_u32_e32 v7, v20, v22
	s_mov_b32 s65, s63
	s_delay_alu instid0(VALU_DEP_1) | instskip(SKIP_2) | instid1(SALU_CYCLE_1)
	v_cmp_gt_i32_e32 vcc_lo, v1, v7
	v_cmp_lt_i32_e64 s0, s20, v7
	s_or_b32 s0, vcc_lo, s0
	s_and_saveexec_b32 s1, s0
	s_delay_alu instid0(SALU_CYCLE_1)
	s_xor_b32 s0, exec_lo, s1
	s_cbranch_execnz .LBB119_5496
.LBB119_5077:
	s_or_saveexec_b32 s66, s0
	s_mov_b32 s1, 0
	s_mov_b32 s24, 0
                                        ; implicit-def: $vgpr38_vgpr39
                                        ; implicit-def: $sgpr0
	s_xor_b32 exec_lo, exec_lo, s66
	s_cbranch_execz .LBB119_5749
; %bb.5078:
	v_cmp_ne_u32_e32 vcc_lo, 1, v5
	v_mov_b64_e32 v[18:19], 0
	s_cbranch_vccnz .LBB119_5091
; %bb.5079:
	v_dual_mov_b32 v26, 0 :: v_dual_ashrrev_i32 v25, 31, v24
	s_load_b128 s[28:31], s[2:3], 0x298
	v_mov_b64_e32 v[18:19], 0
	s_mov_b32 s9, s1
	s_delay_alu instid0(VALU_DEP_2)
	v_mul_u64_e32 v[24:25], s[10:11], v[24:25]
	s_lshl_b64 s[34:35], s[8:9], 3
	s_mov_b64 s[24:25], 0xffffffff
	s_mov_b32 s9, s47
	s_wait_kmcnt 0x0
	s_add_nc_u64 s[26:27], s[28:29], s[34:35]
	s_add_nc_u64 s[28:29], s[30:31], s[34:35]
	s_branch .LBB119_5087
.LBB119_5080:
	s_mov_b32 s1, 0
	s_mov_b32 s9, 0
                                        ; implicit-def: $vgpr38_vgpr39
                                        ; implicit-def: $sgpr0
.LBB119_5081:
	s_and_not1_b32 s2, s54, exec_lo
	s_and_b32 s3, s56, exec_lo
	s_and_b32 s9, s9, exec_lo
	;; [unrolled: 1-line block ×3, first 2 shown]
	s_or_b32 s54, s2, s3
.LBB119_5082:
	s_wait_xcnt 0x0
	s_or_b32 exec_lo, exec_lo, s55
	s_delay_alu instid0(SALU_CYCLE_1)
	s_and_not1_b32 s2, s52, exec_lo
	s_and_b32 s3, s54, exec_lo
	s_and_b32 s9, s9, exec_lo
	;; [unrolled: 1-line block ×3, first 2 shown]
	s_or_b32 s52, s2, s3
.LBB119_5083:
	s_or_b32 exec_lo, exec_lo, s53
	s_delay_alu instid0(SALU_CYCLE_1)
	s_and_not1_b32 s2, s50, exec_lo
	s_and_b32 s3, s52, exec_lo
	s_and_b32 s9, s9, exec_lo
	s_and_b32 s1, s1, exec_lo
	s_or_b32 s50, s2, s3
.LBB119_5084:
	s_or_b32 exec_lo, exec_lo, s51
	s_delay_alu instid0(SALU_CYCLE_1)
	s_and_not1_b32 s2, s46, exec_lo
	s_and_b32 s3, s50, exec_lo
	s_and_b32 s9, s9, exec_lo
	;; [unrolled: 1-line block ×3, first 2 shown]
	s_or_b32 s46, s2, s3
.LBB119_5085:
	s_or_b32 exec_lo, exec_lo, s49
	s_branch .LBB119_4415
.LBB119_5086:                           ;   in Loop: Header=BB119_5087 Depth=1
	s_or_b32 exec_lo, exec_lo, s0
	global_load_b64 v[30:31], v26, s[28:29]
	v_mul_u64_e32 v[32:33], s[30:31], v[28:29]
	s_add_co_i32 s9, s9, -1
	s_add_nc_u64 s[26:27], s[26:27], -8
	s_cmp_eq_u32 s9, 0
	s_wait_xcnt 0x0
	s_add_nc_u64 s[28:29], s[28:29], -8
	s_delay_alu instid0(VALU_DEP_1) | instskip(SKIP_1) | instid1(VALU_DEP_1)
	v_sub_nc_u64_e32 v[24:25], v[24:25], v[32:33]
	s_wait_loadcnt 0x0
	v_mad_nc_u64_u32 v[18:19], v24, v30, v[18:19]
	s_delay_alu instid0(VALU_DEP_1) | instskip(NEXT) | instid1(VALU_DEP_1)
	v_mad_u32 v7, v25, v30, v19
	v_mad_u32 v19, v24, v31, v7
	v_mov_b64_e32 v[24:25], v[28:29]
	s_cbranch_scc1 .LBB119_5091
.LBB119_5087:                           ; =>This Inner Loop Header: Depth=1
	global_load_b64 v[28:29], v26, s[26:27]
	s_mov_b32 s0, exec_lo
	s_wait_loadcnt 0x0
	v_or_b32_e32 v27, v25, v29
	v_readfirstlane_b32 s30, v28
	v_readfirstlane_b32 s31, v29
                                        ; implicit-def: $vgpr28_vgpr29
	s_wait_xcnt 0x0
	s_delay_alu instid0(VALU_DEP_3)
	v_cmpx_ne_u64_e32 0, v[26:27]
	s_xor_b32 s67, exec_lo, s0
	s_cbranch_execz .LBB119_5089
; %bb.5088:                             ;   in Loop: Header=BB119_5087 Depth=1
	s_ashr_i32 s34, s31, 31
	v_dual_mov_b32 v33, v26 :: v_dual_ashrrev_i32 v28, 31, v25
	s_mov_b32 s35, s34
	s_delay_alu instid0(SALU_CYCLE_1) | instskip(NEXT) | instid1(VALU_DEP_1)
	s_add_nc_u64 s[36:37], s[30:31], s[34:35]
	v_mov_b32_e32 v29, v28
	s_xor_b64 s[36:37], s[36:37], s[34:35]
	s_delay_alu instid0(SALU_CYCLE_1)
	s_cvt_f32_u32 s0, s36
	s_cvt_f32_u32 s35, s37
	s_sub_nc_u64 s[70:71], 0, s[36:37]
	v_add_nc_u64_e32 v[30:31], v[24:25], v[28:29]
	v_mov_b32_e32 v37, v26
	s_fmamk_f32 s0, s35, 0x4f800000, s0
	s_delay_alu instid0(SALU_CYCLE_3) | instskip(NEXT) | instid1(VALU_DEP_2)
	v_s_rcp_f32 s0, s0
	v_xor_b32_e32 v32, v30, v28
	s_delay_alu instid0(VALU_DEP_3) | instskip(NEXT) | instid1(TRANS32_DEP_1)
	v_dual_mov_b32 v41, v26 :: v_dual_bitop2_b32 v36, v31, v28 bitop3:0x14
	s_mul_f32 s0, s0, 0x5f7ffffc
	s_delay_alu instid0(SALU_CYCLE_3) | instskip(NEXT) | instid1(SALU_CYCLE_3)
	s_mul_f32 s35, s0, 0x2f800000
	s_trunc_f32 s35, s35
	s_delay_alu instid0(SALU_CYCLE_3) | instskip(SKIP_1) | instid1(SALU_CYCLE_2)
	s_fmamk_f32 s0, s35, 0xcf800000, s0
	s_cvt_u32_f32 s69, s35
	s_cvt_u32_f32 s68, s0
	s_delay_alu instid0(SALU_CYCLE_3) | instskip(NEXT) | instid1(SALU_CYCLE_1)
	s_mul_u64 s[72:73], s[70:71], s[68:69]
	s_mul_hi_u32 s75, s68, s73
	s_mul_i32 s74, s68, s73
	s_mul_hi_u32 s0, s68, s72
	s_mul_i32 s76, s69, s72
	s_add_nc_u64 s[74:75], s[0:1], s[74:75]
	s_mul_hi_u32 s35, s69, s72
	s_mul_hi_u32 s77, s69, s73
	s_add_co_u32 s0, s74, s76
	s_add_co_ci_u32 s0, s75, s35
	s_mul_i32 s72, s69, s73
	s_add_co_ci_u32 s73, s77, 0
	s_delay_alu instid0(SALU_CYCLE_1) | instskip(NEXT) | instid1(SALU_CYCLE_1)
	s_add_nc_u64 s[72:73], s[0:1], s[72:73]
	s_add_co_u32 s68, s68, s72
	s_cselect_b32 s0, -1, 0
	s_delay_alu instid0(SALU_CYCLE_1) | instskip(SKIP_1) | instid1(SALU_CYCLE_1)
	s_cmp_lg_u32 s0, 0
	s_add_co_ci_u32 s69, s69, s73
	s_mul_u64 s[70:71], s[70:71], s[68:69]
	s_delay_alu instid0(SALU_CYCLE_1)
	s_mul_hi_u32 s73, s68, s71
	s_mul_i32 s72, s68, s71
	s_mul_hi_u32 s0, s68, s70
	s_mul_i32 s74, s69, s70
	s_add_nc_u64 s[72:73], s[0:1], s[72:73]
	s_mul_hi_u32 s35, s69, s70
	s_mul_hi_u32 s75, s69, s71
	s_add_co_u32 s0, s72, s74
	s_add_co_ci_u32 s0, s73, s35
	s_mul_i32 s70, s69, s71
	s_add_co_ci_u32 s71, s75, 0
	s_delay_alu instid0(SALU_CYCLE_1) | instskip(NEXT) | instid1(SALU_CYCLE_1)
	s_add_nc_u64 s[70:71], s[0:1], s[70:71]
	s_add_co_u32 s68, s68, s70
	s_cselect_b32 s0, -1, 0
	v_mul_hi_u32 v40, v32, s68
	s_cmp_lg_u32 s0, 0
	s_add_co_ci_u32 s0, s69, s71
	s_and_b64 s[70:71], s[68:69], s[24:25]
	v_mul_u64_e32 v[34:35], s[0:1], v[32:33]
	v_mul_u64_e32 v[30:31], s[70:71], v[36:37]
	v_mul_u64_e32 v[38:39], s[0:1], v[36:37]
	s_delay_alu instid0(VALU_DEP_3) | instskip(NEXT) | instid1(VALU_DEP_1)
	v_add_nc_u64_e32 v[34:35], v[40:41], v[34:35]
	v_add_co_u32 v7, vcc_lo, v34, v30
	s_delay_alu instid0(VALU_DEP_2) | instskip(NEXT) | instid1(VALU_DEP_4)
	v_add_co_ci_u32_e32 v40, vcc_lo, v35, v31, vcc_lo
	v_add_co_ci_u32_e32 v39, vcc_lo, 0, v39, vcc_lo
	s_delay_alu instid0(VALU_DEP_1) | instskip(NEXT) | instid1(VALU_DEP_1)
	v_add_nc_u64_e32 v[30:31], v[40:41], v[38:39]
	v_mul_u64_e32 v[34:35], s[36:37], v[30:31]
	s_delay_alu instid0(VALU_DEP_1) | instskip(NEXT) | instid1(VALU_DEP_2)
	v_sub_nc_u32_e32 v7, v36, v35
	v_sub_co_u32 v9, vcc_lo, v32, v34
	s_delay_alu instid0(VALU_DEP_1) | instskip(NEXT) | instid1(VALU_DEP_3)
	v_sub_co_ci_u32_e64 v13, null, v36, v35, vcc_lo
	v_subrev_co_ci_u32_e64 v7, null, s37, v7, vcc_lo
	s_delay_alu instid0(VALU_DEP_3) | instskip(SKIP_1) | instid1(VALU_DEP_3)
	v_sub_co_u32 v11, s0, v9, s36
	v_add_nc_u64_e32 v[32:33], 2, v[30:31]
	v_subrev_co_ci_u32_e64 v7, null, 0, v7, s0
	s_delay_alu instid0(VALU_DEP_3) | instskip(SKIP_2) | instid1(VALU_DEP_4)
	v_cmp_le_u32_e32 vcc_lo, s36, v11
	v_add_nc_u64_e32 v[34:35], 1, v[30:31]
	v_cndmask_b32_e64 v11, 0, -1, vcc_lo
	v_cmp_le_u32_e32 vcc_lo, s37, v7
	v_cndmask_b32_e64 v15, 0, -1, vcc_lo
	v_cmp_le_u32_e32 vcc_lo, s36, v9
	;; [unrolled: 2-line block ×3, first 2 shown]
	v_cndmask_b32_e64 v17, 0, -1, vcc_lo
	v_cmp_eq_u32_e32 vcc_lo, s37, v7
	v_cndmask_b32_e32 v7, v15, v11, vcc_lo
	v_cmp_eq_u32_e32 vcc_lo, s37, v13
	s_delay_alu instid0(VALU_DEP_4) | instskip(NEXT) | instid1(VALU_DEP_3)
	v_cndmask_b32_e32 v9, v17, v9, vcc_lo
	v_cmp_ne_u32_e32 vcc_lo, 0, v7
	s_delay_alu instid0(VALU_DEP_2) | instskip(SKIP_1) | instid1(VALU_DEP_1)
	v_cmp_ne_u32_e64 s0, 0, v9
	v_dual_cndmask_b32 v7, v35, v33, vcc_lo :: v_dual_cndmask_b32 v9, v34, v32, vcc_lo
	v_dual_cndmask_b32 v7, v31, v7, s0 :: v_dual_bitop2_b32 v28, s34, v28 bitop3:0x14
	s_delay_alu instid0(VALU_DEP_1) | instskip(NEXT) | instid1(VALU_DEP_2)
	v_dual_cndmask_b32 v9, v30, v9, s0 :: v_dual_mov_b32 v29, v28
	v_xor_b32_e32 v31, v7, v28
	s_delay_alu instid0(VALU_DEP_2) | instskip(NEXT) | instid1(VALU_DEP_1)
	v_xor_b32_e32 v30, v9, v28
	v_sub_nc_u64_e32 v[28:29], v[30:31], v[28:29]
.LBB119_5089:                           ;   in Loop: Header=BB119_5087 Depth=1
	s_and_not1_saveexec_b32 s0, s67
	s_cbranch_execz .LBB119_5086
; %bb.5090:                             ;   in Loop: Header=BB119_5087 Depth=1
	v_cvt_f32_u32_e32 v7, s30
	s_sub_co_i32 s34, 0, s30
	v_mov_b32_e32 v29, v26
	s_delay_alu instid0(VALU_DEP_2) | instskip(SKIP_1) | instid1(TRANS32_DEP_1)
	v_rcp_iflag_f32_e32 v7, v7
	v_nop
	v_mul_f32_e32 v7, 0x4f7ffffe, v7
	s_delay_alu instid0(VALU_DEP_1) | instskip(NEXT) | instid1(VALU_DEP_1)
	v_cvt_u32_f32_e32 v7, v7
	v_mul_lo_u32 v9, s34, v7
	s_delay_alu instid0(VALU_DEP_1) | instskip(NEXT) | instid1(VALU_DEP_1)
	v_mul_hi_u32 v9, v7, v9
	v_add_nc_u32_e32 v7, v7, v9
	s_delay_alu instid0(VALU_DEP_1) | instskip(NEXT) | instid1(VALU_DEP_1)
	v_mul_hi_u32 v7, v24, v7
	v_mul_lo_u32 v9, v7, s30
	s_delay_alu instid0(VALU_DEP_1) | instskip(NEXT) | instid1(VALU_DEP_1)
	v_sub_nc_u32_e32 v9, v24, v9
	v_subrev_nc_u32_e32 v13, s30, v9
	v_cmp_le_u32_e32 vcc_lo, s30, v9
	s_delay_alu instid0(VALU_DEP_2) | instskip(NEXT) | instid1(VALU_DEP_1)
	v_dual_add_nc_u32 v11, 1, v7 :: v_dual_cndmask_b32 v9, v9, v13, vcc_lo
	v_cndmask_b32_e32 v7, v7, v11, vcc_lo
	s_delay_alu instid0(VALU_DEP_2) | instskip(NEXT) | instid1(VALU_DEP_2)
	v_cmp_le_u32_e32 vcc_lo, s30, v9
	v_add_nc_u32_e32 v11, 1, v7
	s_delay_alu instid0(VALU_DEP_1)
	v_cndmask_b32_e32 v28, v7, v11, vcc_lo
	s_branch .LBB119_5086
.LBB119_5091:
	s_mov_b32 s25, -1
	s_mov_b32 s1, s65
	s_mov_b32 s0, exec_lo
	v_cmpx_gt_i32_e64 v20, v22
	s_cbranch_execz .LBB119_5098
; %bb.5092:
	s_delay_alu instid0(VALU_DEP_2) | instskip(SKIP_3) | instid1(VALU_DEP_1)
	v_lshlrev_b64_e32 v[18:19], 2, v[18:19]
	v_dual_ashrrev_i32 v23, 31, v22 :: v_dual_ashrrev_i32 v21, 31, v20
	s_mov_b32 s9, 0
	s_xor_b32 s24, s48, -1
                                        ; implicit-def: $sgpr1
                                        ; implicit-def: $sgpr26
                                        ; implicit-def: $sgpr25
	v_lshl_add_u64 v[22:23], v[22:23], 2, v[18:19]
	s_wait_kmcnt 0x0
	v_add_nc_u64_e32 v[24:25], s[22:23], v[18:19]
	s_delay_alu instid0(VALU_DEP_2) | instskip(NEXT) | instid1(VALU_DEP_2)
	v_add_nc_u64_e32 v[22:23], s[22:23], v[22:23]
	v_lshl_add_u64 v[20:21], v[20:21], 2, v[24:25]
	s_delay_alu instid0(VALU_DEP_2)
	v_add_nc_u64_e32 v[18:19], 4, v[22:23]
	s_branch .LBB119_5094
.LBB119_5093:                           ;   in Loop: Header=BB119_5094 Depth=1
	s_or_b32 exec_lo, exec_lo, s27
	s_xor_b32 s27, s25, -1
	s_and_b32 s28, exec_lo, s26
	s_delay_alu instid0(SALU_CYCLE_1) | instskip(SKIP_2) | instid1(SALU_CYCLE_1)
	s_or_b32 s9, s28, s9
	s_and_not1_b32 s1, s1, exec_lo
	s_and_b32 s27, s27, exec_lo
	s_or_b32 s1, s1, s27
	s_and_not1_b32 exec_lo, exec_lo, s9
	s_cbranch_execz .LBB119_5096
.LBB119_5094:                           ; =>This Inner Loop Header: Depth=1
	s_or_b32 s25, s25, exec_lo
	s_or_b32 s26, s26, exec_lo
	s_mov_b32 s27, exec_lo
	s_delay_alu instid0(VALU_DEP_1)
	v_cmpx_lt_u64_e64 v[18:19], v[20:21]
	s_cbranch_execz .LBB119_5093
; %bb.5095:                             ;   in Loop: Header=BB119_5094 Depth=1
	global_load_b64 v[22:23], v[18:19], off offset:-4
	s_wait_xcnt 0x0
	v_add_nc_u64_e32 v[18:19], 4, v[18:19]
	s_and_not1_b32 s26, s26, exec_lo
	s_and_not1_b32 s25, s25, exec_lo
	s_wait_loadcnt 0x0
	v_cmp_ge_i32_e32 vcc_lo, v22, v23
	s_or_b32 s28, s24, vcc_lo
	s_delay_alu instid0(SALU_CYCLE_1) | instskip(NEXT) | instid1(SALU_CYCLE_1)
	s_and_b32 s28, s28, exec_lo
	s_or_b32 s26, s26, s28
	s_branch .LBB119_5093
.LBB119_5096:
	s_or_b32 exec_lo, exec_lo, s9
	s_mov_b32 s9, -1
	s_mov_b32 s24, s65
	s_and_saveexec_b32 s25, s1
	s_delay_alu instid0(SALU_CYCLE_1)
	s_xor_b32 s1, exec_lo, s25
	s_cbranch_execnz .LBB119_5111
.LBB119_5097:
	s_or_b32 exec_lo, exec_lo, s1
	s_delay_alu instid0(SALU_CYCLE_1)
	s_and_not1_b32 s1, s65, exec_lo
	s_and_b32 s24, s24, exec_lo
	s_or_not1_b32 s25, s9, exec_lo
	s_or_b32 s1, s1, s24
.LBB119_5098:
	s_or_b32 exec_lo, exec_lo, s0
	s_mov_b32 s9, 0
	s_mov_b32 s26, 0
                                        ; implicit-def: $vgpr38_vgpr39
                                        ; implicit-def: $sgpr0
	s_and_saveexec_b32 s24, s25
	s_cbranch_execz .LBB119_5748
; %bb.5099:
	v_mov_b32_e32 v17, 0
	s_cmp_lt_i32 s57, 11
	s_delay_alu instid0(VALU_DEP_1)
	v_add_nc_u64_e32 v[16:17], s[6:7], v[16:17]
	s_cbranch_scc1 .LBB119_5107
; %bb.5100:
	s_cmp_gt_i32 s57, 25
	s_mov_b32 s6, 0
	s_cbranch_scc0 .LBB119_5108
; %bb.5101:
	s_cmp_gt_i32 s57, 28
	s_cbranch_scc0 .LBB119_5109
; %bb.5102:
	s_cmp_gt_i32 s57, 43
	;; [unrolled: 3-line block ×3, first 2 shown]
	s_cbranch_scc0 .LBB119_5112
; %bb.5104:
	s_cmp_eq_u32 s57, 46
	s_cbranch_scc0 .LBB119_5113
; %bb.5105:
	global_load_b32 v7, v[16:17], off
	s_mov_b32 s0, 0
	s_mov_b32 s7, -1
	s_wait_loadcnt 0x0
	v_lshlrev_b32_e32 v7, 16, v7
	s_delay_alu instid0(VALU_DEP_1)
	v_cvt_i32_f32_e32 v7, v7
	s_branch .LBB119_5115
.LBB119_5106:
	s_or_b32 s56, s56, exec_lo
	s_trap 2
	s_cbranch_execz .LBB119_5020
	s_branch .LBB119_5021
.LBB119_5107:
	s_mov_b32 s0, -1
	s_mov_b32 s7, 0
	s_mov_b32 s25, s1
                                        ; implicit-def: $vgpr7
	s_branch .LBB119_5177
.LBB119_5108:
	s_mov_b32 s9, -1
	s_mov_b32 s7, 0
	s_mov_b32 s0, 0
                                        ; implicit-def: $vgpr7
	s_branch .LBB119_5142
.LBB119_5109:
	s_mov_b32 s9, -1
	s_mov_b32 s7, 0
	s_mov_b32 s0, 0
                                        ; implicit-def: $vgpr7
	s_branch .LBB119_5125
.LBB119_5110:
	s_mov_b32 s9, -1
	s_mov_b32 s7, 0
	s_mov_b32 s0, 0
                                        ; implicit-def: $vgpr7
	s_branch .LBB119_5120
.LBB119_5111:
	s_or_b32 s24, s65, exec_lo
	s_xor_b32 s9, exec_lo, -1
	s_trap 2
	s_branch .LBB119_5097
.LBB119_5112:
	s_mov_b32 s9, -1
	s_mov_b32 s7, 0
	s_mov_b32 s0, 0
	s_branch .LBB119_5114
.LBB119_5113:
	s_mov_b32 s0, -1
	s_mov_b32 s7, 0
.LBB119_5114:
                                        ; implicit-def: $vgpr7
.LBB119_5115:
	s_and_b32 vcc_lo, exec_lo, s9
	s_cbranch_vccz .LBB119_5119
; %bb.5116:
	s_cmp_eq_u32 s57, 44
	s_cbranch_scc0 .LBB119_5118
; %bb.5117:
	global_load_u8 v7, v[16:17], off
	s_mov_b32 s0, 0
	s_mov_b32 s7, -1
	s_wait_loadcnt 0x0
	v_lshlrev_b32_e32 v9, 23, v7
	v_cmp_ne_u32_e32 vcc_lo, 0, v7
	s_delay_alu instid0(VALU_DEP_2) | instskip(NEXT) | instid1(VALU_DEP_1)
	v_cvt_i32_f32_e32 v9, v9
	v_cndmask_b32_e32 v7, 0, v9, vcc_lo
	s_branch .LBB119_5119
.LBB119_5118:
	s_mov_b32 s0, -1
                                        ; implicit-def: $vgpr7
.LBB119_5119:
	s_mov_b32 s9, 0
.LBB119_5120:
	s_delay_alu instid0(SALU_CYCLE_1)
	s_and_b32 vcc_lo, exec_lo, s9
	s_cbranch_vccz .LBB119_5124
; %bb.5121:
	s_cmp_eq_u32 s57, 29
	s_cbranch_scc0 .LBB119_5123
; %bb.5122:
	global_load_b32 v7, v[16:17], off
	s_mov_b32 s0, 0
	s_mov_b32 s7, -1
	s_branch .LBB119_5124
.LBB119_5123:
	s_mov_b32 s0, -1
                                        ; implicit-def: $vgpr7
.LBB119_5124:
	s_mov_b32 s9, 0
.LBB119_5125:
	s_delay_alu instid0(SALU_CYCLE_1)
	s_and_b32 vcc_lo, exec_lo, s9
	s_cbranch_vccz .LBB119_5141
; %bb.5126:
	s_cmp_lt_i32 s57, 27
	s_cbranch_scc1 .LBB119_5129
; %bb.5127:
	s_cmp_gt_i32 s57, 27
	s_cbranch_scc0 .LBB119_5130
; %bb.5128:
	s_wait_loadcnt 0x0
	global_load_b32 v7, v[16:17], off
	s_mov_b32 s7, 0
	s_branch .LBB119_5131
.LBB119_5129:
	s_mov_b32 s7, -1
                                        ; implicit-def: $vgpr7
	s_branch .LBB119_5134
.LBB119_5130:
	s_mov_b32 s7, -1
                                        ; implicit-def: $vgpr7
.LBB119_5131:
	s_delay_alu instid0(SALU_CYCLE_1)
	s_and_not1_b32 vcc_lo, exec_lo, s7
	s_cbranch_vccnz .LBB119_5133
; %bb.5132:
	s_wait_loadcnt 0x0
	global_load_u16 v7, v[16:17], off
.LBB119_5133:
	s_mov_b32 s7, 0
.LBB119_5134:
	s_delay_alu instid0(SALU_CYCLE_1)
	s_and_not1_b32 vcc_lo, exec_lo, s7
	s_cbranch_vccnz .LBB119_5140
; %bb.5135:
	global_load_u8 v9, v[16:17], off
	s_mov_b32 s9, 0
	s_mov_b32 s7, exec_lo
	s_wait_loadcnt 0x0
	v_cmpx_lt_i16_e32 0x7f, v9
	s_xor_b32 s7, exec_lo, s7
	s_cbranch_execz .LBB119_5152
; %bb.5136:
	v_cmp_ne_u16_e32 vcc_lo, 0x80, v9
	s_and_b32 s9, vcc_lo, exec_lo
	s_and_not1_saveexec_b32 s7, s7
	s_cbranch_execnz .LBB119_5153
.LBB119_5137:
	s_or_b32 exec_lo, exec_lo, s7
	v_mov_b32_e32 v7, 0
	s_and_saveexec_b32 s7, s9
	s_cbranch_execz .LBB119_5139
.LBB119_5138:
	v_and_b32_e32 v7, 0xffff, v9
	s_delay_alu instid0(VALU_DEP_1) | instskip(SKIP_1) | instid1(VALU_DEP_2)
	v_and_b32_e32 v11, 7, v7
	v_bfe_u32 v18, v7, 3, 4
	v_clz_i32_u32_e32 v13, v11
	s_delay_alu instid0(VALU_DEP_2) | instskip(NEXT) | instid1(VALU_DEP_2)
	v_cmp_eq_u32_e32 vcc_lo, 0, v18
	v_min_u32_e32 v13, 32, v13
	s_delay_alu instid0(VALU_DEP_1) | instskip(NEXT) | instid1(VALU_DEP_1)
	v_subrev_nc_u32_e32 v15, 28, v13
	v_dual_lshlrev_b32 v7, v15, v7 :: v_dual_sub_nc_u32 v13, 29, v13
	s_delay_alu instid0(VALU_DEP_1) | instskip(NEXT) | instid1(VALU_DEP_1)
	v_dual_lshlrev_b32 v9, 24, v9 :: v_dual_bitop2_b32 v7, 7, v7 bitop3:0x40
	v_dual_cndmask_b32 v7, v11, v7, vcc_lo :: v_dual_cndmask_b32 v13, v18, v13, vcc_lo
	s_delay_alu instid0(VALU_DEP_2) | instskip(NEXT) | instid1(VALU_DEP_2)
	v_and_b32_e32 v9, 0x80000000, v9
	v_lshlrev_b32_e32 v7, 20, v7
	s_delay_alu instid0(VALU_DEP_3) | instskip(NEXT) | instid1(VALU_DEP_1)
	v_lshl_add_u32 v11, v13, 23, 0x3b800000
	v_or3_b32 v7, v9, v11, v7
	s_delay_alu instid0(VALU_DEP_1)
	v_cvt_i32_f32_e32 v7, v7
.LBB119_5139:
	s_or_b32 exec_lo, exec_lo, s7
.LBB119_5140:
	s_mov_b32 s7, -1
.LBB119_5141:
	s_mov_b32 s9, 0
.LBB119_5142:
	s_delay_alu instid0(SALU_CYCLE_1)
	s_and_b32 vcc_lo, exec_lo, s9
	s_cbranch_vccz .LBB119_5173
; %bb.5143:
	s_cmp_gt_i32 s57, 22
	s_cbranch_scc0 .LBB119_5151
; %bb.5144:
	s_cmp_lt_i32 s57, 24
	s_cbranch_scc1 .LBB119_5154
; %bb.5145:
	s_cmp_gt_i32 s57, 24
	s_cbranch_scc0 .LBB119_5155
; %bb.5146:
	global_load_u8 v9, v[16:17], off
	s_mov_b32 s7, 0
	s_mov_b32 s6, exec_lo
	s_wait_loadcnt 0x0
	v_cmpx_lt_i16_e32 0x7f, v9
	s_xor_b32 s6, exec_lo, s6
	s_cbranch_execz .LBB119_5167
; %bb.5147:
	v_cmp_ne_u16_e32 vcc_lo, 0x80, v9
	s_and_b32 s7, vcc_lo, exec_lo
	s_and_not1_saveexec_b32 s6, s6
	s_cbranch_execnz .LBB119_5168
.LBB119_5148:
	s_or_b32 exec_lo, exec_lo, s6
	v_mov_b32_e32 v7, 0
	s_and_saveexec_b32 s6, s7
	s_cbranch_execz .LBB119_5150
.LBB119_5149:
	v_and_b32_e32 v7, 0xffff, v9
	s_delay_alu instid0(VALU_DEP_1) | instskip(SKIP_1) | instid1(VALU_DEP_2)
	v_and_b32_e32 v11, 3, v7
	v_bfe_u32 v18, v7, 2, 5
	v_clz_i32_u32_e32 v13, v11
	s_delay_alu instid0(VALU_DEP_2) | instskip(NEXT) | instid1(VALU_DEP_2)
	v_cmp_eq_u32_e32 vcc_lo, 0, v18
	v_min_u32_e32 v13, 32, v13
	s_delay_alu instid0(VALU_DEP_1) | instskip(NEXT) | instid1(VALU_DEP_1)
	v_subrev_nc_u32_e32 v15, 29, v13
	v_dual_lshlrev_b32 v7, v15, v7 :: v_dual_sub_nc_u32 v13, 30, v13
	s_delay_alu instid0(VALU_DEP_1) | instskip(NEXT) | instid1(VALU_DEP_1)
	v_dual_lshlrev_b32 v9, 24, v9 :: v_dual_bitop2_b32 v7, 3, v7 bitop3:0x40
	v_dual_cndmask_b32 v7, v11, v7, vcc_lo :: v_dual_cndmask_b32 v13, v18, v13, vcc_lo
	s_delay_alu instid0(VALU_DEP_2) | instskip(NEXT) | instid1(VALU_DEP_2)
	v_and_b32_e32 v9, 0x80000000, v9
	v_lshlrev_b32_e32 v7, 21, v7
	s_delay_alu instid0(VALU_DEP_3) | instskip(NEXT) | instid1(VALU_DEP_1)
	v_lshl_add_u32 v11, v13, 23, 0x37800000
	v_or3_b32 v7, v9, v11, v7
	s_delay_alu instid0(VALU_DEP_1)
	v_cvt_i32_f32_e32 v7, v7
.LBB119_5150:
	s_or_b32 exec_lo, exec_lo, s6
	s_mov_b32 s6, 0
	s_branch .LBB119_5156
.LBB119_5151:
	s_mov_b32 s6, -1
                                        ; implicit-def: $vgpr7
	s_branch .LBB119_5162
.LBB119_5152:
	s_and_not1_saveexec_b32 s7, s7
	s_cbranch_execz .LBB119_5137
.LBB119_5153:
	v_cmp_ne_u16_e32 vcc_lo, 0, v9
	s_and_not1_b32 s9, s9, exec_lo
	s_and_b32 s25, vcc_lo, exec_lo
	s_delay_alu instid0(SALU_CYCLE_1)
	s_or_b32 s9, s9, s25
	s_or_b32 exec_lo, exec_lo, s7
	v_mov_b32_e32 v7, 0
	s_and_saveexec_b32 s7, s9
	s_cbranch_execnz .LBB119_5138
	s_branch .LBB119_5139
.LBB119_5154:
	s_mov_b32 s6, -1
                                        ; implicit-def: $vgpr7
	s_branch .LBB119_5159
.LBB119_5155:
	s_mov_b32 s6, -1
                                        ; implicit-def: $vgpr7
.LBB119_5156:
	s_delay_alu instid0(SALU_CYCLE_1)
	s_and_b32 vcc_lo, exec_lo, s6
	s_cbranch_vccz .LBB119_5158
; %bb.5157:
	s_wait_loadcnt 0x0
	global_load_u8 v7, v[16:17], off
	s_wait_loadcnt 0x0
	v_lshlrev_b32_e32 v7, 24, v7
	s_delay_alu instid0(VALU_DEP_1) | instskip(NEXT) | instid1(VALU_DEP_1)
	v_and_b32_e32 v9, 0x7f000000, v7
	v_clz_i32_u32_e32 v11, v9
	v_add_nc_u32_e32 v15, 0x1000000, v9
	v_cmp_ne_u32_e32 vcc_lo, 0, v9
	s_delay_alu instid0(VALU_DEP_3) | instskip(NEXT) | instid1(VALU_DEP_1)
	v_min_u32_e32 v11, 32, v11
	v_sub_nc_u32_e64 v11, v11, 4 clamp
	s_delay_alu instid0(VALU_DEP_1) | instskip(NEXT) | instid1(VALU_DEP_1)
	v_dual_lshlrev_b32 v13, v11, v9 :: v_dual_lshlrev_b32 v11, 23, v11
	v_lshrrev_b32_e32 v13, 4, v13
	s_delay_alu instid0(VALU_DEP_1) | instskip(SKIP_1) | instid1(VALU_DEP_2)
	v_sub_nc_u32_e32 v11, v13, v11
	v_ashrrev_i32_e32 v13, 8, v15
	v_add_nc_u32_e32 v11, 0x3c000000, v11
	s_delay_alu instid0(VALU_DEP_1) | instskip(NEXT) | instid1(VALU_DEP_1)
	v_and_or_b32 v11, 0x7f800000, v13, v11
	v_cndmask_b32_e32 v9, 0, v11, vcc_lo
	s_delay_alu instid0(VALU_DEP_1) | instskip(NEXT) | instid1(VALU_DEP_1)
	v_and_or_b32 v7, 0x80000000, v7, v9
	v_cvt_i32_f32_e32 v7, v7
.LBB119_5158:
	s_mov_b32 s6, 0
.LBB119_5159:
	s_delay_alu instid0(SALU_CYCLE_1)
	s_and_not1_b32 vcc_lo, exec_lo, s6
	s_cbranch_vccnz .LBB119_5161
; %bb.5160:
	s_wait_loadcnt 0x0
	global_load_u8 v7, v[16:17], off
	s_wait_loadcnt 0x0
	v_lshlrev_b32_e32 v9, 25, v7
	v_lshlrev_b16 v7, 8, v7
	s_delay_alu instid0(VALU_DEP_1) | instskip(SKIP_1) | instid1(VALU_DEP_2)
	v_and_or_b32 v13, 0x7f00, v7, 0.5
	v_bfe_i32 v7, v7, 0, 16
	v_add_f32_e32 v13, -0.5, v13
	v_lshrrev_b32_e32 v11, 4, v9
	v_cmp_gt_u32_e32 vcc_lo, 0x8000000, v9
	s_delay_alu instid0(VALU_DEP_2) | instskip(NEXT) | instid1(VALU_DEP_1)
	v_or_b32_e32 v11, 0x70000000, v11
	v_mul_f32_e32 v11, 0x7800000, v11
	s_delay_alu instid0(VALU_DEP_1) | instskip(NEXT) | instid1(VALU_DEP_1)
	v_cndmask_b32_e32 v9, v11, v13, vcc_lo
	v_and_or_b32 v7, 0x80000000, v7, v9
	s_delay_alu instid0(VALU_DEP_1)
	v_cvt_i32_f32_e32 v7, v7
.LBB119_5161:
	s_mov_b32 s6, 0
	s_mov_b32 s7, -1
.LBB119_5162:
	s_and_not1_b32 vcc_lo, exec_lo, s6
	s_mov_b32 s6, 0
	s_cbranch_vccnz .LBB119_5173
; %bb.5163:
	s_cmp_gt_i32 s57, 14
	s_cbranch_scc0 .LBB119_5166
; %bb.5164:
	s_cmp_eq_u32 s57, 15
	s_cbranch_scc0 .LBB119_5169
; %bb.5165:
	s_wait_loadcnt 0x0
	global_load_u16 v7, v[16:17], off
	s_mov_b32 s0, 0
	s_mov_b32 s7, -1
	s_wait_loadcnt 0x0
	v_lshlrev_b32_e32 v7, 16, v7
	s_delay_alu instid0(VALU_DEP_1)
	v_cvt_i32_f32_e32 v7, v7
	s_branch .LBB119_5171
.LBB119_5166:
	s_mov_b32 s6, -1
	s_branch .LBB119_5170
.LBB119_5167:
	s_and_not1_saveexec_b32 s6, s6
	s_cbranch_execz .LBB119_5148
.LBB119_5168:
	v_cmp_ne_u16_e32 vcc_lo, 0, v9
	s_and_not1_b32 s7, s7, exec_lo
	s_and_b32 s9, vcc_lo, exec_lo
	s_delay_alu instid0(SALU_CYCLE_1)
	s_or_b32 s7, s7, s9
	s_or_b32 exec_lo, exec_lo, s6
	v_mov_b32_e32 v7, 0
	s_and_saveexec_b32 s6, s7
	s_cbranch_execnz .LBB119_5149
	s_branch .LBB119_5150
.LBB119_5169:
	s_mov_b32 s0, -1
.LBB119_5170:
                                        ; implicit-def: $vgpr7
.LBB119_5171:
	s_and_b32 vcc_lo, exec_lo, s6
	s_mov_b32 s6, 0
	s_cbranch_vccz .LBB119_5173
; %bb.5172:
	s_cmp_lg_u32 s57, 11
	s_mov_b32 s6, -1
	s_cselect_b32 s0, -1, 0
.LBB119_5173:
	s_delay_alu instid0(SALU_CYCLE_1)
	s_and_b32 vcc_lo, exec_lo, s0
	s_mov_b32 s25, s1
	s_cbranch_vccnz .LBB119_5238
; %bb.5174:
	s_and_not1_b32 vcc_lo, exec_lo, s6
	s_cbranch_vccnz .LBB119_5176
.LBB119_5175:
	s_wait_loadcnt 0x0
	global_load_u8 v7, v[16:17], off
	s_mov_b32 s7, -1
	s_wait_loadcnt 0x0
	v_cmp_ne_u16_e32 vcc_lo, 0, v7
	v_cndmask_b32_e64 v7, 0, 1, vcc_lo
.LBB119_5176:
	s_mov_b32 s0, 0
.LBB119_5177:
	s_delay_alu instid0(SALU_CYCLE_1)
	s_and_b32 vcc_lo, exec_lo, s0
	s_cbranch_vccz .LBB119_5226
; %bb.5178:
	s_cmp_lt_i32 s57, 5
	s_cbranch_scc1 .LBB119_5183
; %bb.5179:
	s_cmp_lt_i32 s57, 8
	s_cbranch_scc1 .LBB119_5184
; %bb.5180:
	s_cmp_lt_i32 s57, 9
	s_cbranch_scc1 .LBB119_5185
; %bb.5181:
	s_cmp_gt_i32 s57, 9
	s_cbranch_scc0 .LBB119_5186
; %bb.5182:
	global_load_b64 v[18:19], v[16:17], off
	s_mov_b32 s0, 0
	s_wait_loadcnt 0x0
	v_cvt_i32_f64_e32 v7, v[18:19]
	s_branch .LBB119_5187
.LBB119_5183:
	s_mov_b32 s0, -1
                                        ; implicit-def: $vgpr7
	s_branch .LBB119_5205
.LBB119_5184:
	s_mov_b32 s0, -1
                                        ; implicit-def: $vgpr7
	s_branch .LBB119_5193
.LBB119_5185:
	s_mov_b32 s0, -1
                                        ; implicit-def: $vgpr7
	s_branch .LBB119_5190
.LBB119_5186:
	s_mov_b32 s0, -1
                                        ; implicit-def: $vgpr7
.LBB119_5187:
	s_delay_alu instid0(SALU_CYCLE_1)
	s_and_not1_b32 vcc_lo, exec_lo, s0
	s_cbranch_vccnz .LBB119_5189
; %bb.5188:
	s_wait_loadcnt 0x0
	global_load_b32 v7, v[16:17], off
	s_wait_loadcnt 0x0
	v_cvt_i32_f32_e32 v7, v7
.LBB119_5189:
	s_mov_b32 s0, 0
.LBB119_5190:
	s_delay_alu instid0(SALU_CYCLE_1)
	s_and_not1_b32 vcc_lo, exec_lo, s0
	s_cbranch_vccnz .LBB119_5192
; %bb.5191:
	s_wait_loadcnt 0x0
	global_load_b32 v7, v[16:17], off
	s_wait_loadcnt 0x0
	v_cvt_f32_f16_e32 v7, v7
	s_delay_alu instid0(VALU_DEP_1)
	v_cvt_i32_f32_e32 v7, v7
.LBB119_5192:
	s_mov_b32 s0, 0
.LBB119_5193:
	s_delay_alu instid0(SALU_CYCLE_1)
	s_and_not1_b32 vcc_lo, exec_lo, s0
	s_cbranch_vccnz .LBB119_5204
; %bb.5194:
	s_cmp_lt_i32 s57, 6
	s_cbranch_scc1 .LBB119_5197
; %bb.5195:
	s_cmp_gt_i32 s57, 6
	s_cbranch_scc0 .LBB119_5198
; %bb.5196:
	global_load_b64 v[18:19], v[16:17], off
	s_mov_b32 s0, 0
	s_wait_loadcnt 0x0
	v_cvt_i32_f64_e32 v7, v[18:19]
	s_branch .LBB119_5199
.LBB119_5197:
	s_mov_b32 s0, -1
                                        ; implicit-def: $vgpr7
	s_branch .LBB119_5202
.LBB119_5198:
	s_mov_b32 s0, -1
                                        ; implicit-def: $vgpr7
.LBB119_5199:
	s_delay_alu instid0(SALU_CYCLE_1)
	s_and_not1_b32 vcc_lo, exec_lo, s0
	s_cbranch_vccnz .LBB119_5201
; %bb.5200:
	s_wait_loadcnt 0x0
	global_load_b32 v7, v[16:17], off
	s_wait_loadcnt 0x0
	v_cvt_i32_f32_e32 v7, v7
.LBB119_5201:
	s_mov_b32 s0, 0
.LBB119_5202:
	s_delay_alu instid0(SALU_CYCLE_1)
	s_and_not1_b32 vcc_lo, exec_lo, s0
	s_cbranch_vccnz .LBB119_5204
; %bb.5203:
	s_wait_loadcnt 0x0
	global_load_u16 v7, v[16:17], off
	s_wait_loadcnt 0x0
	v_cvt_f32_f16_e32 v7, v7
	s_delay_alu instid0(VALU_DEP_1)
	v_cvt_i32_f32_e32 v7, v7
.LBB119_5204:
	s_mov_b32 s0, 0
.LBB119_5205:
	s_delay_alu instid0(SALU_CYCLE_1)
	s_and_not1_b32 vcc_lo, exec_lo, s0
	s_cbranch_vccnz .LBB119_5225
; %bb.5206:
	s_cmp_lt_i32 s57, 2
	s_cbranch_scc1 .LBB119_5210
; %bb.5207:
	s_cmp_lt_i32 s57, 3
	s_cbranch_scc1 .LBB119_5211
; %bb.5208:
	s_cmp_gt_i32 s57, 3
	s_cbranch_scc0 .LBB119_5212
; %bb.5209:
	s_wait_loadcnt 0x0
	global_load_b32 v7, v[16:17], off
	s_mov_b32 s0, 0
	s_branch .LBB119_5213
.LBB119_5210:
	s_mov_b32 s0, -1
                                        ; implicit-def: $vgpr7
	s_branch .LBB119_5219
.LBB119_5211:
	s_mov_b32 s0, -1
                                        ; implicit-def: $vgpr7
	s_branch .LBB119_5216
.LBB119_5212:
	s_mov_b32 s0, -1
                                        ; implicit-def: $vgpr7
.LBB119_5213:
	s_delay_alu instid0(SALU_CYCLE_1)
	s_and_not1_b32 vcc_lo, exec_lo, s0
	s_cbranch_vccnz .LBB119_5215
; %bb.5214:
	s_wait_loadcnt 0x0
	global_load_b32 v7, v[16:17], off
.LBB119_5215:
	s_mov_b32 s0, 0
.LBB119_5216:
	s_delay_alu instid0(SALU_CYCLE_1)
	s_and_not1_b32 vcc_lo, exec_lo, s0
	s_cbranch_vccnz .LBB119_5218
; %bb.5217:
	s_wait_loadcnt 0x0
	global_load_i16 v7, v[16:17], off
.LBB119_5218:
	s_mov_b32 s0, 0
.LBB119_5219:
	s_delay_alu instid0(SALU_CYCLE_1)
	s_and_not1_b32 vcc_lo, exec_lo, s0
	s_cbranch_vccnz .LBB119_5225
; %bb.5220:
	s_cmp_gt_i32 s57, 0
	s_mov_b32 s0, 0
	s_cbranch_scc0 .LBB119_5222
; %bb.5221:
	s_wait_loadcnt 0x0
	global_load_i8 v7, v[16:17], off
	s_branch .LBB119_5223
.LBB119_5222:
	s_mov_b32 s0, -1
                                        ; implicit-def: $vgpr7
.LBB119_5223:
	s_delay_alu instid0(SALU_CYCLE_1)
	s_and_not1_b32 vcc_lo, exec_lo, s0
	s_cbranch_vccnz .LBB119_5225
; %bb.5224:
	s_wait_loadcnt 0x0
	global_load_u8 v7, v[16:17], off
.LBB119_5225:
	s_mov_b32 s7, -1
.LBB119_5226:
	s_delay_alu instid0(SALU_CYCLE_1)
	s_and_not1_b32 vcc_lo, exec_lo, s7
	s_cbranch_vccnz .LBB119_5746
; %bb.5227:
	v_mov_b32_e32 v15, 0
	s_cmp_lt_i32 s58, 11
	s_delay_alu instid0(VALU_DEP_1)
	v_add_nc_u64_e32 v[14:15], s[12:13], v[14:15]
	s_cbranch_scc1 .LBB119_5234
; %bb.5228:
	s_cmp_gt_i32 s58, 25
	s_mov_b32 s6, 0
	s_cbranch_scc0 .LBB119_5235
; %bb.5229:
	s_cmp_gt_i32 s58, 28
	s_cbranch_scc0 .LBB119_5236
; %bb.5230:
	s_cmp_gt_i32 s58, 43
	;; [unrolled: 3-line block ×3, first 2 shown]
	s_cbranch_scc0 .LBB119_5239
; %bb.5232:
	s_cmp_eq_u32 s58, 46
	s_mov_b32 s9, 0
	s_cbranch_scc0 .LBB119_5241
; %bb.5233:
	global_load_b32 v9, v[14:15], off
	s_mov_b32 s0, 0
	s_mov_b32 s7, -1
	s_wait_loadcnt 0x0
	v_lshlrev_b32_e32 v9, 16, v9
	s_wait_xcnt 0x1
	s_delay_alu instid0(VALU_DEP_1)
	v_cvt_i32_f32_e32 v16, v9
	s_branch .LBB119_5243
.LBB119_5234:
	s_mov_b32 s0, -1
	s_mov_b32 s7, 0
                                        ; implicit-def: $vgpr16
	s_branch .LBB119_5305
.LBB119_5235:
	s_mov_b32 s9, -1
	s_mov_b32 s7, 0
	s_mov_b32 s0, 0
                                        ; implicit-def: $vgpr16
	s_branch .LBB119_5270
.LBB119_5236:
	s_mov_b32 s9, -1
	s_mov_b32 s7, 0
	s_mov_b32 s0, 0
                                        ; implicit-def: $vgpr16
	s_branch .LBB119_5253
.LBB119_5237:
	s_mov_b32 s9, -1
	s_mov_b32 s7, 0
	s_mov_b32 s0, 0
                                        ; implicit-def: $vgpr16
	s_branch .LBB119_5248
.LBB119_5238:
	s_or_b32 s25, s1, exec_lo
	s_trap 2
	s_cbranch_execz .LBB119_5175
	s_branch .LBB119_5176
.LBB119_5239:
	s_mov_b32 s9, -1
	s_mov_b32 s7, 0
	s_mov_b32 s0, 0
	s_branch .LBB119_5242
.LBB119_5240:
	s_or_b32 s56, s56, exec_lo
	s_trap 2
                                        ; implicit-def: $vgpr9
                                        ; implicit-def: $vgpr22
                                        ; implicit-def: $vgpr20
                                        ; implicit-def: $vgpr24
                                        ; implicit-def: $vgpr5
                                        ; implicit-def: $vgpr6
                                        ; implicit-def: $vgpr4
                                        ; implicit-def: $vgpr2
                                        ; implicit-def: $vgpr10
                                        ; implicit-def: $vgpr8
                                        ; implicit-def: $vgpr14
                                        ; implicit-def: $vgpr12
                                        ; implicit-def: $vgpr0
                                        ; implicit-def: $vgpr16
                                        ; implicit-def: $vgpr1
                                        ; implicit-def: $vgpr3
	s_branch .LBB119_5073
.LBB119_5241:
	s_mov_b32 s0, -1
	s_mov_b32 s7, 0
.LBB119_5242:
                                        ; implicit-def: $vgpr16
.LBB119_5243:
	s_and_b32 vcc_lo, exec_lo, s9
	s_cbranch_vccz .LBB119_5247
; %bb.5244:
	s_cmp_eq_u32 s58, 44
	s_cbranch_scc0 .LBB119_5246
; %bb.5245:
	global_load_u8 v9, v[14:15], off
	s_mov_b32 s0, 0
	s_mov_b32 s7, -1
	s_wait_loadcnt 0x0
	v_lshlrev_b32_e32 v11, 23, v9
	v_cmp_ne_u32_e32 vcc_lo, 0, v9
	s_delay_alu instid0(VALU_DEP_2) | instskip(SKIP_1) | instid1(VALU_DEP_1)
	v_cvt_i32_f32_e32 v11, v11
	s_wait_xcnt 0x1
	v_cndmask_b32_e32 v16, 0, v11, vcc_lo
	s_branch .LBB119_5247
.LBB119_5246:
	s_mov_b32 s0, -1
                                        ; implicit-def: $vgpr16
.LBB119_5247:
	s_mov_b32 s9, 0
.LBB119_5248:
	s_delay_alu instid0(SALU_CYCLE_1)
	s_and_b32 vcc_lo, exec_lo, s9
	s_cbranch_vccz .LBB119_5252
; %bb.5249:
	s_cmp_eq_u32 s58, 29
	s_cbranch_scc0 .LBB119_5251
; %bb.5250:
	global_load_b32 v16, v[14:15], off
	s_mov_b32 s0, 0
	s_mov_b32 s7, -1
	s_branch .LBB119_5252
.LBB119_5251:
	s_mov_b32 s0, -1
                                        ; implicit-def: $vgpr16
.LBB119_5252:
	s_mov_b32 s9, 0
.LBB119_5253:
	s_delay_alu instid0(SALU_CYCLE_1)
	s_and_b32 vcc_lo, exec_lo, s9
	s_cbranch_vccz .LBB119_5269
; %bb.5254:
	s_cmp_lt_i32 s58, 27
	s_cbranch_scc1 .LBB119_5257
; %bb.5255:
	s_cmp_gt_i32 s58, 27
	s_cbranch_scc0 .LBB119_5258
; %bb.5256:
	s_wait_loadcnt 0x0
	global_load_b32 v16, v[14:15], off
	s_mov_b32 s7, 0
	s_branch .LBB119_5259
.LBB119_5257:
	s_mov_b32 s7, -1
                                        ; implicit-def: $vgpr16
	s_branch .LBB119_5262
.LBB119_5258:
	s_mov_b32 s7, -1
                                        ; implicit-def: $vgpr16
.LBB119_5259:
	s_delay_alu instid0(SALU_CYCLE_1)
	s_and_not1_b32 vcc_lo, exec_lo, s7
	s_cbranch_vccnz .LBB119_5261
; %bb.5260:
	s_wait_loadcnt 0x0
	global_load_u16 v16, v[14:15], off
.LBB119_5261:
	s_mov_b32 s7, 0
.LBB119_5262:
	s_delay_alu instid0(SALU_CYCLE_1)
	s_and_not1_b32 vcc_lo, exec_lo, s7
	s_cbranch_vccnz .LBB119_5268
; %bb.5263:
	global_load_u8 v9, v[14:15], off
	s_mov_b32 s9, 0
	s_mov_b32 s7, exec_lo
	s_wait_loadcnt 0x0
	v_cmpx_lt_i16_e32 0x7f, v9
	s_xor_b32 s7, exec_lo, s7
	s_cbranch_execz .LBB119_5280
; %bb.5264:
	v_cmp_ne_u16_e32 vcc_lo, 0x80, v9
	s_and_b32 s9, vcc_lo, exec_lo
	s_and_not1_saveexec_b32 s7, s7
	s_cbranch_execnz .LBB119_5281
.LBB119_5265:
	s_or_b32 exec_lo, exec_lo, s7
	v_mov_b32_e32 v16, 0
	s_and_saveexec_b32 s7, s9
	s_cbranch_execz .LBB119_5267
.LBB119_5266:
	v_and_b32_e32 v11, 0xffff, v9
	s_delay_alu instid0(VALU_DEP_1) | instskip(SKIP_1) | instid1(VALU_DEP_2)
	v_and_b32_e32 v13, 7, v11
	v_bfe_u32 v18, v11, 3, 4
	v_clz_i32_u32_e32 v16, v13
	s_delay_alu instid0(VALU_DEP_2) | instskip(NEXT) | instid1(VALU_DEP_2)
	v_cmp_eq_u32_e32 vcc_lo, 0, v18
	v_min_u32_e32 v16, 32, v16
	s_delay_alu instid0(VALU_DEP_1) | instskip(NEXT) | instid1(VALU_DEP_1)
	v_subrev_nc_u32_e32 v17, 28, v16
	v_dual_lshlrev_b32 v11, v17, v11 :: v_dual_sub_nc_u32 v16, 29, v16
	s_delay_alu instid0(VALU_DEP_1) | instskip(NEXT) | instid1(VALU_DEP_1)
	v_dual_lshlrev_b32 v9, 24, v9 :: v_dual_bitop2_b32 v11, 7, v11 bitop3:0x40
	v_dual_cndmask_b32 v16, v18, v16 :: v_dual_cndmask_b32 v11, v13, v11
	s_delay_alu instid0(VALU_DEP_2) | instskip(NEXT) | instid1(VALU_DEP_2)
	v_and_b32_e32 v9, 0x80000000, v9
	v_lshl_add_u32 v13, v16, 23, 0x3b800000
	s_delay_alu instid0(VALU_DEP_3) | instskip(NEXT) | instid1(VALU_DEP_1)
	v_lshlrev_b32_e32 v11, 20, v11
	v_or3_b32 v9, v9, v13, v11
	s_delay_alu instid0(VALU_DEP_1)
	v_cvt_i32_f32_e32 v16, v9
.LBB119_5267:
	s_or_b32 exec_lo, exec_lo, s7
.LBB119_5268:
	s_mov_b32 s7, -1
.LBB119_5269:
	s_mov_b32 s9, 0
.LBB119_5270:
	s_delay_alu instid0(SALU_CYCLE_1)
	s_and_b32 vcc_lo, exec_lo, s9
	s_cbranch_vccz .LBB119_5301
; %bb.5271:
	s_cmp_gt_i32 s58, 22
	s_cbranch_scc0 .LBB119_5279
; %bb.5272:
	s_cmp_lt_i32 s58, 24
	s_cbranch_scc1 .LBB119_5282
; %bb.5273:
	s_cmp_gt_i32 s58, 24
	s_cbranch_scc0 .LBB119_5283
; %bb.5274:
	global_load_u8 v9, v[14:15], off
	s_mov_b32 s7, 0
	s_mov_b32 s6, exec_lo
	s_wait_loadcnt 0x0
	v_cmpx_lt_i16_e32 0x7f, v9
	s_xor_b32 s6, exec_lo, s6
	s_cbranch_execz .LBB119_5295
; %bb.5275:
	v_cmp_ne_u16_e32 vcc_lo, 0x80, v9
	s_and_b32 s7, vcc_lo, exec_lo
	s_and_not1_saveexec_b32 s6, s6
	s_cbranch_execnz .LBB119_5296
.LBB119_5276:
	s_or_b32 exec_lo, exec_lo, s6
	v_mov_b32_e32 v16, 0
	s_and_saveexec_b32 s6, s7
	s_cbranch_execz .LBB119_5278
.LBB119_5277:
	v_and_b32_e32 v11, 0xffff, v9
	s_delay_alu instid0(VALU_DEP_1) | instskip(SKIP_1) | instid1(VALU_DEP_2)
	v_and_b32_e32 v13, 3, v11
	v_bfe_u32 v18, v11, 2, 5
	v_clz_i32_u32_e32 v16, v13
	s_delay_alu instid0(VALU_DEP_2) | instskip(NEXT) | instid1(VALU_DEP_2)
	v_cmp_eq_u32_e32 vcc_lo, 0, v18
	v_min_u32_e32 v16, 32, v16
	s_delay_alu instid0(VALU_DEP_1) | instskip(NEXT) | instid1(VALU_DEP_1)
	v_subrev_nc_u32_e32 v17, 29, v16
	v_dual_lshlrev_b32 v11, v17, v11 :: v_dual_sub_nc_u32 v16, 30, v16
	s_delay_alu instid0(VALU_DEP_1) | instskip(NEXT) | instid1(VALU_DEP_1)
	v_dual_lshlrev_b32 v9, 24, v9 :: v_dual_bitop2_b32 v11, 3, v11 bitop3:0x40
	v_dual_cndmask_b32 v16, v18, v16 :: v_dual_cndmask_b32 v11, v13, v11
	s_delay_alu instid0(VALU_DEP_2) | instskip(NEXT) | instid1(VALU_DEP_2)
	v_and_b32_e32 v9, 0x80000000, v9
	v_lshl_add_u32 v13, v16, 23, 0x37800000
	s_delay_alu instid0(VALU_DEP_3) | instskip(NEXT) | instid1(VALU_DEP_1)
	v_lshlrev_b32_e32 v11, 21, v11
	v_or3_b32 v9, v9, v13, v11
	s_delay_alu instid0(VALU_DEP_1)
	v_cvt_i32_f32_e32 v16, v9
.LBB119_5278:
	s_or_b32 exec_lo, exec_lo, s6
	s_mov_b32 s6, 0
	s_branch .LBB119_5284
.LBB119_5279:
	s_mov_b32 s6, -1
                                        ; implicit-def: $vgpr16
	s_branch .LBB119_5290
.LBB119_5280:
	s_and_not1_saveexec_b32 s7, s7
	s_cbranch_execz .LBB119_5265
.LBB119_5281:
	v_cmp_ne_u16_e32 vcc_lo, 0, v9
	s_and_not1_b32 s9, s9, exec_lo
	s_and_b32 s12, vcc_lo, exec_lo
	s_delay_alu instid0(SALU_CYCLE_1)
	s_or_b32 s9, s9, s12
	s_or_b32 exec_lo, exec_lo, s7
	v_mov_b32_e32 v16, 0
	s_and_saveexec_b32 s7, s9
	s_cbranch_execnz .LBB119_5266
	s_branch .LBB119_5267
.LBB119_5282:
	s_mov_b32 s6, -1
                                        ; implicit-def: $vgpr16
	s_branch .LBB119_5287
.LBB119_5283:
	s_mov_b32 s6, -1
                                        ; implicit-def: $vgpr16
.LBB119_5284:
	s_delay_alu instid0(SALU_CYCLE_1)
	s_and_b32 vcc_lo, exec_lo, s6
	s_cbranch_vccz .LBB119_5286
; %bb.5285:
	global_load_u8 v9, v[14:15], off
	s_wait_loadcnt 0x0
	v_lshlrev_b32_e32 v9, 24, v9
	s_delay_alu instid0(VALU_DEP_1) | instskip(NEXT) | instid1(VALU_DEP_1)
	v_and_b32_e32 v11, 0x7f000000, v9
	v_clz_i32_u32_e32 v13, v11
	s_wait_xcnt 0x1
	v_add_nc_u32_e32 v17, 0x1000000, v11
	v_cmp_ne_u32_e32 vcc_lo, 0, v11
	s_delay_alu instid0(VALU_DEP_3) | instskip(NEXT) | instid1(VALU_DEP_1)
	v_min_u32_e32 v13, 32, v13
	v_sub_nc_u32_e64 v13, v13, 4 clamp
	s_delay_alu instid0(VALU_DEP_1) | instskip(NEXT) | instid1(VALU_DEP_1)
	v_dual_lshlrev_b32 v16, v13, v11 :: v_dual_lshlrev_b32 v13, 23, v13
	v_lshrrev_b32_e32 v16, 4, v16
	s_delay_alu instid0(VALU_DEP_1) | instskip(SKIP_1) | instid1(VALU_DEP_2)
	v_sub_nc_u32_e32 v13, v16, v13
	v_ashrrev_i32_e32 v16, 8, v17
	v_add_nc_u32_e32 v13, 0x3c000000, v13
	s_delay_alu instid0(VALU_DEP_1) | instskip(NEXT) | instid1(VALU_DEP_1)
	v_and_or_b32 v13, 0x7f800000, v16, v13
	v_cndmask_b32_e32 v11, 0, v13, vcc_lo
	s_delay_alu instid0(VALU_DEP_1) | instskip(NEXT) | instid1(VALU_DEP_1)
	v_and_or_b32 v9, 0x80000000, v9, v11
	v_cvt_i32_f32_e32 v16, v9
.LBB119_5286:
	s_mov_b32 s6, 0
.LBB119_5287:
	s_delay_alu instid0(SALU_CYCLE_1)
	s_and_not1_b32 vcc_lo, exec_lo, s6
	s_cbranch_vccnz .LBB119_5289
; %bb.5288:
	global_load_u8 v9, v[14:15], off
	s_wait_loadcnt 0x0
	v_lshlrev_b32_e32 v11, 25, v9
	v_lshlrev_b16 v9, 8, v9
	s_wait_xcnt 0x1
	s_delay_alu instid0(VALU_DEP_1) | instskip(SKIP_1) | instid1(VALU_DEP_2)
	v_and_or_b32 v16, 0x7f00, v9, 0.5
	v_bfe_i32 v9, v9, 0, 16
	v_dual_add_f32 v16, -0.5, v16 :: v_dual_lshrrev_b32 v13, 4, v11
	v_cmp_gt_u32_e32 vcc_lo, 0x8000000, v11
	s_delay_alu instid0(VALU_DEP_2) | instskip(NEXT) | instid1(VALU_DEP_1)
	v_or_b32_e32 v13, 0x70000000, v13
	v_mul_f32_e32 v13, 0x7800000, v13
	s_delay_alu instid0(VALU_DEP_1) | instskip(NEXT) | instid1(VALU_DEP_1)
	v_cndmask_b32_e32 v11, v13, v16, vcc_lo
	v_and_or_b32 v9, 0x80000000, v9, v11
	s_delay_alu instid0(VALU_DEP_1)
	v_cvt_i32_f32_e32 v16, v9
.LBB119_5289:
	s_mov_b32 s6, 0
	s_mov_b32 s7, -1
.LBB119_5290:
	s_and_not1_b32 vcc_lo, exec_lo, s6
	s_mov_b32 s6, 0
	s_cbranch_vccnz .LBB119_5301
; %bb.5291:
	s_cmp_gt_i32 s58, 14
	s_cbranch_scc0 .LBB119_5294
; %bb.5292:
	s_cmp_eq_u32 s58, 15
	s_cbranch_scc0 .LBB119_5297
; %bb.5293:
	global_load_u16 v9, v[14:15], off
	s_mov_b32 s0, 0
	s_mov_b32 s7, -1
	s_wait_loadcnt 0x0
	v_lshlrev_b32_e32 v9, 16, v9
	s_wait_xcnt 0x1
	s_delay_alu instid0(VALU_DEP_1)
	v_cvt_i32_f32_e32 v16, v9
	s_branch .LBB119_5299
.LBB119_5294:
	s_mov_b32 s6, -1
	s_branch .LBB119_5298
.LBB119_5295:
	s_and_not1_saveexec_b32 s6, s6
	s_cbranch_execz .LBB119_5276
.LBB119_5296:
	v_cmp_ne_u16_e32 vcc_lo, 0, v9
	s_and_not1_b32 s7, s7, exec_lo
	s_and_b32 s9, vcc_lo, exec_lo
	s_delay_alu instid0(SALU_CYCLE_1)
	s_or_b32 s7, s7, s9
	s_or_b32 exec_lo, exec_lo, s6
	v_mov_b32_e32 v16, 0
	s_and_saveexec_b32 s6, s7
	s_cbranch_execnz .LBB119_5277
	s_branch .LBB119_5278
.LBB119_5297:
	s_mov_b32 s0, -1
.LBB119_5298:
                                        ; implicit-def: $vgpr16
.LBB119_5299:
	s_and_b32 vcc_lo, exec_lo, s6
	s_mov_b32 s6, 0
	s_cbranch_vccz .LBB119_5301
; %bb.5300:
	s_cmp_lg_u32 s58, 11
	s_mov_b32 s6, -1
	s_cselect_b32 s0, -1, 0
.LBB119_5301:
	s_delay_alu instid0(SALU_CYCLE_1)
	s_and_b32 vcc_lo, exec_lo, s0
	s_cbranch_vccnz .LBB119_5366
; %bb.5302:
	s_and_not1_b32 vcc_lo, exec_lo, s6
	s_cbranch_vccnz .LBB119_5304
.LBB119_5303:
	global_load_u8 v9, v[14:15], off
	s_mov_b32 s7, -1
	s_wait_loadcnt 0x0
	v_cmp_ne_u16_e32 vcc_lo, 0, v9
	s_wait_xcnt 0x1
	v_cndmask_b32_e64 v16, 0, 1, vcc_lo
.LBB119_5304:
	s_mov_b32 s0, 0
.LBB119_5305:
	s_delay_alu instid0(SALU_CYCLE_1)
	s_and_b32 vcc_lo, exec_lo, s0
	s_cbranch_vccz .LBB119_5354
; %bb.5306:
	s_cmp_lt_i32 s58, 5
	s_cbranch_scc1 .LBB119_5311
; %bb.5307:
	s_cmp_lt_i32 s58, 8
	s_cbranch_scc1 .LBB119_5312
	;; [unrolled: 3-line block ×3, first 2 shown]
; %bb.5309:
	s_cmp_gt_i32 s58, 9
	s_cbranch_scc0 .LBB119_5314
; %bb.5310:
	s_wait_loadcnt 0x0
	global_load_b64 v[16:17], v[14:15], off
	s_mov_b32 s0, 0
	s_wait_loadcnt 0x0
	v_cvt_i32_f64_e32 v16, v[16:17]
	s_branch .LBB119_5315
.LBB119_5311:
	s_mov_b32 s0, -1
                                        ; implicit-def: $vgpr16
	s_branch .LBB119_5333
.LBB119_5312:
	s_mov_b32 s0, -1
                                        ; implicit-def: $vgpr16
	s_branch .LBB119_5321
.LBB119_5313:
	s_mov_b32 s0, -1
                                        ; implicit-def: $vgpr16
	s_branch .LBB119_5318
.LBB119_5314:
	s_mov_b32 s0, -1
                                        ; implicit-def: $vgpr16
.LBB119_5315:
	s_delay_alu instid0(SALU_CYCLE_1)
	s_and_not1_b32 vcc_lo, exec_lo, s0
	s_cbranch_vccnz .LBB119_5317
; %bb.5316:
	global_load_b32 v9, v[14:15], off
	s_wait_loadcnt 0x0
	s_wait_xcnt 0x1
	v_cvt_i32_f32_e32 v16, v9
.LBB119_5317:
	s_mov_b32 s0, 0
.LBB119_5318:
	s_delay_alu instid0(SALU_CYCLE_1)
	s_and_not1_b32 vcc_lo, exec_lo, s0
	s_cbranch_vccnz .LBB119_5320
; %bb.5319:
	global_load_b32 v9, v[14:15], off
	s_wait_loadcnt 0x0
	v_cvt_f32_f16_e32 v9, v9
	s_wait_xcnt 0x1
	s_delay_alu instid0(VALU_DEP_1)
	v_cvt_i32_f32_e32 v16, v9
.LBB119_5320:
	s_mov_b32 s0, 0
.LBB119_5321:
	s_delay_alu instid0(SALU_CYCLE_1)
	s_and_not1_b32 vcc_lo, exec_lo, s0
	s_cbranch_vccnz .LBB119_5332
; %bb.5322:
	s_cmp_lt_i32 s58, 6
	s_cbranch_scc1 .LBB119_5325
; %bb.5323:
	s_cmp_gt_i32 s58, 6
	s_cbranch_scc0 .LBB119_5326
; %bb.5324:
	s_wait_loadcnt 0x0
	global_load_b64 v[16:17], v[14:15], off
	s_mov_b32 s0, 0
	s_wait_loadcnt 0x0
	v_cvt_i32_f64_e32 v16, v[16:17]
	s_branch .LBB119_5327
.LBB119_5325:
	s_mov_b32 s0, -1
                                        ; implicit-def: $vgpr16
	s_branch .LBB119_5330
.LBB119_5326:
	s_mov_b32 s0, -1
                                        ; implicit-def: $vgpr16
.LBB119_5327:
	s_delay_alu instid0(SALU_CYCLE_1)
	s_and_not1_b32 vcc_lo, exec_lo, s0
	s_cbranch_vccnz .LBB119_5329
; %bb.5328:
	global_load_b32 v9, v[14:15], off
	s_wait_loadcnt 0x0
	s_wait_xcnt 0x1
	v_cvt_i32_f32_e32 v16, v9
.LBB119_5329:
	s_mov_b32 s0, 0
.LBB119_5330:
	s_delay_alu instid0(SALU_CYCLE_1)
	s_and_not1_b32 vcc_lo, exec_lo, s0
	s_cbranch_vccnz .LBB119_5332
; %bb.5331:
	global_load_u16 v9, v[14:15], off
	s_wait_loadcnt 0x0
	v_cvt_f32_f16_e32 v9, v9
	s_wait_xcnt 0x1
	s_delay_alu instid0(VALU_DEP_1)
	v_cvt_i32_f32_e32 v16, v9
.LBB119_5332:
	s_mov_b32 s0, 0
.LBB119_5333:
	s_delay_alu instid0(SALU_CYCLE_1)
	s_and_not1_b32 vcc_lo, exec_lo, s0
	s_cbranch_vccnz .LBB119_5353
; %bb.5334:
	s_cmp_lt_i32 s58, 2
	s_cbranch_scc1 .LBB119_5338
; %bb.5335:
	s_cmp_lt_i32 s58, 3
	s_cbranch_scc1 .LBB119_5339
; %bb.5336:
	s_cmp_gt_i32 s58, 3
	s_cbranch_scc0 .LBB119_5340
; %bb.5337:
	s_wait_loadcnt 0x0
	global_load_b32 v16, v[14:15], off
	s_mov_b32 s0, 0
	s_branch .LBB119_5341
.LBB119_5338:
	s_mov_b32 s0, -1
                                        ; implicit-def: $vgpr16
	s_branch .LBB119_5347
.LBB119_5339:
	s_mov_b32 s0, -1
                                        ; implicit-def: $vgpr16
	s_branch .LBB119_5344
.LBB119_5340:
	s_mov_b32 s0, -1
                                        ; implicit-def: $vgpr16
.LBB119_5341:
	s_delay_alu instid0(SALU_CYCLE_1)
	s_and_not1_b32 vcc_lo, exec_lo, s0
	s_cbranch_vccnz .LBB119_5343
; %bb.5342:
	s_wait_loadcnt 0x0
	global_load_b32 v16, v[14:15], off
.LBB119_5343:
	s_mov_b32 s0, 0
.LBB119_5344:
	s_delay_alu instid0(SALU_CYCLE_1)
	s_and_not1_b32 vcc_lo, exec_lo, s0
	s_cbranch_vccnz .LBB119_5346
; %bb.5345:
	s_wait_loadcnt 0x0
	global_load_i16 v16, v[14:15], off
.LBB119_5346:
	s_mov_b32 s0, 0
.LBB119_5347:
	s_delay_alu instid0(SALU_CYCLE_1)
	s_and_not1_b32 vcc_lo, exec_lo, s0
	s_cbranch_vccnz .LBB119_5353
; %bb.5348:
	s_cmp_gt_i32 s58, 0
	s_mov_b32 s0, 0
	s_cbranch_scc0 .LBB119_5350
; %bb.5349:
	s_wait_loadcnt 0x0
	global_load_i8 v16, v[14:15], off
	s_branch .LBB119_5351
.LBB119_5350:
	s_mov_b32 s0, -1
                                        ; implicit-def: $vgpr16
.LBB119_5351:
	s_delay_alu instid0(SALU_CYCLE_1)
	s_and_not1_b32 vcc_lo, exec_lo, s0
	s_cbranch_vccnz .LBB119_5353
; %bb.5352:
	s_wait_loadcnt 0x0
	global_load_u8 v16, v[14:15], off
.LBB119_5353:
	s_mov_b32 s7, -1
.LBB119_5354:
	s_delay_alu instid0(SALU_CYCLE_1)
	s_and_not1_b32 vcc_lo, exec_lo, s7
	s_cbranch_vccnz .LBB119_5746
; %bb.5355:
	v_mov_b32_e32 v13, 0
	s_cmp_lt_i32 s59, 11
	s_wait_xcnt 0x0
	s_delay_alu instid0(VALU_DEP_1)
	v_add_nc_u64_e32 v[14:15], s[14:15], v[12:13]
	s_cbranch_scc1 .LBB119_5362
; %bb.5356:
	s_cmp_gt_i32 s59, 25
	s_mov_b32 s6, 0
	s_cbranch_scc0 .LBB119_5363
; %bb.5357:
	s_cmp_gt_i32 s59, 28
	s_cbranch_scc0 .LBB119_5364
; %bb.5358:
	s_cmp_gt_i32 s59, 43
	;; [unrolled: 3-line block ×3, first 2 shown]
	s_cbranch_scc0 .LBB119_5367
; %bb.5360:
	s_cmp_eq_u32 s59, 46
	s_mov_b32 s9, 0
	s_cbranch_scc0 .LBB119_5369
; %bb.5361:
	global_load_b32 v9, v[14:15], off
	s_mov_b32 s0, 0
	s_mov_b32 s7, -1
	s_wait_loadcnt 0x0
	v_lshlrev_b32_e32 v9, 16, v9
	s_delay_alu instid0(VALU_DEP_1)
	v_cvt_i32_f32_e32 v12, v9
	s_branch .LBB119_5371
.LBB119_5362:
	s_mov_b32 s0, -1
	s_mov_b32 s7, 0
                                        ; implicit-def: $vgpr12
	s_branch .LBB119_5433
.LBB119_5363:
	s_mov_b32 s9, -1
	s_mov_b32 s7, 0
	s_mov_b32 s0, 0
                                        ; implicit-def: $vgpr12
	s_branch .LBB119_5398
.LBB119_5364:
	s_mov_b32 s9, -1
	s_mov_b32 s7, 0
	s_mov_b32 s0, 0
                                        ; implicit-def: $vgpr12
	s_branch .LBB119_5381
.LBB119_5365:
	s_mov_b32 s9, -1
	s_mov_b32 s7, 0
	s_mov_b32 s0, 0
                                        ; implicit-def: $vgpr12
	s_branch .LBB119_5376
.LBB119_5366:
	s_or_b32 s25, s25, exec_lo
	s_trap 2
	s_cbranch_execz .LBB119_5303
	s_branch .LBB119_5304
.LBB119_5367:
	s_mov_b32 s9, -1
	s_mov_b32 s7, 0
	s_mov_b32 s0, 0
	s_branch .LBB119_5370
.LBB119_5368:
	s_or_b32 s63, s56, exec_lo
	s_trap 2
                                        ; implicit-def: $vgpr22
                                        ; implicit-def: $vgpr20
                                        ; implicit-def: $vgpr24
                                        ; implicit-def: $vgpr5
                                        ; implicit-def: $vgpr6
                                        ; implicit-def: $vgpr4
                                        ; implicit-def: $vgpr2
                                        ; implicit-def: $vgpr10
                                        ; implicit-def: $vgpr8
                                        ; implicit-def: $vgpr14
                                        ; implicit-def: $vgpr12
                                        ; implicit-def: $vgpr0
                                        ; implicit-def: $vgpr16
                                        ; implicit-def: $vgpr1
                                        ; implicit-def: $vgpr3
	s_or_saveexec_b32 s64, s0
                                        ; implicit-def: $vgpr38_vgpr39
                                        ; implicit-def: $sgpr0
	s_delay_alu instid0(SALU_CYCLE_1)
	s_xor_b32 exec_lo, exec_lo, s64
	s_cbranch_execz .LBB119_5750
	s_branch .LBB119_5076
.LBB119_5369:
	s_mov_b32 s0, -1
	s_mov_b32 s7, 0
.LBB119_5370:
                                        ; implicit-def: $vgpr12
.LBB119_5371:
	s_and_b32 vcc_lo, exec_lo, s9
	s_cbranch_vccz .LBB119_5375
; %bb.5372:
	s_cmp_eq_u32 s59, 44
	s_cbranch_scc0 .LBB119_5374
; %bb.5373:
	global_load_u8 v9, v[14:15], off
	s_mov_b32 s0, 0
	s_mov_b32 s7, -1
	s_wait_loadcnt 0x0
	v_lshlrev_b32_e32 v11, 23, v9
	v_cmp_ne_u32_e32 vcc_lo, 0, v9
	s_delay_alu instid0(VALU_DEP_2) | instskip(NEXT) | instid1(VALU_DEP_1)
	v_cvt_i32_f32_e32 v11, v11
	v_cndmask_b32_e32 v12, 0, v11, vcc_lo
	s_branch .LBB119_5375
.LBB119_5374:
	s_mov_b32 s0, -1
                                        ; implicit-def: $vgpr12
.LBB119_5375:
	s_mov_b32 s9, 0
.LBB119_5376:
	s_delay_alu instid0(SALU_CYCLE_1)
	s_and_b32 vcc_lo, exec_lo, s9
	s_cbranch_vccz .LBB119_5380
; %bb.5377:
	s_cmp_eq_u32 s59, 29
	s_cbranch_scc0 .LBB119_5379
; %bb.5378:
	global_load_b32 v12, v[14:15], off
	s_mov_b32 s0, 0
	s_mov_b32 s7, -1
	s_branch .LBB119_5380
.LBB119_5379:
	s_mov_b32 s0, -1
                                        ; implicit-def: $vgpr12
.LBB119_5380:
	s_mov_b32 s9, 0
.LBB119_5381:
	s_delay_alu instid0(SALU_CYCLE_1)
	s_and_b32 vcc_lo, exec_lo, s9
	s_cbranch_vccz .LBB119_5397
; %bb.5382:
	s_cmp_lt_i32 s59, 27
	s_cbranch_scc1 .LBB119_5385
; %bb.5383:
	s_cmp_gt_i32 s59, 27
	s_cbranch_scc0 .LBB119_5386
; %bb.5384:
	s_wait_loadcnt 0x0
	global_load_b32 v12, v[14:15], off
	s_mov_b32 s7, 0
	s_branch .LBB119_5387
.LBB119_5385:
	s_mov_b32 s7, -1
                                        ; implicit-def: $vgpr12
	s_branch .LBB119_5390
.LBB119_5386:
	s_mov_b32 s7, -1
                                        ; implicit-def: $vgpr12
.LBB119_5387:
	s_delay_alu instid0(SALU_CYCLE_1)
	s_and_not1_b32 vcc_lo, exec_lo, s7
	s_cbranch_vccnz .LBB119_5389
; %bb.5388:
	s_wait_loadcnt 0x0
	global_load_u16 v12, v[14:15], off
.LBB119_5389:
	s_mov_b32 s7, 0
.LBB119_5390:
	s_delay_alu instid0(SALU_CYCLE_1)
	s_and_not1_b32 vcc_lo, exec_lo, s7
	s_cbranch_vccnz .LBB119_5396
; %bb.5391:
	global_load_u8 v9, v[14:15], off
	s_mov_b32 s9, 0
	s_mov_b32 s7, exec_lo
	s_wait_loadcnt 0x0
	v_cmpx_lt_i16_e32 0x7f, v9
	s_xor_b32 s7, exec_lo, s7
	s_cbranch_execz .LBB119_5408
; %bb.5392:
	v_cmp_ne_u16_e32 vcc_lo, 0x80, v9
	s_and_b32 s9, vcc_lo, exec_lo
	s_and_not1_saveexec_b32 s7, s7
	s_cbranch_execnz .LBB119_5409
.LBB119_5393:
	s_or_b32 exec_lo, exec_lo, s7
	v_mov_b32_e32 v12, 0
	s_and_saveexec_b32 s7, s9
	s_cbranch_execz .LBB119_5395
.LBB119_5394:
	v_and_b32_e32 v11, 0xffff, v9
	s_delay_alu instid0(VALU_DEP_1) | instskip(SKIP_1) | instid1(VALU_DEP_2)
	v_and_b32_e32 v12, 7, v11
	v_bfe_u32 v18, v11, 3, 4
	v_clz_i32_u32_e32 v13, v12
	s_delay_alu instid0(VALU_DEP_2) | instskip(NEXT) | instid1(VALU_DEP_2)
	v_cmp_eq_u32_e32 vcc_lo, 0, v18
	v_min_u32_e32 v13, 32, v13
	s_delay_alu instid0(VALU_DEP_1) | instskip(NEXT) | instid1(VALU_DEP_1)
	v_subrev_nc_u32_e32 v17, 28, v13
	v_dual_lshlrev_b32 v11, v17, v11 :: v_dual_sub_nc_u32 v13, 29, v13
	s_delay_alu instid0(VALU_DEP_1) | instskip(NEXT) | instid1(VALU_DEP_1)
	v_dual_lshlrev_b32 v9, 24, v9 :: v_dual_bitop2_b32 v11, 7, v11 bitop3:0x40
	v_dual_cndmask_b32 v11, v12, v11, vcc_lo :: v_dual_cndmask_b32 v13, v18, v13, vcc_lo
	s_delay_alu instid0(VALU_DEP_2) | instskip(NEXT) | instid1(VALU_DEP_2)
	v_and_b32_e32 v9, 0x80000000, v9
	v_lshlrev_b32_e32 v11, 20, v11
	s_delay_alu instid0(VALU_DEP_3) | instskip(NEXT) | instid1(VALU_DEP_1)
	v_lshl_add_u32 v12, v13, 23, 0x3b800000
	v_or3_b32 v9, v9, v12, v11
	s_delay_alu instid0(VALU_DEP_1)
	v_cvt_i32_f32_e32 v12, v9
.LBB119_5395:
	s_or_b32 exec_lo, exec_lo, s7
.LBB119_5396:
	s_mov_b32 s7, -1
.LBB119_5397:
	s_mov_b32 s9, 0
.LBB119_5398:
	s_delay_alu instid0(SALU_CYCLE_1)
	s_and_b32 vcc_lo, exec_lo, s9
	s_cbranch_vccz .LBB119_5429
; %bb.5399:
	s_cmp_gt_i32 s59, 22
	s_cbranch_scc0 .LBB119_5407
; %bb.5400:
	s_cmp_lt_i32 s59, 24
	s_cbranch_scc1 .LBB119_5410
; %bb.5401:
	s_cmp_gt_i32 s59, 24
	s_cbranch_scc0 .LBB119_5411
; %bb.5402:
	global_load_u8 v9, v[14:15], off
	s_mov_b32 s7, 0
	s_mov_b32 s6, exec_lo
	s_wait_loadcnt 0x0
	v_cmpx_lt_i16_e32 0x7f, v9
	s_xor_b32 s6, exec_lo, s6
	s_cbranch_execz .LBB119_5423
; %bb.5403:
	v_cmp_ne_u16_e32 vcc_lo, 0x80, v9
	s_and_b32 s7, vcc_lo, exec_lo
	s_and_not1_saveexec_b32 s6, s6
	s_cbranch_execnz .LBB119_5424
.LBB119_5404:
	s_or_b32 exec_lo, exec_lo, s6
	v_mov_b32_e32 v12, 0
	s_and_saveexec_b32 s6, s7
	s_cbranch_execz .LBB119_5406
.LBB119_5405:
	v_and_b32_e32 v11, 0xffff, v9
	s_delay_alu instid0(VALU_DEP_1) | instskip(SKIP_1) | instid1(VALU_DEP_2)
	v_and_b32_e32 v12, 3, v11
	v_bfe_u32 v18, v11, 2, 5
	v_clz_i32_u32_e32 v13, v12
	s_delay_alu instid0(VALU_DEP_2) | instskip(NEXT) | instid1(VALU_DEP_2)
	v_cmp_eq_u32_e32 vcc_lo, 0, v18
	v_min_u32_e32 v13, 32, v13
	s_delay_alu instid0(VALU_DEP_1) | instskip(NEXT) | instid1(VALU_DEP_1)
	v_subrev_nc_u32_e32 v17, 29, v13
	v_dual_lshlrev_b32 v11, v17, v11 :: v_dual_sub_nc_u32 v13, 30, v13
	s_delay_alu instid0(VALU_DEP_1) | instskip(NEXT) | instid1(VALU_DEP_1)
	v_dual_lshlrev_b32 v9, 24, v9 :: v_dual_bitop2_b32 v11, 3, v11 bitop3:0x40
	v_dual_cndmask_b32 v11, v12, v11, vcc_lo :: v_dual_cndmask_b32 v13, v18, v13, vcc_lo
	s_delay_alu instid0(VALU_DEP_2) | instskip(NEXT) | instid1(VALU_DEP_2)
	v_and_b32_e32 v9, 0x80000000, v9
	v_lshlrev_b32_e32 v11, 21, v11
	s_delay_alu instid0(VALU_DEP_3) | instskip(NEXT) | instid1(VALU_DEP_1)
	v_lshl_add_u32 v12, v13, 23, 0x37800000
	v_or3_b32 v9, v9, v12, v11
	s_delay_alu instid0(VALU_DEP_1)
	v_cvt_i32_f32_e32 v12, v9
.LBB119_5406:
	s_or_b32 exec_lo, exec_lo, s6
	s_mov_b32 s6, 0
	s_branch .LBB119_5412
.LBB119_5407:
	s_mov_b32 s6, -1
                                        ; implicit-def: $vgpr12
	s_branch .LBB119_5418
.LBB119_5408:
	s_and_not1_saveexec_b32 s7, s7
	s_cbranch_execz .LBB119_5393
.LBB119_5409:
	v_cmp_ne_u16_e32 vcc_lo, 0, v9
	s_and_not1_b32 s9, s9, exec_lo
	s_and_b32 s12, vcc_lo, exec_lo
	s_delay_alu instid0(SALU_CYCLE_1)
	s_or_b32 s9, s9, s12
	s_or_b32 exec_lo, exec_lo, s7
	v_mov_b32_e32 v12, 0
	s_and_saveexec_b32 s7, s9
	s_cbranch_execnz .LBB119_5394
	s_branch .LBB119_5395
.LBB119_5410:
	s_mov_b32 s6, -1
                                        ; implicit-def: $vgpr12
	s_branch .LBB119_5415
.LBB119_5411:
	s_mov_b32 s6, -1
                                        ; implicit-def: $vgpr12
.LBB119_5412:
	s_delay_alu instid0(SALU_CYCLE_1)
	s_and_b32 vcc_lo, exec_lo, s6
	s_cbranch_vccz .LBB119_5414
; %bb.5413:
	global_load_u8 v9, v[14:15], off
	s_wait_loadcnt 0x0
	v_lshlrev_b32_e32 v9, 24, v9
	s_delay_alu instid0(VALU_DEP_1) | instskip(NEXT) | instid1(VALU_DEP_1)
	v_and_b32_e32 v11, 0x7f000000, v9
	v_clz_i32_u32_e32 v12, v11
	v_add_nc_u32_e32 v17, 0x1000000, v11
	v_cmp_ne_u32_e32 vcc_lo, 0, v11
	s_delay_alu instid0(VALU_DEP_3) | instskip(NEXT) | instid1(VALU_DEP_1)
	v_min_u32_e32 v12, 32, v12
	v_sub_nc_u32_e64 v12, v12, 4 clamp
	s_delay_alu instid0(VALU_DEP_1) | instskip(NEXT) | instid1(VALU_DEP_1)
	v_dual_lshlrev_b32 v13, v12, v11 :: v_dual_lshlrev_b32 v12, 23, v12
	v_lshrrev_b32_e32 v13, 4, v13
	s_delay_alu instid0(VALU_DEP_1) | instskip(NEXT) | instid1(VALU_DEP_1)
	v_dual_sub_nc_u32 v12, v13, v12 :: v_dual_ashrrev_i32 v13, 8, v17
	v_add_nc_u32_e32 v12, 0x3c000000, v12
	s_delay_alu instid0(VALU_DEP_1) | instskip(NEXT) | instid1(VALU_DEP_1)
	v_and_or_b32 v12, 0x7f800000, v13, v12
	v_cndmask_b32_e32 v11, 0, v12, vcc_lo
	s_delay_alu instid0(VALU_DEP_1) | instskip(NEXT) | instid1(VALU_DEP_1)
	v_and_or_b32 v9, 0x80000000, v9, v11
	v_cvt_i32_f32_e32 v12, v9
.LBB119_5414:
	s_mov_b32 s6, 0
.LBB119_5415:
	s_delay_alu instid0(SALU_CYCLE_1)
	s_and_not1_b32 vcc_lo, exec_lo, s6
	s_cbranch_vccnz .LBB119_5417
; %bb.5416:
	global_load_u8 v9, v[14:15], off
	s_wait_loadcnt 0x0
	v_lshlrev_b32_e32 v11, 25, v9
	v_lshlrev_b16 v9, 8, v9
	s_delay_alu instid0(VALU_DEP_1) | instskip(NEXT) | instid1(VALU_DEP_3)
	v_and_or_b32 v13, 0x7f00, v9, 0.5
	v_lshrrev_b32_e32 v12, 4, v11
	v_bfe_i32 v9, v9, 0, 16
	s_delay_alu instid0(VALU_DEP_3) | instskip(NEXT) | instid1(VALU_DEP_3)
	v_add_f32_e32 v13, -0.5, v13
	v_or_b32_e32 v12, 0x70000000, v12
	s_delay_alu instid0(VALU_DEP_1) | instskip(SKIP_1) | instid1(VALU_DEP_2)
	v_mul_f32_e32 v12, 0x7800000, v12
	v_cmp_gt_u32_e32 vcc_lo, 0x8000000, v11
	v_cndmask_b32_e32 v11, v12, v13, vcc_lo
	s_delay_alu instid0(VALU_DEP_1) | instskip(NEXT) | instid1(VALU_DEP_1)
	v_and_or_b32 v9, 0x80000000, v9, v11
	v_cvt_i32_f32_e32 v12, v9
.LBB119_5417:
	s_mov_b32 s6, 0
	s_mov_b32 s7, -1
.LBB119_5418:
	s_and_not1_b32 vcc_lo, exec_lo, s6
	s_mov_b32 s6, 0
	s_cbranch_vccnz .LBB119_5429
; %bb.5419:
	s_cmp_gt_i32 s59, 14
	s_cbranch_scc0 .LBB119_5422
; %bb.5420:
	s_cmp_eq_u32 s59, 15
	s_cbranch_scc0 .LBB119_5425
; %bb.5421:
	global_load_u16 v9, v[14:15], off
	s_mov_b32 s0, 0
	s_mov_b32 s7, -1
	s_wait_loadcnt 0x0
	v_lshlrev_b32_e32 v9, 16, v9
	s_delay_alu instid0(VALU_DEP_1)
	v_cvt_i32_f32_e32 v12, v9
	s_branch .LBB119_5427
.LBB119_5422:
	s_mov_b32 s6, -1
	s_branch .LBB119_5426
.LBB119_5423:
	s_and_not1_saveexec_b32 s6, s6
	s_cbranch_execz .LBB119_5404
.LBB119_5424:
	v_cmp_ne_u16_e32 vcc_lo, 0, v9
	s_and_not1_b32 s7, s7, exec_lo
	s_and_b32 s9, vcc_lo, exec_lo
	s_delay_alu instid0(SALU_CYCLE_1)
	s_or_b32 s7, s7, s9
	s_or_b32 exec_lo, exec_lo, s6
	v_mov_b32_e32 v12, 0
	s_and_saveexec_b32 s6, s7
	s_cbranch_execnz .LBB119_5405
	s_branch .LBB119_5406
.LBB119_5425:
	s_mov_b32 s0, -1
.LBB119_5426:
                                        ; implicit-def: $vgpr12
.LBB119_5427:
	s_and_b32 vcc_lo, exec_lo, s6
	s_mov_b32 s6, 0
	s_cbranch_vccz .LBB119_5429
; %bb.5428:
	s_cmp_lg_u32 s59, 11
	s_mov_b32 s6, -1
	s_cselect_b32 s0, -1, 0
.LBB119_5429:
	s_delay_alu instid0(SALU_CYCLE_1)
	s_and_b32 vcc_lo, exec_lo, s0
	s_cbranch_vccnz .LBB119_5494
; %bb.5430:
	s_and_not1_b32 vcc_lo, exec_lo, s6
	s_cbranch_vccnz .LBB119_5432
.LBB119_5431:
	global_load_u8 v9, v[14:15], off
	s_mov_b32 s7, -1
	s_wait_loadcnt 0x0
	v_cmp_ne_u16_e32 vcc_lo, 0, v9
	v_cndmask_b32_e64 v12, 0, 1, vcc_lo
.LBB119_5432:
	s_mov_b32 s0, 0
.LBB119_5433:
	s_delay_alu instid0(SALU_CYCLE_1)
	s_and_b32 vcc_lo, exec_lo, s0
	s_cbranch_vccz .LBB119_5482
; %bb.5434:
	s_cmp_lt_i32 s59, 5
	s_cbranch_scc1 .LBB119_5439
; %bb.5435:
	s_cmp_lt_i32 s59, 8
	s_cbranch_scc1 .LBB119_5440
	;; [unrolled: 3-line block ×3, first 2 shown]
; %bb.5437:
	s_cmp_gt_i32 s59, 9
	s_cbranch_scc0 .LBB119_5442
; %bb.5438:
	s_wait_loadcnt 0x0
	global_load_b64 v[12:13], v[14:15], off
	s_mov_b32 s0, 0
	s_wait_loadcnt 0x0
	v_cvt_i32_f64_e32 v12, v[12:13]
	s_branch .LBB119_5443
.LBB119_5439:
	s_mov_b32 s0, -1
                                        ; implicit-def: $vgpr12
	s_branch .LBB119_5461
.LBB119_5440:
	s_mov_b32 s0, -1
                                        ; implicit-def: $vgpr12
	s_branch .LBB119_5449
.LBB119_5441:
	s_mov_b32 s0, -1
                                        ; implicit-def: $vgpr12
	s_branch .LBB119_5446
.LBB119_5442:
	s_mov_b32 s0, -1
                                        ; implicit-def: $vgpr12
.LBB119_5443:
	s_delay_alu instid0(SALU_CYCLE_1)
	s_and_not1_b32 vcc_lo, exec_lo, s0
	s_cbranch_vccnz .LBB119_5445
; %bb.5444:
	global_load_b32 v9, v[14:15], off
	s_wait_loadcnt 0x0
	v_cvt_i32_f32_e32 v12, v9
.LBB119_5445:
	s_mov_b32 s0, 0
.LBB119_5446:
	s_delay_alu instid0(SALU_CYCLE_1)
	s_and_not1_b32 vcc_lo, exec_lo, s0
	s_cbranch_vccnz .LBB119_5448
; %bb.5447:
	global_load_b32 v9, v[14:15], off
	s_wait_loadcnt 0x0
	v_cvt_f32_f16_e32 v9, v9
	s_delay_alu instid0(VALU_DEP_1)
	v_cvt_i32_f32_e32 v12, v9
.LBB119_5448:
	s_mov_b32 s0, 0
.LBB119_5449:
	s_delay_alu instid0(SALU_CYCLE_1)
	s_and_not1_b32 vcc_lo, exec_lo, s0
	s_cbranch_vccnz .LBB119_5460
; %bb.5450:
	s_cmp_lt_i32 s59, 6
	s_cbranch_scc1 .LBB119_5453
; %bb.5451:
	s_cmp_gt_i32 s59, 6
	s_cbranch_scc0 .LBB119_5454
; %bb.5452:
	s_wait_loadcnt 0x0
	global_load_b64 v[12:13], v[14:15], off
	s_mov_b32 s0, 0
	s_wait_loadcnt 0x0
	v_cvt_i32_f64_e32 v12, v[12:13]
	s_branch .LBB119_5455
.LBB119_5453:
	s_mov_b32 s0, -1
                                        ; implicit-def: $vgpr12
	s_branch .LBB119_5458
.LBB119_5454:
	s_mov_b32 s0, -1
                                        ; implicit-def: $vgpr12
.LBB119_5455:
	s_delay_alu instid0(SALU_CYCLE_1)
	s_and_not1_b32 vcc_lo, exec_lo, s0
	s_cbranch_vccnz .LBB119_5457
; %bb.5456:
	global_load_b32 v9, v[14:15], off
	s_wait_loadcnt 0x0
	v_cvt_i32_f32_e32 v12, v9
.LBB119_5457:
	s_mov_b32 s0, 0
.LBB119_5458:
	s_delay_alu instid0(SALU_CYCLE_1)
	s_and_not1_b32 vcc_lo, exec_lo, s0
	s_cbranch_vccnz .LBB119_5460
; %bb.5459:
	global_load_u16 v9, v[14:15], off
	s_wait_loadcnt 0x0
	v_cvt_f32_f16_e32 v9, v9
	s_delay_alu instid0(VALU_DEP_1)
	v_cvt_i32_f32_e32 v12, v9
.LBB119_5460:
	s_mov_b32 s0, 0
.LBB119_5461:
	s_delay_alu instid0(SALU_CYCLE_1)
	s_and_not1_b32 vcc_lo, exec_lo, s0
	s_cbranch_vccnz .LBB119_5481
; %bb.5462:
	s_cmp_lt_i32 s59, 2
	s_cbranch_scc1 .LBB119_5466
; %bb.5463:
	s_cmp_lt_i32 s59, 3
	s_cbranch_scc1 .LBB119_5467
; %bb.5464:
	s_cmp_gt_i32 s59, 3
	s_cbranch_scc0 .LBB119_5468
; %bb.5465:
	s_wait_loadcnt 0x0
	global_load_b32 v12, v[14:15], off
	s_mov_b32 s0, 0
	s_branch .LBB119_5469
.LBB119_5466:
	s_mov_b32 s0, -1
                                        ; implicit-def: $vgpr12
	s_branch .LBB119_5475
.LBB119_5467:
	s_mov_b32 s0, -1
                                        ; implicit-def: $vgpr12
	s_branch .LBB119_5472
.LBB119_5468:
	s_mov_b32 s0, -1
                                        ; implicit-def: $vgpr12
.LBB119_5469:
	s_delay_alu instid0(SALU_CYCLE_1)
	s_and_not1_b32 vcc_lo, exec_lo, s0
	s_cbranch_vccnz .LBB119_5471
; %bb.5470:
	s_wait_loadcnt 0x0
	global_load_b32 v12, v[14:15], off
.LBB119_5471:
	s_mov_b32 s0, 0
.LBB119_5472:
	s_delay_alu instid0(SALU_CYCLE_1)
	s_and_not1_b32 vcc_lo, exec_lo, s0
	s_cbranch_vccnz .LBB119_5474
; %bb.5473:
	s_wait_loadcnt 0x0
	global_load_i16 v12, v[14:15], off
.LBB119_5474:
	s_mov_b32 s0, 0
.LBB119_5475:
	s_delay_alu instid0(SALU_CYCLE_1)
	s_and_not1_b32 vcc_lo, exec_lo, s0
	s_cbranch_vccnz .LBB119_5481
; %bb.5476:
	s_cmp_gt_i32 s59, 0
	s_mov_b32 s0, 0
	s_cbranch_scc0 .LBB119_5478
; %bb.5477:
	s_wait_loadcnt 0x0
	global_load_i8 v12, v[14:15], off
	s_branch .LBB119_5479
.LBB119_5478:
	s_mov_b32 s0, -1
                                        ; implicit-def: $vgpr12
.LBB119_5479:
	s_delay_alu instid0(SALU_CYCLE_1)
	s_and_not1_b32 vcc_lo, exec_lo, s0
	s_cbranch_vccnz .LBB119_5481
; %bb.5480:
	s_wait_loadcnt 0x0
	global_load_u8 v12, v[14:15], off
.LBB119_5481:
	s_mov_b32 s7, -1
.LBB119_5482:
	s_delay_alu instid0(SALU_CYCLE_1)
	s_and_not1_b32 vcc_lo, exec_lo, s7
	s_cbranch_vccnz .LBB119_5746
; %bb.5483:
	v_mov_b32_e32 v11, 0
	s_cmp_lt_i32 s60, 11
	s_wait_xcnt 0x0
	s_delay_alu instid0(VALU_DEP_1)
	v_add_nc_u64_e32 v[14:15], s[16:17], v[10:11]
	s_cbranch_scc1 .LBB119_5490
; %bb.5484:
	s_cmp_gt_i32 s60, 25
	s_mov_b32 s6, 0
	s_cbranch_scc0 .LBB119_5491
; %bb.5485:
	s_cmp_gt_i32 s60, 28
	s_cbranch_scc0 .LBB119_5492
; %bb.5486:
	s_cmp_gt_i32 s60, 43
	;; [unrolled: 3-line block ×3, first 2 shown]
	s_cbranch_scc0 .LBB119_5495
; %bb.5488:
	s_cmp_eq_u32 s60, 46
	s_mov_b32 s9, 0
	s_cbranch_scc0 .LBB119_5497
; %bb.5489:
	global_load_b32 v9, v[14:15], off
	s_mov_b32 s0, 0
	s_mov_b32 s7, -1
	s_wait_loadcnt 0x0
	v_lshlrev_b32_e32 v9, 16, v9
	s_delay_alu instid0(VALU_DEP_1)
	v_cvt_i32_f32_e32 v10, v9
	s_branch .LBB119_5499
.LBB119_5490:
	s_mov_b32 s0, -1
	s_mov_b32 s7, 0
                                        ; implicit-def: $vgpr10
	s_branch .LBB119_5561
.LBB119_5491:
	s_mov_b32 s9, -1
	s_mov_b32 s7, 0
	s_mov_b32 s0, 0
                                        ; implicit-def: $vgpr10
	s_branch .LBB119_5526
.LBB119_5492:
	s_mov_b32 s9, -1
	s_mov_b32 s7, 0
	s_mov_b32 s0, 0
                                        ; implicit-def: $vgpr10
	s_branch .LBB119_5509
.LBB119_5493:
	s_mov_b32 s9, -1
	s_mov_b32 s7, 0
	s_mov_b32 s0, 0
                                        ; implicit-def: $vgpr10
	s_branch .LBB119_5504
.LBB119_5494:
	s_or_b32 s25, s25, exec_lo
	s_trap 2
	s_cbranch_execz .LBB119_5431
	s_branch .LBB119_5432
.LBB119_5495:
	s_mov_b32 s9, -1
	s_mov_b32 s7, 0
	s_mov_b32 s0, 0
	s_branch .LBB119_5498
.LBB119_5496:
	s_or_b32 s65, s63, exec_lo
	s_trap 2
                                        ; implicit-def: $vgpr22
                                        ; implicit-def: $vgpr20
                                        ; implicit-def: $vgpr24
                                        ; implicit-def: $vgpr5
                                        ; implicit-def: $vgpr6
                                        ; implicit-def: $vgpr4
                                        ; implicit-def: $vgpr2
                                        ; implicit-def: $vgpr10
                                        ; implicit-def: $vgpr8
                                        ; implicit-def: $vgpr14
                                        ; implicit-def: $vgpr12
                                        ; implicit-def: $vgpr0
                                        ; implicit-def: $vgpr16
                                        ; implicit-def: $vgpr1
                                        ; implicit-def: $vgpr3
	s_branch .LBB119_5077
.LBB119_5497:
	s_mov_b32 s0, -1
	s_mov_b32 s7, 0
.LBB119_5498:
                                        ; implicit-def: $vgpr10
.LBB119_5499:
	s_and_b32 vcc_lo, exec_lo, s9
	s_cbranch_vccz .LBB119_5503
; %bb.5500:
	s_cmp_eq_u32 s60, 44
	s_cbranch_scc0 .LBB119_5502
; %bb.5501:
	global_load_u8 v9, v[14:15], off
	s_mov_b32 s0, 0
	s_mov_b32 s7, -1
	s_wait_loadcnt 0x0
	v_lshlrev_b32_e32 v10, 23, v9
	v_cmp_ne_u32_e32 vcc_lo, 0, v9
	s_delay_alu instid0(VALU_DEP_2) | instskip(NEXT) | instid1(VALU_DEP_1)
	v_cvt_i32_f32_e32 v10, v10
	v_cndmask_b32_e32 v10, 0, v10, vcc_lo
	s_branch .LBB119_5503
.LBB119_5502:
	s_mov_b32 s0, -1
                                        ; implicit-def: $vgpr10
.LBB119_5503:
	s_mov_b32 s9, 0
.LBB119_5504:
	s_delay_alu instid0(SALU_CYCLE_1)
	s_and_b32 vcc_lo, exec_lo, s9
	s_cbranch_vccz .LBB119_5508
; %bb.5505:
	s_cmp_eq_u32 s60, 29
	s_cbranch_scc0 .LBB119_5507
; %bb.5506:
	global_load_b32 v10, v[14:15], off
	s_mov_b32 s0, 0
	s_mov_b32 s7, -1
	s_branch .LBB119_5508
.LBB119_5507:
	s_mov_b32 s0, -1
                                        ; implicit-def: $vgpr10
.LBB119_5508:
	s_mov_b32 s9, 0
.LBB119_5509:
	s_delay_alu instid0(SALU_CYCLE_1)
	s_and_b32 vcc_lo, exec_lo, s9
	s_cbranch_vccz .LBB119_5525
; %bb.5510:
	s_cmp_lt_i32 s60, 27
	s_cbranch_scc1 .LBB119_5513
; %bb.5511:
	s_cmp_gt_i32 s60, 27
	s_cbranch_scc0 .LBB119_5514
; %bb.5512:
	s_wait_loadcnt 0x0
	global_load_b32 v10, v[14:15], off
	s_mov_b32 s7, 0
	s_branch .LBB119_5515
.LBB119_5513:
	s_mov_b32 s7, -1
                                        ; implicit-def: $vgpr10
	s_branch .LBB119_5518
.LBB119_5514:
	s_mov_b32 s7, -1
                                        ; implicit-def: $vgpr10
.LBB119_5515:
	s_delay_alu instid0(SALU_CYCLE_1)
	s_and_not1_b32 vcc_lo, exec_lo, s7
	s_cbranch_vccnz .LBB119_5517
; %bb.5516:
	s_wait_loadcnt 0x0
	global_load_u16 v10, v[14:15], off
.LBB119_5517:
	s_mov_b32 s7, 0
.LBB119_5518:
	s_delay_alu instid0(SALU_CYCLE_1)
	s_and_not1_b32 vcc_lo, exec_lo, s7
	s_cbranch_vccnz .LBB119_5524
; %bb.5519:
	global_load_u8 v9, v[14:15], off
	s_mov_b32 s9, 0
	s_mov_b32 s7, exec_lo
	s_wait_loadcnt 0x0
	v_cmpx_lt_i16_e32 0x7f, v9
	s_xor_b32 s7, exec_lo, s7
	s_cbranch_execz .LBB119_5536
; %bb.5520:
	v_cmp_ne_u16_e32 vcc_lo, 0x80, v9
	s_and_b32 s9, vcc_lo, exec_lo
	s_and_not1_saveexec_b32 s7, s7
	s_cbranch_execnz .LBB119_5537
.LBB119_5521:
	s_or_b32 exec_lo, exec_lo, s7
	v_mov_b32_e32 v10, 0
	s_and_saveexec_b32 s7, s9
	s_cbranch_execz .LBB119_5523
.LBB119_5522:
	v_and_b32_e32 v10, 0xffff, v9
	s_delay_alu instid0(VALU_DEP_1) | instskip(SKIP_1) | instid1(VALU_DEP_2)
	v_and_b32_e32 v11, 7, v10
	v_bfe_u32 v18, v10, 3, 4
	v_clz_i32_u32_e32 v13, v11
	s_delay_alu instid0(VALU_DEP_2) | instskip(NEXT) | instid1(VALU_DEP_2)
	v_cmp_eq_u32_e32 vcc_lo, 0, v18
	v_min_u32_e32 v13, 32, v13
	s_delay_alu instid0(VALU_DEP_1) | instskip(NEXT) | instid1(VALU_DEP_1)
	v_subrev_nc_u32_e32 v17, 28, v13
	v_dual_lshlrev_b32 v10, v17, v10 :: v_dual_sub_nc_u32 v13, 29, v13
	s_delay_alu instid0(VALU_DEP_1) | instskip(NEXT) | instid1(VALU_DEP_1)
	v_dual_lshlrev_b32 v9, 24, v9 :: v_dual_bitop2_b32 v10, 7, v10 bitop3:0x40
	v_dual_cndmask_b32 v10, v11, v10 :: v_dual_cndmask_b32 v13, v18, v13
	s_delay_alu instid0(VALU_DEP_2) | instskip(NEXT) | instid1(VALU_DEP_2)
	v_and_b32_e32 v9, 0x80000000, v9
	v_lshlrev_b32_e32 v10, 20, v10
	s_delay_alu instid0(VALU_DEP_3) | instskip(NEXT) | instid1(VALU_DEP_1)
	v_lshl_add_u32 v11, v13, 23, 0x3b800000
	v_or3_b32 v9, v9, v11, v10
	s_delay_alu instid0(VALU_DEP_1)
	v_cvt_i32_f32_e32 v10, v9
.LBB119_5523:
	s_or_b32 exec_lo, exec_lo, s7
.LBB119_5524:
	s_mov_b32 s7, -1
.LBB119_5525:
	s_mov_b32 s9, 0
.LBB119_5526:
	s_delay_alu instid0(SALU_CYCLE_1)
	s_and_b32 vcc_lo, exec_lo, s9
	s_cbranch_vccz .LBB119_5557
; %bb.5527:
	s_cmp_gt_i32 s60, 22
	s_cbranch_scc0 .LBB119_5535
; %bb.5528:
	s_cmp_lt_i32 s60, 24
	s_cbranch_scc1 .LBB119_5538
; %bb.5529:
	s_cmp_gt_i32 s60, 24
	s_cbranch_scc0 .LBB119_5539
; %bb.5530:
	global_load_u8 v9, v[14:15], off
	s_mov_b32 s7, 0
	s_mov_b32 s6, exec_lo
	s_wait_loadcnt 0x0
	v_cmpx_lt_i16_e32 0x7f, v9
	s_xor_b32 s6, exec_lo, s6
	s_cbranch_execz .LBB119_5551
; %bb.5531:
	v_cmp_ne_u16_e32 vcc_lo, 0x80, v9
	s_and_b32 s7, vcc_lo, exec_lo
	s_and_not1_saveexec_b32 s6, s6
	s_cbranch_execnz .LBB119_5552
.LBB119_5532:
	s_or_b32 exec_lo, exec_lo, s6
	v_mov_b32_e32 v10, 0
	s_and_saveexec_b32 s6, s7
	s_cbranch_execz .LBB119_5534
.LBB119_5533:
	v_and_b32_e32 v10, 0xffff, v9
	s_delay_alu instid0(VALU_DEP_1) | instskip(SKIP_1) | instid1(VALU_DEP_2)
	v_and_b32_e32 v11, 3, v10
	v_bfe_u32 v18, v10, 2, 5
	v_clz_i32_u32_e32 v13, v11
	s_delay_alu instid0(VALU_DEP_2) | instskip(NEXT) | instid1(VALU_DEP_2)
	v_cmp_eq_u32_e32 vcc_lo, 0, v18
	v_min_u32_e32 v13, 32, v13
	s_delay_alu instid0(VALU_DEP_1) | instskip(NEXT) | instid1(VALU_DEP_1)
	v_subrev_nc_u32_e32 v17, 29, v13
	v_dual_lshlrev_b32 v10, v17, v10 :: v_dual_sub_nc_u32 v13, 30, v13
	s_delay_alu instid0(VALU_DEP_1) | instskip(NEXT) | instid1(VALU_DEP_1)
	v_dual_lshlrev_b32 v9, 24, v9 :: v_dual_bitop2_b32 v10, 3, v10 bitop3:0x40
	v_dual_cndmask_b32 v10, v11, v10 :: v_dual_cndmask_b32 v13, v18, v13
	s_delay_alu instid0(VALU_DEP_2) | instskip(NEXT) | instid1(VALU_DEP_2)
	v_and_b32_e32 v9, 0x80000000, v9
	v_lshlrev_b32_e32 v10, 21, v10
	s_delay_alu instid0(VALU_DEP_3) | instskip(NEXT) | instid1(VALU_DEP_1)
	v_lshl_add_u32 v11, v13, 23, 0x37800000
	v_or3_b32 v9, v9, v11, v10
	s_delay_alu instid0(VALU_DEP_1)
	v_cvt_i32_f32_e32 v10, v9
.LBB119_5534:
	s_or_b32 exec_lo, exec_lo, s6
	s_mov_b32 s6, 0
	s_branch .LBB119_5540
.LBB119_5535:
	s_mov_b32 s6, -1
                                        ; implicit-def: $vgpr10
	s_branch .LBB119_5546
.LBB119_5536:
	s_and_not1_saveexec_b32 s7, s7
	s_cbranch_execz .LBB119_5521
.LBB119_5537:
	v_cmp_ne_u16_e32 vcc_lo, 0, v9
	s_and_not1_b32 s9, s9, exec_lo
	s_and_b32 s12, vcc_lo, exec_lo
	s_delay_alu instid0(SALU_CYCLE_1)
	s_or_b32 s9, s9, s12
	s_or_b32 exec_lo, exec_lo, s7
	v_mov_b32_e32 v10, 0
	s_and_saveexec_b32 s7, s9
	s_cbranch_execnz .LBB119_5522
	s_branch .LBB119_5523
.LBB119_5538:
	s_mov_b32 s6, -1
                                        ; implicit-def: $vgpr10
	s_branch .LBB119_5543
.LBB119_5539:
	s_mov_b32 s6, -1
                                        ; implicit-def: $vgpr10
.LBB119_5540:
	s_delay_alu instid0(SALU_CYCLE_1)
	s_and_b32 vcc_lo, exec_lo, s6
	s_cbranch_vccz .LBB119_5542
; %bb.5541:
	global_load_u8 v9, v[14:15], off
	s_wait_loadcnt 0x0
	v_lshlrev_b32_e32 v9, 24, v9
	s_delay_alu instid0(VALU_DEP_1) | instskip(NEXT) | instid1(VALU_DEP_1)
	v_and_b32_e32 v10, 0x7f000000, v9
	v_clz_i32_u32_e32 v11, v10
	v_cmp_ne_u32_e32 vcc_lo, 0, v10
	v_add_nc_u32_e32 v17, 0x1000000, v10
	s_delay_alu instid0(VALU_DEP_3) | instskip(NEXT) | instid1(VALU_DEP_1)
	v_min_u32_e32 v11, 32, v11
	v_sub_nc_u32_e64 v11, v11, 4 clamp
	s_delay_alu instid0(VALU_DEP_1) | instskip(NEXT) | instid1(VALU_DEP_1)
	v_dual_lshlrev_b32 v13, v11, v10 :: v_dual_lshlrev_b32 v11, 23, v11
	v_lshrrev_b32_e32 v13, 4, v13
	s_delay_alu instid0(VALU_DEP_1) | instskip(NEXT) | instid1(VALU_DEP_1)
	v_dual_sub_nc_u32 v11, v13, v11 :: v_dual_ashrrev_i32 v13, 8, v17
	v_add_nc_u32_e32 v11, 0x3c000000, v11
	s_delay_alu instid0(VALU_DEP_1) | instskip(NEXT) | instid1(VALU_DEP_1)
	v_and_or_b32 v11, 0x7f800000, v13, v11
	v_cndmask_b32_e32 v10, 0, v11, vcc_lo
	s_delay_alu instid0(VALU_DEP_1) | instskip(NEXT) | instid1(VALU_DEP_1)
	v_and_or_b32 v9, 0x80000000, v9, v10
	v_cvt_i32_f32_e32 v10, v9
.LBB119_5542:
	s_mov_b32 s6, 0
.LBB119_5543:
	s_delay_alu instid0(SALU_CYCLE_1)
	s_and_not1_b32 vcc_lo, exec_lo, s6
	s_cbranch_vccnz .LBB119_5545
; %bb.5544:
	global_load_u8 v9, v[14:15], off
	s_wait_loadcnt 0x0
	v_lshlrev_b32_e32 v10, 25, v9
	v_lshlrev_b16 v9, 8, v9
	s_delay_alu instid0(VALU_DEP_1) | instskip(NEXT) | instid1(VALU_DEP_3)
	v_and_or_b32 v13, 0x7f00, v9, 0.5
	v_lshrrev_b32_e32 v11, 4, v10
	v_bfe_i32 v9, v9, 0, 16
	s_delay_alu instid0(VALU_DEP_3) | instskip(NEXT) | instid1(VALU_DEP_3)
	v_add_f32_e32 v13, -0.5, v13
	v_or_b32_e32 v11, 0x70000000, v11
	s_delay_alu instid0(VALU_DEP_1) | instskip(SKIP_1) | instid1(VALU_DEP_2)
	v_mul_f32_e32 v11, 0x7800000, v11
	v_cmp_gt_u32_e32 vcc_lo, 0x8000000, v10
	v_cndmask_b32_e32 v10, v11, v13, vcc_lo
	s_delay_alu instid0(VALU_DEP_1) | instskip(NEXT) | instid1(VALU_DEP_1)
	v_and_or_b32 v9, 0x80000000, v9, v10
	v_cvt_i32_f32_e32 v10, v9
.LBB119_5545:
	s_mov_b32 s6, 0
	s_mov_b32 s7, -1
.LBB119_5546:
	s_and_not1_b32 vcc_lo, exec_lo, s6
	s_mov_b32 s6, 0
	s_cbranch_vccnz .LBB119_5557
; %bb.5547:
	s_cmp_gt_i32 s60, 14
	s_cbranch_scc0 .LBB119_5550
; %bb.5548:
	s_cmp_eq_u32 s60, 15
	s_cbranch_scc0 .LBB119_5553
; %bb.5549:
	global_load_u16 v9, v[14:15], off
	s_mov_b32 s0, 0
	s_mov_b32 s7, -1
	s_wait_loadcnt 0x0
	v_lshlrev_b32_e32 v9, 16, v9
	s_delay_alu instid0(VALU_DEP_1)
	v_cvt_i32_f32_e32 v10, v9
	s_branch .LBB119_5555
.LBB119_5550:
	s_mov_b32 s6, -1
	s_branch .LBB119_5554
.LBB119_5551:
	s_and_not1_saveexec_b32 s6, s6
	s_cbranch_execz .LBB119_5532
.LBB119_5552:
	v_cmp_ne_u16_e32 vcc_lo, 0, v9
	s_and_not1_b32 s7, s7, exec_lo
	s_and_b32 s9, vcc_lo, exec_lo
	s_delay_alu instid0(SALU_CYCLE_1)
	s_or_b32 s7, s7, s9
	s_or_b32 exec_lo, exec_lo, s6
	v_mov_b32_e32 v10, 0
	s_and_saveexec_b32 s6, s7
	s_cbranch_execnz .LBB119_5533
	s_branch .LBB119_5534
.LBB119_5553:
	s_mov_b32 s0, -1
.LBB119_5554:
                                        ; implicit-def: $vgpr10
.LBB119_5555:
	s_and_b32 vcc_lo, exec_lo, s6
	s_mov_b32 s6, 0
	s_cbranch_vccz .LBB119_5557
; %bb.5556:
	s_cmp_lg_u32 s60, 11
	s_mov_b32 s6, -1
	s_cselect_b32 s0, -1, 0
.LBB119_5557:
	s_delay_alu instid0(SALU_CYCLE_1)
	s_and_b32 vcc_lo, exec_lo, s0
	s_cbranch_vccnz .LBB119_5622
; %bb.5558:
	s_and_not1_b32 vcc_lo, exec_lo, s6
	s_cbranch_vccnz .LBB119_5560
.LBB119_5559:
	global_load_u8 v9, v[14:15], off
	s_mov_b32 s7, -1
	s_wait_loadcnt 0x0
	v_cmp_ne_u16_e32 vcc_lo, 0, v9
	v_cndmask_b32_e64 v10, 0, 1, vcc_lo
.LBB119_5560:
	s_mov_b32 s0, 0
.LBB119_5561:
	s_delay_alu instid0(SALU_CYCLE_1)
	s_and_b32 vcc_lo, exec_lo, s0
	s_cbranch_vccz .LBB119_5610
; %bb.5562:
	s_cmp_lt_i32 s60, 5
	s_cbranch_scc1 .LBB119_5567
; %bb.5563:
	s_cmp_lt_i32 s60, 8
	s_cbranch_scc1 .LBB119_5568
	;; [unrolled: 3-line block ×3, first 2 shown]
; %bb.5565:
	s_cmp_gt_i32 s60, 9
	s_cbranch_scc0 .LBB119_5570
; %bb.5566:
	s_wait_loadcnt 0x0
	global_load_b64 v[10:11], v[14:15], off
	s_mov_b32 s0, 0
	s_wait_loadcnt 0x0
	v_cvt_i32_f64_e32 v10, v[10:11]
	s_branch .LBB119_5571
.LBB119_5567:
	s_mov_b32 s0, -1
                                        ; implicit-def: $vgpr10
	s_branch .LBB119_5589
.LBB119_5568:
	s_mov_b32 s0, -1
                                        ; implicit-def: $vgpr10
	s_branch .LBB119_5577
.LBB119_5569:
	s_mov_b32 s0, -1
                                        ; implicit-def: $vgpr10
	s_branch .LBB119_5574
.LBB119_5570:
	s_mov_b32 s0, -1
                                        ; implicit-def: $vgpr10
.LBB119_5571:
	s_delay_alu instid0(SALU_CYCLE_1)
	s_and_not1_b32 vcc_lo, exec_lo, s0
	s_cbranch_vccnz .LBB119_5573
; %bb.5572:
	global_load_b32 v9, v[14:15], off
	s_wait_loadcnt 0x0
	v_cvt_i32_f32_e32 v10, v9
.LBB119_5573:
	s_mov_b32 s0, 0
.LBB119_5574:
	s_delay_alu instid0(SALU_CYCLE_1)
	s_and_not1_b32 vcc_lo, exec_lo, s0
	s_cbranch_vccnz .LBB119_5576
; %bb.5575:
	global_load_b32 v9, v[14:15], off
	s_wait_loadcnt 0x0
	v_cvt_f32_f16_e32 v9, v9
	s_delay_alu instid0(VALU_DEP_1)
	v_cvt_i32_f32_e32 v10, v9
.LBB119_5576:
	s_mov_b32 s0, 0
.LBB119_5577:
	s_delay_alu instid0(SALU_CYCLE_1)
	s_and_not1_b32 vcc_lo, exec_lo, s0
	s_cbranch_vccnz .LBB119_5588
; %bb.5578:
	s_cmp_lt_i32 s60, 6
	s_cbranch_scc1 .LBB119_5581
; %bb.5579:
	s_cmp_gt_i32 s60, 6
	s_cbranch_scc0 .LBB119_5582
; %bb.5580:
	s_wait_loadcnt 0x0
	global_load_b64 v[10:11], v[14:15], off
	s_mov_b32 s0, 0
	s_wait_loadcnt 0x0
	v_cvt_i32_f64_e32 v10, v[10:11]
	s_branch .LBB119_5583
.LBB119_5581:
	s_mov_b32 s0, -1
                                        ; implicit-def: $vgpr10
	s_branch .LBB119_5586
.LBB119_5582:
	s_mov_b32 s0, -1
                                        ; implicit-def: $vgpr10
.LBB119_5583:
	s_delay_alu instid0(SALU_CYCLE_1)
	s_and_not1_b32 vcc_lo, exec_lo, s0
	s_cbranch_vccnz .LBB119_5585
; %bb.5584:
	global_load_b32 v9, v[14:15], off
	s_wait_loadcnt 0x0
	v_cvt_i32_f32_e32 v10, v9
.LBB119_5585:
	s_mov_b32 s0, 0
.LBB119_5586:
	s_delay_alu instid0(SALU_CYCLE_1)
	s_and_not1_b32 vcc_lo, exec_lo, s0
	s_cbranch_vccnz .LBB119_5588
; %bb.5587:
	global_load_u16 v9, v[14:15], off
	s_wait_loadcnt 0x0
	v_cvt_f32_f16_e32 v9, v9
	s_delay_alu instid0(VALU_DEP_1)
	v_cvt_i32_f32_e32 v10, v9
.LBB119_5588:
	s_mov_b32 s0, 0
.LBB119_5589:
	s_delay_alu instid0(SALU_CYCLE_1)
	s_and_not1_b32 vcc_lo, exec_lo, s0
	s_cbranch_vccnz .LBB119_5609
; %bb.5590:
	s_cmp_lt_i32 s60, 2
	s_cbranch_scc1 .LBB119_5594
; %bb.5591:
	s_cmp_lt_i32 s60, 3
	s_cbranch_scc1 .LBB119_5595
; %bb.5592:
	s_cmp_gt_i32 s60, 3
	s_cbranch_scc0 .LBB119_5596
; %bb.5593:
	s_wait_loadcnt 0x0
	global_load_b32 v10, v[14:15], off
	s_mov_b32 s0, 0
	s_branch .LBB119_5597
.LBB119_5594:
	s_mov_b32 s0, -1
                                        ; implicit-def: $vgpr10
	s_branch .LBB119_5603
.LBB119_5595:
	s_mov_b32 s0, -1
                                        ; implicit-def: $vgpr10
	s_branch .LBB119_5600
.LBB119_5596:
	s_mov_b32 s0, -1
                                        ; implicit-def: $vgpr10
.LBB119_5597:
	s_delay_alu instid0(SALU_CYCLE_1)
	s_and_not1_b32 vcc_lo, exec_lo, s0
	s_cbranch_vccnz .LBB119_5599
; %bb.5598:
	s_wait_loadcnt 0x0
	global_load_b32 v10, v[14:15], off
.LBB119_5599:
	s_mov_b32 s0, 0
.LBB119_5600:
	s_delay_alu instid0(SALU_CYCLE_1)
	s_and_not1_b32 vcc_lo, exec_lo, s0
	s_cbranch_vccnz .LBB119_5602
; %bb.5601:
	s_wait_loadcnt 0x0
	global_load_i16 v10, v[14:15], off
.LBB119_5602:
	s_mov_b32 s0, 0
.LBB119_5603:
	s_delay_alu instid0(SALU_CYCLE_1)
	s_and_not1_b32 vcc_lo, exec_lo, s0
	s_cbranch_vccnz .LBB119_5609
; %bb.5604:
	s_cmp_gt_i32 s60, 0
	s_mov_b32 s0, 0
	s_cbranch_scc0 .LBB119_5606
; %bb.5605:
	s_wait_loadcnt 0x0
	global_load_i8 v10, v[14:15], off
	s_branch .LBB119_5607
.LBB119_5606:
	s_mov_b32 s0, -1
                                        ; implicit-def: $vgpr10
.LBB119_5607:
	s_delay_alu instid0(SALU_CYCLE_1)
	s_and_not1_b32 vcc_lo, exec_lo, s0
	s_cbranch_vccnz .LBB119_5609
; %bb.5608:
	s_wait_loadcnt 0x0
	global_load_u8 v10, v[14:15], off
.LBB119_5609:
	s_mov_b32 s7, -1
.LBB119_5610:
	s_delay_alu instid0(SALU_CYCLE_1)
	s_and_not1_b32 vcc_lo, exec_lo, s7
	s_cbranch_vccnz .LBB119_5746
; %bb.5611:
	v_mov_b32_e32 v9, 0
	s_cmp_lt_i32 s61, 11
	s_delay_alu instid0(VALU_DEP_1)
	v_add_nc_u64_e32 v[8:9], s[18:19], v[8:9]
	s_cbranch_scc1 .LBB119_5618
; %bb.5612:
	s_cmp_gt_i32 s61, 25
	s_mov_b32 s6, 0
	s_cbranch_scc0 .LBB119_5619
; %bb.5613:
	s_cmp_gt_i32 s61, 28
	s_cbranch_scc0 .LBB119_5620
; %bb.5614:
	s_cmp_gt_i32 s61, 43
	;; [unrolled: 3-line block ×3, first 2 shown]
	s_cbranch_scc0 .LBB119_5623
; %bb.5616:
	s_cmp_eq_u32 s61, 46
	s_mov_b32 s9, 0
	s_cbranch_scc0 .LBB119_5624
; %bb.5617:
	global_load_b32 v11, v[8:9], off
	s_mov_b32 s0, 0
	s_mov_b32 s7, -1
	s_wait_loadcnt 0x0
	v_lshlrev_b32_e32 v11, 16, v11
	s_wait_xcnt 0x1
	s_delay_alu instid0(VALU_DEP_1)
	v_cvt_i32_f32_e32 v14, v11
	s_branch .LBB119_5626
.LBB119_5618:
	s_mov_b32 s0, -1
	s_mov_b32 s7, 0
                                        ; implicit-def: $vgpr14
	s_branch .LBB119_5688
.LBB119_5619:
	s_mov_b32 s9, -1
	s_mov_b32 s7, 0
	s_mov_b32 s0, 0
                                        ; implicit-def: $vgpr14
	s_branch .LBB119_5653
.LBB119_5620:
	s_mov_b32 s9, -1
	s_mov_b32 s7, 0
	s_mov_b32 s0, 0
                                        ; implicit-def: $vgpr14
	s_branch .LBB119_5636
.LBB119_5621:
	s_mov_b32 s9, -1
	s_mov_b32 s7, 0
	s_mov_b32 s0, 0
                                        ; implicit-def: $vgpr14
	s_branch .LBB119_5631
.LBB119_5622:
	s_or_b32 s25, s25, exec_lo
	s_trap 2
	s_cbranch_execz .LBB119_5559
	s_branch .LBB119_5560
.LBB119_5623:
	s_mov_b32 s9, -1
	s_mov_b32 s7, 0
	s_mov_b32 s0, 0
	s_branch .LBB119_5625
.LBB119_5624:
	s_mov_b32 s0, -1
	s_mov_b32 s7, 0
.LBB119_5625:
                                        ; implicit-def: $vgpr14
.LBB119_5626:
	s_and_b32 vcc_lo, exec_lo, s9
	s_cbranch_vccz .LBB119_5630
; %bb.5627:
	s_cmp_eq_u32 s61, 44
	s_cbranch_scc0 .LBB119_5629
; %bb.5628:
	global_load_u8 v11, v[8:9], off
	s_mov_b32 s0, 0
	s_mov_b32 s7, -1
	s_wait_loadcnt 0x0
	v_lshlrev_b32_e32 v13, 23, v11
	v_cmp_ne_u32_e32 vcc_lo, 0, v11
	s_delay_alu instid0(VALU_DEP_2) | instskip(SKIP_1) | instid1(VALU_DEP_1)
	v_cvt_i32_f32_e32 v13, v13
	s_wait_xcnt 0x1
	v_cndmask_b32_e32 v14, 0, v13, vcc_lo
	s_branch .LBB119_5630
.LBB119_5629:
	s_mov_b32 s0, -1
                                        ; implicit-def: $vgpr14
.LBB119_5630:
	s_mov_b32 s9, 0
.LBB119_5631:
	s_delay_alu instid0(SALU_CYCLE_1)
	s_and_b32 vcc_lo, exec_lo, s9
	s_cbranch_vccz .LBB119_5635
; %bb.5632:
	s_cmp_eq_u32 s61, 29
	s_cbranch_scc0 .LBB119_5634
; %bb.5633:
	global_load_b32 v14, v[8:9], off
	s_mov_b32 s0, 0
	s_mov_b32 s7, -1
	s_branch .LBB119_5635
.LBB119_5634:
	s_mov_b32 s0, -1
                                        ; implicit-def: $vgpr14
.LBB119_5635:
	s_mov_b32 s9, 0
.LBB119_5636:
	s_delay_alu instid0(SALU_CYCLE_1)
	s_and_b32 vcc_lo, exec_lo, s9
	s_cbranch_vccz .LBB119_5652
; %bb.5637:
	s_cmp_lt_i32 s61, 27
	s_cbranch_scc1 .LBB119_5640
; %bb.5638:
	s_cmp_gt_i32 s61, 27
	s_cbranch_scc0 .LBB119_5641
; %bb.5639:
	s_wait_loadcnt 0x0
	global_load_b32 v14, v[8:9], off
	s_mov_b32 s7, 0
	s_branch .LBB119_5642
.LBB119_5640:
	s_mov_b32 s7, -1
                                        ; implicit-def: $vgpr14
	s_branch .LBB119_5645
.LBB119_5641:
	s_mov_b32 s7, -1
                                        ; implicit-def: $vgpr14
.LBB119_5642:
	s_delay_alu instid0(SALU_CYCLE_1)
	s_and_not1_b32 vcc_lo, exec_lo, s7
	s_cbranch_vccnz .LBB119_5644
; %bb.5643:
	s_wait_loadcnt 0x0
	global_load_u16 v14, v[8:9], off
.LBB119_5644:
	s_mov_b32 s7, 0
.LBB119_5645:
	s_delay_alu instid0(SALU_CYCLE_1)
	s_and_not1_b32 vcc_lo, exec_lo, s7
	s_cbranch_vccnz .LBB119_5651
; %bb.5646:
	global_load_u8 v11, v[8:9], off
	s_mov_b32 s9, 0
	s_mov_b32 s7, exec_lo
	s_wait_loadcnt 0x0
	v_cmpx_lt_i16_e32 0x7f, v11
	s_xor_b32 s7, exec_lo, s7
	s_cbranch_execz .LBB119_5663
; %bb.5647:
	v_cmp_ne_u16_e32 vcc_lo, 0x80, v11
	s_and_b32 s9, vcc_lo, exec_lo
	s_and_not1_saveexec_b32 s7, s7
	s_cbranch_execnz .LBB119_5664
.LBB119_5648:
	s_or_b32 exec_lo, exec_lo, s7
	v_mov_b32_e32 v14, 0
	s_and_saveexec_b32 s7, s9
	s_cbranch_execz .LBB119_5650
.LBB119_5649:
	v_and_b32_e32 v13, 0xffff, v11
	s_delay_alu instid0(VALU_DEP_1) | instskip(SKIP_1) | instid1(VALU_DEP_2)
	v_and_b32_e32 v14, 7, v13
	v_bfe_u32 v18, v13, 3, 4
	v_clz_i32_u32_e32 v15, v14
	s_delay_alu instid0(VALU_DEP_2) | instskip(NEXT) | instid1(VALU_DEP_2)
	v_cmp_eq_u32_e32 vcc_lo, 0, v18
	v_min_u32_e32 v15, 32, v15
	s_delay_alu instid0(VALU_DEP_1) | instskip(NEXT) | instid1(VALU_DEP_1)
	v_subrev_nc_u32_e32 v17, 28, v15
	v_dual_lshlrev_b32 v13, v17, v13 :: v_dual_sub_nc_u32 v15, 29, v15
	s_delay_alu instid0(VALU_DEP_1) | instskip(NEXT) | instid1(VALU_DEP_1)
	v_dual_lshlrev_b32 v11, 24, v11 :: v_dual_bitop2_b32 v13, 7, v13 bitop3:0x40
	v_cndmask_b32_e32 v13, v14, v13, vcc_lo
	s_delay_alu instid0(VALU_DEP_3) | instskip(NEXT) | instid1(VALU_DEP_3)
	v_cndmask_b32_e32 v15, v18, v15, vcc_lo
	v_and_b32_e32 v11, 0x80000000, v11
	s_delay_alu instid0(VALU_DEP_3) | instskip(NEXT) | instid1(VALU_DEP_3)
	v_lshlrev_b32_e32 v13, 20, v13
	v_lshl_add_u32 v14, v15, 23, 0x3b800000
	s_delay_alu instid0(VALU_DEP_1) | instskip(NEXT) | instid1(VALU_DEP_1)
	v_or3_b32 v11, v11, v14, v13
	v_cvt_i32_f32_e32 v14, v11
.LBB119_5650:
	s_or_b32 exec_lo, exec_lo, s7
.LBB119_5651:
	s_mov_b32 s7, -1
.LBB119_5652:
	s_mov_b32 s9, 0
.LBB119_5653:
	s_delay_alu instid0(SALU_CYCLE_1)
	s_and_b32 vcc_lo, exec_lo, s9
	s_cbranch_vccz .LBB119_5684
; %bb.5654:
	s_cmp_gt_i32 s61, 22
	s_cbranch_scc0 .LBB119_5662
; %bb.5655:
	s_cmp_lt_i32 s61, 24
	s_cbranch_scc1 .LBB119_5665
; %bb.5656:
	s_cmp_gt_i32 s61, 24
	s_cbranch_scc0 .LBB119_5666
; %bb.5657:
	global_load_u8 v11, v[8:9], off
	s_mov_b32 s7, 0
	s_mov_b32 s6, exec_lo
	s_wait_loadcnt 0x0
	v_cmpx_lt_i16_e32 0x7f, v11
	s_xor_b32 s6, exec_lo, s6
	s_cbranch_execz .LBB119_5678
; %bb.5658:
	v_cmp_ne_u16_e32 vcc_lo, 0x80, v11
	s_and_b32 s7, vcc_lo, exec_lo
	s_and_not1_saveexec_b32 s6, s6
	s_cbranch_execnz .LBB119_5679
.LBB119_5659:
	s_or_b32 exec_lo, exec_lo, s6
	v_mov_b32_e32 v14, 0
	s_and_saveexec_b32 s6, s7
	s_cbranch_execz .LBB119_5661
.LBB119_5660:
	v_and_b32_e32 v13, 0xffff, v11
	s_delay_alu instid0(VALU_DEP_1) | instskip(SKIP_1) | instid1(VALU_DEP_2)
	v_and_b32_e32 v14, 3, v13
	v_bfe_u32 v18, v13, 2, 5
	v_clz_i32_u32_e32 v15, v14
	s_delay_alu instid0(VALU_DEP_2) | instskip(NEXT) | instid1(VALU_DEP_2)
	v_cmp_eq_u32_e32 vcc_lo, 0, v18
	v_min_u32_e32 v15, 32, v15
	s_delay_alu instid0(VALU_DEP_1) | instskip(NEXT) | instid1(VALU_DEP_1)
	v_subrev_nc_u32_e32 v17, 29, v15
	v_dual_lshlrev_b32 v13, v17, v13 :: v_dual_sub_nc_u32 v15, 30, v15
	s_delay_alu instid0(VALU_DEP_1) | instskip(NEXT) | instid1(VALU_DEP_1)
	v_dual_lshlrev_b32 v11, 24, v11 :: v_dual_bitop2_b32 v13, 3, v13 bitop3:0x40
	v_cndmask_b32_e32 v13, v14, v13, vcc_lo
	s_delay_alu instid0(VALU_DEP_3) | instskip(NEXT) | instid1(VALU_DEP_3)
	v_cndmask_b32_e32 v15, v18, v15, vcc_lo
	v_and_b32_e32 v11, 0x80000000, v11
	s_delay_alu instid0(VALU_DEP_3) | instskip(NEXT) | instid1(VALU_DEP_3)
	v_lshlrev_b32_e32 v13, 21, v13
	v_lshl_add_u32 v14, v15, 23, 0x37800000
	s_delay_alu instid0(VALU_DEP_1) | instskip(NEXT) | instid1(VALU_DEP_1)
	v_or3_b32 v11, v11, v14, v13
	v_cvt_i32_f32_e32 v14, v11
.LBB119_5661:
	s_or_b32 exec_lo, exec_lo, s6
	s_mov_b32 s6, 0
	s_branch .LBB119_5667
.LBB119_5662:
	s_mov_b32 s6, -1
                                        ; implicit-def: $vgpr14
	s_branch .LBB119_5673
.LBB119_5663:
	s_and_not1_saveexec_b32 s7, s7
	s_cbranch_execz .LBB119_5648
.LBB119_5664:
	v_cmp_ne_u16_e32 vcc_lo, 0, v11
	s_and_not1_b32 s9, s9, exec_lo
	s_and_b32 s12, vcc_lo, exec_lo
	s_delay_alu instid0(SALU_CYCLE_1)
	s_or_b32 s9, s9, s12
	s_or_b32 exec_lo, exec_lo, s7
	v_mov_b32_e32 v14, 0
	s_and_saveexec_b32 s7, s9
	s_cbranch_execnz .LBB119_5649
	s_branch .LBB119_5650
.LBB119_5665:
	s_mov_b32 s6, -1
                                        ; implicit-def: $vgpr14
	s_branch .LBB119_5670
.LBB119_5666:
	s_mov_b32 s6, -1
                                        ; implicit-def: $vgpr14
.LBB119_5667:
	s_delay_alu instid0(SALU_CYCLE_1)
	s_and_b32 vcc_lo, exec_lo, s6
	s_cbranch_vccz .LBB119_5669
; %bb.5668:
	global_load_u8 v11, v[8:9], off
	s_wait_loadcnt 0x0
	v_lshlrev_b32_e32 v11, 24, v11
	s_delay_alu instid0(VALU_DEP_1) | instskip(SKIP_1) | instid1(VALU_DEP_1)
	v_and_b32_e32 v13, 0x7f000000, v11
	s_wait_xcnt 0x1
	v_clz_i32_u32_e32 v14, v13
	v_add_nc_u32_e32 v17, 0x1000000, v13
	v_cmp_ne_u32_e32 vcc_lo, 0, v13
	s_delay_alu instid0(VALU_DEP_3) | instskip(NEXT) | instid1(VALU_DEP_1)
	v_min_u32_e32 v14, 32, v14
	v_sub_nc_u32_e64 v14, v14, 4 clamp
	s_delay_alu instid0(VALU_DEP_1) | instskip(NEXT) | instid1(VALU_DEP_1)
	v_dual_lshlrev_b32 v15, v14, v13 :: v_dual_lshlrev_b32 v14, 23, v14
	v_lshrrev_b32_e32 v15, 4, v15
	s_delay_alu instid0(VALU_DEP_1) | instskip(NEXT) | instid1(VALU_DEP_1)
	v_dual_sub_nc_u32 v14, v15, v14 :: v_dual_ashrrev_i32 v15, 8, v17
	v_add_nc_u32_e32 v14, 0x3c000000, v14
	s_delay_alu instid0(VALU_DEP_1) | instskip(NEXT) | instid1(VALU_DEP_1)
	v_and_or_b32 v14, 0x7f800000, v15, v14
	v_cndmask_b32_e32 v13, 0, v14, vcc_lo
	s_delay_alu instid0(VALU_DEP_1) | instskip(NEXT) | instid1(VALU_DEP_1)
	v_and_or_b32 v11, 0x80000000, v11, v13
	v_cvt_i32_f32_e32 v14, v11
.LBB119_5669:
	s_mov_b32 s6, 0
.LBB119_5670:
	s_delay_alu instid0(SALU_CYCLE_1)
	s_and_not1_b32 vcc_lo, exec_lo, s6
	s_cbranch_vccnz .LBB119_5672
; %bb.5671:
	global_load_u8 v11, v[8:9], off
	s_wait_loadcnt 0x0
	v_lshlrev_b32_e32 v13, 25, v11
	v_lshlrev_b16 v11, 8, v11
	s_wait_xcnt 0x1
	s_delay_alu instid0(VALU_DEP_1) | instskip(NEXT) | instid1(VALU_DEP_3)
	v_and_or_b32 v15, 0x7f00, v11, 0.5
	v_lshrrev_b32_e32 v14, 4, v13
	v_bfe_i32 v11, v11, 0, 16
	s_delay_alu instid0(VALU_DEP_3) | instskip(NEXT) | instid1(VALU_DEP_3)
	v_add_f32_e32 v15, -0.5, v15
	v_or_b32_e32 v14, 0x70000000, v14
	s_delay_alu instid0(VALU_DEP_1) | instskip(SKIP_1) | instid1(VALU_DEP_2)
	v_mul_f32_e32 v14, 0x7800000, v14
	v_cmp_gt_u32_e32 vcc_lo, 0x8000000, v13
	v_cndmask_b32_e32 v13, v14, v15, vcc_lo
	s_delay_alu instid0(VALU_DEP_1) | instskip(NEXT) | instid1(VALU_DEP_1)
	v_and_or_b32 v11, 0x80000000, v11, v13
	v_cvt_i32_f32_e32 v14, v11
.LBB119_5672:
	s_mov_b32 s6, 0
	s_mov_b32 s7, -1
.LBB119_5673:
	s_and_not1_b32 vcc_lo, exec_lo, s6
	s_mov_b32 s6, 0
	s_cbranch_vccnz .LBB119_5684
; %bb.5674:
	s_cmp_gt_i32 s61, 14
	s_cbranch_scc0 .LBB119_5677
; %bb.5675:
	s_cmp_eq_u32 s61, 15
	s_cbranch_scc0 .LBB119_5680
; %bb.5676:
	global_load_u16 v11, v[8:9], off
	s_mov_b32 s0, 0
	s_mov_b32 s7, -1
	s_wait_loadcnt 0x0
	v_lshlrev_b32_e32 v11, 16, v11
	s_wait_xcnt 0x1
	s_delay_alu instid0(VALU_DEP_1)
	v_cvt_i32_f32_e32 v14, v11
	s_branch .LBB119_5682
.LBB119_5677:
	s_mov_b32 s6, -1
	s_branch .LBB119_5681
.LBB119_5678:
	s_and_not1_saveexec_b32 s6, s6
	s_cbranch_execz .LBB119_5659
.LBB119_5679:
	v_cmp_ne_u16_e32 vcc_lo, 0, v11
	s_and_not1_b32 s7, s7, exec_lo
	s_and_b32 s9, vcc_lo, exec_lo
	s_delay_alu instid0(SALU_CYCLE_1)
	s_or_b32 s7, s7, s9
	s_or_b32 exec_lo, exec_lo, s6
	v_mov_b32_e32 v14, 0
	s_and_saveexec_b32 s6, s7
	s_cbranch_execnz .LBB119_5660
	s_branch .LBB119_5661
.LBB119_5680:
	s_mov_b32 s0, -1
.LBB119_5681:
                                        ; implicit-def: $vgpr14
.LBB119_5682:
	s_and_b32 vcc_lo, exec_lo, s6
	s_mov_b32 s6, 0
	s_cbranch_vccz .LBB119_5684
; %bb.5683:
	s_cmp_lg_u32 s61, 11
	s_mov_b32 s6, -1
	s_cselect_b32 s0, -1, 0
.LBB119_5684:
	s_delay_alu instid0(SALU_CYCLE_1)
	s_and_b32 vcc_lo, exec_lo, s0
	s_cbranch_vccnz .LBB119_5813
; %bb.5685:
	s_and_not1_b32 vcc_lo, exec_lo, s6
	s_cbranch_vccnz .LBB119_5687
.LBB119_5686:
	global_load_u8 v11, v[8:9], off
	s_mov_b32 s7, -1
	s_wait_loadcnt 0x0
	v_cmp_ne_u16_e32 vcc_lo, 0, v11
	s_wait_xcnt 0x1
	v_cndmask_b32_e64 v14, 0, 1, vcc_lo
.LBB119_5687:
	s_mov_b32 s0, 0
.LBB119_5688:
	s_delay_alu instid0(SALU_CYCLE_1)
	s_and_b32 vcc_lo, exec_lo, s0
	s_cbranch_vccz .LBB119_5737
; %bb.5689:
	s_cmp_lt_i32 s61, 5
	s_cbranch_scc1 .LBB119_5694
; %bb.5690:
	s_cmp_lt_i32 s61, 8
	s_cbranch_scc1 .LBB119_5695
	;; [unrolled: 3-line block ×3, first 2 shown]
; %bb.5692:
	s_cmp_gt_i32 s61, 9
	s_cbranch_scc0 .LBB119_5697
; %bb.5693:
	s_wait_loadcnt 0x0
	global_load_b64 v[14:15], v[8:9], off
	s_mov_b32 s0, 0
	s_wait_loadcnt 0x0
	v_cvt_i32_f64_e32 v14, v[14:15]
	s_branch .LBB119_5698
.LBB119_5694:
	s_mov_b32 s0, -1
                                        ; implicit-def: $vgpr14
	s_branch .LBB119_5716
.LBB119_5695:
	s_mov_b32 s0, -1
                                        ; implicit-def: $vgpr14
	s_branch .LBB119_5704
.LBB119_5696:
	s_mov_b32 s0, -1
                                        ; implicit-def: $vgpr14
	s_branch .LBB119_5701
.LBB119_5697:
	s_mov_b32 s0, -1
                                        ; implicit-def: $vgpr14
.LBB119_5698:
	s_delay_alu instid0(SALU_CYCLE_1)
	s_and_not1_b32 vcc_lo, exec_lo, s0
	s_cbranch_vccnz .LBB119_5700
; %bb.5699:
	global_load_b32 v11, v[8:9], off
	s_wait_loadcnt 0x0
	s_wait_xcnt 0x1
	v_cvt_i32_f32_e32 v14, v11
.LBB119_5700:
	s_mov_b32 s0, 0
.LBB119_5701:
	s_delay_alu instid0(SALU_CYCLE_1)
	s_and_not1_b32 vcc_lo, exec_lo, s0
	s_cbranch_vccnz .LBB119_5703
; %bb.5702:
	global_load_b32 v11, v[8:9], off
	s_wait_loadcnt 0x0
	v_cvt_f32_f16_e32 v11, v11
	s_wait_xcnt 0x1
	s_delay_alu instid0(VALU_DEP_1)
	v_cvt_i32_f32_e32 v14, v11
.LBB119_5703:
	s_mov_b32 s0, 0
.LBB119_5704:
	s_delay_alu instid0(SALU_CYCLE_1)
	s_and_not1_b32 vcc_lo, exec_lo, s0
	s_cbranch_vccnz .LBB119_5715
; %bb.5705:
	s_cmp_lt_i32 s61, 6
	s_cbranch_scc1 .LBB119_5708
; %bb.5706:
	s_cmp_gt_i32 s61, 6
	s_cbranch_scc0 .LBB119_5709
; %bb.5707:
	s_wait_loadcnt 0x0
	global_load_b64 v[14:15], v[8:9], off
	s_mov_b32 s0, 0
	s_wait_loadcnt 0x0
	v_cvt_i32_f64_e32 v14, v[14:15]
	s_branch .LBB119_5710
.LBB119_5708:
	s_mov_b32 s0, -1
                                        ; implicit-def: $vgpr14
	s_branch .LBB119_5713
.LBB119_5709:
	s_mov_b32 s0, -1
                                        ; implicit-def: $vgpr14
.LBB119_5710:
	s_delay_alu instid0(SALU_CYCLE_1)
	s_and_not1_b32 vcc_lo, exec_lo, s0
	s_cbranch_vccnz .LBB119_5712
; %bb.5711:
	global_load_b32 v11, v[8:9], off
	s_wait_loadcnt 0x0
	s_wait_xcnt 0x1
	v_cvt_i32_f32_e32 v14, v11
.LBB119_5712:
	s_mov_b32 s0, 0
.LBB119_5713:
	s_delay_alu instid0(SALU_CYCLE_1)
	s_and_not1_b32 vcc_lo, exec_lo, s0
	s_cbranch_vccnz .LBB119_5715
; %bb.5714:
	global_load_u16 v11, v[8:9], off
	s_wait_loadcnt 0x0
	v_cvt_f32_f16_e32 v11, v11
	s_wait_xcnt 0x1
	s_delay_alu instid0(VALU_DEP_1)
	v_cvt_i32_f32_e32 v14, v11
.LBB119_5715:
	s_mov_b32 s0, 0
.LBB119_5716:
	s_delay_alu instid0(SALU_CYCLE_1)
	s_and_not1_b32 vcc_lo, exec_lo, s0
	s_cbranch_vccnz .LBB119_5736
; %bb.5717:
	s_cmp_lt_i32 s61, 2
	s_cbranch_scc1 .LBB119_5721
; %bb.5718:
	s_cmp_lt_i32 s61, 3
	s_cbranch_scc1 .LBB119_5722
; %bb.5719:
	s_cmp_gt_i32 s61, 3
	s_cbranch_scc0 .LBB119_5723
; %bb.5720:
	s_wait_loadcnt 0x0
	global_load_b32 v14, v[8:9], off
	s_mov_b32 s0, 0
	s_branch .LBB119_5724
.LBB119_5721:
	s_mov_b32 s0, -1
                                        ; implicit-def: $vgpr14
	s_branch .LBB119_5730
.LBB119_5722:
	s_mov_b32 s0, -1
                                        ; implicit-def: $vgpr14
	s_branch .LBB119_5727
.LBB119_5723:
	s_mov_b32 s0, -1
                                        ; implicit-def: $vgpr14
.LBB119_5724:
	s_delay_alu instid0(SALU_CYCLE_1)
	s_and_not1_b32 vcc_lo, exec_lo, s0
	s_cbranch_vccnz .LBB119_5726
; %bb.5725:
	s_wait_loadcnt 0x0
	global_load_b32 v14, v[8:9], off
.LBB119_5726:
	s_mov_b32 s0, 0
.LBB119_5727:
	s_delay_alu instid0(SALU_CYCLE_1)
	s_and_not1_b32 vcc_lo, exec_lo, s0
	s_cbranch_vccnz .LBB119_5729
; %bb.5728:
	s_wait_loadcnt 0x0
	global_load_i16 v14, v[8:9], off
.LBB119_5729:
	s_mov_b32 s0, 0
.LBB119_5730:
	s_delay_alu instid0(SALU_CYCLE_1)
	s_and_not1_b32 vcc_lo, exec_lo, s0
	s_cbranch_vccnz .LBB119_5736
; %bb.5731:
	s_cmp_gt_i32 s61, 0
	s_mov_b32 s0, 0
	s_cbranch_scc0 .LBB119_5733
; %bb.5732:
	s_wait_loadcnt 0x0
	global_load_i8 v14, v[8:9], off
	s_branch .LBB119_5734
.LBB119_5733:
	s_mov_b32 s0, -1
                                        ; implicit-def: $vgpr14
.LBB119_5734:
	s_delay_alu instid0(SALU_CYCLE_1)
	s_and_not1_b32 vcc_lo, exec_lo, s0
	s_cbranch_vccnz .LBB119_5736
; %bb.5735:
	s_wait_loadcnt 0x0
	global_load_u8 v14, v[8:9], off
.LBB119_5736:
	s_mov_b32 s7, -1
.LBB119_5737:
	s_delay_alu instid0(SALU_CYCLE_1)
	s_and_not1_b32 vcc_lo, exec_lo, s7
	s_cbranch_vccnz .LBB119_5746
; %bb.5738:
	s_mov_b32 s0, exec_lo
	s_wait_loadcnt 0x0
	v_cmpx_ne_u32_e64 v7, v1
	s_xor_b32 s0, exec_lo, s0
	s_cbranch_execnz .LBB119_6089
.LBB119_5739:
	s_or_saveexec_b32 s26, s0
	s_mov_b32 s6, 0
	s_mov_b32 s7, 0
                                        ; implicit-def: $vgpr38_vgpr39
                                        ; implicit-def: $sgpr0
	s_xor_b32 exec_lo, exec_lo, s26
	s_cbranch_execz .LBB119_6084
; %bb.5740:
	s_mov_b32 s27, s25
	s_mov_b32 s0, exec_lo
	v_cmpx_ne_u32_e64 v16, v3
	s_xor_b32 s0, exec_lo, s0
	s_cbranch_execnz .LBB119_6091
; %bb.5741:
	s_or_saveexec_b32 s28, s0
                                        ; implicit-def: $vgpr38_vgpr39
                                        ; implicit-def: $sgpr0
	s_delay_alu instid0(SALU_CYCLE_1)
	s_xor_b32 exec_lo, exec_lo, s28
	s_cbranch_execz .LBB119_6083
.LBB119_5742:
	v_sub_nc_u32_e32 v3, v10, v12
	s_delay_alu instid0(VALU_DEP_1) | instskip(SKIP_3) | instid1(SALU_CYCLE_1)
	v_cmp_gt_i32_e32 vcc_lo, v1, v3
	v_cmp_lt_i32_e64 s0, s20, v3
	s_mov_b32 s20, s27
	s_or_b32 s0, vcc_lo, s0
	s_and_saveexec_b32 s6, s0
	s_delay_alu instid0(SALU_CYCLE_1)
	s_xor_b32 s0, exec_lo, s6
	s_cbranch_execnz .LBB119_6093
; %bb.5743:
	s_or_saveexec_b32 s29, s0
	s_mov_b32 s6, 0
                                        ; implicit-def: $vgpr38_vgpr39
                                        ; implicit-def: $sgpr0
	s_xor_b32 exec_lo, exec_lo, s29
	s_cbranch_execz .LBB119_6082
.LBB119_5744:
	v_cmp_ne_u32_e32 vcc_lo, 1, v5
	v_mov_b64_e32 v[8:9], 0
	s_cbranch_vccnz .LBB119_5757
; %bb.5745:
	v_dual_mov_b32 v16, 0 :: v_dual_ashrrev_i32 v15, 31, v14
	s_load_b128 s[12:15], s[2:3], 0x298
	v_mov_b64_e32 v[8:9], 0
	s_mov_b32 s9, 0
	s_delay_alu instid0(VALU_DEP_2)
	v_mul_u64_e32 v[14:15], s[10:11], v[14:15]
	s_lshl_b64 s[16:17], s[8:9], 3
	s_mov_b64 s[6:7], 0xffffffff
	s_wait_kmcnt 0x0
	s_add_nc_u64 s[10:11], s[12:13], s[16:17]
	s_add_nc_u64 s[12:13], s[14:15], s[16:17]
	s_branch .LBB119_5753
.LBB119_5746:
	s_mov_b32 s6, 0
	s_mov_b32 s7, 0
                                        ; implicit-def: $vgpr38_vgpr39
                                        ; implicit-def: $sgpr0
.LBB119_5747:
	s_and_not1_b32 s1, s1, exec_lo
	s_and_b32 s2, s25, exec_lo
	s_and_b32 s26, s7, exec_lo
	s_and_b32 s9, s6, exec_lo
	s_or_b32 s1, s1, s2
.LBB119_5748:
	s_wait_xcnt 0x0
	s_or_b32 exec_lo, exec_lo, s24
	s_delay_alu instid0(SALU_CYCLE_1)
	s_and_not1_b32 s2, s65, exec_lo
	s_and_b32 s3, s1, exec_lo
	s_and_b32 s24, s26, exec_lo
	;; [unrolled: 1-line block ×3, first 2 shown]
	s_or_b32 s65, s2, s3
.LBB119_5749:
	s_or_b32 exec_lo, exec_lo, s66
	s_delay_alu instid0(SALU_CYCLE_1)
	s_and_not1_b32 s2, s63, exec_lo
	s_and_b32 s3, s65, exec_lo
	s_and_b32 s9, s24, exec_lo
	;; [unrolled: 1-line block ×3, first 2 shown]
	s_or_b32 s63, s2, s3
.LBB119_5750:
	s_or_b32 exec_lo, exec_lo, s64
	s_delay_alu instid0(SALU_CYCLE_1)
	s_and_not1_b32 s2, s56, exec_lo
	s_and_b32 s3, s63, exec_lo
	s_and_b32 s9, s9, exec_lo
	;; [unrolled: 1-line block ×3, first 2 shown]
	s_or_b32 s56, s2, s3
.LBB119_5751:
	s_or_b32 exec_lo, exec_lo, s62
	s_branch .LBB119_5081
.LBB119_5752:                           ;   in Loop: Header=BB119_5753 Depth=1
	s_or_b32 exec_lo, exec_lo, s0
	global_load_b64 v[20:21], v16, s[12:13]
	v_mul_u64_e32 v[22:23], s[14:15], v[18:19]
	s_add_co_i32 s47, s47, -1
	s_add_nc_u64 s[10:11], s[10:11], -8
	s_cmp_eq_u32 s47, 0
	s_wait_xcnt 0x0
	s_add_nc_u64 s[12:13], s[12:13], -8
	s_delay_alu instid0(VALU_DEP_1) | instskip(SKIP_1) | instid1(VALU_DEP_1)
	v_sub_nc_u64_e32 v[14:15], v[14:15], v[22:23]
	s_wait_loadcnt 0x0
	v_mad_nc_u64_u32 v[8:9], v14, v20, v[8:9]
	s_delay_alu instid0(VALU_DEP_1) | instskip(NEXT) | instid1(VALU_DEP_1)
	v_mad_u32 v1, v15, v20, v9
	v_mad_u32 v9, v14, v21, v1
	v_mov_b64_e32 v[14:15], v[18:19]
	s_cbranch_scc1 .LBB119_5757
.LBB119_5753:                           ; =>This Inner Loop Header: Depth=1
	global_load_b64 v[18:19], v16, s[10:11]
	s_mov_b32 s0, exec_lo
	s_wait_loadcnt 0x0
	v_or_b32_e32 v17, v15, v19
	v_readfirstlane_b32 s14, v18
	v_readfirstlane_b32 s15, v19
                                        ; implicit-def: $vgpr18_vgpr19
	s_wait_xcnt 0x0
	s_delay_alu instid0(VALU_DEP_3)
	v_cmpx_ne_u64_e32 0, v[16:17]
	s_xor_b32 s30, exec_lo, s0
	s_cbranch_execz .LBB119_5755
; %bb.5754:                             ;   in Loop: Header=BB119_5753 Depth=1
	s_ashr_i32 s16, s15, 31
	v_dual_mov_b32 v23, v16 :: v_dual_ashrrev_i32 v18, 31, v15
	s_mov_b32 s17, s16
	s_delay_alu instid0(SALU_CYCLE_1) | instskip(NEXT) | instid1(VALU_DEP_1)
	s_add_nc_u64 s[18:19], s[14:15], s[16:17]
	v_mov_b32_e32 v19, v18
	s_xor_b64 s[18:19], s[18:19], s[16:17]
	s_delay_alu instid0(SALU_CYCLE_1)
	s_cvt_f32_u32 s0, s18
	s_cvt_f32_u32 s8, s19
	s_sub_nc_u64 s[36:37], 0, s[18:19]
	v_add_nc_u64_e32 v[20:21], v[14:15], v[18:19]
	v_mov_b32_e32 v27, v16
	s_fmamk_f32 s0, s8, 0x4f800000, s0
	s_delay_alu instid0(SALU_CYCLE_3) | instskip(NEXT) | instid1(VALU_DEP_2)
	v_s_rcp_f32 s0, s0
	v_xor_b32_e32 v22, v20, v18
	s_delay_alu instid0(VALU_DEP_3) | instskip(NEXT) | instid1(TRANS32_DEP_1)
	v_dual_mov_b32 v31, v16 :: v_dual_bitop2_b32 v26, v21, v18 bitop3:0x14
	s_mul_f32 s0, s0, 0x5f7ffffc
	s_delay_alu instid0(SALU_CYCLE_3) | instskip(NEXT) | instid1(SALU_CYCLE_3)
	s_mul_f32 s8, s0, 0x2f800000
	s_trunc_f32 s8, s8
	s_delay_alu instid0(SALU_CYCLE_3) | instskip(SKIP_1) | instid1(SALU_CYCLE_2)
	s_fmamk_f32 s0, s8, 0xcf800000, s0
	s_cvt_u32_f32 s35, s8
	s_cvt_u32_f32 s34, s0
	s_delay_alu instid0(SALU_CYCLE_3) | instskip(NEXT) | instid1(SALU_CYCLE_1)
	s_mul_u64 s[58:59], s[36:37], s[34:35]
	s_mul_hi_u32 s61, s34, s59
	s_mul_i32 s60, s34, s59
	s_mul_hi_u32 s8, s34, s58
	s_mul_i32 s17, s35, s58
	s_add_nc_u64 s[60:61], s[8:9], s[60:61]
	s_mul_hi_u32 s0, s35, s58
	s_mul_hi_u32 s31, s35, s59
	s_add_co_u32 s8, s60, s17
	s_add_co_ci_u32 s8, s61, s0
	s_mul_i32 s58, s35, s59
	s_add_co_ci_u32 s59, s31, 0
	s_delay_alu instid0(SALU_CYCLE_1) | instskip(NEXT) | instid1(SALU_CYCLE_1)
	s_add_nc_u64 s[58:59], s[8:9], s[58:59]
	s_add_co_u32 s34, s34, s58
	s_cselect_b32 s0, -1, 0
	s_delay_alu instid0(SALU_CYCLE_1) | instskip(SKIP_1) | instid1(SALU_CYCLE_1)
	s_cmp_lg_u32 s0, 0
	s_add_co_ci_u32 s35, s35, s59
	s_mul_u64 s[36:37], s[36:37], s[34:35]
	s_delay_alu instid0(SALU_CYCLE_1)
	s_mul_hi_u32 s59, s34, s37
	s_mul_i32 s58, s34, s37
	s_mul_hi_u32 s8, s34, s36
	s_mul_i32 s17, s35, s36
	s_add_nc_u64 s[58:59], s[8:9], s[58:59]
	s_mul_hi_u32 s0, s35, s36
	s_mul_hi_u32 s31, s35, s37
	s_add_co_u32 s8, s58, s17
	s_add_co_ci_u32 s8, s59, s0
	s_mul_i32 s36, s35, s37
	s_add_co_ci_u32 s37, s31, 0
	s_delay_alu instid0(SALU_CYCLE_1) | instskip(NEXT) | instid1(SALU_CYCLE_1)
	s_add_nc_u64 s[36:37], s[8:9], s[36:37]
	s_add_co_u32 s0, s34, s36
	s_cselect_b32 s8, -1, 0
	v_mul_hi_u32 v30, v22, s0
	s_cmp_lg_u32 s8, 0
	s_add_co_ci_u32 s8, s35, s37
	s_and_b64 s[34:35], s[0:1], s[6:7]
	v_mul_u64_e32 v[24:25], s[8:9], v[22:23]
	v_mul_u64_e32 v[20:21], s[34:35], v[26:27]
	;; [unrolled: 1-line block ×3, first 2 shown]
	s_delay_alu instid0(VALU_DEP_3) | instskip(NEXT) | instid1(VALU_DEP_1)
	v_add_nc_u64_e32 v[24:25], v[30:31], v[24:25]
	v_add_co_u32 v1, vcc_lo, v24, v20
	s_delay_alu instid0(VALU_DEP_2) | instskip(NEXT) | instid1(VALU_DEP_4)
	v_add_co_ci_u32_e32 v30, vcc_lo, v25, v21, vcc_lo
	v_add_co_ci_u32_e32 v29, vcc_lo, 0, v29, vcc_lo
	s_delay_alu instid0(VALU_DEP_1) | instskip(NEXT) | instid1(VALU_DEP_1)
	v_add_nc_u64_e32 v[20:21], v[30:31], v[28:29]
	v_mul_u64_e32 v[24:25], s[18:19], v[20:21]
	s_delay_alu instid0(VALU_DEP_1) | instskip(NEXT) | instid1(VALU_DEP_2)
	v_sub_nc_u32_e32 v1, v26, v25
	v_sub_co_u32 v3, vcc_lo, v22, v24
	s_delay_alu instid0(VALU_DEP_1) | instskip(NEXT) | instid1(VALU_DEP_3)
	v_sub_co_ci_u32_e64 v7, null, v26, v25, vcc_lo
	v_subrev_co_ci_u32_e64 v1, null, s19, v1, vcc_lo
	s_delay_alu instid0(VALU_DEP_3) | instskip(SKIP_1) | instid1(VALU_DEP_3)
	v_sub_co_u32 v5, s0, v3, s18
	v_add_nc_u64_e32 v[22:23], 2, v[20:21]
	v_subrev_co_ci_u32_e64 v1, null, 0, v1, s0
	s_delay_alu instid0(VALU_DEP_3) | instskip(SKIP_2) | instid1(VALU_DEP_4)
	v_cmp_le_u32_e32 vcc_lo, s18, v5
	v_add_nc_u64_e32 v[24:25], 1, v[20:21]
	v_cndmask_b32_e64 v5, 0, -1, vcc_lo
	v_cmp_le_u32_e32 vcc_lo, s19, v1
	v_cndmask_b32_e64 v11, 0, -1, vcc_lo
	v_cmp_le_u32_e32 vcc_lo, s18, v3
	;; [unrolled: 2-line block ×3, first 2 shown]
	v_cndmask_b32_e64 v13, 0, -1, vcc_lo
	v_cmp_eq_u32_e32 vcc_lo, s19, v1
	v_cndmask_b32_e32 v1, v11, v5, vcc_lo
	v_cmp_eq_u32_e32 vcc_lo, s19, v7
	s_delay_alu instid0(VALU_DEP_4) | instskip(NEXT) | instid1(VALU_DEP_3)
	v_cndmask_b32_e32 v3, v13, v3, vcc_lo
	v_cmp_ne_u32_e32 vcc_lo, 0, v1
	s_delay_alu instid0(VALU_DEP_2) | instskip(SKIP_1) | instid1(VALU_DEP_1)
	v_cmp_ne_u32_e64 s0, 0, v3
	v_dual_cndmask_b32 v1, v25, v23, vcc_lo :: v_dual_cndmask_b32 v3, v24, v22, vcc_lo
	v_dual_cndmask_b32 v1, v21, v1, s0 :: v_dual_bitop2_b32 v18, s16, v18 bitop3:0x14
	s_delay_alu instid0(VALU_DEP_1) | instskip(NEXT) | instid1(VALU_DEP_2)
	v_dual_cndmask_b32 v3, v20, v3, s0 :: v_dual_mov_b32 v19, v18
	v_xor_b32_e32 v21, v1, v18
	s_delay_alu instid0(VALU_DEP_2) | instskip(NEXT) | instid1(VALU_DEP_1)
	v_xor_b32_e32 v20, v3, v18
	v_sub_nc_u64_e32 v[18:19], v[20:21], v[18:19]
.LBB119_5755:                           ;   in Loop: Header=BB119_5753 Depth=1
	s_and_not1_saveexec_b32 s0, s30
	s_cbranch_execz .LBB119_5752
; %bb.5756:                             ;   in Loop: Header=BB119_5753 Depth=1
	v_cvt_f32_u32_e32 v1, s14
	s_sub_co_i32 s8, 0, s14
	v_mov_b32_e32 v19, v16
	s_delay_alu instid0(VALU_DEP_2) | instskip(SKIP_1) | instid1(TRANS32_DEP_1)
	v_rcp_iflag_f32_e32 v1, v1
	v_nop
	v_mul_f32_e32 v1, 0x4f7ffffe, v1
	s_delay_alu instid0(VALU_DEP_1) | instskip(NEXT) | instid1(VALU_DEP_1)
	v_cvt_u32_f32_e32 v1, v1
	v_mul_lo_u32 v3, s8, v1
	s_delay_alu instid0(VALU_DEP_1) | instskip(NEXT) | instid1(VALU_DEP_1)
	v_mul_hi_u32 v3, v1, v3
	v_add_nc_u32_e32 v1, v1, v3
	s_delay_alu instid0(VALU_DEP_1) | instskip(NEXT) | instid1(VALU_DEP_1)
	v_mul_hi_u32 v1, v14, v1
	v_mul_lo_u32 v3, v1, s14
	s_delay_alu instid0(VALU_DEP_1) | instskip(NEXT) | instid1(VALU_DEP_1)
	v_sub_nc_u32_e32 v3, v14, v3
	v_subrev_nc_u32_e32 v7, s14, v3
	v_cmp_le_u32_e32 vcc_lo, s14, v3
	s_delay_alu instid0(VALU_DEP_2) | instskip(NEXT) | instid1(VALU_DEP_1)
	v_dual_add_nc_u32 v5, 1, v1 :: v_dual_cndmask_b32 v3, v3, v7, vcc_lo
	v_cndmask_b32_e32 v1, v1, v5, vcc_lo
	s_delay_alu instid0(VALU_DEP_2) | instskip(NEXT) | instid1(VALU_DEP_2)
	v_cmp_le_u32_e32 vcc_lo, s14, v3
	v_add_nc_u32_e32 v5, 1, v1
	s_delay_alu instid0(VALU_DEP_1)
	v_cndmask_b32_e32 v18, v1, v5, vcc_lo
	s_branch .LBB119_5752
.LBB119_5757:
	s_mov_b32 s10, -1
	s_mov_b32 s6, s20
	s_mov_b32 s0, exec_lo
	v_cmpx_gt_i32_e64 v10, v12
	s_cbranch_execz .LBB119_5764
; %bb.5758:
	s_delay_alu instid0(VALU_DEP_2) | instskip(SKIP_3) | instid1(VALU_DEP_1)
	v_lshlrev_b64_e32 v[8:9], 2, v[8:9]
	v_dual_ashrrev_i32 v13, 31, v12 :: v_dual_ashrrev_i32 v11, 31, v10
	s_mov_b32 s7, 0
	s_xor_b32 s8, s48, -1
                                        ; implicit-def: $sgpr6
                                        ; implicit-def: $sgpr10
                                        ; implicit-def: $sgpr9
	v_lshl_add_u64 v[12:13], v[12:13], 2, v[8:9]
	s_wait_kmcnt 0x0
	v_add_nc_u64_e32 v[14:15], s[22:23], v[8:9]
	s_delay_alu instid0(VALU_DEP_2) | instskip(NEXT) | instid1(VALU_DEP_2)
	v_add_nc_u64_e32 v[12:13], s[22:23], v[12:13]
	v_lshl_add_u64 v[10:11], v[10:11], 2, v[14:15]
	s_delay_alu instid0(VALU_DEP_2)
	v_add_nc_u64_e32 v[8:9], 4, v[12:13]
	s_branch .LBB119_5760
.LBB119_5759:                           ;   in Loop: Header=BB119_5760 Depth=1
	s_or_b32 exec_lo, exec_lo, s11
	s_xor_b32 s11, s9, -1
	s_and_b32 s12, exec_lo, s10
	s_delay_alu instid0(SALU_CYCLE_1) | instskip(SKIP_2) | instid1(SALU_CYCLE_1)
	s_or_b32 s7, s12, s7
	s_and_not1_b32 s6, s6, exec_lo
	s_and_b32 s11, s11, exec_lo
	s_or_b32 s6, s6, s11
	s_and_not1_b32 exec_lo, exec_lo, s7
	s_cbranch_execz .LBB119_5762
.LBB119_5760:                           ; =>This Inner Loop Header: Depth=1
	s_or_b32 s9, s9, exec_lo
	s_or_b32 s10, s10, exec_lo
	s_mov_b32 s11, exec_lo
	s_delay_alu instid0(VALU_DEP_1)
	v_cmpx_lt_u64_e64 v[8:9], v[10:11]
	s_cbranch_execz .LBB119_5759
; %bb.5761:                             ;   in Loop: Header=BB119_5760 Depth=1
	global_load_b64 v[12:13], v[8:9], off offset:-4
	s_wait_xcnt 0x0
	v_add_nc_u64_e32 v[8:9], 4, v[8:9]
	s_and_not1_b32 s10, s10, exec_lo
	s_and_not1_b32 s9, s9, exec_lo
	s_wait_loadcnt 0x0
	v_cmp_ge_i32_e32 vcc_lo, v12, v13
	s_or_b32 s12, s8, vcc_lo
	s_delay_alu instid0(SALU_CYCLE_1) | instskip(NEXT) | instid1(SALU_CYCLE_1)
	s_and_b32 s12, s12, exec_lo
	s_or_b32 s10, s10, s12
	s_branch .LBB119_5759
.LBB119_5762:
	s_or_b32 exec_lo, exec_lo, s7
	s_mov_b32 s7, -1
	s_mov_b32 s8, s20
	s_and_saveexec_b32 s9, s6
	s_delay_alu instid0(SALU_CYCLE_1)
	s_xor_b32 s6, exec_lo, s9
	s_cbranch_execnz .LBB119_6086
.LBB119_5763:
	s_or_b32 exec_lo, exec_lo, s6
	s_delay_alu instid0(SALU_CYCLE_1)
	s_and_not1_b32 s6, s20, exec_lo
	s_and_b32 s8, s8, exec_lo
	s_or_not1_b32 s10, s7, exec_lo
	s_or_b32 s6, s6, s8
.LBB119_5764:
	s_or_b32 exec_lo, exec_lo, s0
	s_mov_b32 s8, 0
	s_mov_b32 s9, 0
                                        ; implicit-def: $vgpr38_vgpr39
                                        ; implicit-def: $sgpr0
	s_and_saveexec_b32 s7, s10
	s_cbranch_execz .LBB119_6081
; %bb.5765:
	s_load_b32 s0, s[2:3], 0x2b0
	v_mov_b32_e32 v7, 0
	s_delay_alu instid0(VALU_DEP_1) | instskip(SKIP_2) | instid1(SALU_CYCLE_1)
	v_add_nc_u64_e32 v[6:7], s[4:5], v[6:7]
	s_wait_kmcnt 0x0
	s_and_b32 s0, s0, 0xff
	s_cmp_lt_i32 s0, 11
	s_cbranch_scc1 .LBB119_5814
; %bb.5766:
	s_and_b32 s2, 0xffff, s0
	s_mov_b32 s10, -1
	s_cmp_gt_i32 s2, 25
	s_mov_b32 s3, 0
	s_cbranch_scc0 .LBB119_5791
; %bb.5767:
	s_cmp_gt_i32 s2, 28
	s_cbranch_scc0 .LBB119_5780
; %bb.5768:
	s_cmp_gt_i32 s2, 43
	;; [unrolled: 3-line block ×3, first 2 shown]
	s_cbranch_scc0 .LBB119_5772
; %bb.5770:
	s_mov_b32 s3, -1
	s_mov_b32 s10, 0
	s_cmp_eq_u32 s2, 46
	s_cbranch_scc0 .LBB119_5772
; %bb.5771:
	v_mov_b32_e32 v1, 0
	s_mov_b32 s3, 0
	s_mov_b32 s8, -1
	global_store_b32 v[6:7], v1, off
.LBB119_5772:
	s_and_b32 vcc_lo, exec_lo, s10
	s_cbranch_vccz .LBB119_5775
; %bb.5773:
	s_cmp_eq_u32 s2, 44
	s_mov_b32 s3, -1
	s_cbranch_scc0 .LBB119_5775
; %bb.5774:
	s_wait_xcnt 0x0
	v_mov_b32_e32 v1, 0
	s_mov_b32 s3, 0
	s_mov_b32 s8, -1
	global_store_b8 v[6:7], v1, off
.LBB119_5775:
	s_mov_b32 s10, 0
.LBB119_5776:
	s_delay_alu instid0(SALU_CYCLE_1)
	s_and_b32 vcc_lo, exec_lo, s10
	s_cbranch_vccz .LBB119_5779
; %bb.5777:
	s_cmp_eq_u32 s2, 29
	s_mov_b32 s3, -1
	s_cbranch_scc0 .LBB119_5779
; %bb.5778:
	v_mov_b64_e32 v[8:9], 0
	s_mov_b32 s3, 0
	s_mov_b32 s8, -1
	global_store_b64 v[6:7], v[8:9], off
.LBB119_5779:
	s_mov_b32 s10, 0
.LBB119_5780:
	s_delay_alu instid0(SALU_CYCLE_1)
	s_and_b32 vcc_lo, exec_lo, s10
	s_cbranch_vccz .LBB119_5790
; %bb.5781:
	s_cmp_lt_i32 s2, 27
	s_mov_b32 s8, -1
	s_cbranch_scc1 .LBB119_5787
; %bb.5782:
	s_cmp_gt_i32 s2, 27
	s_cbranch_scc0 .LBB119_5784
; %bb.5783:
	s_wait_xcnt 0x0
	v_mov_b32_e32 v1, 0
	s_mov_b32 s8, 0
	global_store_b32 v[6:7], v1, off
.LBB119_5784:
	s_and_not1_b32 vcc_lo, exec_lo, s8
	s_cbranch_vccnz .LBB119_5786
; %bb.5785:
	s_wait_xcnt 0x0
	v_mov_b32_e32 v1, 0
	global_store_b16 v[6:7], v1, off
.LBB119_5786:
	s_mov_b32 s8, 0
.LBB119_5787:
	s_delay_alu instid0(SALU_CYCLE_1)
	s_and_not1_b32 vcc_lo, exec_lo, s8
	s_cbranch_vccnz .LBB119_5789
; %bb.5788:
	s_wait_xcnt 0x0
	v_mov_b32_e32 v1, 0
	global_store_b8 v[6:7], v1, off
.LBB119_5789:
	s_mov_b32 s8, -1
.LBB119_5790:
	s_mov_b32 s10, 0
.LBB119_5791:
	s_delay_alu instid0(SALU_CYCLE_1)
	s_and_b32 vcc_lo, exec_lo, s10
	s_cbranch_vccz .LBB119_5809
; %bb.5792:
	s_cmp_gt_i32 s2, 22
	s_mov_b32 s9, -1
	s_cbranch_scc0 .LBB119_5802
; %bb.5793:
	s_cmp_lt_i32 s2, 24
	s_mov_b32 s8, -1
	s_cbranch_scc1 .LBB119_5799
; %bb.5794:
	s_cmp_gt_i32 s2, 24
	s_cbranch_scc0 .LBB119_5796
; %bb.5795:
	s_wait_xcnt 0x0
	v_mov_b32_e32 v1, 0
	s_mov_b32 s8, 0
	global_store_b8 v[6:7], v1, off
.LBB119_5796:
	s_and_not1_b32 vcc_lo, exec_lo, s8
	s_cbranch_vccnz .LBB119_5798
; %bb.5797:
	s_wait_xcnt 0x0
	v_mov_b32_e32 v1, 0
	global_store_b8 v[6:7], v1, off
.LBB119_5798:
	s_mov_b32 s8, 0
.LBB119_5799:
	s_delay_alu instid0(SALU_CYCLE_1)
	s_and_not1_b32 vcc_lo, exec_lo, s8
	s_cbranch_vccnz .LBB119_5801
; %bb.5800:
	s_wait_xcnt 0x0
	v_mov_b32_e32 v1, 0
	global_store_b8 v[6:7], v1, off
.LBB119_5801:
	s_mov_b32 s9, 0
	s_mov_b32 s8, -1
.LBB119_5802:
	s_and_not1_b32 vcc_lo, exec_lo, s9
	s_mov_b32 s9, 0
	s_cbranch_vccnz .LBB119_5809
; %bb.5803:
	s_cmp_gt_i32 s2, 14
	s_mov_b32 s9, -1
	s_cbranch_scc0 .LBB119_5807
; %bb.5804:
	s_cmp_eq_u32 s2, 15
	s_mov_b32 s3, -1
	s_cbranch_scc0 .LBB119_5806
; %bb.5805:
	s_wait_xcnt 0x0
	v_mov_b32_e32 v1, 0
	s_mov_b32 s3, 0
	s_mov_b32 s8, -1
	global_store_b16 v[6:7], v1, off
.LBB119_5806:
	s_mov_b32 s9, 0
.LBB119_5807:
	s_delay_alu instid0(SALU_CYCLE_1)
	s_and_b32 vcc_lo, exec_lo, s9
	s_mov_b32 s9, 0
	s_cbranch_vccz .LBB119_5809
; %bb.5808:
	s_cmp_lg_u32 s2, 11
	s_mov_b32 s9, -1
	s_cselect_b32 s3, -1, 0
.LBB119_5809:
	s_delay_alu instid0(SALU_CYCLE_1)
	s_and_b32 vcc_lo, exec_lo, s3
	s_mov_b32 s2, s6
	s_cbranch_vccnz .LBB119_6087
; %bb.5810:
	s_and_not1_b32 vcc_lo, exec_lo, s9
	s_cbranch_vccnz .LBB119_5812
.LBB119_5811:
	s_wait_xcnt 0x0
	v_mov_b32_e32 v1, 0
	s_mov_b32 s8, -1
	global_store_b8 v[6:7], v1, off
.LBB119_5812:
	s_mov_b32 s3, 0
	s_branch .LBB119_5815
.LBB119_5813:
	s_or_b32 s25, s25, exec_lo
	s_trap 2
	s_cbranch_execz .LBB119_5686
	s_branch .LBB119_5687
.LBB119_5814:
	s_mov_b32 s3, -1
	s_mov_b32 s2, s6
.LBB119_5815:
	s_and_b32 vcc_lo, exec_lo, s3
	s_cbranch_vccz .LBB119_5854
; %bb.5816:
	s_and_b32 s3, 0xffff, s0
	s_mov_b32 s8, -1
	s_cmp_lt_i32 s3, 5
	s_cbranch_scc1 .LBB119_5837
; %bb.5817:
	s_cmp_lt_i32 s3, 8
	s_cbranch_scc1 .LBB119_5827
; %bb.5818:
	;; [unrolled: 3-line block ×3, first 2 shown]
	s_cmp_gt_i32 s3, 9
	s_cbranch_scc0 .LBB119_5821
; %bb.5820:
	s_wait_xcnt 0x0
	v_mov_b32_e32 v8, 0
	s_mov_b32 s8, 0
	s_delay_alu instid0(VALU_DEP_1)
	v_dual_mov_b32 v9, v8 :: v_dual_mov_b32 v10, v8
	v_mov_b32_e32 v11, v8
	global_store_b128 v[6:7], v[8:11], off
.LBB119_5821:
	s_and_not1_b32 vcc_lo, exec_lo, s8
	s_cbranch_vccnz .LBB119_5823
; %bb.5822:
	s_wait_xcnt 0x0
	v_mov_b64_e32 v[8:9], 0
	global_store_b64 v[6:7], v[8:9], off
.LBB119_5823:
	s_mov_b32 s8, 0
.LBB119_5824:
	s_delay_alu instid0(SALU_CYCLE_1)
	s_and_not1_b32 vcc_lo, exec_lo, s8
	s_cbranch_vccnz .LBB119_5826
; %bb.5825:
	s_wait_xcnt 0x0
	v_mov_b32_e32 v1, 0
	global_store_b32 v[6:7], v1, off
.LBB119_5826:
	s_mov_b32 s8, 0
.LBB119_5827:
	s_delay_alu instid0(SALU_CYCLE_1)
	s_and_not1_b32 vcc_lo, exec_lo, s8
	s_cbranch_vccnz .LBB119_5836
; %bb.5828:
	s_cmp_lt_i32 s3, 6
	s_mov_b32 s8, -1
	s_cbranch_scc1 .LBB119_5834
; %bb.5829:
	s_cmp_gt_i32 s3, 6
	s_cbranch_scc0 .LBB119_5831
; %bb.5830:
	s_wait_xcnt 0x0
	v_mov_b64_e32 v[8:9], 0
	s_mov_b32 s8, 0
	global_store_b64 v[6:7], v[8:9], off
.LBB119_5831:
	s_and_not1_b32 vcc_lo, exec_lo, s8
	s_cbranch_vccnz .LBB119_5833
; %bb.5832:
	s_wait_xcnt 0x0
	v_mov_b32_e32 v1, 0
	global_store_b32 v[6:7], v1, off
.LBB119_5833:
	s_mov_b32 s8, 0
.LBB119_5834:
	s_delay_alu instid0(SALU_CYCLE_1)
	s_and_not1_b32 vcc_lo, exec_lo, s8
	s_cbranch_vccnz .LBB119_5836
; %bb.5835:
	s_wait_xcnt 0x0
	v_mov_b32_e32 v1, 0
	global_store_b16 v[6:7], v1, off
.LBB119_5836:
	s_mov_b32 s8, 0
.LBB119_5837:
	s_delay_alu instid0(SALU_CYCLE_1)
	s_and_not1_b32 vcc_lo, exec_lo, s8
	s_cbranch_vccnz .LBB119_5853
; %bb.5838:
	s_cmp_lt_i32 s3, 2
	s_mov_b32 s8, -1
	s_cbranch_scc1 .LBB119_5848
; %bb.5839:
	s_cmp_lt_i32 s3, 3
	s_cbranch_scc1 .LBB119_5845
; %bb.5840:
	s_cmp_gt_i32 s3, 3
	s_cbranch_scc0 .LBB119_5842
; %bb.5841:
	s_wait_xcnt 0x0
	v_mov_b64_e32 v[8:9], 0
	s_mov_b32 s8, 0
	global_store_b64 v[6:7], v[8:9], off
.LBB119_5842:
	s_and_not1_b32 vcc_lo, exec_lo, s8
	s_cbranch_vccnz .LBB119_5844
; %bb.5843:
	s_wait_xcnt 0x0
	v_mov_b32_e32 v1, 0
	global_store_b32 v[6:7], v1, off
.LBB119_5844:
	s_mov_b32 s8, 0
.LBB119_5845:
	s_delay_alu instid0(SALU_CYCLE_1)
	s_and_not1_b32 vcc_lo, exec_lo, s8
	s_cbranch_vccnz .LBB119_5847
; %bb.5846:
	s_wait_xcnt 0x0
	v_mov_b32_e32 v1, 0
	global_store_b16 v[6:7], v1, off
.LBB119_5847:
	s_mov_b32 s8, 0
.LBB119_5848:
	s_delay_alu instid0(SALU_CYCLE_1)
	s_and_not1_b32 vcc_lo, exec_lo, s8
	s_cbranch_vccnz .LBB119_5853
; %bb.5849:
	s_cmp_gt_i32 s3, 0
	s_mov_b32 s3, -1
	s_cbranch_scc0 .LBB119_5851
; %bb.5850:
	s_wait_xcnt 0x0
	v_mov_b32_e32 v1, 0
	s_mov_b32 s3, 0
	global_store_b8 v[6:7], v1, off
.LBB119_5851:
	s_and_not1_b32 vcc_lo, exec_lo, s3
	s_cbranch_vccnz .LBB119_5853
; %bb.5852:
	s_wait_xcnt 0x0
	v_mov_b32_e32 v1, 0
	global_store_b8 v[6:7], v1, off
.LBB119_5853:
	s_mov_b32 s8, -1
.LBB119_5854:
	s_delay_alu instid0(SALU_CYCLE_1)
	s_and_not1_b32 vcc_lo, exec_lo, s8
	s_cbranch_vccnz .LBB119_6079
; %bb.5855:
	v_mov_b32_e32 v5, 0
	s_and_b32 s3, 0xffff, s0
	s_delay_alu instid0(SALU_CYCLE_1) | instskip(NEXT) | instid1(VALU_DEP_1)
	s_cmp_lt_i32 s3, 11
	v_add_nc_u64_e32 v[4:5], s[4:5], v[4:5]
	s_cbranch_scc1 .LBB119_5903
; %bb.5856:
	s_mov_b32 s11, -1
	s_mov_b32 s10, 0
	s_cmp_gt_i32 s3, 25
	s_mov_b32 s9, 0
	s_mov_b32 s8, 0
	s_cbranch_scc0 .LBB119_5881
; %bb.5857:
	s_cmp_gt_i32 s3, 28
	s_cbranch_scc0 .LBB119_5870
; %bb.5858:
	s_cmp_gt_i32 s3, 43
	;; [unrolled: 3-line block ×3, first 2 shown]
	s_cbranch_scc0 .LBB119_5862
; %bb.5860:
	s_mov_b32 s8, -1
	s_mov_b32 s11, 0
	s_cmp_eq_u32 s3, 46
	s_cbranch_scc0 .LBB119_5862
; %bb.5861:
	s_wait_xcnt 0x0
	v_mov_b32_e32 v1, 0
	s_mov_b32 s8, 0
	s_mov_b32 s9, -1
	global_store_b32 v[4:5], v1, off
.LBB119_5862:
	s_and_b32 vcc_lo, exec_lo, s11
	s_cbranch_vccz .LBB119_5865
; %bb.5863:
	s_cmp_eq_u32 s3, 44
	s_mov_b32 s8, -1
	s_cbranch_scc0 .LBB119_5865
; %bb.5864:
	s_wait_xcnt 0x0
	v_mov_b32_e32 v1, 0
	s_mov_b32 s8, 0
	s_mov_b32 s9, -1
	global_store_b8 v[4:5], v1, off
.LBB119_5865:
	s_mov_b32 s11, 0
.LBB119_5866:
	s_delay_alu instid0(SALU_CYCLE_1)
	s_and_b32 vcc_lo, exec_lo, s11
	s_cbranch_vccz .LBB119_5869
; %bb.5867:
	s_cmp_eq_u32 s3, 29
	s_mov_b32 s8, -1
	s_cbranch_scc0 .LBB119_5869
; %bb.5868:
	s_wait_xcnt 0x0
	v_mov_b64_e32 v[6:7], 0
	s_mov_b32 s8, 0
	s_mov_b32 s9, -1
	global_store_b64 v[4:5], v[6:7], off
.LBB119_5869:
	s_mov_b32 s11, 0
.LBB119_5870:
	s_delay_alu instid0(SALU_CYCLE_1)
	s_and_b32 vcc_lo, exec_lo, s11
	s_cbranch_vccz .LBB119_5880
; %bb.5871:
	s_cmp_lt_i32 s3, 27
	s_mov_b32 s9, -1
	s_cbranch_scc1 .LBB119_5877
; %bb.5872:
	s_cmp_gt_i32 s3, 27
	s_cbranch_scc0 .LBB119_5874
; %bb.5873:
	s_wait_xcnt 0x0
	v_mov_b32_e32 v1, 0
	s_mov_b32 s9, 0
	global_store_b32 v[4:5], v1, off
.LBB119_5874:
	s_and_not1_b32 vcc_lo, exec_lo, s9
	s_cbranch_vccnz .LBB119_5876
; %bb.5875:
	s_wait_xcnt 0x0
	v_mov_b32_e32 v1, 0
	global_store_b16 v[4:5], v1, off
.LBB119_5876:
	s_mov_b32 s9, 0
.LBB119_5877:
	s_delay_alu instid0(SALU_CYCLE_1)
	s_and_not1_b32 vcc_lo, exec_lo, s9
	s_cbranch_vccnz .LBB119_5879
; %bb.5878:
	s_wait_xcnt 0x0
	v_mov_b32_e32 v1, 0
	global_store_b8 v[4:5], v1, off
.LBB119_5879:
	s_mov_b32 s9, -1
.LBB119_5880:
	s_mov_b32 s11, 0
.LBB119_5881:
	s_delay_alu instid0(SALU_CYCLE_1)
	s_and_b32 vcc_lo, exec_lo, s11
	s_cbranch_vccz .LBB119_5899
; %bb.5882:
	s_cmp_gt_i32 s3, 22
	s_mov_b32 s10, -1
	s_cbranch_scc0 .LBB119_5892
; %bb.5883:
	s_cmp_lt_i32 s3, 24
	s_mov_b32 s9, -1
	s_cbranch_scc1 .LBB119_5889
; %bb.5884:
	s_cmp_gt_i32 s3, 24
	s_cbranch_scc0 .LBB119_5886
; %bb.5885:
	s_wait_xcnt 0x0
	v_mov_b32_e32 v1, 0
	s_mov_b32 s9, 0
	global_store_b8 v[4:5], v1, off
.LBB119_5886:
	s_and_not1_b32 vcc_lo, exec_lo, s9
	s_cbranch_vccnz .LBB119_5888
; %bb.5887:
	s_wait_xcnt 0x0
	v_mov_b32_e32 v1, 0
	global_store_b8 v[4:5], v1, off
.LBB119_5888:
	s_mov_b32 s9, 0
.LBB119_5889:
	s_delay_alu instid0(SALU_CYCLE_1)
	s_and_not1_b32 vcc_lo, exec_lo, s9
	s_cbranch_vccnz .LBB119_5891
; %bb.5890:
	s_wait_xcnt 0x0
	v_mov_b32_e32 v1, 0
	global_store_b8 v[4:5], v1, off
.LBB119_5891:
	s_mov_b32 s10, 0
	s_mov_b32 s9, -1
.LBB119_5892:
	s_and_not1_b32 vcc_lo, exec_lo, s10
	s_mov_b32 s10, 0
	s_cbranch_vccnz .LBB119_5899
; %bb.5893:
	s_cmp_gt_i32 s3, 14
	s_mov_b32 s10, -1
	s_cbranch_scc0 .LBB119_5897
; %bb.5894:
	s_cmp_eq_u32 s3, 15
	s_mov_b32 s8, -1
	s_cbranch_scc0 .LBB119_5896
; %bb.5895:
	s_wait_xcnt 0x0
	v_mov_b32_e32 v1, 0
	s_mov_b32 s8, 0
	s_mov_b32 s9, -1
	global_store_b16 v[4:5], v1, off
.LBB119_5896:
	s_mov_b32 s10, 0
.LBB119_5897:
	s_delay_alu instid0(SALU_CYCLE_1)
	s_and_b32 vcc_lo, exec_lo, s10
	s_mov_b32 s10, 0
	s_cbranch_vccz .LBB119_5899
; %bb.5898:
	s_cmp_lg_u32 s3, 11
	s_mov_b32 s10, -1
	s_cselect_b32 s8, -1, 0
.LBB119_5899:
	s_delay_alu instid0(SALU_CYCLE_1)
	s_and_b32 vcc_lo, exec_lo, s8
	s_cbranch_vccnz .LBB119_6088
; %bb.5900:
	s_and_not1_b32 vcc_lo, exec_lo, s10
	s_cbranch_vccnz .LBB119_5902
.LBB119_5901:
	s_wait_xcnt 0x0
	v_mov_b32_e32 v1, 0
	s_mov_b32 s9, -1
	global_store_b8 v[4:5], v1, off
.LBB119_5902:
	s_mov_b32 s8, 0
	s_branch .LBB119_5904
.LBB119_5903:
	s_mov_b32 s8, -1
	s_mov_b32 s9, 0
.LBB119_5904:
	s_and_b32 vcc_lo, exec_lo, s8
	s_cbranch_vccz .LBB119_5943
; %bb.5905:
	s_cmp_lt_i32 s3, 5
	s_mov_b32 s8, -1
	s_cbranch_scc1 .LBB119_5926
; %bb.5906:
	s_cmp_lt_i32 s3, 8
	s_cbranch_scc1 .LBB119_5916
; %bb.5907:
	s_cmp_lt_i32 s3, 9
	s_cbranch_scc1 .LBB119_5913
; %bb.5908:
	s_cmp_gt_i32 s3, 9
	s_cbranch_scc0 .LBB119_5910
; %bb.5909:
	s_wait_xcnt 0x0
	v_mov_b32_e32 v6, 0
	s_mov_b32 s8, 0
	s_delay_alu instid0(VALU_DEP_1)
	v_dual_mov_b32 v7, v6 :: v_dual_mov_b32 v8, v6
	v_mov_b32_e32 v9, v6
	global_store_b128 v[4:5], v[6:9], off
.LBB119_5910:
	s_and_not1_b32 vcc_lo, exec_lo, s8
	s_cbranch_vccnz .LBB119_5912
; %bb.5911:
	s_wait_xcnt 0x0
	v_mov_b64_e32 v[6:7], 0
	global_store_b64 v[4:5], v[6:7], off
.LBB119_5912:
	s_mov_b32 s8, 0
.LBB119_5913:
	s_delay_alu instid0(SALU_CYCLE_1)
	s_and_not1_b32 vcc_lo, exec_lo, s8
	s_cbranch_vccnz .LBB119_5915
; %bb.5914:
	s_wait_xcnt 0x0
	v_mov_b32_e32 v1, 0
	global_store_b32 v[4:5], v1, off
.LBB119_5915:
	s_mov_b32 s8, 0
.LBB119_5916:
	s_delay_alu instid0(SALU_CYCLE_1)
	s_and_not1_b32 vcc_lo, exec_lo, s8
	s_cbranch_vccnz .LBB119_5925
; %bb.5917:
	s_cmp_lt_i32 s3, 6
	s_mov_b32 s8, -1
	s_cbranch_scc1 .LBB119_5923
; %bb.5918:
	s_cmp_gt_i32 s3, 6
	s_cbranch_scc0 .LBB119_5920
; %bb.5919:
	s_wait_xcnt 0x0
	v_mov_b64_e32 v[6:7], 0
	s_mov_b32 s8, 0
	global_store_b64 v[4:5], v[6:7], off
.LBB119_5920:
	s_and_not1_b32 vcc_lo, exec_lo, s8
	s_cbranch_vccnz .LBB119_5922
; %bb.5921:
	s_wait_xcnt 0x0
	v_mov_b32_e32 v1, 0
	global_store_b32 v[4:5], v1, off
.LBB119_5922:
	s_mov_b32 s8, 0
.LBB119_5923:
	s_delay_alu instid0(SALU_CYCLE_1)
	s_and_not1_b32 vcc_lo, exec_lo, s8
	s_cbranch_vccnz .LBB119_5925
; %bb.5924:
	s_wait_xcnt 0x0
	v_mov_b32_e32 v1, 0
	global_store_b16 v[4:5], v1, off
.LBB119_5925:
	s_mov_b32 s8, 0
.LBB119_5926:
	s_delay_alu instid0(SALU_CYCLE_1)
	s_and_not1_b32 vcc_lo, exec_lo, s8
	s_cbranch_vccnz .LBB119_5942
; %bb.5927:
	s_cmp_lt_i32 s3, 2
	s_mov_b32 s8, -1
	s_cbranch_scc1 .LBB119_5937
; %bb.5928:
	s_cmp_lt_i32 s3, 3
	s_cbranch_scc1 .LBB119_5934
; %bb.5929:
	s_cmp_gt_i32 s3, 3
	s_cbranch_scc0 .LBB119_5931
; %bb.5930:
	s_wait_xcnt 0x0
	v_mov_b64_e32 v[6:7], 0
	s_mov_b32 s8, 0
	global_store_b64 v[4:5], v[6:7], off
.LBB119_5931:
	s_and_not1_b32 vcc_lo, exec_lo, s8
	s_cbranch_vccnz .LBB119_5933
; %bb.5932:
	s_wait_xcnt 0x0
	v_mov_b32_e32 v1, 0
	global_store_b32 v[4:5], v1, off
.LBB119_5933:
	s_mov_b32 s8, 0
.LBB119_5934:
	s_delay_alu instid0(SALU_CYCLE_1)
	s_and_not1_b32 vcc_lo, exec_lo, s8
	s_cbranch_vccnz .LBB119_5936
; %bb.5935:
	s_wait_xcnt 0x0
	v_mov_b32_e32 v1, 0
	global_store_b16 v[4:5], v1, off
.LBB119_5936:
	s_mov_b32 s8, 0
.LBB119_5937:
	s_delay_alu instid0(SALU_CYCLE_1)
	s_and_not1_b32 vcc_lo, exec_lo, s8
	s_cbranch_vccnz .LBB119_5942
; %bb.5938:
	s_cmp_gt_i32 s3, 0
	s_mov_b32 s8, -1
	s_cbranch_scc0 .LBB119_5940
; %bb.5939:
	s_wait_xcnt 0x0
	v_mov_b32_e32 v1, 0
	s_mov_b32 s8, 0
	global_store_b8 v[4:5], v1, off
.LBB119_5940:
	s_and_not1_b32 vcc_lo, exec_lo, s8
	s_cbranch_vccnz .LBB119_5942
; %bb.5941:
	s_wait_xcnt 0x0
	v_mov_b32_e32 v1, 0
	global_store_b8 v[4:5], v1, off
.LBB119_5942:
	s_mov_b32 s9, -1
.LBB119_5943:
	s_delay_alu instid0(SALU_CYCLE_1)
	s_and_not1_b32 vcc_lo, exec_lo, s9
	s_cbranch_vccnz .LBB119_6079
; %bb.5944:
	v_mov_b32_e32 v3, 0
	s_cmp_lt_i32 s3, 11
	s_delay_alu instid0(VALU_DEP_1)
	v_add_nc_u64_e32 v[2:3], s[4:5], v[2:3]
	s_cbranch_scc1 .LBB119_5992
; %bb.5945:
	s_mov_b32 s11, -1
	s_mov_b32 s10, 0
	s_cmp_gt_i32 s3, 25
	s_mov_b32 s9, 0
	s_mov_b32 s8, 0
	s_cbranch_scc0 .LBB119_5970
; %bb.5946:
	s_cmp_gt_i32 s3, 28
	s_cbranch_scc0 .LBB119_5959
; %bb.5947:
	s_cmp_gt_i32 s3, 43
	;; [unrolled: 3-line block ×3, first 2 shown]
	s_cbranch_scc0 .LBB119_5951
; %bb.5949:
	s_mov_b32 s8, -1
	s_mov_b32 s11, 0
	s_cmp_eq_u32 s3, 46
	s_cbranch_scc0 .LBB119_5951
; %bb.5950:
	s_wait_xcnt 0x0
	v_mov_b32_e32 v1, 0
	s_mov_b32 s8, 0
	s_mov_b32 s9, -1
	global_store_b32 v[2:3], v1, off
.LBB119_5951:
	s_and_b32 vcc_lo, exec_lo, s11
	s_cbranch_vccz .LBB119_5954
; %bb.5952:
	s_cmp_eq_u32 s3, 44
	s_mov_b32 s8, -1
	s_cbranch_scc0 .LBB119_5954
; %bb.5953:
	s_wait_xcnt 0x0
	v_mov_b32_e32 v1, 0
	s_mov_b32 s8, 0
	s_mov_b32 s9, -1
	global_store_b8 v[2:3], v1, off
.LBB119_5954:
	s_mov_b32 s11, 0
.LBB119_5955:
	s_delay_alu instid0(SALU_CYCLE_1)
	s_and_b32 vcc_lo, exec_lo, s11
	s_cbranch_vccz .LBB119_5958
; %bb.5956:
	s_cmp_eq_u32 s3, 29
	s_mov_b32 s8, -1
	s_cbranch_scc0 .LBB119_5958
; %bb.5957:
	s_wait_xcnt 0x0
	v_mov_b64_e32 v[4:5], 0
	s_mov_b32 s8, 0
	s_mov_b32 s9, -1
	global_store_b64 v[2:3], v[4:5], off
.LBB119_5958:
	s_mov_b32 s11, 0
.LBB119_5959:
	s_delay_alu instid0(SALU_CYCLE_1)
	s_and_b32 vcc_lo, exec_lo, s11
	s_cbranch_vccz .LBB119_5969
; %bb.5960:
	s_cmp_lt_i32 s3, 27
	s_mov_b32 s9, -1
	s_cbranch_scc1 .LBB119_5966
; %bb.5961:
	s_cmp_gt_i32 s3, 27
	s_cbranch_scc0 .LBB119_5963
; %bb.5962:
	s_wait_xcnt 0x0
	v_mov_b32_e32 v1, 0
	s_mov_b32 s9, 0
	global_store_b32 v[2:3], v1, off
.LBB119_5963:
	s_and_not1_b32 vcc_lo, exec_lo, s9
	s_cbranch_vccnz .LBB119_5965
; %bb.5964:
	s_wait_xcnt 0x0
	v_mov_b32_e32 v1, 0
	global_store_b16 v[2:3], v1, off
.LBB119_5965:
	s_mov_b32 s9, 0
.LBB119_5966:
	s_delay_alu instid0(SALU_CYCLE_1)
	s_and_not1_b32 vcc_lo, exec_lo, s9
	s_cbranch_vccnz .LBB119_5968
; %bb.5967:
	s_wait_xcnt 0x0
	v_mov_b32_e32 v1, 0
	global_store_b8 v[2:3], v1, off
.LBB119_5968:
	s_mov_b32 s9, -1
.LBB119_5969:
	s_mov_b32 s11, 0
.LBB119_5970:
	s_delay_alu instid0(SALU_CYCLE_1)
	s_and_b32 vcc_lo, exec_lo, s11
	s_cbranch_vccz .LBB119_5988
; %bb.5971:
	s_cmp_gt_i32 s3, 22
	s_mov_b32 s10, -1
	s_cbranch_scc0 .LBB119_5981
; %bb.5972:
	s_cmp_lt_i32 s3, 24
	s_mov_b32 s9, -1
	s_cbranch_scc1 .LBB119_5978
; %bb.5973:
	s_cmp_gt_i32 s3, 24
	s_cbranch_scc0 .LBB119_5975
; %bb.5974:
	s_wait_xcnt 0x0
	v_mov_b32_e32 v1, 0
	s_mov_b32 s9, 0
	global_store_b8 v[2:3], v1, off
.LBB119_5975:
	s_and_not1_b32 vcc_lo, exec_lo, s9
	s_cbranch_vccnz .LBB119_5977
; %bb.5976:
	s_wait_xcnt 0x0
	v_mov_b32_e32 v1, 0
	global_store_b8 v[2:3], v1, off
.LBB119_5977:
	s_mov_b32 s9, 0
.LBB119_5978:
	s_delay_alu instid0(SALU_CYCLE_1)
	s_and_not1_b32 vcc_lo, exec_lo, s9
	s_cbranch_vccnz .LBB119_5980
; %bb.5979:
	s_wait_xcnt 0x0
	v_mov_b32_e32 v1, 0
	global_store_b8 v[2:3], v1, off
.LBB119_5980:
	s_mov_b32 s10, 0
	s_mov_b32 s9, -1
.LBB119_5981:
	s_and_not1_b32 vcc_lo, exec_lo, s10
	s_mov_b32 s10, 0
	s_cbranch_vccnz .LBB119_5988
; %bb.5982:
	s_cmp_gt_i32 s3, 14
	s_mov_b32 s10, -1
	s_cbranch_scc0 .LBB119_5986
; %bb.5983:
	s_cmp_eq_u32 s3, 15
	s_mov_b32 s8, -1
	s_cbranch_scc0 .LBB119_5985
; %bb.5984:
	s_wait_xcnt 0x0
	v_mov_b32_e32 v1, 0
	s_mov_b32 s8, 0
	s_mov_b32 s9, -1
	global_store_b16 v[2:3], v1, off
.LBB119_5985:
	s_mov_b32 s10, 0
.LBB119_5986:
	s_delay_alu instid0(SALU_CYCLE_1)
	s_and_b32 vcc_lo, exec_lo, s10
	s_mov_b32 s10, 0
	s_cbranch_vccz .LBB119_5988
; %bb.5987:
	s_cmp_lg_u32 s3, 11
	s_mov_b32 s10, -1
	s_cselect_b32 s8, -1, 0
.LBB119_5988:
	s_delay_alu instid0(SALU_CYCLE_1)
	s_and_b32 vcc_lo, exec_lo, s8
	s_cbranch_vccnz .LBB119_6090
; %bb.5989:
	s_and_not1_b32 vcc_lo, exec_lo, s10
	s_cbranch_vccnz .LBB119_5991
.LBB119_5990:
	s_wait_xcnt 0x0
	v_mov_b32_e32 v1, 0
	s_mov_b32 s9, -1
	global_store_b8 v[2:3], v1, off
.LBB119_5991:
	s_mov_b32 s8, 0
	s_branch .LBB119_5993
.LBB119_5992:
	s_mov_b32 s8, -1
	s_mov_b32 s9, 0
.LBB119_5993:
	s_and_b32 vcc_lo, exec_lo, s8
	s_cbranch_vccz .LBB119_6032
; %bb.5994:
	s_cmp_lt_i32 s3, 5
	s_mov_b32 s8, -1
	s_cbranch_scc1 .LBB119_6015
; %bb.5995:
	s_cmp_lt_i32 s3, 8
	s_cbranch_scc1 .LBB119_6005
; %bb.5996:
	s_cmp_lt_i32 s3, 9
	s_cbranch_scc1 .LBB119_6002
; %bb.5997:
	s_cmp_gt_i32 s3, 9
	s_cbranch_scc0 .LBB119_5999
; %bb.5998:
	s_wait_xcnt 0x0
	v_mov_b32_e32 v4, 0
	s_mov_b32 s8, 0
	s_delay_alu instid0(VALU_DEP_1)
	v_dual_mov_b32 v5, v4 :: v_dual_mov_b32 v6, v4
	v_mov_b32_e32 v7, v4
	global_store_b128 v[2:3], v[4:7], off
.LBB119_5999:
	s_and_not1_b32 vcc_lo, exec_lo, s8
	s_cbranch_vccnz .LBB119_6001
; %bb.6000:
	s_wait_xcnt 0x0
	v_mov_b64_e32 v[4:5], 0
	global_store_b64 v[2:3], v[4:5], off
.LBB119_6001:
	s_mov_b32 s8, 0
.LBB119_6002:
	s_delay_alu instid0(SALU_CYCLE_1)
	s_and_not1_b32 vcc_lo, exec_lo, s8
	s_cbranch_vccnz .LBB119_6004
; %bb.6003:
	s_wait_xcnt 0x0
	v_mov_b32_e32 v1, 0
	global_store_b32 v[2:3], v1, off
.LBB119_6004:
	s_mov_b32 s8, 0
.LBB119_6005:
	s_delay_alu instid0(SALU_CYCLE_1)
	s_and_not1_b32 vcc_lo, exec_lo, s8
	s_cbranch_vccnz .LBB119_6014
; %bb.6006:
	s_cmp_lt_i32 s3, 6
	s_mov_b32 s8, -1
	s_cbranch_scc1 .LBB119_6012
; %bb.6007:
	s_cmp_gt_i32 s3, 6
	s_cbranch_scc0 .LBB119_6009
; %bb.6008:
	s_wait_xcnt 0x0
	v_mov_b64_e32 v[4:5], 0
	s_mov_b32 s8, 0
	global_store_b64 v[2:3], v[4:5], off
.LBB119_6009:
	s_and_not1_b32 vcc_lo, exec_lo, s8
	s_cbranch_vccnz .LBB119_6011
; %bb.6010:
	s_wait_xcnt 0x0
	v_mov_b32_e32 v1, 0
	global_store_b32 v[2:3], v1, off
.LBB119_6011:
	s_mov_b32 s8, 0
.LBB119_6012:
	s_delay_alu instid0(SALU_CYCLE_1)
	s_and_not1_b32 vcc_lo, exec_lo, s8
	s_cbranch_vccnz .LBB119_6014
; %bb.6013:
	s_wait_xcnt 0x0
	v_mov_b32_e32 v1, 0
	global_store_b16 v[2:3], v1, off
.LBB119_6014:
	s_mov_b32 s8, 0
.LBB119_6015:
	s_delay_alu instid0(SALU_CYCLE_1)
	s_and_not1_b32 vcc_lo, exec_lo, s8
	s_cbranch_vccnz .LBB119_6031
; %bb.6016:
	s_cmp_lt_i32 s3, 2
	s_mov_b32 s8, -1
	s_cbranch_scc1 .LBB119_6026
; %bb.6017:
	s_cmp_lt_i32 s3, 3
	s_cbranch_scc1 .LBB119_6023
; %bb.6018:
	s_cmp_gt_i32 s3, 3
	s_cbranch_scc0 .LBB119_6020
; %bb.6019:
	s_wait_xcnt 0x0
	v_mov_b64_e32 v[4:5], 0
	s_mov_b32 s8, 0
	global_store_b64 v[2:3], v[4:5], off
.LBB119_6020:
	s_and_not1_b32 vcc_lo, exec_lo, s8
	s_cbranch_vccnz .LBB119_6022
; %bb.6021:
	s_wait_xcnt 0x0
	v_mov_b32_e32 v1, 0
	global_store_b32 v[2:3], v1, off
.LBB119_6022:
	s_mov_b32 s8, 0
.LBB119_6023:
	s_delay_alu instid0(SALU_CYCLE_1)
	s_and_not1_b32 vcc_lo, exec_lo, s8
	s_cbranch_vccnz .LBB119_6025
; %bb.6024:
	s_wait_xcnt 0x0
	v_mov_b32_e32 v1, 0
	global_store_b16 v[2:3], v1, off
.LBB119_6025:
	s_mov_b32 s8, 0
.LBB119_6026:
	s_delay_alu instid0(SALU_CYCLE_1)
	s_and_not1_b32 vcc_lo, exec_lo, s8
	s_cbranch_vccnz .LBB119_6031
; %bb.6027:
	s_cmp_gt_i32 s3, 0
	s_mov_b32 s8, -1
	s_cbranch_scc0 .LBB119_6029
; %bb.6028:
	s_wait_xcnt 0x0
	v_mov_b32_e32 v1, 0
	s_mov_b32 s8, 0
	global_store_b8 v[2:3], v1, off
.LBB119_6029:
	s_and_not1_b32 vcc_lo, exec_lo, s8
	s_cbranch_vccnz .LBB119_6031
; %bb.6030:
	s_wait_xcnt 0x0
	v_mov_b32_e32 v1, 0
	global_store_b8 v[2:3], v1, off
.LBB119_6031:
	s_mov_b32 s9, -1
.LBB119_6032:
	s_delay_alu instid0(SALU_CYCLE_1)
	s_and_not1_b32 vcc_lo, exec_lo, s9
	s_cbranch_vccnz .LBB119_6079
; %bb.6033:
	s_wait_xcnt 0x0
	v_mov_b32_e32 v1, 0
	s_cmp_lt_i32 s3, 11
	s_delay_alu instid0(VALU_DEP_1)
	v_add_nc_u64_e32 v[38:39], s[4:5], v[0:1]
	s_cbranch_scc1 .LBB119_6085
; %bb.6034:
	s_mov_b32 s8, -1
	s_mov_b32 s4, 0
	s_cmp_gt_i32 s3, 25
	s_mov_b32 s5, 0
	s_cbranch_scc0 .LBB119_6059
; %bb.6035:
	s_cmp_gt_i32 s3, 28
	s_cbranch_scc0 .LBB119_6049
; %bb.6036:
	s_cmp_gt_i32 s3, 43
	;; [unrolled: 3-line block ×3, first 2 shown]
	s_cbranch_scc0 .LBB119_6041
; %bb.6038:
	s_cmp_eq_u32 s3, 46
	s_mov_b32 s5, -1
	s_cbranch_scc0 .LBB119_6040
; %bb.6039:
	v_mov_b32_e32 v0, 0
	s_mov_b32 s5, 0
	global_store_b32 v[38:39], v0, off
.LBB119_6040:
	s_mov_b32 s8, 0
.LBB119_6041:
	s_delay_alu instid0(SALU_CYCLE_1)
	s_and_b32 vcc_lo, exec_lo, s8
	s_cbranch_vccz .LBB119_6044
; %bb.6042:
	s_cmp_eq_u32 s3, 44
	s_mov_b32 s5, -1
	s_cbranch_scc0 .LBB119_6044
; %bb.6043:
	s_wait_xcnt 0x0
	v_mov_b32_e32 v0, 0
	s_mov_b32 s5, 0
	global_store_b8 v[38:39], v0, off
.LBB119_6044:
	s_mov_b32 s8, 0
.LBB119_6045:
	s_delay_alu instid0(SALU_CYCLE_1)
	s_and_b32 vcc_lo, exec_lo, s8
	s_cbranch_vccz .LBB119_6048
; %bb.6046:
	s_cmp_eq_u32 s3, 29
	s_mov_b32 s5, -1
	s_cbranch_scc0 .LBB119_6048
; %bb.6047:
	s_wait_xcnt 0x0
	v_mov_b64_e32 v[0:1], 0
	s_mov_b32 s5, 0
	global_store_b64 v[38:39], v[0:1], off
.LBB119_6048:
	s_mov_b32 s8, 0
.LBB119_6049:
	s_delay_alu instid0(SALU_CYCLE_1)
	s_and_b32 vcc_lo, exec_lo, s8
	s_cbranch_vccz .LBB119_6058
; %bb.6050:
	s_cmp_lt_i32 s3, 27
	s_mov_b32 s8, -1
	s_cbranch_scc1 .LBB119_6056
; %bb.6051:
	s_cmp_gt_i32 s3, 27
	s_cbranch_scc0 .LBB119_6053
; %bb.6052:
	s_wait_xcnt 0x0
	v_mov_b32_e32 v0, 0
	s_mov_b32 s8, 0
	global_store_b32 v[38:39], v0, off
.LBB119_6053:
	s_and_not1_b32 vcc_lo, exec_lo, s8
	s_cbranch_vccnz .LBB119_6055
; %bb.6054:
	s_wait_xcnt 0x0
	v_mov_b32_e32 v0, 0
	global_store_b16 v[38:39], v0, off
.LBB119_6055:
	s_mov_b32 s8, 0
.LBB119_6056:
	s_delay_alu instid0(SALU_CYCLE_1)
	s_and_not1_b32 vcc_lo, exec_lo, s8
	s_cbranch_vccnz .LBB119_6058
; %bb.6057:
	s_wait_xcnt 0x0
	v_mov_b32_e32 v0, 0
	global_store_b8 v[38:39], v0, off
.LBB119_6058:
	s_mov_b32 s8, 0
.LBB119_6059:
	s_delay_alu instid0(SALU_CYCLE_1)
	s_and_b32 vcc_lo, exec_lo, s8
	s_cbranch_vccz .LBB119_6077
; %bb.6060:
	s_cmp_gt_i32 s3, 22
	s_mov_b32 s4, -1
	s_cbranch_scc0 .LBB119_6070
; %bb.6061:
	s_cmp_lt_i32 s3, 24
	s_cbranch_scc1 .LBB119_6067
; %bb.6062:
	s_cmp_gt_i32 s3, 24
	s_cbranch_scc0 .LBB119_6064
; %bb.6063:
	s_wait_xcnt 0x0
	v_mov_b32_e32 v0, 0
	s_mov_b32 s4, 0
	global_store_b8 v[38:39], v0, off
.LBB119_6064:
	s_and_not1_b32 vcc_lo, exec_lo, s4
	s_cbranch_vccnz .LBB119_6066
; %bb.6065:
	s_wait_xcnt 0x0
	v_mov_b32_e32 v0, 0
	global_store_b8 v[38:39], v0, off
.LBB119_6066:
	s_mov_b32 s4, 0
.LBB119_6067:
	s_delay_alu instid0(SALU_CYCLE_1)
	s_and_not1_b32 vcc_lo, exec_lo, s4
	s_cbranch_vccnz .LBB119_6069
; %bb.6068:
	s_wait_xcnt 0x0
	v_mov_b32_e32 v0, 0
	global_store_b8 v[38:39], v0, off
.LBB119_6069:
	s_mov_b32 s4, 0
.LBB119_6070:
	s_delay_alu instid0(SALU_CYCLE_1)
	s_and_not1_b32 vcc_lo, exec_lo, s4
	s_mov_b32 s4, 0
	s_cbranch_vccnz .LBB119_6077
; %bb.6071:
	s_cmp_gt_i32 s3, 14
	s_mov_b32 s4, -1
	s_cbranch_scc0 .LBB119_6075
; %bb.6072:
	s_cmp_eq_u32 s3, 15
	s_mov_b32 s5, -1
	s_cbranch_scc0 .LBB119_6074
; %bb.6073:
	s_wait_xcnt 0x0
	v_mov_b32_e32 v0, 0
	s_mov_b32 s5, 0
	global_store_b16 v[38:39], v0, off
.LBB119_6074:
	s_mov_b32 s4, 0
.LBB119_6075:
	s_delay_alu instid0(SALU_CYCLE_1)
	s_and_b32 vcc_lo, exec_lo, s4
	s_mov_b32 s4, 0
	s_cbranch_vccz .LBB119_6077
; %bb.6076:
	s_cmp_lg_u32 s3, 11
	s_mov_b32 s4, -1
	s_cselect_b32 s5, -1, 0
.LBB119_6077:
	s_delay_alu instid0(SALU_CYCLE_1)
	s_and_b32 vcc_lo, exec_lo, s5
	s_cbranch_vccnz .LBB119_6092
.LBB119_6078:
	s_mov_b32 s3, 0
	s_branch .LBB119_6080
.LBB119_6079:
	s_mov_b32 s3, 0
	s_mov_b32 s4, 0
                                        ; implicit-def: $vgpr38_vgpr39
                                        ; implicit-def: $sgpr0
.LBB119_6080:
	s_and_b32 s9, s3, exec_lo
	s_and_not1_b32 s3, s6, exec_lo
	s_and_b32 s2, s2, exec_lo
	s_and_b32 s8, s4, exec_lo
	s_or_b32 s6, s3, s2
.LBB119_6081:
	s_wait_xcnt 0x0
	s_or_b32 exec_lo, exec_lo, s7
	s_delay_alu instid0(SALU_CYCLE_1)
	s_and_not1_b32 s2, s20, exec_lo
	s_and_b32 s3, s6, exec_lo
	s_and_b32 s7, s9, exec_lo
	;; [unrolled: 1-line block ×3, first 2 shown]
	s_or_b32 s20, s2, s3
.LBB119_6082:
	s_or_b32 exec_lo, exec_lo, s29
	s_delay_alu instid0(SALU_CYCLE_1)
	s_and_not1_b32 s2, s27, exec_lo
	s_and_b32 s3, s20, exec_lo
	s_and_b32 s7, s7, exec_lo
	;; [unrolled: 1-line block ×3, first 2 shown]
	s_or_b32 s27, s2, s3
.LBB119_6083:
	s_or_b32 exec_lo, exec_lo, s28
	s_delay_alu instid0(SALU_CYCLE_1)
	s_and_not1_b32 s2, s25, exec_lo
	s_and_b32 s3, s27, exec_lo
	s_and_b32 s7, s7, exec_lo
	;; [unrolled: 1-line block ×3, first 2 shown]
	s_or_b32 s25, s2, s3
.LBB119_6084:
	s_or_b32 exec_lo, exec_lo, s26
	s_branch .LBB119_5747
.LBB119_6085:
	s_mov_b32 s4, 0
	s_mov_b32 s3, -1
	s_branch .LBB119_6080
.LBB119_6086:
	s_or_b32 s8, s20, exec_lo
	s_xor_b32 s7, exec_lo, -1
	s_trap 2
	s_branch .LBB119_5763
.LBB119_6087:
	s_or_b32 s2, s6, exec_lo
	s_trap 2
	s_cbranch_execz .LBB119_5811
	s_branch .LBB119_5812
.LBB119_6088:
	s_or_b32 s2, s2, exec_lo
	s_trap 2
	s_cbranch_execz .LBB119_5901
	s_branch .LBB119_5902
.LBB119_6089:
	s_or_b32 s25, s25, exec_lo
	s_trap 2
                                        ; implicit-def: $vgpr16
                                        ; implicit-def: $vgpr12
                                        ; implicit-def: $vgpr10
                                        ; implicit-def: $vgpr14
                                        ; implicit-def: $vgpr5
                                        ; implicit-def: $vgpr6
                                        ; implicit-def: $vgpr4
                                        ; implicit-def: $vgpr2
                                        ; implicit-def: $vgpr0
                                        ; implicit-def: $vgpr1
                                        ; implicit-def: $vgpr3
	s_branch .LBB119_5739
.LBB119_6090:
	s_or_b32 s2, s2, exec_lo
	s_trap 2
	s_cbranch_execz .LBB119_5990
	s_branch .LBB119_5991
.LBB119_6091:
	s_or_b32 s27, s25, exec_lo
	s_trap 2
                                        ; implicit-def: $vgpr12
                                        ; implicit-def: $vgpr10
                                        ; implicit-def: $vgpr14
                                        ; implicit-def: $vgpr5
                                        ; implicit-def: $vgpr6
                                        ; implicit-def: $vgpr4
                                        ; implicit-def: $vgpr2
                                        ; implicit-def: $vgpr0
                                        ; implicit-def: $vgpr1
	s_or_saveexec_b32 s28, s0
                                        ; implicit-def: $vgpr38_vgpr39
                                        ; implicit-def: $sgpr0
	s_delay_alu instid0(SALU_CYCLE_1)
	s_xor_b32 exec_lo, exec_lo, s28
	s_cbranch_execz .LBB119_6083
	s_branch .LBB119_5742
.LBB119_6092:
	s_mov_b32 s4, 0
	s_or_b32 s2, s2, exec_lo
	s_trap 2
	s_branch .LBB119_6078
.LBB119_6093:
	s_or_b32 s20, s27, exec_lo
	s_trap 2
                                        ; implicit-def: $vgpr10
                                        ; implicit-def: $vgpr12
                                        ; implicit-def: $vgpr5
                                        ; implicit-def: $vgpr0
                                        ; implicit-def: $vgpr6
                                        ; implicit-def: $vgpr4
                                        ; implicit-def: $vgpr14
                                        ; implicit-def: $vgpr2
	s_or_saveexec_b32 s29, s0
	s_mov_b32 s6, 0
                                        ; implicit-def: $vgpr38_vgpr39
                                        ; implicit-def: $sgpr0
	s_xor_b32 exec_lo, exec_lo, s29
	s_cbranch_execz .LBB119_6082
	s_branch .LBB119_5744
	.section	.rodata,"a",@progbits
	.p2align	6, 0x0
	.amdhsa_kernel _ZN2at6native32elementwise_kernel_manual_unrollILi128ELi4EZNS0_15gpu_kernel_implIZZZNS0_12_GLOBAL__N_142_validate_compressed_sparse_indices_kernelILNS3_8CDimNameE1ENS3_18CUDAKernelLauncherENS3_14EmptyVecKernelENS3_8DummyVecELm0EEEvRKNS_6TensorESB_lllENKUlvE1_clEvENKUlvE_clEvEUliiiiiE_EEvRNS_18TensorIteratorBaseERKT_EUlibE0_EEviT1_
		.amdhsa_group_segment_fixed_size 0
		.amdhsa_private_segment_fixed_size 0
		.amdhsa_kernarg_size 704
		.amdhsa_user_sgpr_count 2
		.amdhsa_user_sgpr_dispatch_ptr 0
		.amdhsa_user_sgpr_queue_ptr 0
		.amdhsa_user_sgpr_kernarg_segment_ptr 1
		.amdhsa_user_sgpr_dispatch_id 0
		.amdhsa_user_sgpr_kernarg_preload_length 0
		.amdhsa_user_sgpr_kernarg_preload_offset 0
		.amdhsa_user_sgpr_private_segment_size 0
		.amdhsa_wavefront_size32 1
		.amdhsa_uses_dynamic_stack 0
		.amdhsa_enable_private_segment 0
		.amdhsa_system_sgpr_workgroup_id_x 1
		.amdhsa_system_sgpr_workgroup_id_y 0
		.amdhsa_system_sgpr_workgroup_id_z 0
		.amdhsa_system_sgpr_workgroup_info 0
		.amdhsa_system_vgpr_workitem_id 0
		.amdhsa_next_free_vgpr 62
		.amdhsa_next_free_sgpr 105
		.amdhsa_named_barrier_count 0
		.amdhsa_reserve_vcc 1
		.amdhsa_float_round_mode_32 0
		.amdhsa_float_round_mode_16_64 0
		.amdhsa_float_denorm_mode_32 3
		.amdhsa_float_denorm_mode_16_64 3
		.amdhsa_fp16_overflow 0
		.amdhsa_memory_ordered 1
		.amdhsa_forward_progress 1
		.amdhsa_inst_pref_size 255
		.amdhsa_round_robin_scheduling 0
		.amdhsa_exception_fp_ieee_invalid_op 0
		.amdhsa_exception_fp_denorm_src 0
		.amdhsa_exception_fp_ieee_div_zero 0
		.amdhsa_exception_fp_ieee_overflow 0
		.amdhsa_exception_fp_ieee_underflow 0
		.amdhsa_exception_fp_ieee_inexact 0
		.amdhsa_exception_int_div_zero 0
	.end_amdhsa_kernel
	.section	.text._ZN2at6native32elementwise_kernel_manual_unrollILi128ELi4EZNS0_15gpu_kernel_implIZZZNS0_12_GLOBAL__N_142_validate_compressed_sparse_indices_kernelILNS3_8CDimNameE1ENS3_18CUDAKernelLauncherENS3_14EmptyVecKernelENS3_8DummyVecELm0EEEvRKNS_6TensorESB_lllENKUlvE1_clEvENKUlvE_clEvEUliiiiiE_EEvRNS_18TensorIteratorBaseERKT_EUlibE0_EEviT1_,"axG",@progbits,_ZN2at6native32elementwise_kernel_manual_unrollILi128ELi4EZNS0_15gpu_kernel_implIZZZNS0_12_GLOBAL__N_142_validate_compressed_sparse_indices_kernelILNS3_8CDimNameE1ENS3_18CUDAKernelLauncherENS3_14EmptyVecKernelENS3_8DummyVecELm0EEEvRKNS_6TensorESB_lllENKUlvE1_clEvENKUlvE_clEvEUliiiiiE_EEvRNS_18TensorIteratorBaseERKT_EUlibE0_EEviT1_,comdat
.Lfunc_end119:
	.size	_ZN2at6native32elementwise_kernel_manual_unrollILi128ELi4EZNS0_15gpu_kernel_implIZZZNS0_12_GLOBAL__N_142_validate_compressed_sparse_indices_kernelILNS3_8CDimNameE1ENS3_18CUDAKernelLauncherENS3_14EmptyVecKernelENS3_8DummyVecELm0EEEvRKNS_6TensorESB_lllENKUlvE1_clEvENKUlvE_clEvEUliiiiiE_EEvRNS_18TensorIteratorBaseERKT_EUlibE0_EEviT1_, .Lfunc_end119-_ZN2at6native32elementwise_kernel_manual_unrollILi128ELi4EZNS0_15gpu_kernel_implIZZZNS0_12_GLOBAL__N_142_validate_compressed_sparse_indices_kernelILNS3_8CDimNameE1ENS3_18CUDAKernelLauncherENS3_14EmptyVecKernelENS3_8DummyVecELm0EEEvRKNS_6TensorESB_lllENKUlvE1_clEvENKUlvE_clEvEUliiiiiE_EEvRNS_18TensorIteratorBaseERKT_EUlibE0_EEviT1_
                                        ; -- End function
	.set _ZN2at6native32elementwise_kernel_manual_unrollILi128ELi4EZNS0_15gpu_kernel_implIZZZNS0_12_GLOBAL__N_142_validate_compressed_sparse_indices_kernelILNS3_8CDimNameE1ENS3_18CUDAKernelLauncherENS3_14EmptyVecKernelENS3_8DummyVecELm0EEEvRKNS_6TensorESB_lllENKUlvE1_clEvENKUlvE_clEvEUliiiiiE_EEvRNS_18TensorIteratorBaseERKT_EUlibE0_EEviT1_.num_vgpr, 62
	.set _ZN2at6native32elementwise_kernel_manual_unrollILi128ELi4EZNS0_15gpu_kernel_implIZZZNS0_12_GLOBAL__N_142_validate_compressed_sparse_indices_kernelILNS3_8CDimNameE1ENS3_18CUDAKernelLauncherENS3_14EmptyVecKernelENS3_8DummyVecELm0EEEvRKNS_6TensorESB_lllENKUlvE1_clEvENKUlvE_clEvEUliiiiiE_EEvRNS_18TensorIteratorBaseERKT_EUlibE0_EEviT1_.num_agpr, 0
	.set _ZN2at6native32elementwise_kernel_manual_unrollILi128ELi4EZNS0_15gpu_kernel_implIZZZNS0_12_GLOBAL__N_142_validate_compressed_sparse_indices_kernelILNS3_8CDimNameE1ENS3_18CUDAKernelLauncherENS3_14EmptyVecKernelENS3_8DummyVecELm0EEEvRKNS_6TensorESB_lllENKUlvE1_clEvENKUlvE_clEvEUliiiiiE_EEvRNS_18TensorIteratorBaseERKT_EUlibE0_EEviT1_.numbered_sgpr, 105
	.set _ZN2at6native32elementwise_kernel_manual_unrollILi128ELi4EZNS0_15gpu_kernel_implIZZZNS0_12_GLOBAL__N_142_validate_compressed_sparse_indices_kernelILNS3_8CDimNameE1ENS3_18CUDAKernelLauncherENS3_14EmptyVecKernelENS3_8DummyVecELm0EEEvRKNS_6TensorESB_lllENKUlvE1_clEvENKUlvE_clEvEUliiiiiE_EEvRNS_18TensorIteratorBaseERKT_EUlibE0_EEviT1_.num_named_barrier, 0
	.set _ZN2at6native32elementwise_kernel_manual_unrollILi128ELi4EZNS0_15gpu_kernel_implIZZZNS0_12_GLOBAL__N_142_validate_compressed_sparse_indices_kernelILNS3_8CDimNameE1ENS3_18CUDAKernelLauncherENS3_14EmptyVecKernelENS3_8DummyVecELm0EEEvRKNS_6TensorESB_lllENKUlvE1_clEvENKUlvE_clEvEUliiiiiE_EEvRNS_18TensorIteratorBaseERKT_EUlibE0_EEviT1_.private_seg_size, 0
	.set _ZN2at6native32elementwise_kernel_manual_unrollILi128ELi4EZNS0_15gpu_kernel_implIZZZNS0_12_GLOBAL__N_142_validate_compressed_sparse_indices_kernelILNS3_8CDimNameE1ENS3_18CUDAKernelLauncherENS3_14EmptyVecKernelENS3_8DummyVecELm0EEEvRKNS_6TensorESB_lllENKUlvE1_clEvENKUlvE_clEvEUliiiiiE_EEvRNS_18TensorIteratorBaseERKT_EUlibE0_EEviT1_.uses_vcc, 1
	.set _ZN2at6native32elementwise_kernel_manual_unrollILi128ELi4EZNS0_15gpu_kernel_implIZZZNS0_12_GLOBAL__N_142_validate_compressed_sparse_indices_kernelILNS3_8CDimNameE1ENS3_18CUDAKernelLauncherENS3_14EmptyVecKernelENS3_8DummyVecELm0EEEvRKNS_6TensorESB_lllENKUlvE1_clEvENKUlvE_clEvEUliiiiiE_EEvRNS_18TensorIteratorBaseERKT_EUlibE0_EEviT1_.uses_flat_scratch, 0
	.set _ZN2at6native32elementwise_kernel_manual_unrollILi128ELi4EZNS0_15gpu_kernel_implIZZZNS0_12_GLOBAL__N_142_validate_compressed_sparse_indices_kernelILNS3_8CDimNameE1ENS3_18CUDAKernelLauncherENS3_14EmptyVecKernelENS3_8DummyVecELm0EEEvRKNS_6TensorESB_lllENKUlvE1_clEvENKUlvE_clEvEUliiiiiE_EEvRNS_18TensorIteratorBaseERKT_EUlibE0_EEviT1_.has_dyn_sized_stack, 0
	.set _ZN2at6native32elementwise_kernel_manual_unrollILi128ELi4EZNS0_15gpu_kernel_implIZZZNS0_12_GLOBAL__N_142_validate_compressed_sparse_indices_kernelILNS3_8CDimNameE1ENS3_18CUDAKernelLauncherENS3_14EmptyVecKernelENS3_8DummyVecELm0EEEvRKNS_6TensorESB_lllENKUlvE1_clEvENKUlvE_clEvEUliiiiiE_EEvRNS_18TensorIteratorBaseERKT_EUlibE0_EEviT1_.has_recursion, 0
	.set _ZN2at6native32elementwise_kernel_manual_unrollILi128ELi4EZNS0_15gpu_kernel_implIZZZNS0_12_GLOBAL__N_142_validate_compressed_sparse_indices_kernelILNS3_8CDimNameE1ENS3_18CUDAKernelLauncherENS3_14EmptyVecKernelENS3_8DummyVecELm0EEEvRKNS_6TensorESB_lllENKUlvE1_clEvENKUlvE_clEvEUliiiiiE_EEvRNS_18TensorIteratorBaseERKT_EUlibE0_EEviT1_.has_indirect_call, 0
	.section	.AMDGPU.csdata,"",@progbits
; Kernel info:
; codeLenInByte = 114412
; TotalNumSgprs: 107
; NumVgprs: 62
; ScratchSize: 0
; MemoryBound: 1
; FloatMode: 240
; IeeeMode: 1
; LDSByteSize: 0 bytes/workgroup (compile time only)
; SGPRBlocks: 0
; VGPRBlocks: 3
; NumSGPRsForWavesPerEU: 107
; NumVGPRsForWavesPerEU: 62
; NamedBarCnt: 0
; Occupancy: 16
; WaveLimiterHint : 1
; COMPUTE_PGM_RSRC2:SCRATCH_EN: 0
; COMPUTE_PGM_RSRC2:USER_SGPR: 2
; COMPUTE_PGM_RSRC2:TRAP_HANDLER: 0
; COMPUTE_PGM_RSRC2:TGID_X_EN: 1
; COMPUTE_PGM_RSRC2:TGID_Y_EN: 0
; COMPUTE_PGM_RSRC2:TGID_Z_EN: 0
; COMPUTE_PGM_RSRC2:TIDIG_COMP_CNT: 0
	.section	.text._ZN2at6native29vectorized_elementwise_kernelILi16EZZZNS0_12_GLOBAL__N_142_validate_compressed_sparse_indices_kernelILNS2_8CDimNameE1ENS2_18CUDAKernelLauncherENS2_14EmptyVecKernelENS2_8DummyVecELm0EEEvRKNS_6TensorESA_lllENKUlvE1_clEvENKUlvE0_clEvEUllllllE_St5arrayIPcLm6EEEEviT0_T1_,"axG",@progbits,_ZN2at6native29vectorized_elementwise_kernelILi16EZZZNS0_12_GLOBAL__N_142_validate_compressed_sparse_indices_kernelILNS2_8CDimNameE1ENS2_18CUDAKernelLauncherENS2_14EmptyVecKernelENS2_8DummyVecELm0EEEvRKNS_6TensorESA_lllENKUlvE1_clEvENKUlvE0_clEvEUllllllE_St5arrayIPcLm6EEEEviT0_T1_,comdat
	.globl	_ZN2at6native29vectorized_elementwise_kernelILi16EZZZNS0_12_GLOBAL__N_142_validate_compressed_sparse_indices_kernelILNS2_8CDimNameE1ENS2_18CUDAKernelLauncherENS2_14EmptyVecKernelENS2_8DummyVecELm0EEEvRKNS_6TensorESA_lllENKUlvE1_clEvENKUlvE0_clEvEUllllllE_St5arrayIPcLm6EEEEviT0_T1_ ; -- Begin function _ZN2at6native29vectorized_elementwise_kernelILi16EZZZNS0_12_GLOBAL__N_142_validate_compressed_sparse_indices_kernelILNS2_8CDimNameE1ENS2_18CUDAKernelLauncherENS2_14EmptyVecKernelENS2_8DummyVecELm0EEEvRKNS_6TensorESA_lllENKUlvE1_clEvENKUlvE0_clEvEUllllllE_St5arrayIPcLm6EEEEviT0_T1_
	.p2align	8
	.type	_ZN2at6native29vectorized_elementwise_kernelILi16EZZZNS0_12_GLOBAL__N_142_validate_compressed_sparse_indices_kernelILNS2_8CDimNameE1ENS2_18CUDAKernelLauncherENS2_14EmptyVecKernelENS2_8DummyVecELm0EEEvRKNS_6TensorESA_lllENKUlvE1_clEvENKUlvE0_clEvEUllllllE_St5arrayIPcLm6EEEEviT0_T1_,@function
_ZN2at6native29vectorized_elementwise_kernelILi16EZZZNS0_12_GLOBAL__N_142_validate_compressed_sparse_indices_kernelILNS2_8CDimNameE1ENS2_18CUDAKernelLauncherENS2_14EmptyVecKernelENS2_8DummyVecELm0EEEvRKNS_6TensorESA_lllENKUlvE1_clEvENKUlvE0_clEvEUllllllE_St5arrayIPcLm6EEEEviT0_T1_: ; @_ZN2at6native29vectorized_elementwise_kernelILi16EZZZNS0_12_GLOBAL__N_142_validate_compressed_sparse_indices_kernelILNS2_8CDimNameE1ENS2_18CUDAKernelLauncherENS2_14EmptyVecKernelENS2_8DummyVecELm0EEEvRKNS_6TensorESA_lllENKUlvE1_clEvENKUlvE0_clEvEUllllllE_St5arrayIPcLm6EEEEviT0_T1_
; %bb.0:
	s_clause 0x3
	s_load_b32 s3, s[0:1], 0x0
	s_load_b512 s[4:19], s[0:1], 0x8
	s_load_b64 s[28:29], s[0:1], 0x68
	s_load_b256 s[20:27], s[0:1], 0x48
	s_wait_xcnt 0x0
	s_bfe_u32 s0, ttmp6, 0x4000c
	s_and_b32 s1, ttmp6, 15
	s_add_co_i32 s0, s0, 1
	s_getreg_b32 s2, hwreg(HW_REG_IB_STS2, 6, 4)
	s_mul_i32 s0, ttmp9, s0
	s_mov_b32 s33, 0
	s_add_co_i32 s1, s1, s0
	s_cmp_eq_u32 s2, 0
	s_get_pc_i64 s[30:31]
	s_add_nc_u64 s[30:31], s[30:31], .str.6@rel64+4
	s_cselect_b32 s0, ttmp9, s1
	s_delay_alu instid0(SALU_CYCLE_1)
	s_lshl_b32 s2, s0, 10
	s_mov_b32 s0, -1
	s_wait_kmcnt 0x0
	s_sub_co_i32 s11, s3, s2
	s_mov_b32 s3, 0
	s_cmp_gt_i32 s11, 0x3ff
	s_cbranch_scc0 .LBB120_77
; %bb.1:
	s_cmp_eq_u64 s[30:31], 0
	s_cselect_b32 s0, -1, 0
	s_cmp_lg_u64 s[30:31], 0
	s_cbranch_scc0 .LBB120_75
; %bb.2:
	s_ashr_i32 s3, s2, 31
	v_lshlrev_b32_e32 v36, 5, v0
	s_lshl_b64 s[34:35], s[2:3], 3
	s_mov_b32 s0, -1
	s_add_nc_u64 s[38:39], s[20:21], s[34:35]
	s_mov_b32 s3, 0
	global_load_b64 v[2:3], v36, s[38:39]
	s_mov_b32 s50, exec_lo
	s_wait_loadcnt 0x0
	v_cmpx_eq_u64_e64 s[4:5], v[2:3]
	s_cbranch_execz .LBB120_74
; %bb.3:
	s_add_nc_u64 s[0:1], s[22:23], s[34:35]
	s_get_pc_i64 s[36:37]
	s_add_nc_u64 s[36:37], s[36:37], .str.7@rel64+4
	s_clause 0x1
	global_load_b128 v[32:35], v36, s[0:1]
	global_load_b128 v[26:29], v36, s[0:1] offset:16
	s_cmp_lg_u64 s[36:37], 0
	v_mov_b32_e32 v37, 0
	s_wait_xcnt 0x0
	s_cselect_b32 s1, -1, 0
	s_mov_b32 s40, -1
	s_mov_b32 s0, 0
	s_mov_b32 s37, 0
	;; [unrolled: 1-line block ×3, first 2 shown]
                                        ; implicit-def: $sgpr51
                                        ; implicit-def: $sgpr52
                                        ; implicit-def: $sgpr36
                                        ; implicit-def: $sgpr55
                                        ; implicit-def: $vgpr18_vgpr19_vgpr20_vgpr21_vgpr22_vgpr23_vgpr24_vgpr25
                                        ; implicit-def: $vgpr2_vgpr3_vgpr4_vgpr5_vgpr6_vgpr7_vgpr8_vgpr9
                                        ; implicit-def: $vgpr10_vgpr11_vgpr12_vgpr13_vgpr14_vgpr15_vgpr16_vgpr17
	s_wait_loadcnt 0x1
	v_cmp_eq_u64_e32 vcc_lo, s[8:9], v[32:33]
	s_and_b32 s41, s1, vcc_lo
	s_mov_b32 s1, 0
	s_and_saveexec_b32 s53, s41
	s_cbranch_execz .LBB120_66
; %bb.4:
	s_add_nc_u64 s[0:1], s[26:27], s[34:35]
	s_add_nc_u64 s[36:37], s[24:25], s[34:35]
	s_clause 0x3
	global_load_b128 v[10:13], v36, s[0:1]
	global_load_b128 v[30:33], v36, s[36:37]
	global_load_b128 v[14:17], v36, s[36:37] offset:16
	global_load_b128 v[6:9], v36, s[0:1] offset:16
	s_get_pc_i64 s[42:43]
	s_add_nc_u64 s[42:43], s[42:43], .str.8@rel64+4
	s_wait_xcnt 0x1
	s_mov_b32 s37, -1
	s_cmp_lg_u64 s[42:43], 0
	s_mov_b32 s40, 0
	s_wait_xcnt 0x0
	s_cselect_b32 s1, -1, 0
	s_mov_b32 s41, 0
	s_mov_b32 s42, 0
                                        ; implicit-def: $sgpr51
                                        ; implicit-def: $sgpr52
                                        ; implicit-def: $sgpr36
                                        ; implicit-def: $vgpr18_vgpr19_vgpr20_vgpr21_vgpr22_vgpr23_vgpr24_vgpr25
	s_wait_loadcnt 0x2
	v_sub_nc_u64_e32 v[2:3], v[10:11], v[30:31]
	s_delay_alu instid0(VALU_DEP_1) | instskip(SKIP_2) | instid1(SALU_CYCLE_1)
	v_cmp_le_i64_e32 vcc_lo, s[4:5], v[2:3]
	v_cmp_ge_i64_e64 s0, s[6:7], v[2:3]
	s_and_b32 s0, vcc_lo, s0
	s_and_b32 s0, s1, s0
	s_mov_b32 s1, 0
	s_and_saveexec_b32 s54, s0
	s_cbranch_execz .LBB120_65
; %bb.5:
	v_add_nc_u64_e32 v[40:41], s[38:39], v[36:37]
	s_add_nc_u64 s[0:1], s[28:29], s[34:35]
	s_add_co_i32 s36, s10, -1
	s_clause 0x1
	global_load_b64 v[38:39], v[40:41], off offset:24
	global_load_b128 v[2:5], v[40:41], off offset:8
	s_clause 0x1
	global_load_b128 v[22:25], v36, s[0:1] offset:16
	global_load_b128 v[18:21], v36, s[0:1]
	s_wait_xcnt 0x0
	v_cmp_gt_i64_e64 s0, s[8:9], 0
	s_cmp_gt_i32 s36, -1
	v_mov_b64_e32 v[40:41], 0
	s_cselect_b32 s1, -1, 0
	s_delay_alu instid0(SALU_CYCLE_1) | instskip(NEXT) | instid1(SALU_CYCLE_1)
	s_and_b32 s52, s0, s1
	s_and_not1_b32 vcc_lo, exec_lo, s52
	s_cbranch_vccnz .LBB120_12
; %bb.6:
	s_wait_loadcnt 0x0
	v_mul_u64_e32 v[42:43], s[8:9], v[18:19]
	s_mov_b32 s1, 0
	v_mov_b64_e32 v[40:41], 0
	s_mov_b32 s37, s1
	v_mov_b32_e32 v18, 0
	s_lshl_b64 s[42:43], s[36:37], 3
	s_mov_b64 s[38:39], 0xffffffff
	s_add_nc_u64 s[40:41], s[12:13], s[42:43]
	s_add_nc_u64 s[42:43], s[14:15], s[42:43]
	s_mov_b32 s37, s10
	s_branch .LBB120_8
.LBB120_7:                              ;   in Loop: Header=BB120_8 Depth=1
	s_or_b32 exec_lo, exec_lo, s0
	s_delay_alu instid0(VALU_DEP_1)
	v_mul_u64_e32 v[46:47], s[44:45], v[44:45]
	s_load_b64 s[44:45], s[42:43], 0x0
	s_add_co_i32 s37, s37, -1
	s_add_nc_u64 s[40:41], s[40:41], -8
	s_cmp_eq_u32 s37, 0
	s_wait_xcnt 0x0
	s_add_nc_u64 s[42:43], s[42:43], -8
	s_delay_alu instid0(VALU_DEP_1) | instskip(SKIP_1) | instid1(VALU_DEP_1)
	v_sub_nc_u64_e32 v[42:43], v[42:43], v[46:47]
	s_wait_kmcnt 0x0
	v_mad_nc_u64_u32 v[40:41], v42, s44, v[40:41]
	s_delay_alu instid0(VALU_DEP_1) | instskip(NEXT) | instid1(VALU_DEP_1)
	v_mad_u32 v1, v43, s44, v41
	v_mad_u32 v41, v42, s45, v1
	v_mov_b64_e32 v[42:43], v[44:45]
	s_cbranch_scc1 .LBB120_12
.LBB120_8:                              ; =>This Inner Loop Header: Depth=1
	s_load_b64 s[44:45], s[40:41], 0x0
                                        ; implicit-def: $vgpr44_vgpr45
	s_mov_b32 s0, exec_lo
	s_wait_kmcnt 0x0
	s_delay_alu instid0(VALU_DEP_1) | instskip(NEXT) | instid1(VALU_DEP_1)
	v_or_b32_e32 v19, s45, v43
	v_cmpx_ne_u64_e32 0, v[18:19]
	s_xor_b32 s51, exec_lo, s0
	s_cbranch_execz .LBB120_10
; %bb.9:                                ;   in Loop: Header=BB120_8 Depth=1
	s_ashr_i32 s46, s45, 31
	v_dual_mov_b32 v49, v18 :: v_dual_ashrrev_i32 v44, 31, v43
	s_mov_b32 s47, s46
	s_delay_alu instid0(SALU_CYCLE_1) | instskip(NEXT) | instid1(VALU_DEP_1)
	s_add_nc_u64 s[48:49], s[44:45], s[46:47]
	v_mov_b32_e32 v45, v44
	s_xor_b64 s[48:49], s[48:49], s[46:47]
	s_delay_alu instid0(SALU_CYCLE_1)
	s_cvt_f32_u32 s0, s48
	s_cvt_f32_u32 s47, s49
	s_sub_nc_u64 s[58:59], 0, s[48:49]
	v_add_nc_u64_e32 v[46:47], v[42:43], v[44:45]
	v_mov_b32_e32 v53, v18
	s_fmamk_f32 s0, s47, 0x4f800000, s0
	s_delay_alu instid0(SALU_CYCLE_3) | instskip(NEXT) | instid1(VALU_DEP_2)
	v_s_rcp_f32 s0, s0
	v_xor_b32_e32 v48, v46, v44
	s_delay_alu instid0(VALU_DEP_3) | instskip(NEXT) | instid1(TRANS32_DEP_1)
	v_dual_mov_b32 v57, v18 :: v_dual_bitop2_b32 v52, v47, v44 bitop3:0x14
	s_mul_f32 s0, s0, 0x5f7ffffc
	s_delay_alu instid0(SALU_CYCLE_3) | instskip(NEXT) | instid1(SALU_CYCLE_3)
	s_mul_f32 s47, s0, 0x2f800000
	s_trunc_f32 s47, s47
	s_delay_alu instid0(SALU_CYCLE_3) | instskip(SKIP_1) | instid1(SALU_CYCLE_2)
	s_fmamk_f32 s0, s47, 0xcf800000, s0
	s_cvt_u32_f32 s57, s47
	s_cvt_u32_f32 s56, s0
	s_delay_alu instid0(SALU_CYCLE_3) | instskip(NEXT) | instid1(SALU_CYCLE_1)
	s_mul_u64 s[60:61], s[58:59], s[56:57]
	s_mul_hi_u32 s63, s56, s61
	s_mul_i32 s62, s56, s61
	s_mul_hi_u32 s0, s56, s60
	s_mul_i32 s55, s57, s60
	s_add_nc_u64 s[62:63], s[0:1], s[62:63]
	s_mul_hi_u32 s47, s57, s60
	s_mul_hi_u32 s64, s57, s61
	s_add_co_u32 s0, s62, s55
	s_add_co_ci_u32 s0, s63, s47
	s_mul_i32 s60, s57, s61
	s_add_co_ci_u32 s61, s64, 0
	s_delay_alu instid0(SALU_CYCLE_1) | instskip(NEXT) | instid1(SALU_CYCLE_1)
	s_add_nc_u64 s[60:61], s[0:1], s[60:61]
	s_add_co_u32 s56, s56, s60
	s_cselect_b32 s0, -1, 0
	s_delay_alu instid0(SALU_CYCLE_1) | instskip(SKIP_1) | instid1(SALU_CYCLE_1)
	s_cmp_lg_u32 s0, 0
	s_add_co_ci_u32 s57, s57, s61
	s_mul_u64 s[58:59], s[58:59], s[56:57]
	s_delay_alu instid0(SALU_CYCLE_1)
	s_mul_hi_u32 s61, s56, s59
	s_mul_i32 s60, s56, s59
	s_mul_hi_u32 s0, s56, s58
	s_mul_i32 s55, s57, s58
	s_add_nc_u64 s[60:61], s[0:1], s[60:61]
	s_mul_hi_u32 s47, s57, s58
	s_mul_hi_u32 s62, s57, s59
	s_add_co_u32 s0, s60, s55
	s_add_co_ci_u32 s0, s61, s47
	s_mul_i32 s58, s57, s59
	s_add_co_ci_u32 s59, s62, 0
	s_delay_alu instid0(SALU_CYCLE_1) | instskip(NEXT) | instid1(SALU_CYCLE_1)
	s_add_nc_u64 s[58:59], s[0:1], s[58:59]
	s_add_co_u32 s56, s56, s58
	s_cselect_b32 s0, -1, 0
	v_mul_hi_u32 v56, v48, s56
	s_cmp_lg_u32 s0, 0
	s_add_co_ci_u32 s0, s57, s59
	s_and_b64 s[58:59], s[56:57], s[38:39]
	v_mul_u64_e32 v[50:51], s[0:1], v[48:49]
	v_mul_u64_e32 v[46:47], s[58:59], v[52:53]
	;; [unrolled: 1-line block ×3, first 2 shown]
	s_delay_alu instid0(VALU_DEP_3) | instskip(NEXT) | instid1(VALU_DEP_1)
	v_add_nc_u64_e32 v[50:51], v[56:57], v[50:51]
	v_add_co_u32 v1, vcc_lo, v50, v46
	s_delay_alu instid0(VALU_DEP_2) | instskip(NEXT) | instid1(VALU_DEP_4)
	v_add_co_ci_u32_e32 v56, vcc_lo, v51, v47, vcc_lo
	v_add_co_ci_u32_e32 v55, vcc_lo, 0, v55, vcc_lo
	s_delay_alu instid0(VALU_DEP_1) | instskip(NEXT) | instid1(VALU_DEP_1)
	v_add_nc_u64_e32 v[46:47], v[56:57], v[54:55]
	v_mul_u64_e32 v[50:51], s[48:49], v[46:47]
	s_delay_alu instid0(VALU_DEP_1) | instskip(NEXT) | instid1(VALU_DEP_2)
	v_sub_nc_u32_e32 v1, v52, v51
	v_sub_co_u32 v19, vcc_lo, v48, v50
	s_delay_alu instid0(VALU_DEP_1) | instskip(NEXT) | instid1(VALU_DEP_3)
	v_sub_co_ci_u32_e64 v45, null, v52, v51, vcc_lo
	v_subrev_co_ci_u32_e64 v1, null, s49, v1, vcc_lo
	s_delay_alu instid0(VALU_DEP_3) | instskip(SKIP_1) | instid1(VALU_DEP_3)
	v_sub_co_u32 v37, s0, v19, s48
	v_add_nc_u64_e32 v[50:51], 1, v[46:47]
	v_subrev_co_ci_u32_e64 v1, null, 0, v1, s0
	s_delay_alu instid0(VALU_DEP_3) | instskip(SKIP_1) | instid1(VALU_DEP_3)
	v_cmp_le_u32_e32 vcc_lo, s48, v37
	v_cndmask_b32_e64 v37, 0, -1, vcc_lo
	v_cmp_le_u32_e32 vcc_lo, s49, v1
	v_cndmask_b32_e64 v48, 0, -1, vcc_lo
	;; [unrolled: 2-line block ×4, first 2 shown]
	v_cmp_eq_u32_e32 vcc_lo, s49, v1
	v_cndmask_b32_e32 v1, v48, v37, vcc_lo
	v_cmp_eq_u32_e32 vcc_lo, s49, v45
	v_add_nc_u64_e32 v[48:49], 2, v[46:47]
	v_cndmask_b32_e32 v19, v52, v19, vcc_lo
	s_delay_alu instid0(VALU_DEP_4) | instskip(NEXT) | instid1(VALU_DEP_3)
	v_cmp_ne_u32_e32 vcc_lo, 0, v1
	v_cndmask_b32_e32 v1, v51, v49, vcc_lo
	s_delay_alu instid0(VALU_DEP_3) | instskip(SKIP_1) | instid1(VALU_DEP_2)
	v_cmp_ne_u32_e64 s0, 0, v19
	v_cndmask_b32_e32 v19, v50, v48, vcc_lo
	v_dual_cndmask_b32 v1, v47, v1, s0 :: v_dual_bitop2_b32 v44, s46, v44 bitop3:0x14
	s_delay_alu instid0(VALU_DEP_1) | instskip(NEXT) | instid1(VALU_DEP_2)
	v_dual_cndmask_b32 v19, v46, v19, s0 :: v_dual_mov_b32 v45, v44
	v_xor_b32_e32 v47, v1, v44
	s_delay_alu instid0(VALU_DEP_2) | instskip(NEXT) | instid1(VALU_DEP_1)
	v_xor_b32_e32 v46, v19, v44
	v_sub_nc_u64_e32 v[44:45], v[46:47], v[44:45]
.LBB120_10:                             ;   in Loop: Header=BB120_8 Depth=1
	s_and_not1_saveexec_b32 s0, s51
	s_cbranch_execz .LBB120_7
; %bb.11:                               ;   in Loop: Header=BB120_8 Depth=1
	v_cvt_f32_u32_e32 v1, s44
	s_sub_co_i32 s46, 0, s44
	v_mov_b32_e32 v45, v18
	s_delay_alu instid0(VALU_DEP_2) | instskip(SKIP_1) | instid1(TRANS32_DEP_1)
	v_rcp_iflag_f32_e32 v1, v1
	v_nop
	v_mul_f32_e32 v1, 0x4f7ffffe, v1
	s_delay_alu instid0(VALU_DEP_1) | instskip(NEXT) | instid1(VALU_DEP_1)
	v_cvt_u32_f32_e32 v1, v1
	v_mul_lo_u32 v19, s46, v1
	s_delay_alu instid0(VALU_DEP_1) | instskip(NEXT) | instid1(VALU_DEP_1)
	v_mul_hi_u32 v19, v1, v19
	v_add_nc_u32_e32 v1, v1, v19
	s_delay_alu instid0(VALU_DEP_1) | instskip(NEXT) | instid1(VALU_DEP_1)
	v_mul_hi_u32 v1, v42, v1
	v_mul_lo_u32 v19, v1, s44
	s_delay_alu instid0(VALU_DEP_1) | instskip(NEXT) | instid1(VALU_DEP_1)
	v_sub_nc_u32_e32 v19, v42, v19
	v_subrev_nc_u32_e32 v44, s44, v19
	v_cmp_le_u32_e32 vcc_lo, s44, v19
	s_delay_alu instid0(VALU_DEP_2) | instskip(NEXT) | instid1(VALU_DEP_1)
	v_dual_add_nc_u32 v37, 1, v1 :: v_dual_cndmask_b32 v19, v19, v44, vcc_lo
	v_cndmask_b32_e32 v1, v1, v37, vcc_lo
	s_delay_alu instid0(VALU_DEP_2) | instskip(NEXT) | instid1(VALU_DEP_2)
	v_cmp_le_u32_e32 vcc_lo, s44, v19
	v_add_nc_u32_e32 v37, 1, v1
	s_delay_alu instid0(VALU_DEP_1)
	v_cndmask_b32_e32 v44, v1, v37, vcc_lo
	s_branch .LBB120_7
.LBB120_12:
	s_get_pc_i64 s[0:1]
	s_add_nc_u64 s[0:1], s[0:1], .str.9@rel64+4
	s_mov_b32 s37, -1
	s_cmp_lg_u64 s[0:1], 0
	s_mov_b32 s0, 0
	s_cselect_b32 s51, -1, 0
	s_mov_b32 s55, 0
	s_mov_b32 s1, exec_lo
	v_cmpx_gt_i64_e64 v[10:11], v[30:31]
	s_cbranch_execz .LBB120_18
; %bb.13:
	s_wait_loadcnt 0x0
	v_lshlrev_b64_e32 v[18:19], 3, v[40:41]
	s_mov_b32 s37, 0
	s_xor_b32 s39, s51, -1
                                        ; implicit-def: $sgpr38
                                        ; implicit-def: $sgpr41
                                        ; implicit-def: $sgpr40
	s_delay_alu instid0(VALU_DEP_1) | instskip(SKIP_1) | instid1(VALU_DEP_2)
	v_lshl_add_u64 v[30:31], v[30:31], 3, v[18:19]
	v_add_nc_u64_e32 v[40:41], s[16:17], v[18:19]
	v_add_nc_u64_e32 v[30:31], s[16:17], v[30:31]
	s_delay_alu instid0(VALU_DEP_2) | instskip(NEXT) | instid1(VALU_DEP_2)
	v_lshl_add_u64 v[10:11], v[10:11], 3, v[40:41]
	v_add_nc_u64_e32 v[18:19], 8, v[30:31]
	s_branch .LBB120_15
.LBB120_14:                             ;   in Loop: Header=BB120_15 Depth=1
	s_or_b32 exec_lo, exec_lo, s42
	s_delay_alu instid0(SALU_CYCLE_1) | instskip(NEXT) | instid1(SALU_CYCLE_1)
	s_and_b32 s42, exec_lo, s41
	s_or_b32 s37, s42, s37
	s_and_not1_b32 s38, s38, exec_lo
	s_and_b32 s42, s40, exec_lo
	s_delay_alu instid0(SALU_CYCLE_1)
	s_or_b32 s38, s38, s42
	s_and_not1_b32 exec_lo, exec_lo, s37
	s_cbranch_execz .LBB120_17
.LBB120_15:                             ; =>This Inner Loop Header: Depth=1
	s_or_b32 s40, s40, exec_lo
	s_or_b32 s41, s41, exec_lo
	s_mov_b32 s42, exec_lo
	s_delay_alu instid0(VALU_DEP_1)
	v_cmpx_lt_u64_e64 v[18:19], v[10:11]
	s_cbranch_execz .LBB120_14
; %bb.16:                               ;   in Loop: Header=BB120_15 Depth=1
	global_load_b128 v[40:43], v[18:19], off offset:-8
	s_wait_xcnt 0x0
	v_add_nc_u64_e32 v[18:19], 8, v[18:19]
	s_and_not1_b32 s41, s41, exec_lo
	s_and_not1_b32 s40, s40, exec_lo
	s_wait_loadcnt 0x0
	v_cmp_ge_i64_e32 vcc_lo, v[40:41], v[42:43]
	s_or_b32 s43, s39, vcc_lo
	s_delay_alu instid0(SALU_CYCLE_1) | instskip(NEXT) | instid1(SALU_CYCLE_1)
	s_and_b32 s43, s43, exec_lo
	s_or_b32 s41, s41, s43
	s_branch .LBB120_14
.LBB120_17:
	s_or_b32 exec_lo, exec_lo, s37
	s_delay_alu instid0(SALU_CYCLE_1)
	s_mov_b32 s55, exec_lo
	s_or_not1_b32 s37, s38, exec_lo
.LBB120_18:
	s_or_b32 exec_lo, exec_lo, s1
	s_mov_b32 s38, 0
	s_mov_b32 s39, 0
	;; [unrolled: 1-line block ×3, first 2 shown]
	s_and_saveexec_b32 s56, s37
	s_cbranch_execz .LBB120_64
; %bb.19:
	s_mov_b32 s0, 0
	s_mov_b32 s1, -1
	s_mov_b32 s37, 0
	s_mov_b32 s57, exec_lo
	s_wait_loadcnt 0x2
	v_cmpx_eq_u64_e64 s[4:5], v[2:3]
	s_cbranch_execz .LBB120_63
; %bb.20:
	s_mov_b32 s0, -1
	s_mov_b32 s40, 0
	s_mov_b32 s41, 0
	s_mov_b32 s58, exec_lo
	v_cmpx_eq_u64_e64 s[8:9], v[34:35]
	s_cbranch_execz .LBB120_62
; %bb.21:
	v_sub_nc_u64_e32 v[2:3], v[12:13], v[32:33]
	s_mov_b32 s37, -1
	s_mov_b32 s1, 0
	s_delay_alu instid0(VALU_DEP_1) | instskip(SKIP_2) | instid1(SALU_CYCLE_1)
	v_cmp_le_i64_e32 vcc_lo, s[4:5], v[2:3]
	v_cmp_ge_i64_e64 s0, s[6:7], v[2:3]
	s_and_b32 s0, vcc_lo, s0
	s_and_saveexec_b32 s59, s0
	s_cbranch_execz .LBB120_61
; %bb.22:
	v_mov_b64_e32 v[2:3], 0
	s_and_not1_b32 vcc_lo, exec_lo, s52
	s_cbranch_vccnz .LBB120_29
; %bb.23:
	s_wait_loadcnt 0x0
	v_mul_u64_e32 v[18:19], s[8:9], v[20:21]
	v_mov_b64_e32 v[2:3], 0
	s_mov_b32 s37, s1
	v_mov_b32_e32 v10, 0
	s_lshl_b64 s[42:43], s[36:37], 3
	s_mov_b64 s[38:39], 0xffffffff
	s_add_nc_u64 s[40:41], s[12:13], s[42:43]
	s_add_nc_u64 s[42:43], s[14:15], s[42:43]
	s_mov_b32 s37, s10
	s_branch .LBB120_25
.LBB120_24:                             ;   in Loop: Header=BB120_25 Depth=1
	s_or_b32 exec_lo, exec_lo, s0
	s_delay_alu instid0(VALU_DEP_1)
	v_mul_u64_e32 v[30:31], s[44:45], v[20:21]
	s_load_b64 s[44:45], s[42:43], 0x0
	s_add_co_i32 s37, s37, -1
	s_add_nc_u64 s[40:41], s[40:41], -8
	s_cmp_lg_u32 s37, 0
	s_wait_xcnt 0x0
	s_add_nc_u64 s[42:43], s[42:43], -8
	s_delay_alu instid0(VALU_DEP_1) | instskip(SKIP_1) | instid1(VALU_DEP_1)
	v_sub_nc_u64_e32 v[18:19], v[18:19], v[30:31]
	s_wait_kmcnt 0x0
	v_mad_nc_u64_u32 v[2:3], v18, s44, v[2:3]
	s_delay_alu instid0(VALU_DEP_1) | instskip(NEXT) | instid1(VALU_DEP_1)
	v_mad_u32 v1, v19, s44, v3
	v_mad_u32 v3, v18, s45, v1
	v_mov_b64_e32 v[18:19], v[20:21]
	s_cbranch_scc0 .LBB120_29
.LBB120_25:                             ; =>This Inner Loop Header: Depth=1
	s_load_b64 s[44:45], s[40:41], 0x0
                                        ; implicit-def: $vgpr20_vgpr21
	s_mov_b32 s0, exec_lo
	s_wait_kmcnt 0x0
	s_delay_alu instid0(VALU_DEP_1) | instskip(NEXT) | instid1(VALU_DEP_1)
	v_or_b32_e32 v11, s45, v19
	v_cmpx_ne_u64_e32 0, v[10:11]
	s_xor_b32 s60, exec_lo, s0
	s_cbranch_execz .LBB120_27
; %bb.26:                               ;   in Loop: Header=BB120_25 Depth=1
	s_ashr_i32 s46, s45, 31
	v_dual_mov_b32 v35, v10 :: v_dual_ashrrev_i32 v20, 31, v19
	s_mov_b32 s47, s46
	v_mov_b32_e32 v47, v10
	s_add_nc_u64 s[48:49], s[44:45], s[46:47]
	s_delay_alu instid0(VALU_DEP_2) | instskip(SKIP_1) | instid1(SALU_CYCLE_1)
	v_mov_b32_e32 v21, v20
	s_xor_b64 s[48:49], s[48:49], s[46:47]
	s_cvt_f32_u32 s0, s48
	s_cvt_f32_u32 s47, s49
	s_sub_nc_u64 s[64:65], 0, s[48:49]
	v_add_nc_u64_e32 v[30:31], v[18:19], v[20:21]
	v_mov_b32_e32 v43, v10
	s_fmamk_f32 s0, s47, 0x4f800000, s0
	s_delay_alu instid0(SALU_CYCLE_3) | instskip(NEXT) | instid1(VALU_DEP_2)
	v_s_rcp_f32 s0, s0
	v_xor_b32_e32 v34, v30, v20
	s_delay_alu instid0(VALU_DEP_3) | instskip(NEXT) | instid1(TRANS32_DEP_1)
	v_xor_b32_e32 v42, v31, v20
	s_mul_f32 s0, s0, 0x5f7ffffc
	s_delay_alu instid0(SALU_CYCLE_3) | instskip(NEXT) | instid1(SALU_CYCLE_3)
	s_mul_f32 s47, s0, 0x2f800000
	s_trunc_f32 s47, s47
	s_delay_alu instid0(SALU_CYCLE_3) | instskip(SKIP_1) | instid1(SALU_CYCLE_2)
	s_fmamk_f32 s0, s47, 0xcf800000, s0
	s_cvt_u32_f32 s63, s47
	s_cvt_u32_f32 s62, s0
	s_delay_alu instid0(SALU_CYCLE_3) | instskip(NEXT) | instid1(SALU_CYCLE_1)
	s_mul_u64 s[66:67], s[64:65], s[62:63]
	s_mul_hi_u32 s69, s62, s67
	s_mul_i32 s68, s62, s67
	s_mul_hi_u32 s0, s62, s66
	s_mul_i32 s61, s63, s66
	s_add_nc_u64 s[68:69], s[0:1], s[68:69]
	s_mul_hi_u32 s47, s63, s66
	s_mul_hi_u32 s70, s63, s67
	s_add_co_u32 s0, s68, s61
	s_add_co_ci_u32 s0, s69, s47
	s_mul_i32 s66, s63, s67
	s_add_co_ci_u32 s67, s70, 0
	s_delay_alu instid0(SALU_CYCLE_1) | instskip(NEXT) | instid1(SALU_CYCLE_1)
	s_add_nc_u64 s[66:67], s[0:1], s[66:67]
	s_add_co_u32 s62, s62, s66
	s_cselect_b32 s0, -1, 0
	s_delay_alu instid0(SALU_CYCLE_1) | instskip(SKIP_1) | instid1(SALU_CYCLE_1)
	s_cmp_lg_u32 s0, 0
	s_add_co_ci_u32 s63, s63, s67
	s_mul_u64 s[64:65], s[64:65], s[62:63]
	s_delay_alu instid0(SALU_CYCLE_1)
	s_mul_hi_u32 s67, s62, s65
	s_mul_i32 s66, s62, s65
	s_mul_hi_u32 s0, s62, s64
	s_mul_i32 s61, s63, s64
	s_add_nc_u64 s[66:67], s[0:1], s[66:67]
	s_mul_hi_u32 s47, s63, s64
	s_mul_hi_u32 s68, s63, s65
	s_add_co_u32 s0, s66, s61
	s_add_co_ci_u32 s0, s67, s47
	s_mul_i32 s64, s63, s65
	s_add_co_ci_u32 s65, s68, 0
	s_delay_alu instid0(SALU_CYCLE_1) | instskip(NEXT) | instid1(SALU_CYCLE_1)
	s_add_nc_u64 s[64:65], s[0:1], s[64:65]
	s_add_co_u32 s62, s62, s64
	s_cselect_b32 s0, -1, 0
	v_mul_hi_u32 v46, v34, s62
	s_cmp_lg_u32 s0, 0
	s_add_co_ci_u32 s0, s63, s65
	s_and_b64 s[64:65], s[62:63], s[38:39]
	v_mul_u64_e32 v[40:41], s[0:1], v[34:35]
	v_mul_u64_e32 v[30:31], s[64:65], v[42:43]
	;; [unrolled: 1-line block ×3, first 2 shown]
	s_delay_alu instid0(VALU_DEP_3) | instskip(NEXT) | instid1(VALU_DEP_1)
	v_add_nc_u64_e32 v[40:41], v[46:47], v[40:41]
	v_add_co_u32 v1, vcc_lo, v40, v30
	s_delay_alu instid0(VALU_DEP_2) | instskip(NEXT) | instid1(VALU_DEP_4)
	v_add_co_ci_u32_e32 v46, vcc_lo, v41, v31, vcc_lo
	v_add_co_ci_u32_e32 v45, vcc_lo, 0, v45, vcc_lo
	s_delay_alu instid0(VALU_DEP_1) | instskip(NEXT) | instid1(VALU_DEP_1)
	v_add_nc_u64_e32 v[30:31], v[46:47], v[44:45]
	v_mul_u64_e32 v[40:41], s[48:49], v[30:31]
	s_delay_alu instid0(VALU_DEP_1) | instskip(NEXT) | instid1(VALU_DEP_2)
	v_sub_nc_u32_e32 v1, v42, v41
	v_sub_co_u32 v11, vcc_lo, v34, v40
	s_delay_alu instid0(VALU_DEP_1) | instskip(NEXT) | instid1(VALU_DEP_3)
	v_sub_co_ci_u32_e64 v37, null, v42, v41, vcc_lo
	v_subrev_co_ci_u32_e64 v1, null, s49, v1, vcc_lo
	s_delay_alu instid0(VALU_DEP_3) | instskip(SKIP_1) | instid1(VALU_DEP_3)
	v_sub_co_u32 v21, s0, v11, s48
	v_add_nc_u64_e32 v[40:41], 1, v[30:31]
	v_subrev_co_ci_u32_e64 v1, null, 0, v1, s0
	s_delay_alu instid0(VALU_DEP_3) | instskip(SKIP_1) | instid1(VALU_DEP_3)
	v_cmp_le_u32_e32 vcc_lo, s48, v21
	v_cndmask_b32_e64 v21, 0, -1, vcc_lo
	v_cmp_le_u32_e32 vcc_lo, s49, v1
	v_cndmask_b32_e64 v34, 0, -1, vcc_lo
	v_cmp_le_u32_e32 vcc_lo, s48, v11
	v_cndmask_b32_e64 v11, 0, -1, vcc_lo
	v_cmp_le_u32_e32 vcc_lo, s49, v37
	v_cndmask_b32_e64 v42, 0, -1, vcc_lo
	v_cmp_eq_u32_e32 vcc_lo, s49, v1
	v_cndmask_b32_e32 v1, v34, v21, vcc_lo
	v_cmp_eq_u32_e32 vcc_lo, s49, v37
	v_add_nc_u64_e32 v[34:35], 2, v[30:31]
	v_cndmask_b32_e32 v11, v42, v11, vcc_lo
	s_delay_alu instid0(VALU_DEP_4) | instskip(NEXT) | instid1(VALU_DEP_2)
	v_cmp_ne_u32_e32 vcc_lo, 0, v1
	v_cmp_ne_u32_e64 s0, 0, v11
	s_delay_alu instid0(VALU_DEP_4) | instskip(NEXT) | instid1(VALU_DEP_1)
	v_dual_cndmask_b32 v1, v41, v35, vcc_lo :: v_dual_cndmask_b32 v11, v40, v34, vcc_lo
	v_dual_cndmask_b32 v1, v31, v1, s0 :: v_dual_bitop2_b32 v20, s46, v20 bitop3:0x14
	s_delay_alu instid0(VALU_DEP_1) | instskip(NEXT) | instid1(VALU_DEP_2)
	v_dual_cndmask_b32 v11, v30, v11, s0 :: v_dual_mov_b32 v21, v20
	v_xor_b32_e32 v31, v1, v20
	s_delay_alu instid0(VALU_DEP_2) | instskip(NEXT) | instid1(VALU_DEP_1)
	v_xor_b32_e32 v30, v11, v20
	v_sub_nc_u64_e32 v[20:21], v[30:31], v[20:21]
.LBB120_27:                             ;   in Loop: Header=BB120_25 Depth=1
	s_and_not1_saveexec_b32 s0, s60
	s_cbranch_execz .LBB120_24
; %bb.28:                               ;   in Loop: Header=BB120_25 Depth=1
	v_cvt_f32_u32_e32 v1, s44
	s_sub_co_i32 s46, 0, s44
	s_delay_alu instid0(VALU_DEP_1) | instskip(SKIP_1) | instid1(TRANS32_DEP_1)
	v_rcp_iflag_f32_e32 v1, v1
	v_nop
	v_mul_f32_e32 v1, 0x4f7ffffe, v1
	s_delay_alu instid0(VALU_DEP_1) | instskip(NEXT) | instid1(VALU_DEP_1)
	v_cvt_u32_f32_e32 v1, v1
	v_mul_lo_u32 v11, s46, v1
	s_delay_alu instid0(VALU_DEP_1) | instskip(NEXT) | instid1(VALU_DEP_1)
	v_mul_hi_u32 v11, v1, v11
	v_add_nc_u32_e32 v1, v1, v11
	s_delay_alu instid0(VALU_DEP_1) | instskip(NEXT) | instid1(VALU_DEP_1)
	v_mul_hi_u32 v1, v18, v1
	v_mul_lo_u32 v11, v1, s44
	s_delay_alu instid0(VALU_DEP_1) | instskip(NEXT) | instid1(VALU_DEP_1)
	v_dual_add_nc_u32 v20, 1, v1 :: v_dual_sub_nc_u32 v11, v18, v11
	v_subrev_nc_u32_e32 v21, s44, v11
	v_cmp_le_u32_e32 vcc_lo, s44, v11
	s_delay_alu instid0(VALU_DEP_2) | instskip(NEXT) | instid1(VALU_DEP_4)
	v_dual_cndmask_b32 v11, v11, v21, vcc_lo :: v_dual_mov_b32 v21, v10
	v_cndmask_b32_e32 v1, v1, v20, vcc_lo
	s_delay_alu instid0(VALU_DEP_2) | instskip(NEXT) | instid1(VALU_DEP_2)
	v_cmp_le_u32_e32 vcc_lo, s44, v11
	v_add_nc_u32_e32 v20, 1, v1
	s_delay_alu instid0(VALU_DEP_1)
	v_cndmask_b32_e32 v20, v1, v20, vcc_lo
	s_branch .LBB120_24
.LBB120_29:
	s_mov_b32 s37, -1
	s_mov_b32 s0, 0
	s_mov_b32 s60, 0
	s_mov_b32 s1, exec_lo
	v_cmpx_gt_i64_e64 v[12:13], v[32:33]
	s_cbranch_execz .LBB120_35
; %bb.30:
	s_delay_alu instid0(VALU_DEP_2) | instskip(SKIP_2) | instid1(VALU_DEP_1)
	v_lshlrev_b64_e32 v[2:3], 3, v[2:3]
	s_mov_b32 s37, 0
	s_xor_b32 s39, s51, -1
                                        ; implicit-def: $sgpr38
                                        ; implicit-def: $sgpr41
                                        ; implicit-def: $sgpr40
	v_lshl_add_u64 v[10:11], v[32:33], 3, v[2:3]
	s_wait_loadcnt 0x0
	v_add_nc_u64_e32 v[18:19], s[16:17], v[2:3]
	s_delay_alu instid0(VALU_DEP_2) | instskip(NEXT) | instid1(VALU_DEP_1)
	v_add_nc_u64_e32 v[10:11], s[16:17], v[10:11]
	v_add_nc_u64_e32 v[2:3], 8, v[10:11]
	s_delay_alu instid0(VALU_DEP_3)
	v_lshl_add_u64 v[10:11], v[12:13], 3, v[18:19]
	s_branch .LBB120_32
.LBB120_31:                             ;   in Loop: Header=BB120_32 Depth=1
	s_or_b32 exec_lo, exec_lo, s42
	s_delay_alu instid0(SALU_CYCLE_1) | instskip(NEXT) | instid1(SALU_CYCLE_1)
	s_and_b32 s42, exec_lo, s41
	s_or_b32 s37, s42, s37
	s_and_not1_b32 s38, s38, exec_lo
	s_and_b32 s42, s40, exec_lo
	s_delay_alu instid0(SALU_CYCLE_1)
	s_or_b32 s38, s38, s42
	s_and_not1_b32 exec_lo, exec_lo, s37
	s_cbranch_execz .LBB120_34
.LBB120_32:                             ; =>This Inner Loop Header: Depth=1
	s_or_b32 s40, s40, exec_lo
	s_or_b32 s41, s41, exec_lo
	s_mov_b32 s42, exec_lo
	s_delay_alu instid0(VALU_DEP_2)
	v_cmpx_lt_u64_e64 v[2:3], v[10:11]
	s_cbranch_execz .LBB120_31
; %bb.33:                               ;   in Loop: Header=BB120_32 Depth=1
	global_load_b128 v[18:21], v[2:3], off offset:-8
	s_and_not1_b32 s41, s41, exec_lo
	s_wait_xcnt 0x0
	v_add_nc_u64_e32 v[2:3], 8, v[2:3]
	s_and_not1_b32 s40, s40, exec_lo
	s_wait_loadcnt 0x0
	v_cmp_ge_i64_e32 vcc_lo, v[18:19], v[20:21]
	s_or_b32 s43, s39, vcc_lo
	s_delay_alu instid0(SALU_CYCLE_1) | instskip(NEXT) | instid1(SALU_CYCLE_1)
	s_and_b32 s43, s43, exec_lo
	s_or_b32 s41, s41, s43
	s_branch .LBB120_31
.LBB120_34:
	s_or_b32 exec_lo, exec_lo, s37
	s_delay_alu instid0(SALU_CYCLE_1)
	s_mov_b32 s60, exec_lo
	s_or_not1_b32 s37, s38, exec_lo
.LBB120_35:
	s_or_b32 exec_lo, exec_lo, s1
	s_mov_b32 s1, 0
	s_mov_b32 s38, 0
	;; [unrolled: 1-line block ×3, first 2 shown]
	s_and_saveexec_b32 s61, s37
	s_cbranch_execz .LBB120_60
; %bb.36:
	s_mov_b32 s0, 0
	s_mov_b32 s1, -1
	s_mov_b32 s37, 0
	s_mov_b32 s62, exec_lo
	v_cmpx_eq_u64_e64 s[4:5], v[4:5]
	s_cbranch_execz .LBB120_59
; %bb.37:
	s_mov_b32 s0, -1
	s_mov_b32 s40, 0
	s_mov_b32 s41, 0
	s_mov_b32 s63, exec_lo
	v_cmpx_eq_u64_e64 s[8:9], v[26:27]
	s_cbranch_execz .LBB120_58
; %bb.38:
	v_sub_nc_u64_e32 v[2:3], v[6:7], v[14:15]
	s_mov_b32 s37, -1
	s_mov_b32 s1, 0
	s_delay_alu instid0(VALU_DEP_1) | instskip(SKIP_2) | instid1(SALU_CYCLE_1)
	v_cmp_le_i64_e32 vcc_lo, s[4:5], v[2:3]
	v_cmp_ge_i64_e64 s0, s[6:7], v[2:3]
	s_and_b32 s0, vcc_lo, s0
	s_and_saveexec_b32 s64, s0
	s_cbranch_execz .LBB120_57
; %bb.39:
	v_mov_b64_e32 v[2:3], 0
	s_and_not1_b32 vcc_lo, exec_lo, s52
	s_cbranch_vccnz .LBB120_46
; %bb.40:
	s_wait_loadcnt 0x1
	v_mul_u64_e32 v[10:11], s[8:9], v[22:23]
	v_mov_b64_e32 v[2:3], 0
	s_mov_b32 s37, s1
	v_mov_b32_e32 v4, 0
	s_lshl_b64 s[42:43], s[36:37], 3
	s_mov_b64 s[38:39], 0xffffffff
	s_add_nc_u64 s[40:41], s[12:13], s[42:43]
	s_add_nc_u64 s[42:43], s[14:15], s[42:43]
	s_mov_b32 s37, s10
	s_branch .LBB120_42
.LBB120_41:                             ;   in Loop: Header=BB120_42 Depth=1
	s_or_b32 exec_lo, exec_lo, s0
	s_wait_loadcnt 0x0
	s_delay_alu instid0(VALU_DEP_1)
	v_mul_u64_e32 v[18:19], s[44:45], v[12:13]
	s_load_b64 s[44:45], s[42:43], 0x0
	s_add_co_i32 s37, s37, -1
	s_add_nc_u64 s[40:41], s[40:41], -8
	s_cmp_lg_u32 s37, 0
	s_wait_xcnt 0x0
	s_add_nc_u64 s[42:43], s[42:43], -8
	s_delay_alu instid0(VALU_DEP_1) | instskip(SKIP_1) | instid1(VALU_DEP_1)
	v_sub_nc_u64_e32 v[10:11], v[10:11], v[18:19]
	s_wait_kmcnt 0x0
	v_mad_nc_u64_u32 v[2:3], v10, s44, v[2:3]
	s_delay_alu instid0(VALU_DEP_1) | instskip(NEXT) | instid1(VALU_DEP_1)
	v_mad_u32 v1, v11, s44, v3
	v_mad_u32 v3, v10, s45, v1
	v_mov_b64_e32 v[10:11], v[12:13]
	s_cbranch_scc0 .LBB120_46
.LBB120_42:                             ; =>This Inner Loop Header: Depth=1
	s_load_b64 s[44:45], s[40:41], 0x0
                                        ; implicit-def: $vgpr12_vgpr13
	s_mov_b32 s0, exec_lo
	s_wait_kmcnt 0x0
	s_delay_alu instid0(VALU_DEP_1) | instskip(NEXT) | instid1(VALU_DEP_1)
	v_or_b32_e32 v5, s45, v11
	v_cmpx_ne_u64_e32 0, v[4:5]
	s_xor_b32 s65, exec_lo, s0
	s_cbranch_execz .LBB120_44
; %bb.43:                               ;   in Loop: Header=BB120_42 Depth=1
	s_ashr_i32 s46, s45, 31
	s_wait_loadcnt 0x0
	v_dual_mov_b32 v21, v4 :: v_dual_ashrrev_i32 v12, 31, v11
	s_mov_b32 s47, s46
	s_delay_alu instid0(SALU_CYCLE_1) | instskip(NEXT) | instid1(VALU_DEP_1)
	s_add_nc_u64 s[48:49], s[44:45], s[46:47]
	v_mov_b32_e32 v13, v12
	s_xor_b64 s[48:49], s[48:49], s[46:47]
	s_delay_alu instid0(SALU_CYCLE_1)
	s_cvt_f32_u32 s0, s48
	s_cvt_f32_u32 s47, s49
	s_sub_nc_u64 s[68:69], 0, s[48:49]
	v_add_nc_u64_e32 v[18:19], v[10:11], v[12:13]
	v_mov_b32_e32 v27, v4
	s_fmamk_f32 s0, s47, 0x4f800000, s0
	s_delay_alu instid0(SALU_CYCLE_3) | instskip(NEXT) | instid1(VALU_DEP_2)
	v_s_rcp_f32 s0, s0
	v_xor_b32_e32 v20, v18, v12
	s_delay_alu instid0(VALU_DEP_3) | instskip(SKIP_1) | instid1(TRANS32_DEP_1)
	v_dual_mov_b32 v33, v4 :: v_dual_bitop2_b32 v26, v19, v12 bitop3:0x14
	v_xor_b32_e32 v12, s46, v12
	s_mul_f32 s0, s0, 0x5f7ffffc
	s_delay_alu instid0(SALU_CYCLE_3) | instskip(NEXT) | instid1(SALU_CYCLE_3)
	s_mul_f32 s47, s0, 0x2f800000
	s_trunc_f32 s47, s47
	s_delay_alu instid0(SALU_CYCLE_3) | instskip(SKIP_1) | instid1(SALU_CYCLE_2)
	s_fmamk_f32 s0, s47, 0xcf800000, s0
	s_cvt_u32_f32 s67, s47
	s_cvt_u32_f32 s66, s0
	s_delay_alu instid0(SALU_CYCLE_3) | instskip(NEXT) | instid1(SALU_CYCLE_1)
	s_mul_u64 s[70:71], s[68:69], s[66:67]
	s_mul_hi_u32 s73, s66, s71
	s_mul_i32 s72, s66, s71
	s_mul_hi_u32 s0, s66, s70
	s_mul_i32 s74, s67, s70
	s_add_nc_u64 s[72:73], s[0:1], s[72:73]
	s_mul_hi_u32 s47, s67, s70
	s_mul_hi_u32 s75, s67, s71
	s_add_co_u32 s0, s72, s74
	s_add_co_ci_u32 s0, s73, s47
	s_mul_i32 s70, s67, s71
	s_add_co_ci_u32 s71, s75, 0
	s_delay_alu instid0(SALU_CYCLE_1) | instskip(NEXT) | instid1(SALU_CYCLE_1)
	s_add_nc_u64 s[70:71], s[0:1], s[70:71]
	s_add_co_u32 s66, s66, s70
	s_cselect_b32 s0, -1, 0
	s_delay_alu instid0(SALU_CYCLE_1) | instskip(SKIP_1) | instid1(SALU_CYCLE_1)
	s_cmp_lg_u32 s0, 0
	s_add_co_ci_u32 s67, s67, s71
	s_mul_u64 s[68:69], s[68:69], s[66:67]
	s_delay_alu instid0(SALU_CYCLE_1)
	s_mul_hi_u32 s71, s66, s69
	s_mul_i32 s70, s66, s69
	s_mul_hi_u32 s0, s66, s68
	s_mul_i32 s72, s67, s68
	s_add_nc_u64 s[70:71], s[0:1], s[70:71]
	s_mul_hi_u32 s47, s67, s68
	s_mul_hi_u32 s73, s67, s69
	s_add_co_u32 s0, s70, s72
	s_add_co_ci_u32 s0, s71, s47
	s_mul_i32 s68, s67, s69
	s_add_co_ci_u32 s69, s73, 0
	s_delay_alu instid0(SALU_CYCLE_1) | instskip(NEXT) | instid1(SALU_CYCLE_1)
	s_add_nc_u64 s[68:69], s[0:1], s[68:69]
	s_add_co_u32 s66, s66, s68
	s_cselect_b32 s0, -1, 0
	v_mul_hi_u32 v32, v20, s66
	s_cmp_lg_u32 s0, 0
	s_add_co_ci_u32 s0, s67, s69
	s_and_b64 s[68:69], s[66:67], s[38:39]
	v_mul_u64_e32 v[22:23], s[0:1], v[20:21]
	v_mul_u64_e32 v[18:19], s[68:69], v[26:27]
	;; [unrolled: 1-line block ×3, first 2 shown]
	s_delay_alu instid0(VALU_DEP_3) | instskip(NEXT) | instid1(VALU_DEP_1)
	v_add_nc_u64_e32 v[22:23], v[32:33], v[22:23]
	v_add_co_u32 v1, vcc_lo, v22, v18
	s_delay_alu instid0(VALU_DEP_2) | instskip(NEXT) | instid1(VALU_DEP_4)
	v_add_co_ci_u32_e32 v32, vcc_lo, v23, v19, vcc_lo
	v_add_co_ci_u32_e32 v31, vcc_lo, 0, v31, vcc_lo
	s_delay_alu instid0(VALU_DEP_1) | instskip(NEXT) | instid1(VALU_DEP_1)
	v_add_nc_u64_e32 v[18:19], v[32:33], v[30:31]
	v_mul_u64_e32 v[22:23], s[48:49], v[18:19]
	s_delay_alu instid0(VALU_DEP_1) | instskip(NEXT) | instid1(VALU_DEP_2)
	v_sub_nc_u32_e32 v1, v26, v23
	v_sub_co_u32 v5, vcc_lo, v20, v22
	s_delay_alu instid0(VALU_DEP_1) | instskip(NEXT) | instid1(VALU_DEP_3)
	v_sub_co_ci_u32_e64 v26, null, v26, v23, vcc_lo
	v_subrev_co_ci_u32_e64 v1, null, s49, v1, vcc_lo
	s_delay_alu instid0(VALU_DEP_3) | instskip(SKIP_1) | instid1(VALU_DEP_3)
	v_sub_co_u32 v13, s0, v5, s48
	v_add_nc_u64_e32 v[22:23], 1, v[18:19]
	v_subrev_co_ci_u32_e64 v1, null, 0, v1, s0
	s_delay_alu instid0(VALU_DEP_3) | instskip(SKIP_1) | instid1(VALU_DEP_3)
	v_cmp_le_u32_e32 vcc_lo, s48, v13
	v_cndmask_b32_e64 v13, 0, -1, vcc_lo
	v_cmp_le_u32_e32 vcc_lo, s49, v1
	v_cndmask_b32_e64 v20, 0, -1, vcc_lo
	;; [unrolled: 2-line block ×4, first 2 shown]
	v_cmp_eq_u32_e32 vcc_lo, s49, v1
	v_cndmask_b32_e32 v1, v20, v13, vcc_lo
	v_cmp_eq_u32_e32 vcc_lo, s49, v26
	v_add_nc_u64_e32 v[20:21], 2, v[18:19]
	v_dual_mov_b32 v13, v12 :: v_dual_cndmask_b32 v5, v27, v5, vcc_lo
	s_delay_alu instid0(VALU_DEP_4) | instskip(NEXT) | instid1(VALU_DEP_2)
	v_cmp_ne_u32_e32 vcc_lo, 0, v1
	v_cmp_ne_u32_e64 s0, 0, v5
	s_delay_alu instid0(VALU_DEP_4) | instskip(NEXT) | instid1(VALU_DEP_1)
	v_dual_cndmask_b32 v1, v23, v21, vcc_lo :: v_dual_cndmask_b32 v5, v22, v20, vcc_lo
	v_cndmask_b32_e64 v5, v18, v5, s0
	s_delay_alu instid0(VALU_DEP_1) | instskip(NEXT) | instid1(VALU_DEP_1)
	v_dual_cndmask_b32 v1, v19, v1, s0 :: v_dual_bitop2_b32 v18, v5, v12 bitop3:0x14
	v_xor_b32_e32 v19, v1, v12
	s_delay_alu instid0(VALU_DEP_1)
	v_sub_nc_u64_e32 v[12:13], v[18:19], v[12:13]
.LBB120_44:                             ;   in Loop: Header=BB120_42 Depth=1
	s_and_not1_saveexec_b32 s0, s65
	s_cbranch_execz .LBB120_41
; %bb.45:                               ;   in Loop: Header=BB120_42 Depth=1
	v_cvt_f32_u32_e32 v1, s44
	s_sub_co_i32 s46, 0, s44
	s_delay_alu instid0(VALU_DEP_1) | instskip(SKIP_1) | instid1(TRANS32_DEP_1)
	v_rcp_iflag_f32_e32 v1, v1
	v_nop
	v_mul_f32_e32 v1, 0x4f7ffffe, v1
	s_delay_alu instid0(VALU_DEP_1) | instskip(NEXT) | instid1(VALU_DEP_1)
	v_cvt_u32_f32_e32 v1, v1
	v_mul_lo_u32 v5, s46, v1
	s_delay_alu instid0(VALU_DEP_1) | instskip(NEXT) | instid1(VALU_DEP_1)
	v_mul_hi_u32 v5, v1, v5
	v_add_nc_u32_e32 v1, v1, v5
	s_delay_alu instid0(VALU_DEP_1) | instskip(NEXT) | instid1(VALU_DEP_1)
	v_mul_hi_u32 v1, v10, v1
	v_mul_lo_u32 v5, v1, s44
	v_add_nc_u32_e32 v12, 1, v1
	s_delay_alu instid0(VALU_DEP_2) | instskip(NEXT) | instid1(VALU_DEP_1)
	v_sub_nc_u32_e32 v5, v10, v5
	v_subrev_nc_u32_e32 v13, s44, v5
	v_cmp_le_u32_e32 vcc_lo, s44, v5
	s_delay_alu instid0(VALU_DEP_2) | instskip(SKIP_1) | instid1(VALU_DEP_2)
	v_dual_cndmask_b32 v5, v5, v13, vcc_lo :: v_dual_mov_b32 v13, v4
	v_cndmask_b32_e32 v1, v1, v12, vcc_lo
	v_cmp_le_u32_e32 vcc_lo, s44, v5
	s_delay_alu instid0(VALU_DEP_2) | instskip(NEXT) | instid1(VALU_DEP_1)
	v_add_nc_u32_e32 v12, 1, v1
	v_cndmask_b32_e32 v12, v1, v12, vcc_lo
	s_branch .LBB120_41
.LBB120_46:
	s_mov_b32 s38, -1
	s_mov_b32 s0, 0
	s_mov_b32 s37, 0
	s_mov_b32 s1, exec_lo
	v_cmpx_gt_i64_e64 v[6:7], v[14:15]
	s_cbranch_execz .LBB120_52
; %bb.47:
	s_delay_alu instid0(VALU_DEP_2) | instskip(SKIP_1) | instid1(VALU_DEP_1)
	v_lshlrev_b64_e32 v[2:3], 3, v[2:3]
	s_xor_b32 s39, s51, -1
                                        ; implicit-def: $sgpr38
                                        ; implicit-def: $sgpr41
                                        ; implicit-def: $sgpr40
	v_lshl_add_u64 v[4:5], v[14:15], 3, v[2:3]
	v_add_nc_u64_e32 v[10:11], s[16:17], v[2:3]
	s_delay_alu instid0(VALU_DEP_2) | instskip(NEXT) | instid1(VALU_DEP_1)
	v_add_nc_u64_e32 v[4:5], s[16:17], v[4:5]
	v_add_nc_u64_e32 v[2:3], 8, v[4:5]
	s_delay_alu instid0(VALU_DEP_3)
	v_lshl_add_u64 v[4:5], v[6:7], 3, v[10:11]
	s_branch .LBB120_49
.LBB120_48:                             ;   in Loop: Header=BB120_49 Depth=1
	s_or_b32 exec_lo, exec_lo, s42
	s_delay_alu instid0(SALU_CYCLE_1) | instskip(NEXT) | instid1(SALU_CYCLE_1)
	s_and_b32 s42, exec_lo, s41
	s_or_b32 s37, s42, s37
	s_and_not1_b32 s38, s38, exec_lo
	s_and_b32 s42, s40, exec_lo
	s_delay_alu instid0(SALU_CYCLE_1)
	s_or_b32 s38, s38, s42
	s_and_not1_b32 exec_lo, exec_lo, s37
	s_cbranch_execz .LBB120_51
.LBB120_49:                             ; =>This Inner Loop Header: Depth=1
	s_or_b32 s40, s40, exec_lo
	s_or_b32 s41, s41, exec_lo
	s_mov_b32 s42, exec_lo
	s_delay_alu instid0(VALU_DEP_2)
	v_cmpx_lt_u64_e64 v[2:3], v[4:5]
	s_cbranch_execz .LBB120_48
; %bb.50:                               ;   in Loop: Header=BB120_49 Depth=1
	global_load_b128 v[10:13], v[2:3], off offset:-8
	s_and_not1_b32 s41, s41, exec_lo
	s_wait_xcnt 0x0
	v_add_nc_u64_e32 v[2:3], 8, v[2:3]
	s_and_not1_b32 s40, s40, exec_lo
	s_wait_loadcnt 0x0
	v_cmp_ge_i64_e32 vcc_lo, v[10:11], v[12:13]
	s_or_b32 s43, s39, vcc_lo
	s_delay_alu instid0(SALU_CYCLE_1) | instskip(NEXT) | instid1(SALU_CYCLE_1)
	s_and_b32 s43, s43, exec_lo
	s_or_b32 s41, s41, s43
	s_branch .LBB120_48
.LBB120_51:
	s_or_b32 exec_lo, exec_lo, s37
	s_delay_alu instid0(SALU_CYCLE_1)
	s_mov_b32 s37, exec_lo
	s_or_not1_b32 s38, s38, exec_lo
.LBB120_52:
	s_or_b32 exec_lo, exec_lo, s1
	s_mov_b32 s41, 0
	s_mov_b32 s39, 0
	s_and_saveexec_b32 s1, s38
	s_cbranch_execz .LBB120_56
; %bb.53:
	s_mov_b32 s38, 0
	s_mov_b32 s39, -1
	s_mov_b32 s0, 0
	s_mov_b32 s40, exec_lo
	v_cmpx_eq_u64_e64 s[4:5], v[38:39]
	s_xor_b32 s40, exec_lo, s40
; %bb.54:
	v_cmp_ne_u64_e32 vcc_lo, s[8:9], v[28:29]
	s_mov_b32 s0, exec_lo
	s_xor_b32 s39, exec_lo, -1
	s_and_b32 s38, vcc_lo, exec_lo
; %bb.55:
	s_or_b32 exec_lo, exec_lo, s40
	s_delay_alu instid0(SALU_CYCLE_1)
	s_and_b32 s39, s39, exec_lo
	s_and_not1_b32 s37, s37, exec_lo
	s_and_b32 s41, s0, exec_lo
	s_and_b32 s0, s38, exec_lo
.LBB120_56:
	s_or_b32 exec_lo, exec_lo, s1
	s_delay_alu instid0(SALU_CYCLE_1)
	s_and_b32 s40, s39, exec_lo
	s_and_b32 s39, s37, exec_lo
	s_xor_b32 s37, exec_lo, -1
	s_and_b32 s38, s41, exec_lo
	s_and_b32 s1, s0, exec_lo
.LBB120_57:
	s_or_b32 exec_lo, exec_lo, s64
	s_delay_alu instid0(SALU_CYCLE_1)
	s_and_b32 s41, s40, exec_lo
	s_and_b32 s39, s39, exec_lo
	;; [unrolled: 1-line block ×4, first 2 shown]
	s_or_not1_b32 s0, s1, exec_lo
.LBB120_58:
	s_or_b32 exec_lo, exec_lo, s63
	s_delay_alu instid0(SALU_CYCLE_1)
	s_or_not1_b32 s1, s41, exec_lo
	s_and_b32 s39, s39, exec_lo
	s_and_b32 s38, s40, exec_lo
	;; [unrolled: 1-line block ×4, first 2 shown]
.LBB120_59:
	s_or_b32 exec_lo, exec_lo, s62
	s_delay_alu instid0(SALU_CYCLE_1)
	s_and_not1_b32 s40, s60, exec_lo
	s_and_b32 s41, s39, exec_lo
	s_and_b32 s39, s1, exec_lo
	s_or_b32 s60, s40, s41
	s_and_b32 s38, s38, exec_lo
	s_and_b32 s1, s37, exec_lo
	;; [unrolled: 1-line block ×3, first 2 shown]
.LBB120_60:
	s_or_b32 exec_lo, exec_lo, s61
	s_delay_alu instid0(SALU_CYCLE_1)
	s_and_b32 s40, s39, exec_lo
	s_and_b32 s39, s60, exec_lo
	s_or_not1_b32 s37, s38, exec_lo
	s_and_b32 s38, s1, exec_lo
	s_and_b32 s1, s0, exec_lo
.LBB120_61:
	s_or_b32 exec_lo, exec_lo, s59
	s_delay_alu instid0(SALU_CYCLE_1)
	s_and_b32 s41, s40, exec_lo
	s_and_b32 s39, s39, exec_lo
	;; [unrolled: 1-line block ×4, first 2 shown]
	s_or_not1_b32 s0, s1, exec_lo
.LBB120_62:
	s_or_b32 exec_lo, exec_lo, s58
	s_delay_alu instid0(SALU_CYCLE_1)
	s_or_not1_b32 s1, s41, exec_lo
	s_and_b32 s39, s39, exec_lo
	s_and_b32 s38, s40, exec_lo
	;; [unrolled: 1-line block ×4, first 2 shown]
.LBB120_63:
	s_or_b32 exec_lo, exec_lo, s57
	s_delay_alu instid0(SALU_CYCLE_1)
	s_and_not1_b32 s40, s55, exec_lo
	s_and_b32 s39, s39, exec_lo
	s_and_b32 s1, s1, exec_lo
	s_or_b32 s55, s40, s39
	s_and_b32 s39, s38, exec_lo
	s_and_b32 s38, s37, exec_lo
	s_and_b32 s0, s0, exec_lo
.LBB120_64:
	s_or_b32 exec_lo, exec_lo, s56
	s_delay_alu instid0(SALU_CYCLE_1)
	s_and_b32 s1, s1, exec_lo
	s_and_b32 s42, s55, exec_lo
	s_or_not1_b32 s37, s39, exec_lo
	s_and_b32 s41, s38, exec_lo
	s_and_b32 s40, s0, exec_lo
.LBB120_65:
	s_or_b32 exec_lo, exec_lo, s54
	s_delay_alu instid0(SALU_CYCLE_1)
	s_and_b32 s1, s1, exec_lo
	s_and_b32 s54, s42, exec_lo
	s_and_b32 s37, s37, exec_lo
	s_and_b32 s0, s41, exec_lo
	s_or_not1_b32 s40, s40, exec_lo
	s_mov_b32 s55, s10
.LBB120_66:
	s_or_b32 exec_lo, exec_lo, s53
	s_and_saveexec_b32 s38, s40
	s_cbranch_execnz .LBB120_215
.LBB120_67:
	s_or_b32 exec_lo, exec_lo, s38
	s_mov_b32 s38, 0
	s_and_saveexec_b32 s39, s0
	s_delay_alu instid0(SALU_CYCLE_1)
	s_xor_b32 s39, exec_lo, s39
	s_cbranch_execnz .LBB120_141
; %bb.68:
	s_or_b32 exec_lo, exec_lo, s39
	s_and_saveexec_b32 s0, s37
	s_cbranch_execnz .LBB120_142
.LBB120_69:
	s_or_b32 exec_lo, exec_lo, s0
	s_mov_b32 s0, 0
	s_and_saveexec_b32 s53, s38
	s_cbranch_execnz .LBB120_143
.LBB120_70:
	s_or_b32 exec_lo, exec_lo, s53
	s_and_saveexec_b32 s36, s54
	s_cbranch_execnz .LBB120_178
.LBB120_71:
	s_or_b32 exec_lo, exec_lo, s36
	s_and_saveexec_b32 s36, s0
	s_delay_alu instid0(SALU_CYCLE_1)
	s_xor_b32 s0, exec_lo, s36
	s_cbranch_execz .LBB120_73
.LBB120_72:
	s_mov_b32 s36, 0
	s_add_nc_u64 s[34:35], s[18:19], s[34:35]
	s_mov_b32 s37, s36
	s_mov_b32 s38, s36
	;; [unrolled: 1-line block ×3, first 2 shown]
	s_wait_loadcnt 0x2
	v_mov_b64_e32 v[2:3], s[36:37]
	v_mov_b64_e32 v[4:5], s[38:39]
	s_clause 0x1
	global_store_b128 v36, v[2:5], s[34:35]
	global_store_b128 v36, v[2:5], s[34:35] offset:16
.LBB120_73:
	s_wait_xcnt 0x0
	s_or_b32 exec_lo, exec_lo, s0
	s_delay_alu instid0(SALU_CYCLE_1)
	s_and_b32 s3, s3, exec_lo
	s_or_not1_b32 s0, s1, exec_lo
.LBB120_74:
	s_or_b32 exec_lo, exec_lo, s50
.LBB120_75:
	s_and_saveexec_b32 s1, s0
	s_delay_alu instid0(SALU_CYCLE_1)
	s_xor_b32 s0, exec_lo, s1
	s_cbranch_execnz .LBB120_213
.LBB120_76:
	s_or_b32 exec_lo, exec_lo, s0
	s_mov_b32 s0, 0
.LBB120_77:
	s_delay_alu instid0(SALU_CYCLE_1)
	s_and_b32 vcc_lo, exec_lo, s0
	s_cbranch_vccz .LBB120_97
; %bb.78:
	s_wait_loadcnt 0x0
	v_mov_b64_e32 v[28:29], 0
	v_mov_b64_e32 v[40:41], 0
	;; [unrolled: 1-line block ×6, first 2 shown]
	v_cmp_gt_i32_e64 s0, s11, v0
	v_or_b32_e32 v1, 0x100, v0
	v_mov_b32_e32 v42, v0
	s_and_saveexec_b32 s1, s0
	s_cbranch_execz .LBB120_80
; %bb.79:
	v_or_b32_e32 v2, s2, v0
	v_or_b32_e32 v42, 0x100, v0
	s_clause 0x4
	global_load_b64 v[40:41], v2, s[20:21] scale_offset
	global_load_b64 v[36:37], v2, s[22:23] scale_offset
	global_load_b64 v[34:35], v2, s[24:25] scale_offset
	global_load_b64 v[32:33], v2, s[26:27] scale_offset
	global_load_b64 v[38:39], v2, s[28:29] scale_offset
.LBB120_80:
	s_wait_xcnt 0x0
	s_or_b32 exec_lo, exec_lo, s1
	v_mov_b64_e32 v[30:31], 0
	v_mov_b64_e32 v[24:25], 0
	v_mov_b64_e32 v[22:23], 0
	v_mov_b64_e32 v[26:27], 0
	s_mov_b32 s1, exec_lo
	v_cmpx_gt_i32_e64 s11, v42
	s_cbranch_execz .LBB120_82
; %bb.81:
	v_add_nc_u32_e32 v2, s2, v42
	v_add_nc_u32_e32 v42, 0x100, v42
	s_clause 0x4
	global_load_b64 v[28:29], v2, s[20:21] scale_offset
	global_load_b64 v[30:31], v2, s[22:23] scale_offset
	;; [unrolled: 1-line block ×5, first 2 shown]
.LBB120_82:
	s_wait_xcnt 0x0
	s_or_b32 exec_lo, exec_lo, s1
	v_mov_b64_e32 v[10:11], 0
	v_mov_b64_e32 v[20:21], 0
	;; [unrolled: 1-line block ×6, first 2 shown]
	s_mov_b32 s1, exec_lo
	v_cmpx_gt_i32_e64 s11, v42
	s_cbranch_execz .LBB120_84
; %bb.83:
	v_add_nc_u32_e32 v2, s2, v42
	v_add_nc_u32_e32 v42, 0x100, v42
	s_clause 0x4
	global_load_b64 v[20:21], v2, s[20:21] scale_offset
	global_load_b64 v[18:19], v2, s[22:23] scale_offset
	;; [unrolled: 1-line block ×5, first 2 shown]
.LBB120_84:
	s_wait_xcnt 0x0
	s_or_b32 exec_lo, exec_lo, s1
	v_mov_b64_e32 v[8:9], 0
	v_mov_b64_e32 v[4:5], 0
	;; [unrolled: 1-line block ×4, first 2 shown]
	s_mov_b32 s1, exec_lo
	v_cmpx_gt_i32_e64 s11, v42
	s_cbranch_execz .LBB120_86
; %bb.85:
	v_add_nc_u32_e32 v42, s2, v42
	s_clause 0x4
	global_load_b64 v[10:11], v42, s[20:21] scale_offset
	global_load_b64 v[8:9], v42, s[22:23] scale_offset
	;; [unrolled: 1-line block ×5, first 2 shown]
.LBB120_86:
	s_wait_xcnt 0x0
	s_or_b32 exec_lo, exec_lo, s1
	s_get_pc_i64 s[20:21]
	s_add_nc_u64 s[20:21], s[20:21], .str.7@rel64+4
	s_cmp_lg_u64 s[30:31], 0
	s_get_pc_i64 s[22:23]
	s_add_nc_u64 s[22:23], s[22:23], .str.8@rel64+4
	s_cselect_b32 s43, -1, 0
	s_cmp_lg_u64 s[20:21], 0
	s_mov_b32 s1, -1
	s_cselect_b32 s41, -1, 0
	s_cmp_lg_u64 s[22:23], 0
	s_get_pc_i64 s[22:23]
	s_add_nc_u64 s[22:23], s[22:23], .str.9@rel64+4
	s_cselect_b32 s40, -1, 0
	s_add_co_i32 s20, s10, -1
	s_mov_b32 s48, 0
	s_cmp_gt_i32 s20, -1
	s_mov_b32 s46, 0
	s_cselect_b32 s39, -1, 0
	s_cmp_lg_u64 s[22:23], 0
	s_mov_b32 s45, 0
	s_cselect_b32 s38, -1, 0
	s_mov_b32 s44, 0
	s_mov_b32 s42, 0
	s_and_saveexec_b32 s33, s0
	s_cbranch_execnz .LBB120_106
; %bb.87:
	s_or_b32 exec_lo, exec_lo, s33
	s_mov_b32 s33, 0
	s_and_saveexec_b32 s47, s1
	s_cbranch_execnz .LBB120_160
.LBB120_88:
	s_or_b32 exec_lo, exec_lo, s47
	s_and_saveexec_b32 s1, s46
	s_cbranch_execnz .LBB120_212
.LBB120_89:
	s_or_b32 exec_lo, exec_lo, s1
	s_mov_b32 s1, 0
	s_and_saveexec_b32 s21, s48
	s_delay_alu instid0(SALU_CYCLE_1)
	s_xor_b32 s21, exec_lo, s21
	s_cbranch_execz .LBB120_91
; %bb.90:
	s_wait_loadcnt 0x3
	v_cmp_ne_u64_e32 vcc_lo, s[8:9], v[8:9]
	s_xor_b32 s22, s41, -1
	s_and_not1_b32 s23, s45, exec_lo
	s_mov_b32 s1, exec_lo
	s_or_b32 s22, s22, vcc_lo
	s_delay_alu instid0(SALU_CYCLE_1) | instskip(NEXT) | instid1(SALU_CYCLE_1)
	s_and_b32 s22, s22, exec_lo
	s_or_b32 s45, s23, s22
.LBB120_91:
	s_or_b32 exec_lo, exec_lo, s21
	s_and_saveexec_b32 s21, s45
	s_cbranch_execnz .LBB120_214
.LBB120_92:
	s_or_b32 exec_lo, exec_lo, s21
	s_mov_b32 s21, 0
	s_and_saveexec_b32 s22, s1
	s_delay_alu instid0(SALU_CYCLE_1)
	s_xor_b32 s22, exec_lo, s22
	s_cbranch_execnz .LBB120_116
; %bb.93:
	s_or_b32 exec_lo, exec_lo, s22
	s_and_saveexec_b32 s1, s44
	s_cbranch_execnz .LBB120_117
.LBB120_94:
	s_or_b32 exec_lo, exec_lo, s1
	s_and_saveexec_b32 s24, s21
	s_cbranch_execnz .LBB120_118
.LBB120_95:
	s_or_b32 exec_lo, exec_lo, s24
	s_and_saveexec_b32 s1, s42
	s_cbranch_execnz .LBB120_140
.LBB120_96:
	s_or_b32 exec_lo, exec_lo, s1
	s_and_saveexec_b32 s1, s3
	s_cbranch_execnz .LBB120_98
	s_branch .LBB120_99
.LBB120_97:
                                        ; implicit-def: $sgpr0
                                        ; implicit-def: $vgpr1
                                        ; implicit-def: $vgpr0
	s_and_saveexec_b32 s1, s3
.LBB120_98:
	; divergent unreachable
.LBB120_99:
	s_delay_alu instid0(SALU_CYCLE_1) | instskip(SKIP_1) | instid1(SALU_CYCLE_1)
	s_or_b32 exec_lo, exec_lo, s1
	s_and_saveexec_b32 s1, s33
	s_xor_b32 s1, exec_lo, s1
	s_cbranch_execz .LBB120_105
; %bb.100:
	s_and_saveexec_b32 s1, s0
	s_delay_alu instid0(SALU_CYCLE_1)
	s_xor_b32 s0, exec_lo, s1
	s_cbranch_execnz .LBB120_125
; %bb.101:
	s_or_b32 exec_lo, exec_lo, s0
	s_delay_alu instid0(SALU_CYCLE_1)
	s_mov_b32 s0, exec_lo
	v_cmpx_gt_i32_e64 s11, v0
	s_cbranch_execnz .LBB120_126
.LBB120_102:
	s_or_b32 exec_lo, exec_lo, s0
	s_delay_alu instid0(SALU_CYCLE_1)
	s_mov_b32 s0, exec_lo
	v_cmpx_gt_i32_e64 s11, v0
	s_cbranch_execnz .LBB120_127
.LBB120_103:
	s_or_b32 exec_lo, exec_lo, s0
	s_delay_alu instid0(SALU_CYCLE_1)
	s_mov_b32 s0, exec_lo
	v_cmpx_gt_i32_e64 s11, v0
	s_cbranch_execz .LBB120_105
.LBB120_104:
	s_wait_loadcnt 0x1
	v_mov_b64_e32 v[2:3], 0
	v_add_nc_u32_e32 v0, s2, v0
	global_store_b64 v0, v[2:3], s[18:19] scale_offset
.LBB120_105:
	s_endpgm
.LBB120_106:
	s_wait_loadcnt 0x4
	v_cmp_eq_u64_e32 vcc_lo, s[4:5], v[40:41]
	s_mov_b32 s21, -1
	s_mov_b32 s1, 0
	s_mov_b32 s22, 0
	;; [unrolled: 1-line block ×4, first 2 shown]
	s_and_b32 s25, s43, vcc_lo
	s_delay_alu instid0(SALU_CYCLE_1)
	s_and_saveexec_b32 s42, s25
	s_cbranch_execz .LBB120_159
; %bb.107:
	s_wait_loadcnt 0x3
	v_cmp_eq_u64_e32 vcc_lo, s[8:9], v[36:37]
	s_and_b32 s24, s41, vcc_lo
	s_delay_alu instid0(SALU_CYCLE_1)
	s_and_saveexec_b32 s44, s24
	s_cbranch_execz .LBB120_158
; %bb.108:
	s_wait_loadcnt 0x1
	v_sub_nc_u64_e32 v[36:37], v[32:33], v[34:35]
	s_delay_alu instid0(VALU_DEP_1)
	v_cmp_le_i64_e32 vcc_lo, s[4:5], v[36:37]
	v_cmp_ge_i64_e64 s1, s[6:7], v[36:37]
	s_and_b32 s22, vcc_lo, s1
	s_mov_b32 s1, 0
	s_and_b32 s23, s40, s22
	s_mov_b32 s22, 0
	s_and_saveexec_b32 s45, s23
	s_cbranch_execz .LBB120_157
; %bb.109:
	v_cmp_lt_i64_e64 s1, s[8:9], 1
	v_mov_b64_e32 v[36:37], 0
	s_xor_b32 s21, s39, -1
	s_delay_alu instid0(SALU_CYCLE_1) | instskip(NEXT) | instid1(SALU_CYCLE_1)
	s_or_b32 s1, s1, s21
	s_and_b32 vcc_lo, exec_lo, s1
	s_cbranch_vccnz .LBB120_133
; %bb.110:
	s_wait_loadcnt 0x0
	v_mul_u64_e32 v[40:41], s[8:9], v[38:39]
	s_mov_b32 s23, 0
	v_mov_b64_e32 v[36:37], 0
	s_mov_b32 s21, s23
	v_mov_b32_e32 v38, 0
	s_lshl_b64 s[28:29], s[20:21], 3
	s_mov_b64 s[24:25], 0xffffffff
	s_add_nc_u64 s[26:27], s[12:13], s[28:29]
	s_add_nc_u64 s[28:29], s[14:15], s[28:29]
	s_mov_b32 s21, s10
	s_branch .LBB120_112
.LBB120_111:                            ;   in Loop: Header=BB120_112 Depth=1
	s_or_b32 exec_lo, exec_lo, s1
	s_delay_alu instid0(VALU_DEP_1)
	v_mul_u64_e32 v[44:45], s[30:31], v[42:43]
	s_load_b64 s[30:31], s[28:29], 0x0
	s_add_co_i32 s21, s21, -1
	s_add_nc_u64 s[26:27], s[26:27], -8
	s_cmp_eq_u32 s21, 0
	s_wait_xcnt 0x0
	s_add_nc_u64 s[28:29], s[28:29], -8
	s_delay_alu instid0(VALU_DEP_1) | instskip(SKIP_1) | instid1(VALU_DEP_1)
	v_sub_nc_u64_e32 v[40:41], v[40:41], v[44:45]
	s_wait_kmcnt 0x0
	v_mad_nc_u64_u32 v[36:37], v40, s30, v[36:37]
	s_delay_alu instid0(VALU_DEP_1) | instskip(NEXT) | instid1(VALU_DEP_1)
	v_mad_u32 v37, v41, s30, v37
	v_mad_u32 v37, v40, s31, v37
	v_mov_b64_e32 v[40:41], v[42:43]
	s_cbranch_scc1 .LBB120_133
.LBB120_112:                            ; =>This Inner Loop Header: Depth=1
	s_load_b64 s[30:31], s[26:27], 0x0
                                        ; implicit-def: $vgpr42_vgpr43
	s_mov_b32 s1, exec_lo
	s_wait_kmcnt 0x0
	s_delay_alu instid0(VALU_DEP_1) | instskip(NEXT) | instid1(VALU_DEP_1)
	v_or_b32_e32 v39, s31, v41
	v_cmpx_ne_u64_e32 0, v[38:39]
	s_xor_b32 s46, exec_lo, s1
	s_cbranch_execz .LBB120_114
; %bb.113:                              ;   in Loop: Header=BB120_112 Depth=1
	s_ashr_i32 s34, s31, 31
	v_dual_mov_b32 v47, v38 :: v_dual_ashrrev_i32 v42, 31, v41
	s_mov_b32 s35, s34
	v_mov_b32_e32 v55, v38
	s_add_nc_u64 s[36:37], s[30:31], s[34:35]
	s_delay_alu instid0(VALU_DEP_2) | instskip(SKIP_1) | instid1(SALU_CYCLE_1)
	v_mov_b32_e32 v43, v42
	s_xor_b64 s[36:37], s[36:37], s[34:35]
	s_cvt_f32_u32 s1, s36
	s_cvt_f32_u32 s22, s37
	s_sub_nc_u64 s[52:53], 0, s[36:37]
	v_add_nc_u64_e32 v[44:45], v[40:41], v[42:43]
	v_mov_b32_e32 v51, v38
	s_fmamk_f32 s1, s22, 0x4f800000, s1
	s_delay_alu instid0(SALU_CYCLE_3) | instskip(NEXT) | instid1(VALU_DEP_2)
	v_s_rcp_f32 s1, s1
	v_xor_b32_e32 v46, v44, v42
	s_delay_alu instid0(VALU_DEP_3) | instskip(NEXT) | instid1(TRANS32_DEP_1)
	v_xor_b32_e32 v50, v45, v42
	s_mul_f32 s1, s1, 0x5f7ffffc
	s_delay_alu instid0(SALU_CYCLE_3) | instskip(NEXT) | instid1(SALU_CYCLE_3)
	s_mul_f32 s22, s1, 0x2f800000
	s_trunc_f32 s22, s22
	s_delay_alu instid0(SALU_CYCLE_3) | instskip(SKIP_1) | instid1(SALU_CYCLE_2)
	s_fmamk_f32 s1, s22, 0xcf800000, s1
	s_cvt_u32_f32 s51, s22
	s_cvt_u32_f32 s50, s1
	s_delay_alu instid0(SALU_CYCLE_3) | instskip(NEXT) | instid1(SALU_CYCLE_1)
	s_mul_u64 s[54:55], s[52:53], s[50:51]
	s_mul_hi_u32 s57, s50, s55
	s_mul_i32 s56, s50, s55
	s_mul_hi_u32 s22, s50, s54
	s_mul_i32 s35, s51, s54
	s_add_nc_u64 s[56:57], s[22:23], s[56:57]
	s_mul_hi_u32 s1, s51, s54
	s_mul_hi_u32 s47, s51, s55
	s_add_co_u32 s22, s56, s35
	s_add_co_ci_u32 s22, s57, s1
	s_mul_i32 s54, s51, s55
	s_add_co_ci_u32 s55, s47, 0
	s_delay_alu instid0(SALU_CYCLE_1) | instskip(NEXT) | instid1(SALU_CYCLE_1)
	s_add_nc_u64 s[54:55], s[22:23], s[54:55]
	s_add_co_u32 s50, s50, s54
	s_cselect_b32 s1, -1, 0
	s_delay_alu instid0(SALU_CYCLE_1) | instskip(SKIP_1) | instid1(SALU_CYCLE_1)
	s_cmp_lg_u32 s1, 0
	s_add_co_ci_u32 s51, s51, s55
	s_mul_u64 s[52:53], s[52:53], s[50:51]
	s_delay_alu instid0(SALU_CYCLE_1)
	s_mul_hi_u32 s55, s50, s53
	s_mul_i32 s54, s50, s53
	s_mul_hi_u32 s22, s50, s52
	s_mul_i32 s35, s51, s52
	s_add_nc_u64 s[54:55], s[22:23], s[54:55]
	s_mul_hi_u32 s1, s51, s52
	s_mul_hi_u32 s47, s51, s53
	s_add_co_u32 s22, s54, s35
	s_add_co_ci_u32 s22, s55, s1
	s_mul_i32 s52, s51, s53
	s_add_co_ci_u32 s53, s47, 0
	s_delay_alu instid0(SALU_CYCLE_1) | instskip(NEXT) | instid1(SALU_CYCLE_1)
	s_add_nc_u64 s[52:53], s[22:23], s[52:53]
	s_add_co_u32 s50, s50, s52
	s_cselect_b32 s1, -1, 0
	v_mul_hi_u32 v54, v46, s50
	s_cmp_lg_u32 s1, 0
	s_add_co_ci_u32 s22, s51, s53
	s_and_b64 s[52:53], s[50:51], s[24:25]
	v_mul_u64_e32 v[48:49], s[22:23], v[46:47]
	v_mul_u64_e32 v[44:45], s[52:53], v[50:51]
	;; [unrolled: 1-line block ×3, first 2 shown]
	s_delay_alu instid0(VALU_DEP_3) | instskip(NEXT) | instid1(VALU_DEP_1)
	v_add_nc_u64_e32 v[48:49], v[54:55], v[48:49]
	v_add_co_u32 v39, vcc_lo, v48, v44
	s_delay_alu instid0(VALU_DEP_2) | instskip(NEXT) | instid1(VALU_DEP_4)
	v_add_co_ci_u32_e32 v54, vcc_lo, v49, v45, vcc_lo
	v_add_co_ci_u32_e32 v53, vcc_lo, 0, v53, vcc_lo
	s_delay_alu instid0(VALU_DEP_1) | instskip(NEXT) | instid1(VALU_DEP_1)
	v_add_nc_u64_e32 v[44:45], v[54:55], v[52:53]
	v_mul_u64_e32 v[48:49], s[36:37], v[44:45]
	s_delay_alu instid0(VALU_DEP_1) | instskip(NEXT) | instid1(VALU_DEP_2)
	v_sub_nc_u32_e32 v39, v50, v49
	v_sub_co_u32 v43, vcc_lo, v46, v48
	s_delay_alu instid0(VALU_DEP_1) | instskip(NEXT) | instid1(VALU_DEP_3)
	v_sub_co_ci_u32_e64 v50, null, v50, v49, vcc_lo
	v_subrev_co_ci_u32_e64 v39, null, s37, v39, vcc_lo
	s_delay_alu instid0(VALU_DEP_3) | instskip(SKIP_1) | instid1(VALU_DEP_3)
	v_sub_co_u32 v46, s1, v43, s36
	v_add_nc_u64_e32 v[48:49], 1, v[44:45]
	v_subrev_co_ci_u32_e64 v39, null, 0, v39, s1
	s_delay_alu instid0(VALU_DEP_3) | instskip(SKIP_1) | instid1(VALU_DEP_3)
	v_cmp_le_u32_e32 vcc_lo, s36, v46
	v_cndmask_b32_e64 v46, 0, -1, vcc_lo
	v_cmp_le_u32_e32 vcc_lo, s37, v39
	v_cndmask_b32_e64 v47, 0, -1, vcc_lo
	;; [unrolled: 2-line block ×4, first 2 shown]
	v_cmp_eq_u32_e32 vcc_lo, s37, v39
	v_cndmask_b32_e32 v39, v47, v46, vcc_lo
	v_cmp_eq_u32_e32 vcc_lo, s37, v50
	v_add_nc_u64_e32 v[46:47], 2, v[44:45]
	v_cndmask_b32_e32 v43, v51, v43, vcc_lo
	s_delay_alu instid0(VALU_DEP_4) | instskip(NEXT) | instid1(VALU_DEP_2)
	v_cmp_ne_u32_e32 vcc_lo, 0, v39
	v_cmp_ne_u32_e64 s1, 0, v43
	s_delay_alu instid0(VALU_DEP_4) | instskip(NEXT) | instid1(VALU_DEP_1)
	v_dual_cndmask_b32 v39, v49, v47, vcc_lo :: v_dual_cndmask_b32 v43, v48, v46, vcc_lo
	v_dual_cndmask_b32 v39, v45, v39, s1 :: v_dual_bitop2_b32 v42, s34, v42 bitop3:0x14
	s_delay_alu instid0(VALU_DEP_1) | instskip(NEXT) | instid1(VALU_DEP_2)
	v_dual_cndmask_b32 v44, v44, v43, s1 :: v_dual_mov_b32 v43, v42
	v_xor_b32_e32 v45, v39, v42
	s_delay_alu instid0(VALU_DEP_2) | instskip(NEXT) | instid1(VALU_DEP_1)
	v_xor_b32_e32 v44, v44, v42
	v_sub_nc_u64_e32 v[42:43], v[44:45], v[42:43]
.LBB120_114:                            ;   in Loop: Header=BB120_112 Depth=1
	s_and_not1_saveexec_b32 s1, s46
	s_cbranch_execz .LBB120_111
; %bb.115:                              ;   in Loop: Header=BB120_112 Depth=1
	v_cvt_f32_u32_e32 v39, s30
	s_sub_co_i32 s22, 0, s30
	s_delay_alu instid0(VALU_DEP_1) | instskip(SKIP_1) | instid1(TRANS32_DEP_1)
	v_rcp_iflag_f32_e32 v39, v39
	v_nop
	v_mul_f32_e32 v39, 0x4f7ffffe, v39
	s_delay_alu instid0(VALU_DEP_1) | instskip(NEXT) | instid1(VALU_DEP_1)
	v_cvt_u32_f32_e32 v39, v39
	v_mul_lo_u32 v42, s22, v39
	s_delay_alu instid0(VALU_DEP_1) | instskip(NEXT) | instid1(VALU_DEP_1)
	v_mul_hi_u32 v42, v39, v42
	v_add_nc_u32_e32 v39, v39, v42
	s_delay_alu instid0(VALU_DEP_1) | instskip(NEXT) | instid1(VALU_DEP_1)
	v_mul_hi_u32 v39, v40, v39
	v_mul_lo_u32 v42, v39, s30
	s_delay_alu instid0(VALU_DEP_1) | instskip(NEXT) | instid1(VALU_DEP_1)
	v_dual_add_nc_u32 v43, 1, v39 :: v_dual_sub_nc_u32 v42, v40, v42
	v_subrev_nc_u32_e32 v44, s30, v42
	v_cmp_le_u32_e32 vcc_lo, s30, v42
	s_delay_alu instid0(VALU_DEP_2) | instskip(NEXT) | instid1(VALU_DEP_1)
	v_dual_cndmask_b32 v42, v42, v44 :: v_dual_cndmask_b32 v39, v39, v43
	v_cmp_le_u32_e32 vcc_lo, s30, v42
	s_delay_alu instid0(VALU_DEP_2) | instskip(NEXT) | instid1(VALU_DEP_1)
	v_add_nc_u32_e32 v43, 1, v39
	v_dual_cndmask_b32 v42, v39, v43 :: v_dual_mov_b32 v43, v38
	s_branch .LBB120_111
.LBB120_116:
	s_wait_loadcnt 0x1
	v_sub_nc_u64_e32 v[8:9], v[2:3], v[4:5]
	s_mov_b32 s21, exec_lo
	s_delay_alu instid0(VALU_DEP_1) | instskip(SKIP_3) | instid1(SALU_CYCLE_1)
	v_cmp_le_i64_e32 vcc_lo, s[4:5], v[8:9]
	v_cmp_ge_i64_e64 s1, s[6:7], v[8:9]
	s_and_not1_b32 s4, s44, exec_lo
	s_and_b32 s1, vcc_lo, s1
	s_and_b32 s1, s40, s1
	s_delay_alu instid0(SALU_CYCLE_1) | instskip(NEXT) | instid1(SALU_CYCLE_1)
	s_xor_b32 s1, s1, -1
	s_and_b32 s1, s1, exec_lo
	s_delay_alu instid0(SALU_CYCLE_1)
	s_or_b32 s44, s4, s1
	s_or_b32 exec_lo, exec_lo, s22
	s_and_saveexec_b32 s1, s44
	s_cbranch_execz .LBB120_94
.LBB120_117:
	s_or_b32 s3, s3, exec_lo
	s_and_not1_b32 s21, s21, exec_lo
	s_trap 2
	s_or_b32 exec_lo, exec_lo, s1
	s_and_saveexec_b32 s24, s21
	s_cbranch_execz .LBB120_95
.LBB120_118:
	v_cmp_lt_i64_e64 s1, s[8:9], 1
	s_wait_loadcnt 0x3
	v_mov_b64_e32 v[8:9], 0
	s_xor_b32 s4, s39, -1
	s_delay_alu instid0(SALU_CYCLE_1) | instskip(NEXT) | instid1(SALU_CYCLE_1)
	s_or_b32 s1, s1, s4
	s_and_b32 vcc_lo, exec_lo, s1
	s_cbranch_vccnz .LBB120_128
; %bb.119:
	s_wait_loadcnt 0x0
	v_mul_u64_e32 v[10:11], s[8:9], v[6:7]
	v_mov_b64_e32 v[8:9], 0
	s_mov_b32 s21, 0
	v_mov_b32_e32 v6, 0
	s_lshl_b64 s[8:9], s[20:21], 3
	s_mov_b64 s[4:5], 0xffffffff
	s_add_nc_u64 s[6:7], s[12:13], s[8:9]
	s_add_nc_u64 s[8:9], s[14:15], s[8:9]
	s_branch .LBB120_121
.LBB120_120:                            ;   in Loop: Header=BB120_121 Depth=1
	s_or_b32 exec_lo, exec_lo, s1
	s_delay_alu instid0(VALU_DEP_1)
	v_mul_u64_e32 v[14:15], s[12:13], v[12:13]
	s_load_b64 s[12:13], s[8:9], 0x0
	s_add_co_i32 s10, s10, -1
	s_add_nc_u64 s[6:7], s[6:7], -8
	s_cmp_lg_u32 s10, 0
	s_wait_xcnt 0x0
	s_add_nc_u64 s[8:9], s[8:9], -8
	s_delay_alu instid0(VALU_DEP_1) | instskip(SKIP_1) | instid1(VALU_DEP_1)
	v_sub_nc_u64_e32 v[10:11], v[10:11], v[14:15]
	s_wait_kmcnt 0x0
	v_mad_nc_u64_u32 v[8:9], v10, s12, v[8:9]
	s_delay_alu instid0(VALU_DEP_1) | instskip(NEXT) | instid1(VALU_DEP_1)
	v_mad_u32 v7, v11, s12, v9
	v_mad_u32 v9, v10, s13, v7
	v_mov_b64_e32 v[10:11], v[12:13]
	s_cbranch_scc0 .LBB120_128
.LBB120_121:                            ; =>This Inner Loop Header: Depth=1
	s_load_b64 s[12:13], s[6:7], 0x0
                                        ; implicit-def: $vgpr12_vgpr13
	s_mov_b32 s1, exec_lo
	s_wait_kmcnt 0x0
	s_delay_alu instid0(VALU_DEP_1) | instskip(NEXT) | instid1(VALU_DEP_1)
	v_or_b32_e32 v7, s13, v11
	v_cmpx_ne_u64_e32 0, v[6:7]
	s_xor_b32 s25, exec_lo, s1
	s_cbranch_execz .LBB120_123
; %bb.122:                              ;   in Loop: Header=BB120_121 Depth=1
	s_ashr_i32 s14, s13, 31
	v_dual_mov_b32 v17, v6 :: v_dual_ashrrev_i32 v12, 31, v11
	s_mov_b32 s15, s14
	s_delay_alu instid0(SALU_CYCLE_1) | instskip(NEXT) | instid1(VALU_DEP_1)
	s_add_nc_u64 s[22:23], s[12:13], s[14:15]
	v_mov_b32_e32 v13, v12
	s_xor_b64 s[22:23], s[22:23], s[14:15]
	s_delay_alu instid0(SALU_CYCLE_1)
	s_cvt_f32_u32 s1, s22
	s_cvt_f32_u32 s15, s23
	s_sub_nc_u64 s[28:29], 0, s[22:23]
	v_add_nc_u64_e32 v[14:15], v[10:11], v[12:13]
	v_mov_b32_e32 v21, v6
	s_fmamk_f32 s1, s15, 0x4f800000, s1
	s_delay_alu instid0(SALU_CYCLE_3) | instskip(NEXT) | instid1(VALU_DEP_2)
	v_s_rcp_f32 s1, s1
	v_xor_b32_e32 v16, v14, v12
	s_delay_alu instid0(VALU_DEP_3) | instskip(SKIP_1) | instid1(TRANS32_DEP_1)
	v_dual_mov_b32 v25, v6 :: v_dual_bitop2_b32 v20, v15, v12 bitop3:0x14
	v_xor_b32_e32 v12, s14, v12
	s_mul_f32 s1, s1, 0x5f7ffffc
	s_delay_alu instid0(SALU_CYCLE_3) | instskip(NEXT) | instid1(SALU_CYCLE_3)
	s_mul_f32 s15, s1, 0x2f800000
	s_trunc_f32 s15, s15
	s_delay_alu instid0(SALU_CYCLE_3) | instskip(SKIP_1) | instid1(SALU_CYCLE_2)
	s_fmamk_f32 s1, s15, 0xcf800000, s1
	s_cvt_u32_f32 s27, s15
	s_cvt_u32_f32 s26, s1
	s_delay_alu instid0(SALU_CYCLE_3) | instskip(NEXT) | instid1(SALU_CYCLE_1)
	s_mul_u64 s[30:31], s[28:29], s[26:27]
	s_mul_hi_u32 s35, s26, s31
	s_mul_i32 s34, s26, s31
	s_mul_hi_u32 s20, s26, s30
	s_mul_i32 s15, s27, s30
	s_add_nc_u64 s[34:35], s[20:21], s[34:35]
	s_mul_hi_u32 s1, s27, s30
	s_mul_hi_u32 s36, s27, s31
	s_add_co_u32 s15, s34, s15
	s_add_co_ci_u32 s20, s35, s1
	s_mul_i32 s30, s27, s31
	s_add_co_ci_u32 s31, s36, 0
	s_delay_alu instid0(SALU_CYCLE_1) | instskip(NEXT) | instid1(SALU_CYCLE_1)
	s_add_nc_u64 s[30:31], s[20:21], s[30:31]
	s_add_co_u32 s26, s26, s30
	s_cselect_b32 s1, -1, 0
	s_delay_alu instid0(SALU_CYCLE_1) | instskip(SKIP_1) | instid1(SALU_CYCLE_1)
	s_cmp_lg_u32 s1, 0
	s_add_co_ci_u32 s27, s27, s31
	s_mul_u64 s[28:29], s[28:29], s[26:27]
	s_delay_alu instid0(SALU_CYCLE_1)
	s_mul_hi_u32 s31, s26, s29
	s_mul_i32 s30, s26, s29
	s_mul_hi_u32 s20, s26, s28
	s_mul_i32 s15, s27, s28
	s_add_nc_u64 s[30:31], s[20:21], s[30:31]
	s_mul_hi_u32 s1, s27, s28
	s_mul_hi_u32 s34, s27, s29
	s_add_co_u32 s15, s30, s15
	s_add_co_ci_u32 s20, s31, s1
	s_mul_i32 s28, s27, s29
	s_add_co_ci_u32 s29, s34, 0
	s_delay_alu instid0(SALU_CYCLE_1) | instskip(NEXT) | instid1(SALU_CYCLE_1)
	s_add_nc_u64 s[28:29], s[20:21], s[28:29]
	s_add_co_u32 s26, s26, s28
	s_cselect_b32 s1, -1, 0
	v_mul_hi_u32 v24, v16, s26
	s_cmp_lg_u32 s1, 0
	s_add_co_ci_u32 s20, s27, s29
	s_and_b64 s[28:29], s[26:27], s[4:5]
	v_mul_u64_e32 v[18:19], s[20:21], v[16:17]
	v_mul_u64_e32 v[14:15], s[28:29], v[20:21]
	;; [unrolled: 1-line block ×3, first 2 shown]
	s_delay_alu instid0(VALU_DEP_3) | instskip(NEXT) | instid1(VALU_DEP_1)
	v_add_nc_u64_e32 v[18:19], v[24:25], v[18:19]
	v_add_co_u32 v7, vcc_lo, v18, v14
	s_delay_alu instid0(VALU_DEP_2) | instskip(NEXT) | instid1(VALU_DEP_4)
	v_add_co_ci_u32_e32 v24, vcc_lo, v19, v15, vcc_lo
	v_add_co_ci_u32_e32 v23, vcc_lo, 0, v23, vcc_lo
	s_delay_alu instid0(VALU_DEP_1) | instskip(NEXT) | instid1(VALU_DEP_1)
	v_add_nc_u64_e32 v[14:15], v[24:25], v[22:23]
	v_mul_u64_e32 v[18:19], s[22:23], v[14:15]
	s_delay_alu instid0(VALU_DEP_1) | instskip(NEXT) | instid1(VALU_DEP_2)
	v_sub_nc_u32_e32 v7, v20, v19
	v_sub_co_u32 v13, vcc_lo, v16, v18
	s_delay_alu instid0(VALU_DEP_1) | instskip(NEXT) | instid1(VALU_DEP_3)
	v_sub_co_ci_u32_e64 v20, null, v20, v19, vcc_lo
	v_subrev_co_ci_u32_e64 v7, null, s23, v7, vcc_lo
	s_delay_alu instid0(VALU_DEP_3) | instskip(SKIP_1) | instid1(VALU_DEP_3)
	v_sub_co_u32 v16, s1, v13, s22
	v_add_nc_u64_e32 v[18:19], 1, v[14:15]
	v_subrev_co_ci_u32_e64 v7, null, 0, v7, s1
	s_delay_alu instid0(VALU_DEP_3) | instskip(SKIP_1) | instid1(VALU_DEP_3)
	v_cmp_le_u32_e32 vcc_lo, s22, v16
	v_cndmask_b32_e64 v16, 0, -1, vcc_lo
	v_cmp_le_u32_e32 vcc_lo, s23, v7
	v_cndmask_b32_e64 v17, 0, -1, vcc_lo
	;; [unrolled: 2-line block ×4, first 2 shown]
	v_cmp_eq_u32_e32 vcc_lo, s23, v7
	v_cndmask_b32_e32 v7, v17, v16, vcc_lo
	v_cmp_eq_u32_e32 vcc_lo, s23, v20
	v_add_nc_u64_e32 v[16:17], 2, v[14:15]
	v_cndmask_b32_e32 v13, v21, v13, vcc_lo
	s_delay_alu instid0(VALU_DEP_4) | instskip(NEXT) | instid1(VALU_DEP_2)
	v_cmp_ne_u32_e32 vcc_lo, 0, v7
	v_cmp_ne_u32_e64 s1, 0, v13
	s_delay_alu instid0(VALU_DEP_4) | instskip(NEXT) | instid1(VALU_DEP_1)
	v_dual_cndmask_b32 v7, v19, v17, vcc_lo :: v_dual_cndmask_b32 v13, v18, v16, vcc_lo
	v_dual_cndmask_b32 v14, v14, v13, s1 :: v_dual_mov_b32 v13, v12
	s_delay_alu instid0(VALU_DEP_1) | instskip(NEXT) | instid1(VALU_DEP_1)
	v_dual_cndmask_b32 v7, v15, v7, s1 :: v_dual_bitop2_b32 v14, v14, v12 bitop3:0x14
	v_xor_b32_e32 v15, v7, v12
	s_delay_alu instid0(VALU_DEP_1)
	v_sub_nc_u64_e32 v[12:13], v[14:15], v[12:13]
.LBB120_123:                            ;   in Loop: Header=BB120_121 Depth=1
	s_and_not1_saveexec_b32 s1, s25
	s_cbranch_execz .LBB120_120
; %bb.124:                              ;   in Loop: Header=BB120_121 Depth=1
	v_cvt_f32_u32_e32 v7, s12
	s_sub_co_i32 s14, 0, s12
	s_delay_alu instid0(VALU_DEP_1) | instskip(SKIP_1) | instid1(TRANS32_DEP_1)
	v_rcp_iflag_f32_e32 v7, v7
	v_nop
	v_mul_f32_e32 v7, 0x4f7ffffe, v7
	s_delay_alu instid0(VALU_DEP_1) | instskip(NEXT) | instid1(VALU_DEP_1)
	v_cvt_u32_f32_e32 v7, v7
	v_mul_lo_u32 v12, s14, v7
	s_delay_alu instid0(VALU_DEP_1) | instskip(NEXT) | instid1(VALU_DEP_1)
	v_mul_hi_u32 v12, v7, v12
	v_add_nc_u32_e32 v7, v7, v12
	s_delay_alu instid0(VALU_DEP_1) | instskip(NEXT) | instid1(VALU_DEP_1)
	v_mul_hi_u32 v7, v10, v7
	v_mul_lo_u32 v12, v7, s12
	s_delay_alu instid0(VALU_DEP_1) | instskip(NEXT) | instid1(VALU_DEP_1)
	v_dual_add_nc_u32 v13, 1, v7 :: v_dual_sub_nc_u32 v12, v10, v12
	v_subrev_nc_u32_e32 v14, s12, v12
	v_cmp_le_u32_e32 vcc_lo, s12, v12
	s_delay_alu instid0(VALU_DEP_2) | instskip(NEXT) | instid1(VALU_DEP_1)
	v_dual_cndmask_b32 v12, v12, v14 :: v_dual_cndmask_b32 v7, v7, v13
	v_cmp_le_u32_e32 vcc_lo, s12, v12
	s_delay_alu instid0(VALU_DEP_2) | instskip(NEXT) | instid1(VALU_DEP_1)
	v_add_nc_u32_e32 v13, 1, v7
	v_dual_cndmask_b32 v12, v7, v13 :: v_dual_mov_b32 v13, v6
	s_branch .LBB120_120
.LBB120_125:
	s_wait_loadcnt 0x1
	v_mov_b64_e32 v[2:3], 0
	v_dual_mov_b32 v0, v1 :: v_dual_bitop2_b32 v4, s2, v0 bitop3:0x54
	global_store_b64 v4, v[2:3], s[18:19] scale_offset
	s_wait_xcnt 0x0
	s_or_b32 exec_lo, exec_lo, s0
	s_delay_alu instid0(SALU_CYCLE_1)
	s_mov_b32 s0, exec_lo
	v_cmpx_gt_i32_e64 s11, v0
	s_cbranch_execz .LBB120_102
.LBB120_126:
	s_wait_loadcnt 0x1
	v_mov_b64_e32 v[2:3], 0
	v_add_nc_u32_e32 v1, s2, v0
	v_add_nc_u32_e32 v0, 0x100, v0
	global_store_b64 v1, v[2:3], s[18:19] scale_offset
	s_wait_xcnt 0x0
	s_or_b32 exec_lo, exec_lo, s0
	s_delay_alu instid0(SALU_CYCLE_1)
	s_mov_b32 s0, exec_lo
	v_cmpx_gt_i32_e64 s11, v0
	s_cbranch_execz .LBB120_103
.LBB120_127:
	s_wait_loadcnt 0x1
	v_mov_b64_e32 v[2:3], 0
	v_add_nc_u32_e32 v1, s2, v0
	v_add_nc_u32_e32 v0, 0x100, v0
	global_store_b64 v1, v[2:3], s[18:19] scale_offset
	s_wait_xcnt 0x0
	s_or_b32 exec_lo, exec_lo, s0
	s_delay_alu instid0(SALU_CYCLE_1)
	s_mov_b32 s0, exec_lo
	v_cmpx_gt_i32_e64 s11, v0
	s_cbranch_execnz .LBB120_104
	s_branch .LBB120_105
.LBB120_128:
	s_mov_b32 s4, s42
	s_mov_b32 s1, exec_lo
	s_wait_loadcnt 0x1
	v_cmpx_gt_i64_e64 v[2:3], v[4:5]
	s_cbranch_execz .LBB120_139
; %bb.129:
	s_wait_loadcnt 0x0
	s_delay_alu instid0(VALU_DEP_2) | instskip(SKIP_2) | instid1(VALU_DEP_1)
	v_lshlrev_b64_e32 v[6:7], 3, v[8:9]
	s_mov_b32 s4, 0
	s_xor_b32 s6, s38, -1
                                        ; implicit-def: $sgpr5
                                        ; implicit-def: $sgpr8
                                        ; implicit-def: $sgpr7
	v_lshl_add_u64 v[4:5], v[4:5], 3, v[6:7]
	v_add_nc_u64_e32 v[6:7], s[16:17], v[6:7]
	s_delay_alu instid0(VALU_DEP_2) | instskip(NEXT) | instid1(VALU_DEP_2)
	v_add_nc_u64_e32 v[4:5], s[16:17], v[4:5]
	v_lshl_add_u64 v[2:3], v[2:3], 3, v[6:7]
	s_delay_alu instid0(VALU_DEP_2)
	v_add_nc_u64_e32 v[4:5], 8, v[4:5]
	s_branch .LBB120_131
.LBB120_130:                            ;   in Loop: Header=BB120_131 Depth=1
	s_or_b32 exec_lo, exec_lo, s9
	s_xor_b32 s9, s7, -1
	s_and_b32 s10, exec_lo, s8
	s_delay_alu instid0(SALU_CYCLE_1) | instskip(SKIP_2) | instid1(SALU_CYCLE_1)
	s_or_b32 s4, s10, s4
	s_and_not1_b32 s5, s5, exec_lo
	s_and_b32 s9, s9, exec_lo
	s_or_b32 s5, s5, s9
	s_and_not1_b32 exec_lo, exec_lo, s4
	s_cbranch_execz .LBB120_138
.LBB120_131:                            ; =>This Inner Loop Header: Depth=1
	s_or_b32 s7, s7, exec_lo
	s_or_b32 s8, s8, exec_lo
	s_mov_b32 s9, exec_lo
	s_delay_alu instid0(VALU_DEP_1)
	v_cmpx_lt_u64_e64 v[4:5], v[2:3]
	s_cbranch_execz .LBB120_130
; %bb.132:                              ;   in Loop: Header=BB120_131 Depth=1
	global_load_b128 v[6:9], v[4:5], off offset:-8
	s_wait_xcnt 0x0
	v_add_nc_u64_e32 v[4:5], 8, v[4:5]
	s_and_not1_b32 s8, s8, exec_lo
	s_and_not1_b32 s7, s7, exec_lo
	s_wait_loadcnt 0x0
	v_cmp_ge_i64_e32 vcc_lo, v[6:7], v[8:9]
	s_or_b32 s10, s6, vcc_lo
	s_delay_alu instid0(SALU_CYCLE_1) | instskip(NEXT) | instid1(SALU_CYCLE_1)
	s_and_b32 s10, s10, exec_lo
	s_or_b32 s8, s8, s10
	s_branch .LBB120_130
.LBB120_133:
	s_mov_b32 s23, -1
	s_mov_b32 s21, 0
	s_mov_b32 s1, exec_lo
	v_cmpx_gt_i64_e64 v[32:33], v[34:35]
	s_cbranch_execz .LBB120_156
; %bb.134:
	s_delay_alu instid0(VALU_DEP_2) | instskip(SKIP_1) | instid1(VALU_DEP_1)
	v_lshlrev_b64_e32 v[36:37], 3, v[36:37]
	s_xor_b32 s23, s38, -1
                                        ; implicit-def: $sgpr22
                                        ; implicit-def: $sgpr25
                                        ; implicit-def: $sgpr24
	v_lshl_add_u64 v[34:35], v[34:35], 3, v[36:37]
	v_add_nc_u64_e32 v[36:37], s[16:17], v[36:37]
	s_delay_alu instid0(VALU_DEP_2) | instskip(NEXT) | instid1(VALU_DEP_2)
	v_add_nc_u64_e32 v[34:35], s[16:17], v[34:35]
	v_lshl_add_u64 v[32:33], v[32:33], 3, v[36:37]
	s_delay_alu instid0(VALU_DEP_2)
	v_add_nc_u64_e32 v[34:35], 8, v[34:35]
	s_branch .LBB120_136
.LBB120_135:                            ;   in Loop: Header=BB120_136 Depth=1
	s_or_b32 exec_lo, exec_lo, s26
	s_delay_alu instid0(SALU_CYCLE_1) | instskip(NEXT) | instid1(SALU_CYCLE_1)
	s_and_b32 s26, exec_lo, s25
	s_or_b32 s21, s26, s21
	s_and_not1_b32 s22, s22, exec_lo
	s_and_b32 s26, s24, exec_lo
	s_delay_alu instid0(SALU_CYCLE_1)
	s_or_b32 s22, s22, s26
	s_and_not1_b32 exec_lo, exec_lo, s21
	s_cbranch_execz .LBB120_155
.LBB120_136:                            ; =>This Inner Loop Header: Depth=1
	s_or_b32 s24, s24, exec_lo
	s_or_b32 s25, s25, exec_lo
	s_mov_b32 s26, exec_lo
	s_delay_alu instid0(VALU_DEP_1)
	v_cmpx_lt_u64_e64 v[34:35], v[32:33]
	s_cbranch_execz .LBB120_135
; %bb.137:                              ;   in Loop: Header=BB120_136 Depth=1
	s_wait_loadcnt 0x0
	global_load_b128 v[36:39], v[34:35], off offset:-8
	s_wait_xcnt 0x0
	v_add_nc_u64_e32 v[34:35], 8, v[34:35]
	s_and_not1_b32 s25, s25, exec_lo
	s_and_not1_b32 s24, s24, exec_lo
	s_wait_loadcnt 0x0
	v_cmp_ge_i64_e32 vcc_lo, v[36:37], v[38:39]
	s_or_b32 s27, s23, vcc_lo
	s_delay_alu instid0(SALU_CYCLE_1) | instskip(NEXT) | instid1(SALU_CYCLE_1)
	s_and_b32 s27, s27, exec_lo
	s_or_b32 s25, s25, s27
	s_branch .LBB120_135
.LBB120_138:
	s_or_b32 exec_lo, exec_lo, s4
	s_delay_alu instid0(SALU_CYCLE_1) | instskip(SKIP_1) | instid1(SALU_CYCLE_1)
	s_and_not1_b32 s4, s42, exec_lo
	s_and_b32 s5, s5, exec_lo
	s_or_b32 s4, s4, s5
.LBB120_139:
	s_or_b32 exec_lo, exec_lo, s1
	s_delay_alu instid0(SALU_CYCLE_1)
	s_and_not1_b32 s1, s42, exec_lo
	s_and_b32 s4, s4, exec_lo
	s_or_b32 s33, s33, exec_lo
	s_or_b32 s42, s1, s4
	s_or_b32 exec_lo, exec_lo, s24
	s_and_saveexec_b32 s1, s42
	s_cbranch_execz .LBB120_96
.LBB120_140:
	s_and_not1_b32 s33, s33, exec_lo
	s_or_b32 s3, s3, exec_lo
	s_trap 2
	s_or_b32 exec_lo, exec_lo, s1
	s_and_saveexec_b32 s1, s3
	s_cbranch_execnz .LBB120_98
	s_branch .LBB120_99
.LBB120_141:
	s_wait_loadcnt 0x0
	v_sub_nc_u64_e32 v[2:3], v[8:9], v[16:17]
	s_and_not1_b32 s37, s37, exec_lo
	s_mov_b32 s38, exec_lo
	s_delay_alu instid0(VALU_DEP_1) | instskip(SKIP_2) | instid1(SALU_CYCLE_1)
	v_cmp_gt_i64_e32 vcc_lo, s[4:5], v[2:3]
	v_cmp_lt_i64_e64 s0, s[6:7], v[2:3]
	s_or_b32 s0, vcc_lo, s0
	s_and_b32 s0, s0, exec_lo
	s_delay_alu instid0(SALU_CYCLE_1)
	s_or_b32 s37, s37, s0
	s_or_b32 exec_lo, exec_lo, s39
	s_and_saveexec_b32 s0, s37
	s_cbranch_execz .LBB120_69
.LBB120_142:
	s_or_b32 s3, s3, exec_lo
	s_and_not1_b32 s38, s38, exec_lo
	s_trap 2
	s_or_b32 exec_lo, exec_lo, s0
	s_mov_b32 s0, 0
	s_and_saveexec_b32 s53, s38
	s_cbranch_execz .LBB120_70
.LBB120_143:
	s_wait_loadcnt 0x2
	v_mov_b64_e32 v[2:3], 0
	s_and_not1_b32 vcc_lo, exec_lo, s52
	s_cbranch_vccnz .LBB120_150
; %bb.144:
	s_wait_loadcnt 0x0
	v_mul_u64_e32 v[6:7], s[8:9], v[24:25]
	v_mov_b64_e32 v[2:3], 0
	s_mov_b32 s37, 0
	v_mov_b32_e32 v4, 0
	s_lshl_b64 s[42:43], s[36:37], 3
	s_mov_b64 s[38:39], 0xffffffff
	s_add_nc_u64 s[40:41], s[12:13], s[42:43]
	s_add_nc_u64 s[42:43], s[14:15], s[42:43]
	s_branch .LBB120_146
.LBB120_145:                            ;   in Loop: Header=BB120_146 Depth=1
	s_or_b32 exec_lo, exec_lo, s0
	s_delay_alu instid0(VALU_DEP_1)
	v_mul_u64_e32 v[12:13], s[44:45], v[10:11]
	s_load_b64 s[44:45], s[42:43], 0x0
	s_add_co_i32 s55, s55, -1
	s_add_nc_u64 s[40:41], s[40:41], -8
	s_cmp_lg_u32 s55, 0
	s_wait_xcnt 0x0
	s_add_nc_u64 s[42:43], s[42:43], -8
	s_delay_alu instid0(VALU_DEP_1) | instskip(SKIP_1) | instid1(VALU_DEP_1)
	v_sub_nc_u64_e32 v[6:7], v[6:7], v[12:13]
	s_wait_kmcnt 0x0
	v_mad_nc_u64_u32 v[2:3], v6, s44, v[2:3]
	s_delay_alu instid0(VALU_DEP_1) | instskip(NEXT) | instid1(VALU_DEP_1)
	v_mad_u32 v1, v7, s44, v3
	v_mad_u32 v3, v6, s45, v1
	v_mov_b64_e32 v[6:7], v[10:11]
	s_cbranch_scc0 .LBB120_150
.LBB120_146:                            ; =>This Inner Loop Header: Depth=1
	s_load_b64 s[44:45], s[40:41], 0x0
                                        ; implicit-def: $vgpr10_vgpr11
	s_mov_b32 s0, exec_lo
	s_wait_kmcnt 0x0
	s_delay_alu instid0(VALU_DEP_1) | instskip(NEXT) | instid1(VALU_DEP_1)
	v_or_b32_e32 v5, s45, v7
	v_cmpx_ne_u64_e32 0, v[4:5]
	s_xor_b32 s52, exec_lo, s0
	s_cbranch_execz .LBB120_148
; %bb.147:                              ;   in Loop: Header=BB120_146 Depth=1
	s_ashr_i32 s46, s45, 31
	v_dual_mov_b32 v15, v4 :: v_dual_ashrrev_i32 v10, 31, v7
	s_mov_b32 s47, s46
	v_mov_b32_e32 v25, v4
	s_add_nc_u64 s[48:49], s[44:45], s[46:47]
	s_delay_alu instid0(VALU_DEP_2) | instskip(SKIP_1) | instid1(SALU_CYCLE_1)
	v_mov_b32_e32 v11, v10
	s_xor_b64 s[48:49], s[48:49], s[46:47]
	s_cvt_f32_u32 s0, s48
	s_cvt_f32_u32 s36, s49
	s_sub_nc_u64 s[58:59], 0, s[48:49]
	v_add_nc_u64_e32 v[12:13], v[6:7], v[10:11]
	v_mov_b32_e32 v21, v4
	s_fmamk_f32 s0, s36, 0x4f800000, s0
	s_delay_alu instid0(SALU_CYCLE_3) | instskip(NEXT) | instid1(VALU_DEP_2)
	v_s_rcp_f32 s0, s0
	v_xor_b32_e32 v14, v12, v10
	s_delay_alu instid0(VALU_DEP_3) | instskip(NEXT) | instid1(TRANS32_DEP_1)
	v_xor_b32_e32 v20, v13, v10
	s_mul_f32 s0, s0, 0x5f7ffffc
	s_delay_alu instid0(SALU_CYCLE_3) | instskip(NEXT) | instid1(SALU_CYCLE_3)
	s_mul_f32 s36, s0, 0x2f800000
	s_trunc_f32 s36, s36
	s_delay_alu instid0(SALU_CYCLE_3) | instskip(SKIP_1) | instid1(SALU_CYCLE_2)
	s_fmamk_f32 s0, s36, 0xcf800000, s0
	s_cvt_u32_f32 s57, s36
	s_cvt_u32_f32 s56, s0
	s_delay_alu instid0(SALU_CYCLE_3) | instskip(NEXT) | instid1(SALU_CYCLE_1)
	s_mul_u64 s[60:61], s[58:59], s[56:57]
	s_mul_hi_u32 s63, s56, s61
	s_mul_i32 s62, s56, s61
	s_mul_hi_u32 s36, s56, s60
	s_mul_i32 s47, s57, s60
	s_add_nc_u64 s[62:63], s[36:37], s[62:63]
	s_mul_hi_u32 s0, s57, s60
	s_mul_hi_u32 s64, s57, s61
	s_add_co_u32 s36, s62, s47
	s_add_co_ci_u32 s36, s63, s0
	s_mul_i32 s60, s57, s61
	s_add_co_ci_u32 s61, s64, 0
	s_delay_alu instid0(SALU_CYCLE_1) | instskip(NEXT) | instid1(SALU_CYCLE_1)
	s_add_nc_u64 s[60:61], s[36:37], s[60:61]
	s_add_co_u32 s56, s56, s60
	s_cselect_b32 s0, -1, 0
	s_delay_alu instid0(SALU_CYCLE_1) | instskip(SKIP_1) | instid1(SALU_CYCLE_1)
	s_cmp_lg_u32 s0, 0
	s_add_co_ci_u32 s57, s57, s61
	s_mul_u64 s[58:59], s[58:59], s[56:57]
	s_delay_alu instid0(SALU_CYCLE_1)
	s_mul_hi_u32 s61, s56, s59
	s_mul_i32 s60, s56, s59
	s_mul_hi_u32 s36, s56, s58
	s_mul_i32 s47, s57, s58
	s_add_nc_u64 s[60:61], s[36:37], s[60:61]
	s_mul_hi_u32 s0, s57, s58
	s_mul_hi_u32 s62, s57, s59
	s_add_co_u32 s36, s60, s47
	s_add_co_ci_u32 s36, s61, s0
	s_mul_i32 s58, s57, s59
	s_add_co_ci_u32 s59, s62, 0
	s_delay_alu instid0(SALU_CYCLE_1) | instskip(NEXT) | instid1(SALU_CYCLE_1)
	s_add_nc_u64 s[58:59], s[36:37], s[58:59]
	s_add_co_u32 s0, s56, s58
	s_cselect_b32 s36, -1, 0
	v_mul_hi_u32 v24, v14, s0
	s_cmp_lg_u32 s36, 0
	s_add_co_ci_u32 s36, s57, s59
	s_and_b64 s[56:57], s[0:1], s[38:39]
	v_mul_u64_e32 v[18:19], s[36:37], v[14:15]
	v_mul_u64_e32 v[12:13], s[56:57], v[20:21]
	;; [unrolled: 1-line block ×3, first 2 shown]
	s_delay_alu instid0(VALU_DEP_3) | instskip(NEXT) | instid1(VALU_DEP_1)
	v_add_nc_u64_e32 v[18:19], v[24:25], v[18:19]
	v_add_co_u32 v1, vcc_lo, v18, v12
	s_delay_alu instid0(VALU_DEP_2) | instskip(NEXT) | instid1(VALU_DEP_4)
	v_add_co_ci_u32_e32 v24, vcc_lo, v19, v13, vcc_lo
	v_add_co_ci_u32_e32 v23, vcc_lo, 0, v23, vcc_lo
	s_delay_alu instid0(VALU_DEP_1) | instskip(NEXT) | instid1(VALU_DEP_1)
	v_add_nc_u64_e32 v[12:13], v[24:25], v[22:23]
	v_mul_u64_e32 v[18:19], s[48:49], v[12:13]
	s_delay_alu instid0(VALU_DEP_1) | instskip(NEXT) | instid1(VALU_DEP_2)
	v_sub_nc_u32_e32 v1, v20, v19
	v_sub_co_u32 v5, vcc_lo, v14, v18
	s_delay_alu instid0(VALU_DEP_1) | instskip(NEXT) | instid1(VALU_DEP_3)
	v_sub_co_ci_u32_e64 v20, null, v20, v19, vcc_lo
	v_subrev_co_ci_u32_e64 v1, null, s49, v1, vcc_lo
	s_delay_alu instid0(VALU_DEP_3) | instskip(SKIP_1) | instid1(VALU_DEP_3)
	v_sub_co_u32 v11, s0, v5, s48
	v_add_nc_u64_e32 v[18:19], 1, v[12:13]
	v_subrev_co_ci_u32_e64 v1, null, 0, v1, s0
	s_delay_alu instid0(VALU_DEP_3) | instskip(SKIP_1) | instid1(VALU_DEP_3)
	v_cmp_le_u32_e32 vcc_lo, s48, v11
	v_cndmask_b32_e64 v11, 0, -1, vcc_lo
	v_cmp_le_u32_e32 vcc_lo, s49, v1
	v_cndmask_b32_e64 v14, 0, -1, vcc_lo
	v_cmp_le_u32_e32 vcc_lo, s48, v5
	v_cndmask_b32_e64 v5, 0, -1, vcc_lo
	v_cmp_le_u32_e32 vcc_lo, s49, v20
	v_cndmask_b32_e64 v21, 0, -1, vcc_lo
	v_cmp_eq_u32_e32 vcc_lo, s49, v1
	v_cndmask_b32_e32 v1, v14, v11, vcc_lo
	v_cmp_eq_u32_e32 vcc_lo, s49, v20
	v_add_nc_u64_e32 v[14:15], 2, v[12:13]
	v_cndmask_b32_e32 v5, v21, v5, vcc_lo
	s_delay_alu instid0(VALU_DEP_4) | instskip(NEXT) | instid1(VALU_DEP_2)
	v_cmp_ne_u32_e32 vcc_lo, 0, v1
	v_cmp_ne_u32_e64 s0, 0, v5
	s_delay_alu instid0(VALU_DEP_4) | instskip(NEXT) | instid1(VALU_DEP_1)
	v_dual_cndmask_b32 v1, v19, v15, vcc_lo :: v_dual_cndmask_b32 v5, v18, v14, vcc_lo
	v_dual_cndmask_b32 v1, v13, v1, s0 :: v_dual_bitop2_b32 v10, s46, v10 bitop3:0x14
	s_delay_alu instid0(VALU_DEP_1) | instskip(NEXT) | instid1(VALU_DEP_2)
	v_dual_cndmask_b32 v5, v12, v5, s0 :: v_dual_mov_b32 v11, v10
	v_xor_b32_e32 v13, v1, v10
	s_delay_alu instid0(VALU_DEP_2) | instskip(NEXT) | instid1(VALU_DEP_1)
	v_xor_b32_e32 v12, v5, v10
	v_sub_nc_u64_e32 v[10:11], v[12:13], v[10:11]
.LBB120_148:                            ;   in Loop: Header=BB120_146 Depth=1
	s_and_not1_saveexec_b32 s0, s52
	s_cbranch_execz .LBB120_145
; %bb.149:                              ;   in Loop: Header=BB120_146 Depth=1
	v_cvt_f32_u32_e32 v1, s44
	s_sub_co_i32 s36, 0, s44
	s_delay_alu instid0(VALU_DEP_1) | instskip(SKIP_1) | instid1(TRANS32_DEP_1)
	v_rcp_iflag_f32_e32 v1, v1
	v_nop
	v_mul_f32_e32 v1, 0x4f7ffffe, v1
	s_delay_alu instid0(VALU_DEP_1) | instskip(NEXT) | instid1(VALU_DEP_1)
	v_cvt_u32_f32_e32 v1, v1
	v_mul_lo_u32 v5, s36, v1
	s_delay_alu instid0(VALU_DEP_1) | instskip(NEXT) | instid1(VALU_DEP_1)
	v_mul_hi_u32 v5, v1, v5
	v_add_nc_u32_e32 v1, v1, v5
	s_delay_alu instid0(VALU_DEP_1) | instskip(NEXT) | instid1(VALU_DEP_1)
	v_mul_hi_u32 v1, v6, v1
	v_mul_lo_u32 v5, v1, s44
	s_delay_alu instid0(VALU_DEP_1) | instskip(NEXT) | instid1(VALU_DEP_1)
	v_sub_nc_u32_e32 v5, v6, v5
	v_subrev_nc_u32_e32 v11, s44, v5
	v_cmp_le_u32_e32 vcc_lo, s44, v5
	s_delay_alu instid0(VALU_DEP_2) | instskip(NEXT) | instid1(VALU_DEP_1)
	v_dual_cndmask_b32 v5, v5, v11 :: v_dual_add_nc_u32 v10, 1, v1
	v_dual_cndmask_b32 v1, v1, v10, vcc_lo :: v_dual_mov_b32 v11, v4
	s_delay_alu instid0(VALU_DEP_2) | instskip(NEXT) | instid1(VALU_DEP_2)
	v_cmp_le_u32_e32 vcc_lo, s44, v5
	v_add_nc_u32_e32 v10, 1, v1
	s_delay_alu instid0(VALU_DEP_1)
	v_cndmask_b32_e32 v10, v1, v10, vcc_lo
	s_branch .LBB120_145
.LBB120_150:
	s_mov_b32 s36, s54
	s_mov_b32 s0, exec_lo
	s_wait_loadcnt 0x0
	v_cmpx_gt_i64_e64 v[8:9], v[16:17]
	s_cbranch_execz .LBB120_177
; %bb.151:
	s_delay_alu instid0(VALU_DEP_2) | instskip(SKIP_2) | instid1(VALU_DEP_1)
	v_lshlrev_b64_e32 v[2:3], 3, v[2:3]
	s_mov_b32 s36, 0
	s_xor_b32 s38, s51, -1
                                        ; implicit-def: $sgpr37
                                        ; implicit-def: $sgpr40
                                        ; implicit-def: $sgpr39
	v_lshl_add_u64 v[4:5], v[16:17], 3, v[2:3]
	v_add_nc_u64_e32 v[6:7], s[16:17], v[2:3]
	s_delay_alu instid0(VALU_DEP_2) | instskip(NEXT) | instid1(VALU_DEP_1)
	v_add_nc_u64_e32 v[4:5], s[16:17], v[4:5]
	v_add_nc_u64_e32 v[2:3], 8, v[4:5]
	s_delay_alu instid0(VALU_DEP_3)
	v_lshl_add_u64 v[4:5], v[8:9], 3, v[6:7]
	s_branch .LBB120_153
.LBB120_152:                            ;   in Loop: Header=BB120_153 Depth=1
	s_or_b32 exec_lo, exec_lo, s41
	s_xor_b32 s41, s39, -1
	s_and_b32 s42, exec_lo, s40
	s_delay_alu instid0(SALU_CYCLE_1) | instskip(SKIP_2) | instid1(SALU_CYCLE_1)
	s_or_b32 s36, s42, s36
	s_and_not1_b32 s37, s37, exec_lo
	s_and_b32 s41, s41, exec_lo
	s_or_b32 s37, s37, s41
	s_and_not1_b32 exec_lo, exec_lo, s36
	s_cbranch_execz .LBB120_176
.LBB120_153:                            ; =>This Inner Loop Header: Depth=1
	s_or_b32 s39, s39, exec_lo
	s_or_b32 s40, s40, exec_lo
	s_mov_b32 s41, exec_lo
	s_delay_alu instid0(VALU_DEP_2)
	v_cmpx_lt_u64_e64 v[2:3], v[4:5]
	s_cbranch_execz .LBB120_152
; %bb.154:                              ;   in Loop: Header=BB120_153 Depth=1
	global_load_b128 v[6:9], v[2:3], off offset:-8
	s_wait_xcnt 0x0
	v_add_nc_u64_e32 v[2:3], 8, v[2:3]
	s_and_not1_b32 s40, s40, exec_lo
	s_and_not1_b32 s39, s39, exec_lo
	s_wait_loadcnt 0x0
	v_cmp_ge_i64_e32 vcc_lo, v[6:7], v[8:9]
	s_or_b32 s42, s38, vcc_lo
	s_delay_alu instid0(SALU_CYCLE_1) | instskip(NEXT) | instid1(SALU_CYCLE_1)
	s_and_b32 s42, s42, exec_lo
	s_or_b32 s40, s40, s42
	s_branch .LBB120_152
.LBB120_155:
	s_or_b32 exec_lo, exec_lo, s21
	s_delay_alu instid0(SALU_CYCLE_1)
	s_mov_b32 s21, exec_lo
	s_or_not1_b32 s23, s22, exec_lo
.LBB120_156:
	s_or_b32 exec_lo, exec_lo, s1
	s_delay_alu instid0(SALU_CYCLE_1)
	s_and_b32 s22, s21, exec_lo
	s_xor_b32 s21, exec_lo, -1
	s_and_b32 s1, s23, exec_lo
.LBB120_157:
	s_or_b32 exec_lo, exec_lo, s45
	s_delay_alu instid0(SALU_CYCLE_1)
	s_and_b32 s23, s22, exec_lo
	s_and_b32 s22, s21, exec_lo
	s_xor_b32 s21, exec_lo, -1
	s_and_b32 s1, s1, exec_lo
.LBB120_158:
	s_or_b32 exec_lo, exec_lo, s44
	s_delay_alu instid0(SALU_CYCLE_1)
	s_and_b32 s24, s23, exec_lo
	s_and_b32 s23, s22, exec_lo
	;; [unrolled: 1-line block ×3, first 2 shown]
	s_xor_b32 s21, exec_lo, -1
	s_and_b32 s1, s1, exec_lo
.LBB120_159:
	s_or_b32 exec_lo, exec_lo, s42
	s_delay_alu instid0(SALU_CYCLE_1)
	s_and_b32 s42, s24, exec_lo
	s_and_b32 s44, s23, exec_lo
	;; [unrolled: 1-line block ×4, first 2 shown]
	s_or_not1_b32 s1, s1, exec_lo
	s_or_b32 exec_lo, exec_lo, s33
	s_mov_b32 s33, 0
	s_and_saveexec_b32 s47, s1
	s_cbranch_execz .LBB120_88
.LBB120_160:
	s_mov_b32 s1, -1
	s_mov_b32 s52, 0
	s_mov_b32 s48, s46
	;; [unrolled: 1-line block ×4, first 2 shown]
	s_mov_b32 s51, exec_lo
	v_cmpx_gt_i32_e64 s11, v1
	s_cbranch_execz .LBB120_184
; %bb.161:
	s_wait_loadcnt 0x4
	v_cmp_eq_u64_e32 vcc_lo, s[4:5], v[28:29]
	s_mov_b32 s21, -1
	s_mov_b32 s1, 0
	s_mov_b32 s23, s45
	;; [unrolled: 1-line block ×4, first 2 shown]
	s_and_b32 s25, s43, vcc_lo
	s_delay_alu instid0(SALU_CYCLE_1)
	s_and_saveexec_b32 s33, s25
	s_cbranch_execz .LBB120_183
; %bb.162:
	s_wait_loadcnt 0x3
	v_cmp_eq_u64_e32 vcc_lo, s[8:9], v[30:31]
	s_mov_b32 s23, s44
	s_and_b32 s24, s41, vcc_lo
	s_delay_alu instid0(SALU_CYCLE_1)
	s_and_saveexec_b32 s48, s24
	s_cbranch_execz .LBB120_182
; %bb.163:
	s_wait_loadcnt 0x1
	v_sub_nc_u64_e32 v[28:29], v[22:23], v[24:25]
	s_delay_alu instid0(VALU_DEP_1)
	v_cmp_le_i64_e32 vcc_lo, s[4:5], v[28:29]
	v_cmp_ge_i64_e64 s1, s[6:7], v[28:29]
	s_and_b32 s22, vcc_lo, s1
	s_mov_b32 s1, 0
	s_and_b32 s23, s40, s22
	s_mov_b32 s22, 0
	s_and_saveexec_b32 s49, s23
	s_cbranch_execz .LBB120_181
; %bb.164:
	v_cmp_lt_i64_e64 s1, s[8:9], 1
	v_mov_b64_e32 v[28:29], 0
	s_xor_b32 s21, s39, -1
	s_delay_alu instid0(SALU_CYCLE_1) | instskip(NEXT) | instid1(SALU_CYCLE_1)
	s_or_b32 s1, s1, s21
	s_and_b32 vcc_lo, exec_lo, s1
	s_cbranch_vccnz .LBB120_171
; %bb.165:
	s_wait_loadcnt 0x0
	v_mul_u64_e32 v[30:31], s[8:9], v[26:27]
	s_mov_b32 s23, 0
	v_mov_b64_e32 v[28:29], 0
	s_mov_b32 s21, s23
	v_mov_b32_e32 v26, 0
	s_lshl_b64 s[28:29], s[20:21], 3
	s_mov_b64 s[24:25], 0xffffffff
	s_add_nc_u64 s[26:27], s[12:13], s[28:29]
	s_add_nc_u64 s[28:29], s[14:15], s[28:29]
	s_mov_b32 s21, s10
	s_branch .LBB120_167
.LBB120_166:                            ;   in Loop: Header=BB120_167 Depth=1
	s_or_b32 exec_lo, exec_lo, s1
	s_delay_alu instid0(VALU_DEP_1)
	v_mul_u64_e32 v[34:35], s[30:31], v[32:33]
	s_load_b64 s[30:31], s[28:29], 0x0
	s_add_co_i32 s21, s21, -1
	s_add_nc_u64 s[26:27], s[26:27], -8
	s_cmp_lg_u32 s21, 0
	s_wait_xcnt 0x0
	s_add_nc_u64 s[28:29], s[28:29], -8
	s_delay_alu instid0(VALU_DEP_1) | instskip(SKIP_1) | instid1(VALU_DEP_1)
	v_sub_nc_u64_e32 v[30:31], v[30:31], v[34:35]
	s_wait_kmcnt 0x0
	v_mad_nc_u64_u32 v[28:29], v30, s30, v[28:29]
	s_delay_alu instid0(VALU_DEP_1) | instskip(NEXT) | instid1(VALU_DEP_1)
	v_mad_u32 v27, v31, s30, v29
	v_mad_u32 v29, v30, s31, v27
	v_mov_b64_e32 v[30:31], v[32:33]
	s_cbranch_scc0 .LBB120_171
.LBB120_167:                            ; =>This Inner Loop Header: Depth=1
	s_load_b64 s[30:31], s[26:27], 0x0
                                        ; implicit-def: $vgpr32_vgpr33
	s_mov_b32 s1, exec_lo
	s_wait_kmcnt 0x0
	s_delay_alu instid0(VALU_DEP_1) | instskip(NEXT) | instid1(VALU_DEP_1)
	v_or_b32_e32 v27, s31, v31
	v_cmpx_ne_u64_e32 0, v[26:27]
	s_xor_b32 s50, exec_lo, s1
	s_cbranch_execz .LBB120_169
; %bb.168:                              ;   in Loop: Header=BB120_167 Depth=1
	s_ashr_i32 s34, s31, 31
	v_dual_mov_b32 v37, v26 :: v_dual_ashrrev_i32 v32, 31, v31
	s_mov_b32 s35, s34
	s_delay_alu instid0(SALU_CYCLE_1) | instskip(NEXT) | instid1(VALU_DEP_1)
	s_add_nc_u64 s[36:37], s[30:31], s[34:35]
	v_mov_b32_e32 v33, v32
	s_xor_b64 s[36:37], s[36:37], s[34:35]
	s_delay_alu instid0(SALU_CYCLE_1)
	s_cvt_f32_u32 s1, s36
	s_cvt_f32_u32 s22, s37
	s_sub_nc_u64 s[56:57], 0, s[36:37]
	v_add_nc_u64_e32 v[34:35], v[30:31], v[32:33]
	v_mov_b32_e32 v41, v26
	s_fmamk_f32 s1, s22, 0x4f800000, s1
	s_delay_alu instid0(SALU_CYCLE_3) | instskip(NEXT) | instid1(VALU_DEP_2)
	v_s_rcp_f32 s1, s1
	v_xor_b32_e32 v36, v34, v32
	s_delay_alu instid0(VALU_DEP_3) | instskip(SKIP_1) | instid1(TRANS32_DEP_1)
	v_dual_mov_b32 v45, v26 :: v_dual_bitop2_b32 v40, v35, v32 bitop3:0x14
	v_xor_b32_e32 v32, s34, v32
	s_mul_f32 s1, s1, 0x5f7ffffc
	s_delay_alu instid0(SALU_CYCLE_3) | instskip(NEXT) | instid1(SALU_CYCLE_3)
	s_mul_f32 s22, s1, 0x2f800000
	s_trunc_f32 s22, s22
	s_delay_alu instid0(SALU_CYCLE_3) | instskip(SKIP_1) | instid1(SALU_CYCLE_2)
	s_fmamk_f32 s1, s22, 0xcf800000, s1
	s_cvt_u32_f32 s55, s22
	s_cvt_u32_f32 s54, s1
	s_delay_alu instid0(SALU_CYCLE_3) | instskip(NEXT) | instid1(SALU_CYCLE_1)
	s_mul_u64 s[58:59], s[56:57], s[54:55]
	s_mul_hi_u32 s61, s54, s59
	s_mul_i32 s60, s54, s59
	s_mul_hi_u32 s22, s54, s58
	s_mul_i32 s35, s55, s58
	s_add_nc_u64 s[60:61], s[22:23], s[60:61]
	s_mul_hi_u32 s1, s55, s58
	s_mul_hi_u32 s53, s55, s59
	s_add_co_u32 s22, s60, s35
	s_add_co_ci_u32 s22, s61, s1
	s_mul_i32 s58, s55, s59
	s_add_co_ci_u32 s59, s53, 0
	s_delay_alu instid0(SALU_CYCLE_1) | instskip(NEXT) | instid1(SALU_CYCLE_1)
	s_add_nc_u64 s[58:59], s[22:23], s[58:59]
	s_add_co_u32 s54, s54, s58
	s_cselect_b32 s1, -1, 0
	s_delay_alu instid0(SALU_CYCLE_1) | instskip(SKIP_1) | instid1(SALU_CYCLE_1)
	s_cmp_lg_u32 s1, 0
	s_add_co_ci_u32 s55, s55, s59
	s_mul_u64 s[56:57], s[56:57], s[54:55]
	s_delay_alu instid0(SALU_CYCLE_1)
	s_mul_hi_u32 s59, s54, s57
	s_mul_i32 s58, s54, s57
	s_mul_hi_u32 s22, s54, s56
	s_mul_i32 s35, s55, s56
	s_add_nc_u64 s[58:59], s[22:23], s[58:59]
	s_mul_hi_u32 s1, s55, s56
	s_mul_hi_u32 s53, s55, s57
	s_add_co_u32 s22, s58, s35
	s_add_co_ci_u32 s22, s59, s1
	s_mul_i32 s56, s55, s57
	s_add_co_ci_u32 s57, s53, 0
	s_delay_alu instid0(SALU_CYCLE_1) | instskip(NEXT) | instid1(SALU_CYCLE_1)
	s_add_nc_u64 s[56:57], s[22:23], s[56:57]
	s_add_co_u32 s54, s54, s56
	s_cselect_b32 s1, -1, 0
	v_mul_hi_u32 v44, v36, s54
	s_cmp_lg_u32 s1, 0
	s_add_co_ci_u32 s22, s55, s57
	s_and_b64 s[56:57], s[54:55], s[24:25]
	v_mul_u64_e32 v[38:39], s[22:23], v[36:37]
	v_mul_u64_e32 v[34:35], s[56:57], v[40:41]
	;; [unrolled: 1-line block ×3, first 2 shown]
	s_delay_alu instid0(VALU_DEP_3) | instskip(NEXT) | instid1(VALU_DEP_1)
	v_add_nc_u64_e32 v[38:39], v[44:45], v[38:39]
	v_add_co_u32 v27, vcc_lo, v38, v34
	s_delay_alu instid0(VALU_DEP_2) | instskip(NEXT) | instid1(VALU_DEP_4)
	v_add_co_ci_u32_e32 v44, vcc_lo, v39, v35, vcc_lo
	v_add_co_ci_u32_e32 v43, vcc_lo, 0, v43, vcc_lo
	s_delay_alu instid0(VALU_DEP_1) | instskip(NEXT) | instid1(VALU_DEP_1)
	v_add_nc_u64_e32 v[34:35], v[44:45], v[42:43]
	v_mul_u64_e32 v[38:39], s[36:37], v[34:35]
	s_delay_alu instid0(VALU_DEP_1) | instskip(NEXT) | instid1(VALU_DEP_2)
	v_sub_nc_u32_e32 v27, v40, v39
	v_sub_co_u32 v33, vcc_lo, v36, v38
	s_delay_alu instid0(VALU_DEP_1) | instskip(NEXT) | instid1(VALU_DEP_3)
	v_sub_co_ci_u32_e64 v40, null, v40, v39, vcc_lo
	v_subrev_co_ci_u32_e64 v27, null, s37, v27, vcc_lo
	s_delay_alu instid0(VALU_DEP_3) | instskip(SKIP_1) | instid1(VALU_DEP_3)
	v_sub_co_u32 v36, s1, v33, s36
	v_add_nc_u64_e32 v[38:39], 1, v[34:35]
	v_subrev_co_ci_u32_e64 v27, null, 0, v27, s1
	s_delay_alu instid0(VALU_DEP_3) | instskip(SKIP_1) | instid1(VALU_DEP_3)
	v_cmp_le_u32_e32 vcc_lo, s36, v36
	v_cndmask_b32_e64 v36, 0, -1, vcc_lo
	v_cmp_le_u32_e32 vcc_lo, s37, v27
	v_cndmask_b32_e64 v37, 0, -1, vcc_lo
	;; [unrolled: 2-line block ×4, first 2 shown]
	v_cmp_eq_u32_e32 vcc_lo, s37, v27
	v_cndmask_b32_e32 v27, v37, v36, vcc_lo
	v_cmp_eq_u32_e32 vcc_lo, s37, v40
	v_add_nc_u64_e32 v[36:37], 2, v[34:35]
	v_cndmask_b32_e32 v33, v41, v33, vcc_lo
	s_delay_alu instid0(VALU_DEP_4) | instskip(NEXT) | instid1(VALU_DEP_2)
	v_cmp_ne_u32_e32 vcc_lo, 0, v27
	v_cmp_ne_u32_e64 s1, 0, v33
	s_delay_alu instid0(VALU_DEP_4) | instskip(NEXT) | instid1(VALU_DEP_1)
	v_dual_cndmask_b32 v27, v39, v37, vcc_lo :: v_dual_cndmask_b32 v33, v38, v36, vcc_lo
	v_dual_cndmask_b32 v34, v34, v33, s1 :: v_dual_mov_b32 v33, v32
	s_delay_alu instid0(VALU_DEP_1) | instskip(NEXT) | instid1(VALU_DEP_1)
	v_dual_cndmask_b32 v27, v35, v27, s1 :: v_dual_bitop2_b32 v34, v34, v32 bitop3:0x14
	v_xor_b32_e32 v35, v27, v32
	s_delay_alu instid0(VALU_DEP_1)
	v_sub_nc_u64_e32 v[32:33], v[34:35], v[32:33]
.LBB120_169:                            ;   in Loop: Header=BB120_167 Depth=1
	s_and_not1_saveexec_b32 s1, s50
	s_cbranch_execz .LBB120_166
; %bb.170:                              ;   in Loop: Header=BB120_167 Depth=1
	v_cvt_f32_u32_e32 v27, s30
	s_sub_co_i32 s22, 0, s30
	s_delay_alu instid0(VALU_DEP_1) | instskip(SKIP_1) | instid1(TRANS32_DEP_1)
	v_rcp_iflag_f32_e32 v27, v27
	v_nop
	v_mul_f32_e32 v27, 0x4f7ffffe, v27
	s_delay_alu instid0(VALU_DEP_1) | instskip(NEXT) | instid1(VALU_DEP_1)
	v_cvt_u32_f32_e32 v27, v27
	v_mul_lo_u32 v32, s22, v27
	s_delay_alu instid0(VALU_DEP_1) | instskip(NEXT) | instid1(VALU_DEP_1)
	v_mul_hi_u32 v32, v27, v32
	v_add_nc_u32_e32 v27, v27, v32
	s_delay_alu instid0(VALU_DEP_1) | instskip(NEXT) | instid1(VALU_DEP_1)
	v_mul_hi_u32 v27, v30, v27
	v_mul_lo_u32 v32, v27, s30
	s_delay_alu instid0(VALU_DEP_1) | instskip(NEXT) | instid1(VALU_DEP_1)
	v_dual_add_nc_u32 v33, 1, v27 :: v_dual_sub_nc_u32 v32, v30, v32
	v_subrev_nc_u32_e32 v34, s30, v32
	v_cmp_le_u32_e32 vcc_lo, s30, v32
	s_delay_alu instid0(VALU_DEP_2) | instskip(NEXT) | instid1(VALU_DEP_1)
	v_dual_cndmask_b32 v32, v32, v34 :: v_dual_cndmask_b32 v27, v27, v33
	v_cmp_le_u32_e32 vcc_lo, s30, v32
	s_delay_alu instid0(VALU_DEP_2) | instskip(NEXT) | instid1(VALU_DEP_1)
	v_add_nc_u32_e32 v33, 1, v27
	v_dual_cndmask_b32 v32, v27, v33 :: v_dual_mov_b32 v33, v26
	s_branch .LBB120_166
.LBB120_171:
	s_mov_b32 s23, -1
	s_mov_b32 s21, 0
	s_mov_b32 s1, exec_lo
	v_cmpx_gt_i64_e64 v[22:23], v[24:25]
	s_cbranch_execz .LBB120_180
; %bb.172:
	s_wait_loadcnt 0x0
	s_delay_alu instid0(VALU_DEP_2) | instskip(SKIP_1) | instid1(VALU_DEP_1)
	v_lshlrev_b64_e32 v[26:27], 3, v[28:29]
	s_xor_b32 s23, s38, -1
                                        ; implicit-def: $sgpr22
                                        ; implicit-def: $sgpr25
                                        ; implicit-def: $sgpr24
	v_lshl_add_u64 v[24:25], v[24:25], 3, v[26:27]
	v_add_nc_u64_e32 v[26:27], s[16:17], v[26:27]
	s_delay_alu instid0(VALU_DEP_2) | instskip(NEXT) | instid1(VALU_DEP_2)
	v_add_nc_u64_e32 v[24:25], s[16:17], v[24:25]
	v_lshl_add_u64 v[22:23], v[22:23], 3, v[26:27]
	s_delay_alu instid0(VALU_DEP_2)
	v_add_nc_u64_e32 v[24:25], 8, v[24:25]
	s_branch .LBB120_174
.LBB120_173:                            ;   in Loop: Header=BB120_174 Depth=1
	s_or_b32 exec_lo, exec_lo, s26
	s_delay_alu instid0(SALU_CYCLE_1) | instskip(NEXT) | instid1(SALU_CYCLE_1)
	s_and_b32 s26, exec_lo, s25
	s_or_b32 s21, s26, s21
	s_and_not1_b32 s22, s22, exec_lo
	s_and_b32 s26, s24, exec_lo
	s_delay_alu instid0(SALU_CYCLE_1)
	s_or_b32 s22, s22, s26
	s_and_not1_b32 exec_lo, exec_lo, s21
	s_cbranch_execz .LBB120_179
.LBB120_174:                            ; =>This Inner Loop Header: Depth=1
	s_or_b32 s24, s24, exec_lo
	s_or_b32 s25, s25, exec_lo
	s_mov_b32 s26, exec_lo
	s_delay_alu instid0(VALU_DEP_1)
	v_cmpx_lt_u64_e64 v[24:25], v[22:23]
	s_cbranch_execz .LBB120_173
; %bb.175:                              ;   in Loop: Header=BB120_174 Depth=1
	global_load_b128 v[26:29], v[24:25], off offset:-8
	s_wait_xcnt 0x0
	v_add_nc_u64_e32 v[24:25], 8, v[24:25]
	s_and_not1_b32 s25, s25, exec_lo
	s_and_not1_b32 s24, s24, exec_lo
	s_wait_loadcnt 0x0
	v_cmp_ge_i64_e32 vcc_lo, v[26:27], v[28:29]
	s_or_b32 s27, s23, vcc_lo
	s_delay_alu instid0(SALU_CYCLE_1) | instskip(NEXT) | instid1(SALU_CYCLE_1)
	s_and_b32 s27, s27, exec_lo
	s_or_b32 s25, s25, s27
	s_branch .LBB120_173
.LBB120_176:
	s_or_b32 exec_lo, exec_lo, s36
	s_delay_alu instid0(SALU_CYCLE_1) | instskip(SKIP_1) | instid1(SALU_CYCLE_1)
	s_and_not1_b32 s36, s54, exec_lo
	s_and_b32 s37, s37, exec_lo
	s_or_b32 s36, s36, s37
.LBB120_177:
	s_or_b32 exec_lo, exec_lo, s0
	s_delay_alu instid0(SALU_CYCLE_1)
	s_and_not1_b32 s37, s54, exec_lo
	s_and_b32 s36, s36, exec_lo
	s_mov_b32 s0, exec_lo
	s_or_b32 s54, s37, s36
	s_or_b32 exec_lo, exec_lo, s53
	s_and_saveexec_b32 s36, s54
	s_cbranch_execz .LBB120_71
.LBB120_178:
	s_or_b32 s3, s3, exec_lo
	s_and_not1_b32 s0, s0, exec_lo
	s_trap 2
	s_or_b32 exec_lo, exec_lo, s36
	s_and_saveexec_b32 s36, s0
	s_delay_alu instid0(SALU_CYCLE_1)
	s_xor_b32 s0, exec_lo, s36
	s_cbranch_execnz .LBB120_72
	s_branch .LBB120_73
.LBB120_179:
	s_or_b32 exec_lo, exec_lo, s21
	s_delay_alu instid0(SALU_CYCLE_1)
	s_mov_b32 s21, exec_lo
	s_or_not1_b32 s23, s22, exec_lo
.LBB120_180:
	s_or_b32 exec_lo, exec_lo, s1
	s_delay_alu instid0(SALU_CYCLE_1)
	s_and_b32 s22, s21, exec_lo
	s_xor_b32 s21, exec_lo, -1
	s_and_b32 s1, s23, exec_lo
.LBB120_181:
	s_or_b32 exec_lo, exec_lo, s49
	s_delay_alu instid0(SALU_CYCLE_1)
	s_and_not1_b32 s23, s44, exec_lo
	s_and_b32 s21, s21, exec_lo
	s_and_b32 s22, s22, exec_lo
	s_or_b32 s23, s23, s21
	s_xor_b32 s21, exec_lo, -1
	s_and_b32 s1, s1, exec_lo
.LBB120_182:
	s_or_b32 exec_lo, exec_lo, s48
	s_delay_alu instid0(SALU_CYCLE_1)
	s_and_not1_b32 s24, s44, exec_lo
	s_and_b32 s23, s23, exec_lo
	s_and_not1_b32 s25, s45, exec_lo
	s_and_b32 s21, s21, exec_lo
	s_and_b32 s22, s22, exec_lo
	s_or_b32 s24, s24, s23
	s_or_b32 s23, s25, s21
	s_xor_b32 s21, exec_lo, -1
	s_and_b32 s1, s1, exec_lo
.LBB120_183:
	s_or_b32 exec_lo, exec_lo, s33
	s_delay_alu instid0(SALU_CYCLE_1)
	s_and_not1_b32 s25, s44, exec_lo
	s_and_b32 s24, s24, exec_lo
	s_and_b32 s33, s22, exec_lo
	s_or_b32 s49, s25, s24
	s_and_not1_b32 s22, s45, exec_lo
	s_and_b32 s23, s23, exec_lo
	s_and_not1_b32 s24, s46, exec_lo
	s_and_b32 s21, s21, exec_lo
	s_or_b32 s50, s22, s23
	s_or_b32 s48, s24, s21
	s_or_not1_b32 s1, s1, exec_lo
.LBB120_184:
	s_or_b32 exec_lo, exec_lo, s51
	s_mov_b32 s23, 0
	s_and_saveexec_b32 s51, s1
	s_cbranch_execz .LBB120_211
; %bb.185:
	s_wait_loadcnt 0x1
	v_or_b32_e32 v22, 0x200, v0
	s_mov_b32 s25, -1
	s_mov_b32 s52, 0
	s_mov_b32 s1, s48
	;; [unrolled: 1-line block ×4, first 2 shown]
	s_mov_b32 s53, exec_lo
	v_cmpx_gt_i32_e64 s11, v22
	s_cbranch_execz .LBB120_206
; %bb.186:
	v_cmp_eq_u64_e32 vcc_lo, s[4:5], v[20:21]
	s_mov_b32 s1, -1
	s_mov_b32 s24, 0
	s_mov_b32 s25, s50
	;; [unrolled: 1-line block ×4, first 2 shown]
	s_and_b32 s22, s43, vcc_lo
	s_delay_alu instid0(SALU_CYCLE_1)
	s_and_saveexec_b32 s54, s22
	s_cbranch_execz .LBB120_205
; %bb.187:
	v_cmp_eq_u64_e32 vcc_lo, s[8:9], v[18:19]
	s_mov_b32 s22, 0
	s_mov_b32 s23, s49
	s_and_b32 s21, s41, vcc_lo
	s_delay_alu instid0(SALU_CYCLE_1)
	s_and_saveexec_b32 s55, s21
	s_cbranch_execz .LBB120_204
; %bb.188:
	v_sub_nc_u64_e32 v[18:19], v[12:13], v[14:15]
	s_mov_b32 s22, -1
	s_mov_b32 s21, 0
	s_delay_alu instid0(VALU_DEP_1) | instskip(SKIP_2) | instid1(SALU_CYCLE_1)
	v_cmp_le_i64_e32 vcc_lo, s[4:5], v[18:19]
	v_cmp_ge_i64_e64 s1, s[6:7], v[18:19]
	s_and_b32 s1, vcc_lo, s1
	s_and_b32 s23, s40, s1
	s_mov_b32 s1, 0
	s_and_saveexec_b32 s56, s23
	s_cbranch_execz .LBB120_203
; %bb.189:
	v_cmp_lt_i64_e64 s1, s[8:9], 1
	v_mov_b64_e32 v[18:19], 0
	s_xor_b32 s21, s39, -1
	s_delay_alu instid0(SALU_CYCLE_1) | instskip(NEXT) | instid1(SALU_CYCLE_1)
	s_or_b32 s1, s1, s21
	s_and_b32 vcc_lo, exec_lo, s1
	s_cbranch_vccnz .LBB120_196
; %bb.190:
	s_wait_loadcnt 0x0
	v_mul_u64_e32 v[20:21], s[8:9], v[16:17]
	s_mov_b32 s23, 0
	v_mov_b64_e32 v[18:19], 0
	s_mov_b32 s21, s23
	v_mov_b32_e32 v16, 0
	s_lshl_b64 s[28:29], s[20:21], 3
	s_mov_b64 s[24:25], 0xffffffff
	s_add_nc_u64 s[26:27], s[12:13], s[28:29]
	s_add_nc_u64 s[28:29], s[14:15], s[28:29]
	s_mov_b32 s21, s10
	s_branch .LBB120_192
.LBB120_191:                            ;   in Loop: Header=BB120_192 Depth=1
	s_or_b32 exec_lo, exec_lo, s1
	s_delay_alu instid0(VALU_DEP_1)
	v_mul_u64_e32 v[24:25], s[30:31], v[22:23]
	s_load_b64 s[30:31], s[28:29], 0x0
	s_add_co_i32 s21, s21, -1
	s_add_nc_u64 s[26:27], s[26:27], -8
	s_cmp_lg_u32 s21, 0
	s_wait_xcnt 0x0
	s_add_nc_u64 s[28:29], s[28:29], -8
	s_delay_alu instid0(VALU_DEP_1) | instskip(SKIP_1) | instid1(VALU_DEP_1)
	v_sub_nc_u64_e32 v[20:21], v[20:21], v[24:25]
	s_wait_kmcnt 0x0
	v_mad_nc_u64_u32 v[18:19], v20, s30, v[18:19]
	s_delay_alu instid0(VALU_DEP_1) | instskip(NEXT) | instid1(VALU_DEP_1)
	v_mad_u32 v17, v21, s30, v19
	v_mad_u32 v19, v20, s31, v17
	v_mov_b64_e32 v[20:21], v[22:23]
	s_cbranch_scc0 .LBB120_196
.LBB120_192:                            ; =>This Inner Loop Header: Depth=1
	s_load_b64 s[30:31], s[26:27], 0x0
                                        ; implicit-def: $vgpr22_vgpr23
	s_mov_b32 s1, exec_lo
	s_wait_kmcnt 0x0
	s_delay_alu instid0(VALU_DEP_1) | instskip(NEXT) | instid1(VALU_DEP_1)
	v_or_b32_e32 v17, s31, v21
	v_cmpx_ne_u64_e32 0, v[16:17]
	s_xor_b32 s57, exec_lo, s1
	s_cbranch_execz .LBB120_194
; %bb.193:                              ;   in Loop: Header=BB120_192 Depth=1
	s_ashr_i32 s34, s31, 31
	v_dual_mov_b32 v27, v16 :: v_dual_ashrrev_i32 v22, 31, v21
	s_mov_b32 s35, s34
	s_delay_alu instid0(SALU_CYCLE_1) | instskip(NEXT) | instid1(VALU_DEP_1)
	s_add_nc_u64 s[36:37], s[30:31], s[34:35]
	v_mov_b32_e32 v23, v22
	s_xor_b64 s[36:37], s[36:37], s[34:35]
	s_delay_alu instid0(SALU_CYCLE_1)
	s_cvt_f32_u32 s1, s36
	s_cvt_f32_u32 s22, s37
	s_sub_nc_u64 s[60:61], 0, s[36:37]
	v_add_nc_u64_e32 v[24:25], v[20:21], v[22:23]
	v_mov_b32_e32 v31, v16
	s_fmamk_f32 s1, s22, 0x4f800000, s1
	s_delay_alu instid0(SALU_CYCLE_3) | instskip(NEXT) | instid1(VALU_DEP_2)
	v_s_rcp_f32 s1, s1
	v_xor_b32_e32 v26, v24, v22
	s_delay_alu instid0(VALU_DEP_3) | instskip(SKIP_1) | instid1(TRANS32_DEP_1)
	v_dual_mov_b32 v35, v16 :: v_dual_bitop2_b32 v30, v25, v22 bitop3:0x14
	v_xor_b32_e32 v22, s34, v22
	s_mul_f32 s1, s1, 0x5f7ffffc
	s_delay_alu instid0(SALU_CYCLE_3) | instskip(NEXT) | instid1(SALU_CYCLE_3)
	s_mul_f32 s22, s1, 0x2f800000
	s_trunc_f32 s22, s22
	s_delay_alu instid0(SALU_CYCLE_3) | instskip(SKIP_1) | instid1(SALU_CYCLE_2)
	s_fmamk_f32 s1, s22, 0xcf800000, s1
	s_cvt_u32_f32 s59, s22
	s_cvt_u32_f32 s58, s1
	s_delay_alu instid0(SALU_CYCLE_3) | instskip(NEXT) | instid1(SALU_CYCLE_1)
	s_mul_u64 s[62:63], s[60:61], s[58:59]
	s_mul_hi_u32 s65, s58, s63
	s_mul_i32 s64, s58, s63
	s_mul_hi_u32 s22, s58, s62
	s_mul_i32 s35, s59, s62
	s_add_nc_u64 s[64:65], s[22:23], s[64:65]
	s_mul_hi_u32 s1, s59, s62
	s_mul_hi_u32 s66, s59, s63
	s_add_co_u32 s22, s64, s35
	s_add_co_ci_u32 s22, s65, s1
	s_mul_i32 s62, s59, s63
	s_add_co_ci_u32 s63, s66, 0
	s_delay_alu instid0(SALU_CYCLE_1) | instskip(NEXT) | instid1(SALU_CYCLE_1)
	s_add_nc_u64 s[62:63], s[22:23], s[62:63]
	s_add_co_u32 s58, s58, s62
	s_cselect_b32 s1, -1, 0
	s_delay_alu instid0(SALU_CYCLE_1) | instskip(SKIP_1) | instid1(SALU_CYCLE_1)
	s_cmp_lg_u32 s1, 0
	s_add_co_ci_u32 s59, s59, s63
	s_mul_u64 s[60:61], s[60:61], s[58:59]
	s_delay_alu instid0(SALU_CYCLE_1)
	s_mul_hi_u32 s63, s58, s61
	s_mul_i32 s62, s58, s61
	s_mul_hi_u32 s22, s58, s60
	s_mul_i32 s35, s59, s60
	s_add_nc_u64 s[62:63], s[22:23], s[62:63]
	s_mul_hi_u32 s1, s59, s60
	s_mul_hi_u32 s64, s59, s61
	s_add_co_u32 s22, s62, s35
	s_add_co_ci_u32 s22, s63, s1
	s_mul_i32 s60, s59, s61
	s_add_co_ci_u32 s61, s64, 0
	s_delay_alu instid0(SALU_CYCLE_1) | instskip(NEXT) | instid1(SALU_CYCLE_1)
	s_add_nc_u64 s[60:61], s[22:23], s[60:61]
	s_add_co_u32 s58, s58, s60
	s_cselect_b32 s1, -1, 0
	v_mul_hi_u32 v34, v26, s58
	s_cmp_lg_u32 s1, 0
	s_add_co_ci_u32 s22, s59, s61
	s_and_b64 s[60:61], s[58:59], s[24:25]
	v_mul_u64_e32 v[28:29], s[22:23], v[26:27]
	v_mul_u64_e32 v[24:25], s[60:61], v[30:31]
	;; [unrolled: 1-line block ×3, first 2 shown]
	s_delay_alu instid0(VALU_DEP_3) | instskip(NEXT) | instid1(VALU_DEP_1)
	v_add_nc_u64_e32 v[28:29], v[34:35], v[28:29]
	v_add_co_u32 v17, vcc_lo, v28, v24
	s_delay_alu instid0(VALU_DEP_2) | instskip(NEXT) | instid1(VALU_DEP_4)
	v_add_co_ci_u32_e32 v34, vcc_lo, v29, v25, vcc_lo
	v_add_co_ci_u32_e32 v33, vcc_lo, 0, v33, vcc_lo
	s_delay_alu instid0(VALU_DEP_1) | instskip(NEXT) | instid1(VALU_DEP_1)
	v_add_nc_u64_e32 v[24:25], v[34:35], v[32:33]
	v_mul_u64_e32 v[28:29], s[36:37], v[24:25]
	s_delay_alu instid0(VALU_DEP_1) | instskip(NEXT) | instid1(VALU_DEP_2)
	v_sub_nc_u32_e32 v17, v30, v29
	v_sub_co_u32 v23, vcc_lo, v26, v28
	s_delay_alu instid0(VALU_DEP_1) | instskip(NEXT) | instid1(VALU_DEP_3)
	v_sub_co_ci_u32_e64 v30, null, v30, v29, vcc_lo
	v_subrev_co_ci_u32_e64 v17, null, s37, v17, vcc_lo
	s_delay_alu instid0(VALU_DEP_3) | instskip(SKIP_1) | instid1(VALU_DEP_3)
	v_sub_co_u32 v26, s1, v23, s36
	v_add_nc_u64_e32 v[28:29], 1, v[24:25]
	v_subrev_co_ci_u32_e64 v17, null, 0, v17, s1
	s_delay_alu instid0(VALU_DEP_3) | instskip(SKIP_1) | instid1(VALU_DEP_3)
	v_cmp_le_u32_e32 vcc_lo, s36, v26
	v_cndmask_b32_e64 v26, 0, -1, vcc_lo
	v_cmp_le_u32_e32 vcc_lo, s37, v17
	v_cndmask_b32_e64 v27, 0, -1, vcc_lo
	;; [unrolled: 2-line block ×4, first 2 shown]
	v_cmp_eq_u32_e32 vcc_lo, s37, v17
	v_cndmask_b32_e32 v17, v27, v26, vcc_lo
	v_cmp_eq_u32_e32 vcc_lo, s37, v30
	v_add_nc_u64_e32 v[26:27], 2, v[24:25]
	v_cndmask_b32_e32 v23, v31, v23, vcc_lo
	s_delay_alu instid0(VALU_DEP_4) | instskip(NEXT) | instid1(VALU_DEP_2)
	v_cmp_ne_u32_e32 vcc_lo, 0, v17
	v_cmp_ne_u32_e64 s1, 0, v23
	s_delay_alu instid0(VALU_DEP_4) | instskip(NEXT) | instid1(VALU_DEP_1)
	v_dual_cndmask_b32 v17, v29, v27, vcc_lo :: v_dual_cndmask_b32 v23, v28, v26, vcc_lo
	v_dual_cndmask_b32 v24, v24, v23, s1 :: v_dual_mov_b32 v23, v22
	s_delay_alu instid0(VALU_DEP_1) | instskip(NEXT) | instid1(VALU_DEP_1)
	v_dual_cndmask_b32 v17, v25, v17, s1 :: v_dual_bitop2_b32 v24, v24, v22 bitop3:0x14
	v_xor_b32_e32 v25, v17, v22
	s_delay_alu instid0(VALU_DEP_1)
	v_sub_nc_u64_e32 v[22:23], v[24:25], v[22:23]
.LBB120_194:                            ;   in Loop: Header=BB120_192 Depth=1
	s_and_not1_saveexec_b32 s1, s57
	s_cbranch_execz .LBB120_191
; %bb.195:                              ;   in Loop: Header=BB120_192 Depth=1
	v_cvt_f32_u32_e32 v17, s30
	s_sub_co_i32 s22, 0, s30
	s_delay_alu instid0(VALU_DEP_1) | instskip(SKIP_1) | instid1(TRANS32_DEP_1)
	v_rcp_iflag_f32_e32 v17, v17
	v_nop
	v_mul_f32_e32 v17, 0x4f7ffffe, v17
	s_delay_alu instid0(VALU_DEP_1) | instskip(NEXT) | instid1(VALU_DEP_1)
	v_cvt_u32_f32_e32 v17, v17
	v_mul_lo_u32 v22, s22, v17
	s_delay_alu instid0(VALU_DEP_1) | instskip(NEXT) | instid1(VALU_DEP_1)
	v_mul_hi_u32 v22, v17, v22
	v_add_nc_u32_e32 v17, v17, v22
	s_delay_alu instid0(VALU_DEP_1) | instskip(NEXT) | instid1(VALU_DEP_1)
	v_mul_hi_u32 v17, v20, v17
	v_mul_lo_u32 v22, v17, s30
	s_delay_alu instid0(VALU_DEP_1) | instskip(NEXT) | instid1(VALU_DEP_1)
	v_dual_add_nc_u32 v23, 1, v17 :: v_dual_sub_nc_u32 v22, v20, v22
	v_subrev_nc_u32_e32 v24, s30, v22
	v_cmp_le_u32_e32 vcc_lo, s30, v22
	s_delay_alu instid0(VALU_DEP_2) | instskip(NEXT) | instid1(VALU_DEP_1)
	v_dual_cndmask_b32 v22, v22, v24 :: v_dual_cndmask_b32 v17, v17, v23
	v_cmp_le_u32_e32 vcc_lo, s30, v22
	s_delay_alu instid0(VALU_DEP_2) | instskip(NEXT) | instid1(VALU_DEP_1)
	v_add_nc_u32_e32 v23, 1, v17
	v_dual_cndmask_b32 v22, v17, v23 :: v_dual_mov_b32 v23, v16
	s_branch .LBB120_191
.LBB120_196:
	s_mov_b32 s21, -1
	s_mov_b32 s23, 0
	s_mov_b32 s1, exec_lo
	v_cmpx_gt_i64_e64 v[12:13], v[14:15]
	s_cbranch_execz .LBB120_202
; %bb.197:
	s_wait_loadcnt 0x0
	s_delay_alu instid0(VALU_DEP_2) | instskip(SKIP_2) | instid1(VALU_DEP_1)
	v_lshlrev_b64_e32 v[16:17], 3, v[18:19]
	s_mov_b32 s21, 0
	s_xor_b32 s23, s38, -1
                                        ; implicit-def: $sgpr22
                                        ; implicit-def: $sgpr25
                                        ; implicit-def: $sgpr24
	v_lshl_add_u64 v[14:15], v[14:15], 3, v[16:17]
	v_add_nc_u64_e32 v[16:17], s[16:17], v[16:17]
	s_delay_alu instid0(VALU_DEP_2) | instskip(NEXT) | instid1(VALU_DEP_2)
	v_add_nc_u64_e32 v[14:15], s[16:17], v[14:15]
	v_lshl_add_u64 v[12:13], v[12:13], 3, v[16:17]
	s_delay_alu instid0(VALU_DEP_2)
	v_add_nc_u64_e32 v[14:15], 8, v[14:15]
	s_branch .LBB120_199
.LBB120_198:                            ;   in Loop: Header=BB120_199 Depth=1
	s_or_b32 exec_lo, exec_lo, s26
	s_delay_alu instid0(SALU_CYCLE_1) | instskip(NEXT) | instid1(SALU_CYCLE_1)
	s_and_b32 s26, exec_lo, s25
	s_or_b32 s21, s26, s21
	s_and_not1_b32 s22, s22, exec_lo
	s_and_b32 s26, s24, exec_lo
	s_delay_alu instid0(SALU_CYCLE_1)
	s_or_b32 s22, s22, s26
	s_and_not1_b32 exec_lo, exec_lo, s21
	s_cbranch_execz .LBB120_201
.LBB120_199:                            ; =>This Inner Loop Header: Depth=1
	s_or_b32 s24, s24, exec_lo
	s_or_b32 s25, s25, exec_lo
	s_mov_b32 s26, exec_lo
	s_delay_alu instid0(VALU_DEP_1)
	v_cmpx_lt_u64_e64 v[14:15], v[12:13]
	s_cbranch_execz .LBB120_198
; %bb.200:                              ;   in Loop: Header=BB120_199 Depth=1
	global_load_b128 v[16:19], v[14:15], off offset:-8
	s_wait_xcnt 0x0
	v_add_nc_u64_e32 v[14:15], 8, v[14:15]
	s_and_not1_b32 s25, s25, exec_lo
	s_and_not1_b32 s24, s24, exec_lo
	s_wait_loadcnt 0x0
	v_cmp_ge_i64_e32 vcc_lo, v[16:17], v[18:19]
	s_or_b32 s27, s23, vcc_lo
	s_delay_alu instid0(SALU_CYCLE_1) | instskip(NEXT) | instid1(SALU_CYCLE_1)
	s_and_b32 s27, s27, exec_lo
	s_or_b32 s25, s25, s27
	s_branch .LBB120_198
.LBB120_201:
	s_or_b32 exec_lo, exec_lo, s21
	s_delay_alu instid0(SALU_CYCLE_1)
	s_mov_b32 s23, exec_lo
	s_or_not1_b32 s21, s22, exec_lo
.LBB120_202:
	s_or_b32 exec_lo, exec_lo, s1
	s_delay_alu instid0(SALU_CYCLE_1)
	s_and_b32 s1, s23, exec_lo
	s_xor_b32 s22, exec_lo, -1
	s_and_b32 s21, s21, exec_lo
.LBB120_203:
	s_or_b32 exec_lo, exec_lo, s56
	s_delay_alu instid0(SALU_CYCLE_1)
	s_and_not1_b32 s23, s49, exec_lo
	s_and_b32 s22, s22, exec_lo
	s_and_b32 s24, s1, exec_lo
	s_or_b32 s23, s23, s22
	s_xor_b32 s1, exec_lo, -1
	s_and_b32 s22, s21, exec_lo
.LBB120_204:
	s_or_b32 exec_lo, exec_lo, s55
	s_delay_alu instid0(SALU_CYCLE_1)
	s_and_b32 s21, s24, exec_lo
	s_and_not1_b32 s24, s49, exec_lo
	s_and_b32 s23, s23, exec_lo
	s_and_not1_b32 s25, s50, exec_lo
	s_and_b32 s1, s1, exec_lo
	s_or_b32 s23, s24, s23
	s_or_b32 s25, s25, s1
	s_xor_b32 s1, exec_lo, -1
	s_and_b32 s24, s22, exec_lo
.LBB120_205:
	s_or_b32 exec_lo, exec_lo, s54
	s_delay_alu instid0(SALU_CYCLE_1)
	s_and_not1_b32 s22, s49, exec_lo
	s_and_b32 s26, s23, exec_lo
	s_and_b32 s23, s21, exec_lo
	s_or_b32 s21, s22, s26
	s_and_not1_b32 s22, s50, exec_lo
	s_and_b32 s25, s25, exec_lo
	s_and_not1_b32 s26, s48, exec_lo
	s_and_b32 s1, s1, exec_lo
	s_or_b32 s22, s22, s25
	s_or_b32 s1, s26, s1
	s_or_not1_b32 s25, s24, exec_lo
.LBB120_206:
	s_or_b32 exec_lo, exec_lo, s53
	s_mov_b32 s26, 0
	s_and_saveexec_b32 s24, s25
	s_cbranch_execz .LBB120_210
; %bb.207:
	v_or_b32_e32 v12, 0x300, v0
	s_mov_b32 s25, 0
	s_mov_b32 s26, -1
	s_mov_b32 s27, s1
	s_mov_b32 s28, exec_lo
	v_cmpx_gt_i32_e64 s11, v12
	s_xor_b32 s28, exec_lo, s28
; %bb.208:
	v_cmp_ne_u64_e32 vcc_lo, s[4:5], v[10:11]
	s_xor_b32 s26, s43, -1
	s_and_not1_b32 s27, s1, exec_lo
	s_mov_b32 s25, exec_lo
	s_or_b32 s26, s26, vcc_lo
	s_delay_alu instid0(SALU_CYCLE_1)
	s_and_b32 s29, s26, exec_lo
	s_xor_b32 s26, exec_lo, -1
	s_or_b32 s27, s27, s29
; %bb.209:
	s_or_b32 exec_lo, exec_lo, s28
	s_delay_alu instid0(SALU_CYCLE_1)
	s_and_not1_b32 s1, s1, exec_lo
	s_and_b32 s27, s27, exec_lo
	s_and_b32 s26, s26, exec_lo
	s_and_not1_b32 s23, s23, exec_lo
	s_and_b32 s52, s25, exec_lo
	s_or_b32 s1, s1, s27
.LBB120_210:
	s_or_b32 exec_lo, exec_lo, s24
	s_delay_alu instid0(SALU_CYCLE_1)
	s_and_not1_b32 s24, s33, exec_lo
	s_and_b32 s25, s23, exec_lo
	s_and_b32 s21, s21, exec_lo
	s_or_b32 s33, s24, s25
	s_and_not1_b32 s24, s49, exec_lo
	s_and_not1_b32 s25, s50, exec_lo
	s_and_b32 s22, s22, exec_lo
	s_or_b32 s49, s24, s21
	s_and_not1_b32 s21, s48, exec_lo
	s_and_b32 s1, s1, exec_lo
	s_and_b32 s23, s26, exec_lo
	s_or_b32 s50, s25, s22
	s_and_b32 s52, s52, exec_lo
	s_or_b32 s48, s21, s1
.LBB120_211:
	s_or_b32 exec_lo, exec_lo, s51
	s_delay_alu instid0(SALU_CYCLE_1)
	s_and_not1_b32 s1, s42, exec_lo
	s_and_b32 s21, s33, exec_lo
	s_and_b32 s33, s23, exec_lo
	s_or_b32 s42, s1, s21
	s_and_not1_b32 s1, s44, exec_lo
	s_and_b32 s21, s49, exec_lo
	s_and_not1_b32 s22, s45, exec_lo
	s_and_b32 s23, s50, exec_lo
	s_or_b32 s44, s1, s21
	s_and_not1_b32 s1, s46, exec_lo
	s_and_b32 s21, s48, exec_lo
	s_or_b32 s45, s22, s23
	s_and_b32 s48, s52, exec_lo
	s_or_b32 s46, s1, s21
	s_or_b32 exec_lo, exec_lo, s47
	s_and_saveexec_b32 s1, s46
	s_cbranch_execz .LBB120_89
.LBB120_212:
	s_or_b32 s3, s3, exec_lo
	s_and_not1_b32 s48, s48, exec_lo
	s_trap 2
	s_branch .LBB120_89
.LBB120_213:
	s_or_b32 s3, s3, exec_lo
	s_trap 2
	s_branch .LBB120_76
.LBB120_214:
	s_or_b32 s3, s3, exec_lo
	s_and_not1_b32 s1, s1, exec_lo
	s_trap 2
	s_branch .LBB120_92
.LBB120_215:
	s_mov_b32 s3, exec_lo
	s_and_not1_b32 s0, s0, exec_lo
	s_trap 2
	s_branch .LBB120_67
	.section	.rodata,"a",@progbits
	.p2align	6, 0x0
	.amdhsa_kernel _ZN2at6native29vectorized_elementwise_kernelILi16EZZZNS0_12_GLOBAL__N_142_validate_compressed_sparse_indices_kernelILNS2_8CDimNameE1ENS2_18CUDAKernelLauncherENS2_14EmptyVecKernelENS2_8DummyVecELm0EEEvRKNS_6TensorESA_lllENKUlvE1_clEvENKUlvE0_clEvEUllllllE_St5arrayIPcLm6EEEEviT0_T1_
		.amdhsa_group_segment_fixed_size 0
		.amdhsa_private_segment_fixed_size 0
		.amdhsa_kernarg_size 112
		.amdhsa_user_sgpr_count 2
		.amdhsa_user_sgpr_dispatch_ptr 0
		.amdhsa_user_sgpr_queue_ptr 0
		.amdhsa_user_sgpr_kernarg_segment_ptr 1
		.amdhsa_user_sgpr_dispatch_id 0
		.amdhsa_user_sgpr_kernarg_preload_length 0
		.amdhsa_user_sgpr_kernarg_preload_offset 0
		.amdhsa_user_sgpr_private_segment_size 0
		.amdhsa_wavefront_size32 1
		.amdhsa_uses_dynamic_stack 0
		.amdhsa_enable_private_segment 0
		.amdhsa_system_sgpr_workgroup_id_x 1
		.amdhsa_system_sgpr_workgroup_id_y 0
		.amdhsa_system_sgpr_workgroup_id_z 0
		.amdhsa_system_sgpr_workgroup_info 0
		.amdhsa_system_vgpr_workitem_id 0
		.amdhsa_next_free_vgpr 58
		.amdhsa_next_free_sgpr 76
		.amdhsa_named_barrier_count 0
		.amdhsa_reserve_vcc 1
		.amdhsa_float_round_mode_32 0
		.amdhsa_float_round_mode_16_64 0
		.amdhsa_float_denorm_mode_32 3
		.amdhsa_float_denorm_mode_16_64 3
		.amdhsa_fp16_overflow 0
		.amdhsa_memory_ordered 1
		.amdhsa_forward_progress 1
		.amdhsa_inst_pref_size 103
		.amdhsa_round_robin_scheduling 0
		.amdhsa_exception_fp_ieee_invalid_op 0
		.amdhsa_exception_fp_denorm_src 0
		.amdhsa_exception_fp_ieee_div_zero 0
		.amdhsa_exception_fp_ieee_overflow 0
		.amdhsa_exception_fp_ieee_underflow 0
		.amdhsa_exception_fp_ieee_inexact 0
		.amdhsa_exception_int_div_zero 0
	.end_amdhsa_kernel
	.section	.text._ZN2at6native29vectorized_elementwise_kernelILi16EZZZNS0_12_GLOBAL__N_142_validate_compressed_sparse_indices_kernelILNS2_8CDimNameE1ENS2_18CUDAKernelLauncherENS2_14EmptyVecKernelENS2_8DummyVecELm0EEEvRKNS_6TensorESA_lllENKUlvE1_clEvENKUlvE0_clEvEUllllllE_St5arrayIPcLm6EEEEviT0_T1_,"axG",@progbits,_ZN2at6native29vectorized_elementwise_kernelILi16EZZZNS0_12_GLOBAL__N_142_validate_compressed_sparse_indices_kernelILNS2_8CDimNameE1ENS2_18CUDAKernelLauncherENS2_14EmptyVecKernelENS2_8DummyVecELm0EEEvRKNS_6TensorESA_lllENKUlvE1_clEvENKUlvE0_clEvEUllllllE_St5arrayIPcLm6EEEEviT0_T1_,comdat
.Lfunc_end120:
	.size	_ZN2at6native29vectorized_elementwise_kernelILi16EZZZNS0_12_GLOBAL__N_142_validate_compressed_sparse_indices_kernelILNS2_8CDimNameE1ENS2_18CUDAKernelLauncherENS2_14EmptyVecKernelENS2_8DummyVecELm0EEEvRKNS_6TensorESA_lllENKUlvE1_clEvENKUlvE0_clEvEUllllllE_St5arrayIPcLm6EEEEviT0_T1_, .Lfunc_end120-_ZN2at6native29vectorized_elementwise_kernelILi16EZZZNS0_12_GLOBAL__N_142_validate_compressed_sparse_indices_kernelILNS2_8CDimNameE1ENS2_18CUDAKernelLauncherENS2_14EmptyVecKernelENS2_8DummyVecELm0EEEvRKNS_6TensorESA_lllENKUlvE1_clEvENKUlvE0_clEvEUllllllE_St5arrayIPcLm6EEEEviT0_T1_
                                        ; -- End function
	.set _ZN2at6native29vectorized_elementwise_kernelILi16EZZZNS0_12_GLOBAL__N_142_validate_compressed_sparse_indices_kernelILNS2_8CDimNameE1ENS2_18CUDAKernelLauncherENS2_14EmptyVecKernelENS2_8DummyVecELm0EEEvRKNS_6TensorESA_lllENKUlvE1_clEvENKUlvE0_clEvEUllllllE_St5arrayIPcLm6EEEEviT0_T1_.num_vgpr, 58
	.set _ZN2at6native29vectorized_elementwise_kernelILi16EZZZNS0_12_GLOBAL__N_142_validate_compressed_sparse_indices_kernelILNS2_8CDimNameE1ENS2_18CUDAKernelLauncherENS2_14EmptyVecKernelENS2_8DummyVecELm0EEEvRKNS_6TensorESA_lllENKUlvE1_clEvENKUlvE0_clEvEUllllllE_St5arrayIPcLm6EEEEviT0_T1_.num_agpr, 0
	.set _ZN2at6native29vectorized_elementwise_kernelILi16EZZZNS0_12_GLOBAL__N_142_validate_compressed_sparse_indices_kernelILNS2_8CDimNameE1ENS2_18CUDAKernelLauncherENS2_14EmptyVecKernelENS2_8DummyVecELm0EEEvRKNS_6TensorESA_lllENKUlvE1_clEvENKUlvE0_clEvEUllllllE_St5arrayIPcLm6EEEEviT0_T1_.numbered_sgpr, 76
	.set _ZN2at6native29vectorized_elementwise_kernelILi16EZZZNS0_12_GLOBAL__N_142_validate_compressed_sparse_indices_kernelILNS2_8CDimNameE1ENS2_18CUDAKernelLauncherENS2_14EmptyVecKernelENS2_8DummyVecELm0EEEvRKNS_6TensorESA_lllENKUlvE1_clEvENKUlvE0_clEvEUllllllE_St5arrayIPcLm6EEEEviT0_T1_.num_named_barrier, 0
	.set _ZN2at6native29vectorized_elementwise_kernelILi16EZZZNS0_12_GLOBAL__N_142_validate_compressed_sparse_indices_kernelILNS2_8CDimNameE1ENS2_18CUDAKernelLauncherENS2_14EmptyVecKernelENS2_8DummyVecELm0EEEvRKNS_6TensorESA_lllENKUlvE1_clEvENKUlvE0_clEvEUllllllE_St5arrayIPcLm6EEEEviT0_T1_.private_seg_size, 0
	.set _ZN2at6native29vectorized_elementwise_kernelILi16EZZZNS0_12_GLOBAL__N_142_validate_compressed_sparse_indices_kernelILNS2_8CDimNameE1ENS2_18CUDAKernelLauncherENS2_14EmptyVecKernelENS2_8DummyVecELm0EEEvRKNS_6TensorESA_lllENKUlvE1_clEvENKUlvE0_clEvEUllllllE_St5arrayIPcLm6EEEEviT0_T1_.uses_vcc, 1
	.set _ZN2at6native29vectorized_elementwise_kernelILi16EZZZNS0_12_GLOBAL__N_142_validate_compressed_sparse_indices_kernelILNS2_8CDimNameE1ENS2_18CUDAKernelLauncherENS2_14EmptyVecKernelENS2_8DummyVecELm0EEEvRKNS_6TensorESA_lllENKUlvE1_clEvENKUlvE0_clEvEUllllllE_St5arrayIPcLm6EEEEviT0_T1_.uses_flat_scratch, 0
	.set _ZN2at6native29vectorized_elementwise_kernelILi16EZZZNS0_12_GLOBAL__N_142_validate_compressed_sparse_indices_kernelILNS2_8CDimNameE1ENS2_18CUDAKernelLauncherENS2_14EmptyVecKernelENS2_8DummyVecELm0EEEvRKNS_6TensorESA_lllENKUlvE1_clEvENKUlvE0_clEvEUllllllE_St5arrayIPcLm6EEEEviT0_T1_.has_dyn_sized_stack, 0
	.set _ZN2at6native29vectorized_elementwise_kernelILi16EZZZNS0_12_GLOBAL__N_142_validate_compressed_sparse_indices_kernelILNS2_8CDimNameE1ENS2_18CUDAKernelLauncherENS2_14EmptyVecKernelENS2_8DummyVecELm0EEEvRKNS_6TensorESA_lllENKUlvE1_clEvENKUlvE0_clEvEUllllllE_St5arrayIPcLm6EEEEviT0_T1_.has_recursion, 0
	.set _ZN2at6native29vectorized_elementwise_kernelILi16EZZZNS0_12_GLOBAL__N_142_validate_compressed_sparse_indices_kernelILNS2_8CDimNameE1ENS2_18CUDAKernelLauncherENS2_14EmptyVecKernelENS2_8DummyVecELm0EEEvRKNS_6TensorESA_lllENKUlvE1_clEvENKUlvE0_clEvEUllllllE_St5arrayIPcLm6EEEEviT0_T1_.has_indirect_call, 0
	.section	.AMDGPU.csdata,"",@progbits
; Kernel info:
; codeLenInByte = 13128
; TotalNumSgprs: 78
; NumVgprs: 58
; ScratchSize: 0
; MemoryBound: 1
; FloatMode: 240
; IeeeMode: 1
; LDSByteSize: 0 bytes/workgroup (compile time only)
; SGPRBlocks: 0
; VGPRBlocks: 3
; NumSGPRsForWavesPerEU: 78
; NumVGPRsForWavesPerEU: 58
; NamedBarCnt: 0
; Occupancy: 16
; WaveLimiterHint : 0
; COMPUTE_PGM_RSRC2:SCRATCH_EN: 0
; COMPUTE_PGM_RSRC2:USER_SGPR: 2
; COMPUTE_PGM_RSRC2:TRAP_HANDLER: 0
; COMPUTE_PGM_RSRC2:TGID_X_EN: 1
; COMPUTE_PGM_RSRC2:TGID_Y_EN: 0
; COMPUTE_PGM_RSRC2:TGID_Z_EN: 0
; COMPUTE_PGM_RSRC2:TIDIG_COMP_CNT: 0
	.section	.text._ZN2at6native29vectorized_elementwise_kernelILi8EZZZNS0_12_GLOBAL__N_142_validate_compressed_sparse_indices_kernelILNS2_8CDimNameE1ENS2_18CUDAKernelLauncherENS2_14EmptyVecKernelENS2_8DummyVecELm0EEEvRKNS_6TensorESA_lllENKUlvE1_clEvENKUlvE0_clEvEUllllllE_St5arrayIPcLm6EEEEviT0_T1_,"axG",@progbits,_ZN2at6native29vectorized_elementwise_kernelILi8EZZZNS0_12_GLOBAL__N_142_validate_compressed_sparse_indices_kernelILNS2_8CDimNameE1ENS2_18CUDAKernelLauncherENS2_14EmptyVecKernelENS2_8DummyVecELm0EEEvRKNS_6TensorESA_lllENKUlvE1_clEvENKUlvE0_clEvEUllllllE_St5arrayIPcLm6EEEEviT0_T1_,comdat
	.globl	_ZN2at6native29vectorized_elementwise_kernelILi8EZZZNS0_12_GLOBAL__N_142_validate_compressed_sparse_indices_kernelILNS2_8CDimNameE1ENS2_18CUDAKernelLauncherENS2_14EmptyVecKernelENS2_8DummyVecELm0EEEvRKNS_6TensorESA_lllENKUlvE1_clEvENKUlvE0_clEvEUllllllE_St5arrayIPcLm6EEEEviT0_T1_ ; -- Begin function _ZN2at6native29vectorized_elementwise_kernelILi8EZZZNS0_12_GLOBAL__N_142_validate_compressed_sparse_indices_kernelILNS2_8CDimNameE1ENS2_18CUDAKernelLauncherENS2_14EmptyVecKernelENS2_8DummyVecELm0EEEvRKNS_6TensorESA_lllENKUlvE1_clEvENKUlvE0_clEvEUllllllE_St5arrayIPcLm6EEEEviT0_T1_
	.p2align	8
	.type	_ZN2at6native29vectorized_elementwise_kernelILi8EZZZNS0_12_GLOBAL__N_142_validate_compressed_sparse_indices_kernelILNS2_8CDimNameE1ENS2_18CUDAKernelLauncherENS2_14EmptyVecKernelENS2_8DummyVecELm0EEEvRKNS_6TensorESA_lllENKUlvE1_clEvENKUlvE0_clEvEUllllllE_St5arrayIPcLm6EEEEviT0_T1_,@function
_ZN2at6native29vectorized_elementwise_kernelILi8EZZZNS0_12_GLOBAL__N_142_validate_compressed_sparse_indices_kernelILNS2_8CDimNameE1ENS2_18CUDAKernelLauncherENS2_14EmptyVecKernelENS2_8DummyVecELm0EEEvRKNS_6TensorESA_lllENKUlvE1_clEvENKUlvE0_clEvEUllllllE_St5arrayIPcLm6EEEEviT0_T1_: ; @_ZN2at6native29vectorized_elementwise_kernelILi8EZZZNS0_12_GLOBAL__N_142_validate_compressed_sparse_indices_kernelILNS2_8CDimNameE1ENS2_18CUDAKernelLauncherENS2_14EmptyVecKernelENS2_8DummyVecELm0EEEvRKNS_6TensorESA_lllENKUlvE1_clEvENKUlvE0_clEvEUllllllE_St5arrayIPcLm6EEEEviT0_T1_
; %bb.0:
	s_clause 0x3
	s_load_b32 s3, s[0:1], 0x0
	s_load_b512 s[4:19], s[0:1], 0x8
	s_load_b64 s[28:29], s[0:1], 0x68
	s_load_b256 s[20:27], s[0:1], 0x48
	s_wait_xcnt 0x0
	s_bfe_u32 s0, ttmp6, 0x4000c
	s_and_b32 s1, ttmp6, 15
	s_add_co_i32 s0, s0, 1
	s_getreg_b32 s2, hwreg(HW_REG_IB_STS2, 6, 4)
	s_mul_i32 s0, ttmp9, s0
	s_mov_b32 s33, 0
	s_add_co_i32 s1, s1, s0
	s_cmp_eq_u32 s2, 0
	s_get_pc_i64 s[30:31]
	s_add_nc_u64 s[30:31], s[30:31], .str.6@rel64+4
	s_cselect_b32 s0, ttmp9, s1
	s_delay_alu instid0(SALU_CYCLE_1)
	s_lshl_b32 s2, s0, 10
	s_mov_b32 s0, -1
	s_wait_kmcnt 0x0
	s_sub_co_i32 s11, s3, s2
	s_mov_b32 s3, 0
	s_cmp_gt_i32 s11, 0x3ff
	s_cbranch_scc0 .LBB121_77
; %bb.1:
	s_cmp_eq_u64 s[30:31], 0
	s_cselect_b32 s0, -1, 0
	s_cmp_lg_u64 s[30:31], 0
	s_cbranch_scc0 .LBB121_75
; %bb.2:
	s_ashr_i32 s3, s2, 31
	v_lshlrev_b32_e32 v36, 5, v0
	s_lshl_b64 s[34:35], s[2:3], 3
	s_mov_b32 s0, -1
	s_add_nc_u64 s[38:39], s[20:21], s[34:35]
	s_mov_b32 s3, 0
	global_load_b64 v[2:3], v36, s[38:39]
	s_mov_b32 s50, exec_lo
	s_wait_loadcnt 0x0
	v_cmpx_eq_u64_e64 s[4:5], v[2:3]
	s_cbranch_execz .LBB121_74
; %bb.3:
	s_add_nc_u64 s[0:1], s[22:23], s[34:35]
	s_get_pc_i64 s[36:37]
	s_add_nc_u64 s[36:37], s[36:37], .str.7@rel64+4
	s_clause 0x1
	global_load_b128 v[32:35], v36, s[0:1]
	global_load_b128 v[26:29], v36, s[0:1] offset:16
	s_cmp_lg_u64 s[36:37], 0
	v_mov_b32_e32 v37, 0
	s_wait_xcnt 0x0
	s_cselect_b32 s1, -1, 0
	s_mov_b32 s40, -1
	s_mov_b32 s0, 0
	s_mov_b32 s37, 0
	s_mov_b32 s54, 0
                                        ; implicit-def: $sgpr51
                                        ; implicit-def: $sgpr52
                                        ; implicit-def: $sgpr36
                                        ; implicit-def: $sgpr55
                                        ; implicit-def: $vgpr18_vgpr19_vgpr20_vgpr21_vgpr22_vgpr23_vgpr24_vgpr25
                                        ; implicit-def: $vgpr2_vgpr3_vgpr4_vgpr5_vgpr6_vgpr7_vgpr8_vgpr9
                                        ; implicit-def: $vgpr10_vgpr11_vgpr12_vgpr13_vgpr14_vgpr15_vgpr16_vgpr17
	s_wait_loadcnt 0x1
	v_cmp_eq_u64_e32 vcc_lo, s[8:9], v[32:33]
	s_and_b32 s41, s1, vcc_lo
	s_mov_b32 s1, 0
	s_and_saveexec_b32 s53, s41
	s_cbranch_execz .LBB121_66
; %bb.4:
	s_add_nc_u64 s[0:1], s[26:27], s[34:35]
	s_add_nc_u64 s[36:37], s[24:25], s[34:35]
	s_clause 0x3
	global_load_b128 v[10:13], v36, s[0:1]
	global_load_b128 v[30:33], v36, s[36:37]
	global_load_b128 v[14:17], v36, s[36:37] offset:16
	global_load_b128 v[6:9], v36, s[0:1] offset:16
	s_get_pc_i64 s[42:43]
	s_add_nc_u64 s[42:43], s[42:43], .str.8@rel64+4
	s_wait_xcnt 0x1
	s_mov_b32 s37, -1
	s_cmp_lg_u64 s[42:43], 0
	s_mov_b32 s40, 0
	s_wait_xcnt 0x0
	s_cselect_b32 s1, -1, 0
	s_mov_b32 s41, 0
	s_mov_b32 s42, 0
                                        ; implicit-def: $sgpr51
                                        ; implicit-def: $sgpr52
                                        ; implicit-def: $sgpr36
                                        ; implicit-def: $vgpr18_vgpr19_vgpr20_vgpr21_vgpr22_vgpr23_vgpr24_vgpr25
	s_wait_loadcnt 0x2
	v_sub_nc_u64_e32 v[2:3], v[10:11], v[30:31]
	s_delay_alu instid0(VALU_DEP_1) | instskip(SKIP_2) | instid1(SALU_CYCLE_1)
	v_cmp_le_i64_e32 vcc_lo, s[4:5], v[2:3]
	v_cmp_ge_i64_e64 s0, s[6:7], v[2:3]
	s_and_b32 s0, vcc_lo, s0
	s_and_b32 s0, s1, s0
	s_mov_b32 s1, 0
	s_and_saveexec_b32 s54, s0
	s_cbranch_execz .LBB121_65
; %bb.5:
	v_add_nc_u64_e32 v[40:41], s[38:39], v[36:37]
	s_add_nc_u64 s[0:1], s[28:29], s[34:35]
	s_add_co_i32 s36, s10, -1
	s_clause 0x1
	global_load_b64 v[38:39], v[40:41], off offset:24
	global_load_b128 v[2:5], v[40:41], off offset:8
	s_clause 0x1
	global_load_b128 v[22:25], v36, s[0:1] offset:16
	global_load_b128 v[18:21], v36, s[0:1]
	s_wait_xcnt 0x0
	v_cmp_gt_i64_e64 s0, s[8:9], 0
	s_cmp_gt_i32 s36, -1
	v_mov_b64_e32 v[40:41], 0
	s_cselect_b32 s1, -1, 0
	s_delay_alu instid0(SALU_CYCLE_1) | instskip(NEXT) | instid1(SALU_CYCLE_1)
	s_and_b32 s52, s0, s1
	s_and_not1_b32 vcc_lo, exec_lo, s52
	s_cbranch_vccnz .LBB121_12
; %bb.6:
	s_wait_loadcnt 0x0
	v_mul_u64_e32 v[42:43], s[8:9], v[18:19]
	s_mov_b32 s1, 0
	v_mov_b64_e32 v[40:41], 0
	s_mov_b32 s37, s1
	v_mov_b32_e32 v18, 0
	s_lshl_b64 s[42:43], s[36:37], 3
	s_mov_b64 s[38:39], 0xffffffff
	s_add_nc_u64 s[40:41], s[12:13], s[42:43]
	s_add_nc_u64 s[42:43], s[14:15], s[42:43]
	s_mov_b32 s37, s10
	s_branch .LBB121_8
.LBB121_7:                              ;   in Loop: Header=BB121_8 Depth=1
	s_or_b32 exec_lo, exec_lo, s0
	s_delay_alu instid0(VALU_DEP_1)
	v_mul_u64_e32 v[46:47], s[44:45], v[44:45]
	s_load_b64 s[44:45], s[42:43], 0x0
	s_add_co_i32 s37, s37, -1
	s_add_nc_u64 s[40:41], s[40:41], -8
	s_cmp_eq_u32 s37, 0
	s_wait_xcnt 0x0
	s_add_nc_u64 s[42:43], s[42:43], -8
	s_delay_alu instid0(VALU_DEP_1) | instskip(SKIP_1) | instid1(VALU_DEP_1)
	v_sub_nc_u64_e32 v[42:43], v[42:43], v[46:47]
	s_wait_kmcnt 0x0
	v_mad_nc_u64_u32 v[40:41], v42, s44, v[40:41]
	s_delay_alu instid0(VALU_DEP_1) | instskip(NEXT) | instid1(VALU_DEP_1)
	v_mad_u32 v1, v43, s44, v41
	v_mad_u32 v41, v42, s45, v1
	v_mov_b64_e32 v[42:43], v[44:45]
	s_cbranch_scc1 .LBB121_12
.LBB121_8:                              ; =>This Inner Loop Header: Depth=1
	s_load_b64 s[44:45], s[40:41], 0x0
                                        ; implicit-def: $vgpr44_vgpr45
	s_mov_b32 s0, exec_lo
	s_wait_kmcnt 0x0
	s_delay_alu instid0(VALU_DEP_1) | instskip(NEXT) | instid1(VALU_DEP_1)
	v_or_b32_e32 v19, s45, v43
	v_cmpx_ne_u64_e32 0, v[18:19]
	s_xor_b32 s51, exec_lo, s0
	s_cbranch_execz .LBB121_10
; %bb.9:                                ;   in Loop: Header=BB121_8 Depth=1
	s_ashr_i32 s46, s45, 31
	v_dual_mov_b32 v49, v18 :: v_dual_ashrrev_i32 v44, 31, v43
	s_mov_b32 s47, s46
	s_delay_alu instid0(SALU_CYCLE_1) | instskip(NEXT) | instid1(VALU_DEP_1)
	s_add_nc_u64 s[48:49], s[44:45], s[46:47]
	v_mov_b32_e32 v45, v44
	s_xor_b64 s[48:49], s[48:49], s[46:47]
	s_delay_alu instid0(SALU_CYCLE_1)
	s_cvt_f32_u32 s0, s48
	s_cvt_f32_u32 s47, s49
	s_sub_nc_u64 s[58:59], 0, s[48:49]
	v_add_nc_u64_e32 v[46:47], v[42:43], v[44:45]
	v_mov_b32_e32 v53, v18
	s_fmamk_f32 s0, s47, 0x4f800000, s0
	s_delay_alu instid0(SALU_CYCLE_3) | instskip(NEXT) | instid1(VALU_DEP_2)
	v_s_rcp_f32 s0, s0
	v_xor_b32_e32 v48, v46, v44
	s_delay_alu instid0(VALU_DEP_3) | instskip(NEXT) | instid1(TRANS32_DEP_1)
	v_dual_mov_b32 v57, v18 :: v_dual_bitop2_b32 v52, v47, v44 bitop3:0x14
	s_mul_f32 s0, s0, 0x5f7ffffc
	s_delay_alu instid0(SALU_CYCLE_3) | instskip(NEXT) | instid1(SALU_CYCLE_3)
	s_mul_f32 s47, s0, 0x2f800000
	s_trunc_f32 s47, s47
	s_delay_alu instid0(SALU_CYCLE_3) | instskip(SKIP_1) | instid1(SALU_CYCLE_2)
	s_fmamk_f32 s0, s47, 0xcf800000, s0
	s_cvt_u32_f32 s57, s47
	s_cvt_u32_f32 s56, s0
	s_delay_alu instid0(SALU_CYCLE_3) | instskip(NEXT) | instid1(SALU_CYCLE_1)
	s_mul_u64 s[60:61], s[58:59], s[56:57]
	s_mul_hi_u32 s63, s56, s61
	s_mul_i32 s62, s56, s61
	s_mul_hi_u32 s0, s56, s60
	s_mul_i32 s55, s57, s60
	s_add_nc_u64 s[62:63], s[0:1], s[62:63]
	s_mul_hi_u32 s47, s57, s60
	s_mul_hi_u32 s64, s57, s61
	s_add_co_u32 s0, s62, s55
	s_add_co_ci_u32 s0, s63, s47
	s_mul_i32 s60, s57, s61
	s_add_co_ci_u32 s61, s64, 0
	s_delay_alu instid0(SALU_CYCLE_1) | instskip(NEXT) | instid1(SALU_CYCLE_1)
	s_add_nc_u64 s[60:61], s[0:1], s[60:61]
	s_add_co_u32 s56, s56, s60
	s_cselect_b32 s0, -1, 0
	s_delay_alu instid0(SALU_CYCLE_1) | instskip(SKIP_1) | instid1(SALU_CYCLE_1)
	s_cmp_lg_u32 s0, 0
	s_add_co_ci_u32 s57, s57, s61
	s_mul_u64 s[58:59], s[58:59], s[56:57]
	s_delay_alu instid0(SALU_CYCLE_1)
	s_mul_hi_u32 s61, s56, s59
	s_mul_i32 s60, s56, s59
	s_mul_hi_u32 s0, s56, s58
	s_mul_i32 s55, s57, s58
	s_add_nc_u64 s[60:61], s[0:1], s[60:61]
	s_mul_hi_u32 s47, s57, s58
	s_mul_hi_u32 s62, s57, s59
	s_add_co_u32 s0, s60, s55
	s_add_co_ci_u32 s0, s61, s47
	s_mul_i32 s58, s57, s59
	s_add_co_ci_u32 s59, s62, 0
	s_delay_alu instid0(SALU_CYCLE_1) | instskip(NEXT) | instid1(SALU_CYCLE_1)
	s_add_nc_u64 s[58:59], s[0:1], s[58:59]
	s_add_co_u32 s56, s56, s58
	s_cselect_b32 s0, -1, 0
	v_mul_hi_u32 v56, v48, s56
	s_cmp_lg_u32 s0, 0
	s_add_co_ci_u32 s0, s57, s59
	s_and_b64 s[58:59], s[56:57], s[38:39]
	v_mul_u64_e32 v[50:51], s[0:1], v[48:49]
	v_mul_u64_e32 v[46:47], s[58:59], v[52:53]
	;; [unrolled: 1-line block ×3, first 2 shown]
	s_delay_alu instid0(VALU_DEP_3) | instskip(NEXT) | instid1(VALU_DEP_1)
	v_add_nc_u64_e32 v[50:51], v[56:57], v[50:51]
	v_add_co_u32 v1, vcc_lo, v50, v46
	s_delay_alu instid0(VALU_DEP_2) | instskip(NEXT) | instid1(VALU_DEP_4)
	v_add_co_ci_u32_e32 v56, vcc_lo, v51, v47, vcc_lo
	v_add_co_ci_u32_e32 v55, vcc_lo, 0, v55, vcc_lo
	s_delay_alu instid0(VALU_DEP_1) | instskip(NEXT) | instid1(VALU_DEP_1)
	v_add_nc_u64_e32 v[46:47], v[56:57], v[54:55]
	v_mul_u64_e32 v[50:51], s[48:49], v[46:47]
	s_delay_alu instid0(VALU_DEP_1) | instskip(NEXT) | instid1(VALU_DEP_2)
	v_sub_nc_u32_e32 v1, v52, v51
	v_sub_co_u32 v19, vcc_lo, v48, v50
	s_delay_alu instid0(VALU_DEP_1) | instskip(NEXT) | instid1(VALU_DEP_3)
	v_sub_co_ci_u32_e64 v45, null, v52, v51, vcc_lo
	v_subrev_co_ci_u32_e64 v1, null, s49, v1, vcc_lo
	s_delay_alu instid0(VALU_DEP_3) | instskip(SKIP_1) | instid1(VALU_DEP_3)
	v_sub_co_u32 v37, s0, v19, s48
	v_add_nc_u64_e32 v[50:51], 1, v[46:47]
	v_subrev_co_ci_u32_e64 v1, null, 0, v1, s0
	s_delay_alu instid0(VALU_DEP_3) | instskip(SKIP_1) | instid1(VALU_DEP_3)
	v_cmp_le_u32_e32 vcc_lo, s48, v37
	v_cndmask_b32_e64 v37, 0, -1, vcc_lo
	v_cmp_le_u32_e32 vcc_lo, s49, v1
	v_cndmask_b32_e64 v48, 0, -1, vcc_lo
	;; [unrolled: 2-line block ×4, first 2 shown]
	v_cmp_eq_u32_e32 vcc_lo, s49, v1
	v_cndmask_b32_e32 v1, v48, v37, vcc_lo
	v_cmp_eq_u32_e32 vcc_lo, s49, v45
	v_add_nc_u64_e32 v[48:49], 2, v[46:47]
	v_cndmask_b32_e32 v19, v52, v19, vcc_lo
	s_delay_alu instid0(VALU_DEP_4) | instskip(NEXT) | instid1(VALU_DEP_3)
	v_cmp_ne_u32_e32 vcc_lo, 0, v1
	v_cndmask_b32_e32 v1, v51, v49, vcc_lo
	s_delay_alu instid0(VALU_DEP_3) | instskip(SKIP_1) | instid1(VALU_DEP_2)
	v_cmp_ne_u32_e64 s0, 0, v19
	v_cndmask_b32_e32 v19, v50, v48, vcc_lo
	v_dual_cndmask_b32 v1, v47, v1, s0 :: v_dual_bitop2_b32 v44, s46, v44 bitop3:0x14
	s_delay_alu instid0(VALU_DEP_1) | instskip(NEXT) | instid1(VALU_DEP_2)
	v_dual_cndmask_b32 v19, v46, v19, s0 :: v_dual_mov_b32 v45, v44
	v_xor_b32_e32 v47, v1, v44
	s_delay_alu instid0(VALU_DEP_2) | instskip(NEXT) | instid1(VALU_DEP_1)
	v_xor_b32_e32 v46, v19, v44
	v_sub_nc_u64_e32 v[44:45], v[46:47], v[44:45]
.LBB121_10:                             ;   in Loop: Header=BB121_8 Depth=1
	s_and_not1_saveexec_b32 s0, s51
	s_cbranch_execz .LBB121_7
; %bb.11:                               ;   in Loop: Header=BB121_8 Depth=1
	v_cvt_f32_u32_e32 v1, s44
	s_sub_co_i32 s46, 0, s44
	v_mov_b32_e32 v45, v18
	s_delay_alu instid0(VALU_DEP_2) | instskip(SKIP_1) | instid1(TRANS32_DEP_1)
	v_rcp_iflag_f32_e32 v1, v1
	v_nop
	v_mul_f32_e32 v1, 0x4f7ffffe, v1
	s_delay_alu instid0(VALU_DEP_1) | instskip(NEXT) | instid1(VALU_DEP_1)
	v_cvt_u32_f32_e32 v1, v1
	v_mul_lo_u32 v19, s46, v1
	s_delay_alu instid0(VALU_DEP_1) | instskip(NEXT) | instid1(VALU_DEP_1)
	v_mul_hi_u32 v19, v1, v19
	v_add_nc_u32_e32 v1, v1, v19
	s_delay_alu instid0(VALU_DEP_1) | instskip(NEXT) | instid1(VALU_DEP_1)
	v_mul_hi_u32 v1, v42, v1
	v_mul_lo_u32 v19, v1, s44
	s_delay_alu instid0(VALU_DEP_1) | instskip(NEXT) | instid1(VALU_DEP_1)
	v_sub_nc_u32_e32 v19, v42, v19
	v_subrev_nc_u32_e32 v44, s44, v19
	v_cmp_le_u32_e32 vcc_lo, s44, v19
	s_delay_alu instid0(VALU_DEP_2) | instskip(NEXT) | instid1(VALU_DEP_1)
	v_dual_add_nc_u32 v37, 1, v1 :: v_dual_cndmask_b32 v19, v19, v44, vcc_lo
	v_cndmask_b32_e32 v1, v1, v37, vcc_lo
	s_delay_alu instid0(VALU_DEP_2) | instskip(NEXT) | instid1(VALU_DEP_2)
	v_cmp_le_u32_e32 vcc_lo, s44, v19
	v_add_nc_u32_e32 v37, 1, v1
	s_delay_alu instid0(VALU_DEP_1)
	v_cndmask_b32_e32 v44, v1, v37, vcc_lo
	s_branch .LBB121_7
.LBB121_12:
	s_get_pc_i64 s[0:1]
	s_add_nc_u64 s[0:1], s[0:1], .str.9@rel64+4
	s_mov_b32 s37, -1
	s_cmp_lg_u64 s[0:1], 0
	s_mov_b32 s0, 0
	s_cselect_b32 s51, -1, 0
	s_mov_b32 s55, 0
	s_mov_b32 s1, exec_lo
	v_cmpx_gt_i64_e64 v[10:11], v[30:31]
	s_cbranch_execz .LBB121_18
; %bb.13:
	s_wait_loadcnt 0x0
	v_lshlrev_b64_e32 v[18:19], 3, v[40:41]
	s_mov_b32 s37, 0
	s_xor_b32 s39, s51, -1
                                        ; implicit-def: $sgpr38
                                        ; implicit-def: $sgpr41
                                        ; implicit-def: $sgpr40
	s_delay_alu instid0(VALU_DEP_1) | instskip(SKIP_1) | instid1(VALU_DEP_2)
	v_lshl_add_u64 v[30:31], v[30:31], 3, v[18:19]
	v_add_nc_u64_e32 v[40:41], s[16:17], v[18:19]
	v_add_nc_u64_e32 v[30:31], s[16:17], v[30:31]
	s_delay_alu instid0(VALU_DEP_2) | instskip(NEXT) | instid1(VALU_DEP_2)
	v_lshl_add_u64 v[10:11], v[10:11], 3, v[40:41]
	v_add_nc_u64_e32 v[18:19], 8, v[30:31]
	s_branch .LBB121_15
.LBB121_14:                             ;   in Loop: Header=BB121_15 Depth=1
	s_or_b32 exec_lo, exec_lo, s42
	s_delay_alu instid0(SALU_CYCLE_1) | instskip(NEXT) | instid1(SALU_CYCLE_1)
	s_and_b32 s42, exec_lo, s41
	s_or_b32 s37, s42, s37
	s_and_not1_b32 s38, s38, exec_lo
	s_and_b32 s42, s40, exec_lo
	s_delay_alu instid0(SALU_CYCLE_1)
	s_or_b32 s38, s38, s42
	s_and_not1_b32 exec_lo, exec_lo, s37
	s_cbranch_execz .LBB121_17
.LBB121_15:                             ; =>This Inner Loop Header: Depth=1
	s_or_b32 s40, s40, exec_lo
	s_or_b32 s41, s41, exec_lo
	s_mov_b32 s42, exec_lo
	s_delay_alu instid0(VALU_DEP_1)
	v_cmpx_lt_u64_e64 v[18:19], v[10:11]
	s_cbranch_execz .LBB121_14
; %bb.16:                               ;   in Loop: Header=BB121_15 Depth=1
	global_load_b128 v[40:43], v[18:19], off offset:-8
	s_wait_xcnt 0x0
	v_add_nc_u64_e32 v[18:19], 8, v[18:19]
	s_and_not1_b32 s41, s41, exec_lo
	s_and_not1_b32 s40, s40, exec_lo
	s_wait_loadcnt 0x0
	v_cmp_ge_i64_e32 vcc_lo, v[40:41], v[42:43]
	s_or_b32 s43, s39, vcc_lo
	s_delay_alu instid0(SALU_CYCLE_1) | instskip(NEXT) | instid1(SALU_CYCLE_1)
	s_and_b32 s43, s43, exec_lo
	s_or_b32 s41, s41, s43
	s_branch .LBB121_14
.LBB121_17:
	s_or_b32 exec_lo, exec_lo, s37
	s_delay_alu instid0(SALU_CYCLE_1)
	s_mov_b32 s55, exec_lo
	s_or_not1_b32 s37, s38, exec_lo
.LBB121_18:
	s_or_b32 exec_lo, exec_lo, s1
	s_mov_b32 s38, 0
	s_mov_b32 s39, 0
	;; [unrolled: 1-line block ×3, first 2 shown]
	s_and_saveexec_b32 s56, s37
	s_cbranch_execz .LBB121_64
; %bb.19:
	s_mov_b32 s0, 0
	s_mov_b32 s1, -1
	s_mov_b32 s37, 0
	s_mov_b32 s57, exec_lo
	s_wait_loadcnt 0x2
	v_cmpx_eq_u64_e64 s[4:5], v[2:3]
	s_cbranch_execz .LBB121_63
; %bb.20:
	s_mov_b32 s0, -1
	s_mov_b32 s40, 0
	s_mov_b32 s41, 0
	s_mov_b32 s58, exec_lo
	v_cmpx_eq_u64_e64 s[8:9], v[34:35]
	s_cbranch_execz .LBB121_62
; %bb.21:
	v_sub_nc_u64_e32 v[2:3], v[12:13], v[32:33]
	s_mov_b32 s37, -1
	s_mov_b32 s1, 0
	s_delay_alu instid0(VALU_DEP_1) | instskip(SKIP_2) | instid1(SALU_CYCLE_1)
	v_cmp_le_i64_e32 vcc_lo, s[4:5], v[2:3]
	v_cmp_ge_i64_e64 s0, s[6:7], v[2:3]
	s_and_b32 s0, vcc_lo, s0
	s_and_saveexec_b32 s59, s0
	s_cbranch_execz .LBB121_61
; %bb.22:
	v_mov_b64_e32 v[2:3], 0
	s_and_not1_b32 vcc_lo, exec_lo, s52
	s_cbranch_vccnz .LBB121_29
; %bb.23:
	s_wait_loadcnt 0x0
	v_mul_u64_e32 v[18:19], s[8:9], v[20:21]
	v_mov_b64_e32 v[2:3], 0
	s_mov_b32 s37, s1
	v_mov_b32_e32 v10, 0
	s_lshl_b64 s[42:43], s[36:37], 3
	s_mov_b64 s[38:39], 0xffffffff
	s_add_nc_u64 s[40:41], s[12:13], s[42:43]
	s_add_nc_u64 s[42:43], s[14:15], s[42:43]
	s_mov_b32 s37, s10
	s_branch .LBB121_25
.LBB121_24:                             ;   in Loop: Header=BB121_25 Depth=1
	s_or_b32 exec_lo, exec_lo, s0
	s_delay_alu instid0(VALU_DEP_1)
	v_mul_u64_e32 v[30:31], s[44:45], v[20:21]
	s_load_b64 s[44:45], s[42:43], 0x0
	s_add_co_i32 s37, s37, -1
	s_add_nc_u64 s[40:41], s[40:41], -8
	s_cmp_lg_u32 s37, 0
	s_wait_xcnt 0x0
	s_add_nc_u64 s[42:43], s[42:43], -8
	s_delay_alu instid0(VALU_DEP_1) | instskip(SKIP_1) | instid1(VALU_DEP_1)
	v_sub_nc_u64_e32 v[18:19], v[18:19], v[30:31]
	s_wait_kmcnt 0x0
	v_mad_nc_u64_u32 v[2:3], v18, s44, v[2:3]
	s_delay_alu instid0(VALU_DEP_1) | instskip(NEXT) | instid1(VALU_DEP_1)
	v_mad_u32 v1, v19, s44, v3
	v_mad_u32 v3, v18, s45, v1
	v_mov_b64_e32 v[18:19], v[20:21]
	s_cbranch_scc0 .LBB121_29
.LBB121_25:                             ; =>This Inner Loop Header: Depth=1
	s_load_b64 s[44:45], s[40:41], 0x0
                                        ; implicit-def: $vgpr20_vgpr21
	s_mov_b32 s0, exec_lo
	s_wait_kmcnt 0x0
	s_delay_alu instid0(VALU_DEP_1) | instskip(NEXT) | instid1(VALU_DEP_1)
	v_or_b32_e32 v11, s45, v19
	v_cmpx_ne_u64_e32 0, v[10:11]
	s_xor_b32 s60, exec_lo, s0
	s_cbranch_execz .LBB121_27
; %bb.26:                               ;   in Loop: Header=BB121_25 Depth=1
	s_ashr_i32 s46, s45, 31
	v_dual_mov_b32 v35, v10 :: v_dual_ashrrev_i32 v20, 31, v19
	s_mov_b32 s47, s46
	v_mov_b32_e32 v47, v10
	s_add_nc_u64 s[48:49], s[44:45], s[46:47]
	s_delay_alu instid0(VALU_DEP_2) | instskip(SKIP_1) | instid1(SALU_CYCLE_1)
	v_mov_b32_e32 v21, v20
	s_xor_b64 s[48:49], s[48:49], s[46:47]
	s_cvt_f32_u32 s0, s48
	s_cvt_f32_u32 s47, s49
	s_sub_nc_u64 s[64:65], 0, s[48:49]
	v_add_nc_u64_e32 v[30:31], v[18:19], v[20:21]
	v_mov_b32_e32 v43, v10
	s_fmamk_f32 s0, s47, 0x4f800000, s0
	s_delay_alu instid0(SALU_CYCLE_3) | instskip(NEXT) | instid1(VALU_DEP_2)
	v_s_rcp_f32 s0, s0
	v_xor_b32_e32 v34, v30, v20
	s_delay_alu instid0(VALU_DEP_3) | instskip(NEXT) | instid1(TRANS32_DEP_1)
	v_xor_b32_e32 v42, v31, v20
	s_mul_f32 s0, s0, 0x5f7ffffc
	s_delay_alu instid0(SALU_CYCLE_3) | instskip(NEXT) | instid1(SALU_CYCLE_3)
	s_mul_f32 s47, s0, 0x2f800000
	s_trunc_f32 s47, s47
	s_delay_alu instid0(SALU_CYCLE_3) | instskip(SKIP_1) | instid1(SALU_CYCLE_2)
	s_fmamk_f32 s0, s47, 0xcf800000, s0
	s_cvt_u32_f32 s63, s47
	s_cvt_u32_f32 s62, s0
	s_delay_alu instid0(SALU_CYCLE_3) | instskip(NEXT) | instid1(SALU_CYCLE_1)
	s_mul_u64 s[66:67], s[64:65], s[62:63]
	s_mul_hi_u32 s69, s62, s67
	s_mul_i32 s68, s62, s67
	s_mul_hi_u32 s0, s62, s66
	s_mul_i32 s61, s63, s66
	s_add_nc_u64 s[68:69], s[0:1], s[68:69]
	s_mul_hi_u32 s47, s63, s66
	s_mul_hi_u32 s70, s63, s67
	s_add_co_u32 s0, s68, s61
	s_add_co_ci_u32 s0, s69, s47
	s_mul_i32 s66, s63, s67
	s_add_co_ci_u32 s67, s70, 0
	s_delay_alu instid0(SALU_CYCLE_1) | instskip(NEXT) | instid1(SALU_CYCLE_1)
	s_add_nc_u64 s[66:67], s[0:1], s[66:67]
	s_add_co_u32 s62, s62, s66
	s_cselect_b32 s0, -1, 0
	s_delay_alu instid0(SALU_CYCLE_1) | instskip(SKIP_1) | instid1(SALU_CYCLE_1)
	s_cmp_lg_u32 s0, 0
	s_add_co_ci_u32 s63, s63, s67
	s_mul_u64 s[64:65], s[64:65], s[62:63]
	s_delay_alu instid0(SALU_CYCLE_1)
	s_mul_hi_u32 s67, s62, s65
	s_mul_i32 s66, s62, s65
	s_mul_hi_u32 s0, s62, s64
	s_mul_i32 s61, s63, s64
	s_add_nc_u64 s[66:67], s[0:1], s[66:67]
	s_mul_hi_u32 s47, s63, s64
	s_mul_hi_u32 s68, s63, s65
	s_add_co_u32 s0, s66, s61
	s_add_co_ci_u32 s0, s67, s47
	s_mul_i32 s64, s63, s65
	s_add_co_ci_u32 s65, s68, 0
	s_delay_alu instid0(SALU_CYCLE_1) | instskip(NEXT) | instid1(SALU_CYCLE_1)
	s_add_nc_u64 s[64:65], s[0:1], s[64:65]
	s_add_co_u32 s62, s62, s64
	s_cselect_b32 s0, -1, 0
	v_mul_hi_u32 v46, v34, s62
	s_cmp_lg_u32 s0, 0
	s_add_co_ci_u32 s0, s63, s65
	s_and_b64 s[64:65], s[62:63], s[38:39]
	v_mul_u64_e32 v[40:41], s[0:1], v[34:35]
	v_mul_u64_e32 v[30:31], s[64:65], v[42:43]
	;; [unrolled: 1-line block ×3, first 2 shown]
	s_delay_alu instid0(VALU_DEP_3) | instskip(NEXT) | instid1(VALU_DEP_1)
	v_add_nc_u64_e32 v[40:41], v[46:47], v[40:41]
	v_add_co_u32 v1, vcc_lo, v40, v30
	s_delay_alu instid0(VALU_DEP_2) | instskip(NEXT) | instid1(VALU_DEP_4)
	v_add_co_ci_u32_e32 v46, vcc_lo, v41, v31, vcc_lo
	v_add_co_ci_u32_e32 v45, vcc_lo, 0, v45, vcc_lo
	s_delay_alu instid0(VALU_DEP_1) | instskip(NEXT) | instid1(VALU_DEP_1)
	v_add_nc_u64_e32 v[30:31], v[46:47], v[44:45]
	v_mul_u64_e32 v[40:41], s[48:49], v[30:31]
	s_delay_alu instid0(VALU_DEP_1) | instskip(NEXT) | instid1(VALU_DEP_2)
	v_sub_nc_u32_e32 v1, v42, v41
	v_sub_co_u32 v11, vcc_lo, v34, v40
	s_delay_alu instid0(VALU_DEP_1) | instskip(NEXT) | instid1(VALU_DEP_3)
	v_sub_co_ci_u32_e64 v37, null, v42, v41, vcc_lo
	v_subrev_co_ci_u32_e64 v1, null, s49, v1, vcc_lo
	s_delay_alu instid0(VALU_DEP_3) | instskip(SKIP_1) | instid1(VALU_DEP_3)
	v_sub_co_u32 v21, s0, v11, s48
	v_add_nc_u64_e32 v[40:41], 1, v[30:31]
	v_subrev_co_ci_u32_e64 v1, null, 0, v1, s0
	s_delay_alu instid0(VALU_DEP_3) | instskip(SKIP_1) | instid1(VALU_DEP_3)
	v_cmp_le_u32_e32 vcc_lo, s48, v21
	v_cndmask_b32_e64 v21, 0, -1, vcc_lo
	v_cmp_le_u32_e32 vcc_lo, s49, v1
	v_cndmask_b32_e64 v34, 0, -1, vcc_lo
	;; [unrolled: 2-line block ×4, first 2 shown]
	v_cmp_eq_u32_e32 vcc_lo, s49, v1
	v_cndmask_b32_e32 v1, v34, v21, vcc_lo
	v_cmp_eq_u32_e32 vcc_lo, s49, v37
	v_add_nc_u64_e32 v[34:35], 2, v[30:31]
	v_cndmask_b32_e32 v11, v42, v11, vcc_lo
	s_delay_alu instid0(VALU_DEP_4) | instskip(NEXT) | instid1(VALU_DEP_2)
	v_cmp_ne_u32_e32 vcc_lo, 0, v1
	v_cmp_ne_u32_e64 s0, 0, v11
	s_delay_alu instid0(VALU_DEP_4) | instskip(NEXT) | instid1(VALU_DEP_1)
	v_dual_cndmask_b32 v1, v41, v35, vcc_lo :: v_dual_cndmask_b32 v11, v40, v34, vcc_lo
	v_dual_cndmask_b32 v1, v31, v1, s0 :: v_dual_bitop2_b32 v20, s46, v20 bitop3:0x14
	s_delay_alu instid0(VALU_DEP_1) | instskip(NEXT) | instid1(VALU_DEP_2)
	v_dual_cndmask_b32 v11, v30, v11, s0 :: v_dual_mov_b32 v21, v20
	v_xor_b32_e32 v31, v1, v20
	s_delay_alu instid0(VALU_DEP_2) | instskip(NEXT) | instid1(VALU_DEP_1)
	v_xor_b32_e32 v30, v11, v20
	v_sub_nc_u64_e32 v[20:21], v[30:31], v[20:21]
.LBB121_27:                             ;   in Loop: Header=BB121_25 Depth=1
	s_and_not1_saveexec_b32 s0, s60
	s_cbranch_execz .LBB121_24
; %bb.28:                               ;   in Loop: Header=BB121_25 Depth=1
	v_cvt_f32_u32_e32 v1, s44
	s_sub_co_i32 s46, 0, s44
	s_delay_alu instid0(VALU_DEP_1) | instskip(SKIP_1) | instid1(TRANS32_DEP_1)
	v_rcp_iflag_f32_e32 v1, v1
	v_nop
	v_mul_f32_e32 v1, 0x4f7ffffe, v1
	s_delay_alu instid0(VALU_DEP_1) | instskip(NEXT) | instid1(VALU_DEP_1)
	v_cvt_u32_f32_e32 v1, v1
	v_mul_lo_u32 v11, s46, v1
	s_delay_alu instid0(VALU_DEP_1) | instskip(NEXT) | instid1(VALU_DEP_1)
	v_mul_hi_u32 v11, v1, v11
	v_add_nc_u32_e32 v1, v1, v11
	s_delay_alu instid0(VALU_DEP_1) | instskip(NEXT) | instid1(VALU_DEP_1)
	v_mul_hi_u32 v1, v18, v1
	v_mul_lo_u32 v11, v1, s44
	s_delay_alu instid0(VALU_DEP_1) | instskip(NEXT) | instid1(VALU_DEP_1)
	v_dual_add_nc_u32 v20, 1, v1 :: v_dual_sub_nc_u32 v11, v18, v11
	v_subrev_nc_u32_e32 v21, s44, v11
	v_cmp_le_u32_e32 vcc_lo, s44, v11
	s_delay_alu instid0(VALU_DEP_2) | instskip(NEXT) | instid1(VALU_DEP_4)
	v_dual_cndmask_b32 v11, v11, v21, vcc_lo :: v_dual_mov_b32 v21, v10
	v_cndmask_b32_e32 v1, v1, v20, vcc_lo
	s_delay_alu instid0(VALU_DEP_2) | instskip(NEXT) | instid1(VALU_DEP_2)
	v_cmp_le_u32_e32 vcc_lo, s44, v11
	v_add_nc_u32_e32 v20, 1, v1
	s_delay_alu instid0(VALU_DEP_1)
	v_cndmask_b32_e32 v20, v1, v20, vcc_lo
	s_branch .LBB121_24
.LBB121_29:
	s_mov_b32 s37, -1
	s_mov_b32 s0, 0
	s_mov_b32 s60, 0
	s_mov_b32 s1, exec_lo
	v_cmpx_gt_i64_e64 v[12:13], v[32:33]
	s_cbranch_execz .LBB121_35
; %bb.30:
	s_delay_alu instid0(VALU_DEP_2) | instskip(SKIP_2) | instid1(VALU_DEP_1)
	v_lshlrev_b64_e32 v[2:3], 3, v[2:3]
	s_mov_b32 s37, 0
	s_xor_b32 s39, s51, -1
                                        ; implicit-def: $sgpr38
                                        ; implicit-def: $sgpr41
                                        ; implicit-def: $sgpr40
	v_lshl_add_u64 v[10:11], v[32:33], 3, v[2:3]
	s_wait_loadcnt 0x0
	v_add_nc_u64_e32 v[18:19], s[16:17], v[2:3]
	s_delay_alu instid0(VALU_DEP_2) | instskip(NEXT) | instid1(VALU_DEP_1)
	v_add_nc_u64_e32 v[10:11], s[16:17], v[10:11]
	v_add_nc_u64_e32 v[2:3], 8, v[10:11]
	s_delay_alu instid0(VALU_DEP_3)
	v_lshl_add_u64 v[10:11], v[12:13], 3, v[18:19]
	s_branch .LBB121_32
.LBB121_31:                             ;   in Loop: Header=BB121_32 Depth=1
	s_or_b32 exec_lo, exec_lo, s42
	s_delay_alu instid0(SALU_CYCLE_1) | instskip(NEXT) | instid1(SALU_CYCLE_1)
	s_and_b32 s42, exec_lo, s41
	s_or_b32 s37, s42, s37
	s_and_not1_b32 s38, s38, exec_lo
	s_and_b32 s42, s40, exec_lo
	s_delay_alu instid0(SALU_CYCLE_1)
	s_or_b32 s38, s38, s42
	s_and_not1_b32 exec_lo, exec_lo, s37
	s_cbranch_execz .LBB121_34
.LBB121_32:                             ; =>This Inner Loop Header: Depth=1
	s_or_b32 s40, s40, exec_lo
	s_or_b32 s41, s41, exec_lo
	s_mov_b32 s42, exec_lo
	s_delay_alu instid0(VALU_DEP_2)
	v_cmpx_lt_u64_e64 v[2:3], v[10:11]
	s_cbranch_execz .LBB121_31
; %bb.33:                               ;   in Loop: Header=BB121_32 Depth=1
	global_load_b128 v[18:21], v[2:3], off offset:-8
	s_and_not1_b32 s41, s41, exec_lo
	s_wait_xcnt 0x0
	v_add_nc_u64_e32 v[2:3], 8, v[2:3]
	s_and_not1_b32 s40, s40, exec_lo
	s_wait_loadcnt 0x0
	v_cmp_ge_i64_e32 vcc_lo, v[18:19], v[20:21]
	s_or_b32 s43, s39, vcc_lo
	s_delay_alu instid0(SALU_CYCLE_1) | instskip(NEXT) | instid1(SALU_CYCLE_1)
	s_and_b32 s43, s43, exec_lo
	s_or_b32 s41, s41, s43
	s_branch .LBB121_31
.LBB121_34:
	s_or_b32 exec_lo, exec_lo, s37
	s_delay_alu instid0(SALU_CYCLE_1)
	s_mov_b32 s60, exec_lo
	s_or_not1_b32 s37, s38, exec_lo
.LBB121_35:
	s_or_b32 exec_lo, exec_lo, s1
	s_mov_b32 s1, 0
	s_mov_b32 s38, 0
	;; [unrolled: 1-line block ×3, first 2 shown]
	s_and_saveexec_b32 s61, s37
	s_cbranch_execz .LBB121_60
; %bb.36:
	s_mov_b32 s0, 0
	s_mov_b32 s1, -1
	s_mov_b32 s37, 0
	s_mov_b32 s62, exec_lo
	v_cmpx_eq_u64_e64 s[4:5], v[4:5]
	s_cbranch_execz .LBB121_59
; %bb.37:
	s_mov_b32 s0, -1
	s_mov_b32 s40, 0
	s_mov_b32 s41, 0
	s_mov_b32 s63, exec_lo
	v_cmpx_eq_u64_e64 s[8:9], v[26:27]
	s_cbranch_execz .LBB121_58
; %bb.38:
	v_sub_nc_u64_e32 v[2:3], v[6:7], v[14:15]
	s_mov_b32 s37, -1
	s_mov_b32 s1, 0
	s_delay_alu instid0(VALU_DEP_1) | instskip(SKIP_2) | instid1(SALU_CYCLE_1)
	v_cmp_le_i64_e32 vcc_lo, s[4:5], v[2:3]
	v_cmp_ge_i64_e64 s0, s[6:7], v[2:3]
	s_and_b32 s0, vcc_lo, s0
	s_and_saveexec_b32 s64, s0
	s_cbranch_execz .LBB121_57
; %bb.39:
	v_mov_b64_e32 v[2:3], 0
	s_and_not1_b32 vcc_lo, exec_lo, s52
	s_cbranch_vccnz .LBB121_46
; %bb.40:
	s_wait_loadcnt 0x1
	v_mul_u64_e32 v[10:11], s[8:9], v[22:23]
	v_mov_b64_e32 v[2:3], 0
	s_mov_b32 s37, s1
	v_mov_b32_e32 v4, 0
	s_lshl_b64 s[42:43], s[36:37], 3
	s_mov_b64 s[38:39], 0xffffffff
	s_add_nc_u64 s[40:41], s[12:13], s[42:43]
	s_add_nc_u64 s[42:43], s[14:15], s[42:43]
	s_mov_b32 s37, s10
	s_branch .LBB121_42
.LBB121_41:                             ;   in Loop: Header=BB121_42 Depth=1
	s_or_b32 exec_lo, exec_lo, s0
	s_wait_loadcnt 0x0
	s_delay_alu instid0(VALU_DEP_1)
	v_mul_u64_e32 v[18:19], s[44:45], v[12:13]
	s_load_b64 s[44:45], s[42:43], 0x0
	s_add_co_i32 s37, s37, -1
	s_add_nc_u64 s[40:41], s[40:41], -8
	s_cmp_lg_u32 s37, 0
	s_wait_xcnt 0x0
	s_add_nc_u64 s[42:43], s[42:43], -8
	s_delay_alu instid0(VALU_DEP_1) | instskip(SKIP_1) | instid1(VALU_DEP_1)
	v_sub_nc_u64_e32 v[10:11], v[10:11], v[18:19]
	s_wait_kmcnt 0x0
	v_mad_nc_u64_u32 v[2:3], v10, s44, v[2:3]
	s_delay_alu instid0(VALU_DEP_1) | instskip(NEXT) | instid1(VALU_DEP_1)
	v_mad_u32 v1, v11, s44, v3
	v_mad_u32 v3, v10, s45, v1
	v_mov_b64_e32 v[10:11], v[12:13]
	s_cbranch_scc0 .LBB121_46
.LBB121_42:                             ; =>This Inner Loop Header: Depth=1
	s_load_b64 s[44:45], s[40:41], 0x0
                                        ; implicit-def: $vgpr12_vgpr13
	s_mov_b32 s0, exec_lo
	s_wait_kmcnt 0x0
	s_delay_alu instid0(VALU_DEP_1) | instskip(NEXT) | instid1(VALU_DEP_1)
	v_or_b32_e32 v5, s45, v11
	v_cmpx_ne_u64_e32 0, v[4:5]
	s_xor_b32 s65, exec_lo, s0
	s_cbranch_execz .LBB121_44
; %bb.43:                               ;   in Loop: Header=BB121_42 Depth=1
	s_ashr_i32 s46, s45, 31
	s_wait_loadcnt 0x0
	v_dual_mov_b32 v21, v4 :: v_dual_ashrrev_i32 v12, 31, v11
	s_mov_b32 s47, s46
	s_delay_alu instid0(SALU_CYCLE_1) | instskip(NEXT) | instid1(VALU_DEP_1)
	s_add_nc_u64 s[48:49], s[44:45], s[46:47]
	v_mov_b32_e32 v13, v12
	s_xor_b64 s[48:49], s[48:49], s[46:47]
	s_delay_alu instid0(SALU_CYCLE_1)
	s_cvt_f32_u32 s0, s48
	s_cvt_f32_u32 s47, s49
	s_sub_nc_u64 s[68:69], 0, s[48:49]
	v_add_nc_u64_e32 v[18:19], v[10:11], v[12:13]
	v_mov_b32_e32 v27, v4
	s_fmamk_f32 s0, s47, 0x4f800000, s0
	s_delay_alu instid0(SALU_CYCLE_3) | instskip(NEXT) | instid1(VALU_DEP_2)
	v_s_rcp_f32 s0, s0
	v_xor_b32_e32 v20, v18, v12
	s_delay_alu instid0(VALU_DEP_3) | instskip(SKIP_1) | instid1(TRANS32_DEP_1)
	v_dual_mov_b32 v33, v4 :: v_dual_bitop2_b32 v26, v19, v12 bitop3:0x14
	v_xor_b32_e32 v12, s46, v12
	s_mul_f32 s0, s0, 0x5f7ffffc
	s_delay_alu instid0(SALU_CYCLE_3) | instskip(NEXT) | instid1(SALU_CYCLE_3)
	s_mul_f32 s47, s0, 0x2f800000
	s_trunc_f32 s47, s47
	s_delay_alu instid0(SALU_CYCLE_3) | instskip(SKIP_1) | instid1(SALU_CYCLE_2)
	s_fmamk_f32 s0, s47, 0xcf800000, s0
	s_cvt_u32_f32 s67, s47
	s_cvt_u32_f32 s66, s0
	s_delay_alu instid0(SALU_CYCLE_3) | instskip(NEXT) | instid1(SALU_CYCLE_1)
	s_mul_u64 s[70:71], s[68:69], s[66:67]
	s_mul_hi_u32 s73, s66, s71
	s_mul_i32 s72, s66, s71
	s_mul_hi_u32 s0, s66, s70
	s_mul_i32 s74, s67, s70
	s_add_nc_u64 s[72:73], s[0:1], s[72:73]
	s_mul_hi_u32 s47, s67, s70
	s_mul_hi_u32 s75, s67, s71
	s_add_co_u32 s0, s72, s74
	s_add_co_ci_u32 s0, s73, s47
	s_mul_i32 s70, s67, s71
	s_add_co_ci_u32 s71, s75, 0
	s_delay_alu instid0(SALU_CYCLE_1) | instskip(NEXT) | instid1(SALU_CYCLE_1)
	s_add_nc_u64 s[70:71], s[0:1], s[70:71]
	s_add_co_u32 s66, s66, s70
	s_cselect_b32 s0, -1, 0
	s_delay_alu instid0(SALU_CYCLE_1) | instskip(SKIP_1) | instid1(SALU_CYCLE_1)
	s_cmp_lg_u32 s0, 0
	s_add_co_ci_u32 s67, s67, s71
	s_mul_u64 s[68:69], s[68:69], s[66:67]
	s_delay_alu instid0(SALU_CYCLE_1)
	s_mul_hi_u32 s71, s66, s69
	s_mul_i32 s70, s66, s69
	s_mul_hi_u32 s0, s66, s68
	s_mul_i32 s72, s67, s68
	s_add_nc_u64 s[70:71], s[0:1], s[70:71]
	s_mul_hi_u32 s47, s67, s68
	s_mul_hi_u32 s73, s67, s69
	s_add_co_u32 s0, s70, s72
	s_add_co_ci_u32 s0, s71, s47
	s_mul_i32 s68, s67, s69
	s_add_co_ci_u32 s69, s73, 0
	s_delay_alu instid0(SALU_CYCLE_1) | instskip(NEXT) | instid1(SALU_CYCLE_1)
	s_add_nc_u64 s[68:69], s[0:1], s[68:69]
	s_add_co_u32 s66, s66, s68
	s_cselect_b32 s0, -1, 0
	v_mul_hi_u32 v32, v20, s66
	s_cmp_lg_u32 s0, 0
	s_add_co_ci_u32 s0, s67, s69
	s_and_b64 s[68:69], s[66:67], s[38:39]
	v_mul_u64_e32 v[22:23], s[0:1], v[20:21]
	v_mul_u64_e32 v[18:19], s[68:69], v[26:27]
	;; [unrolled: 1-line block ×3, first 2 shown]
	s_delay_alu instid0(VALU_DEP_3) | instskip(NEXT) | instid1(VALU_DEP_1)
	v_add_nc_u64_e32 v[22:23], v[32:33], v[22:23]
	v_add_co_u32 v1, vcc_lo, v22, v18
	s_delay_alu instid0(VALU_DEP_2) | instskip(NEXT) | instid1(VALU_DEP_4)
	v_add_co_ci_u32_e32 v32, vcc_lo, v23, v19, vcc_lo
	v_add_co_ci_u32_e32 v31, vcc_lo, 0, v31, vcc_lo
	s_delay_alu instid0(VALU_DEP_1) | instskip(NEXT) | instid1(VALU_DEP_1)
	v_add_nc_u64_e32 v[18:19], v[32:33], v[30:31]
	v_mul_u64_e32 v[22:23], s[48:49], v[18:19]
	s_delay_alu instid0(VALU_DEP_1) | instskip(NEXT) | instid1(VALU_DEP_2)
	v_sub_nc_u32_e32 v1, v26, v23
	v_sub_co_u32 v5, vcc_lo, v20, v22
	s_delay_alu instid0(VALU_DEP_1) | instskip(NEXT) | instid1(VALU_DEP_3)
	v_sub_co_ci_u32_e64 v26, null, v26, v23, vcc_lo
	v_subrev_co_ci_u32_e64 v1, null, s49, v1, vcc_lo
	s_delay_alu instid0(VALU_DEP_3) | instskip(SKIP_1) | instid1(VALU_DEP_3)
	v_sub_co_u32 v13, s0, v5, s48
	v_add_nc_u64_e32 v[22:23], 1, v[18:19]
	v_subrev_co_ci_u32_e64 v1, null, 0, v1, s0
	s_delay_alu instid0(VALU_DEP_3) | instskip(SKIP_1) | instid1(VALU_DEP_3)
	v_cmp_le_u32_e32 vcc_lo, s48, v13
	v_cndmask_b32_e64 v13, 0, -1, vcc_lo
	v_cmp_le_u32_e32 vcc_lo, s49, v1
	v_cndmask_b32_e64 v20, 0, -1, vcc_lo
	;; [unrolled: 2-line block ×4, first 2 shown]
	v_cmp_eq_u32_e32 vcc_lo, s49, v1
	v_cndmask_b32_e32 v1, v20, v13, vcc_lo
	v_cmp_eq_u32_e32 vcc_lo, s49, v26
	v_add_nc_u64_e32 v[20:21], 2, v[18:19]
	v_dual_mov_b32 v13, v12 :: v_dual_cndmask_b32 v5, v27, v5, vcc_lo
	s_delay_alu instid0(VALU_DEP_4) | instskip(NEXT) | instid1(VALU_DEP_2)
	v_cmp_ne_u32_e32 vcc_lo, 0, v1
	v_cmp_ne_u32_e64 s0, 0, v5
	s_delay_alu instid0(VALU_DEP_4) | instskip(NEXT) | instid1(VALU_DEP_1)
	v_dual_cndmask_b32 v1, v23, v21, vcc_lo :: v_dual_cndmask_b32 v5, v22, v20, vcc_lo
	v_cndmask_b32_e64 v5, v18, v5, s0
	s_delay_alu instid0(VALU_DEP_1) | instskip(NEXT) | instid1(VALU_DEP_1)
	v_dual_cndmask_b32 v1, v19, v1, s0 :: v_dual_bitop2_b32 v18, v5, v12 bitop3:0x14
	v_xor_b32_e32 v19, v1, v12
	s_delay_alu instid0(VALU_DEP_1)
	v_sub_nc_u64_e32 v[12:13], v[18:19], v[12:13]
.LBB121_44:                             ;   in Loop: Header=BB121_42 Depth=1
	s_and_not1_saveexec_b32 s0, s65
	s_cbranch_execz .LBB121_41
; %bb.45:                               ;   in Loop: Header=BB121_42 Depth=1
	v_cvt_f32_u32_e32 v1, s44
	s_sub_co_i32 s46, 0, s44
	s_delay_alu instid0(VALU_DEP_1) | instskip(SKIP_1) | instid1(TRANS32_DEP_1)
	v_rcp_iflag_f32_e32 v1, v1
	v_nop
	v_mul_f32_e32 v1, 0x4f7ffffe, v1
	s_delay_alu instid0(VALU_DEP_1) | instskip(NEXT) | instid1(VALU_DEP_1)
	v_cvt_u32_f32_e32 v1, v1
	v_mul_lo_u32 v5, s46, v1
	s_delay_alu instid0(VALU_DEP_1) | instskip(NEXT) | instid1(VALU_DEP_1)
	v_mul_hi_u32 v5, v1, v5
	v_add_nc_u32_e32 v1, v1, v5
	s_delay_alu instid0(VALU_DEP_1) | instskip(NEXT) | instid1(VALU_DEP_1)
	v_mul_hi_u32 v1, v10, v1
	v_mul_lo_u32 v5, v1, s44
	v_add_nc_u32_e32 v12, 1, v1
	s_delay_alu instid0(VALU_DEP_2) | instskip(NEXT) | instid1(VALU_DEP_1)
	v_sub_nc_u32_e32 v5, v10, v5
	v_subrev_nc_u32_e32 v13, s44, v5
	v_cmp_le_u32_e32 vcc_lo, s44, v5
	s_delay_alu instid0(VALU_DEP_2) | instskip(SKIP_1) | instid1(VALU_DEP_2)
	v_dual_cndmask_b32 v5, v5, v13, vcc_lo :: v_dual_mov_b32 v13, v4
	v_cndmask_b32_e32 v1, v1, v12, vcc_lo
	v_cmp_le_u32_e32 vcc_lo, s44, v5
	s_delay_alu instid0(VALU_DEP_2) | instskip(NEXT) | instid1(VALU_DEP_1)
	v_add_nc_u32_e32 v12, 1, v1
	v_cndmask_b32_e32 v12, v1, v12, vcc_lo
	s_branch .LBB121_41
.LBB121_46:
	s_mov_b32 s38, -1
	s_mov_b32 s0, 0
	s_mov_b32 s37, 0
	s_mov_b32 s1, exec_lo
	v_cmpx_gt_i64_e64 v[6:7], v[14:15]
	s_cbranch_execz .LBB121_52
; %bb.47:
	s_delay_alu instid0(VALU_DEP_2) | instskip(SKIP_1) | instid1(VALU_DEP_1)
	v_lshlrev_b64_e32 v[2:3], 3, v[2:3]
	s_xor_b32 s39, s51, -1
                                        ; implicit-def: $sgpr38
                                        ; implicit-def: $sgpr41
                                        ; implicit-def: $sgpr40
	v_lshl_add_u64 v[4:5], v[14:15], 3, v[2:3]
	v_add_nc_u64_e32 v[10:11], s[16:17], v[2:3]
	s_delay_alu instid0(VALU_DEP_2) | instskip(NEXT) | instid1(VALU_DEP_1)
	v_add_nc_u64_e32 v[4:5], s[16:17], v[4:5]
	v_add_nc_u64_e32 v[2:3], 8, v[4:5]
	s_delay_alu instid0(VALU_DEP_3)
	v_lshl_add_u64 v[4:5], v[6:7], 3, v[10:11]
	s_branch .LBB121_49
.LBB121_48:                             ;   in Loop: Header=BB121_49 Depth=1
	s_or_b32 exec_lo, exec_lo, s42
	s_delay_alu instid0(SALU_CYCLE_1) | instskip(NEXT) | instid1(SALU_CYCLE_1)
	s_and_b32 s42, exec_lo, s41
	s_or_b32 s37, s42, s37
	s_and_not1_b32 s38, s38, exec_lo
	s_and_b32 s42, s40, exec_lo
	s_delay_alu instid0(SALU_CYCLE_1)
	s_or_b32 s38, s38, s42
	s_and_not1_b32 exec_lo, exec_lo, s37
	s_cbranch_execz .LBB121_51
.LBB121_49:                             ; =>This Inner Loop Header: Depth=1
	s_or_b32 s40, s40, exec_lo
	s_or_b32 s41, s41, exec_lo
	s_mov_b32 s42, exec_lo
	s_delay_alu instid0(VALU_DEP_2)
	v_cmpx_lt_u64_e64 v[2:3], v[4:5]
	s_cbranch_execz .LBB121_48
; %bb.50:                               ;   in Loop: Header=BB121_49 Depth=1
	global_load_b128 v[10:13], v[2:3], off offset:-8
	s_and_not1_b32 s41, s41, exec_lo
	s_wait_xcnt 0x0
	v_add_nc_u64_e32 v[2:3], 8, v[2:3]
	s_and_not1_b32 s40, s40, exec_lo
	s_wait_loadcnt 0x0
	v_cmp_ge_i64_e32 vcc_lo, v[10:11], v[12:13]
	s_or_b32 s43, s39, vcc_lo
	s_delay_alu instid0(SALU_CYCLE_1) | instskip(NEXT) | instid1(SALU_CYCLE_1)
	s_and_b32 s43, s43, exec_lo
	s_or_b32 s41, s41, s43
	s_branch .LBB121_48
.LBB121_51:
	s_or_b32 exec_lo, exec_lo, s37
	s_delay_alu instid0(SALU_CYCLE_1)
	s_mov_b32 s37, exec_lo
	s_or_not1_b32 s38, s38, exec_lo
.LBB121_52:
	s_or_b32 exec_lo, exec_lo, s1
	s_mov_b32 s41, 0
	s_mov_b32 s39, 0
	s_and_saveexec_b32 s1, s38
	s_cbranch_execz .LBB121_56
; %bb.53:
	s_mov_b32 s38, 0
	s_mov_b32 s39, -1
	s_mov_b32 s0, 0
	s_mov_b32 s40, exec_lo
	v_cmpx_eq_u64_e64 s[4:5], v[38:39]
	s_xor_b32 s40, exec_lo, s40
; %bb.54:
	v_cmp_ne_u64_e32 vcc_lo, s[8:9], v[28:29]
	s_mov_b32 s0, exec_lo
	s_xor_b32 s39, exec_lo, -1
	s_and_b32 s38, vcc_lo, exec_lo
; %bb.55:
	s_or_b32 exec_lo, exec_lo, s40
	s_delay_alu instid0(SALU_CYCLE_1)
	s_and_b32 s39, s39, exec_lo
	s_and_not1_b32 s37, s37, exec_lo
	s_and_b32 s41, s0, exec_lo
	s_and_b32 s0, s38, exec_lo
.LBB121_56:
	s_or_b32 exec_lo, exec_lo, s1
	s_delay_alu instid0(SALU_CYCLE_1)
	s_and_b32 s40, s39, exec_lo
	s_and_b32 s39, s37, exec_lo
	s_xor_b32 s37, exec_lo, -1
	s_and_b32 s38, s41, exec_lo
	s_and_b32 s1, s0, exec_lo
.LBB121_57:
	s_or_b32 exec_lo, exec_lo, s64
	s_delay_alu instid0(SALU_CYCLE_1)
	s_and_b32 s41, s40, exec_lo
	s_and_b32 s39, s39, exec_lo
	;; [unrolled: 1-line block ×4, first 2 shown]
	s_or_not1_b32 s0, s1, exec_lo
.LBB121_58:
	s_or_b32 exec_lo, exec_lo, s63
	s_delay_alu instid0(SALU_CYCLE_1)
	s_or_not1_b32 s1, s41, exec_lo
	s_and_b32 s39, s39, exec_lo
	s_and_b32 s38, s40, exec_lo
	;; [unrolled: 1-line block ×4, first 2 shown]
.LBB121_59:
	s_or_b32 exec_lo, exec_lo, s62
	s_delay_alu instid0(SALU_CYCLE_1)
	s_and_not1_b32 s40, s60, exec_lo
	s_and_b32 s41, s39, exec_lo
	s_and_b32 s39, s1, exec_lo
	s_or_b32 s60, s40, s41
	s_and_b32 s38, s38, exec_lo
	s_and_b32 s1, s37, exec_lo
	s_and_b32 s0, s0, exec_lo
.LBB121_60:
	s_or_b32 exec_lo, exec_lo, s61
	s_delay_alu instid0(SALU_CYCLE_1)
	s_and_b32 s40, s39, exec_lo
	s_and_b32 s39, s60, exec_lo
	s_or_not1_b32 s37, s38, exec_lo
	s_and_b32 s38, s1, exec_lo
	s_and_b32 s1, s0, exec_lo
.LBB121_61:
	s_or_b32 exec_lo, exec_lo, s59
	s_delay_alu instid0(SALU_CYCLE_1)
	s_and_b32 s41, s40, exec_lo
	s_and_b32 s39, s39, exec_lo
	;; [unrolled: 1-line block ×4, first 2 shown]
	s_or_not1_b32 s0, s1, exec_lo
.LBB121_62:
	s_or_b32 exec_lo, exec_lo, s58
	s_delay_alu instid0(SALU_CYCLE_1)
	s_or_not1_b32 s1, s41, exec_lo
	s_and_b32 s39, s39, exec_lo
	s_and_b32 s38, s40, exec_lo
	;; [unrolled: 1-line block ×4, first 2 shown]
.LBB121_63:
	s_or_b32 exec_lo, exec_lo, s57
	s_delay_alu instid0(SALU_CYCLE_1)
	s_and_not1_b32 s40, s55, exec_lo
	s_and_b32 s39, s39, exec_lo
	s_and_b32 s1, s1, exec_lo
	s_or_b32 s55, s40, s39
	s_and_b32 s39, s38, exec_lo
	s_and_b32 s38, s37, exec_lo
	;; [unrolled: 1-line block ×3, first 2 shown]
.LBB121_64:
	s_or_b32 exec_lo, exec_lo, s56
	s_delay_alu instid0(SALU_CYCLE_1)
	s_and_b32 s1, s1, exec_lo
	s_and_b32 s42, s55, exec_lo
	s_or_not1_b32 s37, s39, exec_lo
	s_and_b32 s41, s38, exec_lo
	s_and_b32 s40, s0, exec_lo
.LBB121_65:
	s_or_b32 exec_lo, exec_lo, s54
	s_delay_alu instid0(SALU_CYCLE_1)
	s_and_b32 s1, s1, exec_lo
	s_and_b32 s54, s42, exec_lo
	;; [unrolled: 1-line block ×4, first 2 shown]
	s_or_not1_b32 s40, s40, exec_lo
	s_mov_b32 s55, s10
.LBB121_66:
	s_or_b32 exec_lo, exec_lo, s53
	s_and_saveexec_b32 s38, s40
	s_cbranch_execnz .LBB121_215
.LBB121_67:
	s_or_b32 exec_lo, exec_lo, s38
	s_mov_b32 s38, 0
	s_and_saveexec_b32 s39, s0
	s_delay_alu instid0(SALU_CYCLE_1)
	s_xor_b32 s39, exec_lo, s39
	s_cbranch_execnz .LBB121_141
; %bb.68:
	s_or_b32 exec_lo, exec_lo, s39
	s_and_saveexec_b32 s0, s37
	s_cbranch_execnz .LBB121_142
.LBB121_69:
	s_or_b32 exec_lo, exec_lo, s0
	s_mov_b32 s0, 0
	s_and_saveexec_b32 s53, s38
	s_cbranch_execnz .LBB121_143
.LBB121_70:
	s_or_b32 exec_lo, exec_lo, s53
	s_and_saveexec_b32 s36, s54
	s_cbranch_execnz .LBB121_178
.LBB121_71:
	s_or_b32 exec_lo, exec_lo, s36
	s_and_saveexec_b32 s36, s0
	s_delay_alu instid0(SALU_CYCLE_1)
	s_xor_b32 s0, exec_lo, s36
	s_cbranch_execz .LBB121_73
.LBB121_72:
	s_mov_b32 s36, 0
	s_add_nc_u64 s[34:35], s[18:19], s[34:35]
	s_mov_b32 s37, s36
	s_mov_b32 s38, s36
	;; [unrolled: 1-line block ×3, first 2 shown]
	s_wait_loadcnt 0x2
	v_mov_b64_e32 v[2:3], s[36:37]
	v_mov_b64_e32 v[4:5], s[38:39]
	s_clause 0x1
	global_store_b128 v36, v[2:5], s[34:35]
	global_store_b128 v36, v[2:5], s[34:35] offset:16
.LBB121_73:
	s_wait_xcnt 0x0
	s_or_b32 exec_lo, exec_lo, s0
	s_delay_alu instid0(SALU_CYCLE_1)
	s_and_b32 s3, s3, exec_lo
	s_or_not1_b32 s0, s1, exec_lo
.LBB121_74:
	s_or_b32 exec_lo, exec_lo, s50
.LBB121_75:
	s_and_saveexec_b32 s1, s0
	s_delay_alu instid0(SALU_CYCLE_1)
	s_xor_b32 s0, exec_lo, s1
	s_cbranch_execnz .LBB121_213
.LBB121_76:
	s_or_b32 exec_lo, exec_lo, s0
	s_mov_b32 s0, 0
.LBB121_77:
	s_delay_alu instid0(SALU_CYCLE_1)
	s_and_b32 vcc_lo, exec_lo, s0
	s_cbranch_vccz .LBB121_97
; %bb.78:
	s_wait_loadcnt 0x0
	v_mov_b64_e32 v[28:29], 0
	v_mov_b64_e32 v[40:41], 0
	;; [unrolled: 1-line block ×6, first 2 shown]
	v_cmp_gt_i32_e64 s0, s11, v0
	v_or_b32_e32 v1, 0x100, v0
	v_mov_b32_e32 v42, v0
	s_and_saveexec_b32 s1, s0
	s_cbranch_execz .LBB121_80
; %bb.79:
	v_or_b32_e32 v2, s2, v0
	v_or_b32_e32 v42, 0x100, v0
	s_clause 0x4
	global_load_b64 v[40:41], v2, s[20:21] scale_offset
	global_load_b64 v[36:37], v2, s[22:23] scale_offset
	;; [unrolled: 1-line block ×5, first 2 shown]
.LBB121_80:
	s_wait_xcnt 0x0
	s_or_b32 exec_lo, exec_lo, s1
	v_mov_b64_e32 v[30:31], 0
	v_mov_b64_e32 v[24:25], 0
	;; [unrolled: 1-line block ×4, first 2 shown]
	s_mov_b32 s1, exec_lo
	v_cmpx_gt_i32_e64 s11, v42
	s_cbranch_execz .LBB121_82
; %bb.81:
	v_add_nc_u32_e32 v2, s2, v42
	v_add_nc_u32_e32 v42, 0x100, v42
	s_clause 0x4
	global_load_b64 v[28:29], v2, s[20:21] scale_offset
	global_load_b64 v[30:31], v2, s[22:23] scale_offset
	;; [unrolled: 1-line block ×5, first 2 shown]
.LBB121_82:
	s_wait_xcnt 0x0
	s_or_b32 exec_lo, exec_lo, s1
	v_mov_b64_e32 v[10:11], 0
	v_mov_b64_e32 v[20:21], 0
	;; [unrolled: 1-line block ×6, first 2 shown]
	s_mov_b32 s1, exec_lo
	v_cmpx_gt_i32_e64 s11, v42
	s_cbranch_execz .LBB121_84
; %bb.83:
	v_add_nc_u32_e32 v2, s2, v42
	v_add_nc_u32_e32 v42, 0x100, v42
	s_clause 0x4
	global_load_b64 v[20:21], v2, s[20:21] scale_offset
	global_load_b64 v[18:19], v2, s[22:23] scale_offset
	global_load_b64 v[14:15], v2, s[24:25] scale_offset
	global_load_b64 v[12:13], v2, s[26:27] scale_offset
	global_load_b64 v[16:17], v2, s[28:29] scale_offset
.LBB121_84:
	s_wait_xcnt 0x0
	s_or_b32 exec_lo, exec_lo, s1
	v_mov_b64_e32 v[8:9], 0
	v_mov_b64_e32 v[4:5], 0
	;; [unrolled: 1-line block ×4, first 2 shown]
	s_mov_b32 s1, exec_lo
	v_cmpx_gt_i32_e64 s11, v42
	s_cbranch_execz .LBB121_86
; %bb.85:
	v_add_nc_u32_e32 v42, s2, v42
	s_clause 0x4
	global_load_b64 v[10:11], v42, s[20:21] scale_offset
	global_load_b64 v[8:9], v42, s[22:23] scale_offset
	;; [unrolled: 1-line block ×5, first 2 shown]
.LBB121_86:
	s_wait_xcnt 0x0
	s_or_b32 exec_lo, exec_lo, s1
	s_get_pc_i64 s[20:21]
	s_add_nc_u64 s[20:21], s[20:21], .str.7@rel64+4
	s_cmp_lg_u64 s[30:31], 0
	s_get_pc_i64 s[22:23]
	s_add_nc_u64 s[22:23], s[22:23], .str.8@rel64+4
	s_cselect_b32 s43, -1, 0
	s_cmp_lg_u64 s[20:21], 0
	s_mov_b32 s1, -1
	s_cselect_b32 s41, -1, 0
	s_cmp_lg_u64 s[22:23], 0
	s_get_pc_i64 s[22:23]
	s_add_nc_u64 s[22:23], s[22:23], .str.9@rel64+4
	s_cselect_b32 s40, -1, 0
	s_add_co_i32 s20, s10, -1
	s_mov_b32 s48, 0
	s_cmp_gt_i32 s20, -1
	s_mov_b32 s46, 0
	s_cselect_b32 s39, -1, 0
	s_cmp_lg_u64 s[22:23], 0
	s_mov_b32 s45, 0
	s_cselect_b32 s38, -1, 0
	s_mov_b32 s44, 0
	s_mov_b32 s42, 0
	s_and_saveexec_b32 s33, s0
	s_cbranch_execnz .LBB121_106
; %bb.87:
	s_or_b32 exec_lo, exec_lo, s33
	s_mov_b32 s33, 0
	s_and_saveexec_b32 s47, s1
	s_cbranch_execnz .LBB121_160
.LBB121_88:
	s_or_b32 exec_lo, exec_lo, s47
	s_and_saveexec_b32 s1, s46
	s_cbranch_execnz .LBB121_212
.LBB121_89:
	s_or_b32 exec_lo, exec_lo, s1
	s_mov_b32 s1, 0
	s_and_saveexec_b32 s21, s48
	s_delay_alu instid0(SALU_CYCLE_1)
	s_xor_b32 s21, exec_lo, s21
	s_cbranch_execz .LBB121_91
; %bb.90:
	s_wait_loadcnt 0x3
	v_cmp_ne_u64_e32 vcc_lo, s[8:9], v[8:9]
	s_xor_b32 s22, s41, -1
	s_and_not1_b32 s23, s45, exec_lo
	s_mov_b32 s1, exec_lo
	s_or_b32 s22, s22, vcc_lo
	s_delay_alu instid0(SALU_CYCLE_1) | instskip(NEXT) | instid1(SALU_CYCLE_1)
	s_and_b32 s22, s22, exec_lo
	s_or_b32 s45, s23, s22
.LBB121_91:
	s_or_b32 exec_lo, exec_lo, s21
	s_and_saveexec_b32 s21, s45
	s_cbranch_execnz .LBB121_214
.LBB121_92:
	s_or_b32 exec_lo, exec_lo, s21
	s_mov_b32 s21, 0
	s_and_saveexec_b32 s22, s1
	s_delay_alu instid0(SALU_CYCLE_1)
	s_xor_b32 s22, exec_lo, s22
	s_cbranch_execnz .LBB121_116
; %bb.93:
	s_or_b32 exec_lo, exec_lo, s22
	s_and_saveexec_b32 s1, s44
	s_cbranch_execnz .LBB121_117
.LBB121_94:
	s_or_b32 exec_lo, exec_lo, s1
	s_and_saveexec_b32 s24, s21
	s_cbranch_execnz .LBB121_118
.LBB121_95:
	s_or_b32 exec_lo, exec_lo, s24
	s_and_saveexec_b32 s1, s42
	s_cbranch_execnz .LBB121_140
.LBB121_96:
	s_or_b32 exec_lo, exec_lo, s1
	s_and_saveexec_b32 s1, s3
	s_cbranch_execnz .LBB121_98
	s_branch .LBB121_99
.LBB121_97:
                                        ; implicit-def: $sgpr0
                                        ; implicit-def: $vgpr1
                                        ; implicit-def: $vgpr0
	s_and_saveexec_b32 s1, s3
.LBB121_98:
	; divergent unreachable
.LBB121_99:
	s_delay_alu instid0(SALU_CYCLE_1) | instskip(SKIP_1) | instid1(SALU_CYCLE_1)
	s_or_b32 exec_lo, exec_lo, s1
	s_and_saveexec_b32 s1, s33
	s_xor_b32 s1, exec_lo, s1
	s_cbranch_execz .LBB121_105
; %bb.100:
	s_and_saveexec_b32 s1, s0
	s_delay_alu instid0(SALU_CYCLE_1)
	s_xor_b32 s0, exec_lo, s1
	s_cbranch_execnz .LBB121_125
; %bb.101:
	s_or_b32 exec_lo, exec_lo, s0
	s_delay_alu instid0(SALU_CYCLE_1)
	s_mov_b32 s0, exec_lo
	v_cmpx_gt_i32_e64 s11, v0
	s_cbranch_execnz .LBB121_126
.LBB121_102:
	s_or_b32 exec_lo, exec_lo, s0
	s_delay_alu instid0(SALU_CYCLE_1)
	s_mov_b32 s0, exec_lo
	v_cmpx_gt_i32_e64 s11, v0
	s_cbranch_execnz .LBB121_127
.LBB121_103:
	s_or_b32 exec_lo, exec_lo, s0
	s_delay_alu instid0(SALU_CYCLE_1)
	s_mov_b32 s0, exec_lo
	v_cmpx_gt_i32_e64 s11, v0
	s_cbranch_execz .LBB121_105
.LBB121_104:
	s_wait_loadcnt 0x1
	v_mov_b64_e32 v[2:3], 0
	v_add_nc_u32_e32 v0, s2, v0
	global_store_b64 v0, v[2:3], s[18:19] scale_offset
.LBB121_105:
	s_endpgm
.LBB121_106:
	s_wait_loadcnt 0x4
	v_cmp_eq_u64_e32 vcc_lo, s[4:5], v[40:41]
	s_mov_b32 s21, -1
	s_mov_b32 s1, 0
	s_mov_b32 s22, 0
	;; [unrolled: 1-line block ×4, first 2 shown]
	s_and_b32 s25, s43, vcc_lo
	s_delay_alu instid0(SALU_CYCLE_1)
	s_and_saveexec_b32 s42, s25
	s_cbranch_execz .LBB121_159
; %bb.107:
	s_wait_loadcnt 0x3
	v_cmp_eq_u64_e32 vcc_lo, s[8:9], v[36:37]
	s_and_b32 s24, s41, vcc_lo
	s_delay_alu instid0(SALU_CYCLE_1)
	s_and_saveexec_b32 s44, s24
	s_cbranch_execz .LBB121_158
; %bb.108:
	s_wait_loadcnt 0x1
	v_sub_nc_u64_e32 v[36:37], v[32:33], v[34:35]
	s_delay_alu instid0(VALU_DEP_1)
	v_cmp_le_i64_e32 vcc_lo, s[4:5], v[36:37]
	v_cmp_ge_i64_e64 s1, s[6:7], v[36:37]
	s_and_b32 s22, vcc_lo, s1
	s_mov_b32 s1, 0
	s_and_b32 s23, s40, s22
	s_mov_b32 s22, 0
	s_and_saveexec_b32 s45, s23
	s_cbranch_execz .LBB121_157
; %bb.109:
	v_cmp_lt_i64_e64 s1, s[8:9], 1
	v_mov_b64_e32 v[36:37], 0
	s_xor_b32 s21, s39, -1
	s_delay_alu instid0(SALU_CYCLE_1) | instskip(NEXT) | instid1(SALU_CYCLE_1)
	s_or_b32 s1, s1, s21
	s_and_b32 vcc_lo, exec_lo, s1
	s_cbranch_vccnz .LBB121_133
; %bb.110:
	s_wait_loadcnt 0x0
	v_mul_u64_e32 v[40:41], s[8:9], v[38:39]
	s_mov_b32 s23, 0
	v_mov_b64_e32 v[36:37], 0
	s_mov_b32 s21, s23
	v_mov_b32_e32 v38, 0
	s_lshl_b64 s[28:29], s[20:21], 3
	s_mov_b64 s[24:25], 0xffffffff
	s_add_nc_u64 s[26:27], s[12:13], s[28:29]
	s_add_nc_u64 s[28:29], s[14:15], s[28:29]
	s_mov_b32 s21, s10
	s_branch .LBB121_112
.LBB121_111:                            ;   in Loop: Header=BB121_112 Depth=1
	s_or_b32 exec_lo, exec_lo, s1
	s_delay_alu instid0(VALU_DEP_1)
	v_mul_u64_e32 v[44:45], s[30:31], v[42:43]
	s_load_b64 s[30:31], s[28:29], 0x0
	s_add_co_i32 s21, s21, -1
	s_add_nc_u64 s[26:27], s[26:27], -8
	s_cmp_eq_u32 s21, 0
	s_wait_xcnt 0x0
	s_add_nc_u64 s[28:29], s[28:29], -8
	s_delay_alu instid0(VALU_DEP_1) | instskip(SKIP_1) | instid1(VALU_DEP_1)
	v_sub_nc_u64_e32 v[40:41], v[40:41], v[44:45]
	s_wait_kmcnt 0x0
	v_mad_nc_u64_u32 v[36:37], v40, s30, v[36:37]
	s_delay_alu instid0(VALU_DEP_1) | instskip(NEXT) | instid1(VALU_DEP_1)
	v_mad_u32 v37, v41, s30, v37
	v_mad_u32 v37, v40, s31, v37
	v_mov_b64_e32 v[40:41], v[42:43]
	s_cbranch_scc1 .LBB121_133
.LBB121_112:                            ; =>This Inner Loop Header: Depth=1
	s_load_b64 s[30:31], s[26:27], 0x0
                                        ; implicit-def: $vgpr42_vgpr43
	s_mov_b32 s1, exec_lo
	s_wait_kmcnt 0x0
	s_delay_alu instid0(VALU_DEP_1) | instskip(NEXT) | instid1(VALU_DEP_1)
	v_or_b32_e32 v39, s31, v41
	v_cmpx_ne_u64_e32 0, v[38:39]
	s_xor_b32 s46, exec_lo, s1
	s_cbranch_execz .LBB121_114
; %bb.113:                              ;   in Loop: Header=BB121_112 Depth=1
	s_ashr_i32 s34, s31, 31
	v_dual_mov_b32 v47, v38 :: v_dual_ashrrev_i32 v42, 31, v41
	s_mov_b32 s35, s34
	v_mov_b32_e32 v55, v38
	s_add_nc_u64 s[36:37], s[30:31], s[34:35]
	s_delay_alu instid0(VALU_DEP_2) | instskip(SKIP_1) | instid1(SALU_CYCLE_1)
	v_mov_b32_e32 v43, v42
	s_xor_b64 s[36:37], s[36:37], s[34:35]
	s_cvt_f32_u32 s1, s36
	s_cvt_f32_u32 s22, s37
	s_sub_nc_u64 s[52:53], 0, s[36:37]
	v_add_nc_u64_e32 v[44:45], v[40:41], v[42:43]
	v_mov_b32_e32 v51, v38
	s_fmamk_f32 s1, s22, 0x4f800000, s1
	s_delay_alu instid0(SALU_CYCLE_3) | instskip(NEXT) | instid1(VALU_DEP_2)
	v_s_rcp_f32 s1, s1
	v_xor_b32_e32 v46, v44, v42
	s_delay_alu instid0(VALU_DEP_3) | instskip(NEXT) | instid1(TRANS32_DEP_1)
	v_xor_b32_e32 v50, v45, v42
	s_mul_f32 s1, s1, 0x5f7ffffc
	s_delay_alu instid0(SALU_CYCLE_3) | instskip(NEXT) | instid1(SALU_CYCLE_3)
	s_mul_f32 s22, s1, 0x2f800000
	s_trunc_f32 s22, s22
	s_delay_alu instid0(SALU_CYCLE_3) | instskip(SKIP_1) | instid1(SALU_CYCLE_2)
	s_fmamk_f32 s1, s22, 0xcf800000, s1
	s_cvt_u32_f32 s51, s22
	s_cvt_u32_f32 s50, s1
	s_delay_alu instid0(SALU_CYCLE_3) | instskip(NEXT) | instid1(SALU_CYCLE_1)
	s_mul_u64 s[54:55], s[52:53], s[50:51]
	s_mul_hi_u32 s57, s50, s55
	s_mul_i32 s56, s50, s55
	s_mul_hi_u32 s22, s50, s54
	s_mul_i32 s35, s51, s54
	s_add_nc_u64 s[56:57], s[22:23], s[56:57]
	s_mul_hi_u32 s1, s51, s54
	s_mul_hi_u32 s47, s51, s55
	s_add_co_u32 s22, s56, s35
	s_add_co_ci_u32 s22, s57, s1
	s_mul_i32 s54, s51, s55
	s_add_co_ci_u32 s55, s47, 0
	s_delay_alu instid0(SALU_CYCLE_1) | instskip(NEXT) | instid1(SALU_CYCLE_1)
	s_add_nc_u64 s[54:55], s[22:23], s[54:55]
	s_add_co_u32 s50, s50, s54
	s_cselect_b32 s1, -1, 0
	s_delay_alu instid0(SALU_CYCLE_1) | instskip(SKIP_1) | instid1(SALU_CYCLE_1)
	s_cmp_lg_u32 s1, 0
	s_add_co_ci_u32 s51, s51, s55
	s_mul_u64 s[52:53], s[52:53], s[50:51]
	s_delay_alu instid0(SALU_CYCLE_1)
	s_mul_hi_u32 s55, s50, s53
	s_mul_i32 s54, s50, s53
	s_mul_hi_u32 s22, s50, s52
	s_mul_i32 s35, s51, s52
	s_add_nc_u64 s[54:55], s[22:23], s[54:55]
	s_mul_hi_u32 s1, s51, s52
	s_mul_hi_u32 s47, s51, s53
	s_add_co_u32 s22, s54, s35
	s_add_co_ci_u32 s22, s55, s1
	s_mul_i32 s52, s51, s53
	s_add_co_ci_u32 s53, s47, 0
	s_delay_alu instid0(SALU_CYCLE_1) | instskip(NEXT) | instid1(SALU_CYCLE_1)
	s_add_nc_u64 s[52:53], s[22:23], s[52:53]
	s_add_co_u32 s50, s50, s52
	s_cselect_b32 s1, -1, 0
	v_mul_hi_u32 v54, v46, s50
	s_cmp_lg_u32 s1, 0
	s_add_co_ci_u32 s22, s51, s53
	s_and_b64 s[52:53], s[50:51], s[24:25]
	v_mul_u64_e32 v[48:49], s[22:23], v[46:47]
	v_mul_u64_e32 v[44:45], s[52:53], v[50:51]
	;; [unrolled: 1-line block ×3, first 2 shown]
	s_delay_alu instid0(VALU_DEP_3) | instskip(NEXT) | instid1(VALU_DEP_1)
	v_add_nc_u64_e32 v[48:49], v[54:55], v[48:49]
	v_add_co_u32 v39, vcc_lo, v48, v44
	s_delay_alu instid0(VALU_DEP_2) | instskip(NEXT) | instid1(VALU_DEP_4)
	v_add_co_ci_u32_e32 v54, vcc_lo, v49, v45, vcc_lo
	v_add_co_ci_u32_e32 v53, vcc_lo, 0, v53, vcc_lo
	s_delay_alu instid0(VALU_DEP_1) | instskip(NEXT) | instid1(VALU_DEP_1)
	v_add_nc_u64_e32 v[44:45], v[54:55], v[52:53]
	v_mul_u64_e32 v[48:49], s[36:37], v[44:45]
	s_delay_alu instid0(VALU_DEP_1) | instskip(NEXT) | instid1(VALU_DEP_2)
	v_sub_nc_u32_e32 v39, v50, v49
	v_sub_co_u32 v43, vcc_lo, v46, v48
	s_delay_alu instid0(VALU_DEP_1) | instskip(NEXT) | instid1(VALU_DEP_3)
	v_sub_co_ci_u32_e64 v50, null, v50, v49, vcc_lo
	v_subrev_co_ci_u32_e64 v39, null, s37, v39, vcc_lo
	s_delay_alu instid0(VALU_DEP_3) | instskip(SKIP_1) | instid1(VALU_DEP_3)
	v_sub_co_u32 v46, s1, v43, s36
	v_add_nc_u64_e32 v[48:49], 1, v[44:45]
	v_subrev_co_ci_u32_e64 v39, null, 0, v39, s1
	s_delay_alu instid0(VALU_DEP_3) | instskip(SKIP_1) | instid1(VALU_DEP_3)
	v_cmp_le_u32_e32 vcc_lo, s36, v46
	v_cndmask_b32_e64 v46, 0, -1, vcc_lo
	v_cmp_le_u32_e32 vcc_lo, s37, v39
	v_cndmask_b32_e64 v47, 0, -1, vcc_lo
	;; [unrolled: 2-line block ×4, first 2 shown]
	v_cmp_eq_u32_e32 vcc_lo, s37, v39
	v_cndmask_b32_e32 v39, v47, v46, vcc_lo
	v_cmp_eq_u32_e32 vcc_lo, s37, v50
	v_add_nc_u64_e32 v[46:47], 2, v[44:45]
	v_cndmask_b32_e32 v43, v51, v43, vcc_lo
	s_delay_alu instid0(VALU_DEP_4) | instskip(NEXT) | instid1(VALU_DEP_2)
	v_cmp_ne_u32_e32 vcc_lo, 0, v39
	v_cmp_ne_u32_e64 s1, 0, v43
	s_delay_alu instid0(VALU_DEP_4) | instskip(NEXT) | instid1(VALU_DEP_1)
	v_dual_cndmask_b32 v39, v49, v47, vcc_lo :: v_dual_cndmask_b32 v43, v48, v46, vcc_lo
	v_dual_cndmask_b32 v39, v45, v39, s1 :: v_dual_bitop2_b32 v42, s34, v42 bitop3:0x14
	s_delay_alu instid0(VALU_DEP_1) | instskip(NEXT) | instid1(VALU_DEP_2)
	v_dual_cndmask_b32 v44, v44, v43, s1 :: v_dual_mov_b32 v43, v42
	v_xor_b32_e32 v45, v39, v42
	s_delay_alu instid0(VALU_DEP_2) | instskip(NEXT) | instid1(VALU_DEP_1)
	v_xor_b32_e32 v44, v44, v42
	v_sub_nc_u64_e32 v[42:43], v[44:45], v[42:43]
.LBB121_114:                            ;   in Loop: Header=BB121_112 Depth=1
	s_and_not1_saveexec_b32 s1, s46
	s_cbranch_execz .LBB121_111
; %bb.115:                              ;   in Loop: Header=BB121_112 Depth=1
	v_cvt_f32_u32_e32 v39, s30
	s_sub_co_i32 s22, 0, s30
	s_delay_alu instid0(VALU_DEP_1) | instskip(SKIP_1) | instid1(TRANS32_DEP_1)
	v_rcp_iflag_f32_e32 v39, v39
	v_nop
	v_mul_f32_e32 v39, 0x4f7ffffe, v39
	s_delay_alu instid0(VALU_DEP_1) | instskip(NEXT) | instid1(VALU_DEP_1)
	v_cvt_u32_f32_e32 v39, v39
	v_mul_lo_u32 v42, s22, v39
	s_delay_alu instid0(VALU_DEP_1) | instskip(NEXT) | instid1(VALU_DEP_1)
	v_mul_hi_u32 v42, v39, v42
	v_add_nc_u32_e32 v39, v39, v42
	s_delay_alu instid0(VALU_DEP_1) | instskip(NEXT) | instid1(VALU_DEP_1)
	v_mul_hi_u32 v39, v40, v39
	v_mul_lo_u32 v42, v39, s30
	s_delay_alu instid0(VALU_DEP_1) | instskip(NEXT) | instid1(VALU_DEP_1)
	v_dual_add_nc_u32 v43, 1, v39 :: v_dual_sub_nc_u32 v42, v40, v42
	v_subrev_nc_u32_e32 v44, s30, v42
	v_cmp_le_u32_e32 vcc_lo, s30, v42
	s_delay_alu instid0(VALU_DEP_2) | instskip(NEXT) | instid1(VALU_DEP_1)
	v_dual_cndmask_b32 v42, v42, v44 :: v_dual_cndmask_b32 v39, v39, v43
	v_cmp_le_u32_e32 vcc_lo, s30, v42
	s_delay_alu instid0(VALU_DEP_2) | instskip(NEXT) | instid1(VALU_DEP_1)
	v_add_nc_u32_e32 v43, 1, v39
	v_dual_cndmask_b32 v42, v39, v43 :: v_dual_mov_b32 v43, v38
	s_branch .LBB121_111
.LBB121_116:
	s_wait_loadcnt 0x1
	v_sub_nc_u64_e32 v[8:9], v[2:3], v[4:5]
	s_mov_b32 s21, exec_lo
	s_delay_alu instid0(VALU_DEP_1) | instskip(SKIP_3) | instid1(SALU_CYCLE_1)
	v_cmp_le_i64_e32 vcc_lo, s[4:5], v[8:9]
	v_cmp_ge_i64_e64 s1, s[6:7], v[8:9]
	s_and_not1_b32 s4, s44, exec_lo
	s_and_b32 s1, vcc_lo, s1
	s_and_b32 s1, s40, s1
	s_delay_alu instid0(SALU_CYCLE_1) | instskip(NEXT) | instid1(SALU_CYCLE_1)
	s_xor_b32 s1, s1, -1
	s_and_b32 s1, s1, exec_lo
	s_delay_alu instid0(SALU_CYCLE_1)
	s_or_b32 s44, s4, s1
	s_or_b32 exec_lo, exec_lo, s22
	s_and_saveexec_b32 s1, s44
	s_cbranch_execz .LBB121_94
.LBB121_117:
	s_or_b32 s3, s3, exec_lo
	s_and_not1_b32 s21, s21, exec_lo
	s_trap 2
	s_or_b32 exec_lo, exec_lo, s1
	s_and_saveexec_b32 s24, s21
	s_cbranch_execz .LBB121_95
.LBB121_118:
	v_cmp_lt_i64_e64 s1, s[8:9], 1
	s_wait_loadcnt 0x3
	v_mov_b64_e32 v[8:9], 0
	s_xor_b32 s4, s39, -1
	s_delay_alu instid0(SALU_CYCLE_1) | instskip(NEXT) | instid1(SALU_CYCLE_1)
	s_or_b32 s1, s1, s4
	s_and_b32 vcc_lo, exec_lo, s1
	s_cbranch_vccnz .LBB121_128
; %bb.119:
	s_wait_loadcnt 0x0
	v_mul_u64_e32 v[10:11], s[8:9], v[6:7]
	v_mov_b64_e32 v[8:9], 0
	s_mov_b32 s21, 0
	v_mov_b32_e32 v6, 0
	s_lshl_b64 s[8:9], s[20:21], 3
	s_mov_b64 s[4:5], 0xffffffff
	s_add_nc_u64 s[6:7], s[12:13], s[8:9]
	s_add_nc_u64 s[8:9], s[14:15], s[8:9]
	s_branch .LBB121_121
.LBB121_120:                            ;   in Loop: Header=BB121_121 Depth=1
	s_or_b32 exec_lo, exec_lo, s1
	s_delay_alu instid0(VALU_DEP_1)
	v_mul_u64_e32 v[14:15], s[12:13], v[12:13]
	s_load_b64 s[12:13], s[8:9], 0x0
	s_add_co_i32 s10, s10, -1
	s_add_nc_u64 s[6:7], s[6:7], -8
	s_cmp_lg_u32 s10, 0
	s_wait_xcnt 0x0
	s_add_nc_u64 s[8:9], s[8:9], -8
	s_delay_alu instid0(VALU_DEP_1) | instskip(SKIP_1) | instid1(VALU_DEP_1)
	v_sub_nc_u64_e32 v[10:11], v[10:11], v[14:15]
	s_wait_kmcnt 0x0
	v_mad_nc_u64_u32 v[8:9], v10, s12, v[8:9]
	s_delay_alu instid0(VALU_DEP_1) | instskip(NEXT) | instid1(VALU_DEP_1)
	v_mad_u32 v7, v11, s12, v9
	v_mad_u32 v9, v10, s13, v7
	v_mov_b64_e32 v[10:11], v[12:13]
	s_cbranch_scc0 .LBB121_128
.LBB121_121:                            ; =>This Inner Loop Header: Depth=1
	s_load_b64 s[12:13], s[6:7], 0x0
                                        ; implicit-def: $vgpr12_vgpr13
	s_mov_b32 s1, exec_lo
	s_wait_kmcnt 0x0
	s_delay_alu instid0(VALU_DEP_1) | instskip(NEXT) | instid1(VALU_DEP_1)
	v_or_b32_e32 v7, s13, v11
	v_cmpx_ne_u64_e32 0, v[6:7]
	s_xor_b32 s25, exec_lo, s1
	s_cbranch_execz .LBB121_123
; %bb.122:                              ;   in Loop: Header=BB121_121 Depth=1
	s_ashr_i32 s14, s13, 31
	v_dual_mov_b32 v17, v6 :: v_dual_ashrrev_i32 v12, 31, v11
	s_mov_b32 s15, s14
	s_delay_alu instid0(SALU_CYCLE_1) | instskip(NEXT) | instid1(VALU_DEP_1)
	s_add_nc_u64 s[22:23], s[12:13], s[14:15]
	v_mov_b32_e32 v13, v12
	s_xor_b64 s[22:23], s[22:23], s[14:15]
	s_delay_alu instid0(SALU_CYCLE_1)
	s_cvt_f32_u32 s1, s22
	s_cvt_f32_u32 s15, s23
	s_sub_nc_u64 s[28:29], 0, s[22:23]
	v_add_nc_u64_e32 v[14:15], v[10:11], v[12:13]
	v_mov_b32_e32 v21, v6
	s_fmamk_f32 s1, s15, 0x4f800000, s1
	s_delay_alu instid0(SALU_CYCLE_3) | instskip(NEXT) | instid1(VALU_DEP_2)
	v_s_rcp_f32 s1, s1
	v_xor_b32_e32 v16, v14, v12
	s_delay_alu instid0(VALU_DEP_3) | instskip(SKIP_1) | instid1(TRANS32_DEP_1)
	v_dual_mov_b32 v25, v6 :: v_dual_bitop2_b32 v20, v15, v12 bitop3:0x14
	v_xor_b32_e32 v12, s14, v12
	s_mul_f32 s1, s1, 0x5f7ffffc
	s_delay_alu instid0(SALU_CYCLE_3) | instskip(NEXT) | instid1(SALU_CYCLE_3)
	s_mul_f32 s15, s1, 0x2f800000
	s_trunc_f32 s15, s15
	s_delay_alu instid0(SALU_CYCLE_3) | instskip(SKIP_1) | instid1(SALU_CYCLE_2)
	s_fmamk_f32 s1, s15, 0xcf800000, s1
	s_cvt_u32_f32 s27, s15
	s_cvt_u32_f32 s26, s1
	s_delay_alu instid0(SALU_CYCLE_3) | instskip(NEXT) | instid1(SALU_CYCLE_1)
	s_mul_u64 s[30:31], s[28:29], s[26:27]
	s_mul_hi_u32 s35, s26, s31
	s_mul_i32 s34, s26, s31
	s_mul_hi_u32 s20, s26, s30
	s_mul_i32 s15, s27, s30
	s_add_nc_u64 s[34:35], s[20:21], s[34:35]
	s_mul_hi_u32 s1, s27, s30
	s_mul_hi_u32 s36, s27, s31
	s_add_co_u32 s15, s34, s15
	s_add_co_ci_u32 s20, s35, s1
	s_mul_i32 s30, s27, s31
	s_add_co_ci_u32 s31, s36, 0
	s_delay_alu instid0(SALU_CYCLE_1) | instskip(NEXT) | instid1(SALU_CYCLE_1)
	s_add_nc_u64 s[30:31], s[20:21], s[30:31]
	s_add_co_u32 s26, s26, s30
	s_cselect_b32 s1, -1, 0
	s_delay_alu instid0(SALU_CYCLE_1) | instskip(SKIP_1) | instid1(SALU_CYCLE_1)
	s_cmp_lg_u32 s1, 0
	s_add_co_ci_u32 s27, s27, s31
	s_mul_u64 s[28:29], s[28:29], s[26:27]
	s_delay_alu instid0(SALU_CYCLE_1)
	s_mul_hi_u32 s31, s26, s29
	s_mul_i32 s30, s26, s29
	s_mul_hi_u32 s20, s26, s28
	s_mul_i32 s15, s27, s28
	s_add_nc_u64 s[30:31], s[20:21], s[30:31]
	s_mul_hi_u32 s1, s27, s28
	s_mul_hi_u32 s34, s27, s29
	s_add_co_u32 s15, s30, s15
	s_add_co_ci_u32 s20, s31, s1
	s_mul_i32 s28, s27, s29
	s_add_co_ci_u32 s29, s34, 0
	s_delay_alu instid0(SALU_CYCLE_1) | instskip(NEXT) | instid1(SALU_CYCLE_1)
	s_add_nc_u64 s[28:29], s[20:21], s[28:29]
	s_add_co_u32 s26, s26, s28
	s_cselect_b32 s1, -1, 0
	v_mul_hi_u32 v24, v16, s26
	s_cmp_lg_u32 s1, 0
	s_add_co_ci_u32 s20, s27, s29
	s_and_b64 s[28:29], s[26:27], s[4:5]
	v_mul_u64_e32 v[18:19], s[20:21], v[16:17]
	v_mul_u64_e32 v[14:15], s[28:29], v[20:21]
	;; [unrolled: 1-line block ×3, first 2 shown]
	s_delay_alu instid0(VALU_DEP_3) | instskip(NEXT) | instid1(VALU_DEP_1)
	v_add_nc_u64_e32 v[18:19], v[24:25], v[18:19]
	v_add_co_u32 v7, vcc_lo, v18, v14
	s_delay_alu instid0(VALU_DEP_2) | instskip(NEXT) | instid1(VALU_DEP_4)
	v_add_co_ci_u32_e32 v24, vcc_lo, v19, v15, vcc_lo
	v_add_co_ci_u32_e32 v23, vcc_lo, 0, v23, vcc_lo
	s_delay_alu instid0(VALU_DEP_1) | instskip(NEXT) | instid1(VALU_DEP_1)
	v_add_nc_u64_e32 v[14:15], v[24:25], v[22:23]
	v_mul_u64_e32 v[18:19], s[22:23], v[14:15]
	s_delay_alu instid0(VALU_DEP_1) | instskip(NEXT) | instid1(VALU_DEP_2)
	v_sub_nc_u32_e32 v7, v20, v19
	v_sub_co_u32 v13, vcc_lo, v16, v18
	s_delay_alu instid0(VALU_DEP_1) | instskip(NEXT) | instid1(VALU_DEP_3)
	v_sub_co_ci_u32_e64 v20, null, v20, v19, vcc_lo
	v_subrev_co_ci_u32_e64 v7, null, s23, v7, vcc_lo
	s_delay_alu instid0(VALU_DEP_3) | instskip(SKIP_1) | instid1(VALU_DEP_3)
	v_sub_co_u32 v16, s1, v13, s22
	v_add_nc_u64_e32 v[18:19], 1, v[14:15]
	v_subrev_co_ci_u32_e64 v7, null, 0, v7, s1
	s_delay_alu instid0(VALU_DEP_3) | instskip(SKIP_1) | instid1(VALU_DEP_3)
	v_cmp_le_u32_e32 vcc_lo, s22, v16
	v_cndmask_b32_e64 v16, 0, -1, vcc_lo
	v_cmp_le_u32_e32 vcc_lo, s23, v7
	v_cndmask_b32_e64 v17, 0, -1, vcc_lo
	;; [unrolled: 2-line block ×4, first 2 shown]
	v_cmp_eq_u32_e32 vcc_lo, s23, v7
	v_cndmask_b32_e32 v7, v17, v16, vcc_lo
	v_cmp_eq_u32_e32 vcc_lo, s23, v20
	v_add_nc_u64_e32 v[16:17], 2, v[14:15]
	v_cndmask_b32_e32 v13, v21, v13, vcc_lo
	s_delay_alu instid0(VALU_DEP_4) | instskip(NEXT) | instid1(VALU_DEP_2)
	v_cmp_ne_u32_e32 vcc_lo, 0, v7
	v_cmp_ne_u32_e64 s1, 0, v13
	s_delay_alu instid0(VALU_DEP_4) | instskip(NEXT) | instid1(VALU_DEP_1)
	v_dual_cndmask_b32 v7, v19, v17, vcc_lo :: v_dual_cndmask_b32 v13, v18, v16, vcc_lo
	v_dual_cndmask_b32 v14, v14, v13, s1 :: v_dual_mov_b32 v13, v12
	s_delay_alu instid0(VALU_DEP_1) | instskip(NEXT) | instid1(VALU_DEP_1)
	v_dual_cndmask_b32 v7, v15, v7, s1 :: v_dual_bitop2_b32 v14, v14, v12 bitop3:0x14
	v_xor_b32_e32 v15, v7, v12
	s_delay_alu instid0(VALU_DEP_1)
	v_sub_nc_u64_e32 v[12:13], v[14:15], v[12:13]
.LBB121_123:                            ;   in Loop: Header=BB121_121 Depth=1
	s_and_not1_saveexec_b32 s1, s25
	s_cbranch_execz .LBB121_120
; %bb.124:                              ;   in Loop: Header=BB121_121 Depth=1
	v_cvt_f32_u32_e32 v7, s12
	s_sub_co_i32 s14, 0, s12
	s_delay_alu instid0(VALU_DEP_1) | instskip(SKIP_1) | instid1(TRANS32_DEP_1)
	v_rcp_iflag_f32_e32 v7, v7
	v_nop
	v_mul_f32_e32 v7, 0x4f7ffffe, v7
	s_delay_alu instid0(VALU_DEP_1) | instskip(NEXT) | instid1(VALU_DEP_1)
	v_cvt_u32_f32_e32 v7, v7
	v_mul_lo_u32 v12, s14, v7
	s_delay_alu instid0(VALU_DEP_1) | instskip(NEXT) | instid1(VALU_DEP_1)
	v_mul_hi_u32 v12, v7, v12
	v_add_nc_u32_e32 v7, v7, v12
	s_delay_alu instid0(VALU_DEP_1) | instskip(NEXT) | instid1(VALU_DEP_1)
	v_mul_hi_u32 v7, v10, v7
	v_mul_lo_u32 v12, v7, s12
	s_delay_alu instid0(VALU_DEP_1) | instskip(NEXT) | instid1(VALU_DEP_1)
	v_dual_add_nc_u32 v13, 1, v7 :: v_dual_sub_nc_u32 v12, v10, v12
	v_subrev_nc_u32_e32 v14, s12, v12
	v_cmp_le_u32_e32 vcc_lo, s12, v12
	s_delay_alu instid0(VALU_DEP_2) | instskip(NEXT) | instid1(VALU_DEP_1)
	v_dual_cndmask_b32 v12, v12, v14 :: v_dual_cndmask_b32 v7, v7, v13
	v_cmp_le_u32_e32 vcc_lo, s12, v12
	s_delay_alu instid0(VALU_DEP_2) | instskip(NEXT) | instid1(VALU_DEP_1)
	v_add_nc_u32_e32 v13, 1, v7
	v_dual_cndmask_b32 v12, v7, v13 :: v_dual_mov_b32 v13, v6
	s_branch .LBB121_120
.LBB121_125:
	s_wait_loadcnt 0x1
	v_mov_b64_e32 v[2:3], 0
	v_dual_mov_b32 v0, v1 :: v_dual_bitop2_b32 v4, s2, v0 bitop3:0x54
	global_store_b64 v4, v[2:3], s[18:19] scale_offset
	s_wait_xcnt 0x0
	s_or_b32 exec_lo, exec_lo, s0
	s_delay_alu instid0(SALU_CYCLE_1)
	s_mov_b32 s0, exec_lo
	v_cmpx_gt_i32_e64 s11, v0
	s_cbranch_execz .LBB121_102
.LBB121_126:
	s_wait_loadcnt 0x1
	v_mov_b64_e32 v[2:3], 0
	v_add_nc_u32_e32 v1, s2, v0
	v_add_nc_u32_e32 v0, 0x100, v0
	global_store_b64 v1, v[2:3], s[18:19] scale_offset
	s_wait_xcnt 0x0
	s_or_b32 exec_lo, exec_lo, s0
	s_delay_alu instid0(SALU_CYCLE_1)
	s_mov_b32 s0, exec_lo
	v_cmpx_gt_i32_e64 s11, v0
	s_cbranch_execz .LBB121_103
.LBB121_127:
	s_wait_loadcnt 0x1
	v_mov_b64_e32 v[2:3], 0
	v_add_nc_u32_e32 v1, s2, v0
	v_add_nc_u32_e32 v0, 0x100, v0
	global_store_b64 v1, v[2:3], s[18:19] scale_offset
	s_wait_xcnt 0x0
	s_or_b32 exec_lo, exec_lo, s0
	s_delay_alu instid0(SALU_CYCLE_1)
	s_mov_b32 s0, exec_lo
	v_cmpx_gt_i32_e64 s11, v0
	s_cbranch_execnz .LBB121_104
	s_branch .LBB121_105
.LBB121_128:
	s_mov_b32 s4, s42
	s_mov_b32 s1, exec_lo
	s_wait_loadcnt 0x1
	v_cmpx_gt_i64_e64 v[2:3], v[4:5]
	s_cbranch_execz .LBB121_139
; %bb.129:
	s_wait_loadcnt 0x0
	s_delay_alu instid0(VALU_DEP_2) | instskip(SKIP_2) | instid1(VALU_DEP_1)
	v_lshlrev_b64_e32 v[6:7], 3, v[8:9]
	s_mov_b32 s4, 0
	s_xor_b32 s6, s38, -1
                                        ; implicit-def: $sgpr5
                                        ; implicit-def: $sgpr8
                                        ; implicit-def: $sgpr7
	v_lshl_add_u64 v[4:5], v[4:5], 3, v[6:7]
	v_add_nc_u64_e32 v[6:7], s[16:17], v[6:7]
	s_delay_alu instid0(VALU_DEP_2) | instskip(NEXT) | instid1(VALU_DEP_2)
	v_add_nc_u64_e32 v[4:5], s[16:17], v[4:5]
	v_lshl_add_u64 v[2:3], v[2:3], 3, v[6:7]
	s_delay_alu instid0(VALU_DEP_2)
	v_add_nc_u64_e32 v[4:5], 8, v[4:5]
	s_branch .LBB121_131
.LBB121_130:                            ;   in Loop: Header=BB121_131 Depth=1
	s_or_b32 exec_lo, exec_lo, s9
	s_xor_b32 s9, s7, -1
	s_and_b32 s10, exec_lo, s8
	s_delay_alu instid0(SALU_CYCLE_1) | instskip(SKIP_2) | instid1(SALU_CYCLE_1)
	s_or_b32 s4, s10, s4
	s_and_not1_b32 s5, s5, exec_lo
	s_and_b32 s9, s9, exec_lo
	s_or_b32 s5, s5, s9
	s_and_not1_b32 exec_lo, exec_lo, s4
	s_cbranch_execz .LBB121_138
.LBB121_131:                            ; =>This Inner Loop Header: Depth=1
	s_or_b32 s7, s7, exec_lo
	s_or_b32 s8, s8, exec_lo
	s_mov_b32 s9, exec_lo
	s_delay_alu instid0(VALU_DEP_1)
	v_cmpx_lt_u64_e64 v[4:5], v[2:3]
	s_cbranch_execz .LBB121_130
; %bb.132:                              ;   in Loop: Header=BB121_131 Depth=1
	global_load_b128 v[6:9], v[4:5], off offset:-8
	s_wait_xcnt 0x0
	v_add_nc_u64_e32 v[4:5], 8, v[4:5]
	s_and_not1_b32 s8, s8, exec_lo
	s_and_not1_b32 s7, s7, exec_lo
	s_wait_loadcnt 0x0
	v_cmp_ge_i64_e32 vcc_lo, v[6:7], v[8:9]
	s_or_b32 s10, s6, vcc_lo
	s_delay_alu instid0(SALU_CYCLE_1) | instskip(NEXT) | instid1(SALU_CYCLE_1)
	s_and_b32 s10, s10, exec_lo
	s_or_b32 s8, s8, s10
	s_branch .LBB121_130
.LBB121_133:
	s_mov_b32 s23, -1
	s_mov_b32 s21, 0
	s_mov_b32 s1, exec_lo
	v_cmpx_gt_i64_e64 v[32:33], v[34:35]
	s_cbranch_execz .LBB121_156
; %bb.134:
	s_delay_alu instid0(VALU_DEP_2) | instskip(SKIP_1) | instid1(VALU_DEP_1)
	v_lshlrev_b64_e32 v[36:37], 3, v[36:37]
	s_xor_b32 s23, s38, -1
                                        ; implicit-def: $sgpr22
                                        ; implicit-def: $sgpr25
                                        ; implicit-def: $sgpr24
	v_lshl_add_u64 v[34:35], v[34:35], 3, v[36:37]
	v_add_nc_u64_e32 v[36:37], s[16:17], v[36:37]
	s_delay_alu instid0(VALU_DEP_2) | instskip(NEXT) | instid1(VALU_DEP_2)
	v_add_nc_u64_e32 v[34:35], s[16:17], v[34:35]
	v_lshl_add_u64 v[32:33], v[32:33], 3, v[36:37]
	s_delay_alu instid0(VALU_DEP_2)
	v_add_nc_u64_e32 v[34:35], 8, v[34:35]
	s_branch .LBB121_136
.LBB121_135:                            ;   in Loop: Header=BB121_136 Depth=1
	s_or_b32 exec_lo, exec_lo, s26
	s_delay_alu instid0(SALU_CYCLE_1) | instskip(NEXT) | instid1(SALU_CYCLE_1)
	s_and_b32 s26, exec_lo, s25
	s_or_b32 s21, s26, s21
	s_and_not1_b32 s22, s22, exec_lo
	s_and_b32 s26, s24, exec_lo
	s_delay_alu instid0(SALU_CYCLE_1)
	s_or_b32 s22, s22, s26
	s_and_not1_b32 exec_lo, exec_lo, s21
	s_cbranch_execz .LBB121_155
.LBB121_136:                            ; =>This Inner Loop Header: Depth=1
	s_or_b32 s24, s24, exec_lo
	s_or_b32 s25, s25, exec_lo
	s_mov_b32 s26, exec_lo
	s_delay_alu instid0(VALU_DEP_1)
	v_cmpx_lt_u64_e64 v[34:35], v[32:33]
	s_cbranch_execz .LBB121_135
; %bb.137:                              ;   in Loop: Header=BB121_136 Depth=1
	s_wait_loadcnt 0x0
	global_load_b128 v[36:39], v[34:35], off offset:-8
	s_wait_xcnt 0x0
	v_add_nc_u64_e32 v[34:35], 8, v[34:35]
	s_and_not1_b32 s25, s25, exec_lo
	s_and_not1_b32 s24, s24, exec_lo
	s_wait_loadcnt 0x0
	v_cmp_ge_i64_e32 vcc_lo, v[36:37], v[38:39]
	s_or_b32 s27, s23, vcc_lo
	s_delay_alu instid0(SALU_CYCLE_1) | instskip(NEXT) | instid1(SALU_CYCLE_1)
	s_and_b32 s27, s27, exec_lo
	s_or_b32 s25, s25, s27
	s_branch .LBB121_135
.LBB121_138:
	s_or_b32 exec_lo, exec_lo, s4
	s_delay_alu instid0(SALU_CYCLE_1) | instskip(SKIP_1) | instid1(SALU_CYCLE_1)
	s_and_not1_b32 s4, s42, exec_lo
	s_and_b32 s5, s5, exec_lo
	s_or_b32 s4, s4, s5
.LBB121_139:
	s_or_b32 exec_lo, exec_lo, s1
	s_delay_alu instid0(SALU_CYCLE_1)
	s_and_not1_b32 s1, s42, exec_lo
	s_and_b32 s4, s4, exec_lo
	s_or_b32 s33, s33, exec_lo
	s_or_b32 s42, s1, s4
	s_or_b32 exec_lo, exec_lo, s24
	s_and_saveexec_b32 s1, s42
	s_cbranch_execz .LBB121_96
.LBB121_140:
	s_and_not1_b32 s33, s33, exec_lo
	s_or_b32 s3, s3, exec_lo
	s_trap 2
	s_or_b32 exec_lo, exec_lo, s1
	s_and_saveexec_b32 s1, s3
	s_cbranch_execnz .LBB121_98
	s_branch .LBB121_99
.LBB121_141:
	s_wait_loadcnt 0x0
	v_sub_nc_u64_e32 v[2:3], v[8:9], v[16:17]
	s_and_not1_b32 s37, s37, exec_lo
	s_mov_b32 s38, exec_lo
	s_delay_alu instid0(VALU_DEP_1) | instskip(SKIP_2) | instid1(SALU_CYCLE_1)
	v_cmp_gt_i64_e32 vcc_lo, s[4:5], v[2:3]
	v_cmp_lt_i64_e64 s0, s[6:7], v[2:3]
	s_or_b32 s0, vcc_lo, s0
	s_and_b32 s0, s0, exec_lo
	s_delay_alu instid0(SALU_CYCLE_1)
	s_or_b32 s37, s37, s0
	s_or_b32 exec_lo, exec_lo, s39
	s_and_saveexec_b32 s0, s37
	s_cbranch_execz .LBB121_69
.LBB121_142:
	s_or_b32 s3, s3, exec_lo
	s_and_not1_b32 s38, s38, exec_lo
	s_trap 2
	s_or_b32 exec_lo, exec_lo, s0
	s_mov_b32 s0, 0
	s_and_saveexec_b32 s53, s38
	s_cbranch_execz .LBB121_70
.LBB121_143:
	s_wait_loadcnt 0x2
	v_mov_b64_e32 v[2:3], 0
	s_and_not1_b32 vcc_lo, exec_lo, s52
	s_cbranch_vccnz .LBB121_150
; %bb.144:
	s_wait_loadcnt 0x0
	v_mul_u64_e32 v[6:7], s[8:9], v[24:25]
	v_mov_b64_e32 v[2:3], 0
	s_mov_b32 s37, 0
	v_mov_b32_e32 v4, 0
	s_lshl_b64 s[42:43], s[36:37], 3
	s_mov_b64 s[38:39], 0xffffffff
	s_add_nc_u64 s[40:41], s[12:13], s[42:43]
	s_add_nc_u64 s[42:43], s[14:15], s[42:43]
	s_branch .LBB121_146
.LBB121_145:                            ;   in Loop: Header=BB121_146 Depth=1
	s_or_b32 exec_lo, exec_lo, s0
	s_delay_alu instid0(VALU_DEP_1)
	v_mul_u64_e32 v[12:13], s[44:45], v[10:11]
	s_load_b64 s[44:45], s[42:43], 0x0
	s_add_co_i32 s55, s55, -1
	s_add_nc_u64 s[40:41], s[40:41], -8
	s_cmp_lg_u32 s55, 0
	s_wait_xcnt 0x0
	s_add_nc_u64 s[42:43], s[42:43], -8
	s_delay_alu instid0(VALU_DEP_1) | instskip(SKIP_1) | instid1(VALU_DEP_1)
	v_sub_nc_u64_e32 v[6:7], v[6:7], v[12:13]
	s_wait_kmcnt 0x0
	v_mad_nc_u64_u32 v[2:3], v6, s44, v[2:3]
	s_delay_alu instid0(VALU_DEP_1) | instskip(NEXT) | instid1(VALU_DEP_1)
	v_mad_u32 v1, v7, s44, v3
	v_mad_u32 v3, v6, s45, v1
	v_mov_b64_e32 v[6:7], v[10:11]
	s_cbranch_scc0 .LBB121_150
.LBB121_146:                            ; =>This Inner Loop Header: Depth=1
	s_load_b64 s[44:45], s[40:41], 0x0
                                        ; implicit-def: $vgpr10_vgpr11
	s_mov_b32 s0, exec_lo
	s_wait_kmcnt 0x0
	s_delay_alu instid0(VALU_DEP_1) | instskip(NEXT) | instid1(VALU_DEP_1)
	v_or_b32_e32 v5, s45, v7
	v_cmpx_ne_u64_e32 0, v[4:5]
	s_xor_b32 s52, exec_lo, s0
	s_cbranch_execz .LBB121_148
; %bb.147:                              ;   in Loop: Header=BB121_146 Depth=1
	s_ashr_i32 s46, s45, 31
	v_dual_mov_b32 v15, v4 :: v_dual_ashrrev_i32 v10, 31, v7
	s_mov_b32 s47, s46
	v_mov_b32_e32 v25, v4
	s_add_nc_u64 s[48:49], s[44:45], s[46:47]
	s_delay_alu instid0(VALU_DEP_2) | instskip(SKIP_1) | instid1(SALU_CYCLE_1)
	v_mov_b32_e32 v11, v10
	s_xor_b64 s[48:49], s[48:49], s[46:47]
	s_cvt_f32_u32 s0, s48
	s_cvt_f32_u32 s36, s49
	s_sub_nc_u64 s[58:59], 0, s[48:49]
	v_add_nc_u64_e32 v[12:13], v[6:7], v[10:11]
	v_mov_b32_e32 v21, v4
	s_fmamk_f32 s0, s36, 0x4f800000, s0
	s_delay_alu instid0(SALU_CYCLE_3) | instskip(NEXT) | instid1(VALU_DEP_2)
	v_s_rcp_f32 s0, s0
	v_xor_b32_e32 v14, v12, v10
	s_delay_alu instid0(VALU_DEP_3) | instskip(NEXT) | instid1(TRANS32_DEP_1)
	v_xor_b32_e32 v20, v13, v10
	s_mul_f32 s0, s0, 0x5f7ffffc
	s_delay_alu instid0(SALU_CYCLE_3) | instskip(NEXT) | instid1(SALU_CYCLE_3)
	s_mul_f32 s36, s0, 0x2f800000
	s_trunc_f32 s36, s36
	s_delay_alu instid0(SALU_CYCLE_3) | instskip(SKIP_1) | instid1(SALU_CYCLE_2)
	s_fmamk_f32 s0, s36, 0xcf800000, s0
	s_cvt_u32_f32 s57, s36
	s_cvt_u32_f32 s56, s0
	s_delay_alu instid0(SALU_CYCLE_3) | instskip(NEXT) | instid1(SALU_CYCLE_1)
	s_mul_u64 s[60:61], s[58:59], s[56:57]
	s_mul_hi_u32 s63, s56, s61
	s_mul_i32 s62, s56, s61
	s_mul_hi_u32 s36, s56, s60
	s_mul_i32 s47, s57, s60
	s_add_nc_u64 s[62:63], s[36:37], s[62:63]
	s_mul_hi_u32 s0, s57, s60
	s_mul_hi_u32 s64, s57, s61
	s_add_co_u32 s36, s62, s47
	s_add_co_ci_u32 s36, s63, s0
	s_mul_i32 s60, s57, s61
	s_add_co_ci_u32 s61, s64, 0
	s_delay_alu instid0(SALU_CYCLE_1) | instskip(NEXT) | instid1(SALU_CYCLE_1)
	s_add_nc_u64 s[60:61], s[36:37], s[60:61]
	s_add_co_u32 s56, s56, s60
	s_cselect_b32 s0, -1, 0
	s_delay_alu instid0(SALU_CYCLE_1) | instskip(SKIP_1) | instid1(SALU_CYCLE_1)
	s_cmp_lg_u32 s0, 0
	s_add_co_ci_u32 s57, s57, s61
	s_mul_u64 s[58:59], s[58:59], s[56:57]
	s_delay_alu instid0(SALU_CYCLE_1)
	s_mul_hi_u32 s61, s56, s59
	s_mul_i32 s60, s56, s59
	s_mul_hi_u32 s36, s56, s58
	s_mul_i32 s47, s57, s58
	s_add_nc_u64 s[60:61], s[36:37], s[60:61]
	s_mul_hi_u32 s0, s57, s58
	s_mul_hi_u32 s62, s57, s59
	s_add_co_u32 s36, s60, s47
	s_add_co_ci_u32 s36, s61, s0
	s_mul_i32 s58, s57, s59
	s_add_co_ci_u32 s59, s62, 0
	s_delay_alu instid0(SALU_CYCLE_1) | instskip(NEXT) | instid1(SALU_CYCLE_1)
	s_add_nc_u64 s[58:59], s[36:37], s[58:59]
	s_add_co_u32 s0, s56, s58
	s_cselect_b32 s36, -1, 0
	v_mul_hi_u32 v24, v14, s0
	s_cmp_lg_u32 s36, 0
	s_add_co_ci_u32 s36, s57, s59
	s_and_b64 s[56:57], s[0:1], s[38:39]
	v_mul_u64_e32 v[18:19], s[36:37], v[14:15]
	v_mul_u64_e32 v[12:13], s[56:57], v[20:21]
	;; [unrolled: 1-line block ×3, first 2 shown]
	s_delay_alu instid0(VALU_DEP_3) | instskip(NEXT) | instid1(VALU_DEP_1)
	v_add_nc_u64_e32 v[18:19], v[24:25], v[18:19]
	v_add_co_u32 v1, vcc_lo, v18, v12
	s_delay_alu instid0(VALU_DEP_2) | instskip(NEXT) | instid1(VALU_DEP_4)
	v_add_co_ci_u32_e32 v24, vcc_lo, v19, v13, vcc_lo
	v_add_co_ci_u32_e32 v23, vcc_lo, 0, v23, vcc_lo
	s_delay_alu instid0(VALU_DEP_1) | instskip(NEXT) | instid1(VALU_DEP_1)
	v_add_nc_u64_e32 v[12:13], v[24:25], v[22:23]
	v_mul_u64_e32 v[18:19], s[48:49], v[12:13]
	s_delay_alu instid0(VALU_DEP_1) | instskip(NEXT) | instid1(VALU_DEP_2)
	v_sub_nc_u32_e32 v1, v20, v19
	v_sub_co_u32 v5, vcc_lo, v14, v18
	s_delay_alu instid0(VALU_DEP_1) | instskip(NEXT) | instid1(VALU_DEP_3)
	v_sub_co_ci_u32_e64 v20, null, v20, v19, vcc_lo
	v_subrev_co_ci_u32_e64 v1, null, s49, v1, vcc_lo
	s_delay_alu instid0(VALU_DEP_3) | instskip(SKIP_1) | instid1(VALU_DEP_3)
	v_sub_co_u32 v11, s0, v5, s48
	v_add_nc_u64_e32 v[18:19], 1, v[12:13]
	v_subrev_co_ci_u32_e64 v1, null, 0, v1, s0
	s_delay_alu instid0(VALU_DEP_3) | instskip(SKIP_1) | instid1(VALU_DEP_3)
	v_cmp_le_u32_e32 vcc_lo, s48, v11
	v_cndmask_b32_e64 v11, 0, -1, vcc_lo
	v_cmp_le_u32_e32 vcc_lo, s49, v1
	v_cndmask_b32_e64 v14, 0, -1, vcc_lo
	;; [unrolled: 2-line block ×4, first 2 shown]
	v_cmp_eq_u32_e32 vcc_lo, s49, v1
	v_cndmask_b32_e32 v1, v14, v11, vcc_lo
	v_cmp_eq_u32_e32 vcc_lo, s49, v20
	v_add_nc_u64_e32 v[14:15], 2, v[12:13]
	v_cndmask_b32_e32 v5, v21, v5, vcc_lo
	s_delay_alu instid0(VALU_DEP_4) | instskip(NEXT) | instid1(VALU_DEP_2)
	v_cmp_ne_u32_e32 vcc_lo, 0, v1
	v_cmp_ne_u32_e64 s0, 0, v5
	s_delay_alu instid0(VALU_DEP_4) | instskip(NEXT) | instid1(VALU_DEP_1)
	v_dual_cndmask_b32 v1, v19, v15, vcc_lo :: v_dual_cndmask_b32 v5, v18, v14, vcc_lo
	v_dual_cndmask_b32 v1, v13, v1, s0 :: v_dual_bitop2_b32 v10, s46, v10 bitop3:0x14
	s_delay_alu instid0(VALU_DEP_1) | instskip(NEXT) | instid1(VALU_DEP_2)
	v_dual_cndmask_b32 v5, v12, v5, s0 :: v_dual_mov_b32 v11, v10
	v_xor_b32_e32 v13, v1, v10
	s_delay_alu instid0(VALU_DEP_2) | instskip(NEXT) | instid1(VALU_DEP_1)
	v_xor_b32_e32 v12, v5, v10
	v_sub_nc_u64_e32 v[10:11], v[12:13], v[10:11]
.LBB121_148:                            ;   in Loop: Header=BB121_146 Depth=1
	s_and_not1_saveexec_b32 s0, s52
	s_cbranch_execz .LBB121_145
; %bb.149:                              ;   in Loop: Header=BB121_146 Depth=1
	v_cvt_f32_u32_e32 v1, s44
	s_sub_co_i32 s36, 0, s44
	s_delay_alu instid0(VALU_DEP_1) | instskip(SKIP_1) | instid1(TRANS32_DEP_1)
	v_rcp_iflag_f32_e32 v1, v1
	v_nop
	v_mul_f32_e32 v1, 0x4f7ffffe, v1
	s_delay_alu instid0(VALU_DEP_1) | instskip(NEXT) | instid1(VALU_DEP_1)
	v_cvt_u32_f32_e32 v1, v1
	v_mul_lo_u32 v5, s36, v1
	s_delay_alu instid0(VALU_DEP_1) | instskip(NEXT) | instid1(VALU_DEP_1)
	v_mul_hi_u32 v5, v1, v5
	v_add_nc_u32_e32 v1, v1, v5
	s_delay_alu instid0(VALU_DEP_1) | instskip(NEXT) | instid1(VALU_DEP_1)
	v_mul_hi_u32 v1, v6, v1
	v_mul_lo_u32 v5, v1, s44
	s_delay_alu instid0(VALU_DEP_1) | instskip(NEXT) | instid1(VALU_DEP_1)
	v_sub_nc_u32_e32 v5, v6, v5
	v_subrev_nc_u32_e32 v11, s44, v5
	v_cmp_le_u32_e32 vcc_lo, s44, v5
	s_delay_alu instid0(VALU_DEP_2) | instskip(NEXT) | instid1(VALU_DEP_1)
	v_dual_cndmask_b32 v5, v5, v11 :: v_dual_add_nc_u32 v10, 1, v1
	v_dual_cndmask_b32 v1, v1, v10, vcc_lo :: v_dual_mov_b32 v11, v4
	s_delay_alu instid0(VALU_DEP_2) | instskip(NEXT) | instid1(VALU_DEP_2)
	v_cmp_le_u32_e32 vcc_lo, s44, v5
	v_add_nc_u32_e32 v10, 1, v1
	s_delay_alu instid0(VALU_DEP_1)
	v_cndmask_b32_e32 v10, v1, v10, vcc_lo
	s_branch .LBB121_145
.LBB121_150:
	s_mov_b32 s36, s54
	s_mov_b32 s0, exec_lo
	s_wait_loadcnt 0x0
	v_cmpx_gt_i64_e64 v[8:9], v[16:17]
	s_cbranch_execz .LBB121_177
; %bb.151:
	s_delay_alu instid0(VALU_DEP_2) | instskip(SKIP_2) | instid1(VALU_DEP_1)
	v_lshlrev_b64_e32 v[2:3], 3, v[2:3]
	s_mov_b32 s36, 0
	s_xor_b32 s38, s51, -1
                                        ; implicit-def: $sgpr37
                                        ; implicit-def: $sgpr40
                                        ; implicit-def: $sgpr39
	v_lshl_add_u64 v[4:5], v[16:17], 3, v[2:3]
	v_add_nc_u64_e32 v[6:7], s[16:17], v[2:3]
	s_delay_alu instid0(VALU_DEP_2) | instskip(NEXT) | instid1(VALU_DEP_1)
	v_add_nc_u64_e32 v[4:5], s[16:17], v[4:5]
	v_add_nc_u64_e32 v[2:3], 8, v[4:5]
	s_delay_alu instid0(VALU_DEP_3)
	v_lshl_add_u64 v[4:5], v[8:9], 3, v[6:7]
	s_branch .LBB121_153
.LBB121_152:                            ;   in Loop: Header=BB121_153 Depth=1
	s_or_b32 exec_lo, exec_lo, s41
	s_xor_b32 s41, s39, -1
	s_and_b32 s42, exec_lo, s40
	s_delay_alu instid0(SALU_CYCLE_1) | instskip(SKIP_2) | instid1(SALU_CYCLE_1)
	s_or_b32 s36, s42, s36
	s_and_not1_b32 s37, s37, exec_lo
	s_and_b32 s41, s41, exec_lo
	s_or_b32 s37, s37, s41
	s_and_not1_b32 exec_lo, exec_lo, s36
	s_cbranch_execz .LBB121_176
.LBB121_153:                            ; =>This Inner Loop Header: Depth=1
	s_or_b32 s39, s39, exec_lo
	s_or_b32 s40, s40, exec_lo
	s_mov_b32 s41, exec_lo
	s_delay_alu instid0(VALU_DEP_2)
	v_cmpx_lt_u64_e64 v[2:3], v[4:5]
	s_cbranch_execz .LBB121_152
; %bb.154:                              ;   in Loop: Header=BB121_153 Depth=1
	global_load_b128 v[6:9], v[2:3], off offset:-8
	s_wait_xcnt 0x0
	v_add_nc_u64_e32 v[2:3], 8, v[2:3]
	s_and_not1_b32 s40, s40, exec_lo
	s_and_not1_b32 s39, s39, exec_lo
	s_wait_loadcnt 0x0
	v_cmp_ge_i64_e32 vcc_lo, v[6:7], v[8:9]
	s_or_b32 s42, s38, vcc_lo
	s_delay_alu instid0(SALU_CYCLE_1) | instskip(NEXT) | instid1(SALU_CYCLE_1)
	s_and_b32 s42, s42, exec_lo
	s_or_b32 s40, s40, s42
	s_branch .LBB121_152
.LBB121_155:
	s_or_b32 exec_lo, exec_lo, s21
	s_delay_alu instid0(SALU_CYCLE_1)
	s_mov_b32 s21, exec_lo
	s_or_not1_b32 s23, s22, exec_lo
.LBB121_156:
	s_or_b32 exec_lo, exec_lo, s1
	s_delay_alu instid0(SALU_CYCLE_1)
	s_and_b32 s22, s21, exec_lo
	s_xor_b32 s21, exec_lo, -1
	s_and_b32 s1, s23, exec_lo
.LBB121_157:
	s_or_b32 exec_lo, exec_lo, s45
	s_delay_alu instid0(SALU_CYCLE_1)
	s_and_b32 s23, s22, exec_lo
	s_and_b32 s22, s21, exec_lo
	s_xor_b32 s21, exec_lo, -1
	s_and_b32 s1, s1, exec_lo
.LBB121_158:
	s_or_b32 exec_lo, exec_lo, s44
	s_delay_alu instid0(SALU_CYCLE_1)
	s_and_b32 s24, s23, exec_lo
	s_and_b32 s23, s22, exec_lo
	;; [unrolled: 1-line block ×3, first 2 shown]
	s_xor_b32 s21, exec_lo, -1
	s_and_b32 s1, s1, exec_lo
.LBB121_159:
	s_or_b32 exec_lo, exec_lo, s42
	s_delay_alu instid0(SALU_CYCLE_1)
	s_and_b32 s42, s24, exec_lo
	s_and_b32 s44, s23, exec_lo
	;; [unrolled: 1-line block ×4, first 2 shown]
	s_or_not1_b32 s1, s1, exec_lo
	s_or_b32 exec_lo, exec_lo, s33
	s_mov_b32 s33, 0
	s_and_saveexec_b32 s47, s1
	s_cbranch_execz .LBB121_88
.LBB121_160:
	s_mov_b32 s1, -1
	s_mov_b32 s52, 0
	s_mov_b32 s48, s46
	s_mov_b32 s50, s45
	s_mov_b32 s49, s44
	s_mov_b32 s51, exec_lo
	v_cmpx_gt_i32_e64 s11, v1
	s_cbranch_execz .LBB121_184
; %bb.161:
	s_wait_loadcnt 0x4
	v_cmp_eq_u64_e32 vcc_lo, s[4:5], v[28:29]
	s_mov_b32 s21, -1
	s_mov_b32 s1, 0
	s_mov_b32 s23, s45
	;; [unrolled: 1-line block ×4, first 2 shown]
	s_and_b32 s25, s43, vcc_lo
	s_delay_alu instid0(SALU_CYCLE_1)
	s_and_saveexec_b32 s33, s25
	s_cbranch_execz .LBB121_183
; %bb.162:
	s_wait_loadcnt 0x3
	v_cmp_eq_u64_e32 vcc_lo, s[8:9], v[30:31]
	s_mov_b32 s23, s44
	s_and_b32 s24, s41, vcc_lo
	s_delay_alu instid0(SALU_CYCLE_1)
	s_and_saveexec_b32 s48, s24
	s_cbranch_execz .LBB121_182
; %bb.163:
	s_wait_loadcnt 0x1
	v_sub_nc_u64_e32 v[28:29], v[22:23], v[24:25]
	s_delay_alu instid0(VALU_DEP_1)
	v_cmp_le_i64_e32 vcc_lo, s[4:5], v[28:29]
	v_cmp_ge_i64_e64 s1, s[6:7], v[28:29]
	s_and_b32 s22, vcc_lo, s1
	s_mov_b32 s1, 0
	s_and_b32 s23, s40, s22
	s_mov_b32 s22, 0
	s_and_saveexec_b32 s49, s23
	s_cbranch_execz .LBB121_181
; %bb.164:
	v_cmp_lt_i64_e64 s1, s[8:9], 1
	v_mov_b64_e32 v[28:29], 0
	s_xor_b32 s21, s39, -1
	s_delay_alu instid0(SALU_CYCLE_1) | instskip(NEXT) | instid1(SALU_CYCLE_1)
	s_or_b32 s1, s1, s21
	s_and_b32 vcc_lo, exec_lo, s1
	s_cbranch_vccnz .LBB121_171
; %bb.165:
	s_wait_loadcnt 0x0
	v_mul_u64_e32 v[30:31], s[8:9], v[26:27]
	s_mov_b32 s23, 0
	v_mov_b64_e32 v[28:29], 0
	s_mov_b32 s21, s23
	v_mov_b32_e32 v26, 0
	s_lshl_b64 s[28:29], s[20:21], 3
	s_mov_b64 s[24:25], 0xffffffff
	s_add_nc_u64 s[26:27], s[12:13], s[28:29]
	s_add_nc_u64 s[28:29], s[14:15], s[28:29]
	s_mov_b32 s21, s10
	s_branch .LBB121_167
.LBB121_166:                            ;   in Loop: Header=BB121_167 Depth=1
	s_or_b32 exec_lo, exec_lo, s1
	s_delay_alu instid0(VALU_DEP_1)
	v_mul_u64_e32 v[34:35], s[30:31], v[32:33]
	s_load_b64 s[30:31], s[28:29], 0x0
	s_add_co_i32 s21, s21, -1
	s_add_nc_u64 s[26:27], s[26:27], -8
	s_cmp_lg_u32 s21, 0
	s_wait_xcnt 0x0
	s_add_nc_u64 s[28:29], s[28:29], -8
	s_delay_alu instid0(VALU_DEP_1) | instskip(SKIP_1) | instid1(VALU_DEP_1)
	v_sub_nc_u64_e32 v[30:31], v[30:31], v[34:35]
	s_wait_kmcnt 0x0
	v_mad_nc_u64_u32 v[28:29], v30, s30, v[28:29]
	s_delay_alu instid0(VALU_DEP_1) | instskip(NEXT) | instid1(VALU_DEP_1)
	v_mad_u32 v27, v31, s30, v29
	v_mad_u32 v29, v30, s31, v27
	v_mov_b64_e32 v[30:31], v[32:33]
	s_cbranch_scc0 .LBB121_171
.LBB121_167:                            ; =>This Inner Loop Header: Depth=1
	s_load_b64 s[30:31], s[26:27], 0x0
                                        ; implicit-def: $vgpr32_vgpr33
	s_mov_b32 s1, exec_lo
	s_wait_kmcnt 0x0
	s_delay_alu instid0(VALU_DEP_1) | instskip(NEXT) | instid1(VALU_DEP_1)
	v_or_b32_e32 v27, s31, v31
	v_cmpx_ne_u64_e32 0, v[26:27]
	s_xor_b32 s50, exec_lo, s1
	s_cbranch_execz .LBB121_169
; %bb.168:                              ;   in Loop: Header=BB121_167 Depth=1
	s_ashr_i32 s34, s31, 31
	v_dual_mov_b32 v37, v26 :: v_dual_ashrrev_i32 v32, 31, v31
	s_mov_b32 s35, s34
	s_delay_alu instid0(SALU_CYCLE_1) | instskip(NEXT) | instid1(VALU_DEP_1)
	s_add_nc_u64 s[36:37], s[30:31], s[34:35]
	v_mov_b32_e32 v33, v32
	s_xor_b64 s[36:37], s[36:37], s[34:35]
	s_delay_alu instid0(SALU_CYCLE_1)
	s_cvt_f32_u32 s1, s36
	s_cvt_f32_u32 s22, s37
	s_sub_nc_u64 s[56:57], 0, s[36:37]
	v_add_nc_u64_e32 v[34:35], v[30:31], v[32:33]
	v_mov_b32_e32 v41, v26
	s_fmamk_f32 s1, s22, 0x4f800000, s1
	s_delay_alu instid0(SALU_CYCLE_3) | instskip(NEXT) | instid1(VALU_DEP_2)
	v_s_rcp_f32 s1, s1
	v_xor_b32_e32 v36, v34, v32
	s_delay_alu instid0(VALU_DEP_3) | instskip(SKIP_1) | instid1(TRANS32_DEP_1)
	v_dual_mov_b32 v45, v26 :: v_dual_bitop2_b32 v40, v35, v32 bitop3:0x14
	v_xor_b32_e32 v32, s34, v32
	s_mul_f32 s1, s1, 0x5f7ffffc
	s_delay_alu instid0(SALU_CYCLE_3) | instskip(NEXT) | instid1(SALU_CYCLE_3)
	s_mul_f32 s22, s1, 0x2f800000
	s_trunc_f32 s22, s22
	s_delay_alu instid0(SALU_CYCLE_3) | instskip(SKIP_1) | instid1(SALU_CYCLE_2)
	s_fmamk_f32 s1, s22, 0xcf800000, s1
	s_cvt_u32_f32 s55, s22
	s_cvt_u32_f32 s54, s1
	s_delay_alu instid0(SALU_CYCLE_3) | instskip(NEXT) | instid1(SALU_CYCLE_1)
	s_mul_u64 s[58:59], s[56:57], s[54:55]
	s_mul_hi_u32 s61, s54, s59
	s_mul_i32 s60, s54, s59
	s_mul_hi_u32 s22, s54, s58
	s_mul_i32 s35, s55, s58
	s_add_nc_u64 s[60:61], s[22:23], s[60:61]
	s_mul_hi_u32 s1, s55, s58
	s_mul_hi_u32 s53, s55, s59
	s_add_co_u32 s22, s60, s35
	s_add_co_ci_u32 s22, s61, s1
	s_mul_i32 s58, s55, s59
	s_add_co_ci_u32 s59, s53, 0
	s_delay_alu instid0(SALU_CYCLE_1) | instskip(NEXT) | instid1(SALU_CYCLE_1)
	s_add_nc_u64 s[58:59], s[22:23], s[58:59]
	s_add_co_u32 s54, s54, s58
	s_cselect_b32 s1, -1, 0
	s_delay_alu instid0(SALU_CYCLE_1) | instskip(SKIP_1) | instid1(SALU_CYCLE_1)
	s_cmp_lg_u32 s1, 0
	s_add_co_ci_u32 s55, s55, s59
	s_mul_u64 s[56:57], s[56:57], s[54:55]
	s_delay_alu instid0(SALU_CYCLE_1)
	s_mul_hi_u32 s59, s54, s57
	s_mul_i32 s58, s54, s57
	s_mul_hi_u32 s22, s54, s56
	s_mul_i32 s35, s55, s56
	s_add_nc_u64 s[58:59], s[22:23], s[58:59]
	s_mul_hi_u32 s1, s55, s56
	s_mul_hi_u32 s53, s55, s57
	s_add_co_u32 s22, s58, s35
	s_add_co_ci_u32 s22, s59, s1
	s_mul_i32 s56, s55, s57
	s_add_co_ci_u32 s57, s53, 0
	s_delay_alu instid0(SALU_CYCLE_1) | instskip(NEXT) | instid1(SALU_CYCLE_1)
	s_add_nc_u64 s[56:57], s[22:23], s[56:57]
	s_add_co_u32 s54, s54, s56
	s_cselect_b32 s1, -1, 0
	v_mul_hi_u32 v44, v36, s54
	s_cmp_lg_u32 s1, 0
	s_add_co_ci_u32 s22, s55, s57
	s_and_b64 s[56:57], s[54:55], s[24:25]
	v_mul_u64_e32 v[38:39], s[22:23], v[36:37]
	v_mul_u64_e32 v[34:35], s[56:57], v[40:41]
	;; [unrolled: 1-line block ×3, first 2 shown]
	s_delay_alu instid0(VALU_DEP_3) | instskip(NEXT) | instid1(VALU_DEP_1)
	v_add_nc_u64_e32 v[38:39], v[44:45], v[38:39]
	v_add_co_u32 v27, vcc_lo, v38, v34
	s_delay_alu instid0(VALU_DEP_2) | instskip(NEXT) | instid1(VALU_DEP_4)
	v_add_co_ci_u32_e32 v44, vcc_lo, v39, v35, vcc_lo
	v_add_co_ci_u32_e32 v43, vcc_lo, 0, v43, vcc_lo
	s_delay_alu instid0(VALU_DEP_1) | instskip(NEXT) | instid1(VALU_DEP_1)
	v_add_nc_u64_e32 v[34:35], v[44:45], v[42:43]
	v_mul_u64_e32 v[38:39], s[36:37], v[34:35]
	s_delay_alu instid0(VALU_DEP_1) | instskip(NEXT) | instid1(VALU_DEP_2)
	v_sub_nc_u32_e32 v27, v40, v39
	v_sub_co_u32 v33, vcc_lo, v36, v38
	s_delay_alu instid0(VALU_DEP_1) | instskip(NEXT) | instid1(VALU_DEP_3)
	v_sub_co_ci_u32_e64 v40, null, v40, v39, vcc_lo
	v_subrev_co_ci_u32_e64 v27, null, s37, v27, vcc_lo
	s_delay_alu instid0(VALU_DEP_3) | instskip(SKIP_1) | instid1(VALU_DEP_3)
	v_sub_co_u32 v36, s1, v33, s36
	v_add_nc_u64_e32 v[38:39], 1, v[34:35]
	v_subrev_co_ci_u32_e64 v27, null, 0, v27, s1
	s_delay_alu instid0(VALU_DEP_3) | instskip(SKIP_1) | instid1(VALU_DEP_3)
	v_cmp_le_u32_e32 vcc_lo, s36, v36
	v_cndmask_b32_e64 v36, 0, -1, vcc_lo
	v_cmp_le_u32_e32 vcc_lo, s37, v27
	v_cndmask_b32_e64 v37, 0, -1, vcc_lo
	;; [unrolled: 2-line block ×4, first 2 shown]
	v_cmp_eq_u32_e32 vcc_lo, s37, v27
	v_cndmask_b32_e32 v27, v37, v36, vcc_lo
	v_cmp_eq_u32_e32 vcc_lo, s37, v40
	v_add_nc_u64_e32 v[36:37], 2, v[34:35]
	v_cndmask_b32_e32 v33, v41, v33, vcc_lo
	s_delay_alu instid0(VALU_DEP_4) | instskip(NEXT) | instid1(VALU_DEP_2)
	v_cmp_ne_u32_e32 vcc_lo, 0, v27
	v_cmp_ne_u32_e64 s1, 0, v33
	s_delay_alu instid0(VALU_DEP_4) | instskip(NEXT) | instid1(VALU_DEP_1)
	v_dual_cndmask_b32 v27, v39, v37, vcc_lo :: v_dual_cndmask_b32 v33, v38, v36, vcc_lo
	v_dual_cndmask_b32 v34, v34, v33, s1 :: v_dual_mov_b32 v33, v32
	s_delay_alu instid0(VALU_DEP_1) | instskip(NEXT) | instid1(VALU_DEP_1)
	v_dual_cndmask_b32 v27, v35, v27, s1 :: v_dual_bitop2_b32 v34, v34, v32 bitop3:0x14
	v_xor_b32_e32 v35, v27, v32
	s_delay_alu instid0(VALU_DEP_1)
	v_sub_nc_u64_e32 v[32:33], v[34:35], v[32:33]
.LBB121_169:                            ;   in Loop: Header=BB121_167 Depth=1
	s_and_not1_saveexec_b32 s1, s50
	s_cbranch_execz .LBB121_166
; %bb.170:                              ;   in Loop: Header=BB121_167 Depth=1
	v_cvt_f32_u32_e32 v27, s30
	s_sub_co_i32 s22, 0, s30
	s_delay_alu instid0(VALU_DEP_1) | instskip(SKIP_1) | instid1(TRANS32_DEP_1)
	v_rcp_iflag_f32_e32 v27, v27
	v_nop
	v_mul_f32_e32 v27, 0x4f7ffffe, v27
	s_delay_alu instid0(VALU_DEP_1) | instskip(NEXT) | instid1(VALU_DEP_1)
	v_cvt_u32_f32_e32 v27, v27
	v_mul_lo_u32 v32, s22, v27
	s_delay_alu instid0(VALU_DEP_1) | instskip(NEXT) | instid1(VALU_DEP_1)
	v_mul_hi_u32 v32, v27, v32
	v_add_nc_u32_e32 v27, v27, v32
	s_delay_alu instid0(VALU_DEP_1) | instskip(NEXT) | instid1(VALU_DEP_1)
	v_mul_hi_u32 v27, v30, v27
	v_mul_lo_u32 v32, v27, s30
	s_delay_alu instid0(VALU_DEP_1) | instskip(NEXT) | instid1(VALU_DEP_1)
	v_dual_add_nc_u32 v33, 1, v27 :: v_dual_sub_nc_u32 v32, v30, v32
	v_subrev_nc_u32_e32 v34, s30, v32
	v_cmp_le_u32_e32 vcc_lo, s30, v32
	s_delay_alu instid0(VALU_DEP_2) | instskip(NEXT) | instid1(VALU_DEP_1)
	v_dual_cndmask_b32 v32, v32, v34 :: v_dual_cndmask_b32 v27, v27, v33
	v_cmp_le_u32_e32 vcc_lo, s30, v32
	s_delay_alu instid0(VALU_DEP_2) | instskip(NEXT) | instid1(VALU_DEP_1)
	v_add_nc_u32_e32 v33, 1, v27
	v_dual_cndmask_b32 v32, v27, v33 :: v_dual_mov_b32 v33, v26
	s_branch .LBB121_166
.LBB121_171:
	s_mov_b32 s23, -1
	s_mov_b32 s21, 0
	s_mov_b32 s1, exec_lo
	v_cmpx_gt_i64_e64 v[22:23], v[24:25]
	s_cbranch_execz .LBB121_180
; %bb.172:
	s_wait_loadcnt 0x0
	s_delay_alu instid0(VALU_DEP_2) | instskip(SKIP_1) | instid1(VALU_DEP_1)
	v_lshlrev_b64_e32 v[26:27], 3, v[28:29]
	s_xor_b32 s23, s38, -1
                                        ; implicit-def: $sgpr22
                                        ; implicit-def: $sgpr25
                                        ; implicit-def: $sgpr24
	v_lshl_add_u64 v[24:25], v[24:25], 3, v[26:27]
	v_add_nc_u64_e32 v[26:27], s[16:17], v[26:27]
	s_delay_alu instid0(VALU_DEP_2) | instskip(NEXT) | instid1(VALU_DEP_2)
	v_add_nc_u64_e32 v[24:25], s[16:17], v[24:25]
	v_lshl_add_u64 v[22:23], v[22:23], 3, v[26:27]
	s_delay_alu instid0(VALU_DEP_2)
	v_add_nc_u64_e32 v[24:25], 8, v[24:25]
	s_branch .LBB121_174
.LBB121_173:                            ;   in Loop: Header=BB121_174 Depth=1
	s_or_b32 exec_lo, exec_lo, s26
	s_delay_alu instid0(SALU_CYCLE_1) | instskip(NEXT) | instid1(SALU_CYCLE_1)
	s_and_b32 s26, exec_lo, s25
	s_or_b32 s21, s26, s21
	s_and_not1_b32 s22, s22, exec_lo
	s_and_b32 s26, s24, exec_lo
	s_delay_alu instid0(SALU_CYCLE_1)
	s_or_b32 s22, s22, s26
	s_and_not1_b32 exec_lo, exec_lo, s21
	s_cbranch_execz .LBB121_179
.LBB121_174:                            ; =>This Inner Loop Header: Depth=1
	s_or_b32 s24, s24, exec_lo
	s_or_b32 s25, s25, exec_lo
	s_mov_b32 s26, exec_lo
	s_delay_alu instid0(VALU_DEP_1)
	v_cmpx_lt_u64_e64 v[24:25], v[22:23]
	s_cbranch_execz .LBB121_173
; %bb.175:                              ;   in Loop: Header=BB121_174 Depth=1
	global_load_b128 v[26:29], v[24:25], off offset:-8
	s_wait_xcnt 0x0
	v_add_nc_u64_e32 v[24:25], 8, v[24:25]
	s_and_not1_b32 s25, s25, exec_lo
	s_and_not1_b32 s24, s24, exec_lo
	s_wait_loadcnt 0x0
	v_cmp_ge_i64_e32 vcc_lo, v[26:27], v[28:29]
	s_or_b32 s27, s23, vcc_lo
	s_delay_alu instid0(SALU_CYCLE_1) | instskip(NEXT) | instid1(SALU_CYCLE_1)
	s_and_b32 s27, s27, exec_lo
	s_or_b32 s25, s25, s27
	s_branch .LBB121_173
.LBB121_176:
	s_or_b32 exec_lo, exec_lo, s36
	s_delay_alu instid0(SALU_CYCLE_1) | instskip(SKIP_1) | instid1(SALU_CYCLE_1)
	s_and_not1_b32 s36, s54, exec_lo
	s_and_b32 s37, s37, exec_lo
	s_or_b32 s36, s36, s37
.LBB121_177:
	s_or_b32 exec_lo, exec_lo, s0
	s_delay_alu instid0(SALU_CYCLE_1)
	s_and_not1_b32 s37, s54, exec_lo
	s_and_b32 s36, s36, exec_lo
	s_mov_b32 s0, exec_lo
	s_or_b32 s54, s37, s36
	s_or_b32 exec_lo, exec_lo, s53
	s_and_saveexec_b32 s36, s54
	s_cbranch_execz .LBB121_71
.LBB121_178:
	s_or_b32 s3, s3, exec_lo
	s_and_not1_b32 s0, s0, exec_lo
	s_trap 2
	s_or_b32 exec_lo, exec_lo, s36
	s_and_saveexec_b32 s36, s0
	s_delay_alu instid0(SALU_CYCLE_1)
	s_xor_b32 s0, exec_lo, s36
	s_cbranch_execnz .LBB121_72
	s_branch .LBB121_73
.LBB121_179:
	s_or_b32 exec_lo, exec_lo, s21
	s_delay_alu instid0(SALU_CYCLE_1)
	s_mov_b32 s21, exec_lo
	s_or_not1_b32 s23, s22, exec_lo
.LBB121_180:
	s_or_b32 exec_lo, exec_lo, s1
	s_delay_alu instid0(SALU_CYCLE_1)
	s_and_b32 s22, s21, exec_lo
	s_xor_b32 s21, exec_lo, -1
	s_and_b32 s1, s23, exec_lo
.LBB121_181:
	s_or_b32 exec_lo, exec_lo, s49
	s_delay_alu instid0(SALU_CYCLE_1)
	s_and_not1_b32 s23, s44, exec_lo
	s_and_b32 s21, s21, exec_lo
	s_and_b32 s22, s22, exec_lo
	s_or_b32 s23, s23, s21
	s_xor_b32 s21, exec_lo, -1
	s_and_b32 s1, s1, exec_lo
.LBB121_182:
	s_or_b32 exec_lo, exec_lo, s48
	s_delay_alu instid0(SALU_CYCLE_1)
	s_and_not1_b32 s24, s44, exec_lo
	s_and_b32 s23, s23, exec_lo
	s_and_not1_b32 s25, s45, exec_lo
	s_and_b32 s21, s21, exec_lo
	s_and_b32 s22, s22, exec_lo
	s_or_b32 s24, s24, s23
	s_or_b32 s23, s25, s21
	s_xor_b32 s21, exec_lo, -1
	s_and_b32 s1, s1, exec_lo
.LBB121_183:
	s_or_b32 exec_lo, exec_lo, s33
	s_delay_alu instid0(SALU_CYCLE_1)
	s_and_not1_b32 s25, s44, exec_lo
	s_and_b32 s24, s24, exec_lo
	s_and_b32 s33, s22, exec_lo
	s_or_b32 s49, s25, s24
	s_and_not1_b32 s22, s45, exec_lo
	s_and_b32 s23, s23, exec_lo
	s_and_not1_b32 s24, s46, exec_lo
	s_and_b32 s21, s21, exec_lo
	s_or_b32 s50, s22, s23
	s_or_b32 s48, s24, s21
	s_or_not1_b32 s1, s1, exec_lo
.LBB121_184:
	s_or_b32 exec_lo, exec_lo, s51
	s_mov_b32 s23, 0
	s_and_saveexec_b32 s51, s1
	s_cbranch_execz .LBB121_211
; %bb.185:
	s_wait_loadcnt 0x1
	v_or_b32_e32 v22, 0x200, v0
	s_mov_b32 s25, -1
	s_mov_b32 s52, 0
	s_mov_b32 s1, s48
	s_mov_b32 s22, s50
	s_mov_b32 s21, s49
	s_mov_b32 s53, exec_lo
	v_cmpx_gt_i32_e64 s11, v22
	s_cbranch_execz .LBB121_206
; %bb.186:
	v_cmp_eq_u64_e32 vcc_lo, s[4:5], v[20:21]
	s_mov_b32 s1, -1
	s_mov_b32 s24, 0
	s_mov_b32 s25, s50
	;; [unrolled: 1-line block ×4, first 2 shown]
	s_and_b32 s22, s43, vcc_lo
	s_delay_alu instid0(SALU_CYCLE_1)
	s_and_saveexec_b32 s54, s22
	s_cbranch_execz .LBB121_205
; %bb.187:
	v_cmp_eq_u64_e32 vcc_lo, s[8:9], v[18:19]
	s_mov_b32 s22, 0
	s_mov_b32 s23, s49
	s_and_b32 s21, s41, vcc_lo
	s_delay_alu instid0(SALU_CYCLE_1)
	s_and_saveexec_b32 s55, s21
	s_cbranch_execz .LBB121_204
; %bb.188:
	v_sub_nc_u64_e32 v[18:19], v[12:13], v[14:15]
	s_mov_b32 s22, -1
	s_mov_b32 s21, 0
	s_delay_alu instid0(VALU_DEP_1) | instskip(SKIP_2) | instid1(SALU_CYCLE_1)
	v_cmp_le_i64_e32 vcc_lo, s[4:5], v[18:19]
	v_cmp_ge_i64_e64 s1, s[6:7], v[18:19]
	s_and_b32 s1, vcc_lo, s1
	s_and_b32 s23, s40, s1
	s_mov_b32 s1, 0
	s_and_saveexec_b32 s56, s23
	s_cbranch_execz .LBB121_203
; %bb.189:
	v_cmp_lt_i64_e64 s1, s[8:9], 1
	v_mov_b64_e32 v[18:19], 0
	s_xor_b32 s21, s39, -1
	s_delay_alu instid0(SALU_CYCLE_1) | instskip(NEXT) | instid1(SALU_CYCLE_1)
	s_or_b32 s1, s1, s21
	s_and_b32 vcc_lo, exec_lo, s1
	s_cbranch_vccnz .LBB121_196
; %bb.190:
	s_wait_loadcnt 0x0
	v_mul_u64_e32 v[20:21], s[8:9], v[16:17]
	s_mov_b32 s23, 0
	v_mov_b64_e32 v[18:19], 0
	s_mov_b32 s21, s23
	v_mov_b32_e32 v16, 0
	s_lshl_b64 s[28:29], s[20:21], 3
	s_mov_b64 s[24:25], 0xffffffff
	s_add_nc_u64 s[26:27], s[12:13], s[28:29]
	s_add_nc_u64 s[28:29], s[14:15], s[28:29]
	s_mov_b32 s21, s10
	s_branch .LBB121_192
.LBB121_191:                            ;   in Loop: Header=BB121_192 Depth=1
	s_or_b32 exec_lo, exec_lo, s1
	s_delay_alu instid0(VALU_DEP_1)
	v_mul_u64_e32 v[24:25], s[30:31], v[22:23]
	s_load_b64 s[30:31], s[28:29], 0x0
	s_add_co_i32 s21, s21, -1
	s_add_nc_u64 s[26:27], s[26:27], -8
	s_cmp_lg_u32 s21, 0
	s_wait_xcnt 0x0
	s_add_nc_u64 s[28:29], s[28:29], -8
	s_delay_alu instid0(VALU_DEP_1) | instskip(SKIP_1) | instid1(VALU_DEP_1)
	v_sub_nc_u64_e32 v[20:21], v[20:21], v[24:25]
	s_wait_kmcnt 0x0
	v_mad_nc_u64_u32 v[18:19], v20, s30, v[18:19]
	s_delay_alu instid0(VALU_DEP_1) | instskip(NEXT) | instid1(VALU_DEP_1)
	v_mad_u32 v17, v21, s30, v19
	v_mad_u32 v19, v20, s31, v17
	v_mov_b64_e32 v[20:21], v[22:23]
	s_cbranch_scc0 .LBB121_196
.LBB121_192:                            ; =>This Inner Loop Header: Depth=1
	s_load_b64 s[30:31], s[26:27], 0x0
                                        ; implicit-def: $vgpr22_vgpr23
	s_mov_b32 s1, exec_lo
	s_wait_kmcnt 0x0
	s_delay_alu instid0(VALU_DEP_1) | instskip(NEXT) | instid1(VALU_DEP_1)
	v_or_b32_e32 v17, s31, v21
	v_cmpx_ne_u64_e32 0, v[16:17]
	s_xor_b32 s57, exec_lo, s1
	s_cbranch_execz .LBB121_194
; %bb.193:                              ;   in Loop: Header=BB121_192 Depth=1
	s_ashr_i32 s34, s31, 31
	v_dual_mov_b32 v27, v16 :: v_dual_ashrrev_i32 v22, 31, v21
	s_mov_b32 s35, s34
	s_delay_alu instid0(SALU_CYCLE_1) | instskip(NEXT) | instid1(VALU_DEP_1)
	s_add_nc_u64 s[36:37], s[30:31], s[34:35]
	v_mov_b32_e32 v23, v22
	s_xor_b64 s[36:37], s[36:37], s[34:35]
	s_delay_alu instid0(SALU_CYCLE_1)
	s_cvt_f32_u32 s1, s36
	s_cvt_f32_u32 s22, s37
	s_sub_nc_u64 s[60:61], 0, s[36:37]
	v_add_nc_u64_e32 v[24:25], v[20:21], v[22:23]
	v_mov_b32_e32 v31, v16
	s_fmamk_f32 s1, s22, 0x4f800000, s1
	s_delay_alu instid0(SALU_CYCLE_3) | instskip(NEXT) | instid1(VALU_DEP_2)
	v_s_rcp_f32 s1, s1
	v_xor_b32_e32 v26, v24, v22
	s_delay_alu instid0(VALU_DEP_3) | instskip(SKIP_1) | instid1(TRANS32_DEP_1)
	v_dual_mov_b32 v35, v16 :: v_dual_bitop2_b32 v30, v25, v22 bitop3:0x14
	v_xor_b32_e32 v22, s34, v22
	s_mul_f32 s1, s1, 0x5f7ffffc
	s_delay_alu instid0(SALU_CYCLE_3) | instskip(NEXT) | instid1(SALU_CYCLE_3)
	s_mul_f32 s22, s1, 0x2f800000
	s_trunc_f32 s22, s22
	s_delay_alu instid0(SALU_CYCLE_3) | instskip(SKIP_1) | instid1(SALU_CYCLE_2)
	s_fmamk_f32 s1, s22, 0xcf800000, s1
	s_cvt_u32_f32 s59, s22
	s_cvt_u32_f32 s58, s1
	s_delay_alu instid0(SALU_CYCLE_3) | instskip(NEXT) | instid1(SALU_CYCLE_1)
	s_mul_u64 s[62:63], s[60:61], s[58:59]
	s_mul_hi_u32 s65, s58, s63
	s_mul_i32 s64, s58, s63
	s_mul_hi_u32 s22, s58, s62
	s_mul_i32 s35, s59, s62
	s_add_nc_u64 s[64:65], s[22:23], s[64:65]
	s_mul_hi_u32 s1, s59, s62
	s_mul_hi_u32 s66, s59, s63
	s_add_co_u32 s22, s64, s35
	s_add_co_ci_u32 s22, s65, s1
	s_mul_i32 s62, s59, s63
	s_add_co_ci_u32 s63, s66, 0
	s_delay_alu instid0(SALU_CYCLE_1) | instskip(NEXT) | instid1(SALU_CYCLE_1)
	s_add_nc_u64 s[62:63], s[22:23], s[62:63]
	s_add_co_u32 s58, s58, s62
	s_cselect_b32 s1, -1, 0
	s_delay_alu instid0(SALU_CYCLE_1) | instskip(SKIP_1) | instid1(SALU_CYCLE_1)
	s_cmp_lg_u32 s1, 0
	s_add_co_ci_u32 s59, s59, s63
	s_mul_u64 s[60:61], s[60:61], s[58:59]
	s_delay_alu instid0(SALU_CYCLE_1)
	s_mul_hi_u32 s63, s58, s61
	s_mul_i32 s62, s58, s61
	s_mul_hi_u32 s22, s58, s60
	s_mul_i32 s35, s59, s60
	s_add_nc_u64 s[62:63], s[22:23], s[62:63]
	s_mul_hi_u32 s1, s59, s60
	s_mul_hi_u32 s64, s59, s61
	s_add_co_u32 s22, s62, s35
	s_add_co_ci_u32 s22, s63, s1
	s_mul_i32 s60, s59, s61
	s_add_co_ci_u32 s61, s64, 0
	s_delay_alu instid0(SALU_CYCLE_1) | instskip(NEXT) | instid1(SALU_CYCLE_1)
	s_add_nc_u64 s[60:61], s[22:23], s[60:61]
	s_add_co_u32 s58, s58, s60
	s_cselect_b32 s1, -1, 0
	v_mul_hi_u32 v34, v26, s58
	s_cmp_lg_u32 s1, 0
	s_add_co_ci_u32 s22, s59, s61
	s_and_b64 s[60:61], s[58:59], s[24:25]
	v_mul_u64_e32 v[28:29], s[22:23], v[26:27]
	v_mul_u64_e32 v[24:25], s[60:61], v[30:31]
	v_mul_u64_e32 v[32:33], s[22:23], v[30:31]
	s_delay_alu instid0(VALU_DEP_3) | instskip(NEXT) | instid1(VALU_DEP_1)
	v_add_nc_u64_e32 v[28:29], v[34:35], v[28:29]
	v_add_co_u32 v17, vcc_lo, v28, v24
	s_delay_alu instid0(VALU_DEP_2) | instskip(NEXT) | instid1(VALU_DEP_4)
	v_add_co_ci_u32_e32 v34, vcc_lo, v29, v25, vcc_lo
	v_add_co_ci_u32_e32 v33, vcc_lo, 0, v33, vcc_lo
	s_delay_alu instid0(VALU_DEP_1) | instskip(NEXT) | instid1(VALU_DEP_1)
	v_add_nc_u64_e32 v[24:25], v[34:35], v[32:33]
	v_mul_u64_e32 v[28:29], s[36:37], v[24:25]
	s_delay_alu instid0(VALU_DEP_1) | instskip(NEXT) | instid1(VALU_DEP_2)
	v_sub_nc_u32_e32 v17, v30, v29
	v_sub_co_u32 v23, vcc_lo, v26, v28
	s_delay_alu instid0(VALU_DEP_1) | instskip(NEXT) | instid1(VALU_DEP_3)
	v_sub_co_ci_u32_e64 v30, null, v30, v29, vcc_lo
	v_subrev_co_ci_u32_e64 v17, null, s37, v17, vcc_lo
	s_delay_alu instid0(VALU_DEP_3) | instskip(SKIP_1) | instid1(VALU_DEP_3)
	v_sub_co_u32 v26, s1, v23, s36
	v_add_nc_u64_e32 v[28:29], 1, v[24:25]
	v_subrev_co_ci_u32_e64 v17, null, 0, v17, s1
	s_delay_alu instid0(VALU_DEP_3) | instskip(SKIP_1) | instid1(VALU_DEP_3)
	v_cmp_le_u32_e32 vcc_lo, s36, v26
	v_cndmask_b32_e64 v26, 0, -1, vcc_lo
	v_cmp_le_u32_e32 vcc_lo, s37, v17
	v_cndmask_b32_e64 v27, 0, -1, vcc_lo
	;; [unrolled: 2-line block ×4, first 2 shown]
	v_cmp_eq_u32_e32 vcc_lo, s37, v17
	v_cndmask_b32_e32 v17, v27, v26, vcc_lo
	v_cmp_eq_u32_e32 vcc_lo, s37, v30
	v_add_nc_u64_e32 v[26:27], 2, v[24:25]
	v_cndmask_b32_e32 v23, v31, v23, vcc_lo
	s_delay_alu instid0(VALU_DEP_4) | instskip(NEXT) | instid1(VALU_DEP_2)
	v_cmp_ne_u32_e32 vcc_lo, 0, v17
	v_cmp_ne_u32_e64 s1, 0, v23
	s_delay_alu instid0(VALU_DEP_4) | instskip(NEXT) | instid1(VALU_DEP_1)
	v_dual_cndmask_b32 v17, v29, v27, vcc_lo :: v_dual_cndmask_b32 v23, v28, v26, vcc_lo
	v_dual_cndmask_b32 v24, v24, v23, s1 :: v_dual_mov_b32 v23, v22
	s_delay_alu instid0(VALU_DEP_1) | instskip(NEXT) | instid1(VALU_DEP_1)
	v_dual_cndmask_b32 v17, v25, v17, s1 :: v_dual_bitop2_b32 v24, v24, v22 bitop3:0x14
	v_xor_b32_e32 v25, v17, v22
	s_delay_alu instid0(VALU_DEP_1)
	v_sub_nc_u64_e32 v[22:23], v[24:25], v[22:23]
.LBB121_194:                            ;   in Loop: Header=BB121_192 Depth=1
	s_and_not1_saveexec_b32 s1, s57
	s_cbranch_execz .LBB121_191
; %bb.195:                              ;   in Loop: Header=BB121_192 Depth=1
	v_cvt_f32_u32_e32 v17, s30
	s_sub_co_i32 s22, 0, s30
	s_delay_alu instid0(VALU_DEP_1) | instskip(SKIP_1) | instid1(TRANS32_DEP_1)
	v_rcp_iflag_f32_e32 v17, v17
	v_nop
	v_mul_f32_e32 v17, 0x4f7ffffe, v17
	s_delay_alu instid0(VALU_DEP_1) | instskip(NEXT) | instid1(VALU_DEP_1)
	v_cvt_u32_f32_e32 v17, v17
	v_mul_lo_u32 v22, s22, v17
	s_delay_alu instid0(VALU_DEP_1) | instskip(NEXT) | instid1(VALU_DEP_1)
	v_mul_hi_u32 v22, v17, v22
	v_add_nc_u32_e32 v17, v17, v22
	s_delay_alu instid0(VALU_DEP_1) | instskip(NEXT) | instid1(VALU_DEP_1)
	v_mul_hi_u32 v17, v20, v17
	v_mul_lo_u32 v22, v17, s30
	s_delay_alu instid0(VALU_DEP_1) | instskip(NEXT) | instid1(VALU_DEP_1)
	v_dual_add_nc_u32 v23, 1, v17 :: v_dual_sub_nc_u32 v22, v20, v22
	v_subrev_nc_u32_e32 v24, s30, v22
	v_cmp_le_u32_e32 vcc_lo, s30, v22
	s_delay_alu instid0(VALU_DEP_2) | instskip(NEXT) | instid1(VALU_DEP_1)
	v_dual_cndmask_b32 v22, v22, v24 :: v_dual_cndmask_b32 v17, v17, v23
	v_cmp_le_u32_e32 vcc_lo, s30, v22
	s_delay_alu instid0(VALU_DEP_2) | instskip(NEXT) | instid1(VALU_DEP_1)
	v_add_nc_u32_e32 v23, 1, v17
	v_dual_cndmask_b32 v22, v17, v23 :: v_dual_mov_b32 v23, v16
	s_branch .LBB121_191
.LBB121_196:
	s_mov_b32 s21, -1
	s_mov_b32 s23, 0
	s_mov_b32 s1, exec_lo
	v_cmpx_gt_i64_e64 v[12:13], v[14:15]
	s_cbranch_execz .LBB121_202
; %bb.197:
	s_wait_loadcnt 0x0
	s_delay_alu instid0(VALU_DEP_2) | instskip(SKIP_2) | instid1(VALU_DEP_1)
	v_lshlrev_b64_e32 v[16:17], 3, v[18:19]
	s_mov_b32 s21, 0
	s_xor_b32 s23, s38, -1
                                        ; implicit-def: $sgpr22
                                        ; implicit-def: $sgpr25
                                        ; implicit-def: $sgpr24
	v_lshl_add_u64 v[14:15], v[14:15], 3, v[16:17]
	v_add_nc_u64_e32 v[16:17], s[16:17], v[16:17]
	s_delay_alu instid0(VALU_DEP_2) | instskip(NEXT) | instid1(VALU_DEP_2)
	v_add_nc_u64_e32 v[14:15], s[16:17], v[14:15]
	v_lshl_add_u64 v[12:13], v[12:13], 3, v[16:17]
	s_delay_alu instid0(VALU_DEP_2)
	v_add_nc_u64_e32 v[14:15], 8, v[14:15]
	s_branch .LBB121_199
.LBB121_198:                            ;   in Loop: Header=BB121_199 Depth=1
	s_or_b32 exec_lo, exec_lo, s26
	s_delay_alu instid0(SALU_CYCLE_1) | instskip(NEXT) | instid1(SALU_CYCLE_1)
	s_and_b32 s26, exec_lo, s25
	s_or_b32 s21, s26, s21
	s_and_not1_b32 s22, s22, exec_lo
	s_and_b32 s26, s24, exec_lo
	s_delay_alu instid0(SALU_CYCLE_1)
	s_or_b32 s22, s22, s26
	s_and_not1_b32 exec_lo, exec_lo, s21
	s_cbranch_execz .LBB121_201
.LBB121_199:                            ; =>This Inner Loop Header: Depth=1
	s_or_b32 s24, s24, exec_lo
	s_or_b32 s25, s25, exec_lo
	s_mov_b32 s26, exec_lo
	s_delay_alu instid0(VALU_DEP_1)
	v_cmpx_lt_u64_e64 v[14:15], v[12:13]
	s_cbranch_execz .LBB121_198
; %bb.200:                              ;   in Loop: Header=BB121_199 Depth=1
	global_load_b128 v[16:19], v[14:15], off offset:-8
	s_wait_xcnt 0x0
	v_add_nc_u64_e32 v[14:15], 8, v[14:15]
	s_and_not1_b32 s25, s25, exec_lo
	s_and_not1_b32 s24, s24, exec_lo
	s_wait_loadcnt 0x0
	v_cmp_ge_i64_e32 vcc_lo, v[16:17], v[18:19]
	s_or_b32 s27, s23, vcc_lo
	s_delay_alu instid0(SALU_CYCLE_1) | instskip(NEXT) | instid1(SALU_CYCLE_1)
	s_and_b32 s27, s27, exec_lo
	s_or_b32 s25, s25, s27
	s_branch .LBB121_198
.LBB121_201:
	s_or_b32 exec_lo, exec_lo, s21
	s_delay_alu instid0(SALU_CYCLE_1)
	s_mov_b32 s23, exec_lo
	s_or_not1_b32 s21, s22, exec_lo
.LBB121_202:
	s_or_b32 exec_lo, exec_lo, s1
	s_delay_alu instid0(SALU_CYCLE_1)
	s_and_b32 s1, s23, exec_lo
	s_xor_b32 s22, exec_lo, -1
	s_and_b32 s21, s21, exec_lo
.LBB121_203:
	s_or_b32 exec_lo, exec_lo, s56
	s_delay_alu instid0(SALU_CYCLE_1)
	s_and_not1_b32 s23, s49, exec_lo
	s_and_b32 s22, s22, exec_lo
	s_and_b32 s24, s1, exec_lo
	s_or_b32 s23, s23, s22
	s_xor_b32 s1, exec_lo, -1
	s_and_b32 s22, s21, exec_lo
.LBB121_204:
	s_or_b32 exec_lo, exec_lo, s55
	s_delay_alu instid0(SALU_CYCLE_1)
	s_and_b32 s21, s24, exec_lo
	s_and_not1_b32 s24, s49, exec_lo
	s_and_b32 s23, s23, exec_lo
	s_and_not1_b32 s25, s50, exec_lo
	s_and_b32 s1, s1, exec_lo
	s_or_b32 s23, s24, s23
	s_or_b32 s25, s25, s1
	s_xor_b32 s1, exec_lo, -1
	s_and_b32 s24, s22, exec_lo
.LBB121_205:
	s_or_b32 exec_lo, exec_lo, s54
	s_delay_alu instid0(SALU_CYCLE_1)
	s_and_not1_b32 s22, s49, exec_lo
	s_and_b32 s26, s23, exec_lo
	s_and_b32 s23, s21, exec_lo
	s_or_b32 s21, s22, s26
	s_and_not1_b32 s22, s50, exec_lo
	s_and_b32 s25, s25, exec_lo
	s_and_not1_b32 s26, s48, exec_lo
	s_and_b32 s1, s1, exec_lo
	s_or_b32 s22, s22, s25
	s_or_b32 s1, s26, s1
	s_or_not1_b32 s25, s24, exec_lo
.LBB121_206:
	s_or_b32 exec_lo, exec_lo, s53
	s_mov_b32 s26, 0
	s_and_saveexec_b32 s24, s25
	s_cbranch_execz .LBB121_210
; %bb.207:
	v_or_b32_e32 v12, 0x300, v0
	s_mov_b32 s25, 0
	s_mov_b32 s26, -1
	s_mov_b32 s27, s1
	s_mov_b32 s28, exec_lo
	v_cmpx_gt_i32_e64 s11, v12
	s_xor_b32 s28, exec_lo, s28
; %bb.208:
	v_cmp_ne_u64_e32 vcc_lo, s[4:5], v[10:11]
	s_xor_b32 s26, s43, -1
	s_and_not1_b32 s27, s1, exec_lo
	s_mov_b32 s25, exec_lo
	s_or_b32 s26, s26, vcc_lo
	s_delay_alu instid0(SALU_CYCLE_1)
	s_and_b32 s29, s26, exec_lo
	s_xor_b32 s26, exec_lo, -1
	s_or_b32 s27, s27, s29
; %bb.209:
	s_or_b32 exec_lo, exec_lo, s28
	s_delay_alu instid0(SALU_CYCLE_1)
	s_and_not1_b32 s1, s1, exec_lo
	s_and_b32 s27, s27, exec_lo
	s_and_b32 s26, s26, exec_lo
	s_and_not1_b32 s23, s23, exec_lo
	s_and_b32 s52, s25, exec_lo
	s_or_b32 s1, s1, s27
.LBB121_210:
	s_or_b32 exec_lo, exec_lo, s24
	s_delay_alu instid0(SALU_CYCLE_1)
	s_and_not1_b32 s24, s33, exec_lo
	s_and_b32 s25, s23, exec_lo
	s_and_b32 s21, s21, exec_lo
	s_or_b32 s33, s24, s25
	s_and_not1_b32 s24, s49, exec_lo
	s_and_not1_b32 s25, s50, exec_lo
	s_and_b32 s22, s22, exec_lo
	s_or_b32 s49, s24, s21
	s_and_not1_b32 s21, s48, exec_lo
	s_and_b32 s1, s1, exec_lo
	s_and_b32 s23, s26, exec_lo
	s_or_b32 s50, s25, s22
	s_and_b32 s52, s52, exec_lo
	s_or_b32 s48, s21, s1
.LBB121_211:
	s_or_b32 exec_lo, exec_lo, s51
	s_delay_alu instid0(SALU_CYCLE_1)
	s_and_not1_b32 s1, s42, exec_lo
	s_and_b32 s21, s33, exec_lo
	s_and_b32 s33, s23, exec_lo
	s_or_b32 s42, s1, s21
	s_and_not1_b32 s1, s44, exec_lo
	s_and_b32 s21, s49, exec_lo
	s_and_not1_b32 s22, s45, exec_lo
	s_and_b32 s23, s50, exec_lo
	s_or_b32 s44, s1, s21
	s_and_not1_b32 s1, s46, exec_lo
	s_and_b32 s21, s48, exec_lo
	s_or_b32 s45, s22, s23
	s_and_b32 s48, s52, exec_lo
	s_or_b32 s46, s1, s21
	s_or_b32 exec_lo, exec_lo, s47
	s_and_saveexec_b32 s1, s46
	s_cbranch_execz .LBB121_89
.LBB121_212:
	s_or_b32 s3, s3, exec_lo
	s_and_not1_b32 s48, s48, exec_lo
	s_trap 2
	s_branch .LBB121_89
.LBB121_213:
	s_or_b32 s3, s3, exec_lo
	s_trap 2
	s_branch .LBB121_76
.LBB121_214:
	s_or_b32 s3, s3, exec_lo
	s_and_not1_b32 s1, s1, exec_lo
	s_trap 2
	s_branch .LBB121_92
.LBB121_215:
	s_mov_b32 s3, exec_lo
	s_and_not1_b32 s0, s0, exec_lo
	s_trap 2
	s_branch .LBB121_67
	.section	.rodata,"a",@progbits
	.p2align	6, 0x0
	.amdhsa_kernel _ZN2at6native29vectorized_elementwise_kernelILi8EZZZNS0_12_GLOBAL__N_142_validate_compressed_sparse_indices_kernelILNS2_8CDimNameE1ENS2_18CUDAKernelLauncherENS2_14EmptyVecKernelENS2_8DummyVecELm0EEEvRKNS_6TensorESA_lllENKUlvE1_clEvENKUlvE0_clEvEUllllllE_St5arrayIPcLm6EEEEviT0_T1_
		.amdhsa_group_segment_fixed_size 0
		.amdhsa_private_segment_fixed_size 0
		.amdhsa_kernarg_size 112
		.amdhsa_user_sgpr_count 2
		.amdhsa_user_sgpr_dispatch_ptr 0
		.amdhsa_user_sgpr_queue_ptr 0
		.amdhsa_user_sgpr_kernarg_segment_ptr 1
		.amdhsa_user_sgpr_dispatch_id 0
		.amdhsa_user_sgpr_kernarg_preload_length 0
		.amdhsa_user_sgpr_kernarg_preload_offset 0
		.amdhsa_user_sgpr_private_segment_size 0
		.amdhsa_wavefront_size32 1
		.amdhsa_uses_dynamic_stack 0
		.amdhsa_enable_private_segment 0
		.amdhsa_system_sgpr_workgroup_id_x 1
		.amdhsa_system_sgpr_workgroup_id_y 0
		.amdhsa_system_sgpr_workgroup_id_z 0
		.amdhsa_system_sgpr_workgroup_info 0
		.amdhsa_system_vgpr_workitem_id 0
		.amdhsa_next_free_vgpr 58
		.amdhsa_next_free_sgpr 76
		.amdhsa_named_barrier_count 0
		.amdhsa_reserve_vcc 1
		.amdhsa_float_round_mode_32 0
		.amdhsa_float_round_mode_16_64 0
		.amdhsa_float_denorm_mode_32 3
		.amdhsa_float_denorm_mode_16_64 3
		.amdhsa_fp16_overflow 0
		.amdhsa_memory_ordered 1
		.amdhsa_forward_progress 1
		.amdhsa_inst_pref_size 103
		.amdhsa_round_robin_scheduling 0
		.amdhsa_exception_fp_ieee_invalid_op 0
		.amdhsa_exception_fp_denorm_src 0
		.amdhsa_exception_fp_ieee_div_zero 0
		.amdhsa_exception_fp_ieee_overflow 0
		.amdhsa_exception_fp_ieee_underflow 0
		.amdhsa_exception_fp_ieee_inexact 0
		.amdhsa_exception_int_div_zero 0
	.end_amdhsa_kernel
	.section	.text._ZN2at6native29vectorized_elementwise_kernelILi8EZZZNS0_12_GLOBAL__N_142_validate_compressed_sparse_indices_kernelILNS2_8CDimNameE1ENS2_18CUDAKernelLauncherENS2_14EmptyVecKernelENS2_8DummyVecELm0EEEvRKNS_6TensorESA_lllENKUlvE1_clEvENKUlvE0_clEvEUllllllE_St5arrayIPcLm6EEEEviT0_T1_,"axG",@progbits,_ZN2at6native29vectorized_elementwise_kernelILi8EZZZNS0_12_GLOBAL__N_142_validate_compressed_sparse_indices_kernelILNS2_8CDimNameE1ENS2_18CUDAKernelLauncherENS2_14EmptyVecKernelENS2_8DummyVecELm0EEEvRKNS_6TensorESA_lllENKUlvE1_clEvENKUlvE0_clEvEUllllllE_St5arrayIPcLm6EEEEviT0_T1_,comdat
.Lfunc_end121:
	.size	_ZN2at6native29vectorized_elementwise_kernelILi8EZZZNS0_12_GLOBAL__N_142_validate_compressed_sparse_indices_kernelILNS2_8CDimNameE1ENS2_18CUDAKernelLauncherENS2_14EmptyVecKernelENS2_8DummyVecELm0EEEvRKNS_6TensorESA_lllENKUlvE1_clEvENKUlvE0_clEvEUllllllE_St5arrayIPcLm6EEEEviT0_T1_, .Lfunc_end121-_ZN2at6native29vectorized_elementwise_kernelILi8EZZZNS0_12_GLOBAL__N_142_validate_compressed_sparse_indices_kernelILNS2_8CDimNameE1ENS2_18CUDAKernelLauncherENS2_14EmptyVecKernelENS2_8DummyVecELm0EEEvRKNS_6TensorESA_lllENKUlvE1_clEvENKUlvE0_clEvEUllllllE_St5arrayIPcLm6EEEEviT0_T1_
                                        ; -- End function
	.set _ZN2at6native29vectorized_elementwise_kernelILi8EZZZNS0_12_GLOBAL__N_142_validate_compressed_sparse_indices_kernelILNS2_8CDimNameE1ENS2_18CUDAKernelLauncherENS2_14EmptyVecKernelENS2_8DummyVecELm0EEEvRKNS_6TensorESA_lllENKUlvE1_clEvENKUlvE0_clEvEUllllllE_St5arrayIPcLm6EEEEviT0_T1_.num_vgpr, 58
	.set _ZN2at6native29vectorized_elementwise_kernelILi8EZZZNS0_12_GLOBAL__N_142_validate_compressed_sparse_indices_kernelILNS2_8CDimNameE1ENS2_18CUDAKernelLauncherENS2_14EmptyVecKernelENS2_8DummyVecELm0EEEvRKNS_6TensorESA_lllENKUlvE1_clEvENKUlvE0_clEvEUllllllE_St5arrayIPcLm6EEEEviT0_T1_.num_agpr, 0
	.set _ZN2at6native29vectorized_elementwise_kernelILi8EZZZNS0_12_GLOBAL__N_142_validate_compressed_sparse_indices_kernelILNS2_8CDimNameE1ENS2_18CUDAKernelLauncherENS2_14EmptyVecKernelENS2_8DummyVecELm0EEEvRKNS_6TensorESA_lllENKUlvE1_clEvENKUlvE0_clEvEUllllllE_St5arrayIPcLm6EEEEviT0_T1_.numbered_sgpr, 76
	.set _ZN2at6native29vectorized_elementwise_kernelILi8EZZZNS0_12_GLOBAL__N_142_validate_compressed_sparse_indices_kernelILNS2_8CDimNameE1ENS2_18CUDAKernelLauncherENS2_14EmptyVecKernelENS2_8DummyVecELm0EEEvRKNS_6TensorESA_lllENKUlvE1_clEvENKUlvE0_clEvEUllllllE_St5arrayIPcLm6EEEEviT0_T1_.num_named_barrier, 0
	.set _ZN2at6native29vectorized_elementwise_kernelILi8EZZZNS0_12_GLOBAL__N_142_validate_compressed_sparse_indices_kernelILNS2_8CDimNameE1ENS2_18CUDAKernelLauncherENS2_14EmptyVecKernelENS2_8DummyVecELm0EEEvRKNS_6TensorESA_lllENKUlvE1_clEvENKUlvE0_clEvEUllllllE_St5arrayIPcLm6EEEEviT0_T1_.private_seg_size, 0
	.set _ZN2at6native29vectorized_elementwise_kernelILi8EZZZNS0_12_GLOBAL__N_142_validate_compressed_sparse_indices_kernelILNS2_8CDimNameE1ENS2_18CUDAKernelLauncherENS2_14EmptyVecKernelENS2_8DummyVecELm0EEEvRKNS_6TensorESA_lllENKUlvE1_clEvENKUlvE0_clEvEUllllllE_St5arrayIPcLm6EEEEviT0_T1_.uses_vcc, 1
	.set _ZN2at6native29vectorized_elementwise_kernelILi8EZZZNS0_12_GLOBAL__N_142_validate_compressed_sparse_indices_kernelILNS2_8CDimNameE1ENS2_18CUDAKernelLauncherENS2_14EmptyVecKernelENS2_8DummyVecELm0EEEvRKNS_6TensorESA_lllENKUlvE1_clEvENKUlvE0_clEvEUllllllE_St5arrayIPcLm6EEEEviT0_T1_.uses_flat_scratch, 0
	.set _ZN2at6native29vectorized_elementwise_kernelILi8EZZZNS0_12_GLOBAL__N_142_validate_compressed_sparse_indices_kernelILNS2_8CDimNameE1ENS2_18CUDAKernelLauncherENS2_14EmptyVecKernelENS2_8DummyVecELm0EEEvRKNS_6TensorESA_lllENKUlvE1_clEvENKUlvE0_clEvEUllllllE_St5arrayIPcLm6EEEEviT0_T1_.has_dyn_sized_stack, 0
	.set _ZN2at6native29vectorized_elementwise_kernelILi8EZZZNS0_12_GLOBAL__N_142_validate_compressed_sparse_indices_kernelILNS2_8CDimNameE1ENS2_18CUDAKernelLauncherENS2_14EmptyVecKernelENS2_8DummyVecELm0EEEvRKNS_6TensorESA_lllENKUlvE1_clEvENKUlvE0_clEvEUllllllE_St5arrayIPcLm6EEEEviT0_T1_.has_recursion, 0
	.set _ZN2at6native29vectorized_elementwise_kernelILi8EZZZNS0_12_GLOBAL__N_142_validate_compressed_sparse_indices_kernelILNS2_8CDimNameE1ENS2_18CUDAKernelLauncherENS2_14EmptyVecKernelENS2_8DummyVecELm0EEEvRKNS_6TensorESA_lllENKUlvE1_clEvENKUlvE0_clEvEUllllllE_St5arrayIPcLm6EEEEviT0_T1_.has_indirect_call, 0
	.section	.AMDGPU.csdata,"",@progbits
; Kernel info:
; codeLenInByte = 13128
; TotalNumSgprs: 78
; NumVgprs: 58
; ScratchSize: 0
; MemoryBound: 1
; FloatMode: 240
; IeeeMode: 1
; LDSByteSize: 0 bytes/workgroup (compile time only)
; SGPRBlocks: 0
; VGPRBlocks: 3
; NumSGPRsForWavesPerEU: 78
; NumVGPRsForWavesPerEU: 58
; NamedBarCnt: 0
; Occupancy: 16
; WaveLimiterHint : 0
; COMPUTE_PGM_RSRC2:SCRATCH_EN: 0
; COMPUTE_PGM_RSRC2:USER_SGPR: 2
; COMPUTE_PGM_RSRC2:TRAP_HANDLER: 0
; COMPUTE_PGM_RSRC2:TGID_X_EN: 1
; COMPUTE_PGM_RSRC2:TGID_Y_EN: 0
; COMPUTE_PGM_RSRC2:TGID_Z_EN: 0
; COMPUTE_PGM_RSRC2:TIDIG_COMP_CNT: 0
	.section	.text._ZN2at6native29vectorized_elementwise_kernelILi4EZZZNS0_12_GLOBAL__N_142_validate_compressed_sparse_indices_kernelILNS2_8CDimNameE1ENS2_18CUDAKernelLauncherENS2_14EmptyVecKernelENS2_8DummyVecELm0EEEvRKNS_6TensorESA_lllENKUlvE1_clEvENKUlvE0_clEvEUllllllE_St5arrayIPcLm6EEEEviT0_T1_,"axG",@progbits,_ZN2at6native29vectorized_elementwise_kernelILi4EZZZNS0_12_GLOBAL__N_142_validate_compressed_sparse_indices_kernelILNS2_8CDimNameE1ENS2_18CUDAKernelLauncherENS2_14EmptyVecKernelENS2_8DummyVecELm0EEEvRKNS_6TensorESA_lllENKUlvE1_clEvENKUlvE0_clEvEUllllllE_St5arrayIPcLm6EEEEviT0_T1_,comdat
	.globl	_ZN2at6native29vectorized_elementwise_kernelILi4EZZZNS0_12_GLOBAL__N_142_validate_compressed_sparse_indices_kernelILNS2_8CDimNameE1ENS2_18CUDAKernelLauncherENS2_14EmptyVecKernelENS2_8DummyVecELm0EEEvRKNS_6TensorESA_lllENKUlvE1_clEvENKUlvE0_clEvEUllllllE_St5arrayIPcLm6EEEEviT0_T1_ ; -- Begin function _ZN2at6native29vectorized_elementwise_kernelILi4EZZZNS0_12_GLOBAL__N_142_validate_compressed_sparse_indices_kernelILNS2_8CDimNameE1ENS2_18CUDAKernelLauncherENS2_14EmptyVecKernelENS2_8DummyVecELm0EEEvRKNS_6TensorESA_lllENKUlvE1_clEvENKUlvE0_clEvEUllllllE_St5arrayIPcLm6EEEEviT0_T1_
	.p2align	8
	.type	_ZN2at6native29vectorized_elementwise_kernelILi4EZZZNS0_12_GLOBAL__N_142_validate_compressed_sparse_indices_kernelILNS2_8CDimNameE1ENS2_18CUDAKernelLauncherENS2_14EmptyVecKernelENS2_8DummyVecELm0EEEvRKNS_6TensorESA_lllENKUlvE1_clEvENKUlvE0_clEvEUllllllE_St5arrayIPcLm6EEEEviT0_T1_,@function
_ZN2at6native29vectorized_elementwise_kernelILi4EZZZNS0_12_GLOBAL__N_142_validate_compressed_sparse_indices_kernelILNS2_8CDimNameE1ENS2_18CUDAKernelLauncherENS2_14EmptyVecKernelENS2_8DummyVecELm0EEEvRKNS_6TensorESA_lllENKUlvE1_clEvENKUlvE0_clEvEUllllllE_St5arrayIPcLm6EEEEviT0_T1_: ; @_ZN2at6native29vectorized_elementwise_kernelILi4EZZZNS0_12_GLOBAL__N_142_validate_compressed_sparse_indices_kernelILNS2_8CDimNameE1ENS2_18CUDAKernelLauncherENS2_14EmptyVecKernelENS2_8DummyVecELm0EEEvRKNS_6TensorESA_lllENKUlvE1_clEvENKUlvE0_clEvEUllllllE_St5arrayIPcLm6EEEEviT0_T1_
; %bb.0:
	s_clause 0x3
	s_load_b32 s3, s[0:1], 0x0
	s_load_b512 s[4:19], s[0:1], 0x8
	s_load_b64 s[28:29], s[0:1], 0x68
	s_load_b256 s[20:27], s[0:1], 0x48
	s_wait_xcnt 0x0
	s_bfe_u32 s0, ttmp6, 0x4000c
	s_and_b32 s1, ttmp6, 15
	s_add_co_i32 s0, s0, 1
	s_getreg_b32 s2, hwreg(HW_REG_IB_STS2, 6, 4)
	s_mul_i32 s0, ttmp9, s0
	s_mov_b32 s33, 0
	s_add_co_i32 s1, s1, s0
	s_cmp_eq_u32 s2, 0
	s_get_pc_i64 s[30:31]
	s_add_nc_u64 s[30:31], s[30:31], .str.6@rel64+4
	s_cselect_b32 s0, ttmp9, s1
	s_delay_alu instid0(SALU_CYCLE_1)
	s_lshl_b32 s2, s0, 10
	s_mov_b32 s0, -1
	s_wait_kmcnt 0x0
	s_sub_co_i32 s11, s3, s2
	s_mov_b32 s3, 0
	s_cmp_gt_i32 s11, 0x3ff
	s_cbranch_scc0 .LBB122_77
; %bb.1:
	s_cmp_eq_u64 s[30:31], 0
	s_cselect_b32 s0, -1, 0
	s_cmp_lg_u64 s[30:31], 0
	s_cbranch_scc0 .LBB122_75
; %bb.2:
	s_ashr_i32 s3, s2, 31
	v_lshlrev_b32_e32 v36, 5, v0
	s_lshl_b64 s[34:35], s[2:3], 3
	s_mov_b32 s0, -1
	s_add_nc_u64 s[38:39], s[20:21], s[34:35]
	s_mov_b32 s3, 0
	global_load_b64 v[2:3], v36, s[38:39]
	s_mov_b32 s50, exec_lo
	s_wait_loadcnt 0x0
	v_cmpx_eq_u64_e64 s[4:5], v[2:3]
	s_cbranch_execz .LBB122_74
; %bb.3:
	s_add_nc_u64 s[0:1], s[22:23], s[34:35]
	s_get_pc_i64 s[36:37]
	s_add_nc_u64 s[36:37], s[36:37], .str.7@rel64+4
	s_clause 0x1
	global_load_b128 v[32:35], v36, s[0:1]
	global_load_b128 v[26:29], v36, s[0:1] offset:16
	s_cmp_lg_u64 s[36:37], 0
	v_mov_b32_e32 v37, 0
	s_wait_xcnt 0x0
	s_cselect_b32 s1, -1, 0
	s_mov_b32 s40, -1
	s_mov_b32 s0, 0
	s_mov_b32 s37, 0
	;; [unrolled: 1-line block ×3, first 2 shown]
                                        ; implicit-def: $sgpr51
                                        ; implicit-def: $sgpr52
                                        ; implicit-def: $sgpr36
                                        ; implicit-def: $sgpr55
                                        ; implicit-def: $vgpr18_vgpr19_vgpr20_vgpr21_vgpr22_vgpr23_vgpr24_vgpr25
                                        ; implicit-def: $vgpr2_vgpr3_vgpr4_vgpr5_vgpr6_vgpr7_vgpr8_vgpr9
                                        ; implicit-def: $vgpr10_vgpr11_vgpr12_vgpr13_vgpr14_vgpr15_vgpr16_vgpr17
	s_wait_loadcnt 0x1
	v_cmp_eq_u64_e32 vcc_lo, s[8:9], v[32:33]
	s_and_b32 s41, s1, vcc_lo
	s_mov_b32 s1, 0
	s_and_saveexec_b32 s53, s41
	s_cbranch_execz .LBB122_66
; %bb.4:
	s_add_nc_u64 s[0:1], s[26:27], s[34:35]
	s_add_nc_u64 s[36:37], s[24:25], s[34:35]
	s_clause 0x3
	global_load_b128 v[10:13], v36, s[0:1]
	global_load_b128 v[30:33], v36, s[36:37]
	global_load_b128 v[14:17], v36, s[36:37] offset:16
	global_load_b128 v[6:9], v36, s[0:1] offset:16
	s_get_pc_i64 s[42:43]
	s_add_nc_u64 s[42:43], s[42:43], .str.8@rel64+4
	s_wait_xcnt 0x1
	s_mov_b32 s37, -1
	s_cmp_lg_u64 s[42:43], 0
	s_mov_b32 s40, 0
	s_wait_xcnt 0x0
	s_cselect_b32 s1, -1, 0
	s_mov_b32 s41, 0
	s_mov_b32 s42, 0
                                        ; implicit-def: $sgpr51
                                        ; implicit-def: $sgpr52
                                        ; implicit-def: $sgpr36
                                        ; implicit-def: $vgpr18_vgpr19_vgpr20_vgpr21_vgpr22_vgpr23_vgpr24_vgpr25
	s_wait_loadcnt 0x2
	v_sub_nc_u64_e32 v[2:3], v[10:11], v[30:31]
	s_delay_alu instid0(VALU_DEP_1) | instskip(SKIP_2) | instid1(SALU_CYCLE_1)
	v_cmp_le_i64_e32 vcc_lo, s[4:5], v[2:3]
	v_cmp_ge_i64_e64 s0, s[6:7], v[2:3]
	s_and_b32 s0, vcc_lo, s0
	s_and_b32 s0, s1, s0
	s_mov_b32 s1, 0
	s_and_saveexec_b32 s54, s0
	s_cbranch_execz .LBB122_65
; %bb.5:
	v_add_nc_u64_e32 v[40:41], s[38:39], v[36:37]
	s_add_nc_u64 s[0:1], s[28:29], s[34:35]
	s_add_co_i32 s36, s10, -1
	s_clause 0x1
	global_load_b64 v[38:39], v[40:41], off offset:24
	global_load_b128 v[2:5], v[40:41], off offset:8
	s_clause 0x1
	global_load_b128 v[22:25], v36, s[0:1] offset:16
	global_load_b128 v[18:21], v36, s[0:1]
	s_wait_xcnt 0x0
	v_cmp_gt_i64_e64 s0, s[8:9], 0
	s_cmp_gt_i32 s36, -1
	v_mov_b64_e32 v[40:41], 0
	s_cselect_b32 s1, -1, 0
	s_delay_alu instid0(SALU_CYCLE_1) | instskip(NEXT) | instid1(SALU_CYCLE_1)
	s_and_b32 s52, s0, s1
	s_and_not1_b32 vcc_lo, exec_lo, s52
	s_cbranch_vccnz .LBB122_12
; %bb.6:
	s_wait_loadcnt 0x0
	v_mul_u64_e32 v[42:43], s[8:9], v[18:19]
	s_mov_b32 s1, 0
	v_mov_b64_e32 v[40:41], 0
	s_mov_b32 s37, s1
	v_mov_b32_e32 v18, 0
	s_lshl_b64 s[42:43], s[36:37], 3
	s_mov_b64 s[38:39], 0xffffffff
	s_add_nc_u64 s[40:41], s[12:13], s[42:43]
	s_add_nc_u64 s[42:43], s[14:15], s[42:43]
	s_mov_b32 s37, s10
	s_branch .LBB122_8
.LBB122_7:                              ;   in Loop: Header=BB122_8 Depth=1
	s_or_b32 exec_lo, exec_lo, s0
	s_delay_alu instid0(VALU_DEP_1)
	v_mul_u64_e32 v[46:47], s[44:45], v[44:45]
	s_load_b64 s[44:45], s[42:43], 0x0
	s_add_co_i32 s37, s37, -1
	s_add_nc_u64 s[40:41], s[40:41], -8
	s_cmp_eq_u32 s37, 0
	s_wait_xcnt 0x0
	s_add_nc_u64 s[42:43], s[42:43], -8
	s_delay_alu instid0(VALU_DEP_1) | instskip(SKIP_1) | instid1(VALU_DEP_1)
	v_sub_nc_u64_e32 v[42:43], v[42:43], v[46:47]
	s_wait_kmcnt 0x0
	v_mad_nc_u64_u32 v[40:41], v42, s44, v[40:41]
	s_delay_alu instid0(VALU_DEP_1) | instskip(NEXT) | instid1(VALU_DEP_1)
	v_mad_u32 v1, v43, s44, v41
	v_mad_u32 v41, v42, s45, v1
	v_mov_b64_e32 v[42:43], v[44:45]
	s_cbranch_scc1 .LBB122_12
.LBB122_8:                              ; =>This Inner Loop Header: Depth=1
	s_load_b64 s[44:45], s[40:41], 0x0
                                        ; implicit-def: $vgpr44_vgpr45
	s_mov_b32 s0, exec_lo
	s_wait_kmcnt 0x0
	s_delay_alu instid0(VALU_DEP_1) | instskip(NEXT) | instid1(VALU_DEP_1)
	v_or_b32_e32 v19, s45, v43
	v_cmpx_ne_u64_e32 0, v[18:19]
	s_xor_b32 s51, exec_lo, s0
	s_cbranch_execz .LBB122_10
; %bb.9:                                ;   in Loop: Header=BB122_8 Depth=1
	s_ashr_i32 s46, s45, 31
	v_dual_mov_b32 v49, v18 :: v_dual_ashrrev_i32 v44, 31, v43
	s_mov_b32 s47, s46
	s_delay_alu instid0(SALU_CYCLE_1) | instskip(NEXT) | instid1(VALU_DEP_1)
	s_add_nc_u64 s[48:49], s[44:45], s[46:47]
	v_mov_b32_e32 v45, v44
	s_xor_b64 s[48:49], s[48:49], s[46:47]
	s_delay_alu instid0(SALU_CYCLE_1)
	s_cvt_f32_u32 s0, s48
	s_cvt_f32_u32 s47, s49
	s_sub_nc_u64 s[58:59], 0, s[48:49]
	v_add_nc_u64_e32 v[46:47], v[42:43], v[44:45]
	v_mov_b32_e32 v53, v18
	s_fmamk_f32 s0, s47, 0x4f800000, s0
	s_delay_alu instid0(SALU_CYCLE_3) | instskip(NEXT) | instid1(VALU_DEP_2)
	v_s_rcp_f32 s0, s0
	v_xor_b32_e32 v48, v46, v44
	s_delay_alu instid0(VALU_DEP_3) | instskip(NEXT) | instid1(TRANS32_DEP_1)
	v_dual_mov_b32 v57, v18 :: v_dual_bitop2_b32 v52, v47, v44 bitop3:0x14
	s_mul_f32 s0, s0, 0x5f7ffffc
	s_delay_alu instid0(SALU_CYCLE_3) | instskip(NEXT) | instid1(SALU_CYCLE_3)
	s_mul_f32 s47, s0, 0x2f800000
	s_trunc_f32 s47, s47
	s_delay_alu instid0(SALU_CYCLE_3) | instskip(SKIP_1) | instid1(SALU_CYCLE_2)
	s_fmamk_f32 s0, s47, 0xcf800000, s0
	s_cvt_u32_f32 s57, s47
	s_cvt_u32_f32 s56, s0
	s_delay_alu instid0(SALU_CYCLE_3) | instskip(NEXT) | instid1(SALU_CYCLE_1)
	s_mul_u64 s[60:61], s[58:59], s[56:57]
	s_mul_hi_u32 s63, s56, s61
	s_mul_i32 s62, s56, s61
	s_mul_hi_u32 s0, s56, s60
	s_mul_i32 s55, s57, s60
	s_add_nc_u64 s[62:63], s[0:1], s[62:63]
	s_mul_hi_u32 s47, s57, s60
	s_mul_hi_u32 s64, s57, s61
	s_add_co_u32 s0, s62, s55
	s_add_co_ci_u32 s0, s63, s47
	s_mul_i32 s60, s57, s61
	s_add_co_ci_u32 s61, s64, 0
	s_delay_alu instid0(SALU_CYCLE_1) | instskip(NEXT) | instid1(SALU_CYCLE_1)
	s_add_nc_u64 s[60:61], s[0:1], s[60:61]
	s_add_co_u32 s56, s56, s60
	s_cselect_b32 s0, -1, 0
	s_delay_alu instid0(SALU_CYCLE_1) | instskip(SKIP_1) | instid1(SALU_CYCLE_1)
	s_cmp_lg_u32 s0, 0
	s_add_co_ci_u32 s57, s57, s61
	s_mul_u64 s[58:59], s[58:59], s[56:57]
	s_delay_alu instid0(SALU_CYCLE_1)
	s_mul_hi_u32 s61, s56, s59
	s_mul_i32 s60, s56, s59
	s_mul_hi_u32 s0, s56, s58
	s_mul_i32 s55, s57, s58
	s_add_nc_u64 s[60:61], s[0:1], s[60:61]
	s_mul_hi_u32 s47, s57, s58
	s_mul_hi_u32 s62, s57, s59
	s_add_co_u32 s0, s60, s55
	s_add_co_ci_u32 s0, s61, s47
	s_mul_i32 s58, s57, s59
	s_add_co_ci_u32 s59, s62, 0
	s_delay_alu instid0(SALU_CYCLE_1) | instskip(NEXT) | instid1(SALU_CYCLE_1)
	s_add_nc_u64 s[58:59], s[0:1], s[58:59]
	s_add_co_u32 s56, s56, s58
	s_cselect_b32 s0, -1, 0
	v_mul_hi_u32 v56, v48, s56
	s_cmp_lg_u32 s0, 0
	s_add_co_ci_u32 s0, s57, s59
	s_and_b64 s[58:59], s[56:57], s[38:39]
	v_mul_u64_e32 v[50:51], s[0:1], v[48:49]
	v_mul_u64_e32 v[46:47], s[58:59], v[52:53]
	;; [unrolled: 1-line block ×3, first 2 shown]
	s_delay_alu instid0(VALU_DEP_3) | instskip(NEXT) | instid1(VALU_DEP_1)
	v_add_nc_u64_e32 v[50:51], v[56:57], v[50:51]
	v_add_co_u32 v1, vcc_lo, v50, v46
	s_delay_alu instid0(VALU_DEP_2) | instskip(NEXT) | instid1(VALU_DEP_4)
	v_add_co_ci_u32_e32 v56, vcc_lo, v51, v47, vcc_lo
	v_add_co_ci_u32_e32 v55, vcc_lo, 0, v55, vcc_lo
	s_delay_alu instid0(VALU_DEP_1) | instskip(NEXT) | instid1(VALU_DEP_1)
	v_add_nc_u64_e32 v[46:47], v[56:57], v[54:55]
	v_mul_u64_e32 v[50:51], s[48:49], v[46:47]
	s_delay_alu instid0(VALU_DEP_1) | instskip(NEXT) | instid1(VALU_DEP_2)
	v_sub_nc_u32_e32 v1, v52, v51
	v_sub_co_u32 v19, vcc_lo, v48, v50
	s_delay_alu instid0(VALU_DEP_1) | instskip(NEXT) | instid1(VALU_DEP_3)
	v_sub_co_ci_u32_e64 v45, null, v52, v51, vcc_lo
	v_subrev_co_ci_u32_e64 v1, null, s49, v1, vcc_lo
	s_delay_alu instid0(VALU_DEP_3) | instskip(SKIP_1) | instid1(VALU_DEP_3)
	v_sub_co_u32 v37, s0, v19, s48
	v_add_nc_u64_e32 v[50:51], 1, v[46:47]
	v_subrev_co_ci_u32_e64 v1, null, 0, v1, s0
	s_delay_alu instid0(VALU_DEP_3) | instskip(SKIP_1) | instid1(VALU_DEP_3)
	v_cmp_le_u32_e32 vcc_lo, s48, v37
	v_cndmask_b32_e64 v37, 0, -1, vcc_lo
	v_cmp_le_u32_e32 vcc_lo, s49, v1
	v_cndmask_b32_e64 v48, 0, -1, vcc_lo
	v_cmp_le_u32_e32 vcc_lo, s48, v19
	v_cndmask_b32_e64 v19, 0, -1, vcc_lo
	v_cmp_le_u32_e32 vcc_lo, s49, v45
	v_cndmask_b32_e64 v52, 0, -1, vcc_lo
	v_cmp_eq_u32_e32 vcc_lo, s49, v1
	v_cndmask_b32_e32 v1, v48, v37, vcc_lo
	v_cmp_eq_u32_e32 vcc_lo, s49, v45
	v_add_nc_u64_e32 v[48:49], 2, v[46:47]
	v_cndmask_b32_e32 v19, v52, v19, vcc_lo
	s_delay_alu instid0(VALU_DEP_4) | instskip(NEXT) | instid1(VALU_DEP_3)
	v_cmp_ne_u32_e32 vcc_lo, 0, v1
	v_cndmask_b32_e32 v1, v51, v49, vcc_lo
	s_delay_alu instid0(VALU_DEP_3) | instskip(SKIP_1) | instid1(VALU_DEP_2)
	v_cmp_ne_u32_e64 s0, 0, v19
	v_cndmask_b32_e32 v19, v50, v48, vcc_lo
	v_dual_cndmask_b32 v1, v47, v1, s0 :: v_dual_bitop2_b32 v44, s46, v44 bitop3:0x14
	s_delay_alu instid0(VALU_DEP_1) | instskip(NEXT) | instid1(VALU_DEP_2)
	v_dual_cndmask_b32 v19, v46, v19, s0 :: v_dual_mov_b32 v45, v44
	v_xor_b32_e32 v47, v1, v44
	s_delay_alu instid0(VALU_DEP_2) | instskip(NEXT) | instid1(VALU_DEP_1)
	v_xor_b32_e32 v46, v19, v44
	v_sub_nc_u64_e32 v[44:45], v[46:47], v[44:45]
.LBB122_10:                             ;   in Loop: Header=BB122_8 Depth=1
	s_and_not1_saveexec_b32 s0, s51
	s_cbranch_execz .LBB122_7
; %bb.11:                               ;   in Loop: Header=BB122_8 Depth=1
	v_cvt_f32_u32_e32 v1, s44
	s_sub_co_i32 s46, 0, s44
	v_mov_b32_e32 v45, v18
	s_delay_alu instid0(VALU_DEP_2) | instskip(SKIP_1) | instid1(TRANS32_DEP_1)
	v_rcp_iflag_f32_e32 v1, v1
	v_nop
	v_mul_f32_e32 v1, 0x4f7ffffe, v1
	s_delay_alu instid0(VALU_DEP_1) | instskip(NEXT) | instid1(VALU_DEP_1)
	v_cvt_u32_f32_e32 v1, v1
	v_mul_lo_u32 v19, s46, v1
	s_delay_alu instid0(VALU_DEP_1) | instskip(NEXT) | instid1(VALU_DEP_1)
	v_mul_hi_u32 v19, v1, v19
	v_add_nc_u32_e32 v1, v1, v19
	s_delay_alu instid0(VALU_DEP_1) | instskip(NEXT) | instid1(VALU_DEP_1)
	v_mul_hi_u32 v1, v42, v1
	v_mul_lo_u32 v19, v1, s44
	s_delay_alu instid0(VALU_DEP_1) | instskip(NEXT) | instid1(VALU_DEP_1)
	v_sub_nc_u32_e32 v19, v42, v19
	v_subrev_nc_u32_e32 v44, s44, v19
	v_cmp_le_u32_e32 vcc_lo, s44, v19
	s_delay_alu instid0(VALU_DEP_2) | instskip(NEXT) | instid1(VALU_DEP_1)
	v_dual_add_nc_u32 v37, 1, v1 :: v_dual_cndmask_b32 v19, v19, v44, vcc_lo
	v_cndmask_b32_e32 v1, v1, v37, vcc_lo
	s_delay_alu instid0(VALU_DEP_2) | instskip(NEXT) | instid1(VALU_DEP_2)
	v_cmp_le_u32_e32 vcc_lo, s44, v19
	v_add_nc_u32_e32 v37, 1, v1
	s_delay_alu instid0(VALU_DEP_1)
	v_cndmask_b32_e32 v44, v1, v37, vcc_lo
	s_branch .LBB122_7
.LBB122_12:
	s_get_pc_i64 s[0:1]
	s_add_nc_u64 s[0:1], s[0:1], .str.9@rel64+4
	s_mov_b32 s37, -1
	s_cmp_lg_u64 s[0:1], 0
	s_mov_b32 s0, 0
	s_cselect_b32 s51, -1, 0
	s_mov_b32 s55, 0
	s_mov_b32 s1, exec_lo
	v_cmpx_gt_i64_e64 v[10:11], v[30:31]
	s_cbranch_execz .LBB122_18
; %bb.13:
	s_wait_loadcnt 0x0
	v_lshlrev_b64_e32 v[18:19], 3, v[40:41]
	s_mov_b32 s37, 0
	s_xor_b32 s39, s51, -1
                                        ; implicit-def: $sgpr38
                                        ; implicit-def: $sgpr41
                                        ; implicit-def: $sgpr40
	s_delay_alu instid0(VALU_DEP_1) | instskip(SKIP_1) | instid1(VALU_DEP_2)
	v_lshl_add_u64 v[30:31], v[30:31], 3, v[18:19]
	v_add_nc_u64_e32 v[40:41], s[16:17], v[18:19]
	v_add_nc_u64_e32 v[30:31], s[16:17], v[30:31]
	s_delay_alu instid0(VALU_DEP_2) | instskip(NEXT) | instid1(VALU_DEP_2)
	v_lshl_add_u64 v[10:11], v[10:11], 3, v[40:41]
	v_add_nc_u64_e32 v[18:19], 8, v[30:31]
	s_branch .LBB122_15
.LBB122_14:                             ;   in Loop: Header=BB122_15 Depth=1
	s_or_b32 exec_lo, exec_lo, s42
	s_delay_alu instid0(SALU_CYCLE_1) | instskip(NEXT) | instid1(SALU_CYCLE_1)
	s_and_b32 s42, exec_lo, s41
	s_or_b32 s37, s42, s37
	s_and_not1_b32 s38, s38, exec_lo
	s_and_b32 s42, s40, exec_lo
	s_delay_alu instid0(SALU_CYCLE_1)
	s_or_b32 s38, s38, s42
	s_and_not1_b32 exec_lo, exec_lo, s37
	s_cbranch_execz .LBB122_17
.LBB122_15:                             ; =>This Inner Loop Header: Depth=1
	s_or_b32 s40, s40, exec_lo
	s_or_b32 s41, s41, exec_lo
	s_mov_b32 s42, exec_lo
	s_delay_alu instid0(VALU_DEP_1)
	v_cmpx_lt_u64_e64 v[18:19], v[10:11]
	s_cbranch_execz .LBB122_14
; %bb.16:                               ;   in Loop: Header=BB122_15 Depth=1
	global_load_b128 v[40:43], v[18:19], off offset:-8
	s_wait_xcnt 0x0
	v_add_nc_u64_e32 v[18:19], 8, v[18:19]
	s_and_not1_b32 s41, s41, exec_lo
	s_and_not1_b32 s40, s40, exec_lo
	s_wait_loadcnt 0x0
	v_cmp_ge_i64_e32 vcc_lo, v[40:41], v[42:43]
	s_or_b32 s43, s39, vcc_lo
	s_delay_alu instid0(SALU_CYCLE_1) | instskip(NEXT) | instid1(SALU_CYCLE_1)
	s_and_b32 s43, s43, exec_lo
	s_or_b32 s41, s41, s43
	s_branch .LBB122_14
.LBB122_17:
	s_or_b32 exec_lo, exec_lo, s37
	s_delay_alu instid0(SALU_CYCLE_1)
	s_mov_b32 s55, exec_lo
	s_or_not1_b32 s37, s38, exec_lo
.LBB122_18:
	s_or_b32 exec_lo, exec_lo, s1
	s_mov_b32 s38, 0
	s_mov_b32 s39, 0
	;; [unrolled: 1-line block ×3, first 2 shown]
	s_and_saveexec_b32 s56, s37
	s_cbranch_execz .LBB122_64
; %bb.19:
	s_mov_b32 s0, 0
	s_mov_b32 s1, -1
	s_mov_b32 s37, 0
	s_mov_b32 s57, exec_lo
	s_wait_loadcnt 0x2
	v_cmpx_eq_u64_e64 s[4:5], v[2:3]
	s_cbranch_execz .LBB122_63
; %bb.20:
	s_mov_b32 s0, -1
	s_mov_b32 s40, 0
	s_mov_b32 s41, 0
	s_mov_b32 s58, exec_lo
	v_cmpx_eq_u64_e64 s[8:9], v[34:35]
	s_cbranch_execz .LBB122_62
; %bb.21:
	v_sub_nc_u64_e32 v[2:3], v[12:13], v[32:33]
	s_mov_b32 s37, -1
	s_mov_b32 s1, 0
	s_delay_alu instid0(VALU_DEP_1) | instskip(SKIP_2) | instid1(SALU_CYCLE_1)
	v_cmp_le_i64_e32 vcc_lo, s[4:5], v[2:3]
	v_cmp_ge_i64_e64 s0, s[6:7], v[2:3]
	s_and_b32 s0, vcc_lo, s0
	s_and_saveexec_b32 s59, s0
	s_cbranch_execz .LBB122_61
; %bb.22:
	v_mov_b64_e32 v[2:3], 0
	s_and_not1_b32 vcc_lo, exec_lo, s52
	s_cbranch_vccnz .LBB122_29
; %bb.23:
	s_wait_loadcnt 0x0
	v_mul_u64_e32 v[18:19], s[8:9], v[20:21]
	v_mov_b64_e32 v[2:3], 0
	s_mov_b32 s37, s1
	v_mov_b32_e32 v10, 0
	s_lshl_b64 s[42:43], s[36:37], 3
	s_mov_b64 s[38:39], 0xffffffff
	s_add_nc_u64 s[40:41], s[12:13], s[42:43]
	s_add_nc_u64 s[42:43], s[14:15], s[42:43]
	s_mov_b32 s37, s10
	s_branch .LBB122_25
.LBB122_24:                             ;   in Loop: Header=BB122_25 Depth=1
	s_or_b32 exec_lo, exec_lo, s0
	s_delay_alu instid0(VALU_DEP_1)
	v_mul_u64_e32 v[30:31], s[44:45], v[20:21]
	s_load_b64 s[44:45], s[42:43], 0x0
	s_add_co_i32 s37, s37, -1
	s_add_nc_u64 s[40:41], s[40:41], -8
	s_cmp_lg_u32 s37, 0
	s_wait_xcnt 0x0
	s_add_nc_u64 s[42:43], s[42:43], -8
	s_delay_alu instid0(VALU_DEP_1) | instskip(SKIP_1) | instid1(VALU_DEP_1)
	v_sub_nc_u64_e32 v[18:19], v[18:19], v[30:31]
	s_wait_kmcnt 0x0
	v_mad_nc_u64_u32 v[2:3], v18, s44, v[2:3]
	s_delay_alu instid0(VALU_DEP_1) | instskip(NEXT) | instid1(VALU_DEP_1)
	v_mad_u32 v1, v19, s44, v3
	v_mad_u32 v3, v18, s45, v1
	v_mov_b64_e32 v[18:19], v[20:21]
	s_cbranch_scc0 .LBB122_29
.LBB122_25:                             ; =>This Inner Loop Header: Depth=1
	s_load_b64 s[44:45], s[40:41], 0x0
                                        ; implicit-def: $vgpr20_vgpr21
	s_mov_b32 s0, exec_lo
	s_wait_kmcnt 0x0
	s_delay_alu instid0(VALU_DEP_1) | instskip(NEXT) | instid1(VALU_DEP_1)
	v_or_b32_e32 v11, s45, v19
	v_cmpx_ne_u64_e32 0, v[10:11]
	s_xor_b32 s60, exec_lo, s0
	s_cbranch_execz .LBB122_27
; %bb.26:                               ;   in Loop: Header=BB122_25 Depth=1
	s_ashr_i32 s46, s45, 31
	v_dual_mov_b32 v35, v10 :: v_dual_ashrrev_i32 v20, 31, v19
	s_mov_b32 s47, s46
	v_mov_b32_e32 v47, v10
	s_add_nc_u64 s[48:49], s[44:45], s[46:47]
	s_delay_alu instid0(VALU_DEP_2) | instskip(SKIP_1) | instid1(SALU_CYCLE_1)
	v_mov_b32_e32 v21, v20
	s_xor_b64 s[48:49], s[48:49], s[46:47]
	s_cvt_f32_u32 s0, s48
	s_cvt_f32_u32 s47, s49
	s_sub_nc_u64 s[64:65], 0, s[48:49]
	v_add_nc_u64_e32 v[30:31], v[18:19], v[20:21]
	v_mov_b32_e32 v43, v10
	s_fmamk_f32 s0, s47, 0x4f800000, s0
	s_delay_alu instid0(SALU_CYCLE_3) | instskip(NEXT) | instid1(VALU_DEP_2)
	v_s_rcp_f32 s0, s0
	v_xor_b32_e32 v34, v30, v20
	s_delay_alu instid0(VALU_DEP_3) | instskip(NEXT) | instid1(TRANS32_DEP_1)
	v_xor_b32_e32 v42, v31, v20
	s_mul_f32 s0, s0, 0x5f7ffffc
	s_delay_alu instid0(SALU_CYCLE_3) | instskip(NEXT) | instid1(SALU_CYCLE_3)
	s_mul_f32 s47, s0, 0x2f800000
	s_trunc_f32 s47, s47
	s_delay_alu instid0(SALU_CYCLE_3) | instskip(SKIP_1) | instid1(SALU_CYCLE_2)
	s_fmamk_f32 s0, s47, 0xcf800000, s0
	s_cvt_u32_f32 s63, s47
	s_cvt_u32_f32 s62, s0
	s_delay_alu instid0(SALU_CYCLE_3) | instskip(NEXT) | instid1(SALU_CYCLE_1)
	s_mul_u64 s[66:67], s[64:65], s[62:63]
	s_mul_hi_u32 s69, s62, s67
	s_mul_i32 s68, s62, s67
	s_mul_hi_u32 s0, s62, s66
	s_mul_i32 s61, s63, s66
	s_add_nc_u64 s[68:69], s[0:1], s[68:69]
	s_mul_hi_u32 s47, s63, s66
	s_mul_hi_u32 s70, s63, s67
	s_add_co_u32 s0, s68, s61
	s_add_co_ci_u32 s0, s69, s47
	s_mul_i32 s66, s63, s67
	s_add_co_ci_u32 s67, s70, 0
	s_delay_alu instid0(SALU_CYCLE_1) | instskip(NEXT) | instid1(SALU_CYCLE_1)
	s_add_nc_u64 s[66:67], s[0:1], s[66:67]
	s_add_co_u32 s62, s62, s66
	s_cselect_b32 s0, -1, 0
	s_delay_alu instid0(SALU_CYCLE_1) | instskip(SKIP_1) | instid1(SALU_CYCLE_1)
	s_cmp_lg_u32 s0, 0
	s_add_co_ci_u32 s63, s63, s67
	s_mul_u64 s[64:65], s[64:65], s[62:63]
	s_delay_alu instid0(SALU_CYCLE_1)
	s_mul_hi_u32 s67, s62, s65
	s_mul_i32 s66, s62, s65
	s_mul_hi_u32 s0, s62, s64
	s_mul_i32 s61, s63, s64
	s_add_nc_u64 s[66:67], s[0:1], s[66:67]
	s_mul_hi_u32 s47, s63, s64
	s_mul_hi_u32 s68, s63, s65
	s_add_co_u32 s0, s66, s61
	s_add_co_ci_u32 s0, s67, s47
	s_mul_i32 s64, s63, s65
	s_add_co_ci_u32 s65, s68, 0
	s_delay_alu instid0(SALU_CYCLE_1) | instskip(NEXT) | instid1(SALU_CYCLE_1)
	s_add_nc_u64 s[64:65], s[0:1], s[64:65]
	s_add_co_u32 s62, s62, s64
	s_cselect_b32 s0, -1, 0
	v_mul_hi_u32 v46, v34, s62
	s_cmp_lg_u32 s0, 0
	s_add_co_ci_u32 s0, s63, s65
	s_and_b64 s[64:65], s[62:63], s[38:39]
	v_mul_u64_e32 v[40:41], s[0:1], v[34:35]
	v_mul_u64_e32 v[30:31], s[64:65], v[42:43]
	;; [unrolled: 1-line block ×3, first 2 shown]
	s_delay_alu instid0(VALU_DEP_3) | instskip(NEXT) | instid1(VALU_DEP_1)
	v_add_nc_u64_e32 v[40:41], v[46:47], v[40:41]
	v_add_co_u32 v1, vcc_lo, v40, v30
	s_delay_alu instid0(VALU_DEP_2) | instskip(NEXT) | instid1(VALU_DEP_4)
	v_add_co_ci_u32_e32 v46, vcc_lo, v41, v31, vcc_lo
	v_add_co_ci_u32_e32 v45, vcc_lo, 0, v45, vcc_lo
	s_delay_alu instid0(VALU_DEP_1) | instskip(NEXT) | instid1(VALU_DEP_1)
	v_add_nc_u64_e32 v[30:31], v[46:47], v[44:45]
	v_mul_u64_e32 v[40:41], s[48:49], v[30:31]
	s_delay_alu instid0(VALU_DEP_1) | instskip(NEXT) | instid1(VALU_DEP_2)
	v_sub_nc_u32_e32 v1, v42, v41
	v_sub_co_u32 v11, vcc_lo, v34, v40
	s_delay_alu instid0(VALU_DEP_1) | instskip(NEXT) | instid1(VALU_DEP_3)
	v_sub_co_ci_u32_e64 v37, null, v42, v41, vcc_lo
	v_subrev_co_ci_u32_e64 v1, null, s49, v1, vcc_lo
	s_delay_alu instid0(VALU_DEP_3) | instskip(SKIP_1) | instid1(VALU_DEP_3)
	v_sub_co_u32 v21, s0, v11, s48
	v_add_nc_u64_e32 v[40:41], 1, v[30:31]
	v_subrev_co_ci_u32_e64 v1, null, 0, v1, s0
	s_delay_alu instid0(VALU_DEP_3) | instskip(SKIP_1) | instid1(VALU_DEP_3)
	v_cmp_le_u32_e32 vcc_lo, s48, v21
	v_cndmask_b32_e64 v21, 0, -1, vcc_lo
	v_cmp_le_u32_e32 vcc_lo, s49, v1
	v_cndmask_b32_e64 v34, 0, -1, vcc_lo
	;; [unrolled: 2-line block ×4, first 2 shown]
	v_cmp_eq_u32_e32 vcc_lo, s49, v1
	v_cndmask_b32_e32 v1, v34, v21, vcc_lo
	v_cmp_eq_u32_e32 vcc_lo, s49, v37
	v_add_nc_u64_e32 v[34:35], 2, v[30:31]
	v_cndmask_b32_e32 v11, v42, v11, vcc_lo
	s_delay_alu instid0(VALU_DEP_4) | instskip(NEXT) | instid1(VALU_DEP_2)
	v_cmp_ne_u32_e32 vcc_lo, 0, v1
	v_cmp_ne_u32_e64 s0, 0, v11
	s_delay_alu instid0(VALU_DEP_4) | instskip(NEXT) | instid1(VALU_DEP_1)
	v_dual_cndmask_b32 v1, v41, v35, vcc_lo :: v_dual_cndmask_b32 v11, v40, v34, vcc_lo
	v_dual_cndmask_b32 v1, v31, v1, s0 :: v_dual_bitop2_b32 v20, s46, v20 bitop3:0x14
	s_delay_alu instid0(VALU_DEP_1) | instskip(NEXT) | instid1(VALU_DEP_2)
	v_dual_cndmask_b32 v11, v30, v11, s0 :: v_dual_mov_b32 v21, v20
	v_xor_b32_e32 v31, v1, v20
	s_delay_alu instid0(VALU_DEP_2) | instskip(NEXT) | instid1(VALU_DEP_1)
	v_xor_b32_e32 v30, v11, v20
	v_sub_nc_u64_e32 v[20:21], v[30:31], v[20:21]
.LBB122_27:                             ;   in Loop: Header=BB122_25 Depth=1
	s_and_not1_saveexec_b32 s0, s60
	s_cbranch_execz .LBB122_24
; %bb.28:                               ;   in Loop: Header=BB122_25 Depth=1
	v_cvt_f32_u32_e32 v1, s44
	s_sub_co_i32 s46, 0, s44
	s_delay_alu instid0(VALU_DEP_1) | instskip(SKIP_1) | instid1(TRANS32_DEP_1)
	v_rcp_iflag_f32_e32 v1, v1
	v_nop
	v_mul_f32_e32 v1, 0x4f7ffffe, v1
	s_delay_alu instid0(VALU_DEP_1) | instskip(NEXT) | instid1(VALU_DEP_1)
	v_cvt_u32_f32_e32 v1, v1
	v_mul_lo_u32 v11, s46, v1
	s_delay_alu instid0(VALU_DEP_1) | instskip(NEXT) | instid1(VALU_DEP_1)
	v_mul_hi_u32 v11, v1, v11
	v_add_nc_u32_e32 v1, v1, v11
	s_delay_alu instid0(VALU_DEP_1) | instskip(NEXT) | instid1(VALU_DEP_1)
	v_mul_hi_u32 v1, v18, v1
	v_mul_lo_u32 v11, v1, s44
	s_delay_alu instid0(VALU_DEP_1) | instskip(NEXT) | instid1(VALU_DEP_1)
	v_dual_add_nc_u32 v20, 1, v1 :: v_dual_sub_nc_u32 v11, v18, v11
	v_subrev_nc_u32_e32 v21, s44, v11
	v_cmp_le_u32_e32 vcc_lo, s44, v11
	s_delay_alu instid0(VALU_DEP_2) | instskip(NEXT) | instid1(VALU_DEP_4)
	v_dual_cndmask_b32 v11, v11, v21, vcc_lo :: v_dual_mov_b32 v21, v10
	v_cndmask_b32_e32 v1, v1, v20, vcc_lo
	s_delay_alu instid0(VALU_DEP_2) | instskip(NEXT) | instid1(VALU_DEP_2)
	v_cmp_le_u32_e32 vcc_lo, s44, v11
	v_add_nc_u32_e32 v20, 1, v1
	s_delay_alu instid0(VALU_DEP_1)
	v_cndmask_b32_e32 v20, v1, v20, vcc_lo
	s_branch .LBB122_24
.LBB122_29:
	s_mov_b32 s37, -1
	s_mov_b32 s0, 0
	s_mov_b32 s60, 0
	s_mov_b32 s1, exec_lo
	v_cmpx_gt_i64_e64 v[12:13], v[32:33]
	s_cbranch_execz .LBB122_35
; %bb.30:
	s_delay_alu instid0(VALU_DEP_2) | instskip(SKIP_2) | instid1(VALU_DEP_1)
	v_lshlrev_b64_e32 v[2:3], 3, v[2:3]
	s_mov_b32 s37, 0
	s_xor_b32 s39, s51, -1
                                        ; implicit-def: $sgpr38
                                        ; implicit-def: $sgpr41
                                        ; implicit-def: $sgpr40
	v_lshl_add_u64 v[10:11], v[32:33], 3, v[2:3]
	s_wait_loadcnt 0x0
	v_add_nc_u64_e32 v[18:19], s[16:17], v[2:3]
	s_delay_alu instid0(VALU_DEP_2) | instskip(NEXT) | instid1(VALU_DEP_1)
	v_add_nc_u64_e32 v[10:11], s[16:17], v[10:11]
	v_add_nc_u64_e32 v[2:3], 8, v[10:11]
	s_delay_alu instid0(VALU_DEP_3)
	v_lshl_add_u64 v[10:11], v[12:13], 3, v[18:19]
	s_branch .LBB122_32
.LBB122_31:                             ;   in Loop: Header=BB122_32 Depth=1
	s_or_b32 exec_lo, exec_lo, s42
	s_delay_alu instid0(SALU_CYCLE_1) | instskip(NEXT) | instid1(SALU_CYCLE_1)
	s_and_b32 s42, exec_lo, s41
	s_or_b32 s37, s42, s37
	s_and_not1_b32 s38, s38, exec_lo
	s_and_b32 s42, s40, exec_lo
	s_delay_alu instid0(SALU_CYCLE_1)
	s_or_b32 s38, s38, s42
	s_and_not1_b32 exec_lo, exec_lo, s37
	s_cbranch_execz .LBB122_34
.LBB122_32:                             ; =>This Inner Loop Header: Depth=1
	s_or_b32 s40, s40, exec_lo
	s_or_b32 s41, s41, exec_lo
	s_mov_b32 s42, exec_lo
	s_delay_alu instid0(VALU_DEP_2)
	v_cmpx_lt_u64_e64 v[2:3], v[10:11]
	s_cbranch_execz .LBB122_31
; %bb.33:                               ;   in Loop: Header=BB122_32 Depth=1
	global_load_b128 v[18:21], v[2:3], off offset:-8
	s_and_not1_b32 s41, s41, exec_lo
	s_wait_xcnt 0x0
	v_add_nc_u64_e32 v[2:3], 8, v[2:3]
	s_and_not1_b32 s40, s40, exec_lo
	s_wait_loadcnt 0x0
	v_cmp_ge_i64_e32 vcc_lo, v[18:19], v[20:21]
	s_or_b32 s43, s39, vcc_lo
	s_delay_alu instid0(SALU_CYCLE_1) | instskip(NEXT) | instid1(SALU_CYCLE_1)
	s_and_b32 s43, s43, exec_lo
	s_or_b32 s41, s41, s43
	s_branch .LBB122_31
.LBB122_34:
	s_or_b32 exec_lo, exec_lo, s37
	s_delay_alu instid0(SALU_CYCLE_1)
	s_mov_b32 s60, exec_lo
	s_or_not1_b32 s37, s38, exec_lo
.LBB122_35:
	s_or_b32 exec_lo, exec_lo, s1
	s_mov_b32 s1, 0
	s_mov_b32 s38, 0
	;; [unrolled: 1-line block ×3, first 2 shown]
	s_and_saveexec_b32 s61, s37
	s_cbranch_execz .LBB122_60
; %bb.36:
	s_mov_b32 s0, 0
	s_mov_b32 s1, -1
	s_mov_b32 s37, 0
	s_mov_b32 s62, exec_lo
	v_cmpx_eq_u64_e64 s[4:5], v[4:5]
	s_cbranch_execz .LBB122_59
; %bb.37:
	s_mov_b32 s0, -1
	s_mov_b32 s40, 0
	s_mov_b32 s41, 0
	s_mov_b32 s63, exec_lo
	v_cmpx_eq_u64_e64 s[8:9], v[26:27]
	s_cbranch_execz .LBB122_58
; %bb.38:
	v_sub_nc_u64_e32 v[2:3], v[6:7], v[14:15]
	s_mov_b32 s37, -1
	s_mov_b32 s1, 0
	s_delay_alu instid0(VALU_DEP_1) | instskip(SKIP_2) | instid1(SALU_CYCLE_1)
	v_cmp_le_i64_e32 vcc_lo, s[4:5], v[2:3]
	v_cmp_ge_i64_e64 s0, s[6:7], v[2:3]
	s_and_b32 s0, vcc_lo, s0
	s_and_saveexec_b32 s64, s0
	s_cbranch_execz .LBB122_57
; %bb.39:
	v_mov_b64_e32 v[2:3], 0
	s_and_not1_b32 vcc_lo, exec_lo, s52
	s_cbranch_vccnz .LBB122_46
; %bb.40:
	s_wait_loadcnt 0x1
	v_mul_u64_e32 v[10:11], s[8:9], v[22:23]
	v_mov_b64_e32 v[2:3], 0
	s_mov_b32 s37, s1
	v_mov_b32_e32 v4, 0
	s_lshl_b64 s[42:43], s[36:37], 3
	s_mov_b64 s[38:39], 0xffffffff
	s_add_nc_u64 s[40:41], s[12:13], s[42:43]
	s_add_nc_u64 s[42:43], s[14:15], s[42:43]
	s_mov_b32 s37, s10
	s_branch .LBB122_42
.LBB122_41:                             ;   in Loop: Header=BB122_42 Depth=1
	s_or_b32 exec_lo, exec_lo, s0
	s_wait_loadcnt 0x0
	s_delay_alu instid0(VALU_DEP_1)
	v_mul_u64_e32 v[18:19], s[44:45], v[12:13]
	s_load_b64 s[44:45], s[42:43], 0x0
	s_add_co_i32 s37, s37, -1
	s_add_nc_u64 s[40:41], s[40:41], -8
	s_cmp_lg_u32 s37, 0
	s_wait_xcnt 0x0
	s_add_nc_u64 s[42:43], s[42:43], -8
	s_delay_alu instid0(VALU_DEP_1) | instskip(SKIP_1) | instid1(VALU_DEP_1)
	v_sub_nc_u64_e32 v[10:11], v[10:11], v[18:19]
	s_wait_kmcnt 0x0
	v_mad_nc_u64_u32 v[2:3], v10, s44, v[2:3]
	s_delay_alu instid0(VALU_DEP_1) | instskip(NEXT) | instid1(VALU_DEP_1)
	v_mad_u32 v1, v11, s44, v3
	v_mad_u32 v3, v10, s45, v1
	v_mov_b64_e32 v[10:11], v[12:13]
	s_cbranch_scc0 .LBB122_46
.LBB122_42:                             ; =>This Inner Loop Header: Depth=1
	s_load_b64 s[44:45], s[40:41], 0x0
                                        ; implicit-def: $vgpr12_vgpr13
	s_mov_b32 s0, exec_lo
	s_wait_kmcnt 0x0
	s_delay_alu instid0(VALU_DEP_1) | instskip(NEXT) | instid1(VALU_DEP_1)
	v_or_b32_e32 v5, s45, v11
	v_cmpx_ne_u64_e32 0, v[4:5]
	s_xor_b32 s65, exec_lo, s0
	s_cbranch_execz .LBB122_44
; %bb.43:                               ;   in Loop: Header=BB122_42 Depth=1
	s_ashr_i32 s46, s45, 31
	s_wait_loadcnt 0x0
	v_dual_mov_b32 v21, v4 :: v_dual_ashrrev_i32 v12, 31, v11
	s_mov_b32 s47, s46
	s_delay_alu instid0(SALU_CYCLE_1) | instskip(NEXT) | instid1(VALU_DEP_1)
	s_add_nc_u64 s[48:49], s[44:45], s[46:47]
	v_mov_b32_e32 v13, v12
	s_xor_b64 s[48:49], s[48:49], s[46:47]
	s_delay_alu instid0(SALU_CYCLE_1)
	s_cvt_f32_u32 s0, s48
	s_cvt_f32_u32 s47, s49
	s_sub_nc_u64 s[68:69], 0, s[48:49]
	v_add_nc_u64_e32 v[18:19], v[10:11], v[12:13]
	v_mov_b32_e32 v27, v4
	s_fmamk_f32 s0, s47, 0x4f800000, s0
	s_delay_alu instid0(SALU_CYCLE_3) | instskip(NEXT) | instid1(VALU_DEP_2)
	v_s_rcp_f32 s0, s0
	v_xor_b32_e32 v20, v18, v12
	s_delay_alu instid0(VALU_DEP_3) | instskip(SKIP_1) | instid1(TRANS32_DEP_1)
	v_dual_mov_b32 v33, v4 :: v_dual_bitop2_b32 v26, v19, v12 bitop3:0x14
	v_xor_b32_e32 v12, s46, v12
	s_mul_f32 s0, s0, 0x5f7ffffc
	s_delay_alu instid0(SALU_CYCLE_3) | instskip(NEXT) | instid1(SALU_CYCLE_3)
	s_mul_f32 s47, s0, 0x2f800000
	s_trunc_f32 s47, s47
	s_delay_alu instid0(SALU_CYCLE_3) | instskip(SKIP_1) | instid1(SALU_CYCLE_2)
	s_fmamk_f32 s0, s47, 0xcf800000, s0
	s_cvt_u32_f32 s67, s47
	s_cvt_u32_f32 s66, s0
	s_delay_alu instid0(SALU_CYCLE_3) | instskip(NEXT) | instid1(SALU_CYCLE_1)
	s_mul_u64 s[70:71], s[68:69], s[66:67]
	s_mul_hi_u32 s73, s66, s71
	s_mul_i32 s72, s66, s71
	s_mul_hi_u32 s0, s66, s70
	s_mul_i32 s74, s67, s70
	s_add_nc_u64 s[72:73], s[0:1], s[72:73]
	s_mul_hi_u32 s47, s67, s70
	s_mul_hi_u32 s75, s67, s71
	s_add_co_u32 s0, s72, s74
	s_add_co_ci_u32 s0, s73, s47
	s_mul_i32 s70, s67, s71
	s_add_co_ci_u32 s71, s75, 0
	s_delay_alu instid0(SALU_CYCLE_1) | instskip(NEXT) | instid1(SALU_CYCLE_1)
	s_add_nc_u64 s[70:71], s[0:1], s[70:71]
	s_add_co_u32 s66, s66, s70
	s_cselect_b32 s0, -1, 0
	s_delay_alu instid0(SALU_CYCLE_1) | instskip(SKIP_1) | instid1(SALU_CYCLE_1)
	s_cmp_lg_u32 s0, 0
	s_add_co_ci_u32 s67, s67, s71
	s_mul_u64 s[68:69], s[68:69], s[66:67]
	s_delay_alu instid0(SALU_CYCLE_1)
	s_mul_hi_u32 s71, s66, s69
	s_mul_i32 s70, s66, s69
	s_mul_hi_u32 s0, s66, s68
	s_mul_i32 s72, s67, s68
	s_add_nc_u64 s[70:71], s[0:1], s[70:71]
	s_mul_hi_u32 s47, s67, s68
	s_mul_hi_u32 s73, s67, s69
	s_add_co_u32 s0, s70, s72
	s_add_co_ci_u32 s0, s71, s47
	s_mul_i32 s68, s67, s69
	s_add_co_ci_u32 s69, s73, 0
	s_delay_alu instid0(SALU_CYCLE_1) | instskip(NEXT) | instid1(SALU_CYCLE_1)
	s_add_nc_u64 s[68:69], s[0:1], s[68:69]
	s_add_co_u32 s66, s66, s68
	s_cselect_b32 s0, -1, 0
	v_mul_hi_u32 v32, v20, s66
	s_cmp_lg_u32 s0, 0
	s_add_co_ci_u32 s0, s67, s69
	s_and_b64 s[68:69], s[66:67], s[38:39]
	v_mul_u64_e32 v[22:23], s[0:1], v[20:21]
	v_mul_u64_e32 v[18:19], s[68:69], v[26:27]
	;; [unrolled: 1-line block ×3, first 2 shown]
	s_delay_alu instid0(VALU_DEP_3) | instskip(NEXT) | instid1(VALU_DEP_1)
	v_add_nc_u64_e32 v[22:23], v[32:33], v[22:23]
	v_add_co_u32 v1, vcc_lo, v22, v18
	s_delay_alu instid0(VALU_DEP_2) | instskip(NEXT) | instid1(VALU_DEP_4)
	v_add_co_ci_u32_e32 v32, vcc_lo, v23, v19, vcc_lo
	v_add_co_ci_u32_e32 v31, vcc_lo, 0, v31, vcc_lo
	s_delay_alu instid0(VALU_DEP_1) | instskip(NEXT) | instid1(VALU_DEP_1)
	v_add_nc_u64_e32 v[18:19], v[32:33], v[30:31]
	v_mul_u64_e32 v[22:23], s[48:49], v[18:19]
	s_delay_alu instid0(VALU_DEP_1) | instskip(NEXT) | instid1(VALU_DEP_2)
	v_sub_nc_u32_e32 v1, v26, v23
	v_sub_co_u32 v5, vcc_lo, v20, v22
	s_delay_alu instid0(VALU_DEP_1) | instskip(NEXT) | instid1(VALU_DEP_3)
	v_sub_co_ci_u32_e64 v26, null, v26, v23, vcc_lo
	v_subrev_co_ci_u32_e64 v1, null, s49, v1, vcc_lo
	s_delay_alu instid0(VALU_DEP_3) | instskip(SKIP_1) | instid1(VALU_DEP_3)
	v_sub_co_u32 v13, s0, v5, s48
	v_add_nc_u64_e32 v[22:23], 1, v[18:19]
	v_subrev_co_ci_u32_e64 v1, null, 0, v1, s0
	s_delay_alu instid0(VALU_DEP_3) | instskip(SKIP_1) | instid1(VALU_DEP_3)
	v_cmp_le_u32_e32 vcc_lo, s48, v13
	v_cndmask_b32_e64 v13, 0, -1, vcc_lo
	v_cmp_le_u32_e32 vcc_lo, s49, v1
	v_cndmask_b32_e64 v20, 0, -1, vcc_lo
	;; [unrolled: 2-line block ×4, first 2 shown]
	v_cmp_eq_u32_e32 vcc_lo, s49, v1
	v_cndmask_b32_e32 v1, v20, v13, vcc_lo
	v_cmp_eq_u32_e32 vcc_lo, s49, v26
	v_add_nc_u64_e32 v[20:21], 2, v[18:19]
	v_dual_mov_b32 v13, v12 :: v_dual_cndmask_b32 v5, v27, v5, vcc_lo
	s_delay_alu instid0(VALU_DEP_4) | instskip(NEXT) | instid1(VALU_DEP_2)
	v_cmp_ne_u32_e32 vcc_lo, 0, v1
	v_cmp_ne_u32_e64 s0, 0, v5
	s_delay_alu instid0(VALU_DEP_4) | instskip(NEXT) | instid1(VALU_DEP_1)
	v_dual_cndmask_b32 v1, v23, v21, vcc_lo :: v_dual_cndmask_b32 v5, v22, v20, vcc_lo
	v_cndmask_b32_e64 v5, v18, v5, s0
	s_delay_alu instid0(VALU_DEP_1) | instskip(NEXT) | instid1(VALU_DEP_1)
	v_dual_cndmask_b32 v1, v19, v1, s0 :: v_dual_bitop2_b32 v18, v5, v12 bitop3:0x14
	v_xor_b32_e32 v19, v1, v12
	s_delay_alu instid0(VALU_DEP_1)
	v_sub_nc_u64_e32 v[12:13], v[18:19], v[12:13]
.LBB122_44:                             ;   in Loop: Header=BB122_42 Depth=1
	s_and_not1_saveexec_b32 s0, s65
	s_cbranch_execz .LBB122_41
; %bb.45:                               ;   in Loop: Header=BB122_42 Depth=1
	v_cvt_f32_u32_e32 v1, s44
	s_sub_co_i32 s46, 0, s44
	s_delay_alu instid0(VALU_DEP_1) | instskip(SKIP_1) | instid1(TRANS32_DEP_1)
	v_rcp_iflag_f32_e32 v1, v1
	v_nop
	v_mul_f32_e32 v1, 0x4f7ffffe, v1
	s_delay_alu instid0(VALU_DEP_1) | instskip(NEXT) | instid1(VALU_DEP_1)
	v_cvt_u32_f32_e32 v1, v1
	v_mul_lo_u32 v5, s46, v1
	s_delay_alu instid0(VALU_DEP_1) | instskip(NEXT) | instid1(VALU_DEP_1)
	v_mul_hi_u32 v5, v1, v5
	v_add_nc_u32_e32 v1, v1, v5
	s_delay_alu instid0(VALU_DEP_1) | instskip(NEXT) | instid1(VALU_DEP_1)
	v_mul_hi_u32 v1, v10, v1
	v_mul_lo_u32 v5, v1, s44
	v_add_nc_u32_e32 v12, 1, v1
	s_delay_alu instid0(VALU_DEP_2) | instskip(NEXT) | instid1(VALU_DEP_1)
	v_sub_nc_u32_e32 v5, v10, v5
	v_subrev_nc_u32_e32 v13, s44, v5
	v_cmp_le_u32_e32 vcc_lo, s44, v5
	s_delay_alu instid0(VALU_DEP_2) | instskip(SKIP_1) | instid1(VALU_DEP_2)
	v_dual_cndmask_b32 v5, v5, v13, vcc_lo :: v_dual_mov_b32 v13, v4
	v_cndmask_b32_e32 v1, v1, v12, vcc_lo
	v_cmp_le_u32_e32 vcc_lo, s44, v5
	s_delay_alu instid0(VALU_DEP_2) | instskip(NEXT) | instid1(VALU_DEP_1)
	v_add_nc_u32_e32 v12, 1, v1
	v_cndmask_b32_e32 v12, v1, v12, vcc_lo
	s_branch .LBB122_41
.LBB122_46:
	s_mov_b32 s38, -1
	s_mov_b32 s0, 0
	s_mov_b32 s37, 0
	s_mov_b32 s1, exec_lo
	v_cmpx_gt_i64_e64 v[6:7], v[14:15]
	s_cbranch_execz .LBB122_52
; %bb.47:
	s_delay_alu instid0(VALU_DEP_2) | instskip(SKIP_1) | instid1(VALU_DEP_1)
	v_lshlrev_b64_e32 v[2:3], 3, v[2:3]
	s_xor_b32 s39, s51, -1
                                        ; implicit-def: $sgpr38
                                        ; implicit-def: $sgpr41
                                        ; implicit-def: $sgpr40
	v_lshl_add_u64 v[4:5], v[14:15], 3, v[2:3]
	v_add_nc_u64_e32 v[10:11], s[16:17], v[2:3]
	s_delay_alu instid0(VALU_DEP_2) | instskip(NEXT) | instid1(VALU_DEP_1)
	v_add_nc_u64_e32 v[4:5], s[16:17], v[4:5]
	v_add_nc_u64_e32 v[2:3], 8, v[4:5]
	s_delay_alu instid0(VALU_DEP_3)
	v_lshl_add_u64 v[4:5], v[6:7], 3, v[10:11]
	s_branch .LBB122_49
.LBB122_48:                             ;   in Loop: Header=BB122_49 Depth=1
	s_or_b32 exec_lo, exec_lo, s42
	s_delay_alu instid0(SALU_CYCLE_1) | instskip(NEXT) | instid1(SALU_CYCLE_1)
	s_and_b32 s42, exec_lo, s41
	s_or_b32 s37, s42, s37
	s_and_not1_b32 s38, s38, exec_lo
	s_and_b32 s42, s40, exec_lo
	s_delay_alu instid0(SALU_CYCLE_1)
	s_or_b32 s38, s38, s42
	s_and_not1_b32 exec_lo, exec_lo, s37
	s_cbranch_execz .LBB122_51
.LBB122_49:                             ; =>This Inner Loop Header: Depth=1
	s_or_b32 s40, s40, exec_lo
	s_or_b32 s41, s41, exec_lo
	s_mov_b32 s42, exec_lo
	s_delay_alu instid0(VALU_DEP_2)
	v_cmpx_lt_u64_e64 v[2:3], v[4:5]
	s_cbranch_execz .LBB122_48
; %bb.50:                               ;   in Loop: Header=BB122_49 Depth=1
	global_load_b128 v[10:13], v[2:3], off offset:-8
	s_and_not1_b32 s41, s41, exec_lo
	s_wait_xcnt 0x0
	v_add_nc_u64_e32 v[2:3], 8, v[2:3]
	s_and_not1_b32 s40, s40, exec_lo
	s_wait_loadcnt 0x0
	v_cmp_ge_i64_e32 vcc_lo, v[10:11], v[12:13]
	s_or_b32 s43, s39, vcc_lo
	s_delay_alu instid0(SALU_CYCLE_1) | instskip(NEXT) | instid1(SALU_CYCLE_1)
	s_and_b32 s43, s43, exec_lo
	s_or_b32 s41, s41, s43
	s_branch .LBB122_48
.LBB122_51:
	s_or_b32 exec_lo, exec_lo, s37
	s_delay_alu instid0(SALU_CYCLE_1)
	s_mov_b32 s37, exec_lo
	s_or_not1_b32 s38, s38, exec_lo
.LBB122_52:
	s_or_b32 exec_lo, exec_lo, s1
	s_mov_b32 s41, 0
	s_mov_b32 s39, 0
	s_and_saveexec_b32 s1, s38
	s_cbranch_execz .LBB122_56
; %bb.53:
	s_mov_b32 s38, 0
	s_mov_b32 s39, -1
	s_mov_b32 s0, 0
	s_mov_b32 s40, exec_lo
	v_cmpx_eq_u64_e64 s[4:5], v[38:39]
	s_xor_b32 s40, exec_lo, s40
; %bb.54:
	v_cmp_ne_u64_e32 vcc_lo, s[8:9], v[28:29]
	s_mov_b32 s0, exec_lo
	s_xor_b32 s39, exec_lo, -1
	s_and_b32 s38, vcc_lo, exec_lo
; %bb.55:
	s_or_b32 exec_lo, exec_lo, s40
	s_delay_alu instid0(SALU_CYCLE_1)
	s_and_b32 s39, s39, exec_lo
	s_and_not1_b32 s37, s37, exec_lo
	s_and_b32 s41, s0, exec_lo
	s_and_b32 s0, s38, exec_lo
.LBB122_56:
	s_or_b32 exec_lo, exec_lo, s1
	s_delay_alu instid0(SALU_CYCLE_1)
	s_and_b32 s40, s39, exec_lo
	s_and_b32 s39, s37, exec_lo
	s_xor_b32 s37, exec_lo, -1
	s_and_b32 s38, s41, exec_lo
	s_and_b32 s1, s0, exec_lo
.LBB122_57:
	s_or_b32 exec_lo, exec_lo, s64
	s_delay_alu instid0(SALU_CYCLE_1)
	s_and_b32 s41, s40, exec_lo
	s_and_b32 s39, s39, exec_lo
	;; [unrolled: 1-line block ×4, first 2 shown]
	s_or_not1_b32 s0, s1, exec_lo
.LBB122_58:
	s_or_b32 exec_lo, exec_lo, s63
	s_delay_alu instid0(SALU_CYCLE_1)
	s_or_not1_b32 s1, s41, exec_lo
	s_and_b32 s39, s39, exec_lo
	s_and_b32 s38, s40, exec_lo
	;; [unrolled: 1-line block ×4, first 2 shown]
.LBB122_59:
	s_or_b32 exec_lo, exec_lo, s62
	s_delay_alu instid0(SALU_CYCLE_1)
	s_and_not1_b32 s40, s60, exec_lo
	s_and_b32 s41, s39, exec_lo
	s_and_b32 s39, s1, exec_lo
	s_or_b32 s60, s40, s41
	s_and_b32 s38, s38, exec_lo
	s_and_b32 s1, s37, exec_lo
	;; [unrolled: 1-line block ×3, first 2 shown]
.LBB122_60:
	s_or_b32 exec_lo, exec_lo, s61
	s_delay_alu instid0(SALU_CYCLE_1)
	s_and_b32 s40, s39, exec_lo
	s_and_b32 s39, s60, exec_lo
	s_or_not1_b32 s37, s38, exec_lo
	s_and_b32 s38, s1, exec_lo
	s_and_b32 s1, s0, exec_lo
.LBB122_61:
	s_or_b32 exec_lo, exec_lo, s59
	s_delay_alu instid0(SALU_CYCLE_1)
	s_and_b32 s41, s40, exec_lo
	s_and_b32 s39, s39, exec_lo
	;; [unrolled: 1-line block ×4, first 2 shown]
	s_or_not1_b32 s0, s1, exec_lo
.LBB122_62:
	s_or_b32 exec_lo, exec_lo, s58
	s_delay_alu instid0(SALU_CYCLE_1)
	s_or_not1_b32 s1, s41, exec_lo
	s_and_b32 s39, s39, exec_lo
	s_and_b32 s38, s40, exec_lo
	;; [unrolled: 1-line block ×4, first 2 shown]
.LBB122_63:
	s_or_b32 exec_lo, exec_lo, s57
	s_delay_alu instid0(SALU_CYCLE_1)
	s_and_not1_b32 s40, s55, exec_lo
	s_and_b32 s39, s39, exec_lo
	s_and_b32 s1, s1, exec_lo
	s_or_b32 s55, s40, s39
	s_and_b32 s39, s38, exec_lo
	s_and_b32 s38, s37, exec_lo
	s_and_b32 s0, s0, exec_lo
.LBB122_64:
	s_or_b32 exec_lo, exec_lo, s56
	s_delay_alu instid0(SALU_CYCLE_1)
	s_and_b32 s1, s1, exec_lo
	s_and_b32 s42, s55, exec_lo
	s_or_not1_b32 s37, s39, exec_lo
	s_and_b32 s41, s38, exec_lo
	s_and_b32 s40, s0, exec_lo
.LBB122_65:
	s_or_b32 exec_lo, exec_lo, s54
	s_delay_alu instid0(SALU_CYCLE_1)
	s_and_b32 s1, s1, exec_lo
	s_and_b32 s54, s42, exec_lo
	;; [unrolled: 1-line block ×4, first 2 shown]
	s_or_not1_b32 s40, s40, exec_lo
	s_mov_b32 s55, s10
.LBB122_66:
	s_or_b32 exec_lo, exec_lo, s53
	s_and_saveexec_b32 s38, s40
	s_cbranch_execnz .LBB122_215
.LBB122_67:
	s_or_b32 exec_lo, exec_lo, s38
	s_mov_b32 s38, 0
	s_and_saveexec_b32 s39, s0
	s_delay_alu instid0(SALU_CYCLE_1)
	s_xor_b32 s39, exec_lo, s39
	s_cbranch_execnz .LBB122_141
; %bb.68:
	s_or_b32 exec_lo, exec_lo, s39
	s_and_saveexec_b32 s0, s37
	s_cbranch_execnz .LBB122_142
.LBB122_69:
	s_or_b32 exec_lo, exec_lo, s0
	s_mov_b32 s0, 0
	s_and_saveexec_b32 s53, s38
	s_cbranch_execnz .LBB122_143
.LBB122_70:
	s_or_b32 exec_lo, exec_lo, s53
	s_and_saveexec_b32 s36, s54
	s_cbranch_execnz .LBB122_178
.LBB122_71:
	s_or_b32 exec_lo, exec_lo, s36
	s_and_saveexec_b32 s36, s0
	s_delay_alu instid0(SALU_CYCLE_1)
	s_xor_b32 s0, exec_lo, s36
	s_cbranch_execz .LBB122_73
.LBB122_72:
	s_mov_b32 s36, 0
	s_add_nc_u64 s[34:35], s[18:19], s[34:35]
	s_mov_b32 s37, s36
	s_mov_b32 s38, s36
	;; [unrolled: 1-line block ×3, first 2 shown]
	s_wait_loadcnt 0x2
	v_mov_b64_e32 v[2:3], s[36:37]
	v_mov_b64_e32 v[4:5], s[38:39]
	s_clause 0x1
	global_store_b128 v36, v[2:5], s[34:35]
	global_store_b128 v36, v[2:5], s[34:35] offset:16
.LBB122_73:
	s_wait_xcnt 0x0
	s_or_b32 exec_lo, exec_lo, s0
	s_delay_alu instid0(SALU_CYCLE_1)
	s_and_b32 s3, s3, exec_lo
	s_or_not1_b32 s0, s1, exec_lo
.LBB122_74:
	s_or_b32 exec_lo, exec_lo, s50
.LBB122_75:
	s_and_saveexec_b32 s1, s0
	s_delay_alu instid0(SALU_CYCLE_1)
	s_xor_b32 s0, exec_lo, s1
	s_cbranch_execnz .LBB122_213
.LBB122_76:
	s_or_b32 exec_lo, exec_lo, s0
	s_mov_b32 s0, 0
.LBB122_77:
	s_delay_alu instid0(SALU_CYCLE_1)
	s_and_b32 vcc_lo, exec_lo, s0
	s_cbranch_vccz .LBB122_97
; %bb.78:
	s_wait_loadcnt 0x0
	v_mov_b64_e32 v[28:29], 0
	v_mov_b64_e32 v[40:41], 0
	;; [unrolled: 1-line block ×6, first 2 shown]
	v_cmp_gt_i32_e64 s0, s11, v0
	v_or_b32_e32 v1, 0x100, v0
	v_mov_b32_e32 v42, v0
	s_and_saveexec_b32 s1, s0
	s_cbranch_execz .LBB122_80
; %bb.79:
	v_or_b32_e32 v2, s2, v0
	v_or_b32_e32 v42, 0x100, v0
	s_clause 0x4
	global_load_b64 v[40:41], v2, s[20:21] scale_offset
	global_load_b64 v[36:37], v2, s[22:23] scale_offset
	;; [unrolled: 1-line block ×5, first 2 shown]
.LBB122_80:
	s_wait_xcnt 0x0
	s_or_b32 exec_lo, exec_lo, s1
	v_mov_b64_e32 v[30:31], 0
	v_mov_b64_e32 v[24:25], 0
	;; [unrolled: 1-line block ×4, first 2 shown]
	s_mov_b32 s1, exec_lo
	v_cmpx_gt_i32_e64 s11, v42
	s_cbranch_execz .LBB122_82
; %bb.81:
	v_add_nc_u32_e32 v2, s2, v42
	v_add_nc_u32_e32 v42, 0x100, v42
	s_clause 0x4
	global_load_b64 v[28:29], v2, s[20:21] scale_offset
	global_load_b64 v[30:31], v2, s[22:23] scale_offset
	global_load_b64 v[24:25], v2, s[24:25] scale_offset
	global_load_b64 v[22:23], v2, s[26:27] scale_offset
	global_load_b64 v[26:27], v2, s[28:29] scale_offset
.LBB122_82:
	s_wait_xcnt 0x0
	s_or_b32 exec_lo, exec_lo, s1
	v_mov_b64_e32 v[10:11], 0
	v_mov_b64_e32 v[20:21], 0
	v_mov_b64_e32 v[18:19], 0
	v_mov_b64_e32 v[14:15], 0
	v_mov_b64_e32 v[12:13], 0
	v_mov_b64_e32 v[16:17], 0
	s_mov_b32 s1, exec_lo
	v_cmpx_gt_i32_e64 s11, v42
	s_cbranch_execz .LBB122_84
; %bb.83:
	v_add_nc_u32_e32 v2, s2, v42
	v_add_nc_u32_e32 v42, 0x100, v42
	s_clause 0x4
	global_load_b64 v[20:21], v2, s[20:21] scale_offset
	global_load_b64 v[18:19], v2, s[22:23] scale_offset
	;; [unrolled: 1-line block ×5, first 2 shown]
.LBB122_84:
	s_wait_xcnt 0x0
	s_or_b32 exec_lo, exec_lo, s1
	v_mov_b64_e32 v[8:9], 0
	v_mov_b64_e32 v[4:5], 0
	;; [unrolled: 1-line block ×4, first 2 shown]
	s_mov_b32 s1, exec_lo
	v_cmpx_gt_i32_e64 s11, v42
	s_cbranch_execz .LBB122_86
; %bb.85:
	v_add_nc_u32_e32 v42, s2, v42
	s_clause 0x4
	global_load_b64 v[10:11], v42, s[20:21] scale_offset
	global_load_b64 v[8:9], v42, s[22:23] scale_offset
	;; [unrolled: 1-line block ×5, first 2 shown]
.LBB122_86:
	s_wait_xcnt 0x0
	s_or_b32 exec_lo, exec_lo, s1
	s_get_pc_i64 s[20:21]
	s_add_nc_u64 s[20:21], s[20:21], .str.7@rel64+4
	s_cmp_lg_u64 s[30:31], 0
	s_get_pc_i64 s[22:23]
	s_add_nc_u64 s[22:23], s[22:23], .str.8@rel64+4
	s_cselect_b32 s43, -1, 0
	s_cmp_lg_u64 s[20:21], 0
	s_mov_b32 s1, -1
	s_cselect_b32 s41, -1, 0
	s_cmp_lg_u64 s[22:23], 0
	s_get_pc_i64 s[22:23]
	s_add_nc_u64 s[22:23], s[22:23], .str.9@rel64+4
	s_cselect_b32 s40, -1, 0
	s_add_co_i32 s20, s10, -1
	s_mov_b32 s48, 0
	s_cmp_gt_i32 s20, -1
	s_mov_b32 s46, 0
	s_cselect_b32 s39, -1, 0
	s_cmp_lg_u64 s[22:23], 0
	s_mov_b32 s45, 0
	s_cselect_b32 s38, -1, 0
	s_mov_b32 s44, 0
	s_mov_b32 s42, 0
	s_and_saveexec_b32 s33, s0
	s_cbranch_execnz .LBB122_106
; %bb.87:
	s_or_b32 exec_lo, exec_lo, s33
	s_mov_b32 s33, 0
	s_and_saveexec_b32 s47, s1
	s_cbranch_execnz .LBB122_160
.LBB122_88:
	s_or_b32 exec_lo, exec_lo, s47
	s_and_saveexec_b32 s1, s46
	s_cbranch_execnz .LBB122_212
.LBB122_89:
	s_or_b32 exec_lo, exec_lo, s1
	s_mov_b32 s1, 0
	s_and_saveexec_b32 s21, s48
	s_delay_alu instid0(SALU_CYCLE_1)
	s_xor_b32 s21, exec_lo, s21
	s_cbranch_execz .LBB122_91
; %bb.90:
	s_wait_loadcnt 0x3
	v_cmp_ne_u64_e32 vcc_lo, s[8:9], v[8:9]
	s_xor_b32 s22, s41, -1
	s_and_not1_b32 s23, s45, exec_lo
	s_mov_b32 s1, exec_lo
	s_or_b32 s22, s22, vcc_lo
	s_delay_alu instid0(SALU_CYCLE_1) | instskip(NEXT) | instid1(SALU_CYCLE_1)
	s_and_b32 s22, s22, exec_lo
	s_or_b32 s45, s23, s22
.LBB122_91:
	s_or_b32 exec_lo, exec_lo, s21
	s_and_saveexec_b32 s21, s45
	s_cbranch_execnz .LBB122_214
.LBB122_92:
	s_or_b32 exec_lo, exec_lo, s21
	s_mov_b32 s21, 0
	s_and_saveexec_b32 s22, s1
	s_delay_alu instid0(SALU_CYCLE_1)
	s_xor_b32 s22, exec_lo, s22
	s_cbranch_execnz .LBB122_116
; %bb.93:
	s_or_b32 exec_lo, exec_lo, s22
	s_and_saveexec_b32 s1, s44
	s_cbranch_execnz .LBB122_117
.LBB122_94:
	s_or_b32 exec_lo, exec_lo, s1
	s_and_saveexec_b32 s24, s21
	s_cbranch_execnz .LBB122_118
.LBB122_95:
	s_or_b32 exec_lo, exec_lo, s24
	s_and_saveexec_b32 s1, s42
	s_cbranch_execnz .LBB122_140
.LBB122_96:
	s_or_b32 exec_lo, exec_lo, s1
	s_and_saveexec_b32 s1, s3
	s_cbranch_execnz .LBB122_98
	s_branch .LBB122_99
.LBB122_97:
                                        ; implicit-def: $sgpr0
                                        ; implicit-def: $vgpr1
                                        ; implicit-def: $vgpr0
	s_and_saveexec_b32 s1, s3
.LBB122_98:
	; divergent unreachable
.LBB122_99:
	s_delay_alu instid0(SALU_CYCLE_1) | instskip(SKIP_1) | instid1(SALU_CYCLE_1)
	s_or_b32 exec_lo, exec_lo, s1
	s_and_saveexec_b32 s1, s33
	s_xor_b32 s1, exec_lo, s1
	s_cbranch_execz .LBB122_105
; %bb.100:
	s_and_saveexec_b32 s1, s0
	s_delay_alu instid0(SALU_CYCLE_1)
	s_xor_b32 s0, exec_lo, s1
	s_cbranch_execnz .LBB122_125
; %bb.101:
	s_or_b32 exec_lo, exec_lo, s0
	s_delay_alu instid0(SALU_CYCLE_1)
	s_mov_b32 s0, exec_lo
	v_cmpx_gt_i32_e64 s11, v0
	s_cbranch_execnz .LBB122_126
.LBB122_102:
	s_or_b32 exec_lo, exec_lo, s0
	s_delay_alu instid0(SALU_CYCLE_1)
	s_mov_b32 s0, exec_lo
	v_cmpx_gt_i32_e64 s11, v0
	s_cbranch_execnz .LBB122_127
.LBB122_103:
	s_or_b32 exec_lo, exec_lo, s0
	s_delay_alu instid0(SALU_CYCLE_1)
	s_mov_b32 s0, exec_lo
	v_cmpx_gt_i32_e64 s11, v0
	s_cbranch_execz .LBB122_105
.LBB122_104:
	s_wait_loadcnt 0x1
	v_mov_b64_e32 v[2:3], 0
	v_add_nc_u32_e32 v0, s2, v0
	global_store_b64 v0, v[2:3], s[18:19] scale_offset
.LBB122_105:
	s_endpgm
.LBB122_106:
	s_wait_loadcnt 0x4
	v_cmp_eq_u64_e32 vcc_lo, s[4:5], v[40:41]
	s_mov_b32 s21, -1
	s_mov_b32 s1, 0
	s_mov_b32 s22, 0
	;; [unrolled: 1-line block ×4, first 2 shown]
	s_and_b32 s25, s43, vcc_lo
	s_delay_alu instid0(SALU_CYCLE_1)
	s_and_saveexec_b32 s42, s25
	s_cbranch_execz .LBB122_159
; %bb.107:
	s_wait_loadcnt 0x3
	v_cmp_eq_u64_e32 vcc_lo, s[8:9], v[36:37]
	s_and_b32 s24, s41, vcc_lo
	s_delay_alu instid0(SALU_CYCLE_1)
	s_and_saveexec_b32 s44, s24
	s_cbranch_execz .LBB122_158
; %bb.108:
	s_wait_loadcnt 0x1
	v_sub_nc_u64_e32 v[36:37], v[32:33], v[34:35]
	s_delay_alu instid0(VALU_DEP_1)
	v_cmp_le_i64_e32 vcc_lo, s[4:5], v[36:37]
	v_cmp_ge_i64_e64 s1, s[6:7], v[36:37]
	s_and_b32 s22, vcc_lo, s1
	s_mov_b32 s1, 0
	s_and_b32 s23, s40, s22
	s_mov_b32 s22, 0
	s_and_saveexec_b32 s45, s23
	s_cbranch_execz .LBB122_157
; %bb.109:
	v_cmp_lt_i64_e64 s1, s[8:9], 1
	v_mov_b64_e32 v[36:37], 0
	s_xor_b32 s21, s39, -1
	s_delay_alu instid0(SALU_CYCLE_1) | instskip(NEXT) | instid1(SALU_CYCLE_1)
	s_or_b32 s1, s1, s21
	s_and_b32 vcc_lo, exec_lo, s1
	s_cbranch_vccnz .LBB122_133
; %bb.110:
	s_wait_loadcnt 0x0
	v_mul_u64_e32 v[40:41], s[8:9], v[38:39]
	s_mov_b32 s23, 0
	v_mov_b64_e32 v[36:37], 0
	s_mov_b32 s21, s23
	v_mov_b32_e32 v38, 0
	s_lshl_b64 s[28:29], s[20:21], 3
	s_mov_b64 s[24:25], 0xffffffff
	s_add_nc_u64 s[26:27], s[12:13], s[28:29]
	s_add_nc_u64 s[28:29], s[14:15], s[28:29]
	s_mov_b32 s21, s10
	s_branch .LBB122_112
.LBB122_111:                            ;   in Loop: Header=BB122_112 Depth=1
	s_or_b32 exec_lo, exec_lo, s1
	s_delay_alu instid0(VALU_DEP_1)
	v_mul_u64_e32 v[44:45], s[30:31], v[42:43]
	s_load_b64 s[30:31], s[28:29], 0x0
	s_add_co_i32 s21, s21, -1
	s_add_nc_u64 s[26:27], s[26:27], -8
	s_cmp_eq_u32 s21, 0
	s_wait_xcnt 0x0
	s_add_nc_u64 s[28:29], s[28:29], -8
	s_delay_alu instid0(VALU_DEP_1) | instskip(SKIP_1) | instid1(VALU_DEP_1)
	v_sub_nc_u64_e32 v[40:41], v[40:41], v[44:45]
	s_wait_kmcnt 0x0
	v_mad_nc_u64_u32 v[36:37], v40, s30, v[36:37]
	s_delay_alu instid0(VALU_DEP_1) | instskip(NEXT) | instid1(VALU_DEP_1)
	v_mad_u32 v37, v41, s30, v37
	v_mad_u32 v37, v40, s31, v37
	v_mov_b64_e32 v[40:41], v[42:43]
	s_cbranch_scc1 .LBB122_133
.LBB122_112:                            ; =>This Inner Loop Header: Depth=1
	s_load_b64 s[30:31], s[26:27], 0x0
                                        ; implicit-def: $vgpr42_vgpr43
	s_mov_b32 s1, exec_lo
	s_wait_kmcnt 0x0
	s_delay_alu instid0(VALU_DEP_1) | instskip(NEXT) | instid1(VALU_DEP_1)
	v_or_b32_e32 v39, s31, v41
	v_cmpx_ne_u64_e32 0, v[38:39]
	s_xor_b32 s46, exec_lo, s1
	s_cbranch_execz .LBB122_114
; %bb.113:                              ;   in Loop: Header=BB122_112 Depth=1
	s_ashr_i32 s34, s31, 31
	v_dual_mov_b32 v47, v38 :: v_dual_ashrrev_i32 v42, 31, v41
	s_mov_b32 s35, s34
	v_mov_b32_e32 v55, v38
	s_add_nc_u64 s[36:37], s[30:31], s[34:35]
	s_delay_alu instid0(VALU_DEP_2) | instskip(SKIP_1) | instid1(SALU_CYCLE_1)
	v_mov_b32_e32 v43, v42
	s_xor_b64 s[36:37], s[36:37], s[34:35]
	s_cvt_f32_u32 s1, s36
	s_cvt_f32_u32 s22, s37
	s_sub_nc_u64 s[52:53], 0, s[36:37]
	v_add_nc_u64_e32 v[44:45], v[40:41], v[42:43]
	v_mov_b32_e32 v51, v38
	s_fmamk_f32 s1, s22, 0x4f800000, s1
	s_delay_alu instid0(SALU_CYCLE_3) | instskip(NEXT) | instid1(VALU_DEP_2)
	v_s_rcp_f32 s1, s1
	v_xor_b32_e32 v46, v44, v42
	s_delay_alu instid0(VALU_DEP_3) | instskip(NEXT) | instid1(TRANS32_DEP_1)
	v_xor_b32_e32 v50, v45, v42
	s_mul_f32 s1, s1, 0x5f7ffffc
	s_delay_alu instid0(SALU_CYCLE_3) | instskip(NEXT) | instid1(SALU_CYCLE_3)
	s_mul_f32 s22, s1, 0x2f800000
	s_trunc_f32 s22, s22
	s_delay_alu instid0(SALU_CYCLE_3) | instskip(SKIP_1) | instid1(SALU_CYCLE_2)
	s_fmamk_f32 s1, s22, 0xcf800000, s1
	s_cvt_u32_f32 s51, s22
	s_cvt_u32_f32 s50, s1
	s_delay_alu instid0(SALU_CYCLE_3) | instskip(NEXT) | instid1(SALU_CYCLE_1)
	s_mul_u64 s[54:55], s[52:53], s[50:51]
	s_mul_hi_u32 s57, s50, s55
	s_mul_i32 s56, s50, s55
	s_mul_hi_u32 s22, s50, s54
	s_mul_i32 s35, s51, s54
	s_add_nc_u64 s[56:57], s[22:23], s[56:57]
	s_mul_hi_u32 s1, s51, s54
	s_mul_hi_u32 s47, s51, s55
	s_add_co_u32 s22, s56, s35
	s_add_co_ci_u32 s22, s57, s1
	s_mul_i32 s54, s51, s55
	s_add_co_ci_u32 s55, s47, 0
	s_delay_alu instid0(SALU_CYCLE_1) | instskip(NEXT) | instid1(SALU_CYCLE_1)
	s_add_nc_u64 s[54:55], s[22:23], s[54:55]
	s_add_co_u32 s50, s50, s54
	s_cselect_b32 s1, -1, 0
	s_delay_alu instid0(SALU_CYCLE_1) | instskip(SKIP_1) | instid1(SALU_CYCLE_1)
	s_cmp_lg_u32 s1, 0
	s_add_co_ci_u32 s51, s51, s55
	s_mul_u64 s[52:53], s[52:53], s[50:51]
	s_delay_alu instid0(SALU_CYCLE_1)
	s_mul_hi_u32 s55, s50, s53
	s_mul_i32 s54, s50, s53
	s_mul_hi_u32 s22, s50, s52
	s_mul_i32 s35, s51, s52
	s_add_nc_u64 s[54:55], s[22:23], s[54:55]
	s_mul_hi_u32 s1, s51, s52
	s_mul_hi_u32 s47, s51, s53
	s_add_co_u32 s22, s54, s35
	s_add_co_ci_u32 s22, s55, s1
	s_mul_i32 s52, s51, s53
	s_add_co_ci_u32 s53, s47, 0
	s_delay_alu instid0(SALU_CYCLE_1) | instskip(NEXT) | instid1(SALU_CYCLE_1)
	s_add_nc_u64 s[52:53], s[22:23], s[52:53]
	s_add_co_u32 s50, s50, s52
	s_cselect_b32 s1, -1, 0
	v_mul_hi_u32 v54, v46, s50
	s_cmp_lg_u32 s1, 0
	s_add_co_ci_u32 s22, s51, s53
	s_and_b64 s[52:53], s[50:51], s[24:25]
	v_mul_u64_e32 v[48:49], s[22:23], v[46:47]
	v_mul_u64_e32 v[44:45], s[52:53], v[50:51]
	;; [unrolled: 1-line block ×3, first 2 shown]
	s_delay_alu instid0(VALU_DEP_3) | instskip(NEXT) | instid1(VALU_DEP_1)
	v_add_nc_u64_e32 v[48:49], v[54:55], v[48:49]
	v_add_co_u32 v39, vcc_lo, v48, v44
	s_delay_alu instid0(VALU_DEP_2) | instskip(NEXT) | instid1(VALU_DEP_4)
	v_add_co_ci_u32_e32 v54, vcc_lo, v49, v45, vcc_lo
	v_add_co_ci_u32_e32 v53, vcc_lo, 0, v53, vcc_lo
	s_delay_alu instid0(VALU_DEP_1) | instskip(NEXT) | instid1(VALU_DEP_1)
	v_add_nc_u64_e32 v[44:45], v[54:55], v[52:53]
	v_mul_u64_e32 v[48:49], s[36:37], v[44:45]
	s_delay_alu instid0(VALU_DEP_1) | instskip(NEXT) | instid1(VALU_DEP_2)
	v_sub_nc_u32_e32 v39, v50, v49
	v_sub_co_u32 v43, vcc_lo, v46, v48
	s_delay_alu instid0(VALU_DEP_1) | instskip(NEXT) | instid1(VALU_DEP_3)
	v_sub_co_ci_u32_e64 v50, null, v50, v49, vcc_lo
	v_subrev_co_ci_u32_e64 v39, null, s37, v39, vcc_lo
	s_delay_alu instid0(VALU_DEP_3) | instskip(SKIP_1) | instid1(VALU_DEP_3)
	v_sub_co_u32 v46, s1, v43, s36
	v_add_nc_u64_e32 v[48:49], 1, v[44:45]
	v_subrev_co_ci_u32_e64 v39, null, 0, v39, s1
	s_delay_alu instid0(VALU_DEP_3) | instskip(SKIP_1) | instid1(VALU_DEP_3)
	v_cmp_le_u32_e32 vcc_lo, s36, v46
	v_cndmask_b32_e64 v46, 0, -1, vcc_lo
	v_cmp_le_u32_e32 vcc_lo, s37, v39
	v_cndmask_b32_e64 v47, 0, -1, vcc_lo
	;; [unrolled: 2-line block ×4, first 2 shown]
	v_cmp_eq_u32_e32 vcc_lo, s37, v39
	v_cndmask_b32_e32 v39, v47, v46, vcc_lo
	v_cmp_eq_u32_e32 vcc_lo, s37, v50
	v_add_nc_u64_e32 v[46:47], 2, v[44:45]
	v_cndmask_b32_e32 v43, v51, v43, vcc_lo
	s_delay_alu instid0(VALU_DEP_4) | instskip(NEXT) | instid1(VALU_DEP_2)
	v_cmp_ne_u32_e32 vcc_lo, 0, v39
	v_cmp_ne_u32_e64 s1, 0, v43
	s_delay_alu instid0(VALU_DEP_4) | instskip(NEXT) | instid1(VALU_DEP_1)
	v_dual_cndmask_b32 v39, v49, v47, vcc_lo :: v_dual_cndmask_b32 v43, v48, v46, vcc_lo
	v_dual_cndmask_b32 v39, v45, v39, s1 :: v_dual_bitop2_b32 v42, s34, v42 bitop3:0x14
	s_delay_alu instid0(VALU_DEP_1) | instskip(NEXT) | instid1(VALU_DEP_2)
	v_dual_cndmask_b32 v44, v44, v43, s1 :: v_dual_mov_b32 v43, v42
	v_xor_b32_e32 v45, v39, v42
	s_delay_alu instid0(VALU_DEP_2) | instskip(NEXT) | instid1(VALU_DEP_1)
	v_xor_b32_e32 v44, v44, v42
	v_sub_nc_u64_e32 v[42:43], v[44:45], v[42:43]
.LBB122_114:                            ;   in Loop: Header=BB122_112 Depth=1
	s_and_not1_saveexec_b32 s1, s46
	s_cbranch_execz .LBB122_111
; %bb.115:                              ;   in Loop: Header=BB122_112 Depth=1
	v_cvt_f32_u32_e32 v39, s30
	s_sub_co_i32 s22, 0, s30
	s_delay_alu instid0(VALU_DEP_1) | instskip(SKIP_1) | instid1(TRANS32_DEP_1)
	v_rcp_iflag_f32_e32 v39, v39
	v_nop
	v_mul_f32_e32 v39, 0x4f7ffffe, v39
	s_delay_alu instid0(VALU_DEP_1) | instskip(NEXT) | instid1(VALU_DEP_1)
	v_cvt_u32_f32_e32 v39, v39
	v_mul_lo_u32 v42, s22, v39
	s_delay_alu instid0(VALU_DEP_1) | instskip(NEXT) | instid1(VALU_DEP_1)
	v_mul_hi_u32 v42, v39, v42
	v_add_nc_u32_e32 v39, v39, v42
	s_delay_alu instid0(VALU_DEP_1) | instskip(NEXT) | instid1(VALU_DEP_1)
	v_mul_hi_u32 v39, v40, v39
	v_mul_lo_u32 v42, v39, s30
	s_delay_alu instid0(VALU_DEP_1) | instskip(NEXT) | instid1(VALU_DEP_1)
	v_dual_add_nc_u32 v43, 1, v39 :: v_dual_sub_nc_u32 v42, v40, v42
	v_subrev_nc_u32_e32 v44, s30, v42
	v_cmp_le_u32_e32 vcc_lo, s30, v42
	s_delay_alu instid0(VALU_DEP_2) | instskip(NEXT) | instid1(VALU_DEP_1)
	v_dual_cndmask_b32 v42, v42, v44 :: v_dual_cndmask_b32 v39, v39, v43
	v_cmp_le_u32_e32 vcc_lo, s30, v42
	s_delay_alu instid0(VALU_DEP_2) | instskip(NEXT) | instid1(VALU_DEP_1)
	v_add_nc_u32_e32 v43, 1, v39
	v_dual_cndmask_b32 v42, v39, v43 :: v_dual_mov_b32 v43, v38
	s_branch .LBB122_111
.LBB122_116:
	s_wait_loadcnt 0x1
	v_sub_nc_u64_e32 v[8:9], v[2:3], v[4:5]
	s_mov_b32 s21, exec_lo
	s_delay_alu instid0(VALU_DEP_1) | instskip(SKIP_3) | instid1(SALU_CYCLE_1)
	v_cmp_le_i64_e32 vcc_lo, s[4:5], v[8:9]
	v_cmp_ge_i64_e64 s1, s[6:7], v[8:9]
	s_and_not1_b32 s4, s44, exec_lo
	s_and_b32 s1, vcc_lo, s1
	s_and_b32 s1, s40, s1
	s_delay_alu instid0(SALU_CYCLE_1) | instskip(NEXT) | instid1(SALU_CYCLE_1)
	s_xor_b32 s1, s1, -1
	s_and_b32 s1, s1, exec_lo
	s_delay_alu instid0(SALU_CYCLE_1)
	s_or_b32 s44, s4, s1
	s_or_b32 exec_lo, exec_lo, s22
	s_and_saveexec_b32 s1, s44
	s_cbranch_execz .LBB122_94
.LBB122_117:
	s_or_b32 s3, s3, exec_lo
	s_and_not1_b32 s21, s21, exec_lo
	s_trap 2
	s_or_b32 exec_lo, exec_lo, s1
	s_and_saveexec_b32 s24, s21
	s_cbranch_execz .LBB122_95
.LBB122_118:
	v_cmp_lt_i64_e64 s1, s[8:9], 1
	s_wait_loadcnt 0x3
	v_mov_b64_e32 v[8:9], 0
	s_xor_b32 s4, s39, -1
	s_delay_alu instid0(SALU_CYCLE_1) | instskip(NEXT) | instid1(SALU_CYCLE_1)
	s_or_b32 s1, s1, s4
	s_and_b32 vcc_lo, exec_lo, s1
	s_cbranch_vccnz .LBB122_128
; %bb.119:
	s_wait_loadcnt 0x0
	v_mul_u64_e32 v[10:11], s[8:9], v[6:7]
	v_mov_b64_e32 v[8:9], 0
	s_mov_b32 s21, 0
	v_mov_b32_e32 v6, 0
	s_lshl_b64 s[8:9], s[20:21], 3
	s_mov_b64 s[4:5], 0xffffffff
	s_add_nc_u64 s[6:7], s[12:13], s[8:9]
	s_add_nc_u64 s[8:9], s[14:15], s[8:9]
	s_branch .LBB122_121
.LBB122_120:                            ;   in Loop: Header=BB122_121 Depth=1
	s_or_b32 exec_lo, exec_lo, s1
	s_delay_alu instid0(VALU_DEP_1)
	v_mul_u64_e32 v[14:15], s[12:13], v[12:13]
	s_load_b64 s[12:13], s[8:9], 0x0
	s_add_co_i32 s10, s10, -1
	s_add_nc_u64 s[6:7], s[6:7], -8
	s_cmp_lg_u32 s10, 0
	s_wait_xcnt 0x0
	s_add_nc_u64 s[8:9], s[8:9], -8
	s_delay_alu instid0(VALU_DEP_1) | instskip(SKIP_1) | instid1(VALU_DEP_1)
	v_sub_nc_u64_e32 v[10:11], v[10:11], v[14:15]
	s_wait_kmcnt 0x0
	v_mad_nc_u64_u32 v[8:9], v10, s12, v[8:9]
	s_delay_alu instid0(VALU_DEP_1) | instskip(NEXT) | instid1(VALU_DEP_1)
	v_mad_u32 v7, v11, s12, v9
	v_mad_u32 v9, v10, s13, v7
	v_mov_b64_e32 v[10:11], v[12:13]
	s_cbranch_scc0 .LBB122_128
.LBB122_121:                            ; =>This Inner Loop Header: Depth=1
	s_load_b64 s[12:13], s[6:7], 0x0
                                        ; implicit-def: $vgpr12_vgpr13
	s_mov_b32 s1, exec_lo
	s_wait_kmcnt 0x0
	s_delay_alu instid0(VALU_DEP_1) | instskip(NEXT) | instid1(VALU_DEP_1)
	v_or_b32_e32 v7, s13, v11
	v_cmpx_ne_u64_e32 0, v[6:7]
	s_xor_b32 s25, exec_lo, s1
	s_cbranch_execz .LBB122_123
; %bb.122:                              ;   in Loop: Header=BB122_121 Depth=1
	s_ashr_i32 s14, s13, 31
	v_dual_mov_b32 v17, v6 :: v_dual_ashrrev_i32 v12, 31, v11
	s_mov_b32 s15, s14
	s_delay_alu instid0(SALU_CYCLE_1) | instskip(NEXT) | instid1(VALU_DEP_1)
	s_add_nc_u64 s[22:23], s[12:13], s[14:15]
	v_mov_b32_e32 v13, v12
	s_xor_b64 s[22:23], s[22:23], s[14:15]
	s_delay_alu instid0(SALU_CYCLE_1)
	s_cvt_f32_u32 s1, s22
	s_cvt_f32_u32 s15, s23
	s_sub_nc_u64 s[28:29], 0, s[22:23]
	v_add_nc_u64_e32 v[14:15], v[10:11], v[12:13]
	v_mov_b32_e32 v21, v6
	s_fmamk_f32 s1, s15, 0x4f800000, s1
	s_delay_alu instid0(SALU_CYCLE_3) | instskip(NEXT) | instid1(VALU_DEP_2)
	v_s_rcp_f32 s1, s1
	v_xor_b32_e32 v16, v14, v12
	s_delay_alu instid0(VALU_DEP_3) | instskip(SKIP_1) | instid1(TRANS32_DEP_1)
	v_dual_mov_b32 v25, v6 :: v_dual_bitop2_b32 v20, v15, v12 bitop3:0x14
	v_xor_b32_e32 v12, s14, v12
	s_mul_f32 s1, s1, 0x5f7ffffc
	s_delay_alu instid0(SALU_CYCLE_3) | instskip(NEXT) | instid1(SALU_CYCLE_3)
	s_mul_f32 s15, s1, 0x2f800000
	s_trunc_f32 s15, s15
	s_delay_alu instid0(SALU_CYCLE_3) | instskip(SKIP_1) | instid1(SALU_CYCLE_2)
	s_fmamk_f32 s1, s15, 0xcf800000, s1
	s_cvt_u32_f32 s27, s15
	s_cvt_u32_f32 s26, s1
	s_delay_alu instid0(SALU_CYCLE_3) | instskip(NEXT) | instid1(SALU_CYCLE_1)
	s_mul_u64 s[30:31], s[28:29], s[26:27]
	s_mul_hi_u32 s35, s26, s31
	s_mul_i32 s34, s26, s31
	s_mul_hi_u32 s20, s26, s30
	s_mul_i32 s15, s27, s30
	s_add_nc_u64 s[34:35], s[20:21], s[34:35]
	s_mul_hi_u32 s1, s27, s30
	s_mul_hi_u32 s36, s27, s31
	s_add_co_u32 s15, s34, s15
	s_add_co_ci_u32 s20, s35, s1
	s_mul_i32 s30, s27, s31
	s_add_co_ci_u32 s31, s36, 0
	s_delay_alu instid0(SALU_CYCLE_1) | instskip(NEXT) | instid1(SALU_CYCLE_1)
	s_add_nc_u64 s[30:31], s[20:21], s[30:31]
	s_add_co_u32 s26, s26, s30
	s_cselect_b32 s1, -1, 0
	s_delay_alu instid0(SALU_CYCLE_1) | instskip(SKIP_1) | instid1(SALU_CYCLE_1)
	s_cmp_lg_u32 s1, 0
	s_add_co_ci_u32 s27, s27, s31
	s_mul_u64 s[28:29], s[28:29], s[26:27]
	s_delay_alu instid0(SALU_CYCLE_1)
	s_mul_hi_u32 s31, s26, s29
	s_mul_i32 s30, s26, s29
	s_mul_hi_u32 s20, s26, s28
	s_mul_i32 s15, s27, s28
	s_add_nc_u64 s[30:31], s[20:21], s[30:31]
	s_mul_hi_u32 s1, s27, s28
	s_mul_hi_u32 s34, s27, s29
	s_add_co_u32 s15, s30, s15
	s_add_co_ci_u32 s20, s31, s1
	s_mul_i32 s28, s27, s29
	s_add_co_ci_u32 s29, s34, 0
	s_delay_alu instid0(SALU_CYCLE_1) | instskip(NEXT) | instid1(SALU_CYCLE_1)
	s_add_nc_u64 s[28:29], s[20:21], s[28:29]
	s_add_co_u32 s26, s26, s28
	s_cselect_b32 s1, -1, 0
	v_mul_hi_u32 v24, v16, s26
	s_cmp_lg_u32 s1, 0
	s_add_co_ci_u32 s20, s27, s29
	s_and_b64 s[28:29], s[26:27], s[4:5]
	v_mul_u64_e32 v[18:19], s[20:21], v[16:17]
	v_mul_u64_e32 v[14:15], s[28:29], v[20:21]
	;; [unrolled: 1-line block ×3, first 2 shown]
	s_delay_alu instid0(VALU_DEP_3) | instskip(NEXT) | instid1(VALU_DEP_1)
	v_add_nc_u64_e32 v[18:19], v[24:25], v[18:19]
	v_add_co_u32 v7, vcc_lo, v18, v14
	s_delay_alu instid0(VALU_DEP_2) | instskip(NEXT) | instid1(VALU_DEP_4)
	v_add_co_ci_u32_e32 v24, vcc_lo, v19, v15, vcc_lo
	v_add_co_ci_u32_e32 v23, vcc_lo, 0, v23, vcc_lo
	s_delay_alu instid0(VALU_DEP_1) | instskip(NEXT) | instid1(VALU_DEP_1)
	v_add_nc_u64_e32 v[14:15], v[24:25], v[22:23]
	v_mul_u64_e32 v[18:19], s[22:23], v[14:15]
	s_delay_alu instid0(VALU_DEP_1) | instskip(NEXT) | instid1(VALU_DEP_2)
	v_sub_nc_u32_e32 v7, v20, v19
	v_sub_co_u32 v13, vcc_lo, v16, v18
	s_delay_alu instid0(VALU_DEP_1) | instskip(NEXT) | instid1(VALU_DEP_3)
	v_sub_co_ci_u32_e64 v20, null, v20, v19, vcc_lo
	v_subrev_co_ci_u32_e64 v7, null, s23, v7, vcc_lo
	s_delay_alu instid0(VALU_DEP_3) | instskip(SKIP_1) | instid1(VALU_DEP_3)
	v_sub_co_u32 v16, s1, v13, s22
	v_add_nc_u64_e32 v[18:19], 1, v[14:15]
	v_subrev_co_ci_u32_e64 v7, null, 0, v7, s1
	s_delay_alu instid0(VALU_DEP_3) | instskip(SKIP_1) | instid1(VALU_DEP_3)
	v_cmp_le_u32_e32 vcc_lo, s22, v16
	v_cndmask_b32_e64 v16, 0, -1, vcc_lo
	v_cmp_le_u32_e32 vcc_lo, s23, v7
	v_cndmask_b32_e64 v17, 0, -1, vcc_lo
	;; [unrolled: 2-line block ×4, first 2 shown]
	v_cmp_eq_u32_e32 vcc_lo, s23, v7
	v_cndmask_b32_e32 v7, v17, v16, vcc_lo
	v_cmp_eq_u32_e32 vcc_lo, s23, v20
	v_add_nc_u64_e32 v[16:17], 2, v[14:15]
	v_cndmask_b32_e32 v13, v21, v13, vcc_lo
	s_delay_alu instid0(VALU_DEP_4) | instskip(NEXT) | instid1(VALU_DEP_2)
	v_cmp_ne_u32_e32 vcc_lo, 0, v7
	v_cmp_ne_u32_e64 s1, 0, v13
	s_delay_alu instid0(VALU_DEP_4) | instskip(NEXT) | instid1(VALU_DEP_1)
	v_dual_cndmask_b32 v7, v19, v17, vcc_lo :: v_dual_cndmask_b32 v13, v18, v16, vcc_lo
	v_dual_cndmask_b32 v14, v14, v13, s1 :: v_dual_mov_b32 v13, v12
	s_delay_alu instid0(VALU_DEP_1) | instskip(NEXT) | instid1(VALU_DEP_1)
	v_dual_cndmask_b32 v7, v15, v7, s1 :: v_dual_bitop2_b32 v14, v14, v12 bitop3:0x14
	v_xor_b32_e32 v15, v7, v12
	s_delay_alu instid0(VALU_DEP_1)
	v_sub_nc_u64_e32 v[12:13], v[14:15], v[12:13]
.LBB122_123:                            ;   in Loop: Header=BB122_121 Depth=1
	s_and_not1_saveexec_b32 s1, s25
	s_cbranch_execz .LBB122_120
; %bb.124:                              ;   in Loop: Header=BB122_121 Depth=1
	v_cvt_f32_u32_e32 v7, s12
	s_sub_co_i32 s14, 0, s12
	s_delay_alu instid0(VALU_DEP_1) | instskip(SKIP_1) | instid1(TRANS32_DEP_1)
	v_rcp_iflag_f32_e32 v7, v7
	v_nop
	v_mul_f32_e32 v7, 0x4f7ffffe, v7
	s_delay_alu instid0(VALU_DEP_1) | instskip(NEXT) | instid1(VALU_DEP_1)
	v_cvt_u32_f32_e32 v7, v7
	v_mul_lo_u32 v12, s14, v7
	s_delay_alu instid0(VALU_DEP_1) | instskip(NEXT) | instid1(VALU_DEP_1)
	v_mul_hi_u32 v12, v7, v12
	v_add_nc_u32_e32 v7, v7, v12
	s_delay_alu instid0(VALU_DEP_1) | instskip(NEXT) | instid1(VALU_DEP_1)
	v_mul_hi_u32 v7, v10, v7
	v_mul_lo_u32 v12, v7, s12
	s_delay_alu instid0(VALU_DEP_1) | instskip(NEXT) | instid1(VALU_DEP_1)
	v_dual_add_nc_u32 v13, 1, v7 :: v_dual_sub_nc_u32 v12, v10, v12
	v_subrev_nc_u32_e32 v14, s12, v12
	v_cmp_le_u32_e32 vcc_lo, s12, v12
	s_delay_alu instid0(VALU_DEP_2) | instskip(NEXT) | instid1(VALU_DEP_1)
	v_dual_cndmask_b32 v12, v12, v14 :: v_dual_cndmask_b32 v7, v7, v13
	v_cmp_le_u32_e32 vcc_lo, s12, v12
	s_delay_alu instid0(VALU_DEP_2) | instskip(NEXT) | instid1(VALU_DEP_1)
	v_add_nc_u32_e32 v13, 1, v7
	v_dual_cndmask_b32 v12, v7, v13 :: v_dual_mov_b32 v13, v6
	s_branch .LBB122_120
.LBB122_125:
	s_wait_loadcnt 0x1
	v_mov_b64_e32 v[2:3], 0
	v_dual_mov_b32 v0, v1 :: v_dual_bitop2_b32 v4, s2, v0 bitop3:0x54
	global_store_b64 v4, v[2:3], s[18:19] scale_offset
	s_wait_xcnt 0x0
	s_or_b32 exec_lo, exec_lo, s0
	s_delay_alu instid0(SALU_CYCLE_1)
	s_mov_b32 s0, exec_lo
	v_cmpx_gt_i32_e64 s11, v0
	s_cbranch_execz .LBB122_102
.LBB122_126:
	s_wait_loadcnt 0x1
	v_mov_b64_e32 v[2:3], 0
	v_add_nc_u32_e32 v1, s2, v0
	v_add_nc_u32_e32 v0, 0x100, v0
	global_store_b64 v1, v[2:3], s[18:19] scale_offset
	s_wait_xcnt 0x0
	s_or_b32 exec_lo, exec_lo, s0
	s_delay_alu instid0(SALU_CYCLE_1)
	s_mov_b32 s0, exec_lo
	v_cmpx_gt_i32_e64 s11, v0
	s_cbranch_execz .LBB122_103
.LBB122_127:
	s_wait_loadcnt 0x1
	v_mov_b64_e32 v[2:3], 0
	v_add_nc_u32_e32 v1, s2, v0
	v_add_nc_u32_e32 v0, 0x100, v0
	global_store_b64 v1, v[2:3], s[18:19] scale_offset
	s_wait_xcnt 0x0
	s_or_b32 exec_lo, exec_lo, s0
	s_delay_alu instid0(SALU_CYCLE_1)
	s_mov_b32 s0, exec_lo
	v_cmpx_gt_i32_e64 s11, v0
	s_cbranch_execnz .LBB122_104
	s_branch .LBB122_105
.LBB122_128:
	s_mov_b32 s4, s42
	s_mov_b32 s1, exec_lo
	s_wait_loadcnt 0x1
	v_cmpx_gt_i64_e64 v[2:3], v[4:5]
	s_cbranch_execz .LBB122_139
; %bb.129:
	s_wait_loadcnt 0x0
	s_delay_alu instid0(VALU_DEP_2) | instskip(SKIP_2) | instid1(VALU_DEP_1)
	v_lshlrev_b64_e32 v[6:7], 3, v[8:9]
	s_mov_b32 s4, 0
	s_xor_b32 s6, s38, -1
                                        ; implicit-def: $sgpr5
                                        ; implicit-def: $sgpr8
                                        ; implicit-def: $sgpr7
	v_lshl_add_u64 v[4:5], v[4:5], 3, v[6:7]
	v_add_nc_u64_e32 v[6:7], s[16:17], v[6:7]
	s_delay_alu instid0(VALU_DEP_2) | instskip(NEXT) | instid1(VALU_DEP_2)
	v_add_nc_u64_e32 v[4:5], s[16:17], v[4:5]
	v_lshl_add_u64 v[2:3], v[2:3], 3, v[6:7]
	s_delay_alu instid0(VALU_DEP_2)
	v_add_nc_u64_e32 v[4:5], 8, v[4:5]
	s_branch .LBB122_131
.LBB122_130:                            ;   in Loop: Header=BB122_131 Depth=1
	s_or_b32 exec_lo, exec_lo, s9
	s_xor_b32 s9, s7, -1
	s_and_b32 s10, exec_lo, s8
	s_delay_alu instid0(SALU_CYCLE_1) | instskip(SKIP_2) | instid1(SALU_CYCLE_1)
	s_or_b32 s4, s10, s4
	s_and_not1_b32 s5, s5, exec_lo
	s_and_b32 s9, s9, exec_lo
	s_or_b32 s5, s5, s9
	s_and_not1_b32 exec_lo, exec_lo, s4
	s_cbranch_execz .LBB122_138
.LBB122_131:                            ; =>This Inner Loop Header: Depth=1
	s_or_b32 s7, s7, exec_lo
	s_or_b32 s8, s8, exec_lo
	s_mov_b32 s9, exec_lo
	s_delay_alu instid0(VALU_DEP_1)
	v_cmpx_lt_u64_e64 v[4:5], v[2:3]
	s_cbranch_execz .LBB122_130
; %bb.132:                              ;   in Loop: Header=BB122_131 Depth=1
	global_load_b128 v[6:9], v[4:5], off offset:-8
	s_wait_xcnt 0x0
	v_add_nc_u64_e32 v[4:5], 8, v[4:5]
	s_and_not1_b32 s8, s8, exec_lo
	s_and_not1_b32 s7, s7, exec_lo
	s_wait_loadcnt 0x0
	v_cmp_ge_i64_e32 vcc_lo, v[6:7], v[8:9]
	s_or_b32 s10, s6, vcc_lo
	s_delay_alu instid0(SALU_CYCLE_1) | instskip(NEXT) | instid1(SALU_CYCLE_1)
	s_and_b32 s10, s10, exec_lo
	s_or_b32 s8, s8, s10
	s_branch .LBB122_130
.LBB122_133:
	s_mov_b32 s23, -1
	s_mov_b32 s21, 0
	s_mov_b32 s1, exec_lo
	v_cmpx_gt_i64_e64 v[32:33], v[34:35]
	s_cbranch_execz .LBB122_156
; %bb.134:
	s_delay_alu instid0(VALU_DEP_2) | instskip(SKIP_1) | instid1(VALU_DEP_1)
	v_lshlrev_b64_e32 v[36:37], 3, v[36:37]
	s_xor_b32 s23, s38, -1
                                        ; implicit-def: $sgpr22
                                        ; implicit-def: $sgpr25
                                        ; implicit-def: $sgpr24
	v_lshl_add_u64 v[34:35], v[34:35], 3, v[36:37]
	v_add_nc_u64_e32 v[36:37], s[16:17], v[36:37]
	s_delay_alu instid0(VALU_DEP_2) | instskip(NEXT) | instid1(VALU_DEP_2)
	v_add_nc_u64_e32 v[34:35], s[16:17], v[34:35]
	v_lshl_add_u64 v[32:33], v[32:33], 3, v[36:37]
	s_delay_alu instid0(VALU_DEP_2)
	v_add_nc_u64_e32 v[34:35], 8, v[34:35]
	s_branch .LBB122_136
.LBB122_135:                            ;   in Loop: Header=BB122_136 Depth=1
	s_or_b32 exec_lo, exec_lo, s26
	s_delay_alu instid0(SALU_CYCLE_1) | instskip(NEXT) | instid1(SALU_CYCLE_1)
	s_and_b32 s26, exec_lo, s25
	s_or_b32 s21, s26, s21
	s_and_not1_b32 s22, s22, exec_lo
	s_and_b32 s26, s24, exec_lo
	s_delay_alu instid0(SALU_CYCLE_1)
	s_or_b32 s22, s22, s26
	s_and_not1_b32 exec_lo, exec_lo, s21
	s_cbranch_execz .LBB122_155
.LBB122_136:                            ; =>This Inner Loop Header: Depth=1
	s_or_b32 s24, s24, exec_lo
	s_or_b32 s25, s25, exec_lo
	s_mov_b32 s26, exec_lo
	s_delay_alu instid0(VALU_DEP_1)
	v_cmpx_lt_u64_e64 v[34:35], v[32:33]
	s_cbranch_execz .LBB122_135
; %bb.137:                              ;   in Loop: Header=BB122_136 Depth=1
	s_wait_loadcnt 0x0
	global_load_b128 v[36:39], v[34:35], off offset:-8
	s_wait_xcnt 0x0
	v_add_nc_u64_e32 v[34:35], 8, v[34:35]
	s_and_not1_b32 s25, s25, exec_lo
	s_and_not1_b32 s24, s24, exec_lo
	s_wait_loadcnt 0x0
	v_cmp_ge_i64_e32 vcc_lo, v[36:37], v[38:39]
	s_or_b32 s27, s23, vcc_lo
	s_delay_alu instid0(SALU_CYCLE_1) | instskip(NEXT) | instid1(SALU_CYCLE_1)
	s_and_b32 s27, s27, exec_lo
	s_or_b32 s25, s25, s27
	s_branch .LBB122_135
.LBB122_138:
	s_or_b32 exec_lo, exec_lo, s4
	s_delay_alu instid0(SALU_CYCLE_1) | instskip(SKIP_1) | instid1(SALU_CYCLE_1)
	s_and_not1_b32 s4, s42, exec_lo
	s_and_b32 s5, s5, exec_lo
	s_or_b32 s4, s4, s5
.LBB122_139:
	s_or_b32 exec_lo, exec_lo, s1
	s_delay_alu instid0(SALU_CYCLE_1)
	s_and_not1_b32 s1, s42, exec_lo
	s_and_b32 s4, s4, exec_lo
	s_or_b32 s33, s33, exec_lo
	s_or_b32 s42, s1, s4
	s_or_b32 exec_lo, exec_lo, s24
	s_and_saveexec_b32 s1, s42
	s_cbranch_execz .LBB122_96
.LBB122_140:
	s_and_not1_b32 s33, s33, exec_lo
	s_or_b32 s3, s3, exec_lo
	s_trap 2
	s_or_b32 exec_lo, exec_lo, s1
	s_and_saveexec_b32 s1, s3
	s_cbranch_execnz .LBB122_98
	s_branch .LBB122_99
.LBB122_141:
	s_wait_loadcnt 0x0
	v_sub_nc_u64_e32 v[2:3], v[8:9], v[16:17]
	s_and_not1_b32 s37, s37, exec_lo
	s_mov_b32 s38, exec_lo
	s_delay_alu instid0(VALU_DEP_1) | instskip(SKIP_2) | instid1(SALU_CYCLE_1)
	v_cmp_gt_i64_e32 vcc_lo, s[4:5], v[2:3]
	v_cmp_lt_i64_e64 s0, s[6:7], v[2:3]
	s_or_b32 s0, vcc_lo, s0
	s_and_b32 s0, s0, exec_lo
	s_delay_alu instid0(SALU_CYCLE_1)
	s_or_b32 s37, s37, s0
	s_or_b32 exec_lo, exec_lo, s39
	s_and_saveexec_b32 s0, s37
	s_cbranch_execz .LBB122_69
.LBB122_142:
	s_or_b32 s3, s3, exec_lo
	s_and_not1_b32 s38, s38, exec_lo
	s_trap 2
	s_or_b32 exec_lo, exec_lo, s0
	s_mov_b32 s0, 0
	s_and_saveexec_b32 s53, s38
	s_cbranch_execz .LBB122_70
.LBB122_143:
	s_wait_loadcnt 0x2
	v_mov_b64_e32 v[2:3], 0
	s_and_not1_b32 vcc_lo, exec_lo, s52
	s_cbranch_vccnz .LBB122_150
; %bb.144:
	s_wait_loadcnt 0x0
	v_mul_u64_e32 v[6:7], s[8:9], v[24:25]
	v_mov_b64_e32 v[2:3], 0
	s_mov_b32 s37, 0
	v_mov_b32_e32 v4, 0
	s_lshl_b64 s[42:43], s[36:37], 3
	s_mov_b64 s[38:39], 0xffffffff
	s_add_nc_u64 s[40:41], s[12:13], s[42:43]
	s_add_nc_u64 s[42:43], s[14:15], s[42:43]
	s_branch .LBB122_146
.LBB122_145:                            ;   in Loop: Header=BB122_146 Depth=1
	s_or_b32 exec_lo, exec_lo, s0
	s_delay_alu instid0(VALU_DEP_1)
	v_mul_u64_e32 v[12:13], s[44:45], v[10:11]
	s_load_b64 s[44:45], s[42:43], 0x0
	s_add_co_i32 s55, s55, -1
	s_add_nc_u64 s[40:41], s[40:41], -8
	s_cmp_lg_u32 s55, 0
	s_wait_xcnt 0x0
	s_add_nc_u64 s[42:43], s[42:43], -8
	s_delay_alu instid0(VALU_DEP_1) | instskip(SKIP_1) | instid1(VALU_DEP_1)
	v_sub_nc_u64_e32 v[6:7], v[6:7], v[12:13]
	s_wait_kmcnt 0x0
	v_mad_nc_u64_u32 v[2:3], v6, s44, v[2:3]
	s_delay_alu instid0(VALU_DEP_1) | instskip(NEXT) | instid1(VALU_DEP_1)
	v_mad_u32 v1, v7, s44, v3
	v_mad_u32 v3, v6, s45, v1
	v_mov_b64_e32 v[6:7], v[10:11]
	s_cbranch_scc0 .LBB122_150
.LBB122_146:                            ; =>This Inner Loop Header: Depth=1
	s_load_b64 s[44:45], s[40:41], 0x0
                                        ; implicit-def: $vgpr10_vgpr11
	s_mov_b32 s0, exec_lo
	s_wait_kmcnt 0x0
	s_delay_alu instid0(VALU_DEP_1) | instskip(NEXT) | instid1(VALU_DEP_1)
	v_or_b32_e32 v5, s45, v7
	v_cmpx_ne_u64_e32 0, v[4:5]
	s_xor_b32 s52, exec_lo, s0
	s_cbranch_execz .LBB122_148
; %bb.147:                              ;   in Loop: Header=BB122_146 Depth=1
	s_ashr_i32 s46, s45, 31
	v_dual_mov_b32 v15, v4 :: v_dual_ashrrev_i32 v10, 31, v7
	s_mov_b32 s47, s46
	v_mov_b32_e32 v25, v4
	s_add_nc_u64 s[48:49], s[44:45], s[46:47]
	s_delay_alu instid0(VALU_DEP_2) | instskip(SKIP_1) | instid1(SALU_CYCLE_1)
	v_mov_b32_e32 v11, v10
	s_xor_b64 s[48:49], s[48:49], s[46:47]
	s_cvt_f32_u32 s0, s48
	s_cvt_f32_u32 s36, s49
	s_sub_nc_u64 s[58:59], 0, s[48:49]
	v_add_nc_u64_e32 v[12:13], v[6:7], v[10:11]
	v_mov_b32_e32 v21, v4
	s_fmamk_f32 s0, s36, 0x4f800000, s0
	s_delay_alu instid0(SALU_CYCLE_3) | instskip(NEXT) | instid1(VALU_DEP_2)
	v_s_rcp_f32 s0, s0
	v_xor_b32_e32 v14, v12, v10
	s_delay_alu instid0(VALU_DEP_3) | instskip(NEXT) | instid1(TRANS32_DEP_1)
	v_xor_b32_e32 v20, v13, v10
	s_mul_f32 s0, s0, 0x5f7ffffc
	s_delay_alu instid0(SALU_CYCLE_3) | instskip(NEXT) | instid1(SALU_CYCLE_3)
	s_mul_f32 s36, s0, 0x2f800000
	s_trunc_f32 s36, s36
	s_delay_alu instid0(SALU_CYCLE_3) | instskip(SKIP_1) | instid1(SALU_CYCLE_2)
	s_fmamk_f32 s0, s36, 0xcf800000, s0
	s_cvt_u32_f32 s57, s36
	s_cvt_u32_f32 s56, s0
	s_delay_alu instid0(SALU_CYCLE_3) | instskip(NEXT) | instid1(SALU_CYCLE_1)
	s_mul_u64 s[60:61], s[58:59], s[56:57]
	s_mul_hi_u32 s63, s56, s61
	s_mul_i32 s62, s56, s61
	s_mul_hi_u32 s36, s56, s60
	s_mul_i32 s47, s57, s60
	s_add_nc_u64 s[62:63], s[36:37], s[62:63]
	s_mul_hi_u32 s0, s57, s60
	s_mul_hi_u32 s64, s57, s61
	s_add_co_u32 s36, s62, s47
	s_add_co_ci_u32 s36, s63, s0
	s_mul_i32 s60, s57, s61
	s_add_co_ci_u32 s61, s64, 0
	s_delay_alu instid0(SALU_CYCLE_1) | instskip(NEXT) | instid1(SALU_CYCLE_1)
	s_add_nc_u64 s[60:61], s[36:37], s[60:61]
	s_add_co_u32 s56, s56, s60
	s_cselect_b32 s0, -1, 0
	s_delay_alu instid0(SALU_CYCLE_1) | instskip(SKIP_1) | instid1(SALU_CYCLE_1)
	s_cmp_lg_u32 s0, 0
	s_add_co_ci_u32 s57, s57, s61
	s_mul_u64 s[58:59], s[58:59], s[56:57]
	s_delay_alu instid0(SALU_CYCLE_1)
	s_mul_hi_u32 s61, s56, s59
	s_mul_i32 s60, s56, s59
	s_mul_hi_u32 s36, s56, s58
	s_mul_i32 s47, s57, s58
	s_add_nc_u64 s[60:61], s[36:37], s[60:61]
	s_mul_hi_u32 s0, s57, s58
	s_mul_hi_u32 s62, s57, s59
	s_add_co_u32 s36, s60, s47
	s_add_co_ci_u32 s36, s61, s0
	s_mul_i32 s58, s57, s59
	s_add_co_ci_u32 s59, s62, 0
	s_delay_alu instid0(SALU_CYCLE_1) | instskip(NEXT) | instid1(SALU_CYCLE_1)
	s_add_nc_u64 s[58:59], s[36:37], s[58:59]
	s_add_co_u32 s0, s56, s58
	s_cselect_b32 s36, -1, 0
	v_mul_hi_u32 v24, v14, s0
	s_cmp_lg_u32 s36, 0
	s_add_co_ci_u32 s36, s57, s59
	s_and_b64 s[56:57], s[0:1], s[38:39]
	v_mul_u64_e32 v[18:19], s[36:37], v[14:15]
	v_mul_u64_e32 v[12:13], s[56:57], v[20:21]
	;; [unrolled: 1-line block ×3, first 2 shown]
	s_delay_alu instid0(VALU_DEP_3) | instskip(NEXT) | instid1(VALU_DEP_1)
	v_add_nc_u64_e32 v[18:19], v[24:25], v[18:19]
	v_add_co_u32 v1, vcc_lo, v18, v12
	s_delay_alu instid0(VALU_DEP_2) | instskip(NEXT) | instid1(VALU_DEP_4)
	v_add_co_ci_u32_e32 v24, vcc_lo, v19, v13, vcc_lo
	v_add_co_ci_u32_e32 v23, vcc_lo, 0, v23, vcc_lo
	s_delay_alu instid0(VALU_DEP_1) | instskip(NEXT) | instid1(VALU_DEP_1)
	v_add_nc_u64_e32 v[12:13], v[24:25], v[22:23]
	v_mul_u64_e32 v[18:19], s[48:49], v[12:13]
	s_delay_alu instid0(VALU_DEP_1) | instskip(NEXT) | instid1(VALU_DEP_2)
	v_sub_nc_u32_e32 v1, v20, v19
	v_sub_co_u32 v5, vcc_lo, v14, v18
	s_delay_alu instid0(VALU_DEP_1) | instskip(NEXT) | instid1(VALU_DEP_3)
	v_sub_co_ci_u32_e64 v20, null, v20, v19, vcc_lo
	v_subrev_co_ci_u32_e64 v1, null, s49, v1, vcc_lo
	s_delay_alu instid0(VALU_DEP_3) | instskip(SKIP_1) | instid1(VALU_DEP_3)
	v_sub_co_u32 v11, s0, v5, s48
	v_add_nc_u64_e32 v[18:19], 1, v[12:13]
	v_subrev_co_ci_u32_e64 v1, null, 0, v1, s0
	s_delay_alu instid0(VALU_DEP_3) | instskip(SKIP_1) | instid1(VALU_DEP_3)
	v_cmp_le_u32_e32 vcc_lo, s48, v11
	v_cndmask_b32_e64 v11, 0, -1, vcc_lo
	v_cmp_le_u32_e32 vcc_lo, s49, v1
	v_cndmask_b32_e64 v14, 0, -1, vcc_lo
	v_cmp_le_u32_e32 vcc_lo, s48, v5
	v_cndmask_b32_e64 v5, 0, -1, vcc_lo
	v_cmp_le_u32_e32 vcc_lo, s49, v20
	v_cndmask_b32_e64 v21, 0, -1, vcc_lo
	v_cmp_eq_u32_e32 vcc_lo, s49, v1
	v_cndmask_b32_e32 v1, v14, v11, vcc_lo
	v_cmp_eq_u32_e32 vcc_lo, s49, v20
	v_add_nc_u64_e32 v[14:15], 2, v[12:13]
	v_cndmask_b32_e32 v5, v21, v5, vcc_lo
	s_delay_alu instid0(VALU_DEP_4) | instskip(NEXT) | instid1(VALU_DEP_2)
	v_cmp_ne_u32_e32 vcc_lo, 0, v1
	v_cmp_ne_u32_e64 s0, 0, v5
	s_delay_alu instid0(VALU_DEP_4) | instskip(NEXT) | instid1(VALU_DEP_1)
	v_dual_cndmask_b32 v1, v19, v15, vcc_lo :: v_dual_cndmask_b32 v5, v18, v14, vcc_lo
	v_dual_cndmask_b32 v1, v13, v1, s0 :: v_dual_bitop2_b32 v10, s46, v10 bitop3:0x14
	s_delay_alu instid0(VALU_DEP_1) | instskip(NEXT) | instid1(VALU_DEP_2)
	v_dual_cndmask_b32 v5, v12, v5, s0 :: v_dual_mov_b32 v11, v10
	v_xor_b32_e32 v13, v1, v10
	s_delay_alu instid0(VALU_DEP_2) | instskip(NEXT) | instid1(VALU_DEP_1)
	v_xor_b32_e32 v12, v5, v10
	v_sub_nc_u64_e32 v[10:11], v[12:13], v[10:11]
.LBB122_148:                            ;   in Loop: Header=BB122_146 Depth=1
	s_and_not1_saveexec_b32 s0, s52
	s_cbranch_execz .LBB122_145
; %bb.149:                              ;   in Loop: Header=BB122_146 Depth=1
	v_cvt_f32_u32_e32 v1, s44
	s_sub_co_i32 s36, 0, s44
	s_delay_alu instid0(VALU_DEP_1) | instskip(SKIP_1) | instid1(TRANS32_DEP_1)
	v_rcp_iflag_f32_e32 v1, v1
	v_nop
	v_mul_f32_e32 v1, 0x4f7ffffe, v1
	s_delay_alu instid0(VALU_DEP_1) | instskip(NEXT) | instid1(VALU_DEP_1)
	v_cvt_u32_f32_e32 v1, v1
	v_mul_lo_u32 v5, s36, v1
	s_delay_alu instid0(VALU_DEP_1) | instskip(NEXT) | instid1(VALU_DEP_1)
	v_mul_hi_u32 v5, v1, v5
	v_add_nc_u32_e32 v1, v1, v5
	s_delay_alu instid0(VALU_DEP_1) | instskip(NEXT) | instid1(VALU_DEP_1)
	v_mul_hi_u32 v1, v6, v1
	v_mul_lo_u32 v5, v1, s44
	s_delay_alu instid0(VALU_DEP_1) | instskip(NEXT) | instid1(VALU_DEP_1)
	v_sub_nc_u32_e32 v5, v6, v5
	v_subrev_nc_u32_e32 v11, s44, v5
	v_cmp_le_u32_e32 vcc_lo, s44, v5
	s_delay_alu instid0(VALU_DEP_2) | instskip(NEXT) | instid1(VALU_DEP_1)
	v_dual_cndmask_b32 v5, v5, v11 :: v_dual_add_nc_u32 v10, 1, v1
	v_dual_cndmask_b32 v1, v1, v10, vcc_lo :: v_dual_mov_b32 v11, v4
	s_delay_alu instid0(VALU_DEP_2) | instskip(NEXT) | instid1(VALU_DEP_2)
	v_cmp_le_u32_e32 vcc_lo, s44, v5
	v_add_nc_u32_e32 v10, 1, v1
	s_delay_alu instid0(VALU_DEP_1)
	v_cndmask_b32_e32 v10, v1, v10, vcc_lo
	s_branch .LBB122_145
.LBB122_150:
	s_mov_b32 s36, s54
	s_mov_b32 s0, exec_lo
	s_wait_loadcnt 0x0
	v_cmpx_gt_i64_e64 v[8:9], v[16:17]
	s_cbranch_execz .LBB122_177
; %bb.151:
	s_delay_alu instid0(VALU_DEP_2) | instskip(SKIP_2) | instid1(VALU_DEP_1)
	v_lshlrev_b64_e32 v[2:3], 3, v[2:3]
	s_mov_b32 s36, 0
	s_xor_b32 s38, s51, -1
                                        ; implicit-def: $sgpr37
                                        ; implicit-def: $sgpr40
                                        ; implicit-def: $sgpr39
	v_lshl_add_u64 v[4:5], v[16:17], 3, v[2:3]
	v_add_nc_u64_e32 v[6:7], s[16:17], v[2:3]
	s_delay_alu instid0(VALU_DEP_2) | instskip(NEXT) | instid1(VALU_DEP_1)
	v_add_nc_u64_e32 v[4:5], s[16:17], v[4:5]
	v_add_nc_u64_e32 v[2:3], 8, v[4:5]
	s_delay_alu instid0(VALU_DEP_3)
	v_lshl_add_u64 v[4:5], v[8:9], 3, v[6:7]
	s_branch .LBB122_153
.LBB122_152:                            ;   in Loop: Header=BB122_153 Depth=1
	s_or_b32 exec_lo, exec_lo, s41
	s_xor_b32 s41, s39, -1
	s_and_b32 s42, exec_lo, s40
	s_delay_alu instid0(SALU_CYCLE_1) | instskip(SKIP_2) | instid1(SALU_CYCLE_1)
	s_or_b32 s36, s42, s36
	s_and_not1_b32 s37, s37, exec_lo
	s_and_b32 s41, s41, exec_lo
	s_or_b32 s37, s37, s41
	s_and_not1_b32 exec_lo, exec_lo, s36
	s_cbranch_execz .LBB122_176
.LBB122_153:                            ; =>This Inner Loop Header: Depth=1
	s_or_b32 s39, s39, exec_lo
	s_or_b32 s40, s40, exec_lo
	s_mov_b32 s41, exec_lo
	s_delay_alu instid0(VALU_DEP_2)
	v_cmpx_lt_u64_e64 v[2:3], v[4:5]
	s_cbranch_execz .LBB122_152
; %bb.154:                              ;   in Loop: Header=BB122_153 Depth=1
	global_load_b128 v[6:9], v[2:3], off offset:-8
	s_wait_xcnt 0x0
	v_add_nc_u64_e32 v[2:3], 8, v[2:3]
	s_and_not1_b32 s40, s40, exec_lo
	s_and_not1_b32 s39, s39, exec_lo
	s_wait_loadcnt 0x0
	v_cmp_ge_i64_e32 vcc_lo, v[6:7], v[8:9]
	s_or_b32 s42, s38, vcc_lo
	s_delay_alu instid0(SALU_CYCLE_1) | instskip(NEXT) | instid1(SALU_CYCLE_1)
	s_and_b32 s42, s42, exec_lo
	s_or_b32 s40, s40, s42
	s_branch .LBB122_152
.LBB122_155:
	s_or_b32 exec_lo, exec_lo, s21
	s_delay_alu instid0(SALU_CYCLE_1)
	s_mov_b32 s21, exec_lo
	s_or_not1_b32 s23, s22, exec_lo
.LBB122_156:
	s_or_b32 exec_lo, exec_lo, s1
	s_delay_alu instid0(SALU_CYCLE_1)
	s_and_b32 s22, s21, exec_lo
	s_xor_b32 s21, exec_lo, -1
	s_and_b32 s1, s23, exec_lo
.LBB122_157:
	s_or_b32 exec_lo, exec_lo, s45
	s_delay_alu instid0(SALU_CYCLE_1)
	s_and_b32 s23, s22, exec_lo
	s_and_b32 s22, s21, exec_lo
	s_xor_b32 s21, exec_lo, -1
	s_and_b32 s1, s1, exec_lo
.LBB122_158:
	s_or_b32 exec_lo, exec_lo, s44
	s_delay_alu instid0(SALU_CYCLE_1)
	s_and_b32 s24, s23, exec_lo
	s_and_b32 s23, s22, exec_lo
	;; [unrolled: 1-line block ×3, first 2 shown]
	s_xor_b32 s21, exec_lo, -1
	s_and_b32 s1, s1, exec_lo
.LBB122_159:
	s_or_b32 exec_lo, exec_lo, s42
	s_delay_alu instid0(SALU_CYCLE_1)
	s_and_b32 s42, s24, exec_lo
	s_and_b32 s44, s23, exec_lo
	;; [unrolled: 1-line block ×4, first 2 shown]
	s_or_not1_b32 s1, s1, exec_lo
	s_or_b32 exec_lo, exec_lo, s33
	s_mov_b32 s33, 0
	s_and_saveexec_b32 s47, s1
	s_cbranch_execz .LBB122_88
.LBB122_160:
	s_mov_b32 s1, -1
	s_mov_b32 s52, 0
	s_mov_b32 s48, s46
	;; [unrolled: 1-line block ×4, first 2 shown]
	s_mov_b32 s51, exec_lo
	v_cmpx_gt_i32_e64 s11, v1
	s_cbranch_execz .LBB122_184
; %bb.161:
	s_wait_loadcnt 0x4
	v_cmp_eq_u64_e32 vcc_lo, s[4:5], v[28:29]
	s_mov_b32 s21, -1
	s_mov_b32 s1, 0
	s_mov_b32 s23, s45
	;; [unrolled: 1-line block ×4, first 2 shown]
	s_and_b32 s25, s43, vcc_lo
	s_delay_alu instid0(SALU_CYCLE_1)
	s_and_saveexec_b32 s33, s25
	s_cbranch_execz .LBB122_183
; %bb.162:
	s_wait_loadcnt 0x3
	v_cmp_eq_u64_e32 vcc_lo, s[8:9], v[30:31]
	s_mov_b32 s23, s44
	s_and_b32 s24, s41, vcc_lo
	s_delay_alu instid0(SALU_CYCLE_1)
	s_and_saveexec_b32 s48, s24
	s_cbranch_execz .LBB122_182
; %bb.163:
	s_wait_loadcnt 0x1
	v_sub_nc_u64_e32 v[28:29], v[22:23], v[24:25]
	s_delay_alu instid0(VALU_DEP_1)
	v_cmp_le_i64_e32 vcc_lo, s[4:5], v[28:29]
	v_cmp_ge_i64_e64 s1, s[6:7], v[28:29]
	s_and_b32 s22, vcc_lo, s1
	s_mov_b32 s1, 0
	s_and_b32 s23, s40, s22
	s_mov_b32 s22, 0
	s_and_saveexec_b32 s49, s23
	s_cbranch_execz .LBB122_181
; %bb.164:
	v_cmp_lt_i64_e64 s1, s[8:9], 1
	v_mov_b64_e32 v[28:29], 0
	s_xor_b32 s21, s39, -1
	s_delay_alu instid0(SALU_CYCLE_1) | instskip(NEXT) | instid1(SALU_CYCLE_1)
	s_or_b32 s1, s1, s21
	s_and_b32 vcc_lo, exec_lo, s1
	s_cbranch_vccnz .LBB122_171
; %bb.165:
	s_wait_loadcnt 0x0
	v_mul_u64_e32 v[30:31], s[8:9], v[26:27]
	s_mov_b32 s23, 0
	v_mov_b64_e32 v[28:29], 0
	s_mov_b32 s21, s23
	v_mov_b32_e32 v26, 0
	s_lshl_b64 s[28:29], s[20:21], 3
	s_mov_b64 s[24:25], 0xffffffff
	s_add_nc_u64 s[26:27], s[12:13], s[28:29]
	s_add_nc_u64 s[28:29], s[14:15], s[28:29]
	s_mov_b32 s21, s10
	s_branch .LBB122_167
.LBB122_166:                            ;   in Loop: Header=BB122_167 Depth=1
	s_or_b32 exec_lo, exec_lo, s1
	s_delay_alu instid0(VALU_DEP_1)
	v_mul_u64_e32 v[34:35], s[30:31], v[32:33]
	s_load_b64 s[30:31], s[28:29], 0x0
	s_add_co_i32 s21, s21, -1
	s_add_nc_u64 s[26:27], s[26:27], -8
	s_cmp_lg_u32 s21, 0
	s_wait_xcnt 0x0
	s_add_nc_u64 s[28:29], s[28:29], -8
	s_delay_alu instid0(VALU_DEP_1) | instskip(SKIP_1) | instid1(VALU_DEP_1)
	v_sub_nc_u64_e32 v[30:31], v[30:31], v[34:35]
	s_wait_kmcnt 0x0
	v_mad_nc_u64_u32 v[28:29], v30, s30, v[28:29]
	s_delay_alu instid0(VALU_DEP_1) | instskip(NEXT) | instid1(VALU_DEP_1)
	v_mad_u32 v27, v31, s30, v29
	v_mad_u32 v29, v30, s31, v27
	v_mov_b64_e32 v[30:31], v[32:33]
	s_cbranch_scc0 .LBB122_171
.LBB122_167:                            ; =>This Inner Loop Header: Depth=1
	s_load_b64 s[30:31], s[26:27], 0x0
                                        ; implicit-def: $vgpr32_vgpr33
	s_mov_b32 s1, exec_lo
	s_wait_kmcnt 0x0
	s_delay_alu instid0(VALU_DEP_1) | instskip(NEXT) | instid1(VALU_DEP_1)
	v_or_b32_e32 v27, s31, v31
	v_cmpx_ne_u64_e32 0, v[26:27]
	s_xor_b32 s50, exec_lo, s1
	s_cbranch_execz .LBB122_169
; %bb.168:                              ;   in Loop: Header=BB122_167 Depth=1
	s_ashr_i32 s34, s31, 31
	v_dual_mov_b32 v37, v26 :: v_dual_ashrrev_i32 v32, 31, v31
	s_mov_b32 s35, s34
	s_delay_alu instid0(SALU_CYCLE_1) | instskip(NEXT) | instid1(VALU_DEP_1)
	s_add_nc_u64 s[36:37], s[30:31], s[34:35]
	v_mov_b32_e32 v33, v32
	s_xor_b64 s[36:37], s[36:37], s[34:35]
	s_delay_alu instid0(SALU_CYCLE_1)
	s_cvt_f32_u32 s1, s36
	s_cvt_f32_u32 s22, s37
	s_sub_nc_u64 s[56:57], 0, s[36:37]
	v_add_nc_u64_e32 v[34:35], v[30:31], v[32:33]
	v_mov_b32_e32 v41, v26
	s_fmamk_f32 s1, s22, 0x4f800000, s1
	s_delay_alu instid0(SALU_CYCLE_3) | instskip(NEXT) | instid1(VALU_DEP_2)
	v_s_rcp_f32 s1, s1
	v_xor_b32_e32 v36, v34, v32
	s_delay_alu instid0(VALU_DEP_3) | instskip(SKIP_1) | instid1(TRANS32_DEP_1)
	v_dual_mov_b32 v45, v26 :: v_dual_bitop2_b32 v40, v35, v32 bitop3:0x14
	v_xor_b32_e32 v32, s34, v32
	s_mul_f32 s1, s1, 0x5f7ffffc
	s_delay_alu instid0(SALU_CYCLE_3) | instskip(NEXT) | instid1(SALU_CYCLE_3)
	s_mul_f32 s22, s1, 0x2f800000
	s_trunc_f32 s22, s22
	s_delay_alu instid0(SALU_CYCLE_3) | instskip(SKIP_1) | instid1(SALU_CYCLE_2)
	s_fmamk_f32 s1, s22, 0xcf800000, s1
	s_cvt_u32_f32 s55, s22
	s_cvt_u32_f32 s54, s1
	s_delay_alu instid0(SALU_CYCLE_3) | instskip(NEXT) | instid1(SALU_CYCLE_1)
	s_mul_u64 s[58:59], s[56:57], s[54:55]
	s_mul_hi_u32 s61, s54, s59
	s_mul_i32 s60, s54, s59
	s_mul_hi_u32 s22, s54, s58
	s_mul_i32 s35, s55, s58
	s_add_nc_u64 s[60:61], s[22:23], s[60:61]
	s_mul_hi_u32 s1, s55, s58
	s_mul_hi_u32 s53, s55, s59
	s_add_co_u32 s22, s60, s35
	s_add_co_ci_u32 s22, s61, s1
	s_mul_i32 s58, s55, s59
	s_add_co_ci_u32 s59, s53, 0
	s_delay_alu instid0(SALU_CYCLE_1) | instskip(NEXT) | instid1(SALU_CYCLE_1)
	s_add_nc_u64 s[58:59], s[22:23], s[58:59]
	s_add_co_u32 s54, s54, s58
	s_cselect_b32 s1, -1, 0
	s_delay_alu instid0(SALU_CYCLE_1) | instskip(SKIP_1) | instid1(SALU_CYCLE_1)
	s_cmp_lg_u32 s1, 0
	s_add_co_ci_u32 s55, s55, s59
	s_mul_u64 s[56:57], s[56:57], s[54:55]
	s_delay_alu instid0(SALU_CYCLE_1)
	s_mul_hi_u32 s59, s54, s57
	s_mul_i32 s58, s54, s57
	s_mul_hi_u32 s22, s54, s56
	s_mul_i32 s35, s55, s56
	s_add_nc_u64 s[58:59], s[22:23], s[58:59]
	s_mul_hi_u32 s1, s55, s56
	s_mul_hi_u32 s53, s55, s57
	s_add_co_u32 s22, s58, s35
	s_add_co_ci_u32 s22, s59, s1
	s_mul_i32 s56, s55, s57
	s_add_co_ci_u32 s57, s53, 0
	s_delay_alu instid0(SALU_CYCLE_1) | instskip(NEXT) | instid1(SALU_CYCLE_1)
	s_add_nc_u64 s[56:57], s[22:23], s[56:57]
	s_add_co_u32 s54, s54, s56
	s_cselect_b32 s1, -1, 0
	v_mul_hi_u32 v44, v36, s54
	s_cmp_lg_u32 s1, 0
	s_add_co_ci_u32 s22, s55, s57
	s_and_b64 s[56:57], s[54:55], s[24:25]
	v_mul_u64_e32 v[38:39], s[22:23], v[36:37]
	v_mul_u64_e32 v[34:35], s[56:57], v[40:41]
	;; [unrolled: 1-line block ×3, first 2 shown]
	s_delay_alu instid0(VALU_DEP_3) | instskip(NEXT) | instid1(VALU_DEP_1)
	v_add_nc_u64_e32 v[38:39], v[44:45], v[38:39]
	v_add_co_u32 v27, vcc_lo, v38, v34
	s_delay_alu instid0(VALU_DEP_2) | instskip(NEXT) | instid1(VALU_DEP_4)
	v_add_co_ci_u32_e32 v44, vcc_lo, v39, v35, vcc_lo
	v_add_co_ci_u32_e32 v43, vcc_lo, 0, v43, vcc_lo
	s_delay_alu instid0(VALU_DEP_1) | instskip(NEXT) | instid1(VALU_DEP_1)
	v_add_nc_u64_e32 v[34:35], v[44:45], v[42:43]
	v_mul_u64_e32 v[38:39], s[36:37], v[34:35]
	s_delay_alu instid0(VALU_DEP_1) | instskip(NEXT) | instid1(VALU_DEP_2)
	v_sub_nc_u32_e32 v27, v40, v39
	v_sub_co_u32 v33, vcc_lo, v36, v38
	s_delay_alu instid0(VALU_DEP_1) | instskip(NEXT) | instid1(VALU_DEP_3)
	v_sub_co_ci_u32_e64 v40, null, v40, v39, vcc_lo
	v_subrev_co_ci_u32_e64 v27, null, s37, v27, vcc_lo
	s_delay_alu instid0(VALU_DEP_3) | instskip(SKIP_1) | instid1(VALU_DEP_3)
	v_sub_co_u32 v36, s1, v33, s36
	v_add_nc_u64_e32 v[38:39], 1, v[34:35]
	v_subrev_co_ci_u32_e64 v27, null, 0, v27, s1
	s_delay_alu instid0(VALU_DEP_3) | instskip(SKIP_1) | instid1(VALU_DEP_3)
	v_cmp_le_u32_e32 vcc_lo, s36, v36
	v_cndmask_b32_e64 v36, 0, -1, vcc_lo
	v_cmp_le_u32_e32 vcc_lo, s37, v27
	v_cndmask_b32_e64 v37, 0, -1, vcc_lo
	;; [unrolled: 2-line block ×4, first 2 shown]
	v_cmp_eq_u32_e32 vcc_lo, s37, v27
	v_cndmask_b32_e32 v27, v37, v36, vcc_lo
	v_cmp_eq_u32_e32 vcc_lo, s37, v40
	v_add_nc_u64_e32 v[36:37], 2, v[34:35]
	v_cndmask_b32_e32 v33, v41, v33, vcc_lo
	s_delay_alu instid0(VALU_DEP_4) | instskip(NEXT) | instid1(VALU_DEP_2)
	v_cmp_ne_u32_e32 vcc_lo, 0, v27
	v_cmp_ne_u32_e64 s1, 0, v33
	s_delay_alu instid0(VALU_DEP_4) | instskip(NEXT) | instid1(VALU_DEP_1)
	v_dual_cndmask_b32 v27, v39, v37, vcc_lo :: v_dual_cndmask_b32 v33, v38, v36, vcc_lo
	v_dual_cndmask_b32 v34, v34, v33, s1 :: v_dual_mov_b32 v33, v32
	s_delay_alu instid0(VALU_DEP_1) | instskip(NEXT) | instid1(VALU_DEP_1)
	v_dual_cndmask_b32 v27, v35, v27, s1 :: v_dual_bitop2_b32 v34, v34, v32 bitop3:0x14
	v_xor_b32_e32 v35, v27, v32
	s_delay_alu instid0(VALU_DEP_1)
	v_sub_nc_u64_e32 v[32:33], v[34:35], v[32:33]
.LBB122_169:                            ;   in Loop: Header=BB122_167 Depth=1
	s_and_not1_saveexec_b32 s1, s50
	s_cbranch_execz .LBB122_166
; %bb.170:                              ;   in Loop: Header=BB122_167 Depth=1
	v_cvt_f32_u32_e32 v27, s30
	s_sub_co_i32 s22, 0, s30
	s_delay_alu instid0(VALU_DEP_1) | instskip(SKIP_1) | instid1(TRANS32_DEP_1)
	v_rcp_iflag_f32_e32 v27, v27
	v_nop
	v_mul_f32_e32 v27, 0x4f7ffffe, v27
	s_delay_alu instid0(VALU_DEP_1) | instskip(NEXT) | instid1(VALU_DEP_1)
	v_cvt_u32_f32_e32 v27, v27
	v_mul_lo_u32 v32, s22, v27
	s_delay_alu instid0(VALU_DEP_1) | instskip(NEXT) | instid1(VALU_DEP_1)
	v_mul_hi_u32 v32, v27, v32
	v_add_nc_u32_e32 v27, v27, v32
	s_delay_alu instid0(VALU_DEP_1) | instskip(NEXT) | instid1(VALU_DEP_1)
	v_mul_hi_u32 v27, v30, v27
	v_mul_lo_u32 v32, v27, s30
	s_delay_alu instid0(VALU_DEP_1) | instskip(NEXT) | instid1(VALU_DEP_1)
	v_dual_add_nc_u32 v33, 1, v27 :: v_dual_sub_nc_u32 v32, v30, v32
	v_subrev_nc_u32_e32 v34, s30, v32
	v_cmp_le_u32_e32 vcc_lo, s30, v32
	s_delay_alu instid0(VALU_DEP_2) | instskip(NEXT) | instid1(VALU_DEP_1)
	v_dual_cndmask_b32 v32, v32, v34 :: v_dual_cndmask_b32 v27, v27, v33
	v_cmp_le_u32_e32 vcc_lo, s30, v32
	s_delay_alu instid0(VALU_DEP_2) | instskip(NEXT) | instid1(VALU_DEP_1)
	v_add_nc_u32_e32 v33, 1, v27
	v_dual_cndmask_b32 v32, v27, v33 :: v_dual_mov_b32 v33, v26
	s_branch .LBB122_166
.LBB122_171:
	s_mov_b32 s23, -1
	s_mov_b32 s21, 0
	s_mov_b32 s1, exec_lo
	v_cmpx_gt_i64_e64 v[22:23], v[24:25]
	s_cbranch_execz .LBB122_180
; %bb.172:
	s_wait_loadcnt 0x0
	s_delay_alu instid0(VALU_DEP_2) | instskip(SKIP_1) | instid1(VALU_DEP_1)
	v_lshlrev_b64_e32 v[26:27], 3, v[28:29]
	s_xor_b32 s23, s38, -1
                                        ; implicit-def: $sgpr22
                                        ; implicit-def: $sgpr25
                                        ; implicit-def: $sgpr24
	v_lshl_add_u64 v[24:25], v[24:25], 3, v[26:27]
	v_add_nc_u64_e32 v[26:27], s[16:17], v[26:27]
	s_delay_alu instid0(VALU_DEP_2) | instskip(NEXT) | instid1(VALU_DEP_2)
	v_add_nc_u64_e32 v[24:25], s[16:17], v[24:25]
	v_lshl_add_u64 v[22:23], v[22:23], 3, v[26:27]
	s_delay_alu instid0(VALU_DEP_2)
	v_add_nc_u64_e32 v[24:25], 8, v[24:25]
	s_branch .LBB122_174
.LBB122_173:                            ;   in Loop: Header=BB122_174 Depth=1
	s_or_b32 exec_lo, exec_lo, s26
	s_delay_alu instid0(SALU_CYCLE_1) | instskip(NEXT) | instid1(SALU_CYCLE_1)
	s_and_b32 s26, exec_lo, s25
	s_or_b32 s21, s26, s21
	s_and_not1_b32 s22, s22, exec_lo
	s_and_b32 s26, s24, exec_lo
	s_delay_alu instid0(SALU_CYCLE_1)
	s_or_b32 s22, s22, s26
	s_and_not1_b32 exec_lo, exec_lo, s21
	s_cbranch_execz .LBB122_179
.LBB122_174:                            ; =>This Inner Loop Header: Depth=1
	s_or_b32 s24, s24, exec_lo
	s_or_b32 s25, s25, exec_lo
	s_mov_b32 s26, exec_lo
	s_delay_alu instid0(VALU_DEP_1)
	v_cmpx_lt_u64_e64 v[24:25], v[22:23]
	s_cbranch_execz .LBB122_173
; %bb.175:                              ;   in Loop: Header=BB122_174 Depth=1
	global_load_b128 v[26:29], v[24:25], off offset:-8
	s_wait_xcnt 0x0
	v_add_nc_u64_e32 v[24:25], 8, v[24:25]
	s_and_not1_b32 s25, s25, exec_lo
	s_and_not1_b32 s24, s24, exec_lo
	s_wait_loadcnt 0x0
	v_cmp_ge_i64_e32 vcc_lo, v[26:27], v[28:29]
	s_or_b32 s27, s23, vcc_lo
	s_delay_alu instid0(SALU_CYCLE_1) | instskip(NEXT) | instid1(SALU_CYCLE_1)
	s_and_b32 s27, s27, exec_lo
	s_or_b32 s25, s25, s27
	s_branch .LBB122_173
.LBB122_176:
	s_or_b32 exec_lo, exec_lo, s36
	s_delay_alu instid0(SALU_CYCLE_1) | instskip(SKIP_1) | instid1(SALU_CYCLE_1)
	s_and_not1_b32 s36, s54, exec_lo
	s_and_b32 s37, s37, exec_lo
	s_or_b32 s36, s36, s37
.LBB122_177:
	s_or_b32 exec_lo, exec_lo, s0
	s_delay_alu instid0(SALU_CYCLE_1)
	s_and_not1_b32 s37, s54, exec_lo
	s_and_b32 s36, s36, exec_lo
	s_mov_b32 s0, exec_lo
	s_or_b32 s54, s37, s36
	s_or_b32 exec_lo, exec_lo, s53
	s_and_saveexec_b32 s36, s54
	s_cbranch_execz .LBB122_71
.LBB122_178:
	s_or_b32 s3, s3, exec_lo
	s_and_not1_b32 s0, s0, exec_lo
	s_trap 2
	s_or_b32 exec_lo, exec_lo, s36
	s_and_saveexec_b32 s36, s0
	s_delay_alu instid0(SALU_CYCLE_1)
	s_xor_b32 s0, exec_lo, s36
	s_cbranch_execnz .LBB122_72
	s_branch .LBB122_73
.LBB122_179:
	s_or_b32 exec_lo, exec_lo, s21
	s_delay_alu instid0(SALU_CYCLE_1)
	s_mov_b32 s21, exec_lo
	s_or_not1_b32 s23, s22, exec_lo
.LBB122_180:
	s_or_b32 exec_lo, exec_lo, s1
	s_delay_alu instid0(SALU_CYCLE_1)
	s_and_b32 s22, s21, exec_lo
	s_xor_b32 s21, exec_lo, -1
	s_and_b32 s1, s23, exec_lo
.LBB122_181:
	s_or_b32 exec_lo, exec_lo, s49
	s_delay_alu instid0(SALU_CYCLE_1)
	s_and_not1_b32 s23, s44, exec_lo
	s_and_b32 s21, s21, exec_lo
	s_and_b32 s22, s22, exec_lo
	s_or_b32 s23, s23, s21
	s_xor_b32 s21, exec_lo, -1
	s_and_b32 s1, s1, exec_lo
.LBB122_182:
	s_or_b32 exec_lo, exec_lo, s48
	s_delay_alu instid0(SALU_CYCLE_1)
	s_and_not1_b32 s24, s44, exec_lo
	s_and_b32 s23, s23, exec_lo
	s_and_not1_b32 s25, s45, exec_lo
	s_and_b32 s21, s21, exec_lo
	s_and_b32 s22, s22, exec_lo
	s_or_b32 s24, s24, s23
	s_or_b32 s23, s25, s21
	s_xor_b32 s21, exec_lo, -1
	s_and_b32 s1, s1, exec_lo
.LBB122_183:
	s_or_b32 exec_lo, exec_lo, s33
	s_delay_alu instid0(SALU_CYCLE_1)
	s_and_not1_b32 s25, s44, exec_lo
	s_and_b32 s24, s24, exec_lo
	s_and_b32 s33, s22, exec_lo
	s_or_b32 s49, s25, s24
	s_and_not1_b32 s22, s45, exec_lo
	s_and_b32 s23, s23, exec_lo
	s_and_not1_b32 s24, s46, exec_lo
	s_and_b32 s21, s21, exec_lo
	s_or_b32 s50, s22, s23
	s_or_b32 s48, s24, s21
	s_or_not1_b32 s1, s1, exec_lo
.LBB122_184:
	s_or_b32 exec_lo, exec_lo, s51
	s_mov_b32 s23, 0
	s_and_saveexec_b32 s51, s1
	s_cbranch_execz .LBB122_211
; %bb.185:
	s_wait_loadcnt 0x1
	v_or_b32_e32 v22, 0x200, v0
	s_mov_b32 s25, -1
	s_mov_b32 s52, 0
	s_mov_b32 s1, s48
	;; [unrolled: 1-line block ×4, first 2 shown]
	s_mov_b32 s53, exec_lo
	v_cmpx_gt_i32_e64 s11, v22
	s_cbranch_execz .LBB122_206
; %bb.186:
	v_cmp_eq_u64_e32 vcc_lo, s[4:5], v[20:21]
	s_mov_b32 s1, -1
	s_mov_b32 s24, 0
	s_mov_b32 s25, s50
	;; [unrolled: 1-line block ×4, first 2 shown]
	s_and_b32 s22, s43, vcc_lo
	s_delay_alu instid0(SALU_CYCLE_1)
	s_and_saveexec_b32 s54, s22
	s_cbranch_execz .LBB122_205
; %bb.187:
	v_cmp_eq_u64_e32 vcc_lo, s[8:9], v[18:19]
	s_mov_b32 s22, 0
	s_mov_b32 s23, s49
	s_and_b32 s21, s41, vcc_lo
	s_delay_alu instid0(SALU_CYCLE_1)
	s_and_saveexec_b32 s55, s21
	s_cbranch_execz .LBB122_204
; %bb.188:
	v_sub_nc_u64_e32 v[18:19], v[12:13], v[14:15]
	s_mov_b32 s22, -1
	s_mov_b32 s21, 0
	s_delay_alu instid0(VALU_DEP_1) | instskip(SKIP_2) | instid1(SALU_CYCLE_1)
	v_cmp_le_i64_e32 vcc_lo, s[4:5], v[18:19]
	v_cmp_ge_i64_e64 s1, s[6:7], v[18:19]
	s_and_b32 s1, vcc_lo, s1
	s_and_b32 s23, s40, s1
	s_mov_b32 s1, 0
	s_and_saveexec_b32 s56, s23
	s_cbranch_execz .LBB122_203
; %bb.189:
	v_cmp_lt_i64_e64 s1, s[8:9], 1
	v_mov_b64_e32 v[18:19], 0
	s_xor_b32 s21, s39, -1
	s_delay_alu instid0(SALU_CYCLE_1) | instskip(NEXT) | instid1(SALU_CYCLE_1)
	s_or_b32 s1, s1, s21
	s_and_b32 vcc_lo, exec_lo, s1
	s_cbranch_vccnz .LBB122_196
; %bb.190:
	s_wait_loadcnt 0x0
	v_mul_u64_e32 v[20:21], s[8:9], v[16:17]
	s_mov_b32 s23, 0
	v_mov_b64_e32 v[18:19], 0
	s_mov_b32 s21, s23
	v_mov_b32_e32 v16, 0
	s_lshl_b64 s[28:29], s[20:21], 3
	s_mov_b64 s[24:25], 0xffffffff
	s_add_nc_u64 s[26:27], s[12:13], s[28:29]
	s_add_nc_u64 s[28:29], s[14:15], s[28:29]
	s_mov_b32 s21, s10
	s_branch .LBB122_192
.LBB122_191:                            ;   in Loop: Header=BB122_192 Depth=1
	s_or_b32 exec_lo, exec_lo, s1
	s_delay_alu instid0(VALU_DEP_1)
	v_mul_u64_e32 v[24:25], s[30:31], v[22:23]
	s_load_b64 s[30:31], s[28:29], 0x0
	s_add_co_i32 s21, s21, -1
	s_add_nc_u64 s[26:27], s[26:27], -8
	s_cmp_lg_u32 s21, 0
	s_wait_xcnt 0x0
	s_add_nc_u64 s[28:29], s[28:29], -8
	s_delay_alu instid0(VALU_DEP_1) | instskip(SKIP_1) | instid1(VALU_DEP_1)
	v_sub_nc_u64_e32 v[20:21], v[20:21], v[24:25]
	s_wait_kmcnt 0x0
	v_mad_nc_u64_u32 v[18:19], v20, s30, v[18:19]
	s_delay_alu instid0(VALU_DEP_1) | instskip(NEXT) | instid1(VALU_DEP_1)
	v_mad_u32 v17, v21, s30, v19
	v_mad_u32 v19, v20, s31, v17
	v_mov_b64_e32 v[20:21], v[22:23]
	s_cbranch_scc0 .LBB122_196
.LBB122_192:                            ; =>This Inner Loop Header: Depth=1
	s_load_b64 s[30:31], s[26:27], 0x0
                                        ; implicit-def: $vgpr22_vgpr23
	s_mov_b32 s1, exec_lo
	s_wait_kmcnt 0x0
	s_delay_alu instid0(VALU_DEP_1) | instskip(NEXT) | instid1(VALU_DEP_1)
	v_or_b32_e32 v17, s31, v21
	v_cmpx_ne_u64_e32 0, v[16:17]
	s_xor_b32 s57, exec_lo, s1
	s_cbranch_execz .LBB122_194
; %bb.193:                              ;   in Loop: Header=BB122_192 Depth=1
	s_ashr_i32 s34, s31, 31
	v_dual_mov_b32 v27, v16 :: v_dual_ashrrev_i32 v22, 31, v21
	s_mov_b32 s35, s34
	s_delay_alu instid0(SALU_CYCLE_1) | instskip(NEXT) | instid1(VALU_DEP_1)
	s_add_nc_u64 s[36:37], s[30:31], s[34:35]
	v_mov_b32_e32 v23, v22
	s_xor_b64 s[36:37], s[36:37], s[34:35]
	s_delay_alu instid0(SALU_CYCLE_1)
	s_cvt_f32_u32 s1, s36
	s_cvt_f32_u32 s22, s37
	s_sub_nc_u64 s[60:61], 0, s[36:37]
	v_add_nc_u64_e32 v[24:25], v[20:21], v[22:23]
	v_mov_b32_e32 v31, v16
	s_fmamk_f32 s1, s22, 0x4f800000, s1
	s_delay_alu instid0(SALU_CYCLE_3) | instskip(NEXT) | instid1(VALU_DEP_2)
	v_s_rcp_f32 s1, s1
	v_xor_b32_e32 v26, v24, v22
	s_delay_alu instid0(VALU_DEP_3) | instskip(SKIP_1) | instid1(TRANS32_DEP_1)
	v_dual_mov_b32 v35, v16 :: v_dual_bitop2_b32 v30, v25, v22 bitop3:0x14
	v_xor_b32_e32 v22, s34, v22
	s_mul_f32 s1, s1, 0x5f7ffffc
	s_delay_alu instid0(SALU_CYCLE_3) | instskip(NEXT) | instid1(SALU_CYCLE_3)
	s_mul_f32 s22, s1, 0x2f800000
	s_trunc_f32 s22, s22
	s_delay_alu instid0(SALU_CYCLE_3) | instskip(SKIP_1) | instid1(SALU_CYCLE_2)
	s_fmamk_f32 s1, s22, 0xcf800000, s1
	s_cvt_u32_f32 s59, s22
	s_cvt_u32_f32 s58, s1
	s_delay_alu instid0(SALU_CYCLE_3) | instskip(NEXT) | instid1(SALU_CYCLE_1)
	s_mul_u64 s[62:63], s[60:61], s[58:59]
	s_mul_hi_u32 s65, s58, s63
	s_mul_i32 s64, s58, s63
	s_mul_hi_u32 s22, s58, s62
	s_mul_i32 s35, s59, s62
	s_add_nc_u64 s[64:65], s[22:23], s[64:65]
	s_mul_hi_u32 s1, s59, s62
	s_mul_hi_u32 s66, s59, s63
	s_add_co_u32 s22, s64, s35
	s_add_co_ci_u32 s22, s65, s1
	s_mul_i32 s62, s59, s63
	s_add_co_ci_u32 s63, s66, 0
	s_delay_alu instid0(SALU_CYCLE_1) | instskip(NEXT) | instid1(SALU_CYCLE_1)
	s_add_nc_u64 s[62:63], s[22:23], s[62:63]
	s_add_co_u32 s58, s58, s62
	s_cselect_b32 s1, -1, 0
	s_delay_alu instid0(SALU_CYCLE_1) | instskip(SKIP_1) | instid1(SALU_CYCLE_1)
	s_cmp_lg_u32 s1, 0
	s_add_co_ci_u32 s59, s59, s63
	s_mul_u64 s[60:61], s[60:61], s[58:59]
	s_delay_alu instid0(SALU_CYCLE_1)
	s_mul_hi_u32 s63, s58, s61
	s_mul_i32 s62, s58, s61
	s_mul_hi_u32 s22, s58, s60
	s_mul_i32 s35, s59, s60
	s_add_nc_u64 s[62:63], s[22:23], s[62:63]
	s_mul_hi_u32 s1, s59, s60
	s_mul_hi_u32 s64, s59, s61
	s_add_co_u32 s22, s62, s35
	s_add_co_ci_u32 s22, s63, s1
	s_mul_i32 s60, s59, s61
	s_add_co_ci_u32 s61, s64, 0
	s_delay_alu instid0(SALU_CYCLE_1) | instskip(NEXT) | instid1(SALU_CYCLE_1)
	s_add_nc_u64 s[60:61], s[22:23], s[60:61]
	s_add_co_u32 s58, s58, s60
	s_cselect_b32 s1, -1, 0
	v_mul_hi_u32 v34, v26, s58
	s_cmp_lg_u32 s1, 0
	s_add_co_ci_u32 s22, s59, s61
	s_and_b64 s[60:61], s[58:59], s[24:25]
	v_mul_u64_e32 v[28:29], s[22:23], v[26:27]
	v_mul_u64_e32 v[24:25], s[60:61], v[30:31]
	;; [unrolled: 1-line block ×3, first 2 shown]
	s_delay_alu instid0(VALU_DEP_3) | instskip(NEXT) | instid1(VALU_DEP_1)
	v_add_nc_u64_e32 v[28:29], v[34:35], v[28:29]
	v_add_co_u32 v17, vcc_lo, v28, v24
	s_delay_alu instid0(VALU_DEP_2) | instskip(NEXT) | instid1(VALU_DEP_4)
	v_add_co_ci_u32_e32 v34, vcc_lo, v29, v25, vcc_lo
	v_add_co_ci_u32_e32 v33, vcc_lo, 0, v33, vcc_lo
	s_delay_alu instid0(VALU_DEP_1) | instskip(NEXT) | instid1(VALU_DEP_1)
	v_add_nc_u64_e32 v[24:25], v[34:35], v[32:33]
	v_mul_u64_e32 v[28:29], s[36:37], v[24:25]
	s_delay_alu instid0(VALU_DEP_1) | instskip(NEXT) | instid1(VALU_DEP_2)
	v_sub_nc_u32_e32 v17, v30, v29
	v_sub_co_u32 v23, vcc_lo, v26, v28
	s_delay_alu instid0(VALU_DEP_1) | instskip(NEXT) | instid1(VALU_DEP_3)
	v_sub_co_ci_u32_e64 v30, null, v30, v29, vcc_lo
	v_subrev_co_ci_u32_e64 v17, null, s37, v17, vcc_lo
	s_delay_alu instid0(VALU_DEP_3) | instskip(SKIP_1) | instid1(VALU_DEP_3)
	v_sub_co_u32 v26, s1, v23, s36
	v_add_nc_u64_e32 v[28:29], 1, v[24:25]
	v_subrev_co_ci_u32_e64 v17, null, 0, v17, s1
	s_delay_alu instid0(VALU_DEP_3) | instskip(SKIP_1) | instid1(VALU_DEP_3)
	v_cmp_le_u32_e32 vcc_lo, s36, v26
	v_cndmask_b32_e64 v26, 0, -1, vcc_lo
	v_cmp_le_u32_e32 vcc_lo, s37, v17
	v_cndmask_b32_e64 v27, 0, -1, vcc_lo
	;; [unrolled: 2-line block ×4, first 2 shown]
	v_cmp_eq_u32_e32 vcc_lo, s37, v17
	v_cndmask_b32_e32 v17, v27, v26, vcc_lo
	v_cmp_eq_u32_e32 vcc_lo, s37, v30
	v_add_nc_u64_e32 v[26:27], 2, v[24:25]
	v_cndmask_b32_e32 v23, v31, v23, vcc_lo
	s_delay_alu instid0(VALU_DEP_4) | instskip(NEXT) | instid1(VALU_DEP_2)
	v_cmp_ne_u32_e32 vcc_lo, 0, v17
	v_cmp_ne_u32_e64 s1, 0, v23
	s_delay_alu instid0(VALU_DEP_4) | instskip(NEXT) | instid1(VALU_DEP_1)
	v_dual_cndmask_b32 v17, v29, v27, vcc_lo :: v_dual_cndmask_b32 v23, v28, v26, vcc_lo
	v_dual_cndmask_b32 v24, v24, v23, s1 :: v_dual_mov_b32 v23, v22
	s_delay_alu instid0(VALU_DEP_1) | instskip(NEXT) | instid1(VALU_DEP_1)
	v_dual_cndmask_b32 v17, v25, v17, s1 :: v_dual_bitop2_b32 v24, v24, v22 bitop3:0x14
	v_xor_b32_e32 v25, v17, v22
	s_delay_alu instid0(VALU_DEP_1)
	v_sub_nc_u64_e32 v[22:23], v[24:25], v[22:23]
.LBB122_194:                            ;   in Loop: Header=BB122_192 Depth=1
	s_and_not1_saveexec_b32 s1, s57
	s_cbranch_execz .LBB122_191
; %bb.195:                              ;   in Loop: Header=BB122_192 Depth=1
	v_cvt_f32_u32_e32 v17, s30
	s_sub_co_i32 s22, 0, s30
	s_delay_alu instid0(VALU_DEP_1) | instskip(SKIP_1) | instid1(TRANS32_DEP_1)
	v_rcp_iflag_f32_e32 v17, v17
	v_nop
	v_mul_f32_e32 v17, 0x4f7ffffe, v17
	s_delay_alu instid0(VALU_DEP_1) | instskip(NEXT) | instid1(VALU_DEP_1)
	v_cvt_u32_f32_e32 v17, v17
	v_mul_lo_u32 v22, s22, v17
	s_delay_alu instid0(VALU_DEP_1) | instskip(NEXT) | instid1(VALU_DEP_1)
	v_mul_hi_u32 v22, v17, v22
	v_add_nc_u32_e32 v17, v17, v22
	s_delay_alu instid0(VALU_DEP_1) | instskip(NEXT) | instid1(VALU_DEP_1)
	v_mul_hi_u32 v17, v20, v17
	v_mul_lo_u32 v22, v17, s30
	s_delay_alu instid0(VALU_DEP_1) | instskip(NEXT) | instid1(VALU_DEP_1)
	v_dual_add_nc_u32 v23, 1, v17 :: v_dual_sub_nc_u32 v22, v20, v22
	v_subrev_nc_u32_e32 v24, s30, v22
	v_cmp_le_u32_e32 vcc_lo, s30, v22
	s_delay_alu instid0(VALU_DEP_2) | instskip(NEXT) | instid1(VALU_DEP_1)
	v_dual_cndmask_b32 v22, v22, v24 :: v_dual_cndmask_b32 v17, v17, v23
	v_cmp_le_u32_e32 vcc_lo, s30, v22
	s_delay_alu instid0(VALU_DEP_2) | instskip(NEXT) | instid1(VALU_DEP_1)
	v_add_nc_u32_e32 v23, 1, v17
	v_dual_cndmask_b32 v22, v17, v23 :: v_dual_mov_b32 v23, v16
	s_branch .LBB122_191
.LBB122_196:
	s_mov_b32 s21, -1
	s_mov_b32 s23, 0
	s_mov_b32 s1, exec_lo
	v_cmpx_gt_i64_e64 v[12:13], v[14:15]
	s_cbranch_execz .LBB122_202
; %bb.197:
	s_wait_loadcnt 0x0
	s_delay_alu instid0(VALU_DEP_2) | instskip(SKIP_2) | instid1(VALU_DEP_1)
	v_lshlrev_b64_e32 v[16:17], 3, v[18:19]
	s_mov_b32 s21, 0
	s_xor_b32 s23, s38, -1
                                        ; implicit-def: $sgpr22
                                        ; implicit-def: $sgpr25
                                        ; implicit-def: $sgpr24
	v_lshl_add_u64 v[14:15], v[14:15], 3, v[16:17]
	v_add_nc_u64_e32 v[16:17], s[16:17], v[16:17]
	s_delay_alu instid0(VALU_DEP_2) | instskip(NEXT) | instid1(VALU_DEP_2)
	v_add_nc_u64_e32 v[14:15], s[16:17], v[14:15]
	v_lshl_add_u64 v[12:13], v[12:13], 3, v[16:17]
	s_delay_alu instid0(VALU_DEP_2)
	v_add_nc_u64_e32 v[14:15], 8, v[14:15]
	s_branch .LBB122_199
.LBB122_198:                            ;   in Loop: Header=BB122_199 Depth=1
	s_or_b32 exec_lo, exec_lo, s26
	s_delay_alu instid0(SALU_CYCLE_1) | instskip(NEXT) | instid1(SALU_CYCLE_1)
	s_and_b32 s26, exec_lo, s25
	s_or_b32 s21, s26, s21
	s_and_not1_b32 s22, s22, exec_lo
	s_and_b32 s26, s24, exec_lo
	s_delay_alu instid0(SALU_CYCLE_1)
	s_or_b32 s22, s22, s26
	s_and_not1_b32 exec_lo, exec_lo, s21
	s_cbranch_execz .LBB122_201
.LBB122_199:                            ; =>This Inner Loop Header: Depth=1
	s_or_b32 s24, s24, exec_lo
	s_or_b32 s25, s25, exec_lo
	s_mov_b32 s26, exec_lo
	s_delay_alu instid0(VALU_DEP_1)
	v_cmpx_lt_u64_e64 v[14:15], v[12:13]
	s_cbranch_execz .LBB122_198
; %bb.200:                              ;   in Loop: Header=BB122_199 Depth=1
	global_load_b128 v[16:19], v[14:15], off offset:-8
	s_wait_xcnt 0x0
	v_add_nc_u64_e32 v[14:15], 8, v[14:15]
	s_and_not1_b32 s25, s25, exec_lo
	s_and_not1_b32 s24, s24, exec_lo
	s_wait_loadcnt 0x0
	v_cmp_ge_i64_e32 vcc_lo, v[16:17], v[18:19]
	s_or_b32 s27, s23, vcc_lo
	s_delay_alu instid0(SALU_CYCLE_1) | instskip(NEXT) | instid1(SALU_CYCLE_1)
	s_and_b32 s27, s27, exec_lo
	s_or_b32 s25, s25, s27
	s_branch .LBB122_198
.LBB122_201:
	s_or_b32 exec_lo, exec_lo, s21
	s_delay_alu instid0(SALU_CYCLE_1)
	s_mov_b32 s23, exec_lo
	s_or_not1_b32 s21, s22, exec_lo
.LBB122_202:
	s_or_b32 exec_lo, exec_lo, s1
	s_delay_alu instid0(SALU_CYCLE_1)
	s_and_b32 s1, s23, exec_lo
	s_xor_b32 s22, exec_lo, -1
	s_and_b32 s21, s21, exec_lo
.LBB122_203:
	s_or_b32 exec_lo, exec_lo, s56
	s_delay_alu instid0(SALU_CYCLE_1)
	s_and_not1_b32 s23, s49, exec_lo
	s_and_b32 s22, s22, exec_lo
	s_and_b32 s24, s1, exec_lo
	s_or_b32 s23, s23, s22
	s_xor_b32 s1, exec_lo, -1
	s_and_b32 s22, s21, exec_lo
.LBB122_204:
	s_or_b32 exec_lo, exec_lo, s55
	s_delay_alu instid0(SALU_CYCLE_1)
	s_and_b32 s21, s24, exec_lo
	s_and_not1_b32 s24, s49, exec_lo
	s_and_b32 s23, s23, exec_lo
	s_and_not1_b32 s25, s50, exec_lo
	s_and_b32 s1, s1, exec_lo
	s_or_b32 s23, s24, s23
	s_or_b32 s25, s25, s1
	s_xor_b32 s1, exec_lo, -1
	s_and_b32 s24, s22, exec_lo
.LBB122_205:
	s_or_b32 exec_lo, exec_lo, s54
	s_delay_alu instid0(SALU_CYCLE_1)
	s_and_not1_b32 s22, s49, exec_lo
	s_and_b32 s26, s23, exec_lo
	s_and_b32 s23, s21, exec_lo
	s_or_b32 s21, s22, s26
	s_and_not1_b32 s22, s50, exec_lo
	s_and_b32 s25, s25, exec_lo
	s_and_not1_b32 s26, s48, exec_lo
	s_and_b32 s1, s1, exec_lo
	s_or_b32 s22, s22, s25
	s_or_b32 s1, s26, s1
	s_or_not1_b32 s25, s24, exec_lo
.LBB122_206:
	s_or_b32 exec_lo, exec_lo, s53
	s_mov_b32 s26, 0
	s_and_saveexec_b32 s24, s25
	s_cbranch_execz .LBB122_210
; %bb.207:
	v_or_b32_e32 v12, 0x300, v0
	s_mov_b32 s25, 0
	s_mov_b32 s26, -1
	s_mov_b32 s27, s1
	s_mov_b32 s28, exec_lo
	v_cmpx_gt_i32_e64 s11, v12
	s_xor_b32 s28, exec_lo, s28
; %bb.208:
	v_cmp_ne_u64_e32 vcc_lo, s[4:5], v[10:11]
	s_xor_b32 s26, s43, -1
	s_and_not1_b32 s27, s1, exec_lo
	s_mov_b32 s25, exec_lo
	s_or_b32 s26, s26, vcc_lo
	s_delay_alu instid0(SALU_CYCLE_1)
	s_and_b32 s29, s26, exec_lo
	s_xor_b32 s26, exec_lo, -1
	s_or_b32 s27, s27, s29
; %bb.209:
	s_or_b32 exec_lo, exec_lo, s28
	s_delay_alu instid0(SALU_CYCLE_1)
	s_and_not1_b32 s1, s1, exec_lo
	s_and_b32 s27, s27, exec_lo
	s_and_b32 s26, s26, exec_lo
	s_and_not1_b32 s23, s23, exec_lo
	s_and_b32 s52, s25, exec_lo
	s_or_b32 s1, s1, s27
.LBB122_210:
	s_or_b32 exec_lo, exec_lo, s24
	s_delay_alu instid0(SALU_CYCLE_1)
	s_and_not1_b32 s24, s33, exec_lo
	s_and_b32 s25, s23, exec_lo
	s_and_b32 s21, s21, exec_lo
	s_or_b32 s33, s24, s25
	s_and_not1_b32 s24, s49, exec_lo
	s_and_not1_b32 s25, s50, exec_lo
	s_and_b32 s22, s22, exec_lo
	s_or_b32 s49, s24, s21
	s_and_not1_b32 s21, s48, exec_lo
	s_and_b32 s1, s1, exec_lo
	s_and_b32 s23, s26, exec_lo
	s_or_b32 s50, s25, s22
	s_and_b32 s52, s52, exec_lo
	s_or_b32 s48, s21, s1
.LBB122_211:
	s_or_b32 exec_lo, exec_lo, s51
	s_delay_alu instid0(SALU_CYCLE_1)
	s_and_not1_b32 s1, s42, exec_lo
	s_and_b32 s21, s33, exec_lo
	s_and_b32 s33, s23, exec_lo
	s_or_b32 s42, s1, s21
	s_and_not1_b32 s1, s44, exec_lo
	s_and_b32 s21, s49, exec_lo
	s_and_not1_b32 s22, s45, exec_lo
	s_and_b32 s23, s50, exec_lo
	s_or_b32 s44, s1, s21
	s_and_not1_b32 s1, s46, exec_lo
	s_and_b32 s21, s48, exec_lo
	s_or_b32 s45, s22, s23
	s_and_b32 s48, s52, exec_lo
	s_or_b32 s46, s1, s21
	s_or_b32 exec_lo, exec_lo, s47
	s_and_saveexec_b32 s1, s46
	s_cbranch_execz .LBB122_89
.LBB122_212:
	s_or_b32 s3, s3, exec_lo
	s_and_not1_b32 s48, s48, exec_lo
	s_trap 2
	s_branch .LBB122_89
.LBB122_213:
	s_or_b32 s3, s3, exec_lo
	s_trap 2
	s_branch .LBB122_76
.LBB122_214:
	s_or_b32 s3, s3, exec_lo
	s_and_not1_b32 s1, s1, exec_lo
	s_trap 2
	s_branch .LBB122_92
.LBB122_215:
	s_mov_b32 s3, exec_lo
	s_and_not1_b32 s0, s0, exec_lo
	s_trap 2
	s_branch .LBB122_67
	.section	.rodata,"a",@progbits
	.p2align	6, 0x0
	.amdhsa_kernel _ZN2at6native29vectorized_elementwise_kernelILi4EZZZNS0_12_GLOBAL__N_142_validate_compressed_sparse_indices_kernelILNS2_8CDimNameE1ENS2_18CUDAKernelLauncherENS2_14EmptyVecKernelENS2_8DummyVecELm0EEEvRKNS_6TensorESA_lllENKUlvE1_clEvENKUlvE0_clEvEUllllllE_St5arrayIPcLm6EEEEviT0_T1_
		.amdhsa_group_segment_fixed_size 0
		.amdhsa_private_segment_fixed_size 0
		.amdhsa_kernarg_size 112
		.amdhsa_user_sgpr_count 2
		.amdhsa_user_sgpr_dispatch_ptr 0
		.amdhsa_user_sgpr_queue_ptr 0
		.amdhsa_user_sgpr_kernarg_segment_ptr 1
		.amdhsa_user_sgpr_dispatch_id 0
		.amdhsa_user_sgpr_kernarg_preload_length 0
		.amdhsa_user_sgpr_kernarg_preload_offset 0
		.amdhsa_user_sgpr_private_segment_size 0
		.amdhsa_wavefront_size32 1
		.amdhsa_uses_dynamic_stack 0
		.amdhsa_enable_private_segment 0
		.amdhsa_system_sgpr_workgroup_id_x 1
		.amdhsa_system_sgpr_workgroup_id_y 0
		.amdhsa_system_sgpr_workgroup_id_z 0
		.amdhsa_system_sgpr_workgroup_info 0
		.amdhsa_system_vgpr_workitem_id 0
		.amdhsa_next_free_vgpr 58
		.amdhsa_next_free_sgpr 76
		.amdhsa_named_barrier_count 0
		.amdhsa_reserve_vcc 1
		.amdhsa_float_round_mode_32 0
		.amdhsa_float_round_mode_16_64 0
		.amdhsa_float_denorm_mode_32 3
		.amdhsa_float_denorm_mode_16_64 3
		.amdhsa_fp16_overflow 0
		.amdhsa_memory_ordered 1
		.amdhsa_forward_progress 1
		.amdhsa_inst_pref_size 103
		.amdhsa_round_robin_scheduling 0
		.amdhsa_exception_fp_ieee_invalid_op 0
		.amdhsa_exception_fp_denorm_src 0
		.amdhsa_exception_fp_ieee_div_zero 0
		.amdhsa_exception_fp_ieee_overflow 0
		.amdhsa_exception_fp_ieee_underflow 0
		.amdhsa_exception_fp_ieee_inexact 0
		.amdhsa_exception_int_div_zero 0
	.end_amdhsa_kernel
	.section	.text._ZN2at6native29vectorized_elementwise_kernelILi4EZZZNS0_12_GLOBAL__N_142_validate_compressed_sparse_indices_kernelILNS2_8CDimNameE1ENS2_18CUDAKernelLauncherENS2_14EmptyVecKernelENS2_8DummyVecELm0EEEvRKNS_6TensorESA_lllENKUlvE1_clEvENKUlvE0_clEvEUllllllE_St5arrayIPcLm6EEEEviT0_T1_,"axG",@progbits,_ZN2at6native29vectorized_elementwise_kernelILi4EZZZNS0_12_GLOBAL__N_142_validate_compressed_sparse_indices_kernelILNS2_8CDimNameE1ENS2_18CUDAKernelLauncherENS2_14EmptyVecKernelENS2_8DummyVecELm0EEEvRKNS_6TensorESA_lllENKUlvE1_clEvENKUlvE0_clEvEUllllllE_St5arrayIPcLm6EEEEviT0_T1_,comdat
.Lfunc_end122:
	.size	_ZN2at6native29vectorized_elementwise_kernelILi4EZZZNS0_12_GLOBAL__N_142_validate_compressed_sparse_indices_kernelILNS2_8CDimNameE1ENS2_18CUDAKernelLauncherENS2_14EmptyVecKernelENS2_8DummyVecELm0EEEvRKNS_6TensorESA_lllENKUlvE1_clEvENKUlvE0_clEvEUllllllE_St5arrayIPcLm6EEEEviT0_T1_, .Lfunc_end122-_ZN2at6native29vectorized_elementwise_kernelILi4EZZZNS0_12_GLOBAL__N_142_validate_compressed_sparse_indices_kernelILNS2_8CDimNameE1ENS2_18CUDAKernelLauncherENS2_14EmptyVecKernelENS2_8DummyVecELm0EEEvRKNS_6TensorESA_lllENKUlvE1_clEvENKUlvE0_clEvEUllllllE_St5arrayIPcLm6EEEEviT0_T1_
                                        ; -- End function
	.set _ZN2at6native29vectorized_elementwise_kernelILi4EZZZNS0_12_GLOBAL__N_142_validate_compressed_sparse_indices_kernelILNS2_8CDimNameE1ENS2_18CUDAKernelLauncherENS2_14EmptyVecKernelENS2_8DummyVecELm0EEEvRKNS_6TensorESA_lllENKUlvE1_clEvENKUlvE0_clEvEUllllllE_St5arrayIPcLm6EEEEviT0_T1_.num_vgpr, 58
	.set _ZN2at6native29vectorized_elementwise_kernelILi4EZZZNS0_12_GLOBAL__N_142_validate_compressed_sparse_indices_kernelILNS2_8CDimNameE1ENS2_18CUDAKernelLauncherENS2_14EmptyVecKernelENS2_8DummyVecELm0EEEvRKNS_6TensorESA_lllENKUlvE1_clEvENKUlvE0_clEvEUllllllE_St5arrayIPcLm6EEEEviT0_T1_.num_agpr, 0
	.set _ZN2at6native29vectorized_elementwise_kernelILi4EZZZNS0_12_GLOBAL__N_142_validate_compressed_sparse_indices_kernelILNS2_8CDimNameE1ENS2_18CUDAKernelLauncherENS2_14EmptyVecKernelENS2_8DummyVecELm0EEEvRKNS_6TensorESA_lllENKUlvE1_clEvENKUlvE0_clEvEUllllllE_St5arrayIPcLm6EEEEviT0_T1_.numbered_sgpr, 76
	.set _ZN2at6native29vectorized_elementwise_kernelILi4EZZZNS0_12_GLOBAL__N_142_validate_compressed_sparse_indices_kernelILNS2_8CDimNameE1ENS2_18CUDAKernelLauncherENS2_14EmptyVecKernelENS2_8DummyVecELm0EEEvRKNS_6TensorESA_lllENKUlvE1_clEvENKUlvE0_clEvEUllllllE_St5arrayIPcLm6EEEEviT0_T1_.num_named_barrier, 0
	.set _ZN2at6native29vectorized_elementwise_kernelILi4EZZZNS0_12_GLOBAL__N_142_validate_compressed_sparse_indices_kernelILNS2_8CDimNameE1ENS2_18CUDAKernelLauncherENS2_14EmptyVecKernelENS2_8DummyVecELm0EEEvRKNS_6TensorESA_lllENKUlvE1_clEvENKUlvE0_clEvEUllllllE_St5arrayIPcLm6EEEEviT0_T1_.private_seg_size, 0
	.set _ZN2at6native29vectorized_elementwise_kernelILi4EZZZNS0_12_GLOBAL__N_142_validate_compressed_sparse_indices_kernelILNS2_8CDimNameE1ENS2_18CUDAKernelLauncherENS2_14EmptyVecKernelENS2_8DummyVecELm0EEEvRKNS_6TensorESA_lllENKUlvE1_clEvENKUlvE0_clEvEUllllllE_St5arrayIPcLm6EEEEviT0_T1_.uses_vcc, 1
	.set _ZN2at6native29vectorized_elementwise_kernelILi4EZZZNS0_12_GLOBAL__N_142_validate_compressed_sparse_indices_kernelILNS2_8CDimNameE1ENS2_18CUDAKernelLauncherENS2_14EmptyVecKernelENS2_8DummyVecELm0EEEvRKNS_6TensorESA_lllENKUlvE1_clEvENKUlvE0_clEvEUllllllE_St5arrayIPcLm6EEEEviT0_T1_.uses_flat_scratch, 0
	.set _ZN2at6native29vectorized_elementwise_kernelILi4EZZZNS0_12_GLOBAL__N_142_validate_compressed_sparse_indices_kernelILNS2_8CDimNameE1ENS2_18CUDAKernelLauncherENS2_14EmptyVecKernelENS2_8DummyVecELm0EEEvRKNS_6TensorESA_lllENKUlvE1_clEvENKUlvE0_clEvEUllllllE_St5arrayIPcLm6EEEEviT0_T1_.has_dyn_sized_stack, 0
	.set _ZN2at6native29vectorized_elementwise_kernelILi4EZZZNS0_12_GLOBAL__N_142_validate_compressed_sparse_indices_kernelILNS2_8CDimNameE1ENS2_18CUDAKernelLauncherENS2_14EmptyVecKernelENS2_8DummyVecELm0EEEvRKNS_6TensorESA_lllENKUlvE1_clEvENKUlvE0_clEvEUllllllE_St5arrayIPcLm6EEEEviT0_T1_.has_recursion, 0
	.set _ZN2at6native29vectorized_elementwise_kernelILi4EZZZNS0_12_GLOBAL__N_142_validate_compressed_sparse_indices_kernelILNS2_8CDimNameE1ENS2_18CUDAKernelLauncherENS2_14EmptyVecKernelENS2_8DummyVecELm0EEEvRKNS_6TensorESA_lllENKUlvE1_clEvENKUlvE0_clEvEUllllllE_St5arrayIPcLm6EEEEviT0_T1_.has_indirect_call, 0
	.section	.AMDGPU.csdata,"",@progbits
; Kernel info:
; codeLenInByte = 13128
; TotalNumSgprs: 78
; NumVgprs: 58
; ScratchSize: 0
; MemoryBound: 1
; FloatMode: 240
; IeeeMode: 1
; LDSByteSize: 0 bytes/workgroup (compile time only)
; SGPRBlocks: 0
; VGPRBlocks: 3
; NumSGPRsForWavesPerEU: 78
; NumVGPRsForWavesPerEU: 58
; NamedBarCnt: 0
; Occupancy: 16
; WaveLimiterHint : 0
; COMPUTE_PGM_RSRC2:SCRATCH_EN: 0
; COMPUTE_PGM_RSRC2:USER_SGPR: 2
; COMPUTE_PGM_RSRC2:TRAP_HANDLER: 0
; COMPUTE_PGM_RSRC2:TGID_X_EN: 1
; COMPUTE_PGM_RSRC2:TGID_Y_EN: 0
; COMPUTE_PGM_RSRC2:TGID_Z_EN: 0
; COMPUTE_PGM_RSRC2:TIDIG_COMP_CNT: 0
	.section	.text._ZN2at6native29vectorized_elementwise_kernelILi2EZZZNS0_12_GLOBAL__N_142_validate_compressed_sparse_indices_kernelILNS2_8CDimNameE1ENS2_18CUDAKernelLauncherENS2_14EmptyVecKernelENS2_8DummyVecELm0EEEvRKNS_6TensorESA_lllENKUlvE1_clEvENKUlvE0_clEvEUllllllE_St5arrayIPcLm6EEEEviT0_T1_,"axG",@progbits,_ZN2at6native29vectorized_elementwise_kernelILi2EZZZNS0_12_GLOBAL__N_142_validate_compressed_sparse_indices_kernelILNS2_8CDimNameE1ENS2_18CUDAKernelLauncherENS2_14EmptyVecKernelENS2_8DummyVecELm0EEEvRKNS_6TensorESA_lllENKUlvE1_clEvENKUlvE0_clEvEUllllllE_St5arrayIPcLm6EEEEviT0_T1_,comdat
	.globl	_ZN2at6native29vectorized_elementwise_kernelILi2EZZZNS0_12_GLOBAL__N_142_validate_compressed_sparse_indices_kernelILNS2_8CDimNameE1ENS2_18CUDAKernelLauncherENS2_14EmptyVecKernelENS2_8DummyVecELm0EEEvRKNS_6TensorESA_lllENKUlvE1_clEvENKUlvE0_clEvEUllllllE_St5arrayIPcLm6EEEEviT0_T1_ ; -- Begin function _ZN2at6native29vectorized_elementwise_kernelILi2EZZZNS0_12_GLOBAL__N_142_validate_compressed_sparse_indices_kernelILNS2_8CDimNameE1ENS2_18CUDAKernelLauncherENS2_14EmptyVecKernelENS2_8DummyVecELm0EEEvRKNS_6TensorESA_lllENKUlvE1_clEvENKUlvE0_clEvEUllllllE_St5arrayIPcLm6EEEEviT0_T1_
	.p2align	8
	.type	_ZN2at6native29vectorized_elementwise_kernelILi2EZZZNS0_12_GLOBAL__N_142_validate_compressed_sparse_indices_kernelILNS2_8CDimNameE1ENS2_18CUDAKernelLauncherENS2_14EmptyVecKernelENS2_8DummyVecELm0EEEvRKNS_6TensorESA_lllENKUlvE1_clEvENKUlvE0_clEvEUllllllE_St5arrayIPcLm6EEEEviT0_T1_,@function
_ZN2at6native29vectorized_elementwise_kernelILi2EZZZNS0_12_GLOBAL__N_142_validate_compressed_sparse_indices_kernelILNS2_8CDimNameE1ENS2_18CUDAKernelLauncherENS2_14EmptyVecKernelENS2_8DummyVecELm0EEEvRKNS_6TensorESA_lllENKUlvE1_clEvENKUlvE0_clEvEUllllllE_St5arrayIPcLm6EEEEviT0_T1_: ; @_ZN2at6native29vectorized_elementwise_kernelILi2EZZZNS0_12_GLOBAL__N_142_validate_compressed_sparse_indices_kernelILNS2_8CDimNameE1ENS2_18CUDAKernelLauncherENS2_14EmptyVecKernelENS2_8DummyVecELm0EEEvRKNS_6TensorESA_lllENKUlvE1_clEvENKUlvE0_clEvEUllllllE_St5arrayIPcLm6EEEEviT0_T1_
; %bb.0:
	s_clause 0x3
	s_load_b32 s3, s[0:1], 0x0
	s_load_b512 s[4:19], s[0:1], 0x8
	s_load_b64 s[28:29], s[0:1], 0x68
	s_load_b256 s[20:27], s[0:1], 0x48
	s_wait_xcnt 0x0
	s_bfe_u32 s0, ttmp6, 0x4000c
	s_and_b32 s1, ttmp6, 15
	s_add_co_i32 s0, s0, 1
	s_getreg_b32 s2, hwreg(HW_REG_IB_STS2, 6, 4)
	s_mul_i32 s0, ttmp9, s0
	s_mov_b32 s33, 0
	s_add_co_i32 s1, s1, s0
	s_cmp_eq_u32 s2, 0
	s_get_pc_i64 s[30:31]
	s_add_nc_u64 s[30:31], s[30:31], .str.6@rel64+4
	s_cselect_b32 s0, ttmp9, s1
	s_delay_alu instid0(SALU_CYCLE_1)
	s_lshl_b32 s2, s0, 10
	s_mov_b32 s0, -1
	s_wait_kmcnt 0x0
	s_sub_co_i32 s11, s3, s2
	s_mov_b32 s3, 0
	s_cmp_gt_i32 s11, 0x3ff
	s_cbranch_scc0 .LBB123_77
; %bb.1:
	s_cmp_eq_u64 s[30:31], 0
	s_cselect_b32 s0, -1, 0
	s_cmp_lg_u64 s[30:31], 0
	s_cbranch_scc0 .LBB123_75
; %bb.2:
	s_ashr_i32 s3, s2, 31
	v_lshlrev_b32_e32 v14, 4, v0
	s_lshl_b64 s[34:35], s[2:3], 3
	s_mov_b32 s0, -1
	s_add_nc_u64 s[38:39], s[20:21], s[34:35]
	s_mov_b32 s3, 0
	global_load_b64 v[2:3], v14, s[38:39]
	s_mov_b32 s50, exec_lo
	s_wait_loadcnt 0x0
	v_cmpx_eq_u64_e64 s[4:5], v[2:3]
	s_cbranch_execz .LBB123_74
; %bb.3:
	s_add_nc_u64 s[40:41], s[22:23], s[34:35]
	s_get_pc_i64 s[36:37]
	s_add_nc_u64 s[36:37], s[36:37], .str.7@rel64+4
	global_load_b128 v[28:31], v0, s[40:41] scale_offset
	s_cmp_lg_u64 s[36:37], 0
	v_mov_b32_e32 v15, 0
	s_cselect_b32 s1, -1, 0
	s_mov_b32 s42, -1
	s_mov_b32 s0, 0
	s_mov_b32 s37, 0
	;; [unrolled: 1-line block ×3, first 2 shown]
                                        ; implicit-def: $sgpr51
                                        ; implicit-def: $sgpr52
                                        ; implicit-def: $sgpr36
                                        ; implicit-def: $sgpr55
                                        ; implicit-def: $vgpr10_vgpr11_vgpr12_vgpr13
                                        ; implicit-def: $vgpr2_vgpr3_vgpr4_vgpr5
                                        ; implicit-def: $vgpr6_vgpr7_vgpr8_vgpr9
	s_wait_loadcnt 0x0
	v_cmp_eq_u64_e32 vcc_lo, s[8:9], v[28:29]
	s_and_b32 s43, s1, vcc_lo
	s_mov_b32 s1, 0
	s_and_saveexec_b32 s53, s43
	s_cbranch_execz .LBB123_66
; %bb.4:
	s_add_nc_u64 s[42:43], s[24:25], s[34:35]
	s_add_nc_u64 s[44:45], s[26:27], s[34:35]
	s_clause 0x1
	global_load_b128 v[26:29], v0, s[42:43] scale_offset
	global_load_b128 v[22:25], v0, s[44:45] scale_offset
	s_get_pc_i64 s[48:49]
	s_add_nc_u64 s[48:49], s[48:49], .str.8@rel64+4
	s_mov_b32 s37, -1
	s_cmp_lg_u64 s[48:49], 0
	s_mov_b32 s46, 0
	s_cselect_b32 s1, -1, 0
	s_mov_b32 s47, 0
	s_mov_b32 s48, 0
                                        ; implicit-def: $sgpr51
                                        ; implicit-def: $sgpr52
                                        ; implicit-def: $sgpr36
                                        ; implicit-def: $vgpr10_vgpr11_vgpr12_vgpr13
                                        ; implicit-def: $vgpr6_vgpr7_vgpr8_vgpr9
	s_wait_loadcnt 0x0
	v_sub_nc_u64_e32 v[2:3], v[22:23], v[26:27]
	s_delay_alu instid0(VALU_DEP_1) | instskip(SKIP_2) | instid1(SALU_CYCLE_1)
	v_cmp_le_i64_e32 vcc_lo, s[4:5], v[2:3]
	v_cmp_ge_i64_e64 s0, s[6:7], v[2:3]
                                        ; implicit-def: $vgpr2_vgpr3_vgpr4_vgpr5
	s_and_b32 s0, vcc_lo, s0
	s_and_b32 s0, s1, s0
	s_mov_b32 s1, 0
	s_and_saveexec_b32 s54, s0
	s_cbranch_execz .LBB123_65
; %bb.5:
	v_mov_b32_e32 v38, 0
	v_add_nc_u64_e32 v[40:41], s[38:39], v[14:15]
	v_add_nc_u64_e32 v[42:43], s[40:41], v[14:15]
	s_add_nc_u64 s[0:1], s[28:29], s[34:35]
	s_add_co_i32 s36, s10, -1
	v_mov_b32_e32 v15, v38
	s_cmp_gt_i32 s36, -1
	s_delay_alu instid0(VALU_DEP_1)
	v_add_nc_u64_e32 v[44:45], s[42:43], v[14:15]
	v_add_nc_u64_e32 v[46:47], s[44:45], v[14:15]
	s_clause 0x1
	global_load_b64 v[36:37], v[40:41], off offset:8
	global_load_b128 v[18:21], v[40:41], off offset:4096
	global_load_b128 v[14:17], v[42:43], off offset:4096
	;; [unrolled: 1-line block ×4, first 2 shown]
	s_clause 0x1
	global_load_b128 v[32:35], v0, s[0:1] scale_offset
	global_load_b128 v[10:13], v0, s[0:1] offset:4096 scale_offset
	s_wait_xcnt 0x0
	v_cmp_gt_i64_e64 s0, s[8:9], 0
	v_mov_b64_e32 v[40:41], 0
	s_cselect_b32 s1, -1, 0
	s_delay_alu instid0(SALU_CYCLE_1) | instskip(NEXT) | instid1(SALU_CYCLE_1)
	s_and_b32 s52, s0, s1
	s_and_not1_b32 vcc_lo, exec_lo, s52
	s_cbranch_vccnz .LBB123_12
; %bb.6:
	s_wait_loadcnt 0x1
	v_mul_u64_e32 v[32:33], s[8:9], v[32:33]
	s_mov_b32 s1, 0
	v_mov_b64_e32 v[40:41], 0
	s_mov_b32 s37, s1
	s_mov_b64 s[38:39], 0xffffffff
	s_lshl_b64 s[42:43], s[36:37], 3
	s_mov_b32 s37, s10
	s_add_nc_u64 s[40:41], s[12:13], s[42:43]
	s_add_nc_u64 s[42:43], s[14:15], s[42:43]
	s_branch .LBB123_8
.LBB123_7:                              ;   in Loop: Header=BB123_8 Depth=1
	s_or_b32 exec_lo, exec_lo, s0
	s_delay_alu instid0(VALU_DEP_1)
	v_mul_u64_e32 v[44:45], s[44:45], v[42:43]
	s_load_b64 s[44:45], s[42:43], 0x0
	s_add_co_i32 s37, s37, -1
	s_add_nc_u64 s[40:41], s[40:41], -8
	s_cmp_eq_u32 s37, 0
	s_wait_xcnt 0x0
	s_add_nc_u64 s[42:43], s[42:43], -8
	s_delay_alu instid0(VALU_DEP_1) | instskip(SKIP_1) | instid1(VALU_DEP_1)
	v_sub_nc_u64_e32 v[32:33], v[32:33], v[44:45]
	s_wait_kmcnt 0x0
	v_mad_nc_u64_u32 v[40:41], v32, s44, v[40:41]
	s_delay_alu instid0(VALU_DEP_1) | instskip(NEXT) | instid1(VALU_DEP_1)
	v_mad_u32 v1, v33, s44, v41
	v_mad_u32 v41, v32, s45, v1
	v_mov_b64_e32 v[32:33], v[42:43]
	s_cbranch_scc1 .LBB123_12
.LBB123_8:                              ; =>This Inner Loop Header: Depth=1
	s_load_b64 s[44:45], s[40:41], 0x0
                                        ; implicit-def: $vgpr42_vgpr43
	s_mov_b32 s0, exec_lo
	s_wait_kmcnt 0x0
	s_delay_alu instid0(VALU_DEP_1) | instskip(NEXT) | instid1(VALU_DEP_1)
	v_or_b32_e32 v39, s45, v33
	v_cmpx_ne_u64_e32 0, v[38:39]
	s_xor_b32 s51, exec_lo, s0
	s_cbranch_execz .LBB123_10
; %bb.9:                                ;   in Loop: Header=BB123_8 Depth=1
	s_ashr_i32 s46, s45, 31
	v_dual_mov_b32 v47, v38 :: v_dual_ashrrev_i32 v42, 31, v33
	s_mov_b32 s47, s46
	v_mov_b32_e32 v55, v38
	s_add_nc_u64 s[48:49], s[44:45], s[46:47]
	s_delay_alu instid0(VALU_DEP_2) | instskip(SKIP_1) | instid1(SALU_CYCLE_1)
	v_mov_b32_e32 v43, v42
	s_xor_b64 s[48:49], s[48:49], s[46:47]
	s_cvt_f32_u32 s0, s48
	s_cvt_f32_u32 s47, s49
	s_sub_nc_u64 s[58:59], 0, s[48:49]
	v_add_nc_u64_e32 v[44:45], v[32:33], v[42:43]
	v_mov_b32_e32 v51, v38
	s_fmamk_f32 s0, s47, 0x4f800000, s0
	s_delay_alu instid0(SALU_CYCLE_3) | instskip(NEXT) | instid1(VALU_DEP_2)
	v_s_rcp_f32 s0, s0
	v_xor_b32_e32 v46, v44, v42
	s_delay_alu instid0(VALU_DEP_3) | instskip(SKIP_1) | instid1(TRANS32_DEP_1)
	v_xor_b32_e32 v50, v45, v42
	v_xor_b32_e32 v42, s46, v42
	s_mul_f32 s0, s0, 0x5f7ffffc
	s_delay_alu instid0(SALU_CYCLE_3) | instskip(NEXT) | instid1(SALU_CYCLE_3)
	s_mul_f32 s47, s0, 0x2f800000
	s_trunc_f32 s47, s47
	s_delay_alu instid0(SALU_CYCLE_3) | instskip(SKIP_1) | instid1(SALU_CYCLE_2)
	s_fmamk_f32 s0, s47, 0xcf800000, s0
	s_cvt_u32_f32 s57, s47
	s_cvt_u32_f32 s56, s0
	s_delay_alu instid0(SALU_CYCLE_3) | instskip(NEXT) | instid1(SALU_CYCLE_1)
	s_mul_u64 s[60:61], s[58:59], s[56:57]
	s_mul_hi_u32 s63, s56, s61
	s_mul_i32 s62, s56, s61
	s_mul_hi_u32 s0, s56, s60
	s_mul_i32 s55, s57, s60
	s_add_nc_u64 s[62:63], s[0:1], s[62:63]
	s_mul_hi_u32 s47, s57, s60
	s_mul_hi_u32 s64, s57, s61
	s_add_co_u32 s0, s62, s55
	s_add_co_ci_u32 s0, s63, s47
	s_mul_i32 s60, s57, s61
	s_add_co_ci_u32 s61, s64, 0
	s_delay_alu instid0(SALU_CYCLE_1) | instskip(NEXT) | instid1(SALU_CYCLE_1)
	s_add_nc_u64 s[60:61], s[0:1], s[60:61]
	s_add_co_u32 s56, s56, s60
	s_cselect_b32 s0, -1, 0
	s_delay_alu instid0(SALU_CYCLE_1) | instskip(SKIP_1) | instid1(SALU_CYCLE_1)
	s_cmp_lg_u32 s0, 0
	s_add_co_ci_u32 s57, s57, s61
	s_mul_u64 s[58:59], s[58:59], s[56:57]
	s_delay_alu instid0(SALU_CYCLE_1)
	s_mul_hi_u32 s61, s56, s59
	s_mul_i32 s60, s56, s59
	s_mul_hi_u32 s0, s56, s58
	s_mul_i32 s55, s57, s58
	s_add_nc_u64 s[60:61], s[0:1], s[60:61]
	s_mul_hi_u32 s47, s57, s58
	s_mul_hi_u32 s62, s57, s59
	s_add_co_u32 s0, s60, s55
	s_add_co_ci_u32 s0, s61, s47
	s_mul_i32 s58, s57, s59
	s_add_co_ci_u32 s59, s62, 0
	s_delay_alu instid0(SALU_CYCLE_1) | instskip(NEXT) | instid1(SALU_CYCLE_1)
	s_add_nc_u64 s[58:59], s[0:1], s[58:59]
	s_add_co_u32 s56, s56, s58
	s_cselect_b32 s0, -1, 0
	v_mul_hi_u32 v54, v46, s56
	s_cmp_lg_u32 s0, 0
	s_add_co_ci_u32 s0, s57, s59
	s_and_b64 s[58:59], s[56:57], s[38:39]
	v_mul_u64_e32 v[48:49], s[0:1], v[46:47]
	v_mul_u64_e32 v[44:45], s[58:59], v[50:51]
	;; [unrolled: 1-line block ×3, first 2 shown]
	s_delay_alu instid0(VALU_DEP_3) | instskip(NEXT) | instid1(VALU_DEP_1)
	v_add_nc_u64_e32 v[48:49], v[54:55], v[48:49]
	v_add_co_u32 v1, vcc_lo, v48, v44
	s_delay_alu instid0(VALU_DEP_2) | instskip(NEXT) | instid1(VALU_DEP_4)
	v_add_co_ci_u32_e32 v54, vcc_lo, v49, v45, vcc_lo
	v_add_co_ci_u32_e32 v53, vcc_lo, 0, v53, vcc_lo
	s_delay_alu instid0(VALU_DEP_1) | instskip(NEXT) | instid1(VALU_DEP_1)
	v_add_nc_u64_e32 v[44:45], v[54:55], v[52:53]
	v_mul_u64_e32 v[48:49], s[48:49], v[44:45]
	s_delay_alu instid0(VALU_DEP_1) | instskip(NEXT) | instid1(VALU_DEP_2)
	v_sub_nc_u32_e32 v1, v50, v49
	v_sub_co_u32 v39, vcc_lo, v46, v48
	s_delay_alu instid0(VALU_DEP_1) | instskip(NEXT) | instid1(VALU_DEP_3)
	v_sub_co_ci_u32_e64 v50, null, v50, v49, vcc_lo
	v_subrev_co_ci_u32_e64 v1, null, s49, v1, vcc_lo
	s_delay_alu instid0(VALU_DEP_3) | instskip(SKIP_1) | instid1(VALU_DEP_3)
	v_sub_co_u32 v43, s0, v39, s48
	v_add_nc_u64_e32 v[48:49], 1, v[44:45]
	v_subrev_co_ci_u32_e64 v1, null, 0, v1, s0
	s_delay_alu instid0(VALU_DEP_3) | instskip(SKIP_1) | instid1(VALU_DEP_3)
	v_cmp_le_u32_e32 vcc_lo, s48, v43
	v_cndmask_b32_e64 v43, 0, -1, vcc_lo
	v_cmp_le_u32_e32 vcc_lo, s49, v1
	v_cndmask_b32_e64 v46, 0, -1, vcc_lo
	;; [unrolled: 2-line block ×4, first 2 shown]
	v_cmp_eq_u32_e32 vcc_lo, s49, v1
	v_cndmask_b32_e32 v1, v46, v43, vcc_lo
	v_cmp_eq_u32_e32 vcc_lo, s49, v50
	v_add_nc_u64_e32 v[46:47], 2, v[44:45]
	v_dual_mov_b32 v43, v42 :: v_dual_cndmask_b32 v39, v51, v39, vcc_lo
	s_delay_alu instid0(VALU_DEP_4) | instskip(NEXT) | instid1(VALU_DEP_2)
	v_cmp_ne_u32_e32 vcc_lo, 0, v1
	v_cmp_ne_u32_e64 s0, 0, v39
	s_delay_alu instid0(VALU_DEP_4) | instskip(NEXT) | instid1(VALU_DEP_1)
	v_dual_cndmask_b32 v1, v49, v47, vcc_lo :: v_dual_cndmask_b32 v39, v48, v46, vcc_lo
	v_dual_cndmask_b32 v1, v45, v1, s0 :: v_dual_cndmask_b32 v39, v44, v39, s0
	s_delay_alu instid0(VALU_DEP_1) | instskip(NEXT) | instid1(VALU_DEP_2)
	v_xor_b32_e32 v45, v1, v42
	v_xor_b32_e32 v44, v39, v42
	s_delay_alu instid0(VALU_DEP_1)
	v_sub_nc_u64_e32 v[42:43], v[44:45], v[42:43]
.LBB123_10:                             ;   in Loop: Header=BB123_8 Depth=1
	s_and_not1_saveexec_b32 s0, s51
	s_cbranch_execz .LBB123_7
; %bb.11:                               ;   in Loop: Header=BB123_8 Depth=1
	v_cvt_f32_u32_e32 v1, s44
	s_sub_co_i32 s46, 0, s44
	s_delay_alu instid0(VALU_DEP_1) | instskip(SKIP_1) | instid1(TRANS32_DEP_1)
	v_rcp_iflag_f32_e32 v1, v1
	v_nop
	v_mul_f32_e32 v1, 0x4f7ffffe, v1
	s_delay_alu instid0(VALU_DEP_1) | instskip(NEXT) | instid1(VALU_DEP_1)
	v_cvt_u32_f32_e32 v1, v1
	v_mul_lo_u32 v39, s46, v1
	s_delay_alu instid0(VALU_DEP_1) | instskip(NEXT) | instid1(VALU_DEP_1)
	v_mul_hi_u32 v39, v1, v39
	v_add_nc_u32_e32 v1, v1, v39
	s_delay_alu instid0(VALU_DEP_1) | instskip(NEXT) | instid1(VALU_DEP_1)
	v_mul_hi_u32 v1, v32, v1
	v_mul_lo_u32 v39, v1, s44
	s_delay_alu instid0(VALU_DEP_1) | instskip(NEXT) | instid1(VALU_DEP_1)
	v_sub_nc_u32_e32 v39, v32, v39
	v_subrev_nc_u32_e32 v43, s44, v39
	v_cmp_le_u32_e32 vcc_lo, s44, v39
	s_delay_alu instid0(VALU_DEP_2) | instskip(NEXT) | instid1(VALU_DEP_1)
	v_dual_cndmask_b32 v39, v39, v43 :: v_dual_add_nc_u32 v42, 1, v1
	v_dual_cndmask_b32 v1, v1, v42, vcc_lo :: v_dual_mov_b32 v43, v38
	s_delay_alu instid0(VALU_DEP_2) | instskip(NEXT) | instid1(VALU_DEP_2)
	v_cmp_le_u32_e32 vcc_lo, s44, v39
	v_add_nc_u32_e32 v42, 1, v1
	s_delay_alu instid0(VALU_DEP_1)
	v_cndmask_b32_e32 v42, v1, v42, vcc_lo
	s_branch .LBB123_7
.LBB123_12:
	s_get_pc_i64 s[0:1]
	s_add_nc_u64 s[0:1], s[0:1], .str.9@rel64+4
	s_mov_b32 s37, -1
	s_cmp_lg_u64 s[0:1], 0
	s_mov_b32 s0, 0
	s_cselect_b32 s51, -1, 0
	s_mov_b32 s55, 0
	s_mov_b32 s1, exec_lo
	v_cmpx_gt_i64_e64 v[22:23], v[26:27]
	s_cbranch_execz .LBB123_18
; %bb.13:
	s_wait_loadcnt 0x1
	v_lshlrev_b64_e32 v[32:33], 3, v[40:41]
	s_mov_b32 s37, 0
	s_xor_b32 s39, s51, -1
                                        ; implicit-def: $sgpr38
                                        ; implicit-def: $sgpr41
                                        ; implicit-def: $sgpr40
	s_delay_alu instid0(VALU_DEP_1) | instskip(SKIP_1) | instid1(VALU_DEP_2)
	v_lshl_add_u64 v[26:27], v[26:27], 3, v[32:33]
	v_add_nc_u64_e32 v[32:33], s[16:17], v[32:33]
	v_add_nc_u64_e32 v[26:27], s[16:17], v[26:27]
	s_delay_alu instid0(VALU_DEP_2) | instskip(NEXT) | instid1(VALU_DEP_2)
	v_lshl_add_u64 v[22:23], v[22:23], 3, v[32:33]
	v_add_nc_u64_e32 v[26:27], 8, v[26:27]
	s_branch .LBB123_15
.LBB123_14:                             ;   in Loop: Header=BB123_15 Depth=1
	s_or_b32 exec_lo, exec_lo, s42
	s_delay_alu instid0(SALU_CYCLE_1) | instskip(NEXT) | instid1(SALU_CYCLE_1)
	s_and_b32 s42, exec_lo, s41
	s_or_b32 s37, s42, s37
	s_and_not1_b32 s38, s38, exec_lo
	s_and_b32 s42, s40, exec_lo
	s_delay_alu instid0(SALU_CYCLE_1)
	s_or_b32 s38, s38, s42
	s_and_not1_b32 exec_lo, exec_lo, s37
	s_cbranch_execz .LBB123_17
.LBB123_15:                             ; =>This Inner Loop Header: Depth=1
	s_or_b32 s40, s40, exec_lo
	s_or_b32 s41, s41, exec_lo
	s_mov_b32 s42, exec_lo
	s_delay_alu instid0(VALU_DEP_1)
	v_cmpx_lt_u64_e64 v[26:27], v[22:23]
	s_cbranch_execz .LBB123_14
; %bb.16:                               ;   in Loop: Header=BB123_15 Depth=1
	global_load_b128 v[38:41], v[26:27], off offset:-8
	s_wait_xcnt 0x0
	v_add_nc_u64_e32 v[26:27], 8, v[26:27]
	s_and_not1_b32 s41, s41, exec_lo
	s_and_not1_b32 s40, s40, exec_lo
	s_wait_loadcnt 0x0
	v_cmp_ge_i64_e32 vcc_lo, v[38:39], v[40:41]
	s_or_b32 s43, s39, vcc_lo
	s_delay_alu instid0(SALU_CYCLE_1) | instskip(NEXT) | instid1(SALU_CYCLE_1)
	s_and_b32 s43, s43, exec_lo
	s_or_b32 s41, s41, s43
	s_branch .LBB123_14
.LBB123_17:
	s_or_b32 exec_lo, exec_lo, s37
	s_delay_alu instid0(SALU_CYCLE_1)
	s_mov_b32 s55, exec_lo
	s_or_not1_b32 s37, s38, exec_lo
.LBB123_18:
	s_or_b32 exec_lo, exec_lo, s1
	s_mov_b32 s38, 0
	s_mov_b32 s39, 0
	;; [unrolled: 1-line block ×3, first 2 shown]
	s_and_saveexec_b32 s56, s37
	s_cbranch_execz .LBB123_64
; %bb.19:
	s_mov_b32 s0, 0
	s_mov_b32 s1, -1
	s_mov_b32 s37, 0
	s_mov_b32 s57, exec_lo
	s_wait_loadcnt 0x6
	v_cmpx_eq_u64_e64 s[4:5], v[36:37]
	s_cbranch_execz .LBB123_63
; %bb.20:
	s_mov_b32 s0, -1
	s_mov_b32 s40, 0
	s_mov_b32 s41, 0
	s_mov_b32 s58, exec_lo
	v_cmpx_eq_u64_e64 s[8:9], v[30:31]
	s_cbranch_execz .LBB123_62
; %bb.21:
	v_sub_nc_u64_e32 v[22:23], v[24:25], v[28:29]
	s_mov_b32 s37, -1
	s_mov_b32 s1, 0
	s_delay_alu instid0(VALU_DEP_1) | instskip(SKIP_2) | instid1(SALU_CYCLE_1)
	v_cmp_le_i64_e32 vcc_lo, s[4:5], v[22:23]
	v_cmp_ge_i64_e64 s0, s[6:7], v[22:23]
	s_and_b32 s0, vcc_lo, s0
	s_and_saveexec_b32 s59, s0
	s_cbranch_execz .LBB123_61
; %bb.22:
	v_mov_b64_e32 v[22:23], 0
	s_and_not1_b32 vcc_lo, exec_lo, s52
	s_cbranch_vccnz .LBB123_29
; %bb.23:
	s_wait_loadcnt 0x1
	v_mul_u64_e32 v[30:31], s[8:9], v[34:35]
	v_mov_b64_e32 v[22:23], 0
	s_mov_b32 s37, s1
	v_mov_b32_e32 v26, 0
	s_lshl_b64 s[42:43], s[36:37], 3
	s_mov_b64 s[38:39], 0xffffffff
	s_add_nc_u64 s[40:41], s[12:13], s[42:43]
	s_add_nc_u64 s[42:43], s[14:15], s[42:43]
	s_mov_b32 s37, s10
	s_branch .LBB123_25
.LBB123_24:                             ;   in Loop: Header=BB123_25 Depth=1
	s_or_b32 exec_lo, exec_lo, s0
	s_delay_alu instid0(VALU_DEP_1)
	v_mul_u64_e32 v[34:35], s[44:45], v[32:33]
	s_load_b64 s[44:45], s[42:43], 0x0
	s_add_co_i32 s37, s37, -1
	s_add_nc_u64 s[40:41], s[40:41], -8
	s_cmp_lg_u32 s37, 0
	s_wait_xcnt 0x0
	s_add_nc_u64 s[42:43], s[42:43], -8
	s_delay_alu instid0(VALU_DEP_1) | instskip(SKIP_1) | instid1(VALU_DEP_1)
	v_sub_nc_u64_e32 v[30:31], v[30:31], v[34:35]
	s_wait_kmcnt 0x0
	v_mad_nc_u64_u32 v[22:23], v30, s44, v[22:23]
	s_delay_alu instid0(VALU_DEP_1) | instskip(NEXT) | instid1(VALU_DEP_1)
	v_mad_u32 v1, v31, s44, v23
	v_mad_u32 v23, v30, s45, v1
	v_mov_b64_e32 v[30:31], v[32:33]
	s_cbranch_scc0 .LBB123_29
.LBB123_25:                             ; =>This Inner Loop Header: Depth=1
	s_load_b64 s[44:45], s[40:41], 0x0
                                        ; implicit-def: $vgpr32_vgpr33
	s_mov_b32 s0, exec_lo
	s_wait_kmcnt 0x0
	s_delay_alu instid0(VALU_DEP_1) | instskip(NEXT) | instid1(VALU_DEP_1)
	v_or_b32_e32 v27, s45, v31
	v_cmpx_ne_u64_e32 0, v[26:27]
	s_xor_b32 s60, exec_lo, s0
	s_cbranch_execz .LBB123_27
; %bb.26:                               ;   in Loop: Header=BB123_25 Depth=1
	s_ashr_i32 s46, s45, 31
	v_dual_mov_b32 v37, v26 :: v_dual_ashrrev_i32 v32, 31, v31
	s_mov_b32 s47, s46
	s_delay_alu instid0(SALU_CYCLE_1) | instskip(NEXT) | instid1(VALU_DEP_1)
	s_add_nc_u64 s[48:49], s[44:45], s[46:47]
	v_mov_b32_e32 v33, v32
	s_xor_b64 s[48:49], s[48:49], s[46:47]
	s_delay_alu instid0(SALU_CYCLE_1)
	s_cvt_f32_u32 s0, s48
	s_cvt_f32_u32 s47, s49
	s_sub_nc_u64 s[64:65], 0, s[48:49]
	v_add_nc_u64_e32 v[34:35], v[30:31], v[32:33]
	v_mov_b32_e32 v41, v26
	s_fmamk_f32 s0, s47, 0x4f800000, s0
	s_delay_alu instid0(SALU_CYCLE_3) | instskip(NEXT) | instid1(VALU_DEP_2)
	v_s_rcp_f32 s0, s0
	v_xor_b32_e32 v36, v34, v32
	s_delay_alu instid0(VALU_DEP_3) | instskip(NEXT) | instid1(TRANS32_DEP_1)
	v_dual_mov_b32 v45, v26 :: v_dual_bitop2_b32 v40, v35, v32 bitop3:0x14
	s_mul_f32 s0, s0, 0x5f7ffffc
	s_delay_alu instid0(SALU_CYCLE_3) | instskip(NEXT) | instid1(SALU_CYCLE_3)
	s_mul_f32 s47, s0, 0x2f800000
	s_trunc_f32 s47, s47
	s_delay_alu instid0(SALU_CYCLE_3) | instskip(SKIP_1) | instid1(SALU_CYCLE_2)
	s_fmamk_f32 s0, s47, 0xcf800000, s0
	s_cvt_u32_f32 s63, s47
	s_cvt_u32_f32 s62, s0
	s_delay_alu instid0(SALU_CYCLE_3) | instskip(NEXT) | instid1(SALU_CYCLE_1)
	s_mul_u64 s[66:67], s[64:65], s[62:63]
	s_mul_hi_u32 s69, s62, s67
	s_mul_i32 s68, s62, s67
	s_mul_hi_u32 s0, s62, s66
	s_mul_i32 s61, s63, s66
	s_add_nc_u64 s[68:69], s[0:1], s[68:69]
	s_mul_hi_u32 s47, s63, s66
	s_mul_hi_u32 s70, s63, s67
	s_add_co_u32 s0, s68, s61
	s_add_co_ci_u32 s0, s69, s47
	s_mul_i32 s66, s63, s67
	s_add_co_ci_u32 s67, s70, 0
	s_delay_alu instid0(SALU_CYCLE_1) | instskip(NEXT) | instid1(SALU_CYCLE_1)
	s_add_nc_u64 s[66:67], s[0:1], s[66:67]
	s_add_co_u32 s62, s62, s66
	s_cselect_b32 s0, -1, 0
	s_delay_alu instid0(SALU_CYCLE_1) | instskip(SKIP_1) | instid1(SALU_CYCLE_1)
	s_cmp_lg_u32 s0, 0
	s_add_co_ci_u32 s63, s63, s67
	s_mul_u64 s[64:65], s[64:65], s[62:63]
	s_delay_alu instid0(SALU_CYCLE_1)
	s_mul_hi_u32 s67, s62, s65
	s_mul_i32 s66, s62, s65
	s_mul_hi_u32 s0, s62, s64
	s_mul_i32 s61, s63, s64
	s_add_nc_u64 s[66:67], s[0:1], s[66:67]
	s_mul_hi_u32 s47, s63, s64
	s_mul_hi_u32 s68, s63, s65
	s_add_co_u32 s0, s66, s61
	s_add_co_ci_u32 s0, s67, s47
	s_mul_i32 s64, s63, s65
	s_add_co_ci_u32 s65, s68, 0
	s_delay_alu instid0(SALU_CYCLE_1) | instskip(NEXT) | instid1(SALU_CYCLE_1)
	s_add_nc_u64 s[64:65], s[0:1], s[64:65]
	s_add_co_u32 s62, s62, s64
	s_cselect_b32 s0, -1, 0
	v_mul_hi_u32 v44, v36, s62
	s_cmp_lg_u32 s0, 0
	s_add_co_ci_u32 s0, s63, s65
	s_and_b64 s[64:65], s[62:63], s[38:39]
	v_mul_u64_e32 v[38:39], s[0:1], v[36:37]
	v_mul_u64_e32 v[34:35], s[64:65], v[40:41]
	;; [unrolled: 1-line block ×3, first 2 shown]
	s_delay_alu instid0(VALU_DEP_3) | instskip(NEXT) | instid1(VALU_DEP_1)
	v_add_nc_u64_e32 v[38:39], v[44:45], v[38:39]
	v_add_co_u32 v1, vcc_lo, v38, v34
	s_delay_alu instid0(VALU_DEP_2) | instskip(NEXT) | instid1(VALU_DEP_4)
	v_add_co_ci_u32_e32 v44, vcc_lo, v39, v35, vcc_lo
	v_add_co_ci_u32_e32 v43, vcc_lo, 0, v43, vcc_lo
	s_delay_alu instid0(VALU_DEP_1) | instskip(NEXT) | instid1(VALU_DEP_1)
	v_add_nc_u64_e32 v[34:35], v[44:45], v[42:43]
	v_mul_u64_e32 v[38:39], s[48:49], v[34:35]
	s_delay_alu instid0(VALU_DEP_1) | instskip(NEXT) | instid1(VALU_DEP_2)
	v_sub_nc_u32_e32 v1, v40, v39
	v_sub_co_u32 v27, vcc_lo, v36, v38
	s_delay_alu instid0(VALU_DEP_1) | instskip(NEXT) | instid1(VALU_DEP_3)
	v_sub_co_ci_u32_e64 v40, null, v40, v39, vcc_lo
	v_subrev_co_ci_u32_e64 v1, null, s49, v1, vcc_lo
	s_delay_alu instid0(VALU_DEP_3) | instskip(SKIP_1) | instid1(VALU_DEP_3)
	v_sub_co_u32 v33, s0, v27, s48
	v_add_nc_u64_e32 v[38:39], 1, v[34:35]
	v_subrev_co_ci_u32_e64 v1, null, 0, v1, s0
	s_delay_alu instid0(VALU_DEP_3) | instskip(SKIP_1) | instid1(VALU_DEP_3)
	v_cmp_le_u32_e32 vcc_lo, s48, v33
	v_cndmask_b32_e64 v33, 0, -1, vcc_lo
	v_cmp_le_u32_e32 vcc_lo, s49, v1
	v_cndmask_b32_e64 v36, 0, -1, vcc_lo
	;; [unrolled: 2-line block ×4, first 2 shown]
	v_cmp_eq_u32_e32 vcc_lo, s49, v1
	v_cndmask_b32_e32 v1, v36, v33, vcc_lo
	v_cmp_eq_u32_e32 vcc_lo, s49, v40
	v_add_nc_u64_e32 v[36:37], 2, v[34:35]
	v_cndmask_b32_e32 v27, v41, v27, vcc_lo
	s_delay_alu instid0(VALU_DEP_4) | instskip(NEXT) | instid1(VALU_DEP_2)
	v_cmp_ne_u32_e32 vcc_lo, 0, v1
	v_cmp_ne_u32_e64 s0, 0, v27
	s_delay_alu instid0(VALU_DEP_4) | instskip(NEXT) | instid1(VALU_DEP_1)
	v_dual_cndmask_b32 v1, v39, v37, vcc_lo :: v_dual_cndmask_b32 v27, v38, v36, vcc_lo
	v_dual_cndmask_b32 v1, v35, v1, s0 :: v_dual_bitop2_b32 v32, s46, v32 bitop3:0x14
	s_delay_alu instid0(VALU_DEP_1) | instskip(NEXT) | instid1(VALU_DEP_2)
	v_dual_cndmask_b32 v27, v34, v27, s0 :: v_dual_mov_b32 v33, v32
	v_xor_b32_e32 v35, v1, v32
	s_delay_alu instid0(VALU_DEP_2) | instskip(NEXT) | instid1(VALU_DEP_1)
	v_xor_b32_e32 v34, v27, v32
	v_sub_nc_u64_e32 v[32:33], v[34:35], v[32:33]
.LBB123_27:                             ;   in Loop: Header=BB123_25 Depth=1
	s_and_not1_saveexec_b32 s0, s60
	s_cbranch_execz .LBB123_24
; %bb.28:                               ;   in Loop: Header=BB123_25 Depth=1
	v_cvt_f32_u32_e32 v1, s44
	s_sub_co_i32 s46, 0, s44
	s_delay_alu instid0(VALU_DEP_1) | instskip(SKIP_1) | instid1(TRANS32_DEP_1)
	v_rcp_iflag_f32_e32 v1, v1
	v_nop
	v_mul_f32_e32 v1, 0x4f7ffffe, v1
	s_delay_alu instid0(VALU_DEP_1) | instskip(NEXT) | instid1(VALU_DEP_1)
	v_cvt_u32_f32_e32 v1, v1
	v_mul_lo_u32 v27, s46, v1
	s_delay_alu instid0(VALU_DEP_1) | instskip(NEXT) | instid1(VALU_DEP_1)
	v_mul_hi_u32 v27, v1, v27
	v_add_nc_u32_e32 v1, v1, v27
	s_delay_alu instid0(VALU_DEP_1) | instskip(NEXT) | instid1(VALU_DEP_1)
	v_mul_hi_u32 v1, v30, v1
	v_mul_lo_u32 v27, v1, s44
	s_delay_alu instid0(VALU_DEP_1) | instskip(NEXT) | instid1(VALU_DEP_1)
	v_dual_add_nc_u32 v32, 1, v1 :: v_dual_sub_nc_u32 v27, v30, v27
	v_subrev_nc_u32_e32 v33, s44, v27
	v_cmp_le_u32_e32 vcc_lo, s44, v27
	s_delay_alu instid0(VALU_DEP_2) | instskip(NEXT) | instid1(VALU_DEP_4)
	v_dual_cndmask_b32 v27, v27, v33, vcc_lo :: v_dual_mov_b32 v33, v26
	v_cndmask_b32_e32 v1, v1, v32, vcc_lo
	s_delay_alu instid0(VALU_DEP_2) | instskip(NEXT) | instid1(VALU_DEP_2)
	v_cmp_le_u32_e32 vcc_lo, s44, v27
	v_add_nc_u32_e32 v32, 1, v1
	s_delay_alu instid0(VALU_DEP_1)
	v_cndmask_b32_e32 v32, v1, v32, vcc_lo
	s_branch .LBB123_24
.LBB123_29:
	s_mov_b32 s37, -1
	s_mov_b32 s0, 0
	s_mov_b32 s60, 0
	s_mov_b32 s1, exec_lo
	v_cmpx_gt_i64_e64 v[24:25], v[28:29]
	s_cbranch_execz .LBB123_35
; %bb.30:
	s_delay_alu instid0(VALU_DEP_2) | instskip(SKIP_2) | instid1(VALU_DEP_1)
	v_lshlrev_b64_e32 v[22:23], 3, v[22:23]
	s_mov_b32 s37, 0
	s_xor_b32 s39, s51, -1
                                        ; implicit-def: $sgpr38
                                        ; implicit-def: $sgpr41
                                        ; implicit-def: $sgpr40
	v_lshl_add_u64 v[26:27], v[28:29], 3, v[22:23]
	v_add_nc_u64_e32 v[28:29], s[16:17], v[22:23]
	s_delay_alu instid0(VALU_DEP_2) | instskip(NEXT) | instid1(VALU_DEP_2)
	v_add_nc_u64_e32 v[26:27], s[16:17], v[26:27]
	v_lshl_add_u64 v[24:25], v[24:25], 3, v[28:29]
	s_delay_alu instid0(VALU_DEP_2)
	v_add_nc_u64_e32 v[22:23], 8, v[26:27]
	s_branch .LBB123_32
.LBB123_31:                             ;   in Loop: Header=BB123_32 Depth=1
	s_or_b32 exec_lo, exec_lo, s42
	s_delay_alu instid0(SALU_CYCLE_1) | instskip(NEXT) | instid1(SALU_CYCLE_1)
	s_and_b32 s42, exec_lo, s41
	s_or_b32 s37, s42, s37
	s_and_not1_b32 s38, s38, exec_lo
	s_and_b32 s42, s40, exec_lo
	s_delay_alu instid0(SALU_CYCLE_1)
	s_or_b32 s38, s38, s42
	s_and_not1_b32 exec_lo, exec_lo, s37
	s_cbranch_execz .LBB123_34
.LBB123_32:                             ; =>This Inner Loop Header: Depth=1
	s_or_b32 s40, s40, exec_lo
	s_or_b32 s41, s41, exec_lo
	s_mov_b32 s42, exec_lo
	s_delay_alu instid0(VALU_DEP_1)
	v_cmpx_lt_u64_e64 v[22:23], v[24:25]
	s_cbranch_execz .LBB123_31
; %bb.33:                               ;   in Loop: Header=BB123_32 Depth=1
	global_load_b128 v[26:29], v[22:23], off offset:-8
	s_and_not1_b32 s41, s41, exec_lo
	s_wait_xcnt 0x0
	v_add_nc_u64_e32 v[22:23], 8, v[22:23]
	s_and_not1_b32 s40, s40, exec_lo
	s_wait_loadcnt 0x0
	v_cmp_ge_i64_e32 vcc_lo, v[26:27], v[28:29]
	s_or_b32 s43, s39, vcc_lo
	s_delay_alu instid0(SALU_CYCLE_1) | instskip(NEXT) | instid1(SALU_CYCLE_1)
	s_and_b32 s43, s43, exec_lo
	s_or_b32 s41, s41, s43
	s_branch .LBB123_31
.LBB123_34:
	s_or_b32 exec_lo, exec_lo, s37
	s_delay_alu instid0(SALU_CYCLE_1)
	s_mov_b32 s60, exec_lo
	s_or_not1_b32 s37, s38, exec_lo
.LBB123_35:
	s_or_b32 exec_lo, exec_lo, s1
	s_mov_b32 s1, 0
	s_mov_b32 s38, 0
	;; [unrolled: 1-line block ×3, first 2 shown]
	s_and_saveexec_b32 s61, s37
	s_cbranch_execz .LBB123_60
; %bb.36:
	s_mov_b32 s0, 0
	s_mov_b32 s1, -1
	s_mov_b32 s37, 0
	s_mov_b32 s62, exec_lo
	s_wait_loadcnt 0x5
	v_cmpx_eq_u64_e64 s[4:5], v[18:19]
	s_cbranch_execz .LBB123_59
; %bb.37:
	s_mov_b32 s0, -1
	s_mov_b32 s40, 0
	s_mov_b32 s41, 0
	s_mov_b32 s63, exec_lo
	s_wait_loadcnt 0x4
	v_cmpx_eq_u64_e64 s[8:9], v[14:15]
	s_cbranch_execz .LBB123_58
; %bb.38:
	s_wait_loadcnt 0x2
	v_sub_nc_u64_e32 v[14:15], v[2:3], v[6:7]
	s_mov_b32 s37, -1
	s_mov_b32 s1, 0
	s_delay_alu instid0(VALU_DEP_1) | instskip(SKIP_2) | instid1(SALU_CYCLE_1)
	v_cmp_le_i64_e32 vcc_lo, s[4:5], v[14:15]
	v_cmp_ge_i64_e64 s0, s[6:7], v[14:15]
	s_and_b32 s0, vcc_lo, s0
	s_and_saveexec_b32 s64, s0
	s_cbranch_execz .LBB123_57
; %bb.39:
	v_mov_b64_e32 v[14:15], 0
	s_and_not1_b32 vcc_lo, exec_lo, s52
	s_cbranch_vccnz .LBB123_46
; %bb.40:
	s_wait_loadcnt 0x0
	v_mul_u64_e32 v[18:19], s[8:9], v[10:11]
	v_mov_b64_e32 v[14:15], 0
	s_mov_b32 s37, s1
	v_mov_b32_e32 v10, 0
	s_lshl_b64 s[42:43], s[36:37], 3
	s_mov_b64 s[38:39], 0xffffffff
	s_add_nc_u64 s[40:41], s[12:13], s[42:43]
	s_add_nc_u64 s[42:43], s[14:15], s[42:43]
	s_mov_b32 s37, s10
	s_branch .LBB123_42
.LBB123_41:                             ;   in Loop: Header=BB123_42 Depth=1
	s_or_b32 exec_lo, exec_lo, s0
	s_delay_alu instid0(VALU_DEP_1)
	v_mul_u64_e32 v[24:25], s[44:45], v[22:23]
	s_load_b64 s[44:45], s[42:43], 0x0
	s_add_co_i32 s37, s37, -1
	s_add_nc_u64 s[40:41], s[40:41], -8
	s_cmp_lg_u32 s37, 0
	s_wait_xcnt 0x0
	s_add_nc_u64 s[42:43], s[42:43], -8
	s_delay_alu instid0(VALU_DEP_1) | instskip(SKIP_1) | instid1(VALU_DEP_1)
	v_sub_nc_u64_e32 v[18:19], v[18:19], v[24:25]
	s_wait_kmcnt 0x0
	v_mad_nc_u64_u32 v[14:15], v18, s44, v[14:15]
	s_delay_alu instid0(VALU_DEP_1) | instskip(NEXT) | instid1(VALU_DEP_1)
	v_mad_u32 v1, v19, s44, v15
	v_mad_u32 v15, v18, s45, v1
	v_mov_b64_e32 v[18:19], v[22:23]
	s_cbranch_scc0 .LBB123_46
.LBB123_42:                             ; =>This Inner Loop Header: Depth=1
	s_load_b64 s[44:45], s[40:41], 0x0
                                        ; implicit-def: $vgpr22_vgpr23
	s_mov_b32 s0, exec_lo
	s_wait_kmcnt 0x0
	s_delay_alu instid0(VALU_DEP_1) | instskip(NEXT) | instid1(VALU_DEP_1)
	v_or_b32_e32 v11, s45, v19
	v_cmpx_ne_u64_e32 0, v[10:11]
	s_xor_b32 s65, exec_lo, s0
	s_cbranch_execz .LBB123_44
; %bb.43:                               ;   in Loop: Header=BB123_42 Depth=1
	s_ashr_i32 s46, s45, 31
	v_dual_mov_b32 v27, v10 :: v_dual_ashrrev_i32 v22, 31, v19
	s_mov_b32 s47, s46
	v_mov_b32_e32 v35, v10
	s_add_nc_u64 s[48:49], s[44:45], s[46:47]
	s_delay_alu instid0(VALU_DEP_2) | instskip(SKIP_1) | instid1(SALU_CYCLE_1)
	v_mov_b32_e32 v23, v22
	s_xor_b64 s[48:49], s[48:49], s[46:47]
	s_cvt_f32_u32 s0, s48
	s_cvt_f32_u32 s47, s49
	s_sub_nc_u64 s[68:69], 0, s[48:49]
	v_add_nc_u64_e32 v[24:25], v[18:19], v[22:23]
	v_mov_b32_e32 v31, v10
	s_fmamk_f32 s0, s47, 0x4f800000, s0
	s_delay_alu instid0(SALU_CYCLE_3) | instskip(NEXT) | instid1(VALU_DEP_2)
	v_s_rcp_f32 s0, s0
	v_xor_b32_e32 v26, v24, v22
	s_delay_alu instid0(VALU_DEP_3) | instskip(SKIP_1) | instid1(TRANS32_DEP_1)
	v_xor_b32_e32 v30, v25, v22
	v_xor_b32_e32 v22, s46, v22
	s_mul_f32 s0, s0, 0x5f7ffffc
	s_delay_alu instid0(SALU_CYCLE_3) | instskip(NEXT) | instid1(SALU_CYCLE_3)
	s_mul_f32 s47, s0, 0x2f800000
	s_trunc_f32 s47, s47
	s_delay_alu instid0(SALU_CYCLE_3) | instskip(SKIP_1) | instid1(SALU_CYCLE_2)
	s_fmamk_f32 s0, s47, 0xcf800000, s0
	s_cvt_u32_f32 s67, s47
	s_cvt_u32_f32 s66, s0
	s_delay_alu instid0(SALU_CYCLE_3) | instskip(NEXT) | instid1(SALU_CYCLE_1)
	s_mul_u64 s[70:71], s[68:69], s[66:67]
	s_mul_hi_u32 s73, s66, s71
	s_mul_i32 s72, s66, s71
	s_mul_hi_u32 s0, s66, s70
	s_mul_i32 s74, s67, s70
	s_add_nc_u64 s[72:73], s[0:1], s[72:73]
	s_mul_hi_u32 s47, s67, s70
	s_mul_hi_u32 s75, s67, s71
	s_add_co_u32 s0, s72, s74
	s_add_co_ci_u32 s0, s73, s47
	s_mul_i32 s70, s67, s71
	s_add_co_ci_u32 s71, s75, 0
	s_delay_alu instid0(SALU_CYCLE_1) | instskip(NEXT) | instid1(SALU_CYCLE_1)
	s_add_nc_u64 s[70:71], s[0:1], s[70:71]
	s_add_co_u32 s66, s66, s70
	s_cselect_b32 s0, -1, 0
	s_delay_alu instid0(SALU_CYCLE_1) | instskip(SKIP_1) | instid1(SALU_CYCLE_1)
	s_cmp_lg_u32 s0, 0
	s_add_co_ci_u32 s67, s67, s71
	s_mul_u64 s[68:69], s[68:69], s[66:67]
	s_delay_alu instid0(SALU_CYCLE_1)
	s_mul_hi_u32 s71, s66, s69
	s_mul_i32 s70, s66, s69
	s_mul_hi_u32 s0, s66, s68
	s_mul_i32 s72, s67, s68
	s_add_nc_u64 s[70:71], s[0:1], s[70:71]
	s_mul_hi_u32 s47, s67, s68
	s_mul_hi_u32 s73, s67, s69
	s_add_co_u32 s0, s70, s72
	s_add_co_ci_u32 s0, s71, s47
	s_mul_i32 s68, s67, s69
	s_add_co_ci_u32 s69, s73, 0
	s_delay_alu instid0(SALU_CYCLE_1) | instskip(NEXT) | instid1(SALU_CYCLE_1)
	s_add_nc_u64 s[68:69], s[0:1], s[68:69]
	s_add_co_u32 s66, s66, s68
	s_cselect_b32 s0, -1, 0
	v_mul_hi_u32 v34, v26, s66
	s_cmp_lg_u32 s0, 0
	s_add_co_ci_u32 s0, s67, s69
	s_and_b64 s[68:69], s[66:67], s[38:39]
	v_mul_u64_e32 v[28:29], s[0:1], v[26:27]
	v_mul_u64_e32 v[24:25], s[68:69], v[30:31]
	v_mul_u64_e32 v[32:33], s[0:1], v[30:31]
	s_delay_alu instid0(VALU_DEP_3) | instskip(NEXT) | instid1(VALU_DEP_1)
	v_add_nc_u64_e32 v[28:29], v[34:35], v[28:29]
	v_add_co_u32 v1, vcc_lo, v28, v24
	s_delay_alu instid0(VALU_DEP_2) | instskip(NEXT) | instid1(VALU_DEP_4)
	v_add_co_ci_u32_e32 v34, vcc_lo, v29, v25, vcc_lo
	v_add_co_ci_u32_e32 v33, vcc_lo, 0, v33, vcc_lo
	s_delay_alu instid0(VALU_DEP_1) | instskip(NEXT) | instid1(VALU_DEP_1)
	v_add_nc_u64_e32 v[24:25], v[34:35], v[32:33]
	v_mul_u64_e32 v[28:29], s[48:49], v[24:25]
	s_delay_alu instid0(VALU_DEP_1) | instskip(NEXT) | instid1(VALU_DEP_2)
	v_sub_nc_u32_e32 v1, v30, v29
	v_sub_co_u32 v11, vcc_lo, v26, v28
	s_delay_alu instid0(VALU_DEP_1) | instskip(NEXT) | instid1(VALU_DEP_3)
	v_sub_co_ci_u32_e64 v30, null, v30, v29, vcc_lo
	v_subrev_co_ci_u32_e64 v1, null, s49, v1, vcc_lo
	s_delay_alu instid0(VALU_DEP_3) | instskip(SKIP_1) | instid1(VALU_DEP_3)
	v_sub_co_u32 v23, s0, v11, s48
	v_add_nc_u64_e32 v[28:29], 1, v[24:25]
	v_subrev_co_ci_u32_e64 v1, null, 0, v1, s0
	s_delay_alu instid0(VALU_DEP_3) | instskip(SKIP_1) | instid1(VALU_DEP_3)
	v_cmp_le_u32_e32 vcc_lo, s48, v23
	v_cndmask_b32_e64 v23, 0, -1, vcc_lo
	v_cmp_le_u32_e32 vcc_lo, s49, v1
	v_cndmask_b32_e64 v26, 0, -1, vcc_lo
	v_cmp_le_u32_e32 vcc_lo, s48, v11
	v_cndmask_b32_e64 v11, 0, -1, vcc_lo
	v_cmp_le_u32_e32 vcc_lo, s49, v30
	v_cndmask_b32_e64 v31, 0, -1, vcc_lo
	v_cmp_eq_u32_e32 vcc_lo, s49, v1
	v_cndmask_b32_e32 v1, v26, v23, vcc_lo
	v_cmp_eq_u32_e32 vcc_lo, s49, v30
	v_add_nc_u64_e32 v[26:27], 2, v[24:25]
	v_dual_mov_b32 v23, v22 :: v_dual_cndmask_b32 v11, v31, v11, vcc_lo
	s_delay_alu instid0(VALU_DEP_4) | instskip(NEXT) | instid1(VALU_DEP_2)
	v_cmp_ne_u32_e32 vcc_lo, 0, v1
	v_cmp_ne_u32_e64 s0, 0, v11
	s_delay_alu instid0(VALU_DEP_4) | instskip(NEXT) | instid1(VALU_DEP_1)
	v_dual_cndmask_b32 v1, v29, v27, vcc_lo :: v_dual_cndmask_b32 v11, v28, v26, vcc_lo
	v_dual_cndmask_b32 v1, v25, v1, s0 :: v_dual_cndmask_b32 v11, v24, v11, s0
	s_delay_alu instid0(VALU_DEP_1) | instskip(NEXT) | instid1(VALU_DEP_2)
	v_xor_b32_e32 v25, v1, v22
	v_xor_b32_e32 v24, v11, v22
	s_delay_alu instid0(VALU_DEP_1)
	v_sub_nc_u64_e32 v[22:23], v[24:25], v[22:23]
.LBB123_44:                             ;   in Loop: Header=BB123_42 Depth=1
	s_and_not1_saveexec_b32 s0, s65
	s_cbranch_execz .LBB123_41
; %bb.45:                               ;   in Loop: Header=BB123_42 Depth=1
	v_cvt_f32_u32_e32 v1, s44
	s_sub_co_i32 s46, 0, s44
	s_delay_alu instid0(VALU_DEP_1) | instskip(SKIP_1) | instid1(TRANS32_DEP_1)
	v_rcp_iflag_f32_e32 v1, v1
	v_nop
	v_mul_f32_e32 v1, 0x4f7ffffe, v1
	s_delay_alu instid0(VALU_DEP_1) | instskip(NEXT) | instid1(VALU_DEP_1)
	v_cvt_u32_f32_e32 v1, v1
	v_mul_lo_u32 v11, s46, v1
	s_delay_alu instid0(VALU_DEP_1) | instskip(NEXT) | instid1(VALU_DEP_1)
	v_mul_hi_u32 v11, v1, v11
	v_add_nc_u32_e32 v1, v1, v11
	s_delay_alu instid0(VALU_DEP_1) | instskip(NEXT) | instid1(VALU_DEP_1)
	v_mul_hi_u32 v1, v18, v1
	v_mul_lo_u32 v11, v1, s44
	s_delay_alu instid0(VALU_DEP_1) | instskip(NEXT) | instid1(VALU_DEP_1)
	v_sub_nc_u32_e32 v11, v18, v11
	v_subrev_nc_u32_e32 v23, s44, v11
	v_cmp_le_u32_e32 vcc_lo, s44, v11
	s_delay_alu instid0(VALU_DEP_2) | instskip(NEXT) | instid1(VALU_DEP_1)
	v_dual_cndmask_b32 v11, v11, v23 :: v_dual_add_nc_u32 v22, 1, v1
	v_dual_cndmask_b32 v1, v1, v22, vcc_lo :: v_dual_mov_b32 v23, v10
	s_delay_alu instid0(VALU_DEP_2) | instskip(NEXT) | instid1(VALU_DEP_2)
	v_cmp_le_u32_e32 vcc_lo, s44, v11
	v_add_nc_u32_e32 v22, 1, v1
	s_delay_alu instid0(VALU_DEP_1)
	v_cndmask_b32_e32 v22, v1, v22, vcc_lo
	s_branch .LBB123_41
.LBB123_46:
	s_mov_b32 s38, -1
	s_mov_b32 s0, 0
	s_mov_b32 s37, 0
	s_mov_b32 s1, exec_lo
	v_cmpx_gt_i64_e64 v[2:3], v[6:7]
	s_cbranch_execz .LBB123_52
; %bb.47:
	s_wait_loadcnt 0x0
	s_delay_alu instid0(VALU_DEP_2) | instskip(SKIP_1) | instid1(VALU_DEP_1)
	v_lshlrev_b64_e32 v[10:11], 3, v[14:15]
	s_xor_b32 s39, s51, -1
                                        ; implicit-def: $sgpr38
                                        ; implicit-def: $sgpr41
                                        ; implicit-def: $sgpr40
	v_lshl_add_u64 v[6:7], v[6:7], 3, v[10:11]
	v_add_nc_u64_e32 v[10:11], s[16:17], v[10:11]
	s_delay_alu instid0(VALU_DEP_2) | instskip(NEXT) | instid1(VALU_DEP_2)
	v_add_nc_u64_e32 v[6:7], s[16:17], v[6:7]
	v_lshl_add_u64 v[2:3], v[2:3], 3, v[10:11]
	s_delay_alu instid0(VALU_DEP_2)
	v_add_nc_u64_e32 v[6:7], 8, v[6:7]
	s_branch .LBB123_49
.LBB123_48:                             ;   in Loop: Header=BB123_49 Depth=1
	s_or_b32 exec_lo, exec_lo, s42
	s_delay_alu instid0(SALU_CYCLE_1) | instskip(NEXT) | instid1(SALU_CYCLE_1)
	s_and_b32 s42, exec_lo, s41
	s_or_b32 s37, s42, s37
	s_and_not1_b32 s38, s38, exec_lo
	s_and_b32 s42, s40, exec_lo
	s_delay_alu instid0(SALU_CYCLE_1)
	s_or_b32 s38, s38, s42
	s_and_not1_b32 exec_lo, exec_lo, s37
	s_cbranch_execz .LBB123_51
.LBB123_49:                             ; =>This Inner Loop Header: Depth=1
	s_or_b32 s40, s40, exec_lo
	s_or_b32 s41, s41, exec_lo
	s_mov_b32 s42, exec_lo
	s_delay_alu instid0(VALU_DEP_1)
	v_cmpx_lt_u64_e64 v[6:7], v[2:3]
	s_cbranch_execz .LBB123_48
; %bb.50:                               ;   in Loop: Header=BB123_49 Depth=1
	global_load_b128 v[22:25], v[6:7], off offset:-8
	s_and_not1_b32 s41, s41, exec_lo
	s_wait_xcnt 0x0
	v_add_nc_u64_e32 v[6:7], 8, v[6:7]
	s_and_not1_b32 s40, s40, exec_lo
	s_wait_loadcnt 0x0
	v_cmp_ge_i64_e32 vcc_lo, v[22:23], v[24:25]
	s_or_b32 s43, s39, vcc_lo
	s_delay_alu instid0(SALU_CYCLE_1) | instskip(NEXT) | instid1(SALU_CYCLE_1)
	s_and_b32 s43, s43, exec_lo
	s_or_b32 s41, s41, s43
	s_branch .LBB123_48
.LBB123_51:
	s_or_b32 exec_lo, exec_lo, s37
	s_delay_alu instid0(SALU_CYCLE_1)
	s_mov_b32 s37, exec_lo
	s_or_not1_b32 s38, s38, exec_lo
.LBB123_52:
	s_or_b32 exec_lo, exec_lo, s1
	s_mov_b32 s41, 0
	s_mov_b32 s39, 0
	s_and_saveexec_b32 s1, s38
	s_cbranch_execz .LBB123_56
; %bb.53:
	s_mov_b32 s38, 0
	s_mov_b32 s39, -1
	s_mov_b32 s0, 0
	s_mov_b32 s40, exec_lo
	v_cmpx_eq_u64_e64 s[4:5], v[20:21]
	s_xor_b32 s40, exec_lo, s40
; %bb.54:
	v_cmp_ne_u64_e32 vcc_lo, s[8:9], v[16:17]
	s_mov_b32 s0, exec_lo
	s_xor_b32 s39, exec_lo, -1
	s_and_b32 s38, vcc_lo, exec_lo
; %bb.55:
	s_or_b32 exec_lo, exec_lo, s40
	s_delay_alu instid0(SALU_CYCLE_1)
	s_and_b32 s39, s39, exec_lo
	s_and_not1_b32 s37, s37, exec_lo
	s_and_b32 s41, s0, exec_lo
	s_and_b32 s0, s38, exec_lo
.LBB123_56:
	s_or_b32 exec_lo, exec_lo, s1
	s_delay_alu instid0(SALU_CYCLE_1)
	s_and_b32 s40, s39, exec_lo
	s_and_b32 s39, s37, exec_lo
	s_xor_b32 s37, exec_lo, -1
	s_and_b32 s38, s41, exec_lo
	s_and_b32 s1, s0, exec_lo
.LBB123_57:
	s_or_b32 exec_lo, exec_lo, s64
	s_delay_alu instid0(SALU_CYCLE_1)
	s_and_b32 s41, s40, exec_lo
	s_and_b32 s39, s39, exec_lo
	;; [unrolled: 1-line block ×4, first 2 shown]
	s_or_not1_b32 s0, s1, exec_lo
.LBB123_58:
	s_or_b32 exec_lo, exec_lo, s63
	s_delay_alu instid0(SALU_CYCLE_1)
	s_or_not1_b32 s1, s41, exec_lo
	s_and_b32 s39, s39, exec_lo
	s_and_b32 s38, s40, exec_lo
	;; [unrolled: 1-line block ×4, first 2 shown]
.LBB123_59:
	s_or_b32 exec_lo, exec_lo, s62
	s_delay_alu instid0(SALU_CYCLE_1)
	s_and_not1_b32 s40, s60, exec_lo
	s_and_b32 s41, s39, exec_lo
	s_and_b32 s39, s1, exec_lo
	s_or_b32 s60, s40, s41
	s_and_b32 s38, s38, exec_lo
	s_and_b32 s1, s37, exec_lo
	;; [unrolled: 1-line block ×3, first 2 shown]
.LBB123_60:
	s_or_b32 exec_lo, exec_lo, s61
	s_delay_alu instid0(SALU_CYCLE_1)
	s_and_b32 s40, s39, exec_lo
	s_and_b32 s39, s60, exec_lo
	s_or_not1_b32 s37, s38, exec_lo
	s_and_b32 s38, s1, exec_lo
	s_and_b32 s1, s0, exec_lo
.LBB123_61:
	s_or_b32 exec_lo, exec_lo, s59
	s_delay_alu instid0(SALU_CYCLE_1)
	s_and_b32 s41, s40, exec_lo
	s_and_b32 s39, s39, exec_lo
	;; [unrolled: 1-line block ×4, first 2 shown]
	s_or_not1_b32 s0, s1, exec_lo
.LBB123_62:
	s_or_b32 exec_lo, exec_lo, s58
	s_delay_alu instid0(SALU_CYCLE_1)
	s_or_not1_b32 s1, s41, exec_lo
	s_and_b32 s39, s39, exec_lo
	s_and_b32 s38, s40, exec_lo
	;; [unrolled: 1-line block ×4, first 2 shown]
.LBB123_63:
	s_or_b32 exec_lo, exec_lo, s57
	s_delay_alu instid0(SALU_CYCLE_1)
	s_and_not1_b32 s40, s55, exec_lo
	s_and_b32 s39, s39, exec_lo
	s_and_b32 s1, s1, exec_lo
	s_or_b32 s55, s40, s39
	s_and_b32 s39, s38, exec_lo
	s_and_b32 s38, s37, exec_lo
	;; [unrolled: 1-line block ×3, first 2 shown]
.LBB123_64:
	s_or_b32 exec_lo, exec_lo, s56
	s_delay_alu instid0(SALU_CYCLE_1)
	s_and_b32 s1, s1, exec_lo
	s_and_b32 s48, s55, exec_lo
	s_or_not1_b32 s37, s39, exec_lo
	s_and_b32 s47, s38, exec_lo
	s_and_b32 s46, s0, exec_lo
.LBB123_65:
	s_or_b32 exec_lo, exec_lo, s54
	s_delay_alu instid0(SALU_CYCLE_1)
	s_and_b32 s1, s1, exec_lo
	s_and_b32 s54, s48, exec_lo
	;; [unrolled: 1-line block ×4, first 2 shown]
	s_or_not1_b32 s42, s46, exec_lo
	s_mov_b32 s55, s10
.LBB123_66:
	s_or_b32 exec_lo, exec_lo, s53
	s_and_saveexec_b32 s38, s42
	s_cbranch_execnz .LBB123_215
.LBB123_67:
	s_or_b32 exec_lo, exec_lo, s38
	s_mov_b32 s38, 0
	s_and_saveexec_b32 s39, s0
	s_delay_alu instid0(SALU_CYCLE_1)
	s_xor_b32 s39, exec_lo, s39
	s_cbranch_execnz .LBB123_141
; %bb.68:
	s_or_b32 exec_lo, exec_lo, s39
	s_and_saveexec_b32 s0, s37
	s_cbranch_execnz .LBB123_142
.LBB123_69:
	s_or_b32 exec_lo, exec_lo, s0
	s_mov_b32 s0, 0
	s_and_saveexec_b32 s53, s38
	s_cbranch_execnz .LBB123_143
.LBB123_70:
	s_or_b32 exec_lo, exec_lo, s53
	s_and_saveexec_b32 s36, s54
	s_cbranch_execnz .LBB123_178
.LBB123_71:
	s_or_b32 exec_lo, exec_lo, s36
	s_and_saveexec_b32 s36, s0
	s_delay_alu instid0(SALU_CYCLE_1)
	s_xor_b32 s0, exec_lo, s36
	s_cbranch_execz .LBB123_73
.LBB123_72:
	s_mov_b32 s36, 0
	s_add_nc_u64 s[34:35], s[18:19], s[34:35]
	s_mov_b32 s37, s36
	s_mov_b32 s38, s36
	;; [unrolled: 1-line block ×3, first 2 shown]
	s_wait_loadcnt 0x2
	v_mov_b64_e32 v[2:3], s[36:37]
	v_mov_b64_e32 v[4:5], s[38:39]
	s_clause 0x1
	global_store_b128 v0, v[2:5], s[34:35] scale_offset
	global_store_b128 v0, v[2:5], s[34:35] offset:4096 scale_offset
.LBB123_73:
	s_wait_xcnt 0x0
	s_or_b32 exec_lo, exec_lo, s0
	s_delay_alu instid0(SALU_CYCLE_1)
	s_and_b32 s3, s3, exec_lo
	s_or_not1_b32 s0, s1, exec_lo
.LBB123_74:
	s_or_b32 exec_lo, exec_lo, s50
.LBB123_75:
	s_and_saveexec_b32 s1, s0
	s_delay_alu instid0(SALU_CYCLE_1)
	s_xor_b32 s0, exec_lo, s1
	s_cbranch_execnz .LBB123_213
.LBB123_76:
	s_or_b32 exec_lo, exec_lo, s0
	s_mov_b32 s0, 0
.LBB123_77:
	s_delay_alu instid0(SALU_CYCLE_1)
	s_and_b32 vcc_lo, exec_lo, s0
	s_cbranch_vccz .LBB123_97
; %bb.78:
	v_mov_b64_e32 v[28:29], 0
	v_mov_b64_e32 v[40:41], 0
	s_wait_loadcnt 0x6
	v_mov_b64_e32 v[36:37], 0
	s_wait_loadcnt 0x1
	v_mov_b64_e32 v[34:35], 0
	v_mov_b64_e32 v[32:33], 0
	;; [unrolled: 1-line block ×3, first 2 shown]
	v_cmp_gt_i32_e64 s0, s11, v0
	v_or_b32_e32 v1, 0x100, v0
	v_mov_b32_e32 v42, v0
	s_and_saveexec_b32 s1, s0
	s_cbranch_execz .LBB123_80
; %bb.79:
	v_or_b32_e32 v2, s2, v0
	v_or_b32_e32 v42, 0x100, v0
	s_clause 0x4
	global_load_b64 v[40:41], v2, s[20:21] scale_offset
	global_load_b64 v[36:37], v2, s[22:23] scale_offset
	;; [unrolled: 1-line block ×5, first 2 shown]
.LBB123_80:
	s_wait_xcnt 0x0
	s_or_b32 exec_lo, exec_lo, s1
	v_mov_b64_e32 v[30:31], 0
	v_mov_b64_e32 v[24:25], 0
	;; [unrolled: 1-line block ×4, first 2 shown]
	s_mov_b32 s1, exec_lo
	v_cmpx_gt_i32_e64 s11, v42
	s_cbranch_execz .LBB123_82
; %bb.81:
	v_add_nc_u32_e32 v2, s2, v42
	v_add_nc_u32_e32 v42, 0x100, v42
	s_clause 0x4
	global_load_b64 v[28:29], v2, s[20:21] scale_offset
	global_load_b64 v[30:31], v2, s[22:23] scale_offset
	;; [unrolled: 1-line block ×5, first 2 shown]
.LBB123_82:
	s_wait_xcnt 0x0
	s_or_b32 exec_lo, exec_lo, s1
	s_wait_loadcnt 0x0
	v_mov_b64_e32 v[10:11], 0
	v_mov_b64_e32 v[20:21], 0
	v_mov_b64_e32 v[18:19], 0
	v_mov_b64_e32 v[14:15], 0
	v_mov_b64_e32 v[12:13], 0
	v_mov_b64_e32 v[16:17], 0
	s_mov_b32 s1, exec_lo
	v_cmpx_gt_i32_e64 s11, v42
	s_cbranch_execz .LBB123_84
; %bb.83:
	v_add_nc_u32_e32 v2, s2, v42
	v_add_nc_u32_e32 v42, 0x100, v42
	s_clause 0x4
	global_load_b64 v[20:21], v2, s[20:21] scale_offset
	global_load_b64 v[18:19], v2, s[22:23] scale_offset
	;; [unrolled: 1-line block ×5, first 2 shown]
.LBB123_84:
	s_wait_xcnt 0x0
	s_or_b32 exec_lo, exec_lo, s1
	v_mov_b64_e32 v[8:9], 0
	v_mov_b64_e32 v[4:5], 0
	;; [unrolled: 1-line block ×4, first 2 shown]
	s_mov_b32 s1, exec_lo
	v_cmpx_gt_i32_e64 s11, v42
	s_cbranch_execz .LBB123_86
; %bb.85:
	v_add_nc_u32_e32 v42, s2, v42
	s_clause 0x4
	global_load_b64 v[10:11], v42, s[20:21] scale_offset
	global_load_b64 v[8:9], v42, s[22:23] scale_offset
	;; [unrolled: 1-line block ×5, first 2 shown]
.LBB123_86:
	s_wait_xcnt 0x0
	s_or_b32 exec_lo, exec_lo, s1
	s_get_pc_i64 s[20:21]
	s_add_nc_u64 s[20:21], s[20:21], .str.7@rel64+4
	s_cmp_lg_u64 s[30:31], 0
	s_get_pc_i64 s[22:23]
	s_add_nc_u64 s[22:23], s[22:23], .str.8@rel64+4
	s_cselect_b32 s43, -1, 0
	s_cmp_lg_u64 s[20:21], 0
	s_mov_b32 s1, -1
	s_cselect_b32 s41, -1, 0
	s_cmp_lg_u64 s[22:23], 0
	s_get_pc_i64 s[22:23]
	s_add_nc_u64 s[22:23], s[22:23], .str.9@rel64+4
	s_cselect_b32 s40, -1, 0
	s_add_co_i32 s20, s10, -1
	s_mov_b32 s48, 0
	s_cmp_gt_i32 s20, -1
	s_mov_b32 s46, 0
	s_cselect_b32 s39, -1, 0
	s_cmp_lg_u64 s[22:23], 0
	s_mov_b32 s45, 0
	s_cselect_b32 s38, -1, 0
	s_mov_b32 s44, 0
	s_mov_b32 s42, 0
	s_and_saveexec_b32 s33, s0
	s_cbranch_execnz .LBB123_106
; %bb.87:
	s_or_b32 exec_lo, exec_lo, s33
	s_mov_b32 s33, 0
	s_and_saveexec_b32 s47, s1
	s_cbranch_execnz .LBB123_160
.LBB123_88:
	s_or_b32 exec_lo, exec_lo, s47
	s_and_saveexec_b32 s1, s46
	s_cbranch_execnz .LBB123_212
.LBB123_89:
	s_or_b32 exec_lo, exec_lo, s1
	s_mov_b32 s1, 0
	s_and_saveexec_b32 s21, s48
	s_delay_alu instid0(SALU_CYCLE_1)
	s_xor_b32 s21, exec_lo, s21
	s_cbranch_execz .LBB123_91
; %bb.90:
	s_wait_loadcnt 0x3
	v_cmp_ne_u64_e32 vcc_lo, s[8:9], v[8:9]
	s_xor_b32 s22, s41, -1
	s_and_not1_b32 s23, s45, exec_lo
	s_mov_b32 s1, exec_lo
	s_or_b32 s22, s22, vcc_lo
	s_delay_alu instid0(SALU_CYCLE_1) | instskip(NEXT) | instid1(SALU_CYCLE_1)
	s_and_b32 s22, s22, exec_lo
	s_or_b32 s45, s23, s22
.LBB123_91:
	s_or_b32 exec_lo, exec_lo, s21
	s_and_saveexec_b32 s21, s45
	s_cbranch_execnz .LBB123_214
.LBB123_92:
	s_or_b32 exec_lo, exec_lo, s21
	s_mov_b32 s21, 0
	s_and_saveexec_b32 s22, s1
	s_delay_alu instid0(SALU_CYCLE_1)
	s_xor_b32 s22, exec_lo, s22
	s_cbranch_execnz .LBB123_116
; %bb.93:
	s_or_b32 exec_lo, exec_lo, s22
	s_and_saveexec_b32 s1, s44
	s_cbranch_execnz .LBB123_117
.LBB123_94:
	s_or_b32 exec_lo, exec_lo, s1
	s_and_saveexec_b32 s24, s21
	s_cbranch_execnz .LBB123_118
.LBB123_95:
	s_or_b32 exec_lo, exec_lo, s24
	s_and_saveexec_b32 s1, s42
	s_cbranch_execnz .LBB123_140
.LBB123_96:
	s_or_b32 exec_lo, exec_lo, s1
	s_and_saveexec_b32 s1, s3
	s_cbranch_execnz .LBB123_98
	s_branch .LBB123_99
.LBB123_97:
                                        ; implicit-def: $sgpr0
                                        ; implicit-def: $vgpr1
                                        ; implicit-def: $vgpr0
	s_and_saveexec_b32 s1, s3
.LBB123_98:
	; divergent unreachable
.LBB123_99:
	s_delay_alu instid0(SALU_CYCLE_1) | instskip(SKIP_1) | instid1(SALU_CYCLE_1)
	s_or_b32 exec_lo, exec_lo, s1
	s_and_saveexec_b32 s1, s33
	s_xor_b32 s1, exec_lo, s1
	s_cbranch_execz .LBB123_105
; %bb.100:
	s_and_saveexec_b32 s1, s0
	s_delay_alu instid0(SALU_CYCLE_1)
	s_xor_b32 s0, exec_lo, s1
	s_cbranch_execnz .LBB123_125
; %bb.101:
	s_or_b32 exec_lo, exec_lo, s0
	s_delay_alu instid0(SALU_CYCLE_1)
	s_mov_b32 s0, exec_lo
	v_cmpx_gt_i32_e64 s11, v0
	s_cbranch_execnz .LBB123_126
.LBB123_102:
	s_or_b32 exec_lo, exec_lo, s0
	s_delay_alu instid0(SALU_CYCLE_1)
	s_mov_b32 s0, exec_lo
	v_cmpx_gt_i32_e64 s11, v0
	s_cbranch_execnz .LBB123_127
.LBB123_103:
	s_or_b32 exec_lo, exec_lo, s0
	s_delay_alu instid0(SALU_CYCLE_1)
	s_mov_b32 s0, exec_lo
	v_cmpx_gt_i32_e64 s11, v0
	s_cbranch_execz .LBB123_105
.LBB123_104:
	s_wait_loadcnt 0x1
	v_mov_b64_e32 v[2:3], 0
	v_add_nc_u32_e32 v0, s2, v0
	global_store_b64 v0, v[2:3], s[18:19] scale_offset
.LBB123_105:
	s_endpgm
.LBB123_106:
	v_cmp_eq_u64_e32 vcc_lo, s[4:5], v[40:41]
	s_mov_b32 s21, -1
	s_mov_b32 s1, 0
	s_mov_b32 s22, 0
	;; [unrolled: 1-line block ×4, first 2 shown]
	s_and_b32 s25, s43, vcc_lo
	s_delay_alu instid0(SALU_CYCLE_1)
	s_and_saveexec_b32 s42, s25
	s_cbranch_execz .LBB123_159
; %bb.107:
	v_cmp_eq_u64_e32 vcc_lo, s[8:9], v[36:37]
	s_and_b32 s24, s41, vcc_lo
	s_delay_alu instid0(SALU_CYCLE_1)
	s_and_saveexec_b32 s44, s24
	s_cbranch_execz .LBB123_158
; %bb.108:
	v_sub_nc_u64_e32 v[36:37], v[32:33], v[34:35]
	s_delay_alu instid0(VALU_DEP_1)
	v_cmp_le_i64_e32 vcc_lo, s[4:5], v[36:37]
	v_cmp_ge_i64_e64 s1, s[6:7], v[36:37]
	s_and_b32 s22, vcc_lo, s1
	s_mov_b32 s1, 0
	s_and_b32 s23, s40, s22
	s_mov_b32 s22, 0
	s_and_saveexec_b32 s45, s23
	s_cbranch_execz .LBB123_157
; %bb.109:
	v_cmp_lt_i64_e64 s1, s[8:9], 1
	v_mov_b64_e32 v[36:37], 0
	s_xor_b32 s21, s39, -1
	s_delay_alu instid0(SALU_CYCLE_1) | instskip(NEXT) | instid1(SALU_CYCLE_1)
	s_or_b32 s1, s1, s21
	s_and_b32 vcc_lo, exec_lo, s1
	s_cbranch_vccnz .LBB123_133
; %bb.110:
	v_mul_u64_e32 v[40:41], s[8:9], v[38:39]
	s_mov_b32 s23, 0
	v_mov_b64_e32 v[36:37], 0
	s_mov_b32 s21, s23
	v_mov_b32_e32 v38, 0
	s_lshl_b64 s[28:29], s[20:21], 3
	s_mov_b64 s[24:25], 0xffffffff
	s_add_nc_u64 s[26:27], s[12:13], s[28:29]
	s_add_nc_u64 s[28:29], s[14:15], s[28:29]
	s_mov_b32 s21, s10
	s_branch .LBB123_112
.LBB123_111:                            ;   in Loop: Header=BB123_112 Depth=1
	s_or_b32 exec_lo, exec_lo, s1
	s_delay_alu instid0(VALU_DEP_1)
	v_mul_u64_e32 v[44:45], s[30:31], v[42:43]
	s_load_b64 s[30:31], s[28:29], 0x0
	s_add_co_i32 s21, s21, -1
	s_add_nc_u64 s[26:27], s[26:27], -8
	s_cmp_eq_u32 s21, 0
	s_wait_xcnt 0x0
	s_add_nc_u64 s[28:29], s[28:29], -8
	s_delay_alu instid0(VALU_DEP_1) | instskip(SKIP_1) | instid1(VALU_DEP_1)
	v_sub_nc_u64_e32 v[40:41], v[40:41], v[44:45]
	s_wait_kmcnt 0x0
	v_mad_nc_u64_u32 v[36:37], v40, s30, v[36:37]
	s_delay_alu instid0(VALU_DEP_1) | instskip(NEXT) | instid1(VALU_DEP_1)
	v_mad_u32 v37, v41, s30, v37
	v_mad_u32 v37, v40, s31, v37
	v_mov_b64_e32 v[40:41], v[42:43]
	s_cbranch_scc1 .LBB123_133
.LBB123_112:                            ; =>This Inner Loop Header: Depth=1
	s_load_b64 s[30:31], s[26:27], 0x0
                                        ; implicit-def: $vgpr42_vgpr43
	s_mov_b32 s1, exec_lo
	s_wait_kmcnt 0x0
	s_delay_alu instid0(VALU_DEP_1) | instskip(NEXT) | instid1(VALU_DEP_1)
	v_or_b32_e32 v39, s31, v41
	v_cmpx_ne_u64_e32 0, v[38:39]
	s_xor_b32 s46, exec_lo, s1
	s_cbranch_execz .LBB123_114
; %bb.113:                              ;   in Loop: Header=BB123_112 Depth=1
	s_ashr_i32 s34, s31, 31
	v_dual_mov_b32 v47, v38 :: v_dual_ashrrev_i32 v42, 31, v41
	s_mov_b32 s35, s34
	v_mov_b32_e32 v55, v38
	s_add_nc_u64 s[36:37], s[30:31], s[34:35]
	s_delay_alu instid0(VALU_DEP_2) | instskip(SKIP_1) | instid1(SALU_CYCLE_1)
	v_mov_b32_e32 v43, v42
	s_xor_b64 s[36:37], s[36:37], s[34:35]
	s_cvt_f32_u32 s1, s36
	s_cvt_f32_u32 s22, s37
	s_sub_nc_u64 s[52:53], 0, s[36:37]
	v_add_nc_u64_e32 v[44:45], v[40:41], v[42:43]
	v_mov_b32_e32 v51, v38
	s_fmamk_f32 s1, s22, 0x4f800000, s1
	s_delay_alu instid0(SALU_CYCLE_3) | instskip(NEXT) | instid1(VALU_DEP_2)
	v_s_rcp_f32 s1, s1
	v_xor_b32_e32 v46, v44, v42
	s_delay_alu instid0(VALU_DEP_3) | instskip(NEXT) | instid1(TRANS32_DEP_1)
	v_xor_b32_e32 v50, v45, v42
	s_mul_f32 s1, s1, 0x5f7ffffc
	s_delay_alu instid0(SALU_CYCLE_3) | instskip(NEXT) | instid1(SALU_CYCLE_3)
	s_mul_f32 s22, s1, 0x2f800000
	s_trunc_f32 s22, s22
	s_delay_alu instid0(SALU_CYCLE_3) | instskip(SKIP_1) | instid1(SALU_CYCLE_2)
	s_fmamk_f32 s1, s22, 0xcf800000, s1
	s_cvt_u32_f32 s51, s22
	s_cvt_u32_f32 s50, s1
	s_delay_alu instid0(SALU_CYCLE_3) | instskip(NEXT) | instid1(SALU_CYCLE_1)
	s_mul_u64 s[54:55], s[52:53], s[50:51]
	s_mul_hi_u32 s57, s50, s55
	s_mul_i32 s56, s50, s55
	s_mul_hi_u32 s22, s50, s54
	s_mul_i32 s35, s51, s54
	s_add_nc_u64 s[56:57], s[22:23], s[56:57]
	s_mul_hi_u32 s1, s51, s54
	s_mul_hi_u32 s47, s51, s55
	s_add_co_u32 s22, s56, s35
	s_add_co_ci_u32 s22, s57, s1
	s_mul_i32 s54, s51, s55
	s_add_co_ci_u32 s55, s47, 0
	s_delay_alu instid0(SALU_CYCLE_1) | instskip(NEXT) | instid1(SALU_CYCLE_1)
	s_add_nc_u64 s[54:55], s[22:23], s[54:55]
	s_add_co_u32 s50, s50, s54
	s_cselect_b32 s1, -1, 0
	s_delay_alu instid0(SALU_CYCLE_1) | instskip(SKIP_1) | instid1(SALU_CYCLE_1)
	s_cmp_lg_u32 s1, 0
	s_add_co_ci_u32 s51, s51, s55
	s_mul_u64 s[52:53], s[52:53], s[50:51]
	s_delay_alu instid0(SALU_CYCLE_1)
	s_mul_hi_u32 s55, s50, s53
	s_mul_i32 s54, s50, s53
	s_mul_hi_u32 s22, s50, s52
	s_mul_i32 s35, s51, s52
	s_add_nc_u64 s[54:55], s[22:23], s[54:55]
	s_mul_hi_u32 s1, s51, s52
	s_mul_hi_u32 s47, s51, s53
	s_add_co_u32 s22, s54, s35
	s_add_co_ci_u32 s22, s55, s1
	s_mul_i32 s52, s51, s53
	s_add_co_ci_u32 s53, s47, 0
	s_delay_alu instid0(SALU_CYCLE_1) | instskip(NEXT) | instid1(SALU_CYCLE_1)
	s_add_nc_u64 s[52:53], s[22:23], s[52:53]
	s_add_co_u32 s50, s50, s52
	s_cselect_b32 s1, -1, 0
	v_mul_hi_u32 v54, v46, s50
	s_cmp_lg_u32 s1, 0
	s_add_co_ci_u32 s22, s51, s53
	s_and_b64 s[52:53], s[50:51], s[24:25]
	v_mul_u64_e32 v[48:49], s[22:23], v[46:47]
	v_mul_u64_e32 v[44:45], s[52:53], v[50:51]
	;; [unrolled: 1-line block ×3, first 2 shown]
	s_delay_alu instid0(VALU_DEP_3) | instskip(NEXT) | instid1(VALU_DEP_1)
	v_add_nc_u64_e32 v[48:49], v[54:55], v[48:49]
	v_add_co_u32 v39, vcc_lo, v48, v44
	s_delay_alu instid0(VALU_DEP_2) | instskip(NEXT) | instid1(VALU_DEP_4)
	v_add_co_ci_u32_e32 v54, vcc_lo, v49, v45, vcc_lo
	v_add_co_ci_u32_e32 v53, vcc_lo, 0, v53, vcc_lo
	s_delay_alu instid0(VALU_DEP_1) | instskip(NEXT) | instid1(VALU_DEP_1)
	v_add_nc_u64_e32 v[44:45], v[54:55], v[52:53]
	v_mul_u64_e32 v[48:49], s[36:37], v[44:45]
	s_delay_alu instid0(VALU_DEP_1) | instskip(NEXT) | instid1(VALU_DEP_2)
	v_sub_nc_u32_e32 v39, v50, v49
	v_sub_co_u32 v43, vcc_lo, v46, v48
	s_delay_alu instid0(VALU_DEP_1) | instskip(NEXT) | instid1(VALU_DEP_3)
	v_sub_co_ci_u32_e64 v50, null, v50, v49, vcc_lo
	v_subrev_co_ci_u32_e64 v39, null, s37, v39, vcc_lo
	s_delay_alu instid0(VALU_DEP_3) | instskip(SKIP_1) | instid1(VALU_DEP_3)
	v_sub_co_u32 v46, s1, v43, s36
	v_add_nc_u64_e32 v[48:49], 1, v[44:45]
	v_subrev_co_ci_u32_e64 v39, null, 0, v39, s1
	s_delay_alu instid0(VALU_DEP_3) | instskip(SKIP_1) | instid1(VALU_DEP_3)
	v_cmp_le_u32_e32 vcc_lo, s36, v46
	v_cndmask_b32_e64 v46, 0, -1, vcc_lo
	v_cmp_le_u32_e32 vcc_lo, s37, v39
	v_cndmask_b32_e64 v47, 0, -1, vcc_lo
	;; [unrolled: 2-line block ×4, first 2 shown]
	v_cmp_eq_u32_e32 vcc_lo, s37, v39
	v_cndmask_b32_e32 v39, v47, v46, vcc_lo
	v_cmp_eq_u32_e32 vcc_lo, s37, v50
	v_add_nc_u64_e32 v[46:47], 2, v[44:45]
	v_cndmask_b32_e32 v43, v51, v43, vcc_lo
	s_delay_alu instid0(VALU_DEP_4) | instskip(NEXT) | instid1(VALU_DEP_2)
	v_cmp_ne_u32_e32 vcc_lo, 0, v39
	v_cmp_ne_u32_e64 s1, 0, v43
	s_delay_alu instid0(VALU_DEP_4) | instskip(NEXT) | instid1(VALU_DEP_1)
	v_dual_cndmask_b32 v39, v49, v47, vcc_lo :: v_dual_cndmask_b32 v43, v48, v46, vcc_lo
	v_dual_cndmask_b32 v39, v45, v39, s1 :: v_dual_bitop2_b32 v42, s34, v42 bitop3:0x14
	s_delay_alu instid0(VALU_DEP_1) | instskip(NEXT) | instid1(VALU_DEP_2)
	v_dual_cndmask_b32 v44, v44, v43, s1 :: v_dual_mov_b32 v43, v42
	v_xor_b32_e32 v45, v39, v42
	s_delay_alu instid0(VALU_DEP_2) | instskip(NEXT) | instid1(VALU_DEP_1)
	v_xor_b32_e32 v44, v44, v42
	v_sub_nc_u64_e32 v[42:43], v[44:45], v[42:43]
.LBB123_114:                            ;   in Loop: Header=BB123_112 Depth=1
	s_and_not1_saveexec_b32 s1, s46
	s_cbranch_execz .LBB123_111
; %bb.115:                              ;   in Loop: Header=BB123_112 Depth=1
	v_cvt_f32_u32_e32 v39, s30
	s_sub_co_i32 s22, 0, s30
	s_delay_alu instid0(VALU_DEP_1) | instskip(SKIP_1) | instid1(TRANS32_DEP_1)
	v_rcp_iflag_f32_e32 v39, v39
	v_nop
	v_mul_f32_e32 v39, 0x4f7ffffe, v39
	s_delay_alu instid0(VALU_DEP_1) | instskip(NEXT) | instid1(VALU_DEP_1)
	v_cvt_u32_f32_e32 v39, v39
	v_mul_lo_u32 v42, s22, v39
	s_delay_alu instid0(VALU_DEP_1) | instskip(NEXT) | instid1(VALU_DEP_1)
	v_mul_hi_u32 v42, v39, v42
	v_add_nc_u32_e32 v39, v39, v42
	s_delay_alu instid0(VALU_DEP_1) | instskip(NEXT) | instid1(VALU_DEP_1)
	v_mul_hi_u32 v39, v40, v39
	v_mul_lo_u32 v42, v39, s30
	s_delay_alu instid0(VALU_DEP_1) | instskip(NEXT) | instid1(VALU_DEP_1)
	v_dual_add_nc_u32 v43, 1, v39 :: v_dual_sub_nc_u32 v42, v40, v42
	v_subrev_nc_u32_e32 v44, s30, v42
	v_cmp_le_u32_e32 vcc_lo, s30, v42
	s_delay_alu instid0(VALU_DEP_2) | instskip(NEXT) | instid1(VALU_DEP_1)
	v_dual_cndmask_b32 v42, v42, v44 :: v_dual_cndmask_b32 v39, v39, v43
	v_cmp_le_u32_e32 vcc_lo, s30, v42
	s_delay_alu instid0(VALU_DEP_2) | instskip(NEXT) | instid1(VALU_DEP_1)
	v_add_nc_u32_e32 v43, 1, v39
	v_dual_cndmask_b32 v42, v39, v43 :: v_dual_mov_b32 v43, v38
	s_branch .LBB123_111
.LBB123_116:
	s_wait_loadcnt 0x1
	v_sub_nc_u64_e32 v[8:9], v[2:3], v[4:5]
	s_mov_b32 s21, exec_lo
	s_delay_alu instid0(VALU_DEP_1) | instskip(SKIP_3) | instid1(SALU_CYCLE_1)
	v_cmp_le_i64_e32 vcc_lo, s[4:5], v[8:9]
	v_cmp_ge_i64_e64 s1, s[6:7], v[8:9]
	s_and_not1_b32 s4, s44, exec_lo
	s_and_b32 s1, vcc_lo, s1
	s_and_b32 s1, s40, s1
	s_delay_alu instid0(SALU_CYCLE_1) | instskip(NEXT) | instid1(SALU_CYCLE_1)
	s_xor_b32 s1, s1, -1
	s_and_b32 s1, s1, exec_lo
	s_delay_alu instid0(SALU_CYCLE_1)
	s_or_b32 s44, s4, s1
	s_or_b32 exec_lo, exec_lo, s22
	s_and_saveexec_b32 s1, s44
	s_cbranch_execz .LBB123_94
.LBB123_117:
	s_or_b32 s3, s3, exec_lo
	s_and_not1_b32 s21, s21, exec_lo
	s_trap 2
	s_or_b32 exec_lo, exec_lo, s1
	s_and_saveexec_b32 s24, s21
	s_cbranch_execz .LBB123_95
.LBB123_118:
	v_cmp_lt_i64_e64 s1, s[8:9], 1
	s_wait_loadcnt 0x3
	v_mov_b64_e32 v[8:9], 0
	s_xor_b32 s4, s39, -1
	s_delay_alu instid0(SALU_CYCLE_1) | instskip(NEXT) | instid1(SALU_CYCLE_1)
	s_or_b32 s1, s1, s4
	s_and_b32 vcc_lo, exec_lo, s1
	s_cbranch_vccnz .LBB123_128
; %bb.119:
	s_wait_loadcnt 0x0
	v_mul_u64_e32 v[10:11], s[8:9], v[6:7]
	v_mov_b64_e32 v[8:9], 0
	s_mov_b32 s21, 0
	v_mov_b32_e32 v6, 0
	s_lshl_b64 s[8:9], s[20:21], 3
	s_mov_b64 s[4:5], 0xffffffff
	s_add_nc_u64 s[6:7], s[12:13], s[8:9]
	s_add_nc_u64 s[8:9], s[14:15], s[8:9]
	s_branch .LBB123_121
.LBB123_120:                            ;   in Loop: Header=BB123_121 Depth=1
	s_or_b32 exec_lo, exec_lo, s1
	s_delay_alu instid0(VALU_DEP_1)
	v_mul_u64_e32 v[14:15], s[12:13], v[12:13]
	s_load_b64 s[12:13], s[8:9], 0x0
	s_add_co_i32 s10, s10, -1
	s_add_nc_u64 s[6:7], s[6:7], -8
	s_cmp_lg_u32 s10, 0
	s_wait_xcnt 0x0
	s_add_nc_u64 s[8:9], s[8:9], -8
	s_delay_alu instid0(VALU_DEP_1) | instskip(SKIP_1) | instid1(VALU_DEP_1)
	v_sub_nc_u64_e32 v[10:11], v[10:11], v[14:15]
	s_wait_kmcnt 0x0
	v_mad_nc_u64_u32 v[8:9], v10, s12, v[8:9]
	s_delay_alu instid0(VALU_DEP_1) | instskip(NEXT) | instid1(VALU_DEP_1)
	v_mad_u32 v7, v11, s12, v9
	v_mad_u32 v9, v10, s13, v7
	v_mov_b64_e32 v[10:11], v[12:13]
	s_cbranch_scc0 .LBB123_128
.LBB123_121:                            ; =>This Inner Loop Header: Depth=1
	s_load_b64 s[12:13], s[6:7], 0x0
                                        ; implicit-def: $vgpr12_vgpr13
	s_mov_b32 s1, exec_lo
	s_wait_kmcnt 0x0
	s_delay_alu instid0(VALU_DEP_1) | instskip(NEXT) | instid1(VALU_DEP_1)
	v_or_b32_e32 v7, s13, v11
	v_cmpx_ne_u64_e32 0, v[6:7]
	s_xor_b32 s25, exec_lo, s1
	s_cbranch_execz .LBB123_123
; %bb.122:                              ;   in Loop: Header=BB123_121 Depth=1
	s_ashr_i32 s14, s13, 31
	v_dual_mov_b32 v17, v6 :: v_dual_ashrrev_i32 v12, 31, v11
	s_mov_b32 s15, s14
	s_delay_alu instid0(SALU_CYCLE_1) | instskip(NEXT) | instid1(VALU_DEP_1)
	s_add_nc_u64 s[22:23], s[12:13], s[14:15]
	v_mov_b32_e32 v13, v12
	s_xor_b64 s[22:23], s[22:23], s[14:15]
	s_delay_alu instid0(SALU_CYCLE_1)
	s_cvt_f32_u32 s1, s22
	s_cvt_f32_u32 s15, s23
	s_sub_nc_u64 s[28:29], 0, s[22:23]
	v_add_nc_u64_e32 v[14:15], v[10:11], v[12:13]
	v_mov_b32_e32 v21, v6
	s_fmamk_f32 s1, s15, 0x4f800000, s1
	s_delay_alu instid0(SALU_CYCLE_3) | instskip(NEXT) | instid1(VALU_DEP_2)
	v_s_rcp_f32 s1, s1
	v_xor_b32_e32 v16, v14, v12
	s_delay_alu instid0(VALU_DEP_3) | instskip(SKIP_1) | instid1(TRANS32_DEP_1)
	v_dual_mov_b32 v25, v6 :: v_dual_bitop2_b32 v20, v15, v12 bitop3:0x14
	v_xor_b32_e32 v12, s14, v12
	s_mul_f32 s1, s1, 0x5f7ffffc
	s_delay_alu instid0(SALU_CYCLE_3) | instskip(NEXT) | instid1(SALU_CYCLE_3)
	s_mul_f32 s15, s1, 0x2f800000
	s_trunc_f32 s15, s15
	s_delay_alu instid0(SALU_CYCLE_3) | instskip(SKIP_1) | instid1(SALU_CYCLE_2)
	s_fmamk_f32 s1, s15, 0xcf800000, s1
	s_cvt_u32_f32 s27, s15
	s_cvt_u32_f32 s26, s1
	s_delay_alu instid0(SALU_CYCLE_3) | instskip(NEXT) | instid1(SALU_CYCLE_1)
	s_mul_u64 s[30:31], s[28:29], s[26:27]
	s_mul_hi_u32 s35, s26, s31
	s_mul_i32 s34, s26, s31
	s_mul_hi_u32 s20, s26, s30
	s_mul_i32 s15, s27, s30
	s_add_nc_u64 s[34:35], s[20:21], s[34:35]
	s_mul_hi_u32 s1, s27, s30
	s_mul_hi_u32 s36, s27, s31
	s_add_co_u32 s15, s34, s15
	s_add_co_ci_u32 s20, s35, s1
	s_mul_i32 s30, s27, s31
	s_add_co_ci_u32 s31, s36, 0
	s_delay_alu instid0(SALU_CYCLE_1) | instskip(NEXT) | instid1(SALU_CYCLE_1)
	s_add_nc_u64 s[30:31], s[20:21], s[30:31]
	s_add_co_u32 s26, s26, s30
	s_cselect_b32 s1, -1, 0
	s_delay_alu instid0(SALU_CYCLE_1) | instskip(SKIP_1) | instid1(SALU_CYCLE_1)
	s_cmp_lg_u32 s1, 0
	s_add_co_ci_u32 s27, s27, s31
	s_mul_u64 s[28:29], s[28:29], s[26:27]
	s_delay_alu instid0(SALU_CYCLE_1)
	s_mul_hi_u32 s31, s26, s29
	s_mul_i32 s30, s26, s29
	s_mul_hi_u32 s20, s26, s28
	s_mul_i32 s15, s27, s28
	s_add_nc_u64 s[30:31], s[20:21], s[30:31]
	s_mul_hi_u32 s1, s27, s28
	s_mul_hi_u32 s34, s27, s29
	s_add_co_u32 s15, s30, s15
	s_add_co_ci_u32 s20, s31, s1
	s_mul_i32 s28, s27, s29
	s_add_co_ci_u32 s29, s34, 0
	s_delay_alu instid0(SALU_CYCLE_1) | instskip(NEXT) | instid1(SALU_CYCLE_1)
	s_add_nc_u64 s[28:29], s[20:21], s[28:29]
	s_add_co_u32 s26, s26, s28
	s_cselect_b32 s1, -1, 0
	v_mul_hi_u32 v24, v16, s26
	s_cmp_lg_u32 s1, 0
	s_add_co_ci_u32 s20, s27, s29
	s_and_b64 s[28:29], s[26:27], s[4:5]
	v_mul_u64_e32 v[18:19], s[20:21], v[16:17]
	v_mul_u64_e32 v[14:15], s[28:29], v[20:21]
	;; [unrolled: 1-line block ×3, first 2 shown]
	s_delay_alu instid0(VALU_DEP_3) | instskip(NEXT) | instid1(VALU_DEP_1)
	v_add_nc_u64_e32 v[18:19], v[24:25], v[18:19]
	v_add_co_u32 v7, vcc_lo, v18, v14
	s_delay_alu instid0(VALU_DEP_2) | instskip(NEXT) | instid1(VALU_DEP_4)
	v_add_co_ci_u32_e32 v24, vcc_lo, v19, v15, vcc_lo
	v_add_co_ci_u32_e32 v23, vcc_lo, 0, v23, vcc_lo
	s_delay_alu instid0(VALU_DEP_1) | instskip(NEXT) | instid1(VALU_DEP_1)
	v_add_nc_u64_e32 v[14:15], v[24:25], v[22:23]
	v_mul_u64_e32 v[18:19], s[22:23], v[14:15]
	s_delay_alu instid0(VALU_DEP_1) | instskip(NEXT) | instid1(VALU_DEP_2)
	v_sub_nc_u32_e32 v7, v20, v19
	v_sub_co_u32 v13, vcc_lo, v16, v18
	s_delay_alu instid0(VALU_DEP_1) | instskip(NEXT) | instid1(VALU_DEP_3)
	v_sub_co_ci_u32_e64 v20, null, v20, v19, vcc_lo
	v_subrev_co_ci_u32_e64 v7, null, s23, v7, vcc_lo
	s_delay_alu instid0(VALU_DEP_3) | instskip(SKIP_1) | instid1(VALU_DEP_3)
	v_sub_co_u32 v16, s1, v13, s22
	v_add_nc_u64_e32 v[18:19], 1, v[14:15]
	v_subrev_co_ci_u32_e64 v7, null, 0, v7, s1
	s_delay_alu instid0(VALU_DEP_3) | instskip(SKIP_1) | instid1(VALU_DEP_3)
	v_cmp_le_u32_e32 vcc_lo, s22, v16
	v_cndmask_b32_e64 v16, 0, -1, vcc_lo
	v_cmp_le_u32_e32 vcc_lo, s23, v7
	v_cndmask_b32_e64 v17, 0, -1, vcc_lo
	;; [unrolled: 2-line block ×4, first 2 shown]
	v_cmp_eq_u32_e32 vcc_lo, s23, v7
	v_cndmask_b32_e32 v7, v17, v16, vcc_lo
	v_cmp_eq_u32_e32 vcc_lo, s23, v20
	v_add_nc_u64_e32 v[16:17], 2, v[14:15]
	v_cndmask_b32_e32 v13, v21, v13, vcc_lo
	s_delay_alu instid0(VALU_DEP_4) | instskip(NEXT) | instid1(VALU_DEP_2)
	v_cmp_ne_u32_e32 vcc_lo, 0, v7
	v_cmp_ne_u32_e64 s1, 0, v13
	s_delay_alu instid0(VALU_DEP_4) | instskip(NEXT) | instid1(VALU_DEP_1)
	v_dual_cndmask_b32 v7, v19, v17, vcc_lo :: v_dual_cndmask_b32 v13, v18, v16, vcc_lo
	v_dual_cndmask_b32 v14, v14, v13, s1 :: v_dual_mov_b32 v13, v12
	s_delay_alu instid0(VALU_DEP_1) | instskip(NEXT) | instid1(VALU_DEP_1)
	v_dual_cndmask_b32 v7, v15, v7, s1 :: v_dual_bitop2_b32 v14, v14, v12 bitop3:0x14
	v_xor_b32_e32 v15, v7, v12
	s_delay_alu instid0(VALU_DEP_1)
	v_sub_nc_u64_e32 v[12:13], v[14:15], v[12:13]
.LBB123_123:                            ;   in Loop: Header=BB123_121 Depth=1
	s_and_not1_saveexec_b32 s1, s25
	s_cbranch_execz .LBB123_120
; %bb.124:                              ;   in Loop: Header=BB123_121 Depth=1
	v_cvt_f32_u32_e32 v7, s12
	s_sub_co_i32 s14, 0, s12
	s_delay_alu instid0(VALU_DEP_1) | instskip(SKIP_1) | instid1(TRANS32_DEP_1)
	v_rcp_iflag_f32_e32 v7, v7
	v_nop
	v_mul_f32_e32 v7, 0x4f7ffffe, v7
	s_delay_alu instid0(VALU_DEP_1) | instskip(NEXT) | instid1(VALU_DEP_1)
	v_cvt_u32_f32_e32 v7, v7
	v_mul_lo_u32 v12, s14, v7
	s_delay_alu instid0(VALU_DEP_1) | instskip(NEXT) | instid1(VALU_DEP_1)
	v_mul_hi_u32 v12, v7, v12
	v_add_nc_u32_e32 v7, v7, v12
	s_delay_alu instid0(VALU_DEP_1) | instskip(NEXT) | instid1(VALU_DEP_1)
	v_mul_hi_u32 v7, v10, v7
	v_mul_lo_u32 v12, v7, s12
	s_delay_alu instid0(VALU_DEP_1) | instskip(NEXT) | instid1(VALU_DEP_1)
	v_dual_add_nc_u32 v13, 1, v7 :: v_dual_sub_nc_u32 v12, v10, v12
	v_subrev_nc_u32_e32 v14, s12, v12
	v_cmp_le_u32_e32 vcc_lo, s12, v12
	s_delay_alu instid0(VALU_DEP_2) | instskip(NEXT) | instid1(VALU_DEP_1)
	v_dual_cndmask_b32 v12, v12, v14 :: v_dual_cndmask_b32 v7, v7, v13
	v_cmp_le_u32_e32 vcc_lo, s12, v12
	s_delay_alu instid0(VALU_DEP_2) | instskip(NEXT) | instid1(VALU_DEP_1)
	v_add_nc_u32_e32 v13, 1, v7
	v_dual_cndmask_b32 v12, v7, v13 :: v_dual_mov_b32 v13, v6
	s_branch .LBB123_120
.LBB123_125:
	s_wait_loadcnt 0x1
	v_mov_b64_e32 v[2:3], 0
	v_dual_mov_b32 v0, v1 :: v_dual_bitop2_b32 v4, s2, v0 bitop3:0x54
	global_store_b64 v4, v[2:3], s[18:19] scale_offset
	s_wait_xcnt 0x0
	s_or_b32 exec_lo, exec_lo, s0
	s_delay_alu instid0(SALU_CYCLE_1)
	s_mov_b32 s0, exec_lo
	v_cmpx_gt_i32_e64 s11, v0
	s_cbranch_execz .LBB123_102
.LBB123_126:
	s_wait_loadcnt 0x1
	v_mov_b64_e32 v[2:3], 0
	v_add_nc_u32_e32 v1, s2, v0
	v_add_nc_u32_e32 v0, 0x100, v0
	global_store_b64 v1, v[2:3], s[18:19] scale_offset
	s_wait_xcnt 0x0
	s_or_b32 exec_lo, exec_lo, s0
	s_delay_alu instid0(SALU_CYCLE_1)
	s_mov_b32 s0, exec_lo
	v_cmpx_gt_i32_e64 s11, v0
	s_cbranch_execz .LBB123_103
.LBB123_127:
	s_wait_loadcnt 0x1
	v_mov_b64_e32 v[2:3], 0
	v_add_nc_u32_e32 v1, s2, v0
	v_add_nc_u32_e32 v0, 0x100, v0
	global_store_b64 v1, v[2:3], s[18:19] scale_offset
	s_wait_xcnt 0x0
	s_or_b32 exec_lo, exec_lo, s0
	s_delay_alu instid0(SALU_CYCLE_1)
	s_mov_b32 s0, exec_lo
	v_cmpx_gt_i32_e64 s11, v0
	s_cbranch_execnz .LBB123_104
	s_branch .LBB123_105
.LBB123_128:
	s_mov_b32 s4, s42
	s_mov_b32 s1, exec_lo
	s_wait_loadcnt 0x1
	v_cmpx_gt_i64_e64 v[2:3], v[4:5]
	s_cbranch_execz .LBB123_139
; %bb.129:
	s_wait_loadcnt 0x0
	s_delay_alu instid0(VALU_DEP_2) | instskip(SKIP_2) | instid1(VALU_DEP_1)
	v_lshlrev_b64_e32 v[6:7], 3, v[8:9]
	s_mov_b32 s4, 0
	s_xor_b32 s6, s38, -1
                                        ; implicit-def: $sgpr5
                                        ; implicit-def: $sgpr8
                                        ; implicit-def: $sgpr7
	v_lshl_add_u64 v[4:5], v[4:5], 3, v[6:7]
	v_add_nc_u64_e32 v[6:7], s[16:17], v[6:7]
	s_delay_alu instid0(VALU_DEP_2) | instskip(NEXT) | instid1(VALU_DEP_2)
	v_add_nc_u64_e32 v[4:5], s[16:17], v[4:5]
	v_lshl_add_u64 v[2:3], v[2:3], 3, v[6:7]
	s_delay_alu instid0(VALU_DEP_2)
	v_add_nc_u64_e32 v[4:5], 8, v[4:5]
	s_branch .LBB123_131
.LBB123_130:                            ;   in Loop: Header=BB123_131 Depth=1
	s_or_b32 exec_lo, exec_lo, s9
	s_xor_b32 s9, s7, -1
	s_and_b32 s10, exec_lo, s8
	s_delay_alu instid0(SALU_CYCLE_1) | instskip(SKIP_2) | instid1(SALU_CYCLE_1)
	s_or_b32 s4, s10, s4
	s_and_not1_b32 s5, s5, exec_lo
	s_and_b32 s9, s9, exec_lo
	s_or_b32 s5, s5, s9
	s_and_not1_b32 exec_lo, exec_lo, s4
	s_cbranch_execz .LBB123_138
.LBB123_131:                            ; =>This Inner Loop Header: Depth=1
	s_or_b32 s7, s7, exec_lo
	s_or_b32 s8, s8, exec_lo
	s_mov_b32 s9, exec_lo
	s_delay_alu instid0(VALU_DEP_1)
	v_cmpx_lt_u64_e64 v[4:5], v[2:3]
	s_cbranch_execz .LBB123_130
; %bb.132:                              ;   in Loop: Header=BB123_131 Depth=1
	global_load_b128 v[6:9], v[4:5], off offset:-8
	s_wait_xcnt 0x0
	v_add_nc_u64_e32 v[4:5], 8, v[4:5]
	s_and_not1_b32 s8, s8, exec_lo
	s_and_not1_b32 s7, s7, exec_lo
	s_wait_loadcnt 0x0
	v_cmp_ge_i64_e32 vcc_lo, v[6:7], v[8:9]
	s_or_b32 s10, s6, vcc_lo
	s_delay_alu instid0(SALU_CYCLE_1) | instskip(NEXT) | instid1(SALU_CYCLE_1)
	s_and_b32 s10, s10, exec_lo
	s_or_b32 s8, s8, s10
	s_branch .LBB123_130
.LBB123_133:
	s_mov_b32 s23, -1
	s_mov_b32 s21, 0
	s_mov_b32 s1, exec_lo
	v_cmpx_gt_i64_e64 v[32:33], v[34:35]
	s_cbranch_execz .LBB123_156
; %bb.134:
	s_delay_alu instid0(VALU_DEP_2) | instskip(SKIP_1) | instid1(VALU_DEP_1)
	v_lshlrev_b64_e32 v[36:37], 3, v[36:37]
	s_xor_b32 s23, s38, -1
                                        ; implicit-def: $sgpr22
                                        ; implicit-def: $sgpr25
                                        ; implicit-def: $sgpr24
	v_lshl_add_u64 v[34:35], v[34:35], 3, v[36:37]
	v_add_nc_u64_e32 v[36:37], s[16:17], v[36:37]
	s_delay_alu instid0(VALU_DEP_2) | instskip(NEXT) | instid1(VALU_DEP_2)
	v_add_nc_u64_e32 v[34:35], s[16:17], v[34:35]
	v_lshl_add_u64 v[32:33], v[32:33], 3, v[36:37]
	s_delay_alu instid0(VALU_DEP_2)
	v_add_nc_u64_e32 v[34:35], 8, v[34:35]
	s_branch .LBB123_136
.LBB123_135:                            ;   in Loop: Header=BB123_136 Depth=1
	s_or_b32 exec_lo, exec_lo, s26
	s_delay_alu instid0(SALU_CYCLE_1) | instskip(NEXT) | instid1(SALU_CYCLE_1)
	s_and_b32 s26, exec_lo, s25
	s_or_b32 s21, s26, s21
	s_and_not1_b32 s22, s22, exec_lo
	s_and_b32 s26, s24, exec_lo
	s_delay_alu instid0(SALU_CYCLE_1)
	s_or_b32 s22, s22, s26
	s_and_not1_b32 exec_lo, exec_lo, s21
	s_cbranch_execz .LBB123_155
.LBB123_136:                            ; =>This Inner Loop Header: Depth=1
	s_or_b32 s24, s24, exec_lo
	s_or_b32 s25, s25, exec_lo
	s_mov_b32 s26, exec_lo
	s_delay_alu instid0(VALU_DEP_1)
	v_cmpx_lt_u64_e64 v[34:35], v[32:33]
	s_cbranch_execz .LBB123_135
; %bb.137:                              ;   in Loop: Header=BB123_136 Depth=1
	global_load_b128 v[36:39], v[34:35], off offset:-8
	s_wait_xcnt 0x0
	v_add_nc_u64_e32 v[34:35], 8, v[34:35]
	s_and_not1_b32 s25, s25, exec_lo
	s_and_not1_b32 s24, s24, exec_lo
	s_wait_loadcnt 0x0
	v_cmp_ge_i64_e32 vcc_lo, v[36:37], v[38:39]
	s_or_b32 s27, s23, vcc_lo
	s_delay_alu instid0(SALU_CYCLE_1) | instskip(NEXT) | instid1(SALU_CYCLE_1)
	s_and_b32 s27, s27, exec_lo
	s_or_b32 s25, s25, s27
	s_branch .LBB123_135
.LBB123_138:
	s_or_b32 exec_lo, exec_lo, s4
	s_delay_alu instid0(SALU_CYCLE_1) | instskip(SKIP_1) | instid1(SALU_CYCLE_1)
	s_and_not1_b32 s4, s42, exec_lo
	s_and_b32 s5, s5, exec_lo
	s_or_b32 s4, s4, s5
.LBB123_139:
	s_or_b32 exec_lo, exec_lo, s1
	s_delay_alu instid0(SALU_CYCLE_1)
	s_and_not1_b32 s1, s42, exec_lo
	s_and_b32 s4, s4, exec_lo
	s_or_b32 s33, s33, exec_lo
	s_or_b32 s42, s1, s4
	s_or_b32 exec_lo, exec_lo, s24
	s_and_saveexec_b32 s1, s42
	s_cbranch_execz .LBB123_96
.LBB123_140:
	s_and_not1_b32 s33, s33, exec_lo
	s_or_b32 s3, s3, exec_lo
	s_trap 2
	s_or_b32 exec_lo, exec_lo, s1
	s_and_saveexec_b32 s1, s3
	s_cbranch_execnz .LBB123_98
	s_branch .LBB123_99
.LBB123_141:
	s_wait_loadcnt 0x2
	v_sub_nc_u64_e32 v[2:3], v[4:5], v[8:9]
	s_and_not1_b32 s37, s37, exec_lo
	s_mov_b32 s38, exec_lo
	s_delay_alu instid0(VALU_DEP_1) | instskip(SKIP_2) | instid1(SALU_CYCLE_1)
	v_cmp_gt_i64_e32 vcc_lo, s[4:5], v[2:3]
	v_cmp_lt_i64_e64 s0, s[6:7], v[2:3]
	s_or_b32 s0, vcc_lo, s0
	s_and_b32 s0, s0, exec_lo
	s_delay_alu instid0(SALU_CYCLE_1)
	s_or_b32 s37, s37, s0
	s_or_b32 exec_lo, exec_lo, s39
	s_and_saveexec_b32 s0, s37
	s_cbranch_execz .LBB123_69
.LBB123_142:
	s_or_b32 s3, s3, exec_lo
	s_and_not1_b32 s38, s38, exec_lo
	s_trap 2
	s_or_b32 exec_lo, exec_lo, s0
	s_mov_b32 s0, 0
	s_and_saveexec_b32 s53, s38
	s_cbranch_execz .LBB123_70
.LBB123_143:
	s_wait_loadcnt 0x2
	v_mov_b64_e32 v[2:3], 0
	s_and_not1_b32 vcc_lo, exec_lo, s52
	s_cbranch_vccnz .LBB123_150
; %bb.144:
	s_wait_loadcnt 0x0
	v_mul_u64_e32 v[10:11], s[8:9], v[12:13]
	v_mov_b64_e32 v[2:3], 0
	s_mov_b32 s37, 0
	v_mov_b32_e32 v6, 0
	s_lshl_b64 s[42:43], s[36:37], 3
	s_mov_b64 s[38:39], 0xffffffff
	s_add_nc_u64 s[40:41], s[12:13], s[42:43]
	s_add_nc_u64 s[42:43], s[14:15], s[42:43]
	s_branch .LBB123_146
.LBB123_145:                            ;   in Loop: Header=BB123_146 Depth=1
	s_or_b32 exec_lo, exec_lo, s0
	s_delay_alu instid0(VALU_DEP_1)
	v_mul_u64_e32 v[14:15], s[44:45], v[12:13]
	s_load_b64 s[44:45], s[42:43], 0x0
	s_add_co_i32 s55, s55, -1
	s_add_nc_u64 s[40:41], s[40:41], -8
	s_cmp_lg_u32 s55, 0
	s_wait_xcnt 0x0
	s_add_nc_u64 s[42:43], s[42:43], -8
	s_delay_alu instid0(VALU_DEP_1) | instskip(SKIP_1) | instid1(VALU_DEP_1)
	v_sub_nc_u64_e32 v[10:11], v[10:11], v[14:15]
	s_wait_kmcnt 0x0
	v_mad_nc_u64_u32 v[2:3], v10, s44, v[2:3]
	s_delay_alu instid0(VALU_DEP_1) | instskip(NEXT) | instid1(VALU_DEP_1)
	v_mad_u32 v1, v11, s44, v3
	v_mad_u32 v3, v10, s45, v1
	v_mov_b64_e32 v[10:11], v[12:13]
	s_cbranch_scc0 .LBB123_150
.LBB123_146:                            ; =>This Inner Loop Header: Depth=1
	s_load_b64 s[44:45], s[40:41], 0x0
                                        ; implicit-def: $vgpr12_vgpr13
	s_mov_b32 s0, exec_lo
	s_wait_kmcnt 0x0
	s_delay_alu instid0(VALU_DEP_1) | instskip(NEXT) | instid1(VALU_DEP_1)
	v_or_b32_e32 v7, s45, v11
	v_cmpx_ne_u64_e32 0, v[6:7]
	s_xor_b32 s52, exec_lo, s0
	s_cbranch_execz .LBB123_148
; %bb.147:                              ;   in Loop: Header=BB123_146 Depth=1
	s_ashr_i32 s46, s45, 31
	v_dual_mov_b32 v17, v6 :: v_dual_ashrrev_i32 v12, 31, v11
	s_mov_b32 s47, s46
	s_delay_alu instid0(SALU_CYCLE_1) | instskip(NEXT) | instid1(VALU_DEP_1)
	s_add_nc_u64 s[48:49], s[44:45], s[46:47]
	v_mov_b32_e32 v13, v12
	s_xor_b64 s[48:49], s[48:49], s[46:47]
	s_delay_alu instid0(SALU_CYCLE_1)
	s_cvt_f32_u32 s0, s48
	s_cvt_f32_u32 s36, s49
	s_sub_nc_u64 s[58:59], 0, s[48:49]
	v_add_nc_u64_e32 v[14:15], v[10:11], v[12:13]
	v_mov_b32_e32 v21, v6
	s_fmamk_f32 s0, s36, 0x4f800000, s0
	s_delay_alu instid0(SALU_CYCLE_3) | instskip(NEXT) | instid1(VALU_DEP_2)
	v_s_rcp_f32 s0, s0
	v_xor_b32_e32 v16, v14, v12
	s_delay_alu instid0(VALU_DEP_3) | instskip(NEXT) | instid1(TRANS32_DEP_1)
	v_dual_mov_b32 v25, v6 :: v_dual_bitop2_b32 v20, v15, v12 bitop3:0x14
	s_mul_f32 s0, s0, 0x5f7ffffc
	s_delay_alu instid0(SALU_CYCLE_3) | instskip(NEXT) | instid1(SALU_CYCLE_3)
	s_mul_f32 s36, s0, 0x2f800000
	s_trunc_f32 s36, s36
	s_delay_alu instid0(SALU_CYCLE_3) | instskip(SKIP_1) | instid1(SALU_CYCLE_2)
	s_fmamk_f32 s0, s36, 0xcf800000, s0
	s_cvt_u32_f32 s57, s36
	s_cvt_u32_f32 s56, s0
	s_delay_alu instid0(SALU_CYCLE_3) | instskip(NEXT) | instid1(SALU_CYCLE_1)
	s_mul_u64 s[60:61], s[58:59], s[56:57]
	s_mul_hi_u32 s63, s56, s61
	s_mul_i32 s62, s56, s61
	s_mul_hi_u32 s36, s56, s60
	s_mul_i32 s47, s57, s60
	s_add_nc_u64 s[62:63], s[36:37], s[62:63]
	s_mul_hi_u32 s0, s57, s60
	s_mul_hi_u32 s64, s57, s61
	s_add_co_u32 s36, s62, s47
	s_add_co_ci_u32 s36, s63, s0
	s_mul_i32 s60, s57, s61
	s_add_co_ci_u32 s61, s64, 0
	s_delay_alu instid0(SALU_CYCLE_1) | instskip(NEXT) | instid1(SALU_CYCLE_1)
	s_add_nc_u64 s[60:61], s[36:37], s[60:61]
	s_add_co_u32 s56, s56, s60
	s_cselect_b32 s0, -1, 0
	s_delay_alu instid0(SALU_CYCLE_1) | instskip(SKIP_1) | instid1(SALU_CYCLE_1)
	s_cmp_lg_u32 s0, 0
	s_add_co_ci_u32 s57, s57, s61
	s_mul_u64 s[58:59], s[58:59], s[56:57]
	s_delay_alu instid0(SALU_CYCLE_1)
	s_mul_hi_u32 s61, s56, s59
	s_mul_i32 s60, s56, s59
	s_mul_hi_u32 s36, s56, s58
	s_mul_i32 s47, s57, s58
	s_add_nc_u64 s[60:61], s[36:37], s[60:61]
	s_mul_hi_u32 s0, s57, s58
	s_mul_hi_u32 s62, s57, s59
	s_add_co_u32 s36, s60, s47
	s_add_co_ci_u32 s36, s61, s0
	s_mul_i32 s58, s57, s59
	s_add_co_ci_u32 s59, s62, 0
	s_delay_alu instid0(SALU_CYCLE_1) | instskip(NEXT) | instid1(SALU_CYCLE_1)
	s_add_nc_u64 s[58:59], s[36:37], s[58:59]
	s_add_co_u32 s0, s56, s58
	s_cselect_b32 s36, -1, 0
	v_mul_hi_u32 v24, v16, s0
	s_cmp_lg_u32 s36, 0
	s_add_co_ci_u32 s36, s57, s59
	s_and_b64 s[56:57], s[0:1], s[38:39]
	v_mul_u64_e32 v[18:19], s[36:37], v[16:17]
	v_mul_u64_e32 v[14:15], s[56:57], v[20:21]
	;; [unrolled: 1-line block ×3, first 2 shown]
	s_delay_alu instid0(VALU_DEP_3) | instskip(NEXT) | instid1(VALU_DEP_1)
	v_add_nc_u64_e32 v[18:19], v[24:25], v[18:19]
	v_add_co_u32 v1, vcc_lo, v18, v14
	s_delay_alu instid0(VALU_DEP_2) | instskip(NEXT) | instid1(VALU_DEP_4)
	v_add_co_ci_u32_e32 v24, vcc_lo, v19, v15, vcc_lo
	v_add_co_ci_u32_e32 v23, vcc_lo, 0, v23, vcc_lo
	s_delay_alu instid0(VALU_DEP_1) | instskip(NEXT) | instid1(VALU_DEP_1)
	v_add_nc_u64_e32 v[14:15], v[24:25], v[22:23]
	v_mul_u64_e32 v[18:19], s[48:49], v[14:15]
	s_delay_alu instid0(VALU_DEP_1) | instskip(NEXT) | instid1(VALU_DEP_2)
	v_sub_nc_u32_e32 v1, v20, v19
	v_sub_co_u32 v7, vcc_lo, v16, v18
	s_delay_alu instid0(VALU_DEP_1) | instskip(NEXT) | instid1(VALU_DEP_3)
	v_sub_co_ci_u32_e64 v20, null, v20, v19, vcc_lo
	v_subrev_co_ci_u32_e64 v1, null, s49, v1, vcc_lo
	s_delay_alu instid0(VALU_DEP_3) | instskip(SKIP_1) | instid1(VALU_DEP_3)
	v_sub_co_u32 v13, s0, v7, s48
	v_add_nc_u64_e32 v[18:19], 1, v[14:15]
	v_subrev_co_ci_u32_e64 v1, null, 0, v1, s0
	s_delay_alu instid0(VALU_DEP_3) | instskip(SKIP_1) | instid1(VALU_DEP_3)
	v_cmp_le_u32_e32 vcc_lo, s48, v13
	v_cndmask_b32_e64 v13, 0, -1, vcc_lo
	v_cmp_le_u32_e32 vcc_lo, s49, v1
	v_cndmask_b32_e64 v16, 0, -1, vcc_lo
	;; [unrolled: 2-line block ×4, first 2 shown]
	v_cmp_eq_u32_e32 vcc_lo, s49, v1
	v_cndmask_b32_e32 v1, v16, v13, vcc_lo
	v_cmp_eq_u32_e32 vcc_lo, s49, v20
	v_add_nc_u64_e32 v[16:17], 2, v[14:15]
	v_cndmask_b32_e32 v7, v21, v7, vcc_lo
	s_delay_alu instid0(VALU_DEP_4) | instskip(NEXT) | instid1(VALU_DEP_2)
	v_cmp_ne_u32_e32 vcc_lo, 0, v1
	v_cmp_ne_u32_e64 s0, 0, v7
	s_delay_alu instid0(VALU_DEP_4) | instskip(NEXT) | instid1(VALU_DEP_1)
	v_dual_cndmask_b32 v1, v19, v17, vcc_lo :: v_dual_cndmask_b32 v7, v18, v16, vcc_lo
	v_dual_cndmask_b32 v1, v15, v1, s0 :: v_dual_bitop2_b32 v12, s46, v12 bitop3:0x14
	s_delay_alu instid0(VALU_DEP_1) | instskip(NEXT) | instid1(VALU_DEP_2)
	v_dual_cndmask_b32 v7, v14, v7, s0 :: v_dual_mov_b32 v13, v12
	v_xor_b32_e32 v15, v1, v12
	s_delay_alu instid0(VALU_DEP_2) | instskip(NEXT) | instid1(VALU_DEP_1)
	v_xor_b32_e32 v14, v7, v12
	v_sub_nc_u64_e32 v[12:13], v[14:15], v[12:13]
.LBB123_148:                            ;   in Loop: Header=BB123_146 Depth=1
	s_and_not1_saveexec_b32 s0, s52
	s_cbranch_execz .LBB123_145
; %bb.149:                              ;   in Loop: Header=BB123_146 Depth=1
	v_cvt_f32_u32_e32 v1, s44
	s_sub_co_i32 s36, 0, s44
	s_delay_alu instid0(VALU_DEP_1) | instskip(SKIP_1) | instid1(TRANS32_DEP_1)
	v_rcp_iflag_f32_e32 v1, v1
	v_nop
	v_mul_f32_e32 v1, 0x4f7ffffe, v1
	s_delay_alu instid0(VALU_DEP_1) | instskip(NEXT) | instid1(VALU_DEP_1)
	v_cvt_u32_f32_e32 v1, v1
	v_mul_lo_u32 v7, s36, v1
	s_delay_alu instid0(VALU_DEP_1) | instskip(NEXT) | instid1(VALU_DEP_1)
	v_mul_hi_u32 v7, v1, v7
	v_add_nc_u32_e32 v1, v1, v7
	s_delay_alu instid0(VALU_DEP_1) | instskip(NEXT) | instid1(VALU_DEP_1)
	v_mul_hi_u32 v1, v10, v1
	v_mul_lo_u32 v7, v1, s44
	s_delay_alu instid0(VALU_DEP_1) | instskip(NEXT) | instid1(VALU_DEP_1)
	v_dual_add_nc_u32 v12, 1, v1 :: v_dual_sub_nc_u32 v7, v10, v7
	v_subrev_nc_u32_e32 v13, s44, v7
	v_cmp_le_u32_e32 vcc_lo, s44, v7
	s_delay_alu instid0(VALU_DEP_2) | instskip(NEXT) | instid1(VALU_DEP_4)
	v_dual_cndmask_b32 v7, v7, v13, vcc_lo :: v_dual_mov_b32 v13, v6
	v_cndmask_b32_e32 v1, v1, v12, vcc_lo
	s_delay_alu instid0(VALU_DEP_2) | instskip(NEXT) | instid1(VALU_DEP_2)
	v_cmp_le_u32_e32 vcc_lo, s44, v7
	v_add_nc_u32_e32 v12, 1, v1
	s_delay_alu instid0(VALU_DEP_1)
	v_cndmask_b32_e32 v12, v1, v12, vcc_lo
	s_branch .LBB123_145
.LBB123_150:
	s_mov_b32 s36, s54
	s_mov_b32 s0, exec_lo
	v_cmpx_gt_i64_e64 v[4:5], v[8:9]
	s_cbranch_execz .LBB123_177
; %bb.151:
	s_delay_alu instid0(VALU_DEP_2) | instskip(SKIP_2) | instid1(VALU_DEP_1)
	v_lshlrev_b64_e32 v[2:3], 3, v[2:3]
	s_mov_b32 s36, 0
	s_xor_b32 s38, s51, -1
                                        ; implicit-def: $sgpr37
                                        ; implicit-def: $sgpr40
                                        ; implicit-def: $sgpr39
	v_lshl_add_u64 v[6:7], v[8:9], 3, v[2:3]
	v_add_nc_u64_e32 v[8:9], s[16:17], v[2:3]
	s_delay_alu instid0(VALU_DEP_2) | instskip(NEXT) | instid1(VALU_DEP_2)
	v_add_nc_u64_e32 v[6:7], s[16:17], v[6:7]
	v_lshl_add_u64 v[4:5], v[4:5], 3, v[8:9]
	s_delay_alu instid0(VALU_DEP_2)
	v_add_nc_u64_e32 v[2:3], 8, v[6:7]
	s_branch .LBB123_153
.LBB123_152:                            ;   in Loop: Header=BB123_153 Depth=1
	s_or_b32 exec_lo, exec_lo, s41
	s_xor_b32 s41, s39, -1
	s_and_b32 s42, exec_lo, s40
	s_delay_alu instid0(SALU_CYCLE_1) | instskip(SKIP_2) | instid1(SALU_CYCLE_1)
	s_or_b32 s36, s42, s36
	s_and_not1_b32 s37, s37, exec_lo
	s_and_b32 s41, s41, exec_lo
	s_or_b32 s37, s37, s41
	s_and_not1_b32 exec_lo, exec_lo, s36
	s_cbranch_execz .LBB123_176
.LBB123_153:                            ; =>This Inner Loop Header: Depth=1
	s_or_b32 s39, s39, exec_lo
	s_or_b32 s40, s40, exec_lo
	s_mov_b32 s41, exec_lo
	s_delay_alu instid0(VALU_DEP_1)
	v_cmpx_lt_u64_e64 v[2:3], v[4:5]
	s_cbranch_execz .LBB123_152
; %bb.154:                              ;   in Loop: Header=BB123_153 Depth=1
	global_load_b128 v[6:9], v[2:3], off offset:-8
	s_wait_xcnt 0x0
	v_add_nc_u64_e32 v[2:3], 8, v[2:3]
	s_and_not1_b32 s40, s40, exec_lo
	s_and_not1_b32 s39, s39, exec_lo
	s_wait_loadcnt 0x0
	v_cmp_ge_i64_e32 vcc_lo, v[6:7], v[8:9]
	s_or_b32 s42, s38, vcc_lo
	s_delay_alu instid0(SALU_CYCLE_1) | instskip(NEXT) | instid1(SALU_CYCLE_1)
	s_and_b32 s42, s42, exec_lo
	s_or_b32 s40, s40, s42
	s_branch .LBB123_152
.LBB123_155:
	s_or_b32 exec_lo, exec_lo, s21
	s_delay_alu instid0(SALU_CYCLE_1)
	s_mov_b32 s21, exec_lo
	s_or_not1_b32 s23, s22, exec_lo
.LBB123_156:
	s_or_b32 exec_lo, exec_lo, s1
	s_delay_alu instid0(SALU_CYCLE_1)
	s_and_b32 s22, s21, exec_lo
	s_xor_b32 s21, exec_lo, -1
	s_and_b32 s1, s23, exec_lo
.LBB123_157:
	s_or_b32 exec_lo, exec_lo, s45
	s_delay_alu instid0(SALU_CYCLE_1)
	s_and_b32 s23, s22, exec_lo
	s_and_b32 s22, s21, exec_lo
	s_xor_b32 s21, exec_lo, -1
	s_and_b32 s1, s1, exec_lo
.LBB123_158:
	s_or_b32 exec_lo, exec_lo, s44
	s_delay_alu instid0(SALU_CYCLE_1)
	s_and_b32 s24, s23, exec_lo
	s_and_b32 s23, s22, exec_lo
	;; [unrolled: 1-line block ×3, first 2 shown]
	s_xor_b32 s21, exec_lo, -1
	s_and_b32 s1, s1, exec_lo
.LBB123_159:
	s_or_b32 exec_lo, exec_lo, s42
	s_delay_alu instid0(SALU_CYCLE_1)
	s_and_b32 s42, s24, exec_lo
	s_and_b32 s44, s23, exec_lo
	s_and_b32 s45, s22, exec_lo
	s_and_b32 s46, s21, exec_lo
	s_or_not1_b32 s1, s1, exec_lo
	s_or_b32 exec_lo, exec_lo, s33
	s_mov_b32 s33, 0
	s_and_saveexec_b32 s47, s1
	s_cbranch_execz .LBB123_88
.LBB123_160:
	s_mov_b32 s1, -1
	s_mov_b32 s52, 0
	s_mov_b32 s48, s46
	;; [unrolled: 1-line block ×4, first 2 shown]
	s_mov_b32 s51, exec_lo
	v_cmpx_gt_i32_e64 s11, v1
	s_cbranch_execz .LBB123_184
; %bb.161:
	v_cmp_eq_u64_e32 vcc_lo, s[4:5], v[28:29]
	s_mov_b32 s21, -1
	s_mov_b32 s1, 0
	s_mov_b32 s23, s45
	;; [unrolled: 1-line block ×4, first 2 shown]
	s_and_b32 s25, s43, vcc_lo
	s_delay_alu instid0(SALU_CYCLE_1)
	s_and_saveexec_b32 s33, s25
	s_cbranch_execz .LBB123_183
; %bb.162:
	v_cmp_eq_u64_e32 vcc_lo, s[8:9], v[30:31]
	s_mov_b32 s23, s44
	s_and_b32 s24, s41, vcc_lo
	s_delay_alu instid0(SALU_CYCLE_1)
	s_and_saveexec_b32 s48, s24
	s_cbranch_execz .LBB123_182
; %bb.163:
	v_sub_nc_u64_e32 v[28:29], v[22:23], v[24:25]
	s_delay_alu instid0(VALU_DEP_1)
	v_cmp_le_i64_e32 vcc_lo, s[4:5], v[28:29]
	v_cmp_ge_i64_e64 s1, s[6:7], v[28:29]
	s_and_b32 s22, vcc_lo, s1
	s_mov_b32 s1, 0
	s_and_b32 s23, s40, s22
	s_mov_b32 s22, 0
	s_and_saveexec_b32 s49, s23
	s_cbranch_execz .LBB123_181
; %bb.164:
	v_cmp_lt_i64_e64 s1, s[8:9], 1
	v_mov_b64_e32 v[28:29], 0
	s_xor_b32 s21, s39, -1
	s_delay_alu instid0(SALU_CYCLE_1) | instskip(NEXT) | instid1(SALU_CYCLE_1)
	s_or_b32 s1, s1, s21
	s_and_b32 vcc_lo, exec_lo, s1
	s_cbranch_vccnz .LBB123_171
; %bb.165:
	v_mul_u64_e32 v[30:31], s[8:9], v[26:27]
	s_mov_b32 s23, 0
	v_mov_b64_e32 v[28:29], 0
	s_mov_b32 s21, s23
	v_mov_b32_e32 v26, 0
	s_lshl_b64 s[28:29], s[20:21], 3
	s_mov_b64 s[24:25], 0xffffffff
	s_add_nc_u64 s[26:27], s[12:13], s[28:29]
	s_add_nc_u64 s[28:29], s[14:15], s[28:29]
	s_mov_b32 s21, s10
	s_branch .LBB123_167
.LBB123_166:                            ;   in Loop: Header=BB123_167 Depth=1
	s_or_b32 exec_lo, exec_lo, s1
	s_delay_alu instid0(VALU_DEP_1)
	v_mul_u64_e32 v[34:35], s[30:31], v[32:33]
	s_load_b64 s[30:31], s[28:29], 0x0
	s_add_co_i32 s21, s21, -1
	s_add_nc_u64 s[26:27], s[26:27], -8
	s_cmp_lg_u32 s21, 0
	s_wait_xcnt 0x0
	s_add_nc_u64 s[28:29], s[28:29], -8
	s_delay_alu instid0(VALU_DEP_1) | instskip(SKIP_1) | instid1(VALU_DEP_1)
	v_sub_nc_u64_e32 v[30:31], v[30:31], v[34:35]
	s_wait_kmcnt 0x0
	v_mad_nc_u64_u32 v[28:29], v30, s30, v[28:29]
	s_delay_alu instid0(VALU_DEP_1) | instskip(NEXT) | instid1(VALU_DEP_1)
	v_mad_u32 v27, v31, s30, v29
	v_mad_u32 v29, v30, s31, v27
	v_mov_b64_e32 v[30:31], v[32:33]
	s_cbranch_scc0 .LBB123_171
.LBB123_167:                            ; =>This Inner Loop Header: Depth=1
	s_load_b64 s[30:31], s[26:27], 0x0
                                        ; implicit-def: $vgpr32_vgpr33
	s_mov_b32 s1, exec_lo
	s_wait_kmcnt 0x0
	s_delay_alu instid0(VALU_DEP_1) | instskip(NEXT) | instid1(VALU_DEP_1)
	v_or_b32_e32 v27, s31, v31
	v_cmpx_ne_u64_e32 0, v[26:27]
	s_xor_b32 s50, exec_lo, s1
	s_cbranch_execz .LBB123_169
; %bb.168:                              ;   in Loop: Header=BB123_167 Depth=1
	s_ashr_i32 s34, s31, 31
	v_dual_mov_b32 v37, v26 :: v_dual_ashrrev_i32 v32, 31, v31
	s_mov_b32 s35, s34
	s_delay_alu instid0(SALU_CYCLE_1) | instskip(NEXT) | instid1(VALU_DEP_1)
	s_add_nc_u64 s[36:37], s[30:31], s[34:35]
	v_mov_b32_e32 v33, v32
	s_xor_b64 s[36:37], s[36:37], s[34:35]
	s_delay_alu instid0(SALU_CYCLE_1)
	s_cvt_f32_u32 s1, s36
	s_cvt_f32_u32 s22, s37
	s_sub_nc_u64 s[56:57], 0, s[36:37]
	v_add_nc_u64_e32 v[34:35], v[30:31], v[32:33]
	v_mov_b32_e32 v41, v26
	s_fmamk_f32 s1, s22, 0x4f800000, s1
	s_delay_alu instid0(SALU_CYCLE_3) | instskip(NEXT) | instid1(VALU_DEP_2)
	v_s_rcp_f32 s1, s1
	v_xor_b32_e32 v36, v34, v32
	s_delay_alu instid0(VALU_DEP_3) | instskip(SKIP_1) | instid1(TRANS32_DEP_1)
	v_dual_mov_b32 v45, v26 :: v_dual_bitop2_b32 v40, v35, v32 bitop3:0x14
	v_xor_b32_e32 v32, s34, v32
	s_mul_f32 s1, s1, 0x5f7ffffc
	s_delay_alu instid0(SALU_CYCLE_3) | instskip(NEXT) | instid1(SALU_CYCLE_3)
	s_mul_f32 s22, s1, 0x2f800000
	s_trunc_f32 s22, s22
	s_delay_alu instid0(SALU_CYCLE_3) | instskip(SKIP_1) | instid1(SALU_CYCLE_2)
	s_fmamk_f32 s1, s22, 0xcf800000, s1
	s_cvt_u32_f32 s55, s22
	s_cvt_u32_f32 s54, s1
	s_delay_alu instid0(SALU_CYCLE_3) | instskip(NEXT) | instid1(SALU_CYCLE_1)
	s_mul_u64 s[58:59], s[56:57], s[54:55]
	s_mul_hi_u32 s61, s54, s59
	s_mul_i32 s60, s54, s59
	s_mul_hi_u32 s22, s54, s58
	s_mul_i32 s35, s55, s58
	s_add_nc_u64 s[60:61], s[22:23], s[60:61]
	s_mul_hi_u32 s1, s55, s58
	s_mul_hi_u32 s53, s55, s59
	s_add_co_u32 s22, s60, s35
	s_add_co_ci_u32 s22, s61, s1
	s_mul_i32 s58, s55, s59
	s_add_co_ci_u32 s59, s53, 0
	s_delay_alu instid0(SALU_CYCLE_1) | instskip(NEXT) | instid1(SALU_CYCLE_1)
	s_add_nc_u64 s[58:59], s[22:23], s[58:59]
	s_add_co_u32 s54, s54, s58
	s_cselect_b32 s1, -1, 0
	s_delay_alu instid0(SALU_CYCLE_1) | instskip(SKIP_1) | instid1(SALU_CYCLE_1)
	s_cmp_lg_u32 s1, 0
	s_add_co_ci_u32 s55, s55, s59
	s_mul_u64 s[56:57], s[56:57], s[54:55]
	s_delay_alu instid0(SALU_CYCLE_1)
	s_mul_hi_u32 s59, s54, s57
	s_mul_i32 s58, s54, s57
	s_mul_hi_u32 s22, s54, s56
	s_mul_i32 s35, s55, s56
	s_add_nc_u64 s[58:59], s[22:23], s[58:59]
	s_mul_hi_u32 s1, s55, s56
	s_mul_hi_u32 s53, s55, s57
	s_add_co_u32 s22, s58, s35
	s_add_co_ci_u32 s22, s59, s1
	s_mul_i32 s56, s55, s57
	s_add_co_ci_u32 s57, s53, 0
	s_delay_alu instid0(SALU_CYCLE_1) | instskip(NEXT) | instid1(SALU_CYCLE_1)
	s_add_nc_u64 s[56:57], s[22:23], s[56:57]
	s_add_co_u32 s54, s54, s56
	s_cselect_b32 s1, -1, 0
	v_mul_hi_u32 v44, v36, s54
	s_cmp_lg_u32 s1, 0
	s_add_co_ci_u32 s22, s55, s57
	s_and_b64 s[56:57], s[54:55], s[24:25]
	v_mul_u64_e32 v[38:39], s[22:23], v[36:37]
	v_mul_u64_e32 v[34:35], s[56:57], v[40:41]
	;; [unrolled: 1-line block ×3, first 2 shown]
	s_delay_alu instid0(VALU_DEP_3) | instskip(NEXT) | instid1(VALU_DEP_1)
	v_add_nc_u64_e32 v[38:39], v[44:45], v[38:39]
	v_add_co_u32 v27, vcc_lo, v38, v34
	s_delay_alu instid0(VALU_DEP_2) | instskip(NEXT) | instid1(VALU_DEP_4)
	v_add_co_ci_u32_e32 v44, vcc_lo, v39, v35, vcc_lo
	v_add_co_ci_u32_e32 v43, vcc_lo, 0, v43, vcc_lo
	s_delay_alu instid0(VALU_DEP_1) | instskip(NEXT) | instid1(VALU_DEP_1)
	v_add_nc_u64_e32 v[34:35], v[44:45], v[42:43]
	v_mul_u64_e32 v[38:39], s[36:37], v[34:35]
	s_delay_alu instid0(VALU_DEP_1) | instskip(NEXT) | instid1(VALU_DEP_2)
	v_sub_nc_u32_e32 v27, v40, v39
	v_sub_co_u32 v33, vcc_lo, v36, v38
	s_delay_alu instid0(VALU_DEP_1) | instskip(NEXT) | instid1(VALU_DEP_3)
	v_sub_co_ci_u32_e64 v40, null, v40, v39, vcc_lo
	v_subrev_co_ci_u32_e64 v27, null, s37, v27, vcc_lo
	s_delay_alu instid0(VALU_DEP_3) | instskip(SKIP_1) | instid1(VALU_DEP_3)
	v_sub_co_u32 v36, s1, v33, s36
	v_add_nc_u64_e32 v[38:39], 1, v[34:35]
	v_subrev_co_ci_u32_e64 v27, null, 0, v27, s1
	s_delay_alu instid0(VALU_DEP_3) | instskip(SKIP_1) | instid1(VALU_DEP_3)
	v_cmp_le_u32_e32 vcc_lo, s36, v36
	v_cndmask_b32_e64 v36, 0, -1, vcc_lo
	v_cmp_le_u32_e32 vcc_lo, s37, v27
	v_cndmask_b32_e64 v37, 0, -1, vcc_lo
	v_cmp_le_u32_e32 vcc_lo, s36, v33
	v_cndmask_b32_e64 v33, 0, -1, vcc_lo
	v_cmp_le_u32_e32 vcc_lo, s37, v40
	v_cndmask_b32_e64 v41, 0, -1, vcc_lo
	v_cmp_eq_u32_e32 vcc_lo, s37, v27
	v_cndmask_b32_e32 v27, v37, v36, vcc_lo
	v_cmp_eq_u32_e32 vcc_lo, s37, v40
	v_add_nc_u64_e32 v[36:37], 2, v[34:35]
	v_cndmask_b32_e32 v33, v41, v33, vcc_lo
	s_delay_alu instid0(VALU_DEP_4) | instskip(NEXT) | instid1(VALU_DEP_2)
	v_cmp_ne_u32_e32 vcc_lo, 0, v27
	v_cmp_ne_u32_e64 s1, 0, v33
	s_delay_alu instid0(VALU_DEP_4) | instskip(NEXT) | instid1(VALU_DEP_1)
	v_dual_cndmask_b32 v27, v39, v37, vcc_lo :: v_dual_cndmask_b32 v33, v38, v36, vcc_lo
	v_dual_cndmask_b32 v34, v34, v33, s1 :: v_dual_mov_b32 v33, v32
	s_delay_alu instid0(VALU_DEP_1) | instskip(NEXT) | instid1(VALU_DEP_1)
	v_dual_cndmask_b32 v27, v35, v27, s1 :: v_dual_bitop2_b32 v34, v34, v32 bitop3:0x14
	v_xor_b32_e32 v35, v27, v32
	s_delay_alu instid0(VALU_DEP_1)
	v_sub_nc_u64_e32 v[32:33], v[34:35], v[32:33]
.LBB123_169:                            ;   in Loop: Header=BB123_167 Depth=1
	s_and_not1_saveexec_b32 s1, s50
	s_cbranch_execz .LBB123_166
; %bb.170:                              ;   in Loop: Header=BB123_167 Depth=1
	v_cvt_f32_u32_e32 v27, s30
	s_sub_co_i32 s22, 0, s30
	s_delay_alu instid0(VALU_DEP_1) | instskip(SKIP_1) | instid1(TRANS32_DEP_1)
	v_rcp_iflag_f32_e32 v27, v27
	v_nop
	v_mul_f32_e32 v27, 0x4f7ffffe, v27
	s_delay_alu instid0(VALU_DEP_1) | instskip(NEXT) | instid1(VALU_DEP_1)
	v_cvt_u32_f32_e32 v27, v27
	v_mul_lo_u32 v32, s22, v27
	s_delay_alu instid0(VALU_DEP_1) | instskip(NEXT) | instid1(VALU_DEP_1)
	v_mul_hi_u32 v32, v27, v32
	v_add_nc_u32_e32 v27, v27, v32
	s_delay_alu instid0(VALU_DEP_1) | instskip(NEXT) | instid1(VALU_DEP_1)
	v_mul_hi_u32 v27, v30, v27
	v_mul_lo_u32 v32, v27, s30
	s_delay_alu instid0(VALU_DEP_1) | instskip(NEXT) | instid1(VALU_DEP_1)
	v_dual_add_nc_u32 v33, 1, v27 :: v_dual_sub_nc_u32 v32, v30, v32
	v_subrev_nc_u32_e32 v34, s30, v32
	v_cmp_le_u32_e32 vcc_lo, s30, v32
	s_delay_alu instid0(VALU_DEP_2) | instskip(NEXT) | instid1(VALU_DEP_1)
	v_dual_cndmask_b32 v32, v32, v34 :: v_dual_cndmask_b32 v27, v27, v33
	v_cmp_le_u32_e32 vcc_lo, s30, v32
	s_delay_alu instid0(VALU_DEP_2) | instskip(NEXT) | instid1(VALU_DEP_1)
	v_add_nc_u32_e32 v33, 1, v27
	v_dual_cndmask_b32 v32, v27, v33 :: v_dual_mov_b32 v33, v26
	s_branch .LBB123_166
.LBB123_171:
	s_mov_b32 s23, -1
	s_mov_b32 s21, 0
	s_mov_b32 s1, exec_lo
	v_cmpx_gt_i64_e64 v[22:23], v[24:25]
	s_cbranch_execz .LBB123_180
; %bb.172:
	s_delay_alu instid0(VALU_DEP_2) | instskip(SKIP_1) | instid1(VALU_DEP_1)
	v_lshlrev_b64_e32 v[26:27], 3, v[28:29]
	s_xor_b32 s23, s38, -1
                                        ; implicit-def: $sgpr22
                                        ; implicit-def: $sgpr25
                                        ; implicit-def: $sgpr24
	v_lshl_add_u64 v[24:25], v[24:25], 3, v[26:27]
	v_add_nc_u64_e32 v[26:27], s[16:17], v[26:27]
	s_delay_alu instid0(VALU_DEP_2) | instskip(NEXT) | instid1(VALU_DEP_2)
	v_add_nc_u64_e32 v[24:25], s[16:17], v[24:25]
	v_lshl_add_u64 v[22:23], v[22:23], 3, v[26:27]
	s_delay_alu instid0(VALU_DEP_2)
	v_add_nc_u64_e32 v[24:25], 8, v[24:25]
	s_branch .LBB123_174
.LBB123_173:                            ;   in Loop: Header=BB123_174 Depth=1
	s_or_b32 exec_lo, exec_lo, s26
	s_delay_alu instid0(SALU_CYCLE_1) | instskip(NEXT) | instid1(SALU_CYCLE_1)
	s_and_b32 s26, exec_lo, s25
	s_or_b32 s21, s26, s21
	s_and_not1_b32 s22, s22, exec_lo
	s_and_b32 s26, s24, exec_lo
	s_delay_alu instid0(SALU_CYCLE_1)
	s_or_b32 s22, s22, s26
	s_and_not1_b32 exec_lo, exec_lo, s21
	s_cbranch_execz .LBB123_179
.LBB123_174:                            ; =>This Inner Loop Header: Depth=1
	s_or_b32 s24, s24, exec_lo
	s_or_b32 s25, s25, exec_lo
	s_mov_b32 s26, exec_lo
	s_delay_alu instid0(VALU_DEP_1)
	v_cmpx_lt_u64_e64 v[24:25], v[22:23]
	s_cbranch_execz .LBB123_173
; %bb.175:                              ;   in Loop: Header=BB123_174 Depth=1
	global_load_b128 v[26:29], v[24:25], off offset:-8
	s_wait_xcnt 0x0
	v_add_nc_u64_e32 v[24:25], 8, v[24:25]
	s_and_not1_b32 s25, s25, exec_lo
	s_and_not1_b32 s24, s24, exec_lo
	s_wait_loadcnt 0x0
	v_cmp_ge_i64_e32 vcc_lo, v[26:27], v[28:29]
	s_or_b32 s27, s23, vcc_lo
	s_delay_alu instid0(SALU_CYCLE_1) | instskip(NEXT) | instid1(SALU_CYCLE_1)
	s_and_b32 s27, s27, exec_lo
	s_or_b32 s25, s25, s27
	s_branch .LBB123_173
.LBB123_176:
	s_or_b32 exec_lo, exec_lo, s36
	s_delay_alu instid0(SALU_CYCLE_1) | instskip(SKIP_1) | instid1(SALU_CYCLE_1)
	s_and_not1_b32 s36, s54, exec_lo
	s_and_b32 s37, s37, exec_lo
	s_or_b32 s36, s36, s37
.LBB123_177:
	s_or_b32 exec_lo, exec_lo, s0
	s_delay_alu instid0(SALU_CYCLE_1)
	s_and_not1_b32 s37, s54, exec_lo
	s_and_b32 s36, s36, exec_lo
	s_mov_b32 s0, exec_lo
	s_or_b32 s54, s37, s36
	s_or_b32 exec_lo, exec_lo, s53
	s_and_saveexec_b32 s36, s54
	s_cbranch_execz .LBB123_71
.LBB123_178:
	s_or_b32 s3, s3, exec_lo
	s_and_not1_b32 s0, s0, exec_lo
	s_trap 2
	s_or_b32 exec_lo, exec_lo, s36
	s_and_saveexec_b32 s36, s0
	s_delay_alu instid0(SALU_CYCLE_1)
	s_xor_b32 s0, exec_lo, s36
	s_cbranch_execnz .LBB123_72
	s_branch .LBB123_73
.LBB123_179:
	s_or_b32 exec_lo, exec_lo, s21
	s_delay_alu instid0(SALU_CYCLE_1)
	s_mov_b32 s21, exec_lo
	s_or_not1_b32 s23, s22, exec_lo
.LBB123_180:
	s_or_b32 exec_lo, exec_lo, s1
	s_delay_alu instid0(SALU_CYCLE_1)
	s_and_b32 s22, s21, exec_lo
	s_xor_b32 s21, exec_lo, -1
	s_and_b32 s1, s23, exec_lo
.LBB123_181:
	s_or_b32 exec_lo, exec_lo, s49
	s_delay_alu instid0(SALU_CYCLE_1)
	s_and_not1_b32 s23, s44, exec_lo
	s_and_b32 s21, s21, exec_lo
	s_and_b32 s22, s22, exec_lo
	s_or_b32 s23, s23, s21
	s_xor_b32 s21, exec_lo, -1
	s_and_b32 s1, s1, exec_lo
.LBB123_182:
	s_or_b32 exec_lo, exec_lo, s48
	s_delay_alu instid0(SALU_CYCLE_1)
	s_and_not1_b32 s24, s44, exec_lo
	s_and_b32 s23, s23, exec_lo
	s_and_not1_b32 s25, s45, exec_lo
	s_and_b32 s21, s21, exec_lo
	s_and_b32 s22, s22, exec_lo
	s_or_b32 s24, s24, s23
	s_or_b32 s23, s25, s21
	s_xor_b32 s21, exec_lo, -1
	s_and_b32 s1, s1, exec_lo
.LBB123_183:
	s_or_b32 exec_lo, exec_lo, s33
	s_delay_alu instid0(SALU_CYCLE_1)
	s_and_not1_b32 s25, s44, exec_lo
	s_and_b32 s24, s24, exec_lo
	s_and_b32 s33, s22, exec_lo
	s_or_b32 s49, s25, s24
	s_and_not1_b32 s22, s45, exec_lo
	s_and_b32 s23, s23, exec_lo
	s_and_not1_b32 s24, s46, exec_lo
	s_and_b32 s21, s21, exec_lo
	s_or_b32 s50, s22, s23
	s_or_b32 s48, s24, s21
	s_or_not1_b32 s1, s1, exec_lo
.LBB123_184:
	s_or_b32 exec_lo, exec_lo, s51
	s_mov_b32 s23, 0
	s_and_saveexec_b32 s51, s1
	s_cbranch_execz .LBB123_211
; %bb.185:
	v_or_b32_e32 v22, 0x200, v0
	s_mov_b32 s25, -1
	s_mov_b32 s52, 0
	s_mov_b32 s1, s48
	;; [unrolled: 1-line block ×4, first 2 shown]
	s_mov_b32 s53, exec_lo
	v_cmpx_gt_i32_e64 s11, v22
	s_cbranch_execz .LBB123_206
; %bb.186:
	s_wait_loadcnt 0x4
	v_cmp_eq_u64_e32 vcc_lo, s[4:5], v[20:21]
	s_mov_b32 s1, -1
	s_mov_b32 s24, 0
	s_mov_b32 s25, s50
	;; [unrolled: 1-line block ×4, first 2 shown]
	s_and_b32 s22, s43, vcc_lo
	s_delay_alu instid0(SALU_CYCLE_1)
	s_and_saveexec_b32 s54, s22
	s_cbranch_execz .LBB123_205
; %bb.187:
	s_wait_loadcnt 0x3
	v_cmp_eq_u64_e32 vcc_lo, s[8:9], v[18:19]
	s_mov_b32 s22, 0
	s_mov_b32 s23, s49
	s_and_b32 s21, s41, vcc_lo
	s_delay_alu instid0(SALU_CYCLE_1)
	s_and_saveexec_b32 s55, s21
	s_cbranch_execz .LBB123_204
; %bb.188:
	s_wait_loadcnt 0x1
	v_sub_nc_u64_e32 v[18:19], v[12:13], v[14:15]
	s_mov_b32 s22, -1
	s_mov_b32 s21, 0
	s_delay_alu instid0(VALU_DEP_1) | instskip(SKIP_2) | instid1(SALU_CYCLE_1)
	v_cmp_le_i64_e32 vcc_lo, s[4:5], v[18:19]
	v_cmp_ge_i64_e64 s1, s[6:7], v[18:19]
	s_and_b32 s1, vcc_lo, s1
	s_and_b32 s23, s40, s1
	s_mov_b32 s1, 0
	s_and_saveexec_b32 s56, s23
	s_cbranch_execz .LBB123_203
; %bb.189:
	v_cmp_lt_i64_e64 s1, s[8:9], 1
	v_mov_b64_e32 v[18:19], 0
	s_xor_b32 s21, s39, -1
	s_delay_alu instid0(SALU_CYCLE_1) | instskip(NEXT) | instid1(SALU_CYCLE_1)
	s_or_b32 s1, s1, s21
	s_and_b32 vcc_lo, exec_lo, s1
	s_cbranch_vccnz .LBB123_196
; %bb.190:
	s_wait_loadcnt 0x0
	v_mul_u64_e32 v[20:21], s[8:9], v[16:17]
	s_mov_b32 s23, 0
	v_mov_b64_e32 v[18:19], 0
	s_mov_b32 s21, s23
	v_mov_b32_e32 v16, 0
	s_lshl_b64 s[28:29], s[20:21], 3
	s_mov_b64 s[24:25], 0xffffffff
	s_add_nc_u64 s[26:27], s[12:13], s[28:29]
	s_add_nc_u64 s[28:29], s[14:15], s[28:29]
	s_mov_b32 s21, s10
	s_branch .LBB123_192
.LBB123_191:                            ;   in Loop: Header=BB123_192 Depth=1
	s_or_b32 exec_lo, exec_lo, s1
	s_delay_alu instid0(VALU_DEP_1)
	v_mul_u64_e32 v[24:25], s[30:31], v[22:23]
	s_load_b64 s[30:31], s[28:29], 0x0
	s_add_co_i32 s21, s21, -1
	s_add_nc_u64 s[26:27], s[26:27], -8
	s_cmp_lg_u32 s21, 0
	s_wait_xcnt 0x0
	s_add_nc_u64 s[28:29], s[28:29], -8
	s_delay_alu instid0(VALU_DEP_1) | instskip(SKIP_1) | instid1(VALU_DEP_1)
	v_sub_nc_u64_e32 v[20:21], v[20:21], v[24:25]
	s_wait_kmcnt 0x0
	v_mad_nc_u64_u32 v[18:19], v20, s30, v[18:19]
	s_delay_alu instid0(VALU_DEP_1) | instskip(NEXT) | instid1(VALU_DEP_1)
	v_mad_u32 v17, v21, s30, v19
	v_mad_u32 v19, v20, s31, v17
	v_mov_b64_e32 v[20:21], v[22:23]
	s_cbranch_scc0 .LBB123_196
.LBB123_192:                            ; =>This Inner Loop Header: Depth=1
	s_load_b64 s[30:31], s[26:27], 0x0
                                        ; implicit-def: $vgpr22_vgpr23
	s_mov_b32 s1, exec_lo
	s_wait_kmcnt 0x0
	s_delay_alu instid0(VALU_DEP_1) | instskip(NEXT) | instid1(VALU_DEP_1)
	v_or_b32_e32 v17, s31, v21
	v_cmpx_ne_u64_e32 0, v[16:17]
	s_xor_b32 s57, exec_lo, s1
	s_cbranch_execz .LBB123_194
; %bb.193:                              ;   in Loop: Header=BB123_192 Depth=1
	s_ashr_i32 s34, s31, 31
	v_dual_mov_b32 v27, v16 :: v_dual_ashrrev_i32 v22, 31, v21
	s_mov_b32 s35, s34
	s_delay_alu instid0(SALU_CYCLE_1) | instskip(NEXT) | instid1(VALU_DEP_1)
	s_add_nc_u64 s[36:37], s[30:31], s[34:35]
	v_mov_b32_e32 v23, v22
	s_xor_b64 s[36:37], s[36:37], s[34:35]
	s_delay_alu instid0(SALU_CYCLE_1)
	s_cvt_f32_u32 s1, s36
	s_cvt_f32_u32 s22, s37
	s_sub_nc_u64 s[60:61], 0, s[36:37]
	v_add_nc_u64_e32 v[24:25], v[20:21], v[22:23]
	v_mov_b32_e32 v31, v16
	s_fmamk_f32 s1, s22, 0x4f800000, s1
	s_delay_alu instid0(SALU_CYCLE_3) | instskip(NEXT) | instid1(VALU_DEP_2)
	v_s_rcp_f32 s1, s1
	v_xor_b32_e32 v26, v24, v22
	s_delay_alu instid0(VALU_DEP_3) | instskip(SKIP_1) | instid1(TRANS32_DEP_1)
	v_dual_mov_b32 v35, v16 :: v_dual_bitop2_b32 v30, v25, v22 bitop3:0x14
	v_xor_b32_e32 v22, s34, v22
	s_mul_f32 s1, s1, 0x5f7ffffc
	s_delay_alu instid0(SALU_CYCLE_3) | instskip(NEXT) | instid1(SALU_CYCLE_3)
	s_mul_f32 s22, s1, 0x2f800000
	s_trunc_f32 s22, s22
	s_delay_alu instid0(SALU_CYCLE_3) | instskip(SKIP_1) | instid1(SALU_CYCLE_2)
	s_fmamk_f32 s1, s22, 0xcf800000, s1
	s_cvt_u32_f32 s59, s22
	s_cvt_u32_f32 s58, s1
	s_delay_alu instid0(SALU_CYCLE_3) | instskip(NEXT) | instid1(SALU_CYCLE_1)
	s_mul_u64 s[62:63], s[60:61], s[58:59]
	s_mul_hi_u32 s65, s58, s63
	s_mul_i32 s64, s58, s63
	s_mul_hi_u32 s22, s58, s62
	s_mul_i32 s35, s59, s62
	s_add_nc_u64 s[64:65], s[22:23], s[64:65]
	s_mul_hi_u32 s1, s59, s62
	s_mul_hi_u32 s66, s59, s63
	s_add_co_u32 s22, s64, s35
	s_add_co_ci_u32 s22, s65, s1
	s_mul_i32 s62, s59, s63
	s_add_co_ci_u32 s63, s66, 0
	s_delay_alu instid0(SALU_CYCLE_1) | instskip(NEXT) | instid1(SALU_CYCLE_1)
	s_add_nc_u64 s[62:63], s[22:23], s[62:63]
	s_add_co_u32 s58, s58, s62
	s_cselect_b32 s1, -1, 0
	s_delay_alu instid0(SALU_CYCLE_1) | instskip(SKIP_1) | instid1(SALU_CYCLE_1)
	s_cmp_lg_u32 s1, 0
	s_add_co_ci_u32 s59, s59, s63
	s_mul_u64 s[60:61], s[60:61], s[58:59]
	s_delay_alu instid0(SALU_CYCLE_1)
	s_mul_hi_u32 s63, s58, s61
	s_mul_i32 s62, s58, s61
	s_mul_hi_u32 s22, s58, s60
	s_mul_i32 s35, s59, s60
	s_add_nc_u64 s[62:63], s[22:23], s[62:63]
	s_mul_hi_u32 s1, s59, s60
	s_mul_hi_u32 s64, s59, s61
	s_add_co_u32 s22, s62, s35
	s_add_co_ci_u32 s22, s63, s1
	s_mul_i32 s60, s59, s61
	s_add_co_ci_u32 s61, s64, 0
	s_delay_alu instid0(SALU_CYCLE_1) | instskip(NEXT) | instid1(SALU_CYCLE_1)
	s_add_nc_u64 s[60:61], s[22:23], s[60:61]
	s_add_co_u32 s58, s58, s60
	s_cselect_b32 s1, -1, 0
	v_mul_hi_u32 v34, v26, s58
	s_cmp_lg_u32 s1, 0
	s_add_co_ci_u32 s22, s59, s61
	s_and_b64 s[60:61], s[58:59], s[24:25]
	v_mul_u64_e32 v[28:29], s[22:23], v[26:27]
	v_mul_u64_e32 v[24:25], s[60:61], v[30:31]
	;; [unrolled: 1-line block ×3, first 2 shown]
	s_delay_alu instid0(VALU_DEP_3) | instskip(NEXT) | instid1(VALU_DEP_1)
	v_add_nc_u64_e32 v[28:29], v[34:35], v[28:29]
	v_add_co_u32 v17, vcc_lo, v28, v24
	s_delay_alu instid0(VALU_DEP_2) | instskip(NEXT) | instid1(VALU_DEP_4)
	v_add_co_ci_u32_e32 v34, vcc_lo, v29, v25, vcc_lo
	v_add_co_ci_u32_e32 v33, vcc_lo, 0, v33, vcc_lo
	s_delay_alu instid0(VALU_DEP_1) | instskip(NEXT) | instid1(VALU_DEP_1)
	v_add_nc_u64_e32 v[24:25], v[34:35], v[32:33]
	v_mul_u64_e32 v[28:29], s[36:37], v[24:25]
	s_delay_alu instid0(VALU_DEP_1) | instskip(NEXT) | instid1(VALU_DEP_2)
	v_sub_nc_u32_e32 v17, v30, v29
	v_sub_co_u32 v23, vcc_lo, v26, v28
	s_delay_alu instid0(VALU_DEP_1) | instskip(NEXT) | instid1(VALU_DEP_3)
	v_sub_co_ci_u32_e64 v30, null, v30, v29, vcc_lo
	v_subrev_co_ci_u32_e64 v17, null, s37, v17, vcc_lo
	s_delay_alu instid0(VALU_DEP_3) | instskip(SKIP_1) | instid1(VALU_DEP_3)
	v_sub_co_u32 v26, s1, v23, s36
	v_add_nc_u64_e32 v[28:29], 1, v[24:25]
	v_subrev_co_ci_u32_e64 v17, null, 0, v17, s1
	s_delay_alu instid0(VALU_DEP_3) | instskip(SKIP_1) | instid1(VALU_DEP_3)
	v_cmp_le_u32_e32 vcc_lo, s36, v26
	v_cndmask_b32_e64 v26, 0, -1, vcc_lo
	v_cmp_le_u32_e32 vcc_lo, s37, v17
	v_cndmask_b32_e64 v27, 0, -1, vcc_lo
	;; [unrolled: 2-line block ×4, first 2 shown]
	v_cmp_eq_u32_e32 vcc_lo, s37, v17
	v_cndmask_b32_e32 v17, v27, v26, vcc_lo
	v_cmp_eq_u32_e32 vcc_lo, s37, v30
	v_add_nc_u64_e32 v[26:27], 2, v[24:25]
	v_cndmask_b32_e32 v23, v31, v23, vcc_lo
	s_delay_alu instid0(VALU_DEP_4) | instskip(NEXT) | instid1(VALU_DEP_2)
	v_cmp_ne_u32_e32 vcc_lo, 0, v17
	v_cmp_ne_u32_e64 s1, 0, v23
	s_delay_alu instid0(VALU_DEP_4) | instskip(NEXT) | instid1(VALU_DEP_1)
	v_dual_cndmask_b32 v17, v29, v27, vcc_lo :: v_dual_cndmask_b32 v23, v28, v26, vcc_lo
	v_dual_cndmask_b32 v24, v24, v23, s1 :: v_dual_mov_b32 v23, v22
	s_delay_alu instid0(VALU_DEP_1) | instskip(NEXT) | instid1(VALU_DEP_1)
	v_dual_cndmask_b32 v17, v25, v17, s1 :: v_dual_bitop2_b32 v24, v24, v22 bitop3:0x14
	v_xor_b32_e32 v25, v17, v22
	s_delay_alu instid0(VALU_DEP_1)
	v_sub_nc_u64_e32 v[22:23], v[24:25], v[22:23]
.LBB123_194:                            ;   in Loop: Header=BB123_192 Depth=1
	s_and_not1_saveexec_b32 s1, s57
	s_cbranch_execz .LBB123_191
; %bb.195:                              ;   in Loop: Header=BB123_192 Depth=1
	v_cvt_f32_u32_e32 v17, s30
	s_sub_co_i32 s22, 0, s30
	s_delay_alu instid0(VALU_DEP_1) | instskip(SKIP_1) | instid1(TRANS32_DEP_1)
	v_rcp_iflag_f32_e32 v17, v17
	v_nop
	v_mul_f32_e32 v17, 0x4f7ffffe, v17
	s_delay_alu instid0(VALU_DEP_1) | instskip(NEXT) | instid1(VALU_DEP_1)
	v_cvt_u32_f32_e32 v17, v17
	v_mul_lo_u32 v22, s22, v17
	s_delay_alu instid0(VALU_DEP_1) | instskip(NEXT) | instid1(VALU_DEP_1)
	v_mul_hi_u32 v22, v17, v22
	v_add_nc_u32_e32 v17, v17, v22
	s_delay_alu instid0(VALU_DEP_1) | instskip(NEXT) | instid1(VALU_DEP_1)
	v_mul_hi_u32 v17, v20, v17
	v_mul_lo_u32 v22, v17, s30
	s_delay_alu instid0(VALU_DEP_1) | instskip(NEXT) | instid1(VALU_DEP_1)
	v_dual_add_nc_u32 v23, 1, v17 :: v_dual_sub_nc_u32 v22, v20, v22
	v_subrev_nc_u32_e32 v24, s30, v22
	v_cmp_le_u32_e32 vcc_lo, s30, v22
	s_delay_alu instid0(VALU_DEP_2) | instskip(NEXT) | instid1(VALU_DEP_1)
	v_dual_cndmask_b32 v22, v22, v24 :: v_dual_cndmask_b32 v17, v17, v23
	v_cmp_le_u32_e32 vcc_lo, s30, v22
	s_delay_alu instid0(VALU_DEP_2) | instskip(NEXT) | instid1(VALU_DEP_1)
	v_add_nc_u32_e32 v23, 1, v17
	v_dual_cndmask_b32 v22, v17, v23 :: v_dual_mov_b32 v23, v16
	s_branch .LBB123_191
.LBB123_196:
	s_mov_b32 s21, -1
	s_mov_b32 s23, 0
	s_mov_b32 s1, exec_lo
	v_cmpx_gt_i64_e64 v[12:13], v[14:15]
	s_cbranch_execz .LBB123_202
; %bb.197:
	s_wait_loadcnt 0x0
	s_delay_alu instid0(VALU_DEP_2) | instskip(SKIP_2) | instid1(VALU_DEP_1)
	v_lshlrev_b64_e32 v[16:17], 3, v[18:19]
	s_mov_b32 s21, 0
	s_xor_b32 s23, s38, -1
                                        ; implicit-def: $sgpr22
                                        ; implicit-def: $sgpr25
                                        ; implicit-def: $sgpr24
	v_lshl_add_u64 v[14:15], v[14:15], 3, v[16:17]
	v_add_nc_u64_e32 v[16:17], s[16:17], v[16:17]
	s_delay_alu instid0(VALU_DEP_2) | instskip(NEXT) | instid1(VALU_DEP_2)
	v_add_nc_u64_e32 v[14:15], s[16:17], v[14:15]
	v_lshl_add_u64 v[12:13], v[12:13], 3, v[16:17]
	s_delay_alu instid0(VALU_DEP_2)
	v_add_nc_u64_e32 v[14:15], 8, v[14:15]
	s_branch .LBB123_199
.LBB123_198:                            ;   in Loop: Header=BB123_199 Depth=1
	s_or_b32 exec_lo, exec_lo, s26
	s_delay_alu instid0(SALU_CYCLE_1) | instskip(NEXT) | instid1(SALU_CYCLE_1)
	s_and_b32 s26, exec_lo, s25
	s_or_b32 s21, s26, s21
	s_and_not1_b32 s22, s22, exec_lo
	s_and_b32 s26, s24, exec_lo
	s_delay_alu instid0(SALU_CYCLE_1)
	s_or_b32 s22, s22, s26
	s_and_not1_b32 exec_lo, exec_lo, s21
	s_cbranch_execz .LBB123_201
.LBB123_199:                            ; =>This Inner Loop Header: Depth=1
	s_or_b32 s24, s24, exec_lo
	s_or_b32 s25, s25, exec_lo
	s_mov_b32 s26, exec_lo
	s_delay_alu instid0(VALU_DEP_1)
	v_cmpx_lt_u64_e64 v[14:15], v[12:13]
	s_cbranch_execz .LBB123_198
; %bb.200:                              ;   in Loop: Header=BB123_199 Depth=1
	global_load_b128 v[16:19], v[14:15], off offset:-8
	s_wait_xcnt 0x0
	v_add_nc_u64_e32 v[14:15], 8, v[14:15]
	s_and_not1_b32 s25, s25, exec_lo
	s_and_not1_b32 s24, s24, exec_lo
	s_wait_loadcnt 0x0
	v_cmp_ge_i64_e32 vcc_lo, v[16:17], v[18:19]
	s_or_b32 s27, s23, vcc_lo
	s_delay_alu instid0(SALU_CYCLE_1) | instskip(NEXT) | instid1(SALU_CYCLE_1)
	s_and_b32 s27, s27, exec_lo
	s_or_b32 s25, s25, s27
	s_branch .LBB123_198
.LBB123_201:
	s_or_b32 exec_lo, exec_lo, s21
	s_delay_alu instid0(SALU_CYCLE_1)
	s_mov_b32 s23, exec_lo
	s_or_not1_b32 s21, s22, exec_lo
.LBB123_202:
	s_or_b32 exec_lo, exec_lo, s1
	s_delay_alu instid0(SALU_CYCLE_1)
	s_and_b32 s1, s23, exec_lo
	s_xor_b32 s22, exec_lo, -1
	s_and_b32 s21, s21, exec_lo
.LBB123_203:
	s_or_b32 exec_lo, exec_lo, s56
	s_delay_alu instid0(SALU_CYCLE_1)
	s_and_not1_b32 s23, s49, exec_lo
	s_and_b32 s22, s22, exec_lo
	s_and_b32 s24, s1, exec_lo
	s_or_b32 s23, s23, s22
	s_xor_b32 s1, exec_lo, -1
	s_and_b32 s22, s21, exec_lo
.LBB123_204:
	s_or_b32 exec_lo, exec_lo, s55
	s_delay_alu instid0(SALU_CYCLE_1)
	s_and_b32 s21, s24, exec_lo
	s_and_not1_b32 s24, s49, exec_lo
	s_and_b32 s23, s23, exec_lo
	s_and_not1_b32 s25, s50, exec_lo
	s_and_b32 s1, s1, exec_lo
	s_or_b32 s23, s24, s23
	s_or_b32 s25, s25, s1
	s_xor_b32 s1, exec_lo, -1
	s_and_b32 s24, s22, exec_lo
.LBB123_205:
	s_or_b32 exec_lo, exec_lo, s54
	s_delay_alu instid0(SALU_CYCLE_1)
	s_and_not1_b32 s22, s49, exec_lo
	s_and_b32 s26, s23, exec_lo
	s_and_b32 s23, s21, exec_lo
	s_or_b32 s21, s22, s26
	s_and_not1_b32 s22, s50, exec_lo
	s_and_b32 s25, s25, exec_lo
	s_and_not1_b32 s26, s48, exec_lo
	s_and_b32 s1, s1, exec_lo
	s_or_b32 s22, s22, s25
	s_or_b32 s1, s26, s1
	s_or_not1_b32 s25, s24, exec_lo
.LBB123_206:
	s_or_b32 exec_lo, exec_lo, s53
	s_mov_b32 s26, 0
	s_and_saveexec_b32 s24, s25
	s_cbranch_execz .LBB123_210
; %bb.207:
	s_wait_loadcnt 0x1
	v_or_b32_e32 v12, 0x300, v0
	s_mov_b32 s25, 0
	s_mov_b32 s26, -1
	s_mov_b32 s27, s1
	s_mov_b32 s28, exec_lo
	v_cmpx_gt_i32_e64 s11, v12
	s_xor_b32 s28, exec_lo, s28
; %bb.208:
	v_cmp_ne_u64_e32 vcc_lo, s[4:5], v[10:11]
	s_xor_b32 s26, s43, -1
	s_and_not1_b32 s27, s1, exec_lo
	s_mov_b32 s25, exec_lo
	s_or_b32 s26, s26, vcc_lo
	s_delay_alu instid0(SALU_CYCLE_1)
	s_and_b32 s29, s26, exec_lo
	s_xor_b32 s26, exec_lo, -1
	s_or_b32 s27, s27, s29
; %bb.209:
	s_or_b32 exec_lo, exec_lo, s28
	s_delay_alu instid0(SALU_CYCLE_1)
	s_and_not1_b32 s1, s1, exec_lo
	s_and_b32 s27, s27, exec_lo
	s_and_b32 s26, s26, exec_lo
	s_and_not1_b32 s23, s23, exec_lo
	s_and_b32 s52, s25, exec_lo
	s_or_b32 s1, s1, s27
.LBB123_210:
	s_or_b32 exec_lo, exec_lo, s24
	s_delay_alu instid0(SALU_CYCLE_1)
	s_and_not1_b32 s24, s33, exec_lo
	s_and_b32 s25, s23, exec_lo
	s_and_b32 s21, s21, exec_lo
	s_or_b32 s33, s24, s25
	s_and_not1_b32 s24, s49, exec_lo
	s_and_not1_b32 s25, s50, exec_lo
	s_and_b32 s22, s22, exec_lo
	s_or_b32 s49, s24, s21
	s_and_not1_b32 s21, s48, exec_lo
	s_and_b32 s1, s1, exec_lo
	s_and_b32 s23, s26, exec_lo
	s_or_b32 s50, s25, s22
	s_and_b32 s52, s52, exec_lo
	s_or_b32 s48, s21, s1
.LBB123_211:
	s_or_b32 exec_lo, exec_lo, s51
	s_delay_alu instid0(SALU_CYCLE_1)
	s_and_not1_b32 s1, s42, exec_lo
	s_and_b32 s21, s33, exec_lo
	s_and_b32 s33, s23, exec_lo
	s_or_b32 s42, s1, s21
	s_and_not1_b32 s1, s44, exec_lo
	s_and_b32 s21, s49, exec_lo
	s_and_not1_b32 s22, s45, exec_lo
	s_and_b32 s23, s50, exec_lo
	s_or_b32 s44, s1, s21
	s_and_not1_b32 s1, s46, exec_lo
	s_and_b32 s21, s48, exec_lo
	s_or_b32 s45, s22, s23
	s_and_b32 s48, s52, exec_lo
	s_or_b32 s46, s1, s21
	s_or_b32 exec_lo, exec_lo, s47
	s_and_saveexec_b32 s1, s46
	s_cbranch_execz .LBB123_89
.LBB123_212:
	s_or_b32 s3, s3, exec_lo
	s_and_not1_b32 s48, s48, exec_lo
	s_trap 2
	s_branch .LBB123_89
.LBB123_213:
	s_or_b32 s3, s3, exec_lo
	s_trap 2
	s_branch .LBB123_76
.LBB123_214:
	s_or_b32 s3, s3, exec_lo
	s_and_not1_b32 s1, s1, exec_lo
	s_trap 2
	s_branch .LBB123_92
.LBB123_215:
	s_mov_b32 s3, exec_lo
	s_and_not1_b32 s0, s0, exec_lo
	s_trap 2
	s_branch .LBB123_67
	.section	.rodata,"a",@progbits
	.p2align	6, 0x0
	.amdhsa_kernel _ZN2at6native29vectorized_elementwise_kernelILi2EZZZNS0_12_GLOBAL__N_142_validate_compressed_sparse_indices_kernelILNS2_8CDimNameE1ENS2_18CUDAKernelLauncherENS2_14EmptyVecKernelENS2_8DummyVecELm0EEEvRKNS_6TensorESA_lllENKUlvE1_clEvENKUlvE0_clEvEUllllllE_St5arrayIPcLm6EEEEviT0_T1_
		.amdhsa_group_segment_fixed_size 0
		.amdhsa_private_segment_fixed_size 0
		.amdhsa_kernarg_size 112
		.amdhsa_user_sgpr_count 2
		.amdhsa_user_sgpr_dispatch_ptr 0
		.amdhsa_user_sgpr_queue_ptr 0
		.amdhsa_user_sgpr_kernarg_segment_ptr 1
		.amdhsa_user_sgpr_dispatch_id 0
		.amdhsa_user_sgpr_kernarg_preload_length 0
		.amdhsa_user_sgpr_kernarg_preload_offset 0
		.amdhsa_user_sgpr_private_segment_size 0
		.amdhsa_wavefront_size32 1
		.amdhsa_uses_dynamic_stack 0
		.amdhsa_enable_private_segment 0
		.amdhsa_system_sgpr_workgroup_id_x 1
		.amdhsa_system_sgpr_workgroup_id_y 0
		.amdhsa_system_sgpr_workgroup_id_z 0
		.amdhsa_system_sgpr_workgroup_info 0
		.amdhsa_system_vgpr_workitem_id 0
		.amdhsa_next_free_vgpr 56
		.amdhsa_next_free_sgpr 76
		.amdhsa_named_barrier_count 0
		.amdhsa_reserve_vcc 1
		.amdhsa_float_round_mode_32 0
		.amdhsa_float_round_mode_16_64 0
		.amdhsa_float_denorm_mode_32 3
		.amdhsa_float_denorm_mode_16_64 3
		.amdhsa_fp16_overflow 0
		.amdhsa_memory_ordered 1
		.amdhsa_forward_progress 1
		.amdhsa_inst_pref_size 103
		.amdhsa_round_robin_scheduling 0
		.amdhsa_exception_fp_ieee_invalid_op 0
		.amdhsa_exception_fp_denorm_src 0
		.amdhsa_exception_fp_ieee_div_zero 0
		.amdhsa_exception_fp_ieee_overflow 0
		.amdhsa_exception_fp_ieee_underflow 0
		.amdhsa_exception_fp_ieee_inexact 0
		.amdhsa_exception_int_div_zero 0
	.end_amdhsa_kernel
	.section	.text._ZN2at6native29vectorized_elementwise_kernelILi2EZZZNS0_12_GLOBAL__N_142_validate_compressed_sparse_indices_kernelILNS2_8CDimNameE1ENS2_18CUDAKernelLauncherENS2_14EmptyVecKernelENS2_8DummyVecELm0EEEvRKNS_6TensorESA_lllENKUlvE1_clEvENKUlvE0_clEvEUllllllE_St5arrayIPcLm6EEEEviT0_T1_,"axG",@progbits,_ZN2at6native29vectorized_elementwise_kernelILi2EZZZNS0_12_GLOBAL__N_142_validate_compressed_sparse_indices_kernelILNS2_8CDimNameE1ENS2_18CUDAKernelLauncherENS2_14EmptyVecKernelENS2_8DummyVecELm0EEEvRKNS_6TensorESA_lllENKUlvE1_clEvENKUlvE0_clEvEUllllllE_St5arrayIPcLm6EEEEviT0_T1_,comdat
.Lfunc_end123:
	.size	_ZN2at6native29vectorized_elementwise_kernelILi2EZZZNS0_12_GLOBAL__N_142_validate_compressed_sparse_indices_kernelILNS2_8CDimNameE1ENS2_18CUDAKernelLauncherENS2_14EmptyVecKernelENS2_8DummyVecELm0EEEvRKNS_6TensorESA_lllENKUlvE1_clEvENKUlvE0_clEvEUllllllE_St5arrayIPcLm6EEEEviT0_T1_, .Lfunc_end123-_ZN2at6native29vectorized_elementwise_kernelILi2EZZZNS0_12_GLOBAL__N_142_validate_compressed_sparse_indices_kernelILNS2_8CDimNameE1ENS2_18CUDAKernelLauncherENS2_14EmptyVecKernelENS2_8DummyVecELm0EEEvRKNS_6TensorESA_lllENKUlvE1_clEvENKUlvE0_clEvEUllllllE_St5arrayIPcLm6EEEEviT0_T1_
                                        ; -- End function
	.set _ZN2at6native29vectorized_elementwise_kernelILi2EZZZNS0_12_GLOBAL__N_142_validate_compressed_sparse_indices_kernelILNS2_8CDimNameE1ENS2_18CUDAKernelLauncherENS2_14EmptyVecKernelENS2_8DummyVecELm0EEEvRKNS_6TensorESA_lllENKUlvE1_clEvENKUlvE0_clEvEUllllllE_St5arrayIPcLm6EEEEviT0_T1_.num_vgpr, 56
	.set _ZN2at6native29vectorized_elementwise_kernelILi2EZZZNS0_12_GLOBAL__N_142_validate_compressed_sparse_indices_kernelILNS2_8CDimNameE1ENS2_18CUDAKernelLauncherENS2_14EmptyVecKernelENS2_8DummyVecELm0EEEvRKNS_6TensorESA_lllENKUlvE1_clEvENKUlvE0_clEvEUllllllE_St5arrayIPcLm6EEEEviT0_T1_.num_agpr, 0
	.set _ZN2at6native29vectorized_elementwise_kernelILi2EZZZNS0_12_GLOBAL__N_142_validate_compressed_sparse_indices_kernelILNS2_8CDimNameE1ENS2_18CUDAKernelLauncherENS2_14EmptyVecKernelENS2_8DummyVecELm0EEEvRKNS_6TensorESA_lllENKUlvE1_clEvENKUlvE0_clEvEUllllllE_St5arrayIPcLm6EEEEviT0_T1_.numbered_sgpr, 76
	.set _ZN2at6native29vectorized_elementwise_kernelILi2EZZZNS0_12_GLOBAL__N_142_validate_compressed_sparse_indices_kernelILNS2_8CDimNameE1ENS2_18CUDAKernelLauncherENS2_14EmptyVecKernelENS2_8DummyVecELm0EEEvRKNS_6TensorESA_lllENKUlvE1_clEvENKUlvE0_clEvEUllllllE_St5arrayIPcLm6EEEEviT0_T1_.num_named_barrier, 0
	.set _ZN2at6native29vectorized_elementwise_kernelILi2EZZZNS0_12_GLOBAL__N_142_validate_compressed_sparse_indices_kernelILNS2_8CDimNameE1ENS2_18CUDAKernelLauncherENS2_14EmptyVecKernelENS2_8DummyVecELm0EEEvRKNS_6TensorESA_lllENKUlvE1_clEvENKUlvE0_clEvEUllllllE_St5arrayIPcLm6EEEEviT0_T1_.private_seg_size, 0
	.set _ZN2at6native29vectorized_elementwise_kernelILi2EZZZNS0_12_GLOBAL__N_142_validate_compressed_sparse_indices_kernelILNS2_8CDimNameE1ENS2_18CUDAKernelLauncherENS2_14EmptyVecKernelENS2_8DummyVecELm0EEEvRKNS_6TensorESA_lllENKUlvE1_clEvENKUlvE0_clEvEUllllllE_St5arrayIPcLm6EEEEviT0_T1_.uses_vcc, 1
	.set _ZN2at6native29vectorized_elementwise_kernelILi2EZZZNS0_12_GLOBAL__N_142_validate_compressed_sparse_indices_kernelILNS2_8CDimNameE1ENS2_18CUDAKernelLauncherENS2_14EmptyVecKernelENS2_8DummyVecELm0EEEvRKNS_6TensorESA_lllENKUlvE1_clEvENKUlvE0_clEvEUllllllE_St5arrayIPcLm6EEEEviT0_T1_.uses_flat_scratch, 0
	.set _ZN2at6native29vectorized_elementwise_kernelILi2EZZZNS0_12_GLOBAL__N_142_validate_compressed_sparse_indices_kernelILNS2_8CDimNameE1ENS2_18CUDAKernelLauncherENS2_14EmptyVecKernelENS2_8DummyVecELm0EEEvRKNS_6TensorESA_lllENKUlvE1_clEvENKUlvE0_clEvEUllllllE_St5arrayIPcLm6EEEEviT0_T1_.has_dyn_sized_stack, 0
	.set _ZN2at6native29vectorized_elementwise_kernelILi2EZZZNS0_12_GLOBAL__N_142_validate_compressed_sparse_indices_kernelILNS2_8CDimNameE1ENS2_18CUDAKernelLauncherENS2_14EmptyVecKernelENS2_8DummyVecELm0EEEvRKNS_6TensorESA_lllENKUlvE1_clEvENKUlvE0_clEvEUllllllE_St5arrayIPcLm6EEEEviT0_T1_.has_recursion, 0
	.set _ZN2at6native29vectorized_elementwise_kernelILi2EZZZNS0_12_GLOBAL__N_142_validate_compressed_sparse_indices_kernelILNS2_8CDimNameE1ENS2_18CUDAKernelLauncherENS2_14EmptyVecKernelENS2_8DummyVecELm0EEEvRKNS_6TensorESA_lllENKUlvE1_clEvENKUlvE0_clEvEUllllllE_St5arrayIPcLm6EEEEviT0_T1_.has_indirect_call, 0
	.section	.AMDGPU.csdata,"",@progbits
; Kernel info:
; codeLenInByte = 13120
; TotalNumSgprs: 78
; NumVgprs: 56
; ScratchSize: 0
; MemoryBound: 0
; FloatMode: 240
; IeeeMode: 1
; LDSByteSize: 0 bytes/workgroup (compile time only)
; SGPRBlocks: 0
; VGPRBlocks: 3
; NumSGPRsForWavesPerEU: 78
; NumVGPRsForWavesPerEU: 56
; NamedBarCnt: 0
; Occupancy: 16
; WaveLimiterHint : 1
; COMPUTE_PGM_RSRC2:SCRATCH_EN: 0
; COMPUTE_PGM_RSRC2:USER_SGPR: 2
; COMPUTE_PGM_RSRC2:TRAP_HANDLER: 0
; COMPUTE_PGM_RSRC2:TGID_X_EN: 1
; COMPUTE_PGM_RSRC2:TGID_Y_EN: 0
; COMPUTE_PGM_RSRC2:TGID_Z_EN: 0
; COMPUTE_PGM_RSRC2:TIDIG_COMP_CNT: 0
	.section	.text._ZN2at6native27unrolled_elementwise_kernelIZZZNS0_12_GLOBAL__N_142_validate_compressed_sparse_indices_kernelILNS2_8CDimNameE1ENS2_18CUDAKernelLauncherENS2_14EmptyVecKernelENS2_8DummyVecELm0EEEvRKNS_6TensorESA_lllENKUlvE1_clEvENKUlvE0_clEvEUllllllE_St5arrayIPcLm6EELi4E23TrivialOffsetCalculatorILi5EjESH_ILi1EjENS0_6memory15LoadWithoutCastENSK_16StoreWithoutCastEEEviT_T0_T2_T3_T4_T5_,"axG",@progbits,_ZN2at6native27unrolled_elementwise_kernelIZZZNS0_12_GLOBAL__N_142_validate_compressed_sparse_indices_kernelILNS2_8CDimNameE1ENS2_18CUDAKernelLauncherENS2_14EmptyVecKernelENS2_8DummyVecELm0EEEvRKNS_6TensorESA_lllENKUlvE1_clEvENKUlvE0_clEvEUllllllE_St5arrayIPcLm6EELi4E23TrivialOffsetCalculatorILi5EjESH_ILi1EjENS0_6memory15LoadWithoutCastENSK_16StoreWithoutCastEEEviT_T0_T2_T3_T4_T5_,comdat
	.globl	_ZN2at6native27unrolled_elementwise_kernelIZZZNS0_12_GLOBAL__N_142_validate_compressed_sparse_indices_kernelILNS2_8CDimNameE1ENS2_18CUDAKernelLauncherENS2_14EmptyVecKernelENS2_8DummyVecELm0EEEvRKNS_6TensorESA_lllENKUlvE1_clEvENKUlvE0_clEvEUllllllE_St5arrayIPcLm6EELi4E23TrivialOffsetCalculatorILi5EjESH_ILi1EjENS0_6memory15LoadWithoutCastENSK_16StoreWithoutCastEEEviT_T0_T2_T3_T4_T5_ ; -- Begin function _ZN2at6native27unrolled_elementwise_kernelIZZZNS0_12_GLOBAL__N_142_validate_compressed_sparse_indices_kernelILNS2_8CDimNameE1ENS2_18CUDAKernelLauncherENS2_14EmptyVecKernelENS2_8DummyVecELm0EEEvRKNS_6TensorESA_lllENKUlvE1_clEvENKUlvE0_clEvEUllllllE_St5arrayIPcLm6EELi4E23TrivialOffsetCalculatorILi5EjESH_ILi1EjENS0_6memory15LoadWithoutCastENSK_16StoreWithoutCastEEEviT_T0_T2_T3_T4_T5_
	.p2align	8
	.type	_ZN2at6native27unrolled_elementwise_kernelIZZZNS0_12_GLOBAL__N_142_validate_compressed_sparse_indices_kernelILNS2_8CDimNameE1ENS2_18CUDAKernelLauncherENS2_14EmptyVecKernelENS2_8DummyVecELm0EEEvRKNS_6TensorESA_lllENKUlvE1_clEvENKUlvE0_clEvEUllllllE_St5arrayIPcLm6EELi4E23TrivialOffsetCalculatorILi5EjESH_ILi1EjENS0_6memory15LoadWithoutCastENSK_16StoreWithoutCastEEEviT_T0_T2_T3_T4_T5_,@function
_ZN2at6native27unrolled_elementwise_kernelIZZZNS0_12_GLOBAL__N_142_validate_compressed_sparse_indices_kernelILNS2_8CDimNameE1ENS2_18CUDAKernelLauncherENS2_14EmptyVecKernelENS2_8DummyVecELm0EEEvRKNS_6TensorESA_lllENKUlvE1_clEvENKUlvE0_clEvEUllllllE_St5arrayIPcLm6EELi4E23TrivialOffsetCalculatorILi5EjESH_ILi1EjENS0_6memory15LoadWithoutCastENSK_16StoreWithoutCastEEEviT_T0_T2_T3_T4_T5_: ; @_ZN2at6native27unrolled_elementwise_kernelIZZZNS0_12_GLOBAL__N_142_validate_compressed_sparse_indices_kernelILNS2_8CDimNameE1ENS2_18CUDAKernelLauncherENS2_14EmptyVecKernelENS2_8DummyVecELm0EEEvRKNS_6TensorESA_lllENKUlvE1_clEvENKUlvE0_clEvEUllllllE_St5arrayIPcLm6EELi4E23TrivialOffsetCalculatorILi5EjESH_ILi1EjENS0_6memory15LoadWithoutCastENSK_16StoreWithoutCastEEEviT_T0_T2_T3_T4_T5_
; %bb.0:
	s_load_b32 s2, s[0:1], 0x0
	s_bfe_u32 s4, ttmp6, 0x4000c
	s_clause 0x1
	s_load_b64 s[28:29], s[0:1], 0x68
	s_load_b256 s[20:27], s[0:1], 0x48
	s_add_co_i32 s4, s4, 1
	s_and_b32 s3, ttmp6, 15
	s_mul_i32 s4, ttmp9, s4
	s_getreg_b32 s5, hwreg(HW_REG_IB_STS2, 6, 4)
	s_add_co_i32 s3, s3, s4
	s_cmp_eq_u32 s5, 0
	v_mov_b64_e32 v[28:29], 0
	s_cselect_b32 s3, ttmp9, s3
	v_mov_b64_e32 v[40:41], 0
	s_lshl_b32 s3, s3, 10
	v_mov_b64_e32 v[36:37], 0
	v_mov_b64_e32 v[34:35], 0
	;; [unrolled: 1-line block ×4, first 2 shown]
	v_or_b32_e32 v1, 0x100, v0
	v_mov_b32_e32 v42, v0
	s_wait_kmcnt 0x0
	s_sub_co_i32 s33, s2, s3
	s_delay_alu instid0(SALU_CYCLE_1)
	v_cmp_gt_i32_e64 s2, s33, v0
	s_and_saveexec_b32 s4, s2
	s_cbranch_execz .LBB124_2
; %bb.1:
	v_or_b32_e32 v2, s3, v0
	v_or_b32_e32 v42, 0x100, v0
	s_clause 0x4
	global_load_b64 v[40:41], v2, s[20:21] scale_offset
	global_load_b64 v[36:37], v2, s[22:23] scale_offset
	;; [unrolled: 1-line block ×5, first 2 shown]
.LBB124_2:
	s_wait_xcnt 0x0
	s_or_b32 exec_lo, exec_lo, s4
	v_mov_b64_e32 v[30:31], 0
	v_mov_b64_e32 v[24:25], 0
	;; [unrolled: 1-line block ×4, first 2 shown]
	s_mov_b32 s4, exec_lo
	v_cmpx_gt_i32_e64 s33, v42
	s_cbranch_execz .LBB124_4
; %bb.3:
	v_add_nc_u32_e32 v2, s3, v42
	v_add_nc_u32_e32 v42, 0x100, v42
	s_clause 0x4
	global_load_b64 v[28:29], v2, s[20:21] scale_offset
	global_load_b64 v[30:31], v2, s[22:23] scale_offset
	;; [unrolled: 1-line block ×5, first 2 shown]
.LBB124_4:
	s_wait_xcnt 0x0
	s_or_b32 exec_lo, exec_lo, s4
	v_mov_b64_e32 v[10:11], 0
	v_mov_b64_e32 v[20:21], 0
	;; [unrolled: 1-line block ×6, first 2 shown]
	s_mov_b32 s4, exec_lo
	v_cmpx_gt_i32_e64 s33, v42
	s_cbranch_execz .LBB124_6
; %bb.5:
	v_add_nc_u32_e32 v2, s3, v42
	v_add_nc_u32_e32 v42, 0x100, v42
	s_clause 0x4
	global_load_b64 v[20:21], v2, s[20:21] scale_offset
	global_load_b64 v[18:19], v2, s[22:23] scale_offset
	;; [unrolled: 1-line block ×5, first 2 shown]
.LBB124_6:
	s_wait_xcnt 0x0
	s_or_b32 exec_lo, exec_lo, s4
	s_load_b512 s[4:19], s[0:1], 0x8
	v_mov_b64_e32 v[8:9], 0
	v_mov_b64_e32 v[4:5], 0
	;; [unrolled: 1-line block ×4, first 2 shown]
	s_wait_xcnt 0x0
	s_mov_b32 s0, exec_lo
	v_cmpx_gt_i32_e64 s33, v42
	s_cbranch_execz .LBB124_8
; %bb.7:
	v_add_nc_u32_e32 v42, s3, v42
	s_clause 0x4
	global_load_b64 v[10:11], v42, s[20:21] scale_offset
	global_load_b64 v[8:9], v42, s[22:23] scale_offset
	;; [unrolled: 1-line block ×5, first 2 shown]
.LBB124_8:
	s_wait_xcnt 0x0
	s_or_b32 exec_lo, exec_lo, s0
	s_get_pc_i64 s[0:1]
	s_add_nc_u64 s[0:1], s[0:1], .str.6@rel64+4
	s_get_pc_i64 s[20:21]
	s_add_nc_u64 s[20:21], s[20:21], .str.7@rel64+4
	s_cmp_lg_u64 s[0:1], 0
	s_get_pc_i64 s[0:1]
	s_add_nc_u64 s[0:1], s[0:1], .str.8@rel64+4
	s_cselect_b32 s40, -1, 0
	s_cmp_lg_u64 s[20:21], 0
	s_get_pc_i64 s[22:23]
	s_add_nc_u64 s[22:23], s[22:23], .str.9@rel64+4
	s_cselect_b32 s38, -1, 0
	s_cmp_lg_u64 s[0:1], 0
	s_mov_b32 s0, -1
	s_cselect_b32 s37, -1, 0
	s_wait_kmcnt 0x0
	s_add_co_i32 s20, s10, -1
	s_mov_b32 s45, 0
	s_cmp_gt_i32 s20, -1
	s_mov_b32 s43, 0
	s_cselect_b32 s36, -1, 0
	s_cmp_lg_u64 s[22:23], 0
	s_mov_b32 s42, 0
	s_cselect_b32 s11, -1, 0
	s_mov_b32 s41, 0
	s_mov_b32 s39, 0
	s_and_saveexec_b32 s44, s2
	s_cbranch_execz .LBB124_29
; %bb.9:
	s_wait_loadcnt 0x4
	v_cmp_eq_u64_e32 vcc_lo, s[4:5], v[40:41]
	s_mov_b32 s1, -1
	s_mov_b32 s0, 0
	s_mov_b32 s21, 0
	;; [unrolled: 1-line block ×4, first 2 shown]
	s_and_b32 s24, s40, vcc_lo
	s_delay_alu instid0(SALU_CYCLE_1)
	s_and_saveexec_b32 s39, s24
	s_cbranch_execz .LBB124_28
; %bb.10:
	s_wait_loadcnt 0x3
	v_cmp_eq_u64_e32 vcc_lo, s[8:9], v[36:37]
	s_and_b32 s23, s38, vcc_lo
	s_delay_alu instid0(SALU_CYCLE_1)
	s_and_saveexec_b32 s41, s23
	s_cbranch_execz .LBB124_27
; %bb.11:
	s_wait_loadcnt 0x1
	v_sub_nc_u64_e32 v[36:37], v[32:33], v[34:35]
	s_delay_alu instid0(VALU_DEP_1)
	v_cmp_le_i64_e32 vcc_lo, s[4:5], v[36:37]
	v_cmp_ge_i64_e64 s0, s[6:7], v[36:37]
	s_and_b32 s21, vcc_lo, s0
	s_mov_b32 s0, 0
	s_and_b32 s22, s37, s21
	s_mov_b32 s21, 0
	s_and_saveexec_b32 s42, s22
	s_cbranch_execz .LBB124_26
; %bb.12:
	v_cmp_lt_i64_e64 s0, s[8:9], 1
	v_mov_b64_e32 v[36:37], 0
	s_xor_b32 s1, s36, -1
	s_delay_alu instid0(SALU_CYCLE_1) | instskip(NEXT) | instid1(SALU_CYCLE_1)
	s_or_b32 s0, s0, s1
	s_and_b32 vcc_lo, exec_lo, s0
	s_cbranch_vccnz .LBB124_19
; %bb.13:
	s_wait_loadcnt 0x0
	v_mul_u64_e32 v[40:41], s[8:9], v[38:39]
	s_mov_b32 s1, 0
	v_mov_b64_e32 v[36:37], 0
	s_mov_b32 s21, s1
	v_mov_b32_e32 v38, 0
	s_lshl_b64 s[26:27], s[20:21], 3
	s_mov_b64 s[22:23], 0xffffffff
	s_add_nc_u64 s[24:25], s[12:13], s[26:27]
	s_add_nc_u64 s[26:27], s[14:15], s[26:27]
	s_mov_b32 s21, s10
	s_branch .LBB124_15
.LBB124_14:                             ;   in Loop: Header=BB124_15 Depth=1
	s_or_b32 exec_lo, exec_lo, s0
	s_delay_alu instid0(VALU_DEP_1)
	v_mul_u64_e32 v[44:45], s[28:29], v[42:43]
	s_load_b64 s[28:29], s[26:27], 0x0
	s_add_co_i32 s21, s21, -1
	s_add_nc_u64 s[24:25], s[24:25], -8
	s_cmp_eq_u32 s21, 0
	s_wait_xcnt 0x0
	s_add_nc_u64 s[26:27], s[26:27], -8
	s_delay_alu instid0(VALU_DEP_1) | instskip(SKIP_1) | instid1(VALU_DEP_1)
	v_sub_nc_u64_e32 v[40:41], v[40:41], v[44:45]
	s_wait_kmcnt 0x0
	v_mad_nc_u64_u32 v[36:37], v40, s28, v[36:37]
	s_delay_alu instid0(VALU_DEP_1) | instskip(NEXT) | instid1(VALU_DEP_1)
	v_mad_u32 v37, v41, s28, v37
	v_mad_u32 v37, v40, s29, v37
	v_mov_b64_e32 v[40:41], v[42:43]
	s_cbranch_scc1 .LBB124_19
.LBB124_15:                             ; =>This Inner Loop Header: Depth=1
	s_load_b64 s[28:29], s[24:25], 0x0
                                        ; implicit-def: $vgpr42_vgpr43
	s_mov_b32 s0, exec_lo
	s_wait_kmcnt 0x0
	s_delay_alu instid0(VALU_DEP_1) | instskip(NEXT) | instid1(VALU_DEP_1)
	v_or_b32_e32 v39, s29, v41
	v_cmpx_ne_u64_e32 0, v[38:39]
	s_xor_b32 s43, exec_lo, s0
	s_cbranch_execz .LBB124_17
; %bb.16:                               ;   in Loop: Header=BB124_15 Depth=1
	s_ashr_i32 s30, s29, 31
	v_dual_mov_b32 v47, v38 :: v_dual_ashrrev_i32 v42, 31, v41
	s_mov_b32 s31, s30
	v_mov_b32_e32 v55, v38
	s_add_nc_u64 s[34:35], s[28:29], s[30:31]
	s_delay_alu instid0(VALU_DEP_2) | instskip(SKIP_1) | instid1(SALU_CYCLE_1)
	v_mov_b32_e32 v43, v42
	s_xor_b64 s[34:35], s[34:35], s[30:31]
	s_cvt_f32_u32 s0, s34
	s_cvt_f32_u32 s31, s35
	s_sub_nc_u64 s[48:49], 0, s[34:35]
	v_add_nc_u64_e32 v[44:45], v[40:41], v[42:43]
	v_mov_b32_e32 v51, v38
	s_fmamk_f32 s0, s31, 0x4f800000, s0
	s_delay_alu instid0(SALU_CYCLE_3) | instskip(NEXT) | instid1(VALU_DEP_2)
	v_s_rcp_f32 s0, s0
	v_xor_b32_e32 v46, v44, v42
	s_delay_alu instid0(VALU_DEP_3) | instskip(NEXT) | instid1(TRANS32_DEP_1)
	v_xor_b32_e32 v50, v45, v42
	s_mul_f32 s0, s0, 0x5f7ffffc
	s_delay_alu instid0(SALU_CYCLE_3) | instskip(NEXT) | instid1(SALU_CYCLE_3)
	s_mul_f32 s31, s0, 0x2f800000
	s_trunc_f32 s31, s31
	s_delay_alu instid0(SALU_CYCLE_3) | instskip(SKIP_1) | instid1(SALU_CYCLE_2)
	s_fmamk_f32 s0, s31, 0xcf800000, s0
	s_cvt_u32_f32 s47, s31
	s_cvt_u32_f32 s46, s0
	s_delay_alu instid0(SALU_CYCLE_3) | instskip(NEXT) | instid1(SALU_CYCLE_1)
	s_mul_u64 s[50:51], s[48:49], s[46:47]
	s_mul_hi_u32 s53, s46, s51
	s_mul_i32 s52, s46, s51
	s_mul_hi_u32 s0, s46, s50
	s_mul_i32 s54, s47, s50
	s_add_nc_u64 s[52:53], s[0:1], s[52:53]
	s_mul_hi_u32 s31, s47, s50
	s_mul_hi_u32 s55, s47, s51
	s_add_co_u32 s0, s52, s54
	s_add_co_ci_u32 s0, s53, s31
	s_mul_i32 s50, s47, s51
	s_add_co_ci_u32 s51, s55, 0
	s_delay_alu instid0(SALU_CYCLE_1) | instskip(NEXT) | instid1(SALU_CYCLE_1)
	s_add_nc_u64 s[50:51], s[0:1], s[50:51]
	s_add_co_u32 s46, s46, s50
	s_cselect_b32 s0, -1, 0
	s_delay_alu instid0(SALU_CYCLE_1) | instskip(SKIP_1) | instid1(SALU_CYCLE_1)
	s_cmp_lg_u32 s0, 0
	s_add_co_ci_u32 s47, s47, s51
	s_mul_u64 s[48:49], s[48:49], s[46:47]
	s_delay_alu instid0(SALU_CYCLE_1)
	s_mul_hi_u32 s51, s46, s49
	s_mul_i32 s50, s46, s49
	s_mul_hi_u32 s0, s46, s48
	s_mul_i32 s52, s47, s48
	s_add_nc_u64 s[50:51], s[0:1], s[50:51]
	s_mul_hi_u32 s31, s47, s48
	s_mul_hi_u32 s53, s47, s49
	s_add_co_u32 s0, s50, s52
	s_add_co_ci_u32 s0, s51, s31
	s_mul_i32 s48, s47, s49
	s_add_co_ci_u32 s49, s53, 0
	s_delay_alu instid0(SALU_CYCLE_1) | instskip(NEXT) | instid1(SALU_CYCLE_1)
	s_add_nc_u64 s[48:49], s[0:1], s[48:49]
	s_add_co_u32 s46, s46, s48
	s_cselect_b32 s0, -1, 0
	v_mul_hi_u32 v54, v46, s46
	s_cmp_lg_u32 s0, 0
	s_add_co_ci_u32 s0, s47, s49
	s_and_b64 s[48:49], s[46:47], s[22:23]
	v_mul_u64_e32 v[48:49], s[0:1], v[46:47]
	v_mul_u64_e32 v[44:45], s[48:49], v[50:51]
	;; [unrolled: 1-line block ×3, first 2 shown]
	s_delay_alu instid0(VALU_DEP_3) | instskip(NEXT) | instid1(VALU_DEP_1)
	v_add_nc_u64_e32 v[48:49], v[54:55], v[48:49]
	v_add_co_u32 v39, vcc_lo, v48, v44
	s_delay_alu instid0(VALU_DEP_2) | instskip(NEXT) | instid1(VALU_DEP_4)
	v_add_co_ci_u32_e32 v54, vcc_lo, v49, v45, vcc_lo
	v_add_co_ci_u32_e32 v53, vcc_lo, 0, v53, vcc_lo
	s_delay_alu instid0(VALU_DEP_1) | instskip(NEXT) | instid1(VALU_DEP_1)
	v_add_nc_u64_e32 v[44:45], v[54:55], v[52:53]
	v_mul_u64_e32 v[48:49], s[34:35], v[44:45]
	s_delay_alu instid0(VALU_DEP_1) | instskip(NEXT) | instid1(VALU_DEP_2)
	v_sub_nc_u32_e32 v39, v50, v49
	v_sub_co_u32 v43, vcc_lo, v46, v48
	s_delay_alu instid0(VALU_DEP_1) | instskip(NEXT) | instid1(VALU_DEP_3)
	v_sub_co_ci_u32_e64 v50, null, v50, v49, vcc_lo
	v_subrev_co_ci_u32_e64 v39, null, s35, v39, vcc_lo
	s_delay_alu instid0(VALU_DEP_3) | instskip(SKIP_1) | instid1(VALU_DEP_3)
	v_sub_co_u32 v46, s0, v43, s34
	v_add_nc_u64_e32 v[48:49], 1, v[44:45]
	v_subrev_co_ci_u32_e64 v39, null, 0, v39, s0
	s_delay_alu instid0(VALU_DEP_3) | instskip(SKIP_1) | instid1(VALU_DEP_3)
	v_cmp_le_u32_e32 vcc_lo, s34, v46
	v_cndmask_b32_e64 v46, 0, -1, vcc_lo
	v_cmp_le_u32_e32 vcc_lo, s35, v39
	v_cndmask_b32_e64 v47, 0, -1, vcc_lo
	;; [unrolled: 2-line block ×4, first 2 shown]
	v_cmp_eq_u32_e32 vcc_lo, s35, v39
	v_cndmask_b32_e32 v39, v47, v46, vcc_lo
	v_cmp_eq_u32_e32 vcc_lo, s35, v50
	v_add_nc_u64_e32 v[46:47], 2, v[44:45]
	v_cndmask_b32_e32 v43, v51, v43, vcc_lo
	s_delay_alu instid0(VALU_DEP_4) | instskip(NEXT) | instid1(VALU_DEP_2)
	v_cmp_ne_u32_e32 vcc_lo, 0, v39
	v_cmp_ne_u32_e64 s0, 0, v43
	s_delay_alu instid0(VALU_DEP_4) | instskip(NEXT) | instid1(VALU_DEP_1)
	v_dual_cndmask_b32 v39, v49, v47, vcc_lo :: v_dual_cndmask_b32 v43, v48, v46, vcc_lo
	v_dual_cndmask_b32 v39, v45, v39, s0 :: v_dual_bitop2_b32 v42, s30, v42 bitop3:0x14
	s_delay_alu instid0(VALU_DEP_1) | instskip(NEXT) | instid1(VALU_DEP_2)
	v_dual_cndmask_b32 v44, v44, v43, s0 :: v_dual_mov_b32 v43, v42
	v_xor_b32_e32 v45, v39, v42
	s_delay_alu instid0(VALU_DEP_2) | instskip(NEXT) | instid1(VALU_DEP_1)
	v_xor_b32_e32 v44, v44, v42
	v_sub_nc_u64_e32 v[42:43], v[44:45], v[42:43]
.LBB124_17:                             ;   in Loop: Header=BB124_15 Depth=1
	s_and_not1_saveexec_b32 s0, s43
	s_cbranch_execz .LBB124_14
; %bb.18:                               ;   in Loop: Header=BB124_15 Depth=1
	v_cvt_f32_u32_e32 v39, s28
	s_sub_co_i32 s30, 0, s28
	s_delay_alu instid0(VALU_DEP_1) | instskip(SKIP_1) | instid1(TRANS32_DEP_1)
	v_rcp_iflag_f32_e32 v39, v39
	v_nop
	v_mul_f32_e32 v39, 0x4f7ffffe, v39
	s_delay_alu instid0(VALU_DEP_1) | instskip(NEXT) | instid1(VALU_DEP_1)
	v_cvt_u32_f32_e32 v39, v39
	v_mul_lo_u32 v42, s30, v39
	s_delay_alu instid0(VALU_DEP_1) | instskip(NEXT) | instid1(VALU_DEP_1)
	v_mul_hi_u32 v42, v39, v42
	v_add_nc_u32_e32 v39, v39, v42
	s_delay_alu instid0(VALU_DEP_1) | instskip(NEXT) | instid1(VALU_DEP_1)
	v_mul_hi_u32 v39, v40, v39
	v_mul_lo_u32 v42, v39, s28
	s_delay_alu instid0(VALU_DEP_1) | instskip(NEXT) | instid1(VALU_DEP_1)
	v_dual_add_nc_u32 v43, 1, v39 :: v_dual_sub_nc_u32 v42, v40, v42
	v_subrev_nc_u32_e32 v44, s28, v42
	v_cmp_le_u32_e32 vcc_lo, s28, v42
	s_delay_alu instid0(VALU_DEP_2) | instskip(NEXT) | instid1(VALU_DEP_1)
	v_dual_cndmask_b32 v42, v42, v44 :: v_dual_cndmask_b32 v39, v39, v43
	v_cmp_le_u32_e32 vcc_lo, s28, v42
	s_delay_alu instid0(VALU_DEP_2) | instskip(NEXT) | instid1(VALU_DEP_1)
	v_add_nc_u32_e32 v43, 1, v39
	v_dual_cndmask_b32 v42, v39, v43 :: v_dual_mov_b32 v43, v38
	s_branch .LBB124_14
.LBB124_19:
	s_mov_b32 s22, -1
	s_mov_b32 s1, 0
	s_mov_b32 s0, exec_lo
	v_cmpx_gt_i64_e64 v[32:33], v[34:35]
	s_cbranch_execz .LBB124_25
; %bb.20:
	s_delay_alu instid0(VALU_DEP_2) | instskip(SKIP_1) | instid1(VALU_DEP_1)
	v_lshlrev_b64_e32 v[36:37], 3, v[36:37]
	s_xor_b32 s22, s11, -1
                                        ; implicit-def: $sgpr21
                                        ; implicit-def: $sgpr24
                                        ; implicit-def: $sgpr23
	v_lshl_add_u64 v[34:35], v[34:35], 3, v[36:37]
	v_add_nc_u64_e32 v[36:37], s[16:17], v[36:37]
	s_delay_alu instid0(VALU_DEP_2) | instskip(NEXT) | instid1(VALU_DEP_2)
	v_add_nc_u64_e32 v[34:35], s[16:17], v[34:35]
	v_lshl_add_u64 v[32:33], v[32:33], 3, v[36:37]
	s_delay_alu instid0(VALU_DEP_2)
	v_add_nc_u64_e32 v[34:35], 8, v[34:35]
	s_branch .LBB124_22
.LBB124_21:                             ;   in Loop: Header=BB124_22 Depth=1
	s_or_b32 exec_lo, exec_lo, s25
	s_delay_alu instid0(SALU_CYCLE_1) | instskip(NEXT) | instid1(SALU_CYCLE_1)
	s_and_b32 s25, exec_lo, s24
	s_or_b32 s1, s25, s1
	s_and_not1_b32 s21, s21, exec_lo
	s_and_b32 s25, s23, exec_lo
	s_delay_alu instid0(SALU_CYCLE_1)
	s_or_b32 s21, s21, s25
	s_and_not1_b32 exec_lo, exec_lo, s1
	s_cbranch_execz .LBB124_24
.LBB124_22:                             ; =>This Inner Loop Header: Depth=1
	s_or_b32 s23, s23, exec_lo
	s_or_b32 s24, s24, exec_lo
	s_mov_b32 s25, exec_lo
	s_delay_alu instid0(VALU_DEP_1)
	v_cmpx_lt_u64_e64 v[34:35], v[32:33]
	s_cbranch_execz .LBB124_21
; %bb.23:                               ;   in Loop: Header=BB124_22 Depth=1
	s_wait_loadcnt 0x0
	global_load_b128 v[36:39], v[34:35], off offset:-8
	s_wait_xcnt 0x0
	v_add_nc_u64_e32 v[34:35], 8, v[34:35]
	s_and_not1_b32 s24, s24, exec_lo
	s_and_not1_b32 s23, s23, exec_lo
	s_wait_loadcnt 0x0
	v_cmp_ge_i64_e32 vcc_lo, v[36:37], v[38:39]
	s_or_b32 s26, s22, vcc_lo
	s_delay_alu instid0(SALU_CYCLE_1) | instskip(NEXT) | instid1(SALU_CYCLE_1)
	s_and_b32 s26, s26, exec_lo
	s_or_b32 s24, s24, s26
	s_branch .LBB124_21
.LBB124_24:
	s_or_b32 exec_lo, exec_lo, s1
	s_delay_alu instid0(SALU_CYCLE_1)
	s_mov_b32 s1, exec_lo
	s_or_not1_b32 s22, s21, exec_lo
.LBB124_25:
	s_or_b32 exec_lo, exec_lo, s0
	s_delay_alu instid0(SALU_CYCLE_1)
	s_and_b32 s21, s1, exec_lo
	s_xor_b32 s1, exec_lo, -1
	s_and_b32 s0, s22, exec_lo
.LBB124_26:
	s_or_b32 exec_lo, exec_lo, s42
	s_delay_alu instid0(SALU_CYCLE_1)
	s_and_b32 s22, s21, exec_lo
	s_and_b32 s21, s1, exec_lo
	s_xor_b32 s1, exec_lo, -1
	s_and_b32 s0, s0, exec_lo
.LBB124_27:
	s_or_b32 exec_lo, exec_lo, s41
	s_delay_alu instid0(SALU_CYCLE_1)
	s_and_b32 s23, s22, exec_lo
	s_and_b32 s22, s21, exec_lo
	;; [unrolled: 1-line block ×3, first 2 shown]
	s_xor_b32 s1, exec_lo, -1
	s_and_b32 s0, s0, exec_lo
.LBB124_28:
	s_or_b32 exec_lo, exec_lo, s39
	s_delay_alu instid0(SALU_CYCLE_1)
	s_and_b32 s39, s23, exec_lo
	s_and_b32 s41, s22, exec_lo
	;; [unrolled: 1-line block ×4, first 2 shown]
	s_or_not1_b32 s0, s0, exec_lo
.LBB124_29:
	s_or_b32 exec_lo, exec_lo, s44
	s_mov_b32 s1, 0
	s_and_saveexec_b32 s44, s0
	s_cbranch_execz .LBB124_79
; %bb.30:
	s_mov_b32 s0, -1
	s_mov_b32 s50, 0
	s_mov_b32 s45, s43
	;; [unrolled: 1-line block ×5, first 2 shown]
	s_mov_b32 s49, exec_lo
	v_cmpx_gt_i32_e64 s33, v1
	s_cbranch_execz .LBB124_51
; %bb.31:
	s_wait_loadcnt 0x4
	v_cmp_eq_u64_e32 vcc_lo, s[4:5], v[28:29]
	s_mov_b32 s1, -1
	s_mov_b32 s0, 0
	s_mov_b32 s22, s42
	;; [unrolled: 1-line block ×4, first 2 shown]
	s_and_b32 s24, s40, vcc_lo
	s_delay_alu instid0(SALU_CYCLE_1)
	s_and_saveexec_b32 s45, s24
	s_cbranch_execz .LBB124_50
; %bb.32:
	s_wait_loadcnt 0x3
	v_cmp_eq_u64_e32 vcc_lo, s[8:9], v[30:31]
	s_mov_b32 s22, s41
	s_and_b32 s23, s38, vcc_lo
	s_delay_alu instid0(SALU_CYCLE_1)
	s_and_saveexec_b32 s46, s23
	s_cbranch_execz .LBB124_49
; %bb.33:
	s_wait_loadcnt 0x1
	v_sub_nc_u64_e32 v[28:29], v[22:23], v[24:25]
	s_delay_alu instid0(VALU_DEP_1)
	v_cmp_le_i64_e32 vcc_lo, s[4:5], v[28:29]
	v_cmp_ge_i64_e64 s0, s[6:7], v[28:29]
	s_and_b32 s21, vcc_lo, s0
	s_mov_b32 s0, 0
	s_and_b32 s22, s37, s21
	s_mov_b32 s21, 0
	s_and_saveexec_b32 s47, s22
	s_cbranch_execz .LBB124_48
; %bb.34:
	v_cmp_lt_i64_e64 s0, s[8:9], 1
	v_mov_b64_e32 v[28:29], 0
	s_xor_b32 s1, s36, -1
	s_delay_alu instid0(SALU_CYCLE_1) | instskip(NEXT) | instid1(SALU_CYCLE_1)
	s_or_b32 s0, s0, s1
	s_and_b32 vcc_lo, exec_lo, s0
	s_cbranch_vccnz .LBB124_41
; %bb.35:
	s_wait_loadcnt 0x0
	v_mul_u64_e32 v[30:31], s[8:9], v[26:27]
	s_mov_b32 s1, 0
	v_mov_b64_e32 v[28:29], 0
	s_mov_b32 s21, s1
	v_mov_b32_e32 v26, 0
	s_lshl_b64 s[26:27], s[20:21], 3
	s_mov_b64 s[22:23], 0xffffffff
	s_add_nc_u64 s[24:25], s[12:13], s[26:27]
	s_add_nc_u64 s[26:27], s[14:15], s[26:27]
	s_mov_b32 s21, s10
	s_branch .LBB124_37
.LBB124_36:                             ;   in Loop: Header=BB124_37 Depth=1
	s_or_b32 exec_lo, exec_lo, s0
	s_delay_alu instid0(VALU_DEP_1)
	v_mul_u64_e32 v[34:35], s[28:29], v[32:33]
	s_load_b64 s[28:29], s[26:27], 0x0
	s_add_co_i32 s21, s21, -1
	s_add_nc_u64 s[24:25], s[24:25], -8
	s_cmp_lg_u32 s21, 0
	s_wait_xcnt 0x0
	s_add_nc_u64 s[26:27], s[26:27], -8
	s_delay_alu instid0(VALU_DEP_1) | instskip(SKIP_1) | instid1(VALU_DEP_1)
	v_sub_nc_u64_e32 v[30:31], v[30:31], v[34:35]
	s_wait_kmcnt 0x0
	v_mad_nc_u64_u32 v[28:29], v30, s28, v[28:29]
	s_delay_alu instid0(VALU_DEP_1) | instskip(NEXT) | instid1(VALU_DEP_1)
	v_mad_u32 v27, v31, s28, v29
	v_mad_u32 v29, v30, s29, v27
	v_mov_b64_e32 v[30:31], v[32:33]
	s_cbranch_scc0 .LBB124_41
.LBB124_37:                             ; =>This Inner Loop Header: Depth=1
	s_load_b64 s[28:29], s[24:25], 0x0
                                        ; implicit-def: $vgpr32_vgpr33
	s_mov_b32 s0, exec_lo
	s_wait_kmcnt 0x0
	s_delay_alu instid0(VALU_DEP_1) | instskip(NEXT) | instid1(VALU_DEP_1)
	v_or_b32_e32 v27, s29, v31
	v_cmpx_ne_u64_e32 0, v[26:27]
	s_xor_b32 s48, exec_lo, s0
	s_cbranch_execz .LBB124_39
; %bb.38:                               ;   in Loop: Header=BB124_37 Depth=1
	s_ashr_i32 s30, s29, 31
	v_dual_mov_b32 v37, v26 :: v_dual_ashrrev_i32 v32, 31, v31
	s_mov_b32 s31, s30
	s_delay_alu instid0(SALU_CYCLE_1) | instskip(NEXT) | instid1(VALU_DEP_1)
	s_add_nc_u64 s[34:35], s[28:29], s[30:31]
	v_mov_b32_e32 v33, v32
	s_xor_b64 s[34:35], s[34:35], s[30:31]
	s_delay_alu instid0(SALU_CYCLE_1)
	s_cvt_f32_u32 s0, s34
	s_cvt_f32_u32 s31, s35
	s_sub_nc_u64 s[54:55], 0, s[34:35]
	v_add_nc_u64_e32 v[34:35], v[30:31], v[32:33]
	v_mov_b32_e32 v41, v26
	s_fmamk_f32 s0, s31, 0x4f800000, s0
	s_delay_alu instid0(SALU_CYCLE_3) | instskip(NEXT) | instid1(VALU_DEP_2)
	v_s_rcp_f32 s0, s0
	v_xor_b32_e32 v36, v34, v32
	s_delay_alu instid0(VALU_DEP_3) | instskip(SKIP_1) | instid1(TRANS32_DEP_1)
	v_dual_mov_b32 v45, v26 :: v_dual_bitop2_b32 v40, v35, v32 bitop3:0x14
	v_xor_b32_e32 v32, s30, v32
	s_mul_f32 s0, s0, 0x5f7ffffc
	s_delay_alu instid0(SALU_CYCLE_3) | instskip(NEXT) | instid1(SALU_CYCLE_3)
	s_mul_f32 s31, s0, 0x2f800000
	s_trunc_f32 s31, s31
	s_delay_alu instid0(SALU_CYCLE_3) | instskip(SKIP_1) | instid1(SALU_CYCLE_2)
	s_fmamk_f32 s0, s31, 0xcf800000, s0
	s_cvt_u32_f32 s53, s31
	s_cvt_u32_f32 s52, s0
	s_delay_alu instid0(SALU_CYCLE_3) | instskip(NEXT) | instid1(SALU_CYCLE_1)
	s_mul_u64 s[56:57], s[54:55], s[52:53]
	s_mul_hi_u32 s59, s52, s57
	s_mul_i32 s58, s52, s57
	s_mul_hi_u32 s0, s52, s56
	s_mul_i32 s51, s53, s56
	s_add_nc_u64 s[58:59], s[0:1], s[58:59]
	s_mul_hi_u32 s31, s53, s56
	s_mul_hi_u32 s60, s53, s57
	s_add_co_u32 s0, s58, s51
	s_add_co_ci_u32 s0, s59, s31
	s_mul_i32 s56, s53, s57
	s_add_co_ci_u32 s57, s60, 0
	s_delay_alu instid0(SALU_CYCLE_1) | instskip(NEXT) | instid1(SALU_CYCLE_1)
	s_add_nc_u64 s[56:57], s[0:1], s[56:57]
	s_add_co_u32 s52, s52, s56
	s_cselect_b32 s0, -1, 0
	s_delay_alu instid0(SALU_CYCLE_1) | instskip(SKIP_1) | instid1(SALU_CYCLE_1)
	s_cmp_lg_u32 s0, 0
	s_add_co_ci_u32 s53, s53, s57
	s_mul_u64 s[54:55], s[54:55], s[52:53]
	s_delay_alu instid0(SALU_CYCLE_1)
	s_mul_hi_u32 s57, s52, s55
	s_mul_i32 s56, s52, s55
	s_mul_hi_u32 s0, s52, s54
	s_mul_i32 s51, s53, s54
	s_add_nc_u64 s[56:57], s[0:1], s[56:57]
	s_mul_hi_u32 s31, s53, s54
	s_mul_hi_u32 s58, s53, s55
	s_add_co_u32 s0, s56, s51
	s_add_co_ci_u32 s0, s57, s31
	s_mul_i32 s54, s53, s55
	s_add_co_ci_u32 s55, s58, 0
	s_delay_alu instid0(SALU_CYCLE_1) | instskip(NEXT) | instid1(SALU_CYCLE_1)
	s_add_nc_u64 s[54:55], s[0:1], s[54:55]
	s_add_co_u32 s52, s52, s54
	s_cselect_b32 s0, -1, 0
	v_mul_hi_u32 v44, v36, s52
	s_cmp_lg_u32 s0, 0
	s_add_co_ci_u32 s0, s53, s55
	s_and_b64 s[54:55], s[52:53], s[22:23]
	v_mul_u64_e32 v[38:39], s[0:1], v[36:37]
	v_mul_u64_e32 v[34:35], s[54:55], v[40:41]
	v_mul_u64_e32 v[42:43], s[0:1], v[40:41]
	s_delay_alu instid0(VALU_DEP_3) | instskip(NEXT) | instid1(VALU_DEP_1)
	v_add_nc_u64_e32 v[38:39], v[44:45], v[38:39]
	v_add_co_u32 v27, vcc_lo, v38, v34
	s_delay_alu instid0(VALU_DEP_2) | instskip(NEXT) | instid1(VALU_DEP_4)
	v_add_co_ci_u32_e32 v44, vcc_lo, v39, v35, vcc_lo
	v_add_co_ci_u32_e32 v43, vcc_lo, 0, v43, vcc_lo
	s_delay_alu instid0(VALU_DEP_1) | instskip(NEXT) | instid1(VALU_DEP_1)
	v_add_nc_u64_e32 v[34:35], v[44:45], v[42:43]
	v_mul_u64_e32 v[38:39], s[34:35], v[34:35]
	s_delay_alu instid0(VALU_DEP_1) | instskip(NEXT) | instid1(VALU_DEP_2)
	v_sub_nc_u32_e32 v27, v40, v39
	v_sub_co_u32 v33, vcc_lo, v36, v38
	s_delay_alu instid0(VALU_DEP_1) | instskip(NEXT) | instid1(VALU_DEP_3)
	v_sub_co_ci_u32_e64 v40, null, v40, v39, vcc_lo
	v_subrev_co_ci_u32_e64 v27, null, s35, v27, vcc_lo
	s_delay_alu instid0(VALU_DEP_3) | instskip(SKIP_1) | instid1(VALU_DEP_3)
	v_sub_co_u32 v36, s0, v33, s34
	v_add_nc_u64_e32 v[38:39], 1, v[34:35]
	v_subrev_co_ci_u32_e64 v27, null, 0, v27, s0
	s_delay_alu instid0(VALU_DEP_3) | instskip(SKIP_1) | instid1(VALU_DEP_3)
	v_cmp_le_u32_e32 vcc_lo, s34, v36
	v_cndmask_b32_e64 v36, 0, -1, vcc_lo
	v_cmp_le_u32_e32 vcc_lo, s35, v27
	v_cndmask_b32_e64 v37, 0, -1, vcc_lo
	;; [unrolled: 2-line block ×4, first 2 shown]
	v_cmp_eq_u32_e32 vcc_lo, s35, v27
	v_cndmask_b32_e32 v27, v37, v36, vcc_lo
	v_cmp_eq_u32_e32 vcc_lo, s35, v40
	v_add_nc_u64_e32 v[36:37], 2, v[34:35]
	v_cndmask_b32_e32 v33, v41, v33, vcc_lo
	s_delay_alu instid0(VALU_DEP_4) | instskip(NEXT) | instid1(VALU_DEP_2)
	v_cmp_ne_u32_e32 vcc_lo, 0, v27
	v_cmp_ne_u32_e64 s0, 0, v33
	s_delay_alu instid0(VALU_DEP_4) | instskip(NEXT) | instid1(VALU_DEP_1)
	v_dual_cndmask_b32 v27, v39, v37, vcc_lo :: v_dual_cndmask_b32 v33, v38, v36, vcc_lo
	v_dual_cndmask_b32 v34, v34, v33, s0 :: v_dual_mov_b32 v33, v32
	s_delay_alu instid0(VALU_DEP_1) | instskip(NEXT) | instid1(VALU_DEP_1)
	v_dual_cndmask_b32 v27, v35, v27, s0 :: v_dual_bitop2_b32 v34, v34, v32 bitop3:0x14
	v_xor_b32_e32 v35, v27, v32
	s_delay_alu instid0(VALU_DEP_1)
	v_sub_nc_u64_e32 v[32:33], v[34:35], v[32:33]
.LBB124_39:                             ;   in Loop: Header=BB124_37 Depth=1
	s_and_not1_saveexec_b32 s0, s48
	s_cbranch_execz .LBB124_36
; %bb.40:                               ;   in Loop: Header=BB124_37 Depth=1
	v_cvt_f32_u32_e32 v27, s28
	s_sub_co_i32 s30, 0, s28
	s_delay_alu instid0(VALU_DEP_1) | instskip(SKIP_1) | instid1(TRANS32_DEP_1)
	v_rcp_iflag_f32_e32 v27, v27
	v_nop
	v_mul_f32_e32 v27, 0x4f7ffffe, v27
	s_delay_alu instid0(VALU_DEP_1) | instskip(NEXT) | instid1(VALU_DEP_1)
	v_cvt_u32_f32_e32 v27, v27
	v_mul_lo_u32 v32, s30, v27
	s_delay_alu instid0(VALU_DEP_1) | instskip(NEXT) | instid1(VALU_DEP_1)
	v_mul_hi_u32 v32, v27, v32
	v_add_nc_u32_e32 v27, v27, v32
	s_delay_alu instid0(VALU_DEP_1) | instskip(NEXT) | instid1(VALU_DEP_1)
	v_mul_hi_u32 v27, v30, v27
	v_mul_lo_u32 v32, v27, s28
	s_delay_alu instid0(VALU_DEP_1) | instskip(NEXT) | instid1(VALU_DEP_1)
	v_dual_add_nc_u32 v33, 1, v27 :: v_dual_sub_nc_u32 v32, v30, v32
	v_subrev_nc_u32_e32 v34, s28, v32
	v_cmp_le_u32_e32 vcc_lo, s28, v32
	s_delay_alu instid0(VALU_DEP_2) | instskip(NEXT) | instid1(VALU_DEP_1)
	v_dual_cndmask_b32 v32, v32, v34 :: v_dual_cndmask_b32 v27, v27, v33
	v_cmp_le_u32_e32 vcc_lo, s28, v32
	s_delay_alu instid0(VALU_DEP_2) | instskip(NEXT) | instid1(VALU_DEP_1)
	v_add_nc_u32_e32 v33, 1, v27
	v_dual_cndmask_b32 v32, v27, v33 :: v_dual_mov_b32 v33, v26
	s_branch .LBB124_36
.LBB124_41:
	s_mov_b32 s22, -1
	s_mov_b32 s1, 0
	s_mov_b32 s0, exec_lo
	v_cmpx_gt_i64_e64 v[22:23], v[24:25]
	s_cbranch_execz .LBB124_47
; %bb.42:
	s_wait_loadcnt 0x0
	s_delay_alu instid0(VALU_DEP_2) | instskip(SKIP_1) | instid1(VALU_DEP_1)
	v_lshlrev_b64_e32 v[26:27], 3, v[28:29]
	s_xor_b32 s22, s11, -1
                                        ; implicit-def: $sgpr21
                                        ; implicit-def: $sgpr24
                                        ; implicit-def: $sgpr23
	v_lshl_add_u64 v[24:25], v[24:25], 3, v[26:27]
	v_add_nc_u64_e32 v[26:27], s[16:17], v[26:27]
	s_delay_alu instid0(VALU_DEP_2) | instskip(NEXT) | instid1(VALU_DEP_2)
	v_add_nc_u64_e32 v[24:25], s[16:17], v[24:25]
	v_lshl_add_u64 v[22:23], v[22:23], 3, v[26:27]
	s_delay_alu instid0(VALU_DEP_2)
	v_add_nc_u64_e32 v[24:25], 8, v[24:25]
	s_branch .LBB124_44
.LBB124_43:                             ;   in Loop: Header=BB124_44 Depth=1
	s_or_b32 exec_lo, exec_lo, s25
	s_delay_alu instid0(SALU_CYCLE_1) | instskip(NEXT) | instid1(SALU_CYCLE_1)
	s_and_b32 s25, exec_lo, s24
	s_or_b32 s1, s25, s1
	s_and_not1_b32 s21, s21, exec_lo
	s_and_b32 s25, s23, exec_lo
	s_delay_alu instid0(SALU_CYCLE_1)
	s_or_b32 s21, s21, s25
	s_and_not1_b32 exec_lo, exec_lo, s1
	s_cbranch_execz .LBB124_46
.LBB124_44:                             ; =>This Inner Loop Header: Depth=1
	s_or_b32 s23, s23, exec_lo
	s_or_b32 s24, s24, exec_lo
	s_mov_b32 s25, exec_lo
	s_delay_alu instid0(VALU_DEP_1)
	v_cmpx_lt_u64_e64 v[24:25], v[22:23]
	s_cbranch_execz .LBB124_43
; %bb.45:                               ;   in Loop: Header=BB124_44 Depth=1
	global_load_b128 v[26:29], v[24:25], off offset:-8
	s_wait_xcnt 0x0
	v_add_nc_u64_e32 v[24:25], 8, v[24:25]
	s_and_not1_b32 s24, s24, exec_lo
	s_and_not1_b32 s23, s23, exec_lo
	s_wait_loadcnt 0x0
	v_cmp_ge_i64_e32 vcc_lo, v[26:27], v[28:29]
	s_or_b32 s26, s22, vcc_lo
	s_delay_alu instid0(SALU_CYCLE_1) | instskip(NEXT) | instid1(SALU_CYCLE_1)
	s_and_b32 s26, s26, exec_lo
	s_or_b32 s24, s24, s26
	s_branch .LBB124_43
.LBB124_46:
	s_or_b32 exec_lo, exec_lo, s1
	s_delay_alu instid0(SALU_CYCLE_1)
	s_mov_b32 s1, exec_lo
	s_or_not1_b32 s22, s21, exec_lo
.LBB124_47:
	s_or_b32 exec_lo, exec_lo, s0
	s_delay_alu instid0(SALU_CYCLE_1)
	s_and_b32 s21, s1, exec_lo
	s_xor_b32 s1, exec_lo, -1
	s_and_b32 s0, s22, exec_lo
.LBB124_48:
	s_or_b32 exec_lo, exec_lo, s47
	s_delay_alu instid0(SALU_CYCLE_1)
	s_and_not1_b32 s22, s41, exec_lo
	s_and_b32 s1, s1, exec_lo
	s_and_b32 s21, s21, exec_lo
	s_or_b32 s22, s22, s1
	s_xor_b32 s1, exec_lo, -1
	s_and_b32 s0, s0, exec_lo
.LBB124_49:
	s_or_b32 exec_lo, exec_lo, s46
	s_delay_alu instid0(SALU_CYCLE_1)
	s_and_not1_b32 s23, s41, exec_lo
	s_and_b32 s22, s22, exec_lo
	s_and_not1_b32 s24, s42, exec_lo
	s_and_b32 s1, s1, exec_lo
	s_and_b32 s21, s21, exec_lo
	s_or_b32 s23, s23, s22
	s_or_b32 s22, s24, s1
	s_xor_b32 s1, exec_lo, -1
	s_and_b32 s0, s0, exec_lo
.LBB124_50:
	s_or_b32 exec_lo, exec_lo, s45
	s_delay_alu instid0(SALU_CYCLE_1)
	s_and_not1_b32 s24, s41, exec_lo
	s_and_b32 s23, s23, exec_lo
	s_and_b32 s48, s21, exec_lo
	s_or_b32 s46, s24, s23
	s_and_not1_b32 s21, s42, exec_lo
	s_and_b32 s22, s22, exec_lo
	s_and_not1_b32 s23, s43, exec_lo
	s_and_b32 s1, s1, exec_lo
	s_or_b32 s47, s21, s22
	s_or_b32 s45, s23, s1
	s_or_not1_b32 s0, s0, exec_lo
.LBB124_51:
	s_or_b32 exec_lo, exec_lo, s49
	s_mov_b32 s22, 0
	s_and_saveexec_b32 s49, s0
	s_cbranch_execz .LBB124_78
; %bb.52:
	s_wait_loadcnt 0x1
	v_or_b32_e32 v22, 0x200, v0
	s_mov_b32 s24, -1
	s_mov_b32 s50, 0
	s_mov_b32 s0, s45
	;; [unrolled: 1-line block ×4, first 2 shown]
	s_mov_b32 s51, exec_lo
	v_cmpx_gt_i32_e64 s33, v22
	s_cbranch_execz .LBB124_73
; %bb.53:
	v_cmp_eq_u64_e32 vcc_lo, s[4:5], v[20:21]
	s_mov_b32 s0, -1
	s_mov_b32 s23, 0
	s_mov_b32 s24, s47
	;; [unrolled: 1-line block ×4, first 2 shown]
	s_and_b32 s21, s40, vcc_lo
	s_delay_alu instid0(SALU_CYCLE_1)
	s_and_saveexec_b32 s52, s21
	s_cbranch_execz .LBB124_72
; %bb.54:
	v_cmp_eq_u64_e32 vcc_lo, s[8:9], v[18:19]
	s_mov_b32 s21, 0
	s_mov_b32 s22, s46
	s_and_b32 s1, s38, vcc_lo
	s_delay_alu instid0(SALU_CYCLE_1)
	s_and_saveexec_b32 s53, s1
	s_cbranch_execz .LBB124_71
; %bb.55:
	v_sub_nc_u64_e32 v[18:19], v[12:13], v[14:15]
	s_mov_b32 s21, -1
	s_mov_b32 s1, 0
	s_delay_alu instid0(VALU_DEP_1) | instskip(SKIP_2) | instid1(SALU_CYCLE_1)
	v_cmp_le_i64_e32 vcc_lo, s[4:5], v[18:19]
	v_cmp_ge_i64_e64 s0, s[6:7], v[18:19]
	s_and_b32 s0, vcc_lo, s0
	s_and_b32 s22, s37, s0
	s_mov_b32 s0, 0
	s_and_saveexec_b32 s54, s22
	s_cbranch_execz .LBB124_70
; %bb.56:
	v_cmp_lt_i64_e64 s0, s[8:9], 1
	v_mov_b64_e32 v[18:19], 0
	s_xor_b32 s1, s36, -1
	s_delay_alu instid0(SALU_CYCLE_1) | instskip(NEXT) | instid1(SALU_CYCLE_1)
	s_or_b32 s0, s0, s1
	s_and_b32 vcc_lo, exec_lo, s0
	s_cbranch_vccnz .LBB124_63
; %bb.57:
	s_wait_loadcnt 0x0
	v_mul_u64_e32 v[20:21], s[8:9], v[16:17]
	s_mov_b32 s1, 0
	v_mov_b64_e32 v[18:19], 0
	s_mov_b32 s21, s1
	v_mov_b32_e32 v16, 0
	s_lshl_b64 s[26:27], s[20:21], 3
	s_mov_b64 s[22:23], 0xffffffff
	s_add_nc_u64 s[24:25], s[12:13], s[26:27]
	s_add_nc_u64 s[26:27], s[14:15], s[26:27]
	s_mov_b32 s21, s10
	s_branch .LBB124_59
.LBB124_58:                             ;   in Loop: Header=BB124_59 Depth=1
	s_or_b32 exec_lo, exec_lo, s0
	s_delay_alu instid0(VALU_DEP_1)
	v_mul_u64_e32 v[24:25], s[28:29], v[22:23]
	s_load_b64 s[28:29], s[26:27], 0x0
	s_add_co_i32 s21, s21, -1
	s_add_nc_u64 s[24:25], s[24:25], -8
	s_cmp_lg_u32 s21, 0
	s_wait_xcnt 0x0
	s_add_nc_u64 s[26:27], s[26:27], -8
	s_delay_alu instid0(VALU_DEP_1) | instskip(SKIP_1) | instid1(VALU_DEP_1)
	v_sub_nc_u64_e32 v[20:21], v[20:21], v[24:25]
	s_wait_kmcnt 0x0
	v_mad_nc_u64_u32 v[18:19], v20, s28, v[18:19]
	s_delay_alu instid0(VALU_DEP_1) | instskip(NEXT) | instid1(VALU_DEP_1)
	v_mad_u32 v17, v21, s28, v19
	v_mad_u32 v19, v20, s29, v17
	v_mov_b64_e32 v[20:21], v[22:23]
	s_cbranch_scc0 .LBB124_63
.LBB124_59:                             ; =>This Inner Loop Header: Depth=1
	s_load_b64 s[28:29], s[24:25], 0x0
                                        ; implicit-def: $vgpr22_vgpr23
	s_mov_b32 s0, exec_lo
	s_wait_kmcnt 0x0
	s_delay_alu instid0(VALU_DEP_1) | instskip(NEXT) | instid1(VALU_DEP_1)
	v_or_b32_e32 v17, s29, v21
	v_cmpx_ne_u64_e32 0, v[16:17]
	s_xor_b32 s55, exec_lo, s0
	s_cbranch_execz .LBB124_61
; %bb.60:                               ;   in Loop: Header=BB124_59 Depth=1
	s_ashr_i32 s30, s29, 31
	v_dual_mov_b32 v27, v16 :: v_dual_ashrrev_i32 v22, 31, v21
	s_mov_b32 s31, s30
	s_delay_alu instid0(SALU_CYCLE_1) | instskip(NEXT) | instid1(VALU_DEP_1)
	s_add_nc_u64 s[34:35], s[28:29], s[30:31]
	v_mov_b32_e32 v23, v22
	s_xor_b64 s[34:35], s[34:35], s[30:31]
	s_delay_alu instid0(SALU_CYCLE_1)
	s_cvt_f32_u32 s0, s34
	s_cvt_f32_u32 s31, s35
	s_sub_nc_u64 s[58:59], 0, s[34:35]
	v_add_nc_u64_e32 v[24:25], v[20:21], v[22:23]
	v_mov_b32_e32 v31, v16
	s_fmamk_f32 s0, s31, 0x4f800000, s0
	s_delay_alu instid0(SALU_CYCLE_3) | instskip(NEXT) | instid1(VALU_DEP_2)
	v_s_rcp_f32 s0, s0
	v_xor_b32_e32 v26, v24, v22
	s_delay_alu instid0(VALU_DEP_3) | instskip(SKIP_1) | instid1(TRANS32_DEP_1)
	v_dual_mov_b32 v35, v16 :: v_dual_bitop2_b32 v30, v25, v22 bitop3:0x14
	v_xor_b32_e32 v22, s30, v22
	s_mul_f32 s0, s0, 0x5f7ffffc
	s_delay_alu instid0(SALU_CYCLE_3) | instskip(NEXT) | instid1(SALU_CYCLE_3)
	s_mul_f32 s31, s0, 0x2f800000
	s_trunc_f32 s31, s31
	s_delay_alu instid0(SALU_CYCLE_3) | instskip(SKIP_1) | instid1(SALU_CYCLE_2)
	s_fmamk_f32 s0, s31, 0xcf800000, s0
	s_cvt_u32_f32 s57, s31
	s_cvt_u32_f32 s56, s0
	s_delay_alu instid0(SALU_CYCLE_3) | instskip(NEXT) | instid1(SALU_CYCLE_1)
	s_mul_u64 s[60:61], s[58:59], s[56:57]
	s_mul_hi_u32 s63, s56, s61
	s_mul_i32 s62, s56, s61
	s_mul_hi_u32 s0, s56, s60
	s_mul_i32 s64, s57, s60
	s_add_nc_u64 s[62:63], s[0:1], s[62:63]
	s_mul_hi_u32 s31, s57, s60
	s_mul_hi_u32 s65, s57, s61
	s_add_co_u32 s0, s62, s64
	s_add_co_ci_u32 s0, s63, s31
	s_mul_i32 s60, s57, s61
	s_add_co_ci_u32 s61, s65, 0
	s_delay_alu instid0(SALU_CYCLE_1) | instskip(NEXT) | instid1(SALU_CYCLE_1)
	s_add_nc_u64 s[60:61], s[0:1], s[60:61]
	s_add_co_u32 s56, s56, s60
	s_cselect_b32 s0, -1, 0
	s_delay_alu instid0(SALU_CYCLE_1) | instskip(SKIP_1) | instid1(SALU_CYCLE_1)
	s_cmp_lg_u32 s0, 0
	s_add_co_ci_u32 s57, s57, s61
	s_mul_u64 s[58:59], s[58:59], s[56:57]
	s_delay_alu instid0(SALU_CYCLE_1)
	s_mul_hi_u32 s61, s56, s59
	s_mul_i32 s60, s56, s59
	s_mul_hi_u32 s0, s56, s58
	s_mul_i32 s62, s57, s58
	s_add_nc_u64 s[60:61], s[0:1], s[60:61]
	s_mul_hi_u32 s31, s57, s58
	s_mul_hi_u32 s63, s57, s59
	s_add_co_u32 s0, s60, s62
	s_add_co_ci_u32 s0, s61, s31
	s_mul_i32 s58, s57, s59
	s_add_co_ci_u32 s59, s63, 0
	s_delay_alu instid0(SALU_CYCLE_1) | instskip(NEXT) | instid1(SALU_CYCLE_1)
	s_add_nc_u64 s[58:59], s[0:1], s[58:59]
	s_add_co_u32 s56, s56, s58
	s_cselect_b32 s0, -1, 0
	v_mul_hi_u32 v34, v26, s56
	s_cmp_lg_u32 s0, 0
	s_add_co_ci_u32 s0, s57, s59
	s_and_b64 s[58:59], s[56:57], s[22:23]
	v_mul_u64_e32 v[28:29], s[0:1], v[26:27]
	v_mul_u64_e32 v[24:25], s[58:59], v[30:31]
	;; [unrolled: 1-line block ×3, first 2 shown]
	s_delay_alu instid0(VALU_DEP_3) | instskip(NEXT) | instid1(VALU_DEP_1)
	v_add_nc_u64_e32 v[28:29], v[34:35], v[28:29]
	v_add_co_u32 v17, vcc_lo, v28, v24
	s_delay_alu instid0(VALU_DEP_2) | instskip(NEXT) | instid1(VALU_DEP_4)
	v_add_co_ci_u32_e32 v34, vcc_lo, v29, v25, vcc_lo
	v_add_co_ci_u32_e32 v33, vcc_lo, 0, v33, vcc_lo
	s_delay_alu instid0(VALU_DEP_1) | instskip(NEXT) | instid1(VALU_DEP_1)
	v_add_nc_u64_e32 v[24:25], v[34:35], v[32:33]
	v_mul_u64_e32 v[28:29], s[34:35], v[24:25]
	s_delay_alu instid0(VALU_DEP_1) | instskip(NEXT) | instid1(VALU_DEP_2)
	v_sub_nc_u32_e32 v17, v30, v29
	v_sub_co_u32 v23, vcc_lo, v26, v28
	s_delay_alu instid0(VALU_DEP_1) | instskip(NEXT) | instid1(VALU_DEP_3)
	v_sub_co_ci_u32_e64 v30, null, v30, v29, vcc_lo
	v_subrev_co_ci_u32_e64 v17, null, s35, v17, vcc_lo
	s_delay_alu instid0(VALU_DEP_3) | instskip(SKIP_1) | instid1(VALU_DEP_3)
	v_sub_co_u32 v26, s0, v23, s34
	v_add_nc_u64_e32 v[28:29], 1, v[24:25]
	v_subrev_co_ci_u32_e64 v17, null, 0, v17, s0
	s_delay_alu instid0(VALU_DEP_3) | instskip(SKIP_1) | instid1(VALU_DEP_3)
	v_cmp_le_u32_e32 vcc_lo, s34, v26
	v_cndmask_b32_e64 v26, 0, -1, vcc_lo
	v_cmp_le_u32_e32 vcc_lo, s35, v17
	v_cndmask_b32_e64 v27, 0, -1, vcc_lo
	;; [unrolled: 2-line block ×4, first 2 shown]
	v_cmp_eq_u32_e32 vcc_lo, s35, v17
	v_cndmask_b32_e32 v17, v27, v26, vcc_lo
	v_cmp_eq_u32_e32 vcc_lo, s35, v30
	v_add_nc_u64_e32 v[26:27], 2, v[24:25]
	v_cndmask_b32_e32 v23, v31, v23, vcc_lo
	s_delay_alu instid0(VALU_DEP_4) | instskip(NEXT) | instid1(VALU_DEP_2)
	v_cmp_ne_u32_e32 vcc_lo, 0, v17
	v_cmp_ne_u32_e64 s0, 0, v23
	s_delay_alu instid0(VALU_DEP_4) | instskip(NEXT) | instid1(VALU_DEP_1)
	v_dual_cndmask_b32 v17, v29, v27, vcc_lo :: v_dual_cndmask_b32 v23, v28, v26, vcc_lo
	v_dual_cndmask_b32 v24, v24, v23, s0 :: v_dual_mov_b32 v23, v22
	s_delay_alu instid0(VALU_DEP_1) | instskip(NEXT) | instid1(VALU_DEP_1)
	v_dual_cndmask_b32 v17, v25, v17, s0 :: v_dual_bitop2_b32 v24, v24, v22 bitop3:0x14
	v_xor_b32_e32 v25, v17, v22
	s_delay_alu instid0(VALU_DEP_1)
	v_sub_nc_u64_e32 v[22:23], v[24:25], v[22:23]
.LBB124_61:                             ;   in Loop: Header=BB124_59 Depth=1
	s_and_not1_saveexec_b32 s0, s55
	s_cbranch_execz .LBB124_58
; %bb.62:                               ;   in Loop: Header=BB124_59 Depth=1
	v_cvt_f32_u32_e32 v17, s28
	s_sub_co_i32 s30, 0, s28
	s_delay_alu instid0(VALU_DEP_1) | instskip(SKIP_1) | instid1(TRANS32_DEP_1)
	v_rcp_iflag_f32_e32 v17, v17
	v_nop
	v_mul_f32_e32 v17, 0x4f7ffffe, v17
	s_delay_alu instid0(VALU_DEP_1) | instskip(NEXT) | instid1(VALU_DEP_1)
	v_cvt_u32_f32_e32 v17, v17
	v_mul_lo_u32 v22, s30, v17
	s_delay_alu instid0(VALU_DEP_1) | instskip(NEXT) | instid1(VALU_DEP_1)
	v_mul_hi_u32 v22, v17, v22
	v_add_nc_u32_e32 v17, v17, v22
	s_delay_alu instid0(VALU_DEP_1) | instskip(NEXT) | instid1(VALU_DEP_1)
	v_mul_hi_u32 v17, v20, v17
	v_mul_lo_u32 v22, v17, s28
	s_delay_alu instid0(VALU_DEP_1) | instskip(NEXT) | instid1(VALU_DEP_1)
	v_dual_add_nc_u32 v23, 1, v17 :: v_dual_sub_nc_u32 v22, v20, v22
	v_subrev_nc_u32_e32 v24, s28, v22
	v_cmp_le_u32_e32 vcc_lo, s28, v22
	s_delay_alu instid0(VALU_DEP_2) | instskip(NEXT) | instid1(VALU_DEP_1)
	v_dual_cndmask_b32 v22, v22, v24 :: v_dual_cndmask_b32 v17, v17, v23
	v_cmp_le_u32_e32 vcc_lo, s28, v22
	s_delay_alu instid0(VALU_DEP_2) | instskip(NEXT) | instid1(VALU_DEP_1)
	v_add_nc_u32_e32 v23, 1, v17
	v_dual_cndmask_b32 v22, v17, v23 :: v_dual_mov_b32 v23, v16
	s_branch .LBB124_58
.LBB124_63:
	s_mov_b32 s1, -1
	s_mov_b32 s22, 0
	s_mov_b32 s0, exec_lo
	v_cmpx_gt_i64_e64 v[12:13], v[14:15]
	s_cbranch_execz .LBB124_69
; %bb.64:
	s_wait_loadcnt 0x0
	s_delay_alu instid0(VALU_DEP_2) | instskip(SKIP_2) | instid1(VALU_DEP_1)
	v_lshlrev_b64_e32 v[16:17], 3, v[18:19]
	s_mov_b32 s1, 0
	s_xor_b32 s22, s11, -1
                                        ; implicit-def: $sgpr21
                                        ; implicit-def: $sgpr24
                                        ; implicit-def: $sgpr23
	v_lshl_add_u64 v[14:15], v[14:15], 3, v[16:17]
	v_add_nc_u64_e32 v[16:17], s[16:17], v[16:17]
	s_delay_alu instid0(VALU_DEP_2) | instskip(NEXT) | instid1(VALU_DEP_2)
	v_add_nc_u64_e32 v[14:15], s[16:17], v[14:15]
	v_lshl_add_u64 v[12:13], v[12:13], 3, v[16:17]
	s_delay_alu instid0(VALU_DEP_2)
	v_add_nc_u64_e32 v[14:15], 8, v[14:15]
	s_branch .LBB124_66
.LBB124_65:                             ;   in Loop: Header=BB124_66 Depth=1
	s_or_b32 exec_lo, exec_lo, s25
	s_delay_alu instid0(SALU_CYCLE_1) | instskip(NEXT) | instid1(SALU_CYCLE_1)
	s_and_b32 s25, exec_lo, s24
	s_or_b32 s1, s25, s1
	s_and_not1_b32 s21, s21, exec_lo
	s_and_b32 s25, s23, exec_lo
	s_delay_alu instid0(SALU_CYCLE_1)
	s_or_b32 s21, s21, s25
	s_and_not1_b32 exec_lo, exec_lo, s1
	s_cbranch_execz .LBB124_68
.LBB124_66:                             ; =>This Inner Loop Header: Depth=1
	s_or_b32 s23, s23, exec_lo
	s_or_b32 s24, s24, exec_lo
	s_mov_b32 s25, exec_lo
	s_delay_alu instid0(VALU_DEP_1)
	v_cmpx_lt_u64_e64 v[14:15], v[12:13]
	s_cbranch_execz .LBB124_65
; %bb.67:                               ;   in Loop: Header=BB124_66 Depth=1
	global_load_b128 v[16:19], v[14:15], off offset:-8
	s_wait_xcnt 0x0
	v_add_nc_u64_e32 v[14:15], 8, v[14:15]
	s_and_not1_b32 s24, s24, exec_lo
	s_and_not1_b32 s23, s23, exec_lo
	s_wait_loadcnt 0x0
	v_cmp_ge_i64_e32 vcc_lo, v[16:17], v[18:19]
	s_or_b32 s26, s22, vcc_lo
	s_delay_alu instid0(SALU_CYCLE_1) | instskip(NEXT) | instid1(SALU_CYCLE_1)
	s_and_b32 s26, s26, exec_lo
	s_or_b32 s24, s24, s26
	s_branch .LBB124_65
.LBB124_68:
	s_or_b32 exec_lo, exec_lo, s1
	s_delay_alu instid0(SALU_CYCLE_1)
	s_mov_b32 s22, exec_lo
	s_or_not1_b32 s1, s21, exec_lo
.LBB124_69:
	s_or_b32 exec_lo, exec_lo, s0
	s_delay_alu instid0(SALU_CYCLE_1)
	s_and_b32 s0, s22, exec_lo
	s_xor_b32 s21, exec_lo, -1
	s_and_b32 s1, s1, exec_lo
.LBB124_70:
	s_or_b32 exec_lo, exec_lo, s54
	s_delay_alu instid0(SALU_CYCLE_1)
	s_and_not1_b32 s22, s46, exec_lo
	s_and_b32 s21, s21, exec_lo
	s_and_b32 s23, s0, exec_lo
	s_or_b32 s22, s22, s21
	s_xor_b32 s0, exec_lo, -1
	s_and_b32 s21, s1, exec_lo
.LBB124_71:
	s_or_b32 exec_lo, exec_lo, s53
	s_delay_alu instid0(SALU_CYCLE_1)
	s_and_b32 s1, s23, exec_lo
	s_and_not1_b32 s23, s46, exec_lo
	s_and_b32 s22, s22, exec_lo
	s_and_not1_b32 s24, s47, exec_lo
	s_and_b32 s0, s0, exec_lo
	s_or_b32 s22, s23, s22
	s_or_b32 s24, s24, s0
	s_xor_b32 s0, exec_lo, -1
	s_and_b32 s23, s21, exec_lo
.LBB124_72:
	s_or_b32 exec_lo, exec_lo, s52
	s_delay_alu instid0(SALU_CYCLE_1)
	s_and_not1_b32 s21, s46, exec_lo
	s_and_b32 s25, s22, exec_lo
	s_and_b32 s22, s1, exec_lo
	s_or_b32 s1, s21, s25
	s_and_not1_b32 s21, s47, exec_lo
	s_and_b32 s24, s24, exec_lo
	s_and_not1_b32 s25, s45, exec_lo
	s_and_b32 s0, s0, exec_lo
	s_or_b32 s21, s21, s24
	s_or_b32 s0, s25, s0
	s_or_not1_b32 s24, s23, exec_lo
.LBB124_73:
	s_or_b32 exec_lo, exec_lo, s51
	s_mov_b32 s25, 0
	s_and_saveexec_b32 s23, s24
	s_cbranch_execz .LBB124_77
; %bb.74:
	v_or_b32_e32 v12, 0x300, v0
	s_mov_b32 s24, 0
	s_mov_b32 s25, -1
	s_mov_b32 s26, s0
	s_mov_b32 s27, exec_lo
	v_cmpx_gt_i32_e64 s33, v12
	s_xor_b32 s27, exec_lo, s27
; %bb.75:
	v_cmp_ne_u64_e32 vcc_lo, s[4:5], v[10:11]
	s_xor_b32 s25, s40, -1
	s_and_not1_b32 s26, s0, exec_lo
	s_mov_b32 s24, exec_lo
	s_or_b32 s25, s25, vcc_lo
	s_delay_alu instid0(SALU_CYCLE_1)
	s_and_b32 s28, s25, exec_lo
	s_xor_b32 s25, exec_lo, -1
	s_or_b32 s26, s26, s28
; %bb.76:
	s_or_b32 exec_lo, exec_lo, s27
	s_delay_alu instid0(SALU_CYCLE_1)
	s_and_not1_b32 s0, s0, exec_lo
	s_and_b32 s26, s26, exec_lo
	s_and_b32 s25, s25, exec_lo
	s_and_not1_b32 s22, s22, exec_lo
	s_and_b32 s50, s24, exec_lo
	s_or_b32 s0, s0, s26
.LBB124_77:
	s_or_b32 exec_lo, exec_lo, s23
	s_delay_alu instid0(SALU_CYCLE_1)
	s_and_not1_b32 s23, s48, exec_lo
	s_and_b32 s24, s22, exec_lo
	s_and_b32 s1, s1, exec_lo
	s_or_b32 s48, s23, s24
	s_and_not1_b32 s23, s46, exec_lo
	s_and_not1_b32 s24, s47, exec_lo
	s_and_b32 s21, s21, exec_lo
	s_or_b32 s46, s23, s1
	s_and_not1_b32 s1, s45, exec_lo
	s_and_b32 s0, s0, exec_lo
	s_and_b32 s22, s25, exec_lo
	s_or_b32 s47, s24, s21
	s_and_b32 s50, s50, exec_lo
	s_or_b32 s45, s1, s0
.LBB124_78:
	s_or_b32 exec_lo, exec_lo, s49
	s_delay_alu instid0(SALU_CYCLE_1)
	s_and_not1_b32 s0, s39, exec_lo
	s_and_b32 s21, s48, exec_lo
	s_and_b32 s1, s22, exec_lo
	s_or_b32 s39, s0, s21
	s_and_not1_b32 s0, s41, exec_lo
	s_and_b32 s21, s46, exec_lo
	s_and_not1_b32 s22, s42, exec_lo
	s_and_b32 s23, s47, exec_lo
	s_or_b32 s41, s0, s21
	s_and_not1_b32 s0, s43, exec_lo
	s_and_b32 s21, s45, exec_lo
	s_or_b32 s42, s22, s23
	s_and_b32 s45, s50, exec_lo
	s_or_b32 s43, s0, s21
.LBB124_79:
	s_or_b32 exec_lo, exec_lo, s44
	s_mov_b32 s0, 0
	s_mov_b32 s24, 0
	s_and_saveexec_b32 s21, s43
	s_cbranch_execnz .LBB124_115
; %bb.80:
	s_or_b32 exec_lo, exec_lo, s21
	s_and_saveexec_b32 s21, s45
	s_delay_alu instid0(SALU_CYCLE_1)
	s_xor_b32 s21, exec_lo, s21
	s_cbranch_execnz .LBB124_116
.LBB124_81:
	s_or_b32 exec_lo, exec_lo, s21
	s_and_saveexec_b32 s21, s42
	s_cbranch_execnz .LBB124_117
.LBB124_82:
	s_or_b32 exec_lo, exec_lo, s21
	s_mov_b32 s21, 0
	s_and_saveexec_b32 s22, s0
	s_delay_alu instid0(SALU_CYCLE_1)
	s_xor_b32 s22, exec_lo, s22
	s_cbranch_execnz .LBB124_89
; %bb.83:
	s_or_b32 exec_lo, exec_lo, s22
	s_and_saveexec_b32 s0, s41
	s_cbranch_execnz .LBB124_90
.LBB124_84:
	s_or_b32 exec_lo, exec_lo, s0
	s_and_saveexec_b32 s25, s21
	s_cbranch_execnz .LBB124_91
.LBB124_85:
	s_or_b32 exec_lo, exec_lo, s25
	s_and_saveexec_b32 s0, s39
	s_cbranch_execnz .LBB124_105
.LBB124_86:
	s_or_b32 exec_lo, exec_lo, s0
	s_and_saveexec_b32 s0, s24
	s_delay_alu instid0(SALU_CYCLE_1)
	s_xor_b32 s0, exec_lo, s0
	s_cbranch_execnz .LBB124_106
.LBB124_87:
	s_or_b32 exec_lo, exec_lo, s0
	s_and_saveexec_b32 s0, s1
	s_delay_alu instid0(SALU_CYCLE_1)
	s_xor_b32 s0, exec_lo, s0
	s_cbranch_execnz .LBB124_107
.LBB124_88:
	s_endpgm
.LBB124_89:
	s_wait_loadcnt 0x1
	v_sub_nc_u64_e32 v[8:9], v[2:3], v[4:5]
	s_mov_b32 s21, exec_lo
	s_delay_alu instid0(VALU_DEP_1) | instskip(SKIP_3) | instid1(SALU_CYCLE_1)
	v_cmp_le_i64_e32 vcc_lo, s[4:5], v[8:9]
	v_cmp_ge_i64_e64 s0, s[6:7], v[8:9]
	s_and_not1_b32 s4, s41, exec_lo
	s_and_b32 s0, vcc_lo, s0
	s_and_b32 s0, s37, s0
	s_delay_alu instid0(SALU_CYCLE_1) | instskip(NEXT) | instid1(SALU_CYCLE_1)
	s_xor_b32 s0, s0, -1
	s_and_b32 s0, s0, exec_lo
	s_delay_alu instid0(SALU_CYCLE_1)
	s_or_b32 s41, s4, s0
	s_or_b32 exec_lo, exec_lo, s22
	s_and_saveexec_b32 s0, s41
	s_cbranch_execz .LBB124_84
.LBB124_90:
	s_or_b32 s24, s24, exec_lo
	s_and_not1_b32 s21, s21, exec_lo
	s_trap 2
	s_or_b32 exec_lo, exec_lo, s0
	s_and_saveexec_b32 s25, s21
	s_cbranch_execz .LBB124_85
.LBB124_91:
	v_cmp_lt_i64_e64 s0, s[8:9], 1
	s_wait_loadcnt 0x3
	v_mov_b64_e32 v[8:9], 0
	s_xor_b32 s4, s36, -1
	s_delay_alu instid0(SALU_CYCLE_1) | instskip(NEXT) | instid1(SALU_CYCLE_1)
	s_or_b32 s0, s0, s4
	s_and_b32 vcc_lo, exec_lo, s0
	s_cbranch_vccnz .LBB124_98
; %bb.92:
	s_wait_loadcnt 0x0
	v_mul_u64_e32 v[10:11], s[8:9], v[6:7]
	v_mov_b64_e32 v[8:9], 0
	s_mov_b32 s21, 0
	v_mov_b32_e32 v6, 0
	s_lshl_b64 s[8:9], s[20:21], 3
	s_mov_b64 s[4:5], 0xffffffff
	s_add_nc_u64 s[6:7], s[12:13], s[8:9]
	s_add_nc_u64 s[8:9], s[14:15], s[8:9]
	s_branch .LBB124_94
.LBB124_93:                             ;   in Loop: Header=BB124_94 Depth=1
	s_or_b32 exec_lo, exec_lo, s0
	s_delay_alu instid0(VALU_DEP_1)
	v_mul_u64_e32 v[14:15], s[12:13], v[12:13]
	s_load_b64 s[12:13], s[8:9], 0x0
	s_add_co_i32 s10, s10, -1
	s_add_nc_u64 s[6:7], s[6:7], -8
	s_cmp_lg_u32 s10, 0
	s_wait_xcnt 0x0
	s_add_nc_u64 s[8:9], s[8:9], -8
	s_delay_alu instid0(VALU_DEP_1) | instskip(SKIP_1) | instid1(VALU_DEP_1)
	v_sub_nc_u64_e32 v[10:11], v[10:11], v[14:15]
	s_wait_kmcnt 0x0
	v_mad_nc_u64_u32 v[8:9], v10, s12, v[8:9]
	s_delay_alu instid0(VALU_DEP_1) | instskip(NEXT) | instid1(VALU_DEP_1)
	v_mad_u32 v7, v11, s12, v9
	v_mad_u32 v9, v10, s13, v7
	v_mov_b64_e32 v[10:11], v[12:13]
	s_cbranch_scc0 .LBB124_98
.LBB124_94:                             ; =>This Inner Loop Header: Depth=1
	s_load_b64 s[12:13], s[6:7], 0x0
                                        ; implicit-def: $vgpr12_vgpr13
	s_mov_b32 s0, exec_lo
	s_wait_kmcnt 0x0
	s_delay_alu instid0(VALU_DEP_1) | instskip(NEXT) | instid1(VALU_DEP_1)
	v_or_b32_e32 v7, s13, v11
	v_cmpx_ne_u64_e32 0, v[6:7]
	s_xor_b32 s26, exec_lo, s0
	s_cbranch_execz .LBB124_96
; %bb.95:                               ;   in Loop: Header=BB124_94 Depth=1
	s_ashr_i32 s14, s13, 31
	v_dual_mov_b32 v17, v6 :: v_dual_ashrrev_i32 v12, 31, v11
	s_mov_b32 s15, s14
	s_delay_alu instid0(SALU_CYCLE_1) | instskip(NEXT) | instid1(VALU_DEP_1)
	s_add_nc_u64 s[22:23], s[12:13], s[14:15]
	v_mov_b32_e32 v13, v12
	s_xor_b64 s[22:23], s[22:23], s[14:15]
	s_delay_alu instid0(SALU_CYCLE_1)
	s_cvt_f32_u32 s0, s22
	s_cvt_f32_u32 s15, s23
	s_sub_nc_u64 s[30:31], 0, s[22:23]
	v_add_nc_u64_e32 v[14:15], v[10:11], v[12:13]
	v_mov_b32_e32 v21, v6
	s_fmamk_f32 s0, s15, 0x4f800000, s0
	s_delay_alu instid0(SALU_CYCLE_3) | instskip(NEXT) | instid1(VALU_DEP_2)
	v_s_rcp_f32 s0, s0
	v_xor_b32_e32 v16, v14, v12
	s_delay_alu instid0(VALU_DEP_3) | instskip(SKIP_1) | instid1(TRANS32_DEP_1)
	v_dual_mov_b32 v25, v6 :: v_dual_bitop2_b32 v20, v15, v12 bitop3:0x14
	v_xor_b32_e32 v12, s14, v12
	s_mul_f32 s0, s0, 0x5f7ffffc
	s_delay_alu instid0(SALU_CYCLE_3) | instskip(NEXT) | instid1(SALU_CYCLE_3)
	s_mul_f32 s15, s0, 0x2f800000
	s_trunc_f32 s15, s15
	s_delay_alu instid0(SALU_CYCLE_3) | instskip(SKIP_1) | instid1(SALU_CYCLE_2)
	s_fmamk_f32 s0, s15, 0xcf800000, s0
	s_cvt_u32_f32 s29, s15
	s_cvt_u32_f32 s28, s0
	s_delay_alu instid0(SALU_CYCLE_3) | instskip(NEXT) | instid1(SALU_CYCLE_1)
	s_mul_u64 s[34:35], s[30:31], s[28:29]
	s_mul_hi_u32 s37, s28, s35
	s_mul_i32 s36, s28, s35
	s_mul_hi_u32 s20, s28, s34
	s_mul_i32 s15, s29, s34
	s_add_nc_u64 s[36:37], s[20:21], s[36:37]
	s_mul_hi_u32 s0, s29, s34
	s_mul_hi_u32 s27, s29, s35
	s_add_co_u32 s15, s36, s15
	s_add_co_ci_u32 s20, s37, s0
	s_mul_i32 s34, s29, s35
	s_add_co_ci_u32 s35, s27, 0
	s_delay_alu instid0(SALU_CYCLE_1) | instskip(NEXT) | instid1(SALU_CYCLE_1)
	s_add_nc_u64 s[34:35], s[20:21], s[34:35]
	s_add_co_u32 s28, s28, s34
	s_cselect_b32 s0, -1, 0
	s_delay_alu instid0(SALU_CYCLE_1) | instskip(SKIP_1) | instid1(SALU_CYCLE_1)
	s_cmp_lg_u32 s0, 0
	s_add_co_ci_u32 s29, s29, s35
	s_mul_u64 s[30:31], s[30:31], s[28:29]
	s_delay_alu instid0(SALU_CYCLE_1)
	s_mul_hi_u32 s35, s28, s31
	s_mul_i32 s34, s28, s31
	s_mul_hi_u32 s20, s28, s30
	s_mul_i32 s15, s29, s30
	s_add_nc_u64 s[34:35], s[20:21], s[34:35]
	s_mul_hi_u32 s0, s29, s30
	s_mul_hi_u32 s27, s29, s31
	s_add_co_u32 s15, s34, s15
	s_add_co_ci_u32 s20, s35, s0
	s_mul_i32 s30, s29, s31
	s_add_co_ci_u32 s31, s27, 0
	s_delay_alu instid0(SALU_CYCLE_1) | instskip(NEXT) | instid1(SALU_CYCLE_1)
	s_add_nc_u64 s[30:31], s[20:21], s[30:31]
	s_add_co_u32 s0, s28, s30
	s_cselect_b32 s15, -1, 0
	v_mul_hi_u32 v24, v16, s0
	s_cmp_lg_u32 s15, 0
	s_add_co_ci_u32 s20, s29, s31
	s_and_b64 s[28:29], s[0:1], s[4:5]
	v_mul_u64_e32 v[18:19], s[20:21], v[16:17]
	v_mul_u64_e32 v[14:15], s[28:29], v[20:21]
	;; [unrolled: 1-line block ×3, first 2 shown]
	s_delay_alu instid0(VALU_DEP_3) | instskip(NEXT) | instid1(VALU_DEP_1)
	v_add_nc_u64_e32 v[18:19], v[24:25], v[18:19]
	v_add_co_u32 v7, vcc_lo, v18, v14
	s_delay_alu instid0(VALU_DEP_2) | instskip(NEXT) | instid1(VALU_DEP_4)
	v_add_co_ci_u32_e32 v24, vcc_lo, v19, v15, vcc_lo
	v_add_co_ci_u32_e32 v23, vcc_lo, 0, v23, vcc_lo
	s_delay_alu instid0(VALU_DEP_1) | instskip(NEXT) | instid1(VALU_DEP_1)
	v_add_nc_u64_e32 v[14:15], v[24:25], v[22:23]
	v_mul_u64_e32 v[18:19], s[22:23], v[14:15]
	s_delay_alu instid0(VALU_DEP_1) | instskip(NEXT) | instid1(VALU_DEP_2)
	v_sub_nc_u32_e32 v7, v20, v19
	v_sub_co_u32 v13, vcc_lo, v16, v18
	s_delay_alu instid0(VALU_DEP_1) | instskip(NEXT) | instid1(VALU_DEP_3)
	v_sub_co_ci_u32_e64 v20, null, v20, v19, vcc_lo
	v_subrev_co_ci_u32_e64 v7, null, s23, v7, vcc_lo
	s_delay_alu instid0(VALU_DEP_3) | instskip(SKIP_1) | instid1(VALU_DEP_3)
	v_sub_co_u32 v16, s0, v13, s22
	v_add_nc_u64_e32 v[18:19], 1, v[14:15]
	v_subrev_co_ci_u32_e64 v7, null, 0, v7, s0
	s_delay_alu instid0(VALU_DEP_3) | instskip(SKIP_1) | instid1(VALU_DEP_3)
	v_cmp_le_u32_e32 vcc_lo, s22, v16
	v_cndmask_b32_e64 v16, 0, -1, vcc_lo
	v_cmp_le_u32_e32 vcc_lo, s23, v7
	v_cndmask_b32_e64 v17, 0, -1, vcc_lo
	;; [unrolled: 2-line block ×4, first 2 shown]
	v_cmp_eq_u32_e32 vcc_lo, s23, v7
	v_cndmask_b32_e32 v7, v17, v16, vcc_lo
	v_cmp_eq_u32_e32 vcc_lo, s23, v20
	v_add_nc_u64_e32 v[16:17], 2, v[14:15]
	v_cndmask_b32_e32 v13, v21, v13, vcc_lo
	s_delay_alu instid0(VALU_DEP_4) | instskip(NEXT) | instid1(VALU_DEP_2)
	v_cmp_ne_u32_e32 vcc_lo, 0, v7
	v_cmp_ne_u32_e64 s0, 0, v13
	s_delay_alu instid0(VALU_DEP_4) | instskip(NEXT) | instid1(VALU_DEP_1)
	v_dual_cndmask_b32 v7, v19, v17, vcc_lo :: v_dual_cndmask_b32 v13, v18, v16, vcc_lo
	v_dual_cndmask_b32 v14, v14, v13, s0 :: v_dual_mov_b32 v13, v12
	s_delay_alu instid0(VALU_DEP_1) | instskip(NEXT) | instid1(VALU_DEP_1)
	v_dual_cndmask_b32 v7, v15, v7, s0 :: v_dual_bitop2_b32 v14, v14, v12 bitop3:0x14
	v_xor_b32_e32 v15, v7, v12
	s_delay_alu instid0(VALU_DEP_1)
	v_sub_nc_u64_e32 v[12:13], v[14:15], v[12:13]
.LBB124_96:                             ;   in Loop: Header=BB124_94 Depth=1
	s_and_not1_saveexec_b32 s0, s26
	s_cbranch_execz .LBB124_93
; %bb.97:                               ;   in Loop: Header=BB124_94 Depth=1
	v_cvt_f32_u32_e32 v7, s12
	s_sub_co_i32 s14, 0, s12
	s_delay_alu instid0(VALU_DEP_1) | instskip(SKIP_1) | instid1(TRANS32_DEP_1)
	v_rcp_iflag_f32_e32 v7, v7
	v_nop
	v_mul_f32_e32 v7, 0x4f7ffffe, v7
	s_delay_alu instid0(VALU_DEP_1) | instskip(NEXT) | instid1(VALU_DEP_1)
	v_cvt_u32_f32_e32 v7, v7
	v_mul_lo_u32 v12, s14, v7
	s_delay_alu instid0(VALU_DEP_1) | instskip(NEXT) | instid1(VALU_DEP_1)
	v_mul_hi_u32 v12, v7, v12
	v_add_nc_u32_e32 v7, v7, v12
	s_delay_alu instid0(VALU_DEP_1) | instskip(NEXT) | instid1(VALU_DEP_1)
	v_mul_hi_u32 v7, v10, v7
	v_mul_lo_u32 v12, v7, s12
	s_delay_alu instid0(VALU_DEP_1) | instskip(NEXT) | instid1(VALU_DEP_1)
	v_dual_add_nc_u32 v13, 1, v7 :: v_dual_sub_nc_u32 v12, v10, v12
	v_subrev_nc_u32_e32 v14, s12, v12
	v_cmp_le_u32_e32 vcc_lo, s12, v12
	s_delay_alu instid0(VALU_DEP_2) | instskip(NEXT) | instid1(VALU_DEP_1)
	v_dual_cndmask_b32 v12, v12, v14 :: v_dual_cndmask_b32 v7, v7, v13
	v_cmp_le_u32_e32 vcc_lo, s12, v12
	s_delay_alu instid0(VALU_DEP_2) | instskip(NEXT) | instid1(VALU_DEP_1)
	v_add_nc_u32_e32 v13, 1, v7
	v_dual_cndmask_b32 v12, v7, v13 :: v_dual_mov_b32 v13, v6
	s_branch .LBB124_93
.LBB124_98:
	s_mov_b32 s4, s39
	s_mov_b32 s0, exec_lo
	s_wait_loadcnt 0x1
	v_cmpx_gt_i64_e64 v[2:3], v[4:5]
	s_cbranch_execz .LBB124_104
; %bb.99:
	s_wait_loadcnt 0x0
	s_delay_alu instid0(VALU_DEP_2) | instskip(SKIP_2) | instid1(VALU_DEP_1)
	v_lshlrev_b64_e32 v[6:7], 3, v[8:9]
	s_mov_b32 s4, 0
	s_xor_b32 s6, s11, -1
                                        ; implicit-def: $sgpr5
                                        ; implicit-def: $sgpr8
                                        ; implicit-def: $sgpr7
	v_lshl_add_u64 v[4:5], v[4:5], 3, v[6:7]
	v_add_nc_u64_e32 v[6:7], s[16:17], v[6:7]
	s_delay_alu instid0(VALU_DEP_2) | instskip(NEXT) | instid1(VALU_DEP_2)
	v_add_nc_u64_e32 v[4:5], s[16:17], v[4:5]
	v_lshl_add_u64 v[2:3], v[2:3], 3, v[6:7]
	s_delay_alu instid0(VALU_DEP_2)
	v_add_nc_u64_e32 v[4:5], 8, v[4:5]
	s_branch .LBB124_101
.LBB124_100:                            ;   in Loop: Header=BB124_101 Depth=1
	s_or_b32 exec_lo, exec_lo, s9
	s_xor_b32 s9, s7, -1
	s_and_b32 s10, exec_lo, s8
	s_delay_alu instid0(SALU_CYCLE_1) | instskip(SKIP_2) | instid1(SALU_CYCLE_1)
	s_or_b32 s4, s10, s4
	s_and_not1_b32 s5, s5, exec_lo
	s_and_b32 s9, s9, exec_lo
	s_or_b32 s5, s5, s9
	s_and_not1_b32 exec_lo, exec_lo, s4
	s_cbranch_execz .LBB124_103
.LBB124_101:                            ; =>This Inner Loop Header: Depth=1
	s_or_b32 s7, s7, exec_lo
	s_or_b32 s8, s8, exec_lo
	s_mov_b32 s9, exec_lo
	s_delay_alu instid0(VALU_DEP_1)
	v_cmpx_lt_u64_e64 v[4:5], v[2:3]
	s_cbranch_execz .LBB124_100
; %bb.102:                              ;   in Loop: Header=BB124_101 Depth=1
	global_load_b128 v[6:9], v[4:5], off offset:-8
	s_wait_xcnt 0x0
	v_add_nc_u64_e32 v[4:5], 8, v[4:5]
	s_and_not1_b32 s8, s8, exec_lo
	s_and_not1_b32 s7, s7, exec_lo
	s_wait_loadcnt 0x0
	v_cmp_ge_i64_e32 vcc_lo, v[6:7], v[8:9]
	s_or_b32 s10, s6, vcc_lo
	s_delay_alu instid0(SALU_CYCLE_1) | instskip(NEXT) | instid1(SALU_CYCLE_1)
	s_and_b32 s10, s10, exec_lo
	s_or_b32 s8, s8, s10
	s_branch .LBB124_100
.LBB124_103:
	s_or_b32 exec_lo, exec_lo, s4
	s_delay_alu instid0(SALU_CYCLE_1) | instskip(SKIP_1) | instid1(SALU_CYCLE_1)
	s_and_not1_b32 s4, s39, exec_lo
	s_and_b32 s5, s5, exec_lo
	s_or_b32 s4, s4, s5
.LBB124_104:
	s_or_b32 exec_lo, exec_lo, s0
	s_delay_alu instid0(SALU_CYCLE_1)
	s_and_not1_b32 s0, s39, exec_lo
	s_and_b32 s4, s4, exec_lo
	s_or_b32 s1, s1, exec_lo
	s_or_b32 s39, s0, s4
	s_or_b32 exec_lo, exec_lo, s25
	s_and_saveexec_b32 s0, s39
	s_cbranch_execz .LBB124_86
.LBB124_105:
	s_and_not1_b32 s1, s1, exec_lo
	s_or_b32 s24, s24, exec_lo
	s_trap 2
	s_or_b32 exec_lo, exec_lo, s0
	s_and_saveexec_b32 s0, s24
	s_delay_alu instid0(SALU_CYCLE_1)
	s_xor_b32 s0, exec_lo, s0
	s_cbranch_execz .LBB124_87
.LBB124_106:
	; divergent unreachable
	s_or_b32 exec_lo, exec_lo, s0
	s_and_saveexec_b32 s0, s1
	s_delay_alu instid0(SALU_CYCLE_1)
	s_xor_b32 s0, exec_lo, s0
	s_cbranch_execz .LBB124_88
.LBB124_107:
	s_and_saveexec_b32 s0, s2
	s_delay_alu instid0(SALU_CYCLE_1)
	s_xor_b32 s0, exec_lo, s0
	s_cbranch_execnz .LBB124_111
; %bb.108:
	s_or_b32 exec_lo, exec_lo, s0
	s_delay_alu instid0(SALU_CYCLE_1)
	s_mov_b32 s0, exec_lo
	v_cmpx_gt_i32_e64 s33, v0
	s_cbranch_execnz .LBB124_112
.LBB124_109:
	s_or_b32 exec_lo, exec_lo, s0
	s_delay_alu instid0(SALU_CYCLE_1)
	s_mov_b32 s0, exec_lo
	v_cmpx_gt_i32_e64 s33, v0
	s_cbranch_execnz .LBB124_113
.LBB124_110:
	s_or_b32 exec_lo, exec_lo, s0
	s_delay_alu instid0(SALU_CYCLE_1)
	s_mov_b32 s0, exec_lo
	v_cmpx_gt_i32_e64 s33, v0
	s_cbranch_execz .LBB124_88
	s_branch .LBB124_114
.LBB124_111:
	s_wait_loadcnt 0x1
	v_mov_b64_e32 v[2:3], 0
	v_dual_mov_b32 v0, v1 :: v_dual_bitop2_b32 v4, s3, v0 bitop3:0x54
	global_store_b64 v4, v[2:3], s[18:19] scale_offset
	s_wait_xcnt 0x0
	s_or_b32 exec_lo, exec_lo, s0
	s_delay_alu instid0(SALU_CYCLE_1)
	s_mov_b32 s0, exec_lo
	v_cmpx_gt_i32_e64 s33, v0
	s_cbranch_execz .LBB124_109
.LBB124_112:
	v_add_nc_u32_e32 v1, 0x100, v0
	s_wait_loadcnt 0x1
	v_mov_b64_e32 v[2:3], 0
	s_delay_alu instid0(VALU_DEP_2) | instskip(SKIP_3) | instid1(SALU_CYCLE_1)
	v_dual_add_nc_u32 v4, s3, v0 :: v_dual_mov_b32 v0, v1
	global_store_b64 v4, v[2:3], s[18:19] scale_offset
	s_wait_xcnt 0x0
	s_or_b32 exec_lo, exec_lo, s0
	s_mov_b32 s0, exec_lo
	v_cmpx_gt_i32_e64 s33, v0
	s_cbranch_execz .LBB124_110
.LBB124_113:
	v_add_nc_u32_e32 v1, 0x100, v0
	s_wait_loadcnt 0x1
	v_mov_b64_e32 v[2:3], 0
	s_delay_alu instid0(VALU_DEP_2) | instskip(SKIP_3) | instid1(SALU_CYCLE_1)
	v_dual_add_nc_u32 v4, s3, v0 :: v_dual_mov_b32 v0, v1
	global_store_b64 v4, v[2:3], s[18:19] scale_offset
	s_wait_xcnt 0x0
	s_or_b32 exec_lo, exec_lo, s0
	s_mov_b32 s0, exec_lo
	v_cmpx_gt_i32_e64 s33, v0
	s_cbranch_execz .LBB124_88
.LBB124_114:
	s_wait_loadcnt 0x1
	v_mov_b64_e32 v[2:3], 0
	v_add_nc_u32_e32 v0, s3, v0
	global_store_b64 v0, v[2:3], s[18:19] scale_offset
	s_endpgm
.LBB124_115:
	s_mov_b32 s24, exec_lo
	s_and_not1_b32 s45, s45, exec_lo
	s_trap 2
	s_or_b32 exec_lo, exec_lo, s21
	s_and_saveexec_b32 s21, s45
	s_delay_alu instid0(SALU_CYCLE_1)
	s_xor_b32 s21, exec_lo, s21
	s_cbranch_execz .LBB124_81
.LBB124_116:
	s_wait_loadcnt 0x3
	v_cmp_ne_u64_e32 vcc_lo, s[8:9], v[8:9]
	s_xor_b32 s22, s38, -1
	s_and_not1_b32 s23, s42, exec_lo
	s_mov_b32 s0, exec_lo
	s_or_b32 s22, s22, vcc_lo
	s_delay_alu instid0(SALU_CYCLE_1) | instskip(NEXT) | instid1(SALU_CYCLE_1)
	s_and_b32 s22, s22, exec_lo
	s_or_b32 s42, s23, s22
	s_or_b32 exec_lo, exec_lo, s21
	s_and_saveexec_b32 s21, s42
	s_cbranch_execz .LBB124_82
.LBB124_117:
	s_or_b32 s24, s24, exec_lo
	s_and_not1_b32 s0, s0, exec_lo
	s_trap 2
	s_branch .LBB124_82
	.section	.rodata,"a",@progbits
	.p2align	6, 0x0
	.amdhsa_kernel _ZN2at6native27unrolled_elementwise_kernelIZZZNS0_12_GLOBAL__N_142_validate_compressed_sparse_indices_kernelILNS2_8CDimNameE1ENS2_18CUDAKernelLauncherENS2_14EmptyVecKernelENS2_8DummyVecELm0EEEvRKNS_6TensorESA_lllENKUlvE1_clEvENKUlvE0_clEvEUllllllE_St5arrayIPcLm6EELi4E23TrivialOffsetCalculatorILi5EjESH_ILi1EjENS0_6memory15LoadWithoutCastENSK_16StoreWithoutCastEEEviT_T0_T2_T3_T4_T5_
		.amdhsa_group_segment_fixed_size 0
		.amdhsa_private_segment_fixed_size 0
		.amdhsa_kernarg_size 116
		.amdhsa_user_sgpr_count 2
		.amdhsa_user_sgpr_dispatch_ptr 0
		.amdhsa_user_sgpr_queue_ptr 0
		.amdhsa_user_sgpr_kernarg_segment_ptr 1
		.amdhsa_user_sgpr_dispatch_id 0
		.amdhsa_user_sgpr_kernarg_preload_length 0
		.amdhsa_user_sgpr_kernarg_preload_offset 0
		.amdhsa_user_sgpr_private_segment_size 0
		.amdhsa_wavefront_size32 1
		.amdhsa_uses_dynamic_stack 0
		.amdhsa_enable_private_segment 0
		.amdhsa_system_sgpr_workgroup_id_x 1
		.amdhsa_system_sgpr_workgroup_id_y 0
		.amdhsa_system_sgpr_workgroup_id_z 0
		.amdhsa_system_sgpr_workgroup_info 0
		.amdhsa_system_vgpr_workitem_id 0
		.amdhsa_next_free_vgpr 56
		.amdhsa_next_free_sgpr 66
		.amdhsa_named_barrier_count 0
		.amdhsa_reserve_vcc 1
		.amdhsa_float_round_mode_32 0
		.amdhsa_float_round_mode_16_64 0
		.amdhsa_float_denorm_mode_32 3
		.amdhsa_float_denorm_mode_16_64 3
		.amdhsa_fp16_overflow 0
		.amdhsa_memory_ordered 1
		.amdhsa_forward_progress 1
		.amdhsa_inst_pref_size 56
		.amdhsa_round_robin_scheduling 0
		.amdhsa_exception_fp_ieee_invalid_op 0
		.amdhsa_exception_fp_denorm_src 0
		.amdhsa_exception_fp_ieee_div_zero 0
		.amdhsa_exception_fp_ieee_overflow 0
		.amdhsa_exception_fp_ieee_underflow 0
		.amdhsa_exception_fp_ieee_inexact 0
		.amdhsa_exception_int_div_zero 0
	.end_amdhsa_kernel
	.section	.text._ZN2at6native27unrolled_elementwise_kernelIZZZNS0_12_GLOBAL__N_142_validate_compressed_sparse_indices_kernelILNS2_8CDimNameE1ENS2_18CUDAKernelLauncherENS2_14EmptyVecKernelENS2_8DummyVecELm0EEEvRKNS_6TensorESA_lllENKUlvE1_clEvENKUlvE0_clEvEUllllllE_St5arrayIPcLm6EELi4E23TrivialOffsetCalculatorILi5EjESH_ILi1EjENS0_6memory15LoadWithoutCastENSK_16StoreWithoutCastEEEviT_T0_T2_T3_T4_T5_,"axG",@progbits,_ZN2at6native27unrolled_elementwise_kernelIZZZNS0_12_GLOBAL__N_142_validate_compressed_sparse_indices_kernelILNS2_8CDimNameE1ENS2_18CUDAKernelLauncherENS2_14EmptyVecKernelENS2_8DummyVecELm0EEEvRKNS_6TensorESA_lllENKUlvE1_clEvENKUlvE0_clEvEUllllllE_St5arrayIPcLm6EELi4E23TrivialOffsetCalculatorILi5EjESH_ILi1EjENS0_6memory15LoadWithoutCastENSK_16StoreWithoutCastEEEviT_T0_T2_T3_T4_T5_,comdat
.Lfunc_end124:
	.size	_ZN2at6native27unrolled_elementwise_kernelIZZZNS0_12_GLOBAL__N_142_validate_compressed_sparse_indices_kernelILNS2_8CDimNameE1ENS2_18CUDAKernelLauncherENS2_14EmptyVecKernelENS2_8DummyVecELm0EEEvRKNS_6TensorESA_lllENKUlvE1_clEvENKUlvE0_clEvEUllllllE_St5arrayIPcLm6EELi4E23TrivialOffsetCalculatorILi5EjESH_ILi1EjENS0_6memory15LoadWithoutCastENSK_16StoreWithoutCastEEEviT_T0_T2_T3_T4_T5_, .Lfunc_end124-_ZN2at6native27unrolled_elementwise_kernelIZZZNS0_12_GLOBAL__N_142_validate_compressed_sparse_indices_kernelILNS2_8CDimNameE1ENS2_18CUDAKernelLauncherENS2_14EmptyVecKernelENS2_8DummyVecELm0EEEvRKNS_6TensorESA_lllENKUlvE1_clEvENKUlvE0_clEvEUllllllE_St5arrayIPcLm6EELi4E23TrivialOffsetCalculatorILi5EjESH_ILi1EjENS0_6memory15LoadWithoutCastENSK_16StoreWithoutCastEEEviT_T0_T2_T3_T4_T5_
                                        ; -- End function
	.set _ZN2at6native27unrolled_elementwise_kernelIZZZNS0_12_GLOBAL__N_142_validate_compressed_sparse_indices_kernelILNS2_8CDimNameE1ENS2_18CUDAKernelLauncherENS2_14EmptyVecKernelENS2_8DummyVecELm0EEEvRKNS_6TensorESA_lllENKUlvE1_clEvENKUlvE0_clEvEUllllllE_St5arrayIPcLm6EELi4E23TrivialOffsetCalculatorILi5EjESH_ILi1EjENS0_6memory15LoadWithoutCastENSK_16StoreWithoutCastEEEviT_T0_T2_T3_T4_T5_.num_vgpr, 56
	.set _ZN2at6native27unrolled_elementwise_kernelIZZZNS0_12_GLOBAL__N_142_validate_compressed_sparse_indices_kernelILNS2_8CDimNameE1ENS2_18CUDAKernelLauncherENS2_14EmptyVecKernelENS2_8DummyVecELm0EEEvRKNS_6TensorESA_lllENKUlvE1_clEvENKUlvE0_clEvEUllllllE_St5arrayIPcLm6EELi4E23TrivialOffsetCalculatorILi5EjESH_ILi1EjENS0_6memory15LoadWithoutCastENSK_16StoreWithoutCastEEEviT_T0_T2_T3_T4_T5_.num_agpr, 0
	.set _ZN2at6native27unrolled_elementwise_kernelIZZZNS0_12_GLOBAL__N_142_validate_compressed_sparse_indices_kernelILNS2_8CDimNameE1ENS2_18CUDAKernelLauncherENS2_14EmptyVecKernelENS2_8DummyVecELm0EEEvRKNS_6TensorESA_lllENKUlvE1_clEvENKUlvE0_clEvEUllllllE_St5arrayIPcLm6EELi4E23TrivialOffsetCalculatorILi5EjESH_ILi1EjENS0_6memory15LoadWithoutCastENSK_16StoreWithoutCastEEEviT_T0_T2_T3_T4_T5_.numbered_sgpr, 66
	.set _ZN2at6native27unrolled_elementwise_kernelIZZZNS0_12_GLOBAL__N_142_validate_compressed_sparse_indices_kernelILNS2_8CDimNameE1ENS2_18CUDAKernelLauncherENS2_14EmptyVecKernelENS2_8DummyVecELm0EEEvRKNS_6TensorESA_lllENKUlvE1_clEvENKUlvE0_clEvEUllllllE_St5arrayIPcLm6EELi4E23TrivialOffsetCalculatorILi5EjESH_ILi1EjENS0_6memory15LoadWithoutCastENSK_16StoreWithoutCastEEEviT_T0_T2_T3_T4_T5_.num_named_barrier, 0
	.set _ZN2at6native27unrolled_elementwise_kernelIZZZNS0_12_GLOBAL__N_142_validate_compressed_sparse_indices_kernelILNS2_8CDimNameE1ENS2_18CUDAKernelLauncherENS2_14EmptyVecKernelENS2_8DummyVecELm0EEEvRKNS_6TensorESA_lllENKUlvE1_clEvENKUlvE0_clEvEUllllllE_St5arrayIPcLm6EELi4E23TrivialOffsetCalculatorILi5EjESH_ILi1EjENS0_6memory15LoadWithoutCastENSK_16StoreWithoutCastEEEviT_T0_T2_T3_T4_T5_.private_seg_size, 0
	.set _ZN2at6native27unrolled_elementwise_kernelIZZZNS0_12_GLOBAL__N_142_validate_compressed_sparse_indices_kernelILNS2_8CDimNameE1ENS2_18CUDAKernelLauncherENS2_14EmptyVecKernelENS2_8DummyVecELm0EEEvRKNS_6TensorESA_lllENKUlvE1_clEvENKUlvE0_clEvEUllllllE_St5arrayIPcLm6EELi4E23TrivialOffsetCalculatorILi5EjESH_ILi1EjENS0_6memory15LoadWithoutCastENSK_16StoreWithoutCastEEEviT_T0_T2_T3_T4_T5_.uses_vcc, 1
	.set _ZN2at6native27unrolled_elementwise_kernelIZZZNS0_12_GLOBAL__N_142_validate_compressed_sparse_indices_kernelILNS2_8CDimNameE1ENS2_18CUDAKernelLauncherENS2_14EmptyVecKernelENS2_8DummyVecELm0EEEvRKNS_6TensorESA_lllENKUlvE1_clEvENKUlvE0_clEvEUllllllE_St5arrayIPcLm6EELi4E23TrivialOffsetCalculatorILi5EjESH_ILi1EjENS0_6memory15LoadWithoutCastENSK_16StoreWithoutCastEEEviT_T0_T2_T3_T4_T5_.uses_flat_scratch, 0
	.set _ZN2at6native27unrolled_elementwise_kernelIZZZNS0_12_GLOBAL__N_142_validate_compressed_sparse_indices_kernelILNS2_8CDimNameE1ENS2_18CUDAKernelLauncherENS2_14EmptyVecKernelENS2_8DummyVecELm0EEEvRKNS_6TensorESA_lllENKUlvE1_clEvENKUlvE0_clEvEUllllllE_St5arrayIPcLm6EELi4E23TrivialOffsetCalculatorILi5EjESH_ILi1EjENS0_6memory15LoadWithoutCastENSK_16StoreWithoutCastEEEviT_T0_T2_T3_T4_T5_.has_dyn_sized_stack, 0
	.set _ZN2at6native27unrolled_elementwise_kernelIZZZNS0_12_GLOBAL__N_142_validate_compressed_sparse_indices_kernelILNS2_8CDimNameE1ENS2_18CUDAKernelLauncherENS2_14EmptyVecKernelENS2_8DummyVecELm0EEEvRKNS_6TensorESA_lllENKUlvE1_clEvENKUlvE0_clEvEUllllllE_St5arrayIPcLm6EELi4E23TrivialOffsetCalculatorILi5EjESH_ILi1EjENS0_6memory15LoadWithoutCastENSK_16StoreWithoutCastEEEviT_T0_T2_T3_T4_T5_.has_recursion, 0
	.set _ZN2at6native27unrolled_elementwise_kernelIZZZNS0_12_GLOBAL__N_142_validate_compressed_sparse_indices_kernelILNS2_8CDimNameE1ENS2_18CUDAKernelLauncherENS2_14EmptyVecKernelENS2_8DummyVecELm0EEEvRKNS_6TensorESA_lllENKUlvE1_clEvENKUlvE0_clEvEUllllllE_St5arrayIPcLm6EELi4E23TrivialOffsetCalculatorILi5EjESH_ILi1EjENS0_6memory15LoadWithoutCastENSK_16StoreWithoutCastEEEviT_T0_T2_T3_T4_T5_.has_indirect_call, 0
	.section	.AMDGPU.csdata,"",@progbits
; Kernel info:
; codeLenInByte = 7164
; TotalNumSgprs: 68
; NumVgprs: 56
; ScratchSize: 0
; MemoryBound: 0
; FloatMode: 240
; IeeeMode: 1
; LDSByteSize: 0 bytes/workgroup (compile time only)
; SGPRBlocks: 0
; VGPRBlocks: 3
; NumSGPRsForWavesPerEU: 68
; NumVGPRsForWavesPerEU: 56
; NamedBarCnt: 0
; Occupancy: 16
; WaveLimiterHint : 0
; COMPUTE_PGM_RSRC2:SCRATCH_EN: 0
; COMPUTE_PGM_RSRC2:USER_SGPR: 2
; COMPUTE_PGM_RSRC2:TRAP_HANDLER: 0
; COMPUTE_PGM_RSRC2:TGID_X_EN: 1
; COMPUTE_PGM_RSRC2:TGID_Y_EN: 0
; COMPUTE_PGM_RSRC2:TGID_Z_EN: 0
; COMPUTE_PGM_RSRC2:TIDIG_COMP_CNT: 0
	.section	.text._ZN2at6native32elementwise_kernel_manual_unrollILi128ELi4EZNS0_22gpu_kernel_impl_nocastIZZZNS0_12_GLOBAL__N_142_validate_compressed_sparse_indices_kernelILNS3_8CDimNameE1ENS3_18CUDAKernelLauncherENS3_14EmptyVecKernelENS3_8DummyVecELm0EEEvRKNS_6TensorESB_lllENKUlvE1_clEvENKUlvE0_clEvEUllllllE_EEvRNS_18TensorIteratorBaseERKT_EUlibE_EEviT1_,"axG",@progbits,_ZN2at6native32elementwise_kernel_manual_unrollILi128ELi4EZNS0_22gpu_kernel_impl_nocastIZZZNS0_12_GLOBAL__N_142_validate_compressed_sparse_indices_kernelILNS3_8CDimNameE1ENS3_18CUDAKernelLauncherENS3_14EmptyVecKernelENS3_8DummyVecELm0EEEvRKNS_6TensorESB_lllENKUlvE1_clEvENKUlvE0_clEvEUllllllE_EEvRNS_18TensorIteratorBaseERKT_EUlibE_EEviT1_,comdat
	.globl	_ZN2at6native32elementwise_kernel_manual_unrollILi128ELi4EZNS0_22gpu_kernel_impl_nocastIZZZNS0_12_GLOBAL__N_142_validate_compressed_sparse_indices_kernelILNS3_8CDimNameE1ENS3_18CUDAKernelLauncherENS3_14EmptyVecKernelENS3_8DummyVecELm0EEEvRKNS_6TensorESB_lllENKUlvE1_clEvENKUlvE0_clEvEUllllllE_EEvRNS_18TensorIteratorBaseERKT_EUlibE_EEviT1_ ; -- Begin function _ZN2at6native32elementwise_kernel_manual_unrollILi128ELi4EZNS0_22gpu_kernel_impl_nocastIZZZNS0_12_GLOBAL__N_142_validate_compressed_sparse_indices_kernelILNS3_8CDimNameE1ENS3_18CUDAKernelLauncherENS3_14EmptyVecKernelENS3_8DummyVecELm0EEEvRKNS_6TensorESB_lllENKUlvE1_clEvENKUlvE0_clEvEUllllllE_EEvRNS_18TensorIteratorBaseERKT_EUlibE_EEviT1_
	.p2align	8
	.type	_ZN2at6native32elementwise_kernel_manual_unrollILi128ELi4EZNS0_22gpu_kernel_impl_nocastIZZZNS0_12_GLOBAL__N_142_validate_compressed_sparse_indices_kernelILNS3_8CDimNameE1ENS3_18CUDAKernelLauncherENS3_14EmptyVecKernelENS3_8DummyVecELm0EEEvRKNS_6TensorESB_lllENKUlvE1_clEvENKUlvE0_clEvEUllllllE_EEvRNS_18TensorIteratorBaseERKT_EUlibE_EEviT1_,@function
_ZN2at6native32elementwise_kernel_manual_unrollILi128ELi4EZNS0_22gpu_kernel_impl_nocastIZZZNS0_12_GLOBAL__N_142_validate_compressed_sparse_indices_kernelILNS3_8CDimNameE1ENS3_18CUDAKernelLauncherENS3_14EmptyVecKernelENS3_8DummyVecELm0EEEvRKNS_6TensorESB_lllENKUlvE1_clEvENKUlvE0_clEvEUllllllE_EEvRNS_18TensorIteratorBaseERKT_EUlibE_EEviT1_: ; @_ZN2at6native32elementwise_kernel_manual_unrollILi128ELi4EZNS0_22gpu_kernel_impl_nocastIZZZNS0_12_GLOBAL__N_142_validate_compressed_sparse_indices_kernelILNS3_8CDimNameE1ENS3_18CUDAKernelLauncherENS3_14EmptyVecKernelENS3_8DummyVecELm0EEEvRKNS_6TensorESB_lllENKUlvE1_clEvENKUlvE0_clEvEUllllllE_EEvRNS_18TensorIteratorBaseERKT_EUlibE_EEviT1_
; %bb.0:
	s_clause 0x1
	s_load_b32 s33, s[0:1], 0x8
	s_load_b32 s80, s[0:1], 0x0
	s_bfe_u32 s2, ttmp6, 0x4000c
	s_and_b32 s3, ttmp6, 15
	s_add_co_i32 s2, s2, 1
	s_getreg_b32 s4, hwreg(HW_REG_IB_STS2, 6, 4)
	s_mul_i32 s2, ttmp9, s2
	s_mov_b32 s71, 0
	s_add_co_i32 s3, s3, s2
	s_cmp_eq_u32 s4, 0
	s_mov_b32 s51, -1
	s_cselect_b32 s2, ttmp9, s3
	s_mov_b32 s36, 0
	v_lshl_or_b32 v0, s2, 9, v0
	s_add_nc_u64 s[2:3], s[0:1], 8
	s_get_pc_i64 s[34:35]
	s_add_nc_u64 s[34:35], s[34:35], .str.6@rel64+4
	s_wait_xcnt 0x0
	s_mov_b32 s0, exec_lo
	v_or_b32_e32 v2, 0x180, v0
	s_wait_kmcnt 0x0
	s_add_co_i32 s70, s33, -1
	s_delay_alu instid0(SALU_CYCLE_1)
	s_cmp_gt_u32 s70, 1
	s_cselect_b32 s72, -1, 0
	v_cmpx_le_i32_e64 s80, v2
	s_xor_b32 s73, exec_lo, s0
	s_cbranch_execz .LBB125_137
; %bb.1:
	s_clause 0x5
	s_load_b256 s[20:27], s[2:3], 0x288
	s_load_b128 s[44:47], s[2:3], 0x4
	s_load_b64 s[0:1], s[2:3], 0x14
	s_load_b256 s[36:43], s[2:3], 0xc4
	s_load_b512 s[4:19], s[2:3], 0x248
	s_load_b64 s[48:49], s[2:3], 0x2a8
	s_cmp_lg_u32 s33, 0
	s_get_pc_i64 s[28:29]
	s_add_nc_u64 s[28:29], s[28:29], .str.7@rel64+4
	s_cselect_b32 s81, -1, 0
	s_min_u32 s78, s70, 15
	s_cmp_gt_u32 s33, 1
	s_get_pc_i64 s[30:31]
	s_add_nc_u64 s[30:31], s[30:31], .str.8@rel64+4
	s_cselect_b32 s77, -1, 0
	s_cmp_lg_u64 s[34:35], 0
	s_mov_b32 s53, 0
	s_cselect_b32 s76, -1, 0
	s_cmp_lg_u64 s[28:29], 0
	s_get_pc_i64 s[28:29]
	s_add_nc_u64 s[28:29], s[28:29], .str.9@rel64+4
	s_cselect_b32 s75, -1, 0
	s_cmp_lg_u64 s[30:31], 0
	s_mov_b32 s55, s53
	s_cselect_b32 s74, -1, 0
	s_wait_kmcnt 0x0
	s_add_co_i32 s50, s22, -1
	s_mov_b32 s52, s45
	s_cmp_gt_i32 s50, -1
	s_mov_b32 s54, s0
	s_cselect_b32 s45, -1, 0
	s_cmp_lg_u64 s[28:29], 0
	s_mov_b32 s84, s53
	s_cselect_b32 s23, -1, 0
	s_mov_b32 s83, s53
	s_mov_b32 s82, s53
	;; [unrolled: 1-line block ×3, first 2 shown]
	s_mov_b32 s85, exec_lo
	v_cmpx_gt_i32_e64 s80, v0
	s_cbranch_execz .LBB125_35
; %bb.2:
	s_and_not1_b32 vcc_lo, exec_lo, s72
	s_cbranch_vccnz .LBB125_8
; %bb.3:
	s_and_not1_b32 vcc_lo, exec_lo, s81
	s_cbranch_vccnz .LBB125_9
; %bb.4:
	v_dual_mov_b32 v6, 0 :: v_dual_mov_b32 v1, v0
	v_dual_mov_b32 v8, 0 :: v_dual_mov_b32 v5, 0
	v_dual_mov_b32 v4, 0 :: v_dual_mov_b32 v14, 0
	v_mov_b32_e32 v7, 0
	s_add_co_i32 s0, s78, 1
	s_mov_b64 s[28:29], 0xffffffffffffffd0
	s_and_b32 s0, s0, 30
	s_add_nc_u64 s[56:57], s[2:3], s[28:29]
	s_mov_b64 s[58:59], s[2:3]
.LBB125_5:                              ; =>This Inner Loop Header: Depth=1
	s_clause 0x1
	s_load_b128 s[88:91], s[58:59], 0x4
	s_load_b64 s[28:29], s[58:59], 0x14
	s_clause 0x1
	s_load_b256 s[60:67], s[56:57], 0xf4
	s_load_b128 s[92:95], s[56:57], 0x114
	s_add_co_i32 s0, s0, -2
	s_wait_xcnt 0x0
	s_add_nc_u64 s[58:59], s[58:59], 24
	s_cmp_lg_u32 s0, 0
	s_add_nc_u64 s[56:57], s[56:57], 48
	s_wait_kmcnt 0x0
	v_mul_hi_u32 v2, s89, v1
	s_delay_alu instid0(VALU_DEP_1) | instskip(NEXT) | instid1(VALU_DEP_1)
	v_add_nc_u32_e32 v2, v1, v2
	v_lshrrev_b32_e32 v2, s90, v2
	s_delay_alu instid0(VALU_DEP_1) | instskip(SKIP_1) | instid1(VALU_DEP_1)
	v_mul_hi_u32 v3, s28, v2
	v_mul_lo_u32 v9, v2, s88
	v_dual_add_nc_u32 v3, v2, v3 :: v_dual_sub_nc_u32 v9, v1, v9
	s_delay_alu instid0(VALU_DEP_1) | instskip(NEXT) | instid1(VALU_DEP_2)
	v_lshrrev_b32_e32 v1, s29, v3
	v_mad_u32 v3, v9, s61, v7
	v_mad_u32 v10, v9, s60, v14
	v_mad_u32 v4, v9, s63, v4
	v_mad_u32 v5, v9, s62, v5
	v_mul_lo_u32 v7, v1, s91
	v_mad_u32 v8, s65, v9, v8
	v_mad_u32 v6, s64, v9, v6
	s_delay_alu instid0(VALU_DEP_3) | instskip(NEXT) | instid1(VALU_DEP_1)
	v_sub_nc_u32_e32 v2, v2, v7
	v_mad_u32 v7, v2, s67, v3
	v_mad_u32 v14, v2, s66, v10
	;; [unrolled: 1-line block ×6, first 2 shown]
	s_cbranch_scc1 .LBB125_5
; %bb.6:
	s_bitcmp1_b32 s78, 0
	s_cselect_b32 s0, -1, 0
	s_delay_alu instid0(SALU_CYCLE_1)
	s_and_b32 vcc_lo, exec_lo, s0
	s_cbranch_vccnz .LBB125_10
; %bb.7:
	s_load_b96 s[28:30], s[58:59], 0x4
	s_wait_kmcnt 0x0
	v_mul_hi_u32 v2, s29, v1
	s_delay_alu instid0(VALU_DEP_1) | instskip(NEXT) | instid1(VALU_DEP_1)
	v_add_nc_u32_e32 v2, v1, v2
	v_lshrrev_b32_e32 v2, s30, v2
	s_clause 0x1
	s_load_b128 s[60:63], s[56:57], 0xf4
	s_load_b64 s[30:31], s[56:57], 0x104
	s_delay_alu instid0(VALU_DEP_1) | instskip(NEXT) | instid1(VALU_DEP_1)
	v_mul_lo_u32 v2, v2, s28
	v_sub_nc_u32_e32 v1, v1, v2
	s_wait_kmcnt 0x0
	s_delay_alu instid0(VALU_DEP_1)
	v_mad_u32 v14, v1, s60, v14
	v_mad_u32 v7, v1, s61, v7
	;; [unrolled: 1-line block ×6, first 2 shown]
	s_cbranch_execz .LBB125_11
	s_branch .LBB125_13
.LBB125_8:
                                        ; implicit-def: $vgpr7
                                        ; implicit-def: $vgpr14
                                        ; implicit-def: $vgpr4
                                        ; implicit-def: $vgpr5
                                        ; implicit-def: $vgpr8
                                        ; implicit-def: $vgpr6
	s_branch .LBB125_11
.LBB125_9:
	v_dual_mov_b32 v7, 0 :: v_dual_mov_b32 v14, 0
	v_dual_mov_b32 v4, 0 :: v_dual_mov_b32 v5, 0
	;; [unrolled: 1-line block ×3, first 2 shown]
.LBB125_10:
	s_cbranch_execnz .LBB125_13
.LBB125_11:
	v_mov_b32_e32 v1, 0
	s_and_not1_b32 vcc_lo, exec_lo, s77
	s_delay_alu instid0(VALU_DEP_1) | instskip(NEXT) | instid1(VALU_DEP_1)
	v_mul_u64_e32 v[2:3], s[52:53], v[0:1]
	v_add_nc_u32_e32 v2, v0, v3
	s_delay_alu instid0(VALU_DEP_1) | instskip(NEXT) | instid1(VALU_DEP_1)
	v_lshrrev_b32_e32 v2, s46, v2
	v_mul_lo_u32 v3, v2, s44
	s_delay_alu instid0(VALU_DEP_1) | instskip(NEXT) | instid1(VALU_DEP_1)
	v_sub_nc_u32_e32 v3, v0, v3
	v_mul_lo_u32 v7, v3, s37
	v_mul_lo_u32 v14, v3, s36
	;; [unrolled: 1-line block ×6, first 2 shown]
	s_cbranch_vccnz .LBB125_13
; %bb.12:
	v_mov_b32_e32 v3, v1
	s_load_b128 s[28:31], s[2:3], 0xe4
	s_delay_alu instid0(VALU_DEP_1) | instskip(NEXT) | instid1(VALU_DEP_1)
	v_mul_u64_e32 v[10:11], s[54:55], v[2:3]
	v_add_nc_u32_e32 v1, v2, v11
	s_delay_alu instid0(VALU_DEP_1) | instskip(NEXT) | instid1(VALU_DEP_1)
	v_lshrrev_b32_e32 v1, s1, v1
	v_mul_lo_u32 v1, v1, s47
	s_delay_alu instid0(VALU_DEP_1) | instskip(NEXT) | instid1(VALU_DEP_1)
	v_sub_nc_u32_e32 v1, v2, v1
	v_mad_u32 v14, v1, s42, v14
	v_mad_u32 v7, v1, s43, v7
	s_wait_kmcnt 0x0
	v_mad_u32 v5, v1, s28, v5
	v_mad_u32 v4, v1, s29, v4
	;; [unrolled: 1-line block ×4, first 2 shown]
.LBB125_13:
	global_load_b64 v[2:3], v7, s[6:7]
	s_mov_b32 s51, -1
	s_mov_b32 s0, 0
	s_mov_b32 s56, 0
	;; [unrolled: 1-line block ×4, first 2 shown]
	s_wait_loadcnt 0x0
	v_cmp_eq_u64_e32 vcc_lo, s[16:17], v[2:3]
	s_and_b32 s28, s76, vcc_lo
	s_delay_alu instid0(SALU_CYCLE_1)
	s_and_saveexec_b32 s79, s28
	s_cbranch_execz .LBB125_34
; %bb.14:
	global_load_b64 v[2:3], v5, s[8:9]
	s_wait_loadcnt 0x0
	v_cmp_eq_u64_e32 vcc_lo, s[20:21], v[2:3]
	s_and_b32 s28, s75, vcc_lo
	s_delay_alu instid0(SALU_CYCLE_1)
	s_and_saveexec_b32 s82, s28
	s_cbranch_execz .LBB125_33
; %bb.15:
	global_load_b64 v[4:5], v4, s[10:11]
	global_load_b64 v[2:3], v6, s[12:13]
	s_wait_loadcnt 0x0
	v_sub_nc_u64_e32 v[6:7], v[2:3], v[4:5]
	s_delay_alu instid0(VALU_DEP_1) | instskip(SKIP_4) | instid1(SALU_CYCLE_1)
	v_cmp_le_i64_e32 vcc_lo, s[16:17], v[6:7]
	v_cmp_ge_i64_e64 s0, s[18:19], v[6:7]
	s_and_b32 s28, vcc_lo, s0
	s_mov_b32 s0, 0
	s_and_b32 s28, s74, s28
	s_and_saveexec_b32 s83, s28
	s_cbranch_execz .LBB125_32
; %bb.16:
	v_cmp_lt_i64_e64 s0, s[20:21], 1
	v_mov_b64_e32 v[6:7], 0
	s_xor_b32 s28, s45, -1
	s_delay_alu instid0(SALU_CYCLE_1) | instskip(NEXT) | instid1(SALU_CYCLE_1)
	s_or_b32 s0, s0, s28
	s_and_b32 vcc_lo, exec_lo, s0
	s_cbranch_vccnz .LBB125_23
; %bb.17:
	global_load_b64 v[6:7], v8, s[14:15]
	s_mov_b32 s51, s57
	s_wait_xcnt 0x0
	v_mov_b32_e32 v8, 0
	s_lshl_b64 s[28:29], s[50:51], 3
	s_mov_b64 s[58:59], 0xffffffff
	s_add_nc_u64 s[60:61], s[24:25], s[28:29]
	s_add_nc_u64 s[62:63], s[26:27], s[28:29]
	s_mov_b32 s51, s22
	s_wait_loadcnt 0x0
	v_mul_u64_e32 v[10:11], s[20:21], v[6:7]
	v_mov_b64_e32 v[6:7], 0
	s_branch .LBB125_19
.LBB125_18:                             ;   in Loop: Header=BB125_19 Depth=1
	s_or_b32 exec_lo, exec_lo, s0
	s_delay_alu instid0(VALU_DEP_1)
	v_mul_u64_e32 v[16:17], s[64:65], v[12:13]
	s_load_b64 s[28:29], s[62:63], 0x0
	s_add_co_i32 s51, s51, -1
	s_add_nc_u64 s[60:61], s[60:61], -8
	s_cmp_eq_u32 s51, 0
	s_wait_xcnt 0x0
	s_add_nc_u64 s[62:63], s[62:63], -8
	s_delay_alu instid0(VALU_DEP_1) | instskip(SKIP_1) | instid1(VALU_DEP_1)
	v_sub_nc_u64_e32 v[10:11], v[10:11], v[16:17]
	s_wait_kmcnt 0x0
	v_mad_nc_u64_u32 v[6:7], v10, s28, v[6:7]
	s_delay_alu instid0(VALU_DEP_1) | instskip(NEXT) | instid1(VALU_DEP_1)
	v_mad_u32 v1, v11, s28, v7
	v_mad_u32 v7, v10, s29, v1
	v_mov_b64_e32 v[10:11], v[12:13]
	s_cbranch_scc1 .LBB125_23
.LBB125_19:                             ; =>This Inner Loop Header: Depth=1
	s_load_b64 s[64:65], s[60:61], 0x0
                                        ; implicit-def: $vgpr12_vgpr13
	s_mov_b32 s0, exec_lo
	s_wait_kmcnt 0x0
	s_delay_alu instid0(VALU_DEP_1) | instskip(NEXT) | instid1(VALU_DEP_1)
	v_or_b32_e32 v9, s65, v11
	v_cmpx_ne_u64_e32 0, v[8:9]
	s_xor_b32 s84, exec_lo, s0
	s_cbranch_execz .LBB125_21
; %bb.20:                               ;   in Loop: Header=BB125_19 Depth=1
	s_ashr_i32 s66, s65, 31
	v_dual_mov_b32 v19, v8 :: v_dual_ashrrev_i32 v12, 31, v11
	s_mov_b32 s67, s66
	v_mov_b32_e32 v23, v8
	s_add_nc_u64 s[28:29], s[64:65], s[66:67]
	s_delay_alu instid0(VALU_DEP_2)
	v_mov_b32_e32 v13, v12
	s_xor_b64 s[68:69], s[28:29], s[66:67]
	v_mov_b32_e32 v27, v8
	s_cvt_f32_u32 s0, s68
	s_cvt_f32_u32 s28, s69
	s_sub_nc_u64 s[30:31], 0, s[68:69]
	v_add_nc_u64_e32 v[16:17], v[10:11], v[12:13]
	s_delay_alu instid0(SALU_CYCLE_1) | instskip(NEXT) | instid1(SALU_CYCLE_3)
	s_fmamk_f32 s0, s28, 0x4f800000, s0
	v_s_rcp_f32 s0, s0
	s_delay_alu instid0(VALU_DEP_1) | instskip(NEXT) | instid1(VALU_DEP_2)
	v_xor_b32_e32 v22, v17, v12
	v_xor_b32_e32 v18, v16, v12
	s_delay_alu instid0(TRANS32_DEP_1) | instskip(NEXT) | instid1(SALU_CYCLE_3)
	s_mul_f32 s0, s0, 0x5f7ffffc
	s_mul_f32 s28, s0, 0x2f800000
	s_delay_alu instid0(SALU_CYCLE_3) | instskip(NEXT) | instid1(SALU_CYCLE_3)
	s_trunc_f32 s28, s28
	s_fmamk_f32 s0, s28, 0xcf800000, s0
	s_cvt_u32_f32 s29, s28
	s_delay_alu instid0(SALU_CYCLE_2) | instskip(NEXT) | instid1(SALU_CYCLE_3)
	s_cvt_u32_f32 s28, s0
	s_mul_u64 s[86:87], s[30:31], s[28:29]
	s_delay_alu instid0(SALU_CYCLE_1)
	s_mul_hi_u32 s89, s28, s87
	s_mul_i32 s88, s28, s87
	s_mul_hi_u32 s56, s28, s86
	s_mul_i32 s67, s29, s86
	s_add_nc_u64 s[88:89], s[56:57], s[88:89]
	s_mul_hi_u32 s0, s29, s86
	s_mul_hi_u32 s90, s29, s87
	s_add_co_u32 s56, s88, s67
	s_add_co_ci_u32 s56, s89, s0
	s_mul_i32 s86, s29, s87
	s_add_co_ci_u32 s87, s90, 0
	s_delay_alu instid0(SALU_CYCLE_1) | instskip(NEXT) | instid1(SALU_CYCLE_1)
	s_add_nc_u64 s[86:87], s[56:57], s[86:87]
	s_add_co_u32 s28, s28, s86
	s_cselect_b32 s0, -1, 0
	s_delay_alu instid0(SALU_CYCLE_1) | instskip(SKIP_1) | instid1(SALU_CYCLE_1)
	s_cmp_lg_u32 s0, 0
	s_add_co_ci_u32 s29, s29, s87
	s_mul_u64 s[30:31], s[30:31], s[28:29]
	s_delay_alu instid0(SALU_CYCLE_1)
	s_mul_hi_u32 s87, s28, s31
	s_mul_i32 s86, s28, s31
	s_mul_hi_u32 s56, s28, s30
	s_mul_i32 s67, s29, s30
	s_add_nc_u64 s[86:87], s[56:57], s[86:87]
	s_mul_hi_u32 s0, s29, s30
	s_mul_hi_u32 s88, s29, s31
	s_mul_i32 s30, s29, s31
	s_add_co_u32 s31, s86, s67
	s_add_co_ci_u32 s56, s87, s0
	s_add_co_ci_u32 s31, s88, 0
	s_delay_alu instid0(SALU_CYCLE_1) | instskip(NEXT) | instid1(SALU_CYCLE_1)
	s_add_nc_u64 s[30:31], s[56:57], s[30:31]
	s_add_co_u32 s0, s28, s30
	s_cselect_b32 s28, -1, 0
	v_mul_hi_u32 v26, v18, s0
	s_cmp_lg_u32 s28, 0
	s_add_co_ci_u32 s56, s29, s31
	s_and_b64 s[28:29], s[0:1], s[58:59]
	v_mul_u64_e32 v[20:21], s[56:57], v[18:19]
	v_mul_u64_e32 v[16:17], s[28:29], v[22:23]
	;; [unrolled: 1-line block ×3, first 2 shown]
	s_delay_alu instid0(VALU_DEP_3) | instskip(NEXT) | instid1(VALU_DEP_1)
	v_add_nc_u64_e32 v[20:21], v[26:27], v[20:21]
	v_add_co_u32 v1, vcc_lo, v20, v16
	s_delay_alu instid0(VALU_DEP_2) | instskip(NEXT) | instid1(VALU_DEP_4)
	v_add_co_ci_u32_e32 v26, vcc_lo, v21, v17, vcc_lo
	v_add_co_ci_u32_e32 v25, vcc_lo, 0, v25, vcc_lo
	s_delay_alu instid0(VALU_DEP_1) | instskip(NEXT) | instid1(VALU_DEP_1)
	v_add_nc_u64_e32 v[16:17], v[26:27], v[24:25]
	v_mul_u64_e32 v[20:21], s[68:69], v[16:17]
	s_delay_alu instid0(VALU_DEP_1) | instskip(NEXT) | instid1(VALU_DEP_2)
	v_sub_nc_u32_e32 v1, v22, v21
	v_sub_co_u32 v9, vcc_lo, v18, v20
	s_delay_alu instid0(VALU_DEP_1) | instskip(NEXT) | instid1(VALU_DEP_3)
	v_sub_co_ci_u32_e64 v15, null, v22, v21, vcc_lo
	v_subrev_co_ci_u32_e64 v1, null, s69, v1, vcc_lo
	s_delay_alu instid0(VALU_DEP_3) | instskip(SKIP_1) | instid1(VALU_DEP_3)
	v_sub_co_u32 v13, s0, v9, s68
	v_add_nc_u64_e32 v[20:21], 1, v[16:17]
	v_subrev_co_ci_u32_e64 v1, null, 0, v1, s0
	s_delay_alu instid0(VALU_DEP_3) | instskip(SKIP_1) | instid1(VALU_DEP_3)
	v_cmp_le_u32_e32 vcc_lo, s68, v13
	v_cndmask_b32_e64 v13, 0, -1, vcc_lo
	v_cmp_le_u32_e32 vcc_lo, s69, v1
	v_cndmask_b32_e64 v18, 0, -1, vcc_lo
	;; [unrolled: 2-line block ×4, first 2 shown]
	v_cmp_eq_u32_e32 vcc_lo, s69, v1
	v_cndmask_b32_e32 v1, v18, v13, vcc_lo
	v_cmp_eq_u32_e32 vcc_lo, s69, v15
	v_add_nc_u64_e32 v[18:19], 2, v[16:17]
	v_cndmask_b32_e32 v9, v22, v9, vcc_lo
	s_delay_alu instid0(VALU_DEP_4) | instskip(NEXT) | instid1(VALU_DEP_3)
	v_cmp_ne_u32_e32 vcc_lo, 0, v1
	v_cndmask_b32_e32 v1, v21, v19, vcc_lo
	s_delay_alu instid0(VALU_DEP_3) | instskip(SKIP_1) | instid1(VALU_DEP_2)
	v_cmp_ne_u32_e64 s0, 0, v9
	v_dual_cndmask_b32 v9, v20, v18, vcc_lo :: v_dual_bitop2_b32 v12, s66, v12 bitop3:0x14
	v_cndmask_b32_e64 v1, v17, v1, s0
	s_delay_alu instid0(VALU_DEP_1) | instskip(NEXT) | instid1(VALU_DEP_1)
	v_dual_cndmask_b32 v9, v16, v9, s0 :: v_dual_bitop2_b32 v17, v1, v12 bitop3:0x14
	v_dual_mov_b32 v13, v12 :: v_dual_bitop2_b32 v16, v9, v12 bitop3:0x14
	s_delay_alu instid0(VALU_DEP_1)
	v_sub_nc_u64_e32 v[12:13], v[16:17], v[12:13]
.LBB125_21:                             ;   in Loop: Header=BB125_19 Depth=1
	s_and_not1_saveexec_b32 s0, s84
	s_cbranch_execz .LBB125_18
; %bb.22:                               ;   in Loop: Header=BB125_19 Depth=1
	v_cvt_f32_u32_e32 v1, s64
	s_sub_co_i32 s28, 0, s64
	s_delay_alu instid0(VALU_DEP_1) | instskip(SKIP_1) | instid1(TRANS32_DEP_1)
	v_rcp_iflag_f32_e32 v1, v1
	v_nop
	v_mul_f32_e32 v1, 0x4f7ffffe, v1
	s_delay_alu instid0(VALU_DEP_1) | instskip(NEXT) | instid1(VALU_DEP_1)
	v_cvt_u32_f32_e32 v1, v1
	v_mul_lo_u32 v9, s28, v1
	s_delay_alu instid0(VALU_DEP_1) | instskip(NEXT) | instid1(VALU_DEP_1)
	v_mul_hi_u32 v9, v1, v9
	v_add_nc_u32_e32 v1, v1, v9
	s_delay_alu instid0(VALU_DEP_1) | instskip(NEXT) | instid1(VALU_DEP_1)
	v_mul_hi_u32 v1, v10, v1
	v_mul_lo_u32 v9, v1, s64
	v_add_nc_u32_e32 v12, 1, v1
	s_delay_alu instid0(VALU_DEP_2) | instskip(NEXT) | instid1(VALU_DEP_1)
	v_sub_nc_u32_e32 v9, v10, v9
	v_subrev_nc_u32_e32 v13, s64, v9
	v_cmp_le_u32_e32 vcc_lo, s64, v9
	s_delay_alu instid0(VALU_DEP_2) | instskip(SKIP_1) | instid1(VALU_DEP_2)
	v_dual_cndmask_b32 v9, v9, v13, vcc_lo :: v_dual_mov_b32 v13, v8
	v_cndmask_b32_e32 v1, v1, v12, vcc_lo
	v_cmp_le_u32_e32 vcc_lo, s64, v9
	s_delay_alu instid0(VALU_DEP_2) | instskip(NEXT) | instid1(VALU_DEP_1)
	v_add_nc_u32_e32 v12, 1, v1
	v_cndmask_b32_e32 v12, v1, v12, vcc_lo
	s_branch .LBB125_18
.LBB125_23:
	s_mov_b32 s57, -1
	s_mov_b32 s0, 0
	s_mov_b32 s56, 0
	s_mov_b32 s51, exec_lo
	v_cmpx_gt_i64_e64 v[2:3], v[4:5]
	s_cbranch_execz .LBB125_29
; %bb.24:
	s_delay_alu instid0(VALU_DEP_2) | instskip(SKIP_1) | instid1(VALU_DEP_1)
	v_lshlrev_b64_e32 v[6:7], 3, v[6:7]
	s_xor_b32 s58, s23, -1
                                        ; implicit-def: $sgpr57
                                        ; implicit-def: $sgpr60
                                        ; implicit-def: $sgpr59
	v_lshl_add_u64 v[4:5], v[4:5], 3, v[6:7]
	v_add_nc_u64_e32 v[6:7], s[48:49], v[6:7]
	s_delay_alu instid0(VALU_DEP_2) | instskip(NEXT) | instid1(VALU_DEP_2)
	v_add_nc_u64_e32 v[4:5], s[48:49], v[4:5]
	v_lshl_add_u64 v[2:3], v[2:3], 3, v[6:7]
	s_delay_alu instid0(VALU_DEP_2)
	v_add_nc_u64_e32 v[4:5], 8, v[4:5]
	s_branch .LBB125_26
.LBB125_25:                             ;   in Loop: Header=BB125_26 Depth=1
	s_or_b32 exec_lo, exec_lo, s61
	s_delay_alu instid0(SALU_CYCLE_1) | instskip(NEXT) | instid1(SALU_CYCLE_1)
	s_and_b32 s28, exec_lo, s60
	s_or_b32 s56, s28, s56
	s_and_not1_b32 s28, s57, exec_lo
	s_and_b32 s29, s59, exec_lo
	s_delay_alu instid0(SALU_CYCLE_1)
	s_or_b32 s57, s28, s29
	s_and_not1_b32 exec_lo, exec_lo, s56
	s_cbranch_execz .LBB125_28
.LBB125_26:                             ; =>This Inner Loop Header: Depth=1
	s_or_b32 s59, s59, exec_lo
	s_or_b32 s60, s60, exec_lo
	s_mov_b32 s61, exec_lo
	s_delay_alu instid0(VALU_DEP_1)
	v_cmpx_lt_u64_e64 v[4:5], v[2:3]
	s_cbranch_execz .LBB125_25
; %bb.27:                               ;   in Loop: Header=BB125_26 Depth=1
	global_load_b128 v[6:9], v[4:5], off offset:-8
	s_wait_xcnt 0x0
	v_add_nc_u64_e32 v[4:5], 8, v[4:5]
	s_and_not1_b32 s29, s60, exec_lo
	s_and_not1_b32 s59, s59, exec_lo
	s_wait_loadcnt 0x0
	v_cmp_ge_i64_e32 vcc_lo, v[6:7], v[8:9]
	s_or_b32 s28, s58, vcc_lo
	s_delay_alu instid0(SALU_CYCLE_1) | instskip(NEXT) | instid1(SALU_CYCLE_1)
	s_and_b32 s28, s28, exec_lo
	s_or_b32 s60, s29, s28
	s_branch .LBB125_25
.LBB125_28:
	s_or_b32 exec_lo, exec_lo, s56
	s_delay_alu instid0(SALU_CYCLE_1)
	s_mov_b32 s56, exec_lo
	s_or_not1_b32 s57, s57, exec_lo
.LBB125_29:
	s_or_b32 exec_lo, exec_lo, s51
	s_and_saveexec_b32 s51, s57
	s_cbranch_execz .LBB125_31
; %bb.30:
	v_mov_b64_e32 v[2:3], 0
	v_add_nc_u32_e32 v0, 0x80, v0
	s_mov_b32 s0, exec_lo
	s_and_not1_b32 s56, s56, exec_lo
	global_store_b64 v14, v[2:3], s[4:5]
.LBB125_31:
	s_wait_xcnt 0x0
	s_or_b32 exec_lo, exec_lo, s51
	s_delay_alu instid0(SALU_CYCLE_1)
	s_and_b32 s56, s56, exec_lo
	s_xor_b32 s51, exec_lo, -1
	s_and_b32 s0, s0, exec_lo
.LBB125_32:
	s_or_b32 exec_lo, exec_lo, s83
	s_delay_alu instid0(SALU_CYCLE_1)
	s_and_b32 s57, s56, exec_lo
	s_and_b32 s56, s51, exec_lo
	s_xor_b32 s51, exec_lo, -1
	s_and_b32 s0, s0, exec_lo
.LBB125_33:
	s_or_b32 exec_lo, exec_lo, s82
	s_delay_alu instid0(SALU_CYCLE_1)
	s_and_b32 s58, s57, exec_lo
	s_and_b32 s57, s56, exec_lo
	;; [unrolled: 1-line block ×3, first 2 shown]
	s_xor_b32 s51, exec_lo, -1
	s_and_b32 s0, s0, exec_lo
.LBB125_34:
	s_or_b32 exec_lo, exec_lo, s79
	s_delay_alu instid0(SALU_CYCLE_1)
	s_and_b32 s79, s58, exec_lo
	s_and_b32 s82, s57, exec_lo
	;; [unrolled: 1-line block ×4, first 2 shown]
	s_or_not1_b32 s51, s0, exec_lo
.LBB125_35:
	s_or_b32 exec_lo, exec_lo, s85
                                        ; implicit-def: $vgpr12
                                        ; implicit-def: $vgpr4
                                        ; implicit-def: $vgpr7
                                        ; implicit-def: $vgpr6
                                        ; implicit-def: $vgpr5
	s_and_saveexec_b32 s85, s51
	s_cbranch_execz .LBB125_124
; %bb.36:
	s_mov_b32 s51, -1
	s_mov_b32 s86, s84
	s_mov_b32 s89, s83
	;; [unrolled: 1-line block ×4, first 2 shown]
	s_mov_b32 s90, exec_lo
	v_cmpx_gt_i32_e64 s80, v0
	s_cbranch_execz .LBB125_70
; %bb.37:
	s_and_not1_b32 vcc_lo, exec_lo, s72
	s_cbranch_vccnz .LBB125_43
; %bb.38:
	s_and_not1_b32 vcc_lo, exec_lo, s81
	s_cbranch_vccnz .LBB125_44
; %bb.39:
	v_dual_mov_b32 v6, 0 :: v_dual_mov_b32 v1, v0
	v_dual_mov_b32 v8, 0 :: v_dual_mov_b32 v5, 0
	;; [unrolled: 1-line block ×3, first 2 shown]
	v_mov_b32_e32 v7, 0
	s_add_co_i32 s0, s78, 1
	s_mov_b64 s[28:29], 0xffffffffffffffd0
	s_and_b32 s0, s0, 30
	s_add_nc_u64 s[56:57], s[2:3], s[28:29]
	s_mov_b64 s[58:59], s[2:3]
.LBB125_40:                             ; =>This Inner Loop Header: Depth=1
	s_clause 0x1
	s_load_b128 s[92:95], s[58:59], 0x4
	s_load_b64 s[28:29], s[58:59], 0x14
	s_clause 0x1
	s_load_b256 s[60:67], s[56:57], 0xf4
	s_load_b128 s[96:99], s[56:57], 0x114
	s_add_co_i32 s0, s0, -2
	s_wait_xcnt 0x0
	s_add_nc_u64 s[58:59], s[58:59], 24
	s_cmp_eq_u32 s0, 0
	s_add_nc_u64 s[56:57], s[56:57], 48
	s_wait_kmcnt 0x0
	v_mul_hi_u32 v2, s93, v1
	s_delay_alu instid0(VALU_DEP_1) | instskip(NEXT) | instid1(VALU_DEP_1)
	v_add_nc_u32_e32 v2, v1, v2
	v_lshrrev_b32_e32 v2, s94, v2
	s_delay_alu instid0(VALU_DEP_1) | instskip(SKIP_1) | instid1(VALU_DEP_1)
	v_mul_hi_u32 v3, s28, v2
	v_mul_lo_u32 v9, v2, s92
	v_dual_add_nc_u32 v3, v2, v3 :: v_dual_sub_nc_u32 v9, v1, v9
	s_delay_alu instid0(VALU_DEP_1) | instskip(NEXT) | instid1(VALU_DEP_2)
	v_lshrrev_b32_e32 v1, s29, v3
	v_mad_u32 v3, v9, s61, v7
	v_mad_u32 v10, v9, s60, v14
	;; [unrolled: 1-line block ×4, first 2 shown]
	v_mul_lo_u32 v7, v1, s95
	v_mad_u32 v8, s65, v9, v8
	v_mad_u32 v6, s64, v9, v6
	s_delay_alu instid0(VALU_DEP_3) | instskip(NEXT) | instid1(VALU_DEP_1)
	v_sub_nc_u32_e32 v2, v2, v7
	v_mad_u32 v7, v2, s67, v3
	v_mad_u32 v14, v2, s66, v10
	;; [unrolled: 1-line block ×6, first 2 shown]
	s_cbranch_scc0 .LBB125_40
; %bb.41:
	s_bitcmp1_b32 s78, 0
	s_cselect_b32 s0, -1, 0
	s_delay_alu instid0(SALU_CYCLE_1)
	s_and_b32 vcc_lo, exec_lo, s0
	s_cbranch_vccnz .LBB125_45
; %bb.42:
	s_load_b96 s[28:30], s[58:59], 0x4
	s_wait_kmcnt 0x0
	v_mul_hi_u32 v2, s29, v1
	s_delay_alu instid0(VALU_DEP_1) | instskip(NEXT) | instid1(VALU_DEP_1)
	v_add_nc_u32_e32 v2, v1, v2
	v_lshrrev_b32_e32 v2, s30, v2
	s_clause 0x1
	s_load_b128 s[60:63], s[56:57], 0xf4
	s_load_b64 s[30:31], s[56:57], 0x104
	s_delay_alu instid0(VALU_DEP_1) | instskip(NEXT) | instid1(VALU_DEP_1)
	v_mul_lo_u32 v2, v2, s28
	v_sub_nc_u32_e32 v1, v1, v2
	s_wait_kmcnt 0x0
	s_delay_alu instid0(VALU_DEP_1)
	v_mad_u32 v14, v1, s60, v14
	v_mad_u32 v7, v1, s61, v7
	;; [unrolled: 1-line block ×6, first 2 shown]
	s_branch .LBB125_45
.LBB125_43:
                                        ; implicit-def: $vgpr7
                                        ; implicit-def: $vgpr14
                                        ; implicit-def: $vgpr4
                                        ; implicit-def: $vgpr5
                                        ; implicit-def: $vgpr8
                                        ; implicit-def: $vgpr6
	s_branch .LBB125_46
.LBB125_44:
	v_dual_mov_b32 v7, 0 :: v_dual_mov_b32 v14, 0
	v_dual_mov_b32 v4, 0 :: v_dual_mov_b32 v5, 0
	;; [unrolled: 1-line block ×3, first 2 shown]
.LBB125_45:
	s_cbranch_execnz .LBB125_48
.LBB125_46:
	v_mov_b32_e32 v1, 0
	s_and_not1_b32 vcc_lo, exec_lo, s77
	s_delay_alu instid0(VALU_DEP_1) | instskip(NEXT) | instid1(VALU_DEP_1)
	v_mul_u64_e32 v[2:3], s[52:53], v[0:1]
	v_add_nc_u32_e32 v2, v0, v3
	s_delay_alu instid0(VALU_DEP_1) | instskip(NEXT) | instid1(VALU_DEP_1)
	v_lshrrev_b32_e32 v2, s46, v2
	v_mul_lo_u32 v3, v2, s44
	s_delay_alu instid0(VALU_DEP_1) | instskip(NEXT) | instid1(VALU_DEP_1)
	v_sub_nc_u32_e32 v3, v0, v3
	v_mul_lo_u32 v7, v3, s37
	v_mul_lo_u32 v14, v3, s36
	v_mul_lo_u32 v4, v3, s39
	v_mul_lo_u32 v5, v3, s38
	v_mul_lo_u32 v8, s41, v3
	v_mul_lo_u32 v6, s40, v3
	s_cbranch_vccnz .LBB125_48
; %bb.47:
	v_mov_b32_e32 v3, v1
	s_load_b128 s[28:31], s[2:3], 0xe4
	s_delay_alu instid0(VALU_DEP_1) | instskip(NEXT) | instid1(VALU_DEP_1)
	v_mul_u64_e32 v[10:11], s[54:55], v[2:3]
	v_add_nc_u32_e32 v1, v2, v11
	s_delay_alu instid0(VALU_DEP_1) | instskip(NEXT) | instid1(VALU_DEP_1)
	v_lshrrev_b32_e32 v1, s1, v1
	v_mul_lo_u32 v1, v1, s47
	s_delay_alu instid0(VALU_DEP_1) | instskip(NEXT) | instid1(VALU_DEP_1)
	v_sub_nc_u32_e32 v1, v2, v1
	v_mad_u32 v14, v1, s42, v14
	v_mad_u32 v7, v1, s43, v7
	s_wait_kmcnt 0x0
	v_mad_u32 v5, v1, s28, v5
	v_mad_u32 v4, v1, s29, v4
	;; [unrolled: 1-line block ×4, first 2 shown]
.LBB125_48:
	global_load_b64 v[2:3], v7, s[6:7]
	s_mov_b32 s0, 0
	s_mov_b32 s51, -1
	s_mov_b32 s56, s83
	s_mov_b32 s58, s82
	;; [unrolled: 1-line block ×3, first 2 shown]
	s_wait_loadcnt 0x0
	v_cmp_eq_u64_e32 vcc_lo, s[16:17], v[2:3]
	s_and_b32 s28, s76, vcc_lo
	s_wait_xcnt 0x0
	s_and_saveexec_b32 s86, s28
	s_cbranch_execz .LBB125_69
; %bb.49:
	global_load_b64 v[2:3], v5, s[8:9]
	s_mov_b32 s58, s82
	s_mov_b32 s57, s79
	s_wait_loadcnt 0x0
	v_cmp_eq_u64_e32 vcc_lo, s[20:21], v[2:3]
	s_and_b32 s28, s75, vcc_lo
	s_wait_xcnt 0x0
	s_and_saveexec_b32 s87, s28
	s_cbranch_execz .LBB125_68
; %bb.50:
	global_load_b64 v[4:5], v4, s[10:11]
	global_load_b64 v[2:3], v6, s[12:13]
	s_mov_b32 s56, 0
	s_mov_b32 s51, s79
	s_wait_loadcnt 0x0
	v_sub_nc_u64_e32 v[6:7], v[2:3], v[4:5]
	s_delay_alu instid0(VALU_DEP_1) | instskip(SKIP_4) | instid1(SALU_CYCLE_1)
	v_cmp_le_i64_e32 vcc_lo, s[16:17], v[6:7]
	v_cmp_ge_i64_e64 s0, s[18:19], v[6:7]
	s_and_b32 s28, vcc_lo, s0
	s_mov_b32 s0, -1
	s_and_b32 s28, s74, s28
	s_and_saveexec_b32 s88, s28
	s_cbranch_execz .LBB125_67
; %bb.51:
	v_cmp_lt_i64_e64 s0, s[20:21], 1
	v_mov_b64_e32 v[6:7], 0
	s_xor_b32 s28, s45, -1
	s_delay_alu instid0(SALU_CYCLE_1) | instskip(NEXT) | instid1(SALU_CYCLE_1)
	s_or_b32 s0, s0, s28
	s_and_b32 vcc_lo, exec_lo, s0
	s_cbranch_vccnz .LBB125_58
; %bb.52:
	global_load_b64 v[6:7], v8, s[14:15]
	s_mov_b32 s57, 0
	s_wait_xcnt 0x0
	v_mov_b32_e32 v8, 0
	s_mov_b32 s51, s57
	s_mov_b64 s[58:59], 0xffffffff
	s_lshl_b64 s[28:29], s[50:51], 3
	s_mov_b32 s51, s22
	s_add_nc_u64 s[60:61], s[24:25], s[28:29]
	s_add_nc_u64 s[62:63], s[26:27], s[28:29]
	s_wait_loadcnt 0x0
	v_mul_u64_e32 v[10:11], s[20:21], v[6:7]
	v_mov_b64_e32 v[6:7], 0
	s_branch .LBB125_54
.LBB125_53:                             ;   in Loop: Header=BB125_54 Depth=1
	s_or_b32 exec_lo, exec_lo, s0
	global_load_b64 v[16:17], v8, s[62:63]
	v_mul_u64_e32 v[18:19], s[64:65], v[12:13]
	s_add_co_i32 s51, s51, -1
	s_add_nc_u64 s[60:61], s[60:61], -8
	s_cmp_lg_u32 s51, 0
	s_wait_xcnt 0x0
	s_add_nc_u64 s[62:63], s[62:63], -8
	s_delay_alu instid0(VALU_DEP_1) | instskip(SKIP_1) | instid1(VALU_DEP_1)
	v_sub_nc_u64_e32 v[10:11], v[10:11], v[18:19]
	s_wait_loadcnt 0x0
	v_mad_nc_u64_u32 v[6:7], v10, v16, v[6:7]
	s_delay_alu instid0(VALU_DEP_1) | instskip(NEXT) | instid1(VALU_DEP_1)
	v_mad_u32 v1, v11, v16, v7
	v_mad_u32 v7, v10, v17, v1
	v_mov_b64_e32 v[10:11], v[12:13]
	s_cbranch_scc0 .LBB125_58
.LBB125_54:                             ; =>This Inner Loop Header: Depth=1
	global_load_b64 v[12:13], v8, s[60:61]
	s_mov_b32 s0, exec_lo
	s_wait_loadcnt 0x0
	v_or_b32_e32 v9, v11, v13
	v_readfirstlane_b32 s64, v12
	v_readfirstlane_b32 s65, v13
                                        ; implicit-def: $vgpr12_vgpr13
	s_wait_xcnt 0x0
	s_delay_alu instid0(VALU_DEP_3)
	v_cmpx_ne_u64_e32 0, v[8:9]
	s_xor_b32 s89, exec_lo, s0
	s_cbranch_execz .LBB125_56
; %bb.55:                               ;   in Loop: Header=BB125_54 Depth=1
	s_ashr_i32 s66, s65, 31
	v_dual_mov_b32 v19, v8 :: v_dual_ashrrev_i32 v12, 31, v11
	s_mov_b32 s67, s66
	v_mov_b32_e32 v23, v8
	s_add_nc_u64 s[28:29], s[64:65], s[66:67]
	s_delay_alu instid0(VALU_DEP_2)
	v_mov_b32_e32 v13, v12
	s_xor_b64 s[68:69], s[28:29], s[66:67]
	v_mov_b32_e32 v27, v8
	s_cvt_f32_u32 s0, s68
	s_cvt_f32_u32 s28, s69
	s_sub_nc_u64 s[30:31], 0, s[68:69]
	v_add_nc_u64_e32 v[16:17], v[10:11], v[12:13]
	s_delay_alu instid0(SALU_CYCLE_1) | instskip(NEXT) | instid1(SALU_CYCLE_3)
	s_fmamk_f32 s0, s28, 0x4f800000, s0
	v_s_rcp_f32 s0, s0
	s_delay_alu instid0(VALU_DEP_1) | instskip(NEXT) | instid1(VALU_DEP_2)
	v_xor_b32_e32 v22, v17, v12
	v_xor_b32_e32 v18, v16, v12
	s_delay_alu instid0(TRANS32_DEP_1) | instskip(NEXT) | instid1(SALU_CYCLE_3)
	s_mul_f32 s0, s0, 0x5f7ffffc
	s_mul_f32 s28, s0, 0x2f800000
	s_delay_alu instid0(SALU_CYCLE_3) | instskip(NEXT) | instid1(SALU_CYCLE_3)
	s_trunc_f32 s28, s28
	s_fmamk_f32 s0, s28, 0xcf800000, s0
	s_cvt_u32_f32 s29, s28
	s_delay_alu instid0(SALU_CYCLE_2) | instskip(NEXT) | instid1(SALU_CYCLE_3)
	s_cvt_u32_f32 s28, s0
	s_mul_u64 s[92:93], s[30:31], s[28:29]
	s_delay_alu instid0(SALU_CYCLE_1)
	s_mul_hi_u32 s95, s28, s93
	s_mul_i32 s94, s28, s93
	s_mul_hi_u32 s56, s28, s92
	s_mul_i32 s67, s29, s92
	s_add_nc_u64 s[94:95], s[56:57], s[94:95]
	s_mul_hi_u32 s0, s29, s92
	s_mul_hi_u32 s91, s29, s93
	s_add_co_u32 s56, s94, s67
	s_add_co_ci_u32 s56, s95, s0
	s_mul_i32 s92, s29, s93
	s_add_co_ci_u32 s93, s91, 0
	s_delay_alu instid0(SALU_CYCLE_1) | instskip(NEXT) | instid1(SALU_CYCLE_1)
	s_add_nc_u64 s[92:93], s[56:57], s[92:93]
	s_add_co_u32 s28, s28, s92
	s_cselect_b32 s0, -1, 0
	s_delay_alu instid0(SALU_CYCLE_1) | instskip(SKIP_1) | instid1(SALU_CYCLE_1)
	s_cmp_lg_u32 s0, 0
	s_add_co_ci_u32 s29, s29, s93
	s_mul_u64 s[30:31], s[30:31], s[28:29]
	s_delay_alu instid0(SALU_CYCLE_1)
	s_mul_hi_u32 s93, s28, s31
	s_mul_i32 s92, s28, s31
	s_mul_hi_u32 s56, s28, s30
	s_mul_i32 s67, s29, s30
	s_add_nc_u64 s[92:93], s[56:57], s[92:93]
	s_mul_hi_u32 s0, s29, s30
	s_mul_hi_u32 s91, s29, s31
	s_mul_i32 s30, s29, s31
	s_add_co_u32 s31, s92, s67
	s_add_co_ci_u32 s56, s93, s0
	s_add_co_ci_u32 s31, s91, 0
	s_delay_alu instid0(SALU_CYCLE_1) | instskip(NEXT) | instid1(SALU_CYCLE_1)
	s_add_nc_u64 s[30:31], s[56:57], s[30:31]
	s_add_co_u32 s0, s28, s30
	s_cselect_b32 s28, -1, 0
	v_mul_hi_u32 v26, v18, s0
	s_cmp_lg_u32 s28, 0
	s_add_co_ci_u32 s56, s29, s31
	s_and_b64 s[28:29], s[0:1], s[58:59]
	v_mul_u64_e32 v[20:21], s[56:57], v[18:19]
	v_mul_u64_e32 v[16:17], s[28:29], v[22:23]
	;; [unrolled: 1-line block ×3, first 2 shown]
	s_delay_alu instid0(VALU_DEP_3) | instskip(NEXT) | instid1(VALU_DEP_1)
	v_add_nc_u64_e32 v[20:21], v[26:27], v[20:21]
	v_add_co_u32 v1, vcc_lo, v20, v16
	s_delay_alu instid0(VALU_DEP_2) | instskip(NEXT) | instid1(VALU_DEP_4)
	v_add_co_ci_u32_e32 v26, vcc_lo, v21, v17, vcc_lo
	v_add_co_ci_u32_e32 v25, vcc_lo, 0, v25, vcc_lo
	s_delay_alu instid0(VALU_DEP_1) | instskip(NEXT) | instid1(VALU_DEP_1)
	v_add_nc_u64_e32 v[16:17], v[26:27], v[24:25]
	v_mul_u64_e32 v[20:21], s[68:69], v[16:17]
	s_delay_alu instid0(VALU_DEP_1) | instskip(NEXT) | instid1(VALU_DEP_2)
	v_sub_nc_u32_e32 v1, v22, v21
	v_sub_co_u32 v9, vcc_lo, v18, v20
	s_delay_alu instid0(VALU_DEP_1) | instskip(NEXT) | instid1(VALU_DEP_3)
	v_sub_co_ci_u32_e64 v15, null, v22, v21, vcc_lo
	v_subrev_co_ci_u32_e64 v1, null, s69, v1, vcc_lo
	s_delay_alu instid0(VALU_DEP_3) | instskip(SKIP_1) | instid1(VALU_DEP_3)
	v_sub_co_u32 v13, s0, v9, s68
	v_add_nc_u64_e32 v[20:21], 1, v[16:17]
	v_subrev_co_ci_u32_e64 v1, null, 0, v1, s0
	s_delay_alu instid0(VALU_DEP_3) | instskip(SKIP_1) | instid1(VALU_DEP_3)
	v_cmp_le_u32_e32 vcc_lo, s68, v13
	v_cndmask_b32_e64 v13, 0, -1, vcc_lo
	v_cmp_le_u32_e32 vcc_lo, s69, v1
	v_cndmask_b32_e64 v18, 0, -1, vcc_lo
	;; [unrolled: 2-line block ×4, first 2 shown]
	v_cmp_eq_u32_e32 vcc_lo, s69, v1
	v_cndmask_b32_e32 v1, v18, v13, vcc_lo
	v_cmp_eq_u32_e32 vcc_lo, s69, v15
	v_add_nc_u64_e32 v[18:19], 2, v[16:17]
	v_cndmask_b32_e32 v9, v22, v9, vcc_lo
	s_delay_alu instid0(VALU_DEP_4) | instskip(NEXT) | instid1(VALU_DEP_3)
	v_cmp_ne_u32_e32 vcc_lo, 0, v1
	v_cndmask_b32_e32 v1, v21, v19, vcc_lo
	s_delay_alu instid0(VALU_DEP_3) | instskip(SKIP_1) | instid1(VALU_DEP_2)
	v_cmp_ne_u32_e64 s0, 0, v9
	v_dual_cndmask_b32 v9, v20, v18, vcc_lo :: v_dual_bitop2_b32 v12, s66, v12 bitop3:0x14
	v_cndmask_b32_e64 v1, v17, v1, s0
	s_delay_alu instid0(VALU_DEP_1) | instskip(NEXT) | instid1(VALU_DEP_1)
	v_dual_cndmask_b32 v9, v16, v9, s0 :: v_dual_bitop2_b32 v17, v1, v12 bitop3:0x14
	v_dual_mov_b32 v13, v12 :: v_dual_bitop2_b32 v16, v9, v12 bitop3:0x14
	s_delay_alu instid0(VALU_DEP_1)
	v_sub_nc_u64_e32 v[12:13], v[16:17], v[12:13]
.LBB125_56:                             ;   in Loop: Header=BB125_54 Depth=1
	s_and_not1_saveexec_b32 s0, s89
	s_cbranch_execz .LBB125_53
; %bb.57:                               ;   in Loop: Header=BB125_54 Depth=1
	v_cvt_f32_u32_e32 v1, s64
	s_sub_co_i32 s28, 0, s64
	s_delay_alu instid0(VALU_DEP_1) | instskip(SKIP_1) | instid1(TRANS32_DEP_1)
	v_rcp_iflag_f32_e32 v1, v1
	v_nop
	v_mul_f32_e32 v1, 0x4f7ffffe, v1
	s_delay_alu instid0(VALU_DEP_1) | instskip(NEXT) | instid1(VALU_DEP_1)
	v_cvt_u32_f32_e32 v1, v1
	v_mul_lo_u32 v9, s28, v1
	s_delay_alu instid0(VALU_DEP_1) | instskip(NEXT) | instid1(VALU_DEP_1)
	v_mul_hi_u32 v9, v1, v9
	v_add_nc_u32_e32 v1, v1, v9
	s_delay_alu instid0(VALU_DEP_1) | instskip(NEXT) | instid1(VALU_DEP_1)
	v_mul_hi_u32 v1, v10, v1
	v_mul_lo_u32 v9, v1, s64
	v_add_nc_u32_e32 v12, 1, v1
	s_delay_alu instid0(VALU_DEP_2) | instskip(NEXT) | instid1(VALU_DEP_1)
	v_sub_nc_u32_e32 v9, v10, v9
	v_subrev_nc_u32_e32 v13, s64, v9
	v_cmp_le_u32_e32 vcc_lo, s64, v9
	s_delay_alu instid0(VALU_DEP_2) | instskip(SKIP_1) | instid1(VALU_DEP_2)
	v_dual_cndmask_b32 v9, v9, v13, vcc_lo :: v_dual_mov_b32 v13, v8
	v_cndmask_b32_e32 v1, v1, v12, vcc_lo
	v_cmp_le_u32_e32 vcc_lo, s64, v9
	s_delay_alu instid0(VALU_DEP_2) | instskip(NEXT) | instid1(VALU_DEP_1)
	v_add_nc_u32_e32 v12, 1, v1
	v_cndmask_b32_e32 v12, v1, v12, vcc_lo
	s_branch .LBB125_53
.LBB125_58:
	s_mov_b32 s57, -1
	s_mov_b32 s51, s79
	s_mov_b32 s0, exec_lo
	v_cmpx_gt_i64_e64 v[2:3], v[4:5]
	s_cbranch_execz .LBB125_64
; %bb.59:
	s_delay_alu instid0(VALU_DEP_2) | instskip(SKIP_2) | instid1(VALU_DEP_1)
	v_lshlrev_b64_e32 v[6:7], 3, v[6:7]
	s_mov_b32 s51, 0
	s_xor_b32 s57, s23, -1
                                        ; implicit-def: $sgpr56
                                        ; implicit-def: $sgpr59
                                        ; implicit-def: $sgpr58
	v_lshl_add_u64 v[4:5], v[4:5], 3, v[6:7]
	v_add_nc_u64_e32 v[6:7], s[48:49], v[6:7]
	s_delay_alu instid0(VALU_DEP_2) | instskip(NEXT) | instid1(VALU_DEP_2)
	v_add_nc_u64_e32 v[4:5], s[48:49], v[4:5]
	v_lshl_add_u64 v[2:3], v[2:3], 3, v[6:7]
	s_delay_alu instid0(VALU_DEP_2)
	v_add_nc_u64_e32 v[4:5], 8, v[4:5]
	s_branch .LBB125_61
.LBB125_60:                             ;   in Loop: Header=BB125_61 Depth=1
	s_or_b32 exec_lo, exec_lo, s60
	s_delay_alu instid0(SALU_CYCLE_1) | instskip(NEXT) | instid1(SALU_CYCLE_1)
	s_and_b32 s28, exec_lo, s59
	s_or_b32 s51, s28, s51
	s_and_not1_b32 s28, s56, exec_lo
	s_and_b32 s29, s58, exec_lo
	s_delay_alu instid0(SALU_CYCLE_1)
	s_or_b32 s56, s28, s29
	s_and_not1_b32 exec_lo, exec_lo, s51
	s_cbranch_execz .LBB125_63
.LBB125_61:                             ; =>This Inner Loop Header: Depth=1
	s_or_b32 s58, s58, exec_lo
	s_or_b32 s59, s59, exec_lo
	s_mov_b32 s60, exec_lo
	s_delay_alu instid0(VALU_DEP_1)
	v_cmpx_lt_u64_e64 v[4:5], v[2:3]
	s_cbranch_execz .LBB125_60
; %bb.62:                               ;   in Loop: Header=BB125_61 Depth=1
	global_load_b128 v[6:9], v[4:5], off offset:-8
	s_wait_xcnt 0x0
	v_add_nc_u64_e32 v[4:5], 8, v[4:5]
	s_and_not1_b32 s29, s59, exec_lo
	s_and_not1_b32 s58, s58, exec_lo
	s_wait_loadcnt 0x0
	v_cmp_ge_i64_e32 vcc_lo, v[6:7], v[8:9]
	s_or_b32 s28, s57, vcc_lo
	s_delay_alu instid0(SALU_CYCLE_1) | instskip(NEXT) | instid1(SALU_CYCLE_1)
	s_and_b32 s28, s28, exec_lo
	s_or_b32 s59, s29, s28
	s_branch .LBB125_60
.LBB125_63:
	s_or_b32 exec_lo, exec_lo, s51
	s_delay_alu instid0(SALU_CYCLE_1)
	s_or_b32 s51, s79, exec_lo
	s_or_not1_b32 s57, s56, exec_lo
.LBB125_64:
	s_or_b32 exec_lo, exec_lo, s0
	s_mov_b32 s56, 0
	s_and_saveexec_b32 s0, s57
	s_cbranch_execz .LBB125_66
; %bb.65:
	v_mov_b64_e32 v[2:3], 0
	v_add_nc_u32_e32 v0, 0x80, v0
	s_mov_b32 s56, exec_lo
	s_and_not1_b32 s51, s51, exec_lo
	global_store_b64 v14, v[2:3], s[4:5]
.LBB125_66:
	s_wait_xcnt 0x0
	s_or_b32 exec_lo, exec_lo, s0
	s_delay_alu instid0(SALU_CYCLE_1)
	s_and_not1_b32 s0, s79, exec_lo
	s_and_b32 s28, s51, exec_lo
	s_and_b32 s56, s56, exec_lo
	s_or_b32 s51, s0, s28
	s_xor_b32 s0, exec_lo, -1
.LBB125_67:
	s_or_b32 exec_lo, exec_lo, s88
	s_delay_alu instid0(SALU_CYCLE_1)
	s_and_not1_b32 s28, s79, exec_lo
	s_and_b32 s29, s51, exec_lo
	s_and_not1_b32 s30, s82, exec_lo
	s_and_b32 s0, s0, exec_lo
	s_or_b32 s57, s28, s29
	s_or_b32 s58, s30, s0
	s_xor_b32 s51, exec_lo, -1
	s_and_b32 s0, s56, exec_lo
.LBB125_68:
	s_or_b32 exec_lo, exec_lo, s87
	s_delay_alu instid0(SALU_CYCLE_1)
	s_and_not1_b32 s28, s79, exec_lo
	s_and_b32 s29, s57, exec_lo
	s_and_not1_b32 s30, s83, exec_lo
	s_or_b32 s57, s28, s29
	s_and_not1_b32 s28, s82, exec_lo
	s_and_b32 s29, s58, exec_lo
	s_and_b32 s31, s51, exec_lo
	s_or_b32 s58, s28, s29
	s_or_b32 s56, s30, s31
	s_xor_b32 s51, exec_lo, -1
	s_and_b32 s0, s0, exec_lo
.LBB125_69:
	s_or_b32 exec_lo, exec_lo, s86
	s_delay_alu instid0(SALU_CYCLE_1)
	s_and_not1_b32 s28, s79, exec_lo
	s_and_b32 s29, s57, exec_lo
	s_and_not1_b32 s30, s82, exec_lo
	s_and_b32 s31, s58, exec_lo
	s_or_b32 s87, s28, s29
	s_or_b32 s88, s30, s31
	s_and_not1_b32 s28, s83, exec_lo
	s_and_b32 s29, s56, exec_lo
	s_and_not1_b32 s30, s84, exec_lo
	s_and_b32 s31, s51, exec_lo
	s_or_b32 s89, s28, s29
	s_or_b32 s86, s30, s31
	s_or_not1_b32 s51, s0, exec_lo
.LBB125_70:
	s_or_b32 exec_lo, exec_lo, s90
	s_mov_b32 s0, 0
                                        ; implicit-def: $vgpr12
                                        ; implicit-def: $vgpr4
                                        ; implicit-def: $vgpr7
                                        ; implicit-def: $vgpr6
                                        ; implicit-def: $vgpr5
	s_and_saveexec_b32 s90, s51
	s_cbranch_execz .LBB125_123
; %bb.71:
	s_mov_b32 s57, -1
	s_mov_b32 s0, s86
	s_mov_b32 s60, s89
	;; [unrolled: 1-line block ×4, first 2 shown]
	s_mov_b32 s91, exec_lo
	v_cmpx_gt_i32_e64 s80, v0
	s_cbranch_execz .LBB125_106
; %bb.72:
	s_and_not1_b32 vcc_lo, exec_lo, s72
	s_cbranch_vccnz .LBB125_78
; %bb.73:
	s_and_not1_b32 vcc_lo, exec_lo, s81
	s_cbranch_vccnz .LBB125_79
; %bb.74:
	v_dual_mov_b32 v6, 0 :: v_dual_mov_b32 v1, v0
	v_dual_mov_b32 v8, 0 :: v_dual_mov_b32 v5, 0
	;; [unrolled: 1-line block ×3, first 2 shown]
	v_mov_b32_e32 v7, 0
	s_add_co_i32 s0, s78, 1
	s_mov_b64 s[28:29], 0xffffffffffffffd0
	s_and_b32 s0, s0, 30
	s_add_nc_u64 s[56:57], s[2:3], s[28:29]
	s_mov_b64 s[58:59], s[2:3]
.LBB125_75:                             ; =>This Inner Loop Header: Depth=1
	s_clause 0x1
	s_load_b128 s[92:95], s[58:59], 0x4
	s_load_b64 s[28:29], s[58:59], 0x14
	s_clause 0x1
	s_load_b256 s[60:67], s[56:57], 0xf4
	s_load_b128 s[96:99], s[56:57], 0x114
	s_add_co_i32 s0, s0, -2
	s_wait_xcnt 0x0
	s_add_nc_u64 s[58:59], s[58:59], 24
	s_cmp_eq_u32 s0, 0
	s_add_nc_u64 s[56:57], s[56:57], 48
	s_wait_kmcnt 0x0
	v_mul_hi_u32 v2, s93, v1
	s_delay_alu instid0(VALU_DEP_1) | instskip(NEXT) | instid1(VALU_DEP_1)
	v_add_nc_u32_e32 v2, v1, v2
	v_lshrrev_b32_e32 v2, s94, v2
	s_delay_alu instid0(VALU_DEP_1) | instskip(SKIP_1) | instid1(VALU_DEP_1)
	v_mul_hi_u32 v3, s28, v2
	v_mul_lo_u32 v9, v2, s92
	v_dual_add_nc_u32 v3, v2, v3 :: v_dual_sub_nc_u32 v9, v1, v9
	s_delay_alu instid0(VALU_DEP_1) | instskip(NEXT) | instid1(VALU_DEP_2)
	v_lshrrev_b32_e32 v1, s29, v3
	v_mad_u32 v3, v9, s61, v7
	v_mad_u32 v10, v9, s60, v14
	;; [unrolled: 1-line block ×4, first 2 shown]
	v_mul_lo_u32 v7, v1, s95
	v_mad_u32 v8, s65, v9, v8
	v_mad_u32 v6, s64, v9, v6
	s_delay_alu instid0(VALU_DEP_3) | instskip(NEXT) | instid1(VALU_DEP_1)
	v_sub_nc_u32_e32 v2, v2, v7
	v_mad_u32 v7, v2, s67, v3
	v_mad_u32 v14, v2, s66, v10
	;; [unrolled: 1-line block ×6, first 2 shown]
	s_cbranch_scc0 .LBB125_75
; %bb.76:
	s_bitcmp1_b32 s78, 0
	s_cselect_b32 s0, -1, 0
	s_delay_alu instid0(SALU_CYCLE_1)
	s_and_b32 vcc_lo, exec_lo, s0
	s_cbranch_vccnz .LBB125_80
; %bb.77:
	s_load_b96 s[28:30], s[58:59], 0x4
	s_wait_kmcnt 0x0
	v_mul_hi_u32 v2, s29, v1
	s_delay_alu instid0(VALU_DEP_1) | instskip(NEXT) | instid1(VALU_DEP_1)
	v_add_nc_u32_e32 v2, v1, v2
	v_lshrrev_b32_e32 v2, s30, v2
	s_clause 0x1
	s_load_b128 s[60:63], s[56:57], 0xf4
	s_load_b64 s[30:31], s[56:57], 0x104
	s_delay_alu instid0(VALU_DEP_1) | instskip(NEXT) | instid1(VALU_DEP_1)
	v_mul_lo_u32 v2, v2, s28
	v_sub_nc_u32_e32 v1, v1, v2
	s_wait_kmcnt 0x0
	s_delay_alu instid0(VALU_DEP_1)
	v_mad_u32 v14, v1, s60, v14
	v_mad_u32 v7, v1, s61, v7
	;; [unrolled: 1-line block ×6, first 2 shown]
	s_branch .LBB125_80
.LBB125_78:
	s_mov_b32 s0, -1
                                        ; implicit-def: $vgpr7
                                        ; implicit-def: $vgpr14
                                        ; implicit-def: $vgpr4
                                        ; implicit-def: $vgpr5
                                        ; implicit-def: $vgpr8
                                        ; implicit-def: $vgpr6
	s_branch .LBB125_81
.LBB125_79:
	v_dual_mov_b32 v7, 0 :: v_dual_mov_b32 v14, 0
	v_dual_mov_b32 v4, 0 :: v_dual_mov_b32 v5, 0
	;; [unrolled: 1-line block ×3, first 2 shown]
.LBB125_80:
	s_mov_b32 s0, 0
.LBB125_81:
	s_delay_alu instid0(SALU_CYCLE_1)
	s_and_not1_b32 vcc_lo, exec_lo, s0
	s_cbranch_vccnz .LBB125_84
; %bb.82:
	v_mov_b32_e32 v1, 0
	s_and_not1_b32 vcc_lo, exec_lo, s77
	s_delay_alu instid0(VALU_DEP_1) | instskip(NEXT) | instid1(VALU_DEP_1)
	v_mul_u64_e32 v[2:3], s[52:53], v[0:1]
	v_add_nc_u32_e32 v2, v0, v3
	s_delay_alu instid0(VALU_DEP_1) | instskip(NEXT) | instid1(VALU_DEP_1)
	v_lshrrev_b32_e32 v2, s46, v2
	v_mul_lo_u32 v3, v2, s44
	s_delay_alu instid0(VALU_DEP_1) | instskip(NEXT) | instid1(VALU_DEP_1)
	v_sub_nc_u32_e32 v3, v0, v3
	v_mul_lo_u32 v7, v3, s37
	v_mul_lo_u32 v14, v3, s36
	;; [unrolled: 1-line block ×6, first 2 shown]
	s_cbranch_vccnz .LBB125_84
; %bb.83:
	v_mov_b32_e32 v3, v1
	s_load_b128 s[28:31], s[2:3], 0xe4
	s_delay_alu instid0(VALU_DEP_1) | instskip(NEXT) | instid1(VALU_DEP_1)
	v_mul_u64_e32 v[10:11], s[54:55], v[2:3]
	v_add_nc_u32_e32 v1, v2, v11
	s_delay_alu instid0(VALU_DEP_1) | instskip(NEXT) | instid1(VALU_DEP_1)
	v_lshrrev_b32_e32 v1, s1, v1
	v_mul_lo_u32 v1, v1, s47
	s_delay_alu instid0(VALU_DEP_1) | instskip(NEXT) | instid1(VALU_DEP_1)
	v_sub_nc_u32_e32 v1, v2, v1
	v_mad_u32 v14, v1, s42, v14
	v_mad_u32 v7, v1, s43, v7
	s_wait_kmcnt 0x0
	v_mad_u32 v5, v1, s28, v5
	v_mad_u32 v4, v1, s29, v4
	;; [unrolled: 1-line block ×4, first 2 shown]
.LBB125_84:
	global_load_b64 v[2:3], v7, s[6:7]
	s_mov_b32 s56, 0
	s_mov_b32 s0, -1
	s_mov_b32 s57, s89
	s_mov_b32 s59, s88
	s_mov_b32 s58, s87
	s_wait_loadcnt 0x0
	v_cmp_eq_u64_e32 vcc_lo, s[16:17], v[2:3]
	s_and_b32 s28, s76, vcc_lo
	s_wait_xcnt 0x0
	s_and_saveexec_b32 s92, s28
	s_cbranch_execz .LBB125_105
; %bb.85:
	global_load_b64 v[2:3], v5, s[8:9]
	s_mov_b32 s51, 0
	s_mov_b32 s56, s88
	;; [unrolled: 1-line block ×3, first 2 shown]
	s_wait_loadcnt 0x0
	v_cmp_eq_u64_e32 vcc_lo, s[20:21], v[2:3]
	s_and_b32 s28, s75, vcc_lo
	s_wait_xcnt 0x0
	s_and_saveexec_b32 s93, s28
	s_cbranch_execz .LBB125_104
; %bb.86:
	global_load_b64 v[4:5], v4, s[10:11]
	global_load_b64 v[2:3], v6, s[12:13]
	s_mov_b32 s57, s87
	s_wait_loadcnt 0x0
	v_sub_nc_u64_e32 v[6:7], v[2:3], v[4:5]
	s_delay_alu instid0(VALU_DEP_1) | instskip(SKIP_4) | instid1(SALU_CYCLE_1)
	v_cmp_le_i64_e32 vcc_lo, s[16:17], v[6:7]
	v_cmp_ge_i64_e64 s0, s[18:19], v[6:7]
	s_and_b32 s28, vcc_lo, s0
	s_mov_b32 s0, -1
	s_and_b32 s28, s74, s28
	s_and_saveexec_b32 s94, s28
	s_cbranch_execz .LBB125_103
; %bb.87:
	v_cmp_lt_i64_e64 s0, s[20:21], 1
	v_mov_b64_e32 v[6:7], 0
	s_xor_b32 s28, s45, -1
	s_delay_alu instid0(SALU_CYCLE_1) | instskip(NEXT) | instid1(SALU_CYCLE_1)
	s_or_b32 s0, s0, s28
	s_and_b32 vcc_lo, exec_lo, s0
	s_cbranch_vccnz .LBB125_94
; %bb.88:
	global_load_b64 v[6:7], v8, s[14:15]
	s_mov_b32 s57, 0
	s_wait_xcnt 0x0
	v_mov_b32_e32 v8, 0
	s_mov_b32 s51, s57
	s_mov_b64 s[58:59], 0xffffffff
	s_lshl_b64 s[28:29], s[50:51], 3
	s_mov_b32 s51, s22
	s_add_nc_u64 s[60:61], s[24:25], s[28:29]
	s_add_nc_u64 s[62:63], s[26:27], s[28:29]
	s_wait_loadcnt 0x0
	v_mul_u64_e32 v[10:11], s[20:21], v[6:7]
	v_mov_b64_e32 v[6:7], 0
	s_branch .LBB125_90
.LBB125_89:                             ;   in Loop: Header=BB125_90 Depth=1
	s_or_b32 exec_lo, exec_lo, s0
	global_load_b64 v[16:17], v8, s[62:63]
	v_mul_u64_e32 v[18:19], s[64:65], v[12:13]
	s_add_co_i32 s51, s51, -1
	s_add_nc_u64 s[60:61], s[60:61], -8
	s_cmp_lg_u32 s51, 0
	s_wait_xcnt 0x0
	s_add_nc_u64 s[62:63], s[62:63], -8
	s_delay_alu instid0(VALU_DEP_1) | instskip(SKIP_1) | instid1(VALU_DEP_1)
	v_sub_nc_u64_e32 v[10:11], v[10:11], v[18:19]
	s_wait_loadcnt 0x0
	v_mad_nc_u64_u32 v[6:7], v10, v16, v[6:7]
	s_delay_alu instid0(VALU_DEP_1) | instskip(NEXT) | instid1(VALU_DEP_1)
	v_mad_u32 v1, v11, v16, v7
	v_mad_u32 v7, v10, v17, v1
	v_mov_b64_e32 v[10:11], v[12:13]
	s_cbranch_scc0 .LBB125_94
.LBB125_90:                             ; =>This Inner Loop Header: Depth=1
	global_load_b64 v[12:13], v8, s[60:61]
	s_mov_b32 s0, exec_lo
	s_wait_loadcnt 0x0
	v_or_b32_e32 v9, v11, v13
	v_readfirstlane_b32 s64, v12
	v_readfirstlane_b32 s65, v13
                                        ; implicit-def: $vgpr12_vgpr13
	s_wait_xcnt 0x0
	s_delay_alu instid0(VALU_DEP_3)
	v_cmpx_ne_u64_e32 0, v[8:9]
	s_xor_b32 s95, exec_lo, s0
	s_cbranch_execz .LBB125_92
; %bb.91:                               ;   in Loop: Header=BB125_90 Depth=1
	s_ashr_i32 s66, s65, 31
	v_dual_mov_b32 v19, v8 :: v_dual_ashrrev_i32 v12, 31, v11
	s_mov_b32 s67, s66
	v_mov_b32_e32 v23, v8
	s_add_nc_u64 s[28:29], s[64:65], s[66:67]
	s_delay_alu instid0(VALU_DEP_2)
	v_mov_b32_e32 v13, v12
	s_xor_b64 s[68:69], s[28:29], s[66:67]
	v_mov_b32_e32 v27, v8
	s_cvt_f32_u32 s0, s68
	s_cvt_f32_u32 s28, s69
	s_sub_nc_u64 s[30:31], 0, s[68:69]
	v_add_nc_u64_e32 v[16:17], v[10:11], v[12:13]
	s_delay_alu instid0(SALU_CYCLE_1) | instskip(NEXT) | instid1(SALU_CYCLE_3)
	s_fmamk_f32 s0, s28, 0x4f800000, s0
	v_s_rcp_f32 s0, s0
	s_delay_alu instid0(VALU_DEP_1) | instskip(NEXT) | instid1(VALU_DEP_2)
	v_xor_b32_e32 v22, v17, v12
	v_xor_b32_e32 v18, v16, v12
	s_delay_alu instid0(TRANS32_DEP_1) | instskip(NEXT) | instid1(SALU_CYCLE_3)
	s_mul_f32 s0, s0, 0x5f7ffffc
	s_mul_f32 s28, s0, 0x2f800000
	s_delay_alu instid0(SALU_CYCLE_3) | instskip(NEXT) | instid1(SALU_CYCLE_3)
	s_trunc_f32 s28, s28
	s_fmamk_f32 s0, s28, 0xcf800000, s0
	s_cvt_u32_f32 s29, s28
	s_delay_alu instid0(SALU_CYCLE_2) | instskip(NEXT) | instid1(SALU_CYCLE_3)
	s_cvt_u32_f32 s28, s0
	s_mul_u64 s[96:97], s[30:31], s[28:29]
	s_delay_alu instid0(SALU_CYCLE_1)
	s_mul_hi_u32 s99, s28, s97
	s_mul_i32 s98, s28, s97
	s_mul_hi_u32 s56, s28, s96
	s_mul_i32 s67, s29, s96
	s_add_nc_u64 s[98:99], s[56:57], s[98:99]
	s_mul_hi_u32 s0, s29, s96
	s_mul_hi_u32 s100, s29, s97
	s_add_co_u32 s56, s98, s67
	s_add_co_ci_u32 s56, s99, s0
	s_mul_i32 s96, s29, s97
	s_add_co_ci_u32 s97, s100, 0
	s_delay_alu instid0(SALU_CYCLE_1) | instskip(NEXT) | instid1(SALU_CYCLE_1)
	s_add_nc_u64 s[96:97], s[56:57], s[96:97]
	s_add_co_u32 s28, s28, s96
	s_cselect_b32 s0, -1, 0
	s_delay_alu instid0(SALU_CYCLE_1) | instskip(SKIP_1) | instid1(SALU_CYCLE_1)
	s_cmp_lg_u32 s0, 0
	s_add_co_ci_u32 s29, s29, s97
	s_mul_u64 s[30:31], s[30:31], s[28:29]
	s_delay_alu instid0(SALU_CYCLE_1)
	s_mul_hi_u32 s97, s28, s31
	s_mul_i32 s96, s28, s31
	s_mul_hi_u32 s56, s28, s30
	s_mul_i32 s67, s29, s30
	s_add_nc_u64 s[96:97], s[56:57], s[96:97]
	s_mul_hi_u32 s0, s29, s30
	s_mul_hi_u32 s98, s29, s31
	s_mul_i32 s30, s29, s31
	s_add_co_u32 s31, s96, s67
	s_add_co_ci_u32 s56, s97, s0
	s_add_co_ci_u32 s31, s98, 0
	s_delay_alu instid0(SALU_CYCLE_1) | instskip(NEXT) | instid1(SALU_CYCLE_1)
	s_add_nc_u64 s[30:31], s[56:57], s[30:31]
	s_add_co_u32 s0, s28, s30
	s_cselect_b32 s28, -1, 0
	v_mul_hi_u32 v26, v18, s0
	s_cmp_lg_u32 s28, 0
	s_add_co_ci_u32 s56, s29, s31
	s_and_b64 s[28:29], s[0:1], s[58:59]
	v_mul_u64_e32 v[20:21], s[56:57], v[18:19]
	v_mul_u64_e32 v[16:17], s[28:29], v[22:23]
	;; [unrolled: 1-line block ×3, first 2 shown]
	s_delay_alu instid0(VALU_DEP_3) | instskip(NEXT) | instid1(VALU_DEP_1)
	v_add_nc_u64_e32 v[20:21], v[26:27], v[20:21]
	v_add_co_u32 v1, vcc_lo, v20, v16
	s_delay_alu instid0(VALU_DEP_2) | instskip(NEXT) | instid1(VALU_DEP_4)
	v_add_co_ci_u32_e32 v26, vcc_lo, v21, v17, vcc_lo
	v_add_co_ci_u32_e32 v25, vcc_lo, 0, v25, vcc_lo
	s_delay_alu instid0(VALU_DEP_1) | instskip(NEXT) | instid1(VALU_DEP_1)
	v_add_nc_u64_e32 v[16:17], v[26:27], v[24:25]
	v_mul_u64_e32 v[20:21], s[68:69], v[16:17]
	s_delay_alu instid0(VALU_DEP_1) | instskip(NEXT) | instid1(VALU_DEP_2)
	v_sub_nc_u32_e32 v1, v22, v21
	v_sub_co_u32 v9, vcc_lo, v18, v20
	s_delay_alu instid0(VALU_DEP_1) | instskip(NEXT) | instid1(VALU_DEP_3)
	v_sub_co_ci_u32_e64 v15, null, v22, v21, vcc_lo
	v_subrev_co_ci_u32_e64 v1, null, s69, v1, vcc_lo
	s_delay_alu instid0(VALU_DEP_3) | instskip(SKIP_1) | instid1(VALU_DEP_3)
	v_sub_co_u32 v13, s0, v9, s68
	v_add_nc_u64_e32 v[20:21], 1, v[16:17]
	v_subrev_co_ci_u32_e64 v1, null, 0, v1, s0
	s_delay_alu instid0(VALU_DEP_3) | instskip(SKIP_1) | instid1(VALU_DEP_3)
	v_cmp_le_u32_e32 vcc_lo, s68, v13
	v_cndmask_b32_e64 v13, 0, -1, vcc_lo
	v_cmp_le_u32_e32 vcc_lo, s69, v1
	v_cndmask_b32_e64 v18, 0, -1, vcc_lo
	v_cmp_le_u32_e32 vcc_lo, s68, v9
	v_cndmask_b32_e64 v9, 0, -1, vcc_lo
	v_cmp_le_u32_e32 vcc_lo, s69, v15
	v_cndmask_b32_e64 v22, 0, -1, vcc_lo
	v_cmp_eq_u32_e32 vcc_lo, s69, v1
	v_cndmask_b32_e32 v1, v18, v13, vcc_lo
	v_cmp_eq_u32_e32 vcc_lo, s69, v15
	v_add_nc_u64_e32 v[18:19], 2, v[16:17]
	v_cndmask_b32_e32 v9, v22, v9, vcc_lo
	s_delay_alu instid0(VALU_DEP_4) | instskip(NEXT) | instid1(VALU_DEP_3)
	v_cmp_ne_u32_e32 vcc_lo, 0, v1
	v_cndmask_b32_e32 v1, v21, v19, vcc_lo
	s_delay_alu instid0(VALU_DEP_3) | instskip(SKIP_1) | instid1(VALU_DEP_2)
	v_cmp_ne_u32_e64 s0, 0, v9
	v_dual_cndmask_b32 v9, v20, v18, vcc_lo :: v_dual_bitop2_b32 v12, s66, v12 bitop3:0x14
	v_cndmask_b32_e64 v1, v17, v1, s0
	s_delay_alu instid0(VALU_DEP_1) | instskip(NEXT) | instid1(VALU_DEP_1)
	v_dual_cndmask_b32 v9, v16, v9, s0 :: v_dual_bitop2_b32 v17, v1, v12 bitop3:0x14
	v_dual_mov_b32 v13, v12 :: v_dual_bitop2_b32 v16, v9, v12 bitop3:0x14
	s_delay_alu instid0(VALU_DEP_1)
	v_sub_nc_u64_e32 v[12:13], v[16:17], v[12:13]
.LBB125_92:                             ;   in Loop: Header=BB125_90 Depth=1
	s_and_not1_saveexec_b32 s0, s95
	s_cbranch_execz .LBB125_89
; %bb.93:                               ;   in Loop: Header=BB125_90 Depth=1
	v_cvt_f32_u32_e32 v1, s64
	s_sub_co_i32 s28, 0, s64
	s_delay_alu instid0(VALU_DEP_1) | instskip(SKIP_1) | instid1(TRANS32_DEP_1)
	v_rcp_iflag_f32_e32 v1, v1
	v_nop
	v_mul_f32_e32 v1, 0x4f7ffffe, v1
	s_delay_alu instid0(VALU_DEP_1) | instskip(NEXT) | instid1(VALU_DEP_1)
	v_cvt_u32_f32_e32 v1, v1
	v_mul_lo_u32 v9, s28, v1
	s_delay_alu instid0(VALU_DEP_1) | instskip(NEXT) | instid1(VALU_DEP_1)
	v_mul_hi_u32 v9, v1, v9
	v_add_nc_u32_e32 v1, v1, v9
	s_delay_alu instid0(VALU_DEP_1) | instskip(NEXT) | instid1(VALU_DEP_1)
	v_mul_hi_u32 v1, v10, v1
	v_mul_lo_u32 v9, v1, s64
	v_add_nc_u32_e32 v12, 1, v1
	s_delay_alu instid0(VALU_DEP_2) | instskip(NEXT) | instid1(VALU_DEP_1)
	v_sub_nc_u32_e32 v9, v10, v9
	v_subrev_nc_u32_e32 v13, s64, v9
	v_cmp_le_u32_e32 vcc_lo, s64, v9
	s_delay_alu instid0(VALU_DEP_2) | instskip(SKIP_1) | instid1(VALU_DEP_2)
	v_dual_cndmask_b32 v9, v9, v13, vcc_lo :: v_dual_mov_b32 v13, v8
	v_cndmask_b32_e32 v1, v1, v12, vcc_lo
	v_cmp_le_u32_e32 vcc_lo, s64, v9
	s_delay_alu instid0(VALU_DEP_2) | instskip(NEXT) | instid1(VALU_DEP_1)
	v_add_nc_u32_e32 v12, 1, v1
	v_cndmask_b32_e32 v12, v1, v12, vcc_lo
	s_branch .LBB125_89
.LBB125_94:
	s_mov_b32 s57, -1
	s_mov_b32 s51, s87
	s_mov_b32 s0, exec_lo
	v_cmpx_gt_i64_e64 v[2:3], v[4:5]
	s_cbranch_execz .LBB125_100
; %bb.95:
	s_delay_alu instid0(VALU_DEP_2) | instskip(SKIP_2) | instid1(VALU_DEP_1)
	v_lshlrev_b64_e32 v[6:7], 3, v[6:7]
	s_mov_b32 s51, 0
	s_xor_b32 s57, s23, -1
                                        ; implicit-def: $sgpr56
                                        ; implicit-def: $sgpr59
                                        ; implicit-def: $sgpr58
	v_lshl_add_u64 v[4:5], v[4:5], 3, v[6:7]
	v_add_nc_u64_e32 v[6:7], s[48:49], v[6:7]
	s_delay_alu instid0(VALU_DEP_2) | instskip(NEXT) | instid1(VALU_DEP_2)
	v_add_nc_u64_e32 v[4:5], s[48:49], v[4:5]
	v_lshl_add_u64 v[2:3], v[2:3], 3, v[6:7]
	s_delay_alu instid0(VALU_DEP_2)
	v_add_nc_u64_e32 v[4:5], 8, v[4:5]
	s_branch .LBB125_97
.LBB125_96:                             ;   in Loop: Header=BB125_97 Depth=1
	s_or_b32 exec_lo, exec_lo, s60
	s_delay_alu instid0(SALU_CYCLE_1) | instskip(NEXT) | instid1(SALU_CYCLE_1)
	s_and_b32 s28, exec_lo, s59
	s_or_b32 s51, s28, s51
	s_and_not1_b32 s28, s56, exec_lo
	s_and_b32 s29, s58, exec_lo
	s_delay_alu instid0(SALU_CYCLE_1)
	s_or_b32 s56, s28, s29
	s_and_not1_b32 exec_lo, exec_lo, s51
	s_cbranch_execz .LBB125_99
.LBB125_97:                             ; =>This Inner Loop Header: Depth=1
	s_or_b32 s58, s58, exec_lo
	s_or_b32 s59, s59, exec_lo
	s_mov_b32 s60, exec_lo
	s_delay_alu instid0(VALU_DEP_1)
	v_cmpx_lt_u64_e64 v[4:5], v[2:3]
	s_cbranch_execz .LBB125_96
; %bb.98:                               ;   in Loop: Header=BB125_97 Depth=1
	global_load_b128 v[6:9], v[4:5], off offset:-8
	s_wait_xcnt 0x0
	v_add_nc_u64_e32 v[4:5], 8, v[4:5]
	s_and_not1_b32 s29, s59, exec_lo
	s_and_not1_b32 s58, s58, exec_lo
	s_wait_loadcnt 0x0
	v_cmp_ge_i64_e32 vcc_lo, v[6:7], v[8:9]
	s_or_b32 s28, s57, vcc_lo
	s_delay_alu instid0(SALU_CYCLE_1) | instskip(NEXT) | instid1(SALU_CYCLE_1)
	s_and_b32 s28, s28, exec_lo
	s_or_b32 s59, s29, s28
	s_branch .LBB125_96
.LBB125_99:
	s_or_b32 exec_lo, exec_lo, s51
	s_delay_alu instid0(SALU_CYCLE_1)
	s_or_b32 s51, s87, exec_lo
	s_or_not1_b32 s57, s56, exec_lo
.LBB125_100:
	s_or_b32 exec_lo, exec_lo, s0
	s_mov_b32 s56, 0
	s_and_saveexec_b32 s0, s57
	s_cbranch_execz .LBB125_102
; %bb.101:
	v_mov_b64_e32 v[2:3], 0
	v_add_nc_u32_e32 v0, 0x80, v0
	s_mov_b32 s56, exec_lo
	s_and_not1_b32 s51, s51, exec_lo
	global_store_b64 v14, v[2:3], s[4:5]
.LBB125_102:
	s_wait_xcnt 0x0
	s_or_b32 exec_lo, exec_lo, s0
	s_delay_alu instid0(SALU_CYCLE_1)
	s_and_not1_b32 s0, s87, exec_lo
	s_and_b32 s28, s51, exec_lo
	s_and_b32 s51, s56, exec_lo
	s_or_b32 s57, s0, s28
	s_xor_b32 s0, exec_lo, -1
.LBB125_103:
	s_or_b32 exec_lo, exec_lo, s94
	s_delay_alu instid0(SALU_CYCLE_1)
	s_and_not1_b32 s28, s87, exec_lo
	s_and_b32 s29, s57, exec_lo
	s_and_not1_b32 s30, s88, exec_lo
	s_and_b32 s0, s0, exec_lo
	s_or_b32 s57, s28, s29
	s_or_b32 s56, s30, s0
	s_xor_b32 s0, exec_lo, -1
	s_and_b32 s51, s51, exec_lo
.LBB125_104:
	s_or_b32 exec_lo, exec_lo, s93
	s_delay_alu instid0(SALU_CYCLE_1)
	s_and_not1_b32 s28, s87, exec_lo
	s_and_b32 s29, s57, exec_lo
	s_and_not1_b32 s30, s89, exec_lo
	s_or_b32 s58, s28, s29
	s_and_not1_b32 s28, s88, exec_lo
	s_and_b32 s29, s56, exec_lo
	s_and_b32 s0, s0, exec_lo
	s_or_b32 s59, s28, s29
	s_or_b32 s57, s30, s0
	s_xor_b32 s0, exec_lo, -1
	s_and_b32 s56, s51, exec_lo
.LBB125_105:
	s_or_b32 exec_lo, exec_lo, s92
	s_delay_alu instid0(SALU_CYCLE_1)
	s_and_not1_b32 s28, s87, exec_lo
	s_and_b32 s29, s58, exec_lo
	s_and_not1_b32 s30, s88, exec_lo
	s_and_b32 s31, s59, exec_lo
	s_or_b32 s61, s28, s29
	s_or_b32 s51, s30, s31
	s_and_not1_b32 s28, s89, exec_lo
	s_and_b32 s29, s57, exec_lo
	s_and_not1_b32 s30, s86, exec_lo
	s_and_b32 s0, s0, exec_lo
	s_or_b32 s60, s28, s29
	s_or_b32 s0, s30, s0
	s_or_not1_b32 s57, s56, exec_lo
.LBB125_106:
	s_or_b32 exec_lo, exec_lo, s91
	s_mov_b32 s56, 0
                                        ; implicit-def: $vgpr12
                                        ; implicit-def: $vgpr4
                                        ; implicit-def: $vgpr7
                                        ; implicit-def: $vgpr6
                                        ; implicit-def: $vgpr5
	s_and_saveexec_b32 s62, s57
	s_cbranch_execz .LBB125_122
; %bb.107:
	s_mov_b32 s57, s0
	s_mov_b32 s63, exec_lo
                                        ; implicit-def: $vgpr12
                                        ; implicit-def: $vgpr4
                                        ; implicit-def: $vgpr7
                                        ; implicit-def: $vgpr6
                                        ; implicit-def: $vgpr5
	v_cmpx_gt_i32_e64 s80, v0
	s_cbranch_execz .LBB125_121
; %bb.108:
	s_and_not1_b32 vcc_lo, exec_lo, s72
	s_cbranch_vccnz .LBB125_114
; %bb.109:
	s_and_not1_b32 vcc_lo, exec_lo, s81
	s_cbranch_vccnz .LBB125_115
; %bb.110:
	v_dual_mov_b32 v5, 0 :: v_dual_mov_b32 v1, v0
	v_dual_mov_b32 v6, 0 :: v_dual_mov_b32 v7, 0
	;; [unrolled: 1-line block ×3, first 2 shown]
	v_mov_b32_e32 v8, 0
	s_add_co_i32 s30, s78, 1
	s_mov_b64 s[28:29], 0xffffffffffffffd0
	s_and_b32 s64, s30, 30
	s_add_nc_u64 s[56:57], s[2:3], s[28:29]
	s_mov_b64 s[58:59], s[2:3]
.LBB125_111:                            ; =>This Inner Loop Header: Depth=1
	s_clause 0x1
	s_load_b128 s[100:103], s[58:59], 0x4
	s_load_b64 s[66:67], s[58:59], 0x14
	s_clause 0x1
	s_load_b256 s[92:99], s[56:57], 0xf4
	s_load_b128 s[28:31], s[56:57], 0x114
	s_add_co_i32 s64, s64, -2
	s_wait_xcnt 0x0
	s_add_nc_u64 s[58:59], s[58:59], 24
	s_cmp_eq_u32 s64, 0
	s_add_nc_u64 s[56:57], s[56:57], 48
	s_wait_kmcnt 0x0
	v_mul_hi_u32 v2, s101, v1
	s_delay_alu instid0(VALU_DEP_1) | instskip(NEXT) | instid1(VALU_DEP_1)
	v_add_nc_u32_e32 v2, v1, v2
	v_lshrrev_b32_e32 v2, s102, v2
	s_delay_alu instid0(VALU_DEP_1) | instskip(SKIP_1) | instid1(VALU_DEP_1)
	v_mul_hi_u32 v3, s66, v2
	v_mul_lo_u32 v9, v2, s100
	v_dual_add_nc_u32 v3, v2, v3 :: v_dual_sub_nc_u32 v9, v1, v9
	s_delay_alu instid0(VALU_DEP_1) | instskip(NEXT) | instid1(VALU_DEP_2)
	v_lshrrev_b32_e32 v1, s67, v3
	v_mad_u32 v3, v9, s93, v8
	v_mad_u32 v10, v9, s92, v12
	v_mad_u32 v4, v9, s95, v4
	v_mad_u32 v7, v9, s94, v7
	v_mul_lo_u32 v8, v1, s103
	v_mad_u32 v6, s97, v9, v6
	v_mad_u32 v5, s96, v9, v5
	s_delay_alu instid0(VALU_DEP_3) | instskip(NEXT) | instid1(VALU_DEP_1)
	v_sub_nc_u32_e32 v2, v2, v8
	v_mad_u32 v8, v2, s99, v3
	v_mad_u32 v12, v2, s98, v10
	;; [unrolled: 1-line block ×6, first 2 shown]
	s_cbranch_scc0 .LBB125_111
; %bb.112:
	s_bitcmp1_b32 s78, 0
	s_cselect_b32 s28, -1, 0
	s_delay_alu instid0(SALU_CYCLE_1)
	s_and_b32 vcc_lo, exec_lo, s28
	s_cbranch_vccnz .LBB125_116
; %bb.113:
	s_load_b96 s[64:66], s[58:59], 0x4
	s_load_b128 s[28:31], s[56:57], 0xf4
	s_wait_xcnt 0x0
	s_load_b64 s[58:59], s[56:57], 0x104
	s_wait_kmcnt 0x0
	v_mul_hi_u32 v2, s65, v1
	s_delay_alu instid0(VALU_DEP_1) | instskip(NEXT) | instid1(VALU_DEP_1)
	v_add_nc_u32_e32 v2, v1, v2
	v_lshrrev_b32_e32 v2, s66, v2
	s_delay_alu instid0(VALU_DEP_1) | instskip(NEXT) | instid1(VALU_DEP_1)
	v_mul_lo_u32 v2, v2, s64
	v_sub_nc_u32_e32 v1, v1, v2
	s_delay_alu instid0(VALU_DEP_1)
	v_mad_u32 v12, v1, s28, v12
	v_mad_u32 v8, v1, s29, v8
	;; [unrolled: 1-line block ×6, first 2 shown]
	s_branch .LBB125_116
.LBB125_114:
	s_mov_b32 s56, -1
                                        ; implicit-def: $vgpr8
                                        ; implicit-def: $vgpr12
                                        ; implicit-def: $vgpr4
                                        ; implicit-def: $vgpr7
                                        ; implicit-def: $vgpr6
                                        ; implicit-def: $vgpr5
	s_branch .LBB125_117
.LBB125_115:
	v_dual_mov_b32 v8, 0 :: v_dual_mov_b32 v12, 0
	v_dual_mov_b32 v4, 0 :: v_dual_mov_b32 v7, 0
	;; [unrolled: 1-line block ×3, first 2 shown]
.LBB125_116:
	s_mov_b32 s56, 0
.LBB125_117:
	s_delay_alu instid0(SALU_CYCLE_1)
	s_and_not1_b32 vcc_lo, exec_lo, s56
	s_cbranch_vccnz .LBB125_120
; %bb.118:
	v_mov_b32_e32 v1, 0
	s_and_not1_b32 vcc_lo, exec_lo, s77
	s_delay_alu instid0(VALU_DEP_1) | instskip(NEXT) | instid1(VALU_DEP_1)
	v_mul_u64_e32 v[2:3], s[52:53], v[0:1]
	v_add_nc_u32_e32 v2, v0, v3
	s_delay_alu instid0(VALU_DEP_1) | instskip(NEXT) | instid1(VALU_DEP_1)
	v_lshrrev_b32_e32 v2, s46, v2
	v_mul_lo_u32 v3, v2, s44
	s_delay_alu instid0(VALU_DEP_1) | instskip(NEXT) | instid1(VALU_DEP_1)
	v_sub_nc_u32_e32 v0, v0, v3
	v_mul_lo_u32 v8, v0, s37
	v_mul_lo_u32 v12, v0, s36
	;; [unrolled: 1-line block ×6, first 2 shown]
	s_cbranch_vccnz .LBB125_120
; %bb.119:
	v_mov_b32_e32 v3, v1
	s_load_b128 s[28:31], s[2:3], 0xe4
	s_delay_alu instid0(VALU_DEP_1) | instskip(NEXT) | instid1(VALU_DEP_1)
	v_mul_u64_e32 v[0:1], s[54:55], v[2:3]
	v_add_nc_u32_e32 v0, v2, v1
	s_delay_alu instid0(VALU_DEP_1) | instskip(NEXT) | instid1(VALU_DEP_1)
	v_lshrrev_b32_e32 v0, s1, v0
	v_mul_lo_u32 v0, v0, s47
	s_delay_alu instid0(VALU_DEP_1) | instskip(NEXT) | instid1(VALU_DEP_1)
	v_sub_nc_u32_e32 v0, v2, v0
	v_mad_u32 v12, v0, s42, v12
	v_mad_u32 v8, v0, s43, v8
	s_wait_kmcnt 0x0
	v_mad_u32 v7, v0, s28, v7
	v_mad_u32 v4, v0, s29, v4
	;; [unrolled: 1-line block ×4, first 2 shown]
.LBB125_120:
	global_load_b64 v[0:1], v8, s[6:7]
	s_xor_b32 s1, s76, -1
	s_wait_xcnt 0x0
	s_and_not1_b32 s6, s0, exec_lo
	s_mov_b32 s56, exec_lo
	s_wait_loadcnt 0x0
	v_cmp_ne_u64_e32 vcc_lo, s[16:17], v[0:1]
	s_or_b32 s1, s1, vcc_lo
	s_delay_alu instid0(SALU_CYCLE_1) | instskip(NEXT) | instid1(SALU_CYCLE_1)
	s_and_b32 s1, s1, exec_lo
	s_or_b32 s57, s6, s1
.LBB125_121:
	s_or_b32 exec_lo, exec_lo, s63
	s_delay_alu instid0(SALU_CYCLE_1)
	s_and_not1_b32 s0, s0, exec_lo
	s_and_b32 s1, s57, exec_lo
	s_and_b32 s56, s56, exec_lo
	s_or_b32 s0, s0, s1
.LBB125_122:
	s_or_b32 exec_lo, exec_lo, s62
	s_delay_alu instid0(SALU_CYCLE_1)
	s_and_not1_b32 s1, s87, exec_lo
	s_and_b32 s6, s61, exec_lo
	s_and_not1_b32 s7, s89, exec_lo
	s_or_b32 s87, s1, s6
	s_and_not1_b32 s1, s88, exec_lo
	s_and_b32 s6, s51, exec_lo
	s_and_b32 s28, s60, exec_lo
	s_or_b32 s88, s1, s6
	s_and_not1_b32 s1, s86, exec_lo
	s_and_b32 s6, s0, exec_lo
	s_or_b32 s89, s7, s28
	s_and_b32 s0, s56, exec_lo
	s_or_b32 s86, s1, s6
.LBB125_123:
	s_or_b32 exec_lo, exec_lo, s90
	s_delay_alu instid0(SALU_CYCLE_1)
	s_and_not1_b32 s1, s79, exec_lo
	s_and_b32 s6, s87, exec_lo
	s_and_not1_b32 s7, s83, exec_lo
	s_or_b32 s79, s1, s6
	s_and_not1_b32 s1, s82, exec_lo
	s_and_b32 s6, s88, exec_lo
	s_and_b32 s28, s89, exec_lo
	s_or_b32 s82, s1, s6
	s_and_not1_b32 s1, s84, exec_lo
	s_and_b32 s6, s86, exec_lo
	s_or_b32 s83, s7, s28
	s_and_b32 s53, s0, exec_lo
	s_or_b32 s84, s1, s6
.LBB125_124:
	s_or_b32 exec_lo, exec_lo, s85
	s_mov_b32 s0, 0
	s_mov_b32 s1, 0
	s_and_saveexec_b32 s6, s84
	s_cbranch_execnz .LBB125_128
; %bb.125:
	s_or_b32 exec_lo, exec_lo, s6
	s_and_saveexec_b32 s6, s53
	s_delay_alu instid0(SALU_CYCLE_1)
	s_xor_b32 s6, exec_lo, s6
	s_cbranch_execz .LBB125_129
.LBB125_126:
	global_load_b64 v[0:1], v7, s[8:9]
	s_xor_b32 s7, s75, -1
	s_wait_xcnt 0x0
	s_and_not1_b32 s8, s83, exec_lo
	s_mov_b32 s0, exec_lo
	s_wait_loadcnt 0x0
	v_cmp_ne_u64_e32 vcc_lo, s[20:21], v[0:1]
	s_or_b32 s7, s7, vcc_lo
	s_delay_alu instid0(SALU_CYCLE_1) | instskip(NEXT) | instid1(SALU_CYCLE_1)
	s_and_b32 s7, s7, exec_lo
	s_or_b32 s83, s8, s7
	s_or_b32 exec_lo, exec_lo, s6
	s_and_saveexec_b32 s6, s83
	s_cbranch_execz .LBB125_130
.LBB125_127:
	s_or_b32 s1, s1, exec_lo
	s_and_not1_b32 s0, s0, exec_lo
	s_trap 2
	s_branch .LBB125_130
.LBB125_128:
	s_mov_b32 s1, exec_lo
	s_and_not1_b32 s53, s53, exec_lo
	s_trap 2
	s_or_b32 exec_lo, exec_lo, s6
	s_and_saveexec_b32 s6, s53
	s_delay_alu instid0(SALU_CYCLE_1)
	s_xor_b32 s6, exec_lo, s6
	s_cbranch_execnz .LBB125_126
.LBB125_129:
	s_or_b32 exec_lo, exec_lo, s6
	s_and_saveexec_b32 s6, s83
	s_cbranch_execnz .LBB125_127
.LBB125_130:
	s_or_b32 exec_lo, exec_lo, s6
	s_mov_b32 s6, 0
                                        ; implicit-def: $vgpr0_vgpr1
                                        ; implicit-def: $vgpr2_vgpr3
	s_and_saveexec_b32 s7, s0
	s_delay_alu instid0(SALU_CYCLE_1)
	s_xor_b32 s7, exec_lo, s7
	s_cbranch_execz .LBB125_147
; %bb.131:
	global_load_b64 v[2:3], v4, s[10:11]
	global_load_b64 v[0:1], v5, s[12:13]
	s_and_not1_b32 s8, s82, exec_lo
	s_mov_b32 s6, exec_lo
	s_wait_loadcnt 0x0
	v_sub_nc_u64_e32 v[4:5], v[0:1], v[2:3]
	s_delay_alu instid0(VALU_DEP_1) | instskip(SKIP_2) | instid1(SALU_CYCLE_1)
	v_cmp_le_i64_e32 vcc_lo, s[16:17], v[4:5]
	v_cmp_ge_i64_e64 s0, s[18:19], v[4:5]
	s_and_b32 s0, vcc_lo, s0
	s_and_b32 s0, s74, s0
	s_delay_alu instid0(SALU_CYCLE_1) | instskip(NEXT) | instid1(SALU_CYCLE_1)
	s_xor_b32 s0, s0, -1
	s_and_b32 s0, s0, exec_lo
	s_delay_alu instid0(SALU_CYCLE_1)
	s_or_b32 s82, s8, s0
	s_or_b32 exec_lo, exec_lo, s7
	s_and_saveexec_b32 s0, s82
	s_cbranch_execz .LBB125_148
.LBB125_132:
	s_or_b32 s1, s1, exec_lo
	s_and_not1_b32 s6, s6, exec_lo
	s_trap 2
	s_or_b32 exec_lo, exec_lo, s0
	s_mov_b32 s0, 0
	s_and_saveexec_b32 s18, s6
	s_cbranch_execnz .LBB125_149
.LBB125_133:
	s_or_b32 exec_lo, exec_lo, s18
	s_and_saveexec_b32 s6, s79
	s_cbranch_execnz .LBB125_167
.LBB125_134:
	s_or_b32 exec_lo, exec_lo, s6
	s_and_saveexec_b32 s6, s0
	s_delay_alu instid0(SALU_CYCLE_1)
	s_xor_b32 s0, exec_lo, s6
	s_cbranch_execz .LBB125_136
.LBB125_135:
	v_mov_b64_e32 v[0:1], 0
	global_store_b64 v12, v[0:1], s[4:5]
.LBB125_136:
	s_wait_xcnt 0x0
	s_or_b32 exec_lo, exec_lo, s0
	s_delay_alu instid0(SALU_CYCLE_1)
	s_and_b32 s36, s1, exec_lo
                                        ; implicit-def: $vgpr2
                                        ; implicit-def: $vgpr0
.LBB125_137:
	s_or_saveexec_b32 s37, s73
                                        ; implicit-def: $sgpr4_sgpr5_sgpr6_sgpr7_sgpr8_sgpr9_sgpr10_sgpr11_sgpr12_sgpr13_sgpr14_sgpr15_sgpr16_sgpr17_sgpr18_sgpr19
                                        ; implicit-def: $vgpr19
                                        ; implicit-def: $vgpr18
                                        ; implicit-def: $vgpr17
                                        ; implicit-def: $vgpr16
	s_delay_alu instid0(SALU_CYCLE_1)
	s_xor_b32 exec_lo, exec_lo, s37
	s_cbranch_execz .LBB125_144
; %bb.138:
	v_cndmask_b32_e64 v4, 0, 1, s72
	s_and_not1_b32 vcc_lo, exec_lo, s72
	s_cbranch_vccnz .LBB125_156
; %bb.139:
	s_cmp_lg_u32 s33, 0
	s_mov_b32 s6, 0
	s_cbranch_scc0 .LBB125_168
; %bb.140:
	s_min_u32 s7, s70, 15
	v_dual_mov_b32 v8, 0 :: v_dual_mov_b32 v5, v0
	v_dual_mov_b32 v10, 0 :: v_dual_mov_b32 v1, 0
	;; [unrolled: 1-line block ×3, first 2 shown]
	v_mov_b32_e32 v3, 0
	s_add_co_i32 s4, s7, 1
	s_mov_b64 s[0:1], 0xffffffffffffffd0
	s_and_b32 s8, s4, 30
	s_add_nc_u64 s[0:1], s[2:3], s[0:1]
	s_mov_b64 s[4:5], s[2:3]
.LBB125_141:                            ; =>This Inner Loop Header: Depth=1
	s_clause 0x1
	s_load_b128 s[20:23], s[4:5], 0x4
	s_load_b64 s[10:11], s[4:5], 0x14
	s_clause 0x1
	s_load_b256 s[12:19], s[0:1], 0xf4
	s_load_b128 s[24:27], s[0:1], 0x114
	s_add_co_i32 s8, s8, -2
	s_wait_xcnt 0x0
	s_add_nc_u64 s[4:5], s[4:5], 24
	s_cmp_lg_u32 s8, 0
	s_add_nc_u64 s[0:1], s[0:1], 48
	s_wait_kmcnt 0x0
	v_mul_hi_u32 v6, s21, v5
	s_delay_alu instid0(VALU_DEP_1) | instskip(NEXT) | instid1(VALU_DEP_1)
	v_add_nc_u32_e32 v6, v5, v6
	v_lshrrev_b32_e32 v6, s22, v6
	s_delay_alu instid0(VALU_DEP_1) | instskip(SKIP_1) | instid1(VALU_DEP_2)
	v_mul_hi_u32 v7, s10, v6
	v_mul_lo_u32 v11, v6, s20
	v_add_nc_u32_e32 v7, v6, v7
	s_delay_alu instid0(VALU_DEP_2) | instskip(NEXT) | instid1(VALU_DEP_2)
	v_sub_nc_u32_e32 v11, v5, v11
	v_lshrrev_b32_e32 v5, s11, v7
	s_delay_alu instid0(VALU_DEP_2)
	v_mad_u32 v3, v11, s13, v3
	v_mad_u32 v12, v11, s12, v16
	;; [unrolled: 1-line block ×4, first 2 shown]
	v_mul_lo_u32 v7, v5, s23
	v_mad_u32 v10, s17, v11, v10
	v_mad_u32 v8, s16, v11, v8
	s_delay_alu instid0(VALU_DEP_3) | instskip(NEXT) | instid1(VALU_DEP_1)
	v_sub_nc_u32_e32 v6, v6, v7
	v_mad_u32 v3, v6, s19, v3
	v_mad_u32 v16, v6, s18, v12
	;; [unrolled: 1-line block ×6, first 2 shown]
	s_cbranch_scc1 .LBB125_141
; %bb.142:
	s_bitcmp1_b32 s7, 0
	s_cselect_b32 s7, -1, 0
	s_delay_alu instid0(SALU_CYCLE_1)
	s_and_b32 vcc_lo, exec_lo, s7
	s_cbranch_vccnz .LBB125_157
; %bb.143:
	s_load_b96 s[12:14], s[4:5], 0x4
	s_load_b128 s[8:11], s[0:1], 0xf4
	s_wait_xcnt 0x0
	s_load_b64 s[4:5], s[0:1], 0x104
	s_wait_kmcnt 0x0
	v_mul_hi_u32 v6, s13, v5
	s_delay_alu instid0(VALU_DEP_1) | instskip(NEXT) | instid1(VALU_DEP_1)
	v_add_nc_u32_e32 v6, v5, v6
	v_lshrrev_b32_e32 v6, s14, v6
	s_delay_alu instid0(VALU_DEP_1) | instskip(NEXT) | instid1(VALU_DEP_1)
	v_mul_lo_u32 v6, v6, s12
	v_sub_nc_u32_e32 v5, v5, v6
	s_delay_alu instid0(VALU_DEP_1)
	v_mad_u32 v16, v5, s8, v16
	v_mad_u32 v3, v5, s9, v3
	v_mad_u32 v1, v5, s10, v1
	v_mad_u32 v9, v5, s11, v9
	v_mad_u32 v8, s4, v5, v8
	v_mad_u32 v10, s5, v5, v10
	s_and_not1_b32 vcc_lo, exec_lo, s6
	s_cbranch_vccz .LBB125_158
	s_branch .LBB125_169
.LBB125_144:
	s_or_b32 exec_lo, exec_lo, s37
	s_and_saveexec_b32 s0, s36
	s_cbranch_execz .LBB125_308
.LBB125_145:
	; divergent unreachable
	s_or_b32 exec_lo, exec_lo, s0
	s_and_saveexec_b32 s0, s71
	s_cbranch_execnz .LBB125_309
.LBB125_146:
	s_endpgm
.LBB125_147:
	s_or_b32 exec_lo, exec_lo, s7
	s_and_saveexec_b32 s0, s82
	s_cbranch_execnz .LBB125_132
.LBB125_148:
	s_or_b32 exec_lo, exec_lo, s0
	s_mov_b32 s0, 0
	s_and_saveexec_b32 s18, s6
	s_cbranch_execz .LBB125_133
.LBB125_149:
	v_cmp_lt_i64_e64 s0, s[20:21], 1
	v_mov_b64_e32 v[4:5], 0
	s_xor_b32 s6, s45, -1
	s_delay_alu instid0(SALU_CYCLE_1) | instskip(NEXT) | instid1(SALU_CYCLE_1)
	s_or_b32 s0, s0, s6
	s_and_b32 vcc_lo, exec_lo, s0
	s_cbranch_vccnz .LBB125_160
; %bb.150:
	global_load_b64 v[4:5], v6, s[14:15]
	s_mov_b32 s51, 0
	s_wait_xcnt 0x0
	v_mov_b32_e32 v6, 0
	s_lshl_b64 s[10:11], s[50:51], 3
	s_mov_b64 s[6:7], 0xffffffff
	s_add_nc_u64 s[8:9], s[24:25], s[10:11]
	s_add_nc_u64 s[10:11], s[26:27], s[10:11]
	s_wait_loadcnt 0x0
	v_mul_u64_e32 v[8:9], s[20:21], v[4:5]
	v_mov_b64_e32 v[4:5], 0
	s_branch .LBB125_152
.LBB125_151:                            ;   in Loop: Header=BB125_152 Depth=1
	s_or_b32 exec_lo, exec_lo, s0
	global_load_b64 v[14:15], v6, s[10:11]
	v_mul_u64_e32 v[16:17], s[12:13], v[10:11]
	s_add_co_i32 s22, s22, -1
	s_add_nc_u64 s[8:9], s[8:9], -8
	s_cmp_lg_u32 s22, 0
	s_wait_xcnt 0x0
	s_add_nc_u64 s[10:11], s[10:11], -8
	s_delay_alu instid0(VALU_DEP_1) | instskip(SKIP_1) | instid1(VALU_DEP_1)
	v_sub_nc_u64_e32 v[8:9], v[8:9], v[16:17]
	s_wait_loadcnt 0x0
	v_mad_nc_u64_u32 v[4:5], v8, v14, v[4:5]
	s_delay_alu instid0(VALU_DEP_1) | instskip(NEXT) | instid1(VALU_DEP_1)
	v_mad_u32 v5, v9, v14, v5
	v_mad_u32 v5, v8, v15, v5
	v_mov_b64_e32 v[8:9], v[10:11]
	s_cbranch_scc0 .LBB125_160
.LBB125_152:                            ; =>This Inner Loop Header: Depth=1
	global_load_b64 v[10:11], v6, s[8:9]
	s_mov_b32 s0, exec_lo
	s_wait_loadcnt 0x0
	v_or_b32_e32 v7, v9, v11
	v_readfirstlane_b32 s12, v10
	v_readfirstlane_b32 s13, v11
                                        ; implicit-def: $vgpr10_vgpr11
	s_wait_xcnt 0x0
	s_delay_alu instid0(VALU_DEP_3)
	v_cmpx_ne_u64_e32 0, v[6:7]
	s_xor_b32 s19, exec_lo, s0
	s_cbranch_execz .LBB125_154
; %bb.153:                              ;   in Loop: Header=BB125_152 Depth=1
	s_ashr_i32 s14, s13, 31
	v_dual_mov_b32 v17, v6 :: v_dual_ashrrev_i32 v10, 31, v9
	s_mov_b32 s15, s14
	v_mov_b32_e32 v21, v6
	s_add_nc_u64 s[16:17], s[12:13], s[14:15]
	s_delay_alu instid0(VALU_DEP_2)
	v_mov_b32_e32 v11, v10
	s_xor_b64 s[16:17], s[16:17], s[14:15]
	v_mov_b32_e32 v25, v6
	s_cvt_f32_u32 s0, s16
	s_cvt_f32_u32 s15, s17
	s_sub_nc_u64 s[24:25], 0, s[16:17]
	v_add_nc_u64_e32 v[14:15], v[8:9], v[10:11]
	s_delay_alu instid0(SALU_CYCLE_1) | instskip(NEXT) | instid1(SALU_CYCLE_3)
	s_fmamk_f32 s0, s15, 0x4f800000, s0
	v_s_rcp_f32 s0, s0
	s_delay_alu instid0(VALU_DEP_1) | instskip(NEXT) | instid1(VALU_DEP_2)
	v_xor_b32_e32 v20, v15, v10
	v_xor_b32_e32 v16, v14, v10
	s_delay_alu instid0(TRANS32_DEP_1) | instskip(NEXT) | instid1(SALU_CYCLE_3)
	s_mul_f32 s0, s0, 0x5f7ffffc
	s_mul_f32 s15, s0, 0x2f800000
	s_delay_alu instid0(SALU_CYCLE_3) | instskip(NEXT) | instid1(SALU_CYCLE_3)
	s_trunc_f32 s15, s15
	s_fmamk_f32 s0, s15, 0xcf800000, s0
	s_cvt_u32_f32 s21, s15
	s_delay_alu instid0(SALU_CYCLE_2) | instskip(NEXT) | instid1(SALU_CYCLE_3)
	s_cvt_u32_f32 s20, s0
	s_mul_u64 s[26:27], s[24:25], s[20:21]
	s_delay_alu instid0(SALU_CYCLE_1)
	s_mul_hi_u32 s29, s20, s27
	s_mul_i32 s28, s20, s27
	s_mul_hi_u32 s50, s20, s26
	s_mul_i32 s15, s21, s26
	s_add_nc_u64 s[28:29], s[50:51], s[28:29]
	s_mul_hi_u32 s0, s21, s26
	s_mul_hi_u32 s30, s21, s27
	s_add_co_u32 s15, s28, s15
	s_add_co_ci_u32 s50, s29, s0
	s_mul_i32 s26, s21, s27
	s_add_co_ci_u32 s27, s30, 0
	s_delay_alu instid0(SALU_CYCLE_1) | instskip(NEXT) | instid1(SALU_CYCLE_1)
	s_add_nc_u64 s[26:27], s[50:51], s[26:27]
	s_add_co_u32 s20, s20, s26
	s_cselect_b32 s0, -1, 0
	s_delay_alu instid0(SALU_CYCLE_1) | instskip(SKIP_1) | instid1(SALU_CYCLE_1)
	s_cmp_lg_u32 s0, 0
	s_add_co_ci_u32 s21, s21, s27
	s_mul_u64 s[24:25], s[24:25], s[20:21]
	s_delay_alu instid0(SALU_CYCLE_1)
	s_mul_hi_u32 s27, s20, s25
	s_mul_i32 s26, s20, s25
	s_mul_hi_u32 s50, s20, s24
	s_mul_i32 s15, s21, s24
	s_add_nc_u64 s[26:27], s[50:51], s[26:27]
	s_mul_hi_u32 s0, s21, s24
	s_mul_hi_u32 s28, s21, s25
	s_add_co_u32 s15, s26, s15
	s_add_co_ci_u32 s50, s27, s0
	s_mul_i32 s24, s21, s25
	s_add_co_ci_u32 s25, s28, 0
	s_delay_alu instid0(SALU_CYCLE_1) | instskip(NEXT) | instid1(SALU_CYCLE_1)
	s_add_nc_u64 s[24:25], s[50:51], s[24:25]
	s_add_co_u32 s0, s20, s24
	s_cselect_b32 s15, -1, 0
	v_mul_hi_u32 v24, v16, s0
	s_cmp_lg_u32 s15, 0
	s_add_co_ci_u32 s50, s21, s25
	s_and_b64 s[20:21], s[0:1], s[6:7]
	v_mul_u64_e32 v[18:19], s[50:51], v[16:17]
	v_mul_u64_e32 v[14:15], s[20:21], v[20:21]
	;; [unrolled: 1-line block ×3, first 2 shown]
	s_delay_alu instid0(VALU_DEP_3) | instskip(NEXT) | instid1(VALU_DEP_1)
	v_add_nc_u64_e32 v[18:19], v[24:25], v[18:19]
	v_add_co_u32 v7, vcc_lo, v18, v14
	s_delay_alu instid0(VALU_DEP_2) | instskip(NEXT) | instid1(VALU_DEP_4)
	v_add_co_ci_u32_e32 v24, vcc_lo, v19, v15, vcc_lo
	v_add_co_ci_u32_e32 v23, vcc_lo, 0, v23, vcc_lo
	s_delay_alu instid0(VALU_DEP_1) | instskip(NEXT) | instid1(VALU_DEP_1)
	v_add_nc_u64_e32 v[14:15], v[24:25], v[22:23]
	v_mul_u64_e32 v[18:19], s[16:17], v[14:15]
	s_delay_alu instid0(VALU_DEP_1) | instskip(NEXT) | instid1(VALU_DEP_2)
	v_sub_nc_u32_e32 v7, v20, v19
	v_sub_co_u32 v11, vcc_lo, v16, v18
	s_delay_alu instid0(VALU_DEP_1) | instskip(NEXT) | instid1(VALU_DEP_3)
	v_sub_co_ci_u32_e64 v20, null, v20, v19, vcc_lo
	v_subrev_co_ci_u32_e64 v7, null, s17, v7, vcc_lo
	s_delay_alu instid0(VALU_DEP_3) | instskip(SKIP_1) | instid1(VALU_DEP_3)
	v_sub_co_u32 v13, s0, v11, s16
	v_add_nc_u64_e32 v[18:19], 1, v[14:15]
	v_subrev_co_ci_u32_e64 v7, null, 0, v7, s0
	s_delay_alu instid0(VALU_DEP_3) | instskip(SKIP_1) | instid1(VALU_DEP_3)
	v_cmp_le_u32_e32 vcc_lo, s16, v13
	v_cndmask_b32_e64 v13, 0, -1, vcc_lo
	v_cmp_le_u32_e32 vcc_lo, s17, v7
	v_cndmask_b32_e64 v16, 0, -1, vcc_lo
	;; [unrolled: 2-line block ×4, first 2 shown]
	v_cmp_eq_u32_e32 vcc_lo, s17, v7
	v_cndmask_b32_e32 v7, v16, v13, vcc_lo
	v_cmp_eq_u32_e32 vcc_lo, s17, v20
	v_add_nc_u64_e32 v[16:17], 2, v[14:15]
	v_cndmask_b32_e32 v11, v21, v11, vcc_lo
	s_delay_alu instid0(VALU_DEP_4) | instskip(NEXT) | instid1(VALU_DEP_2)
	v_cmp_ne_u32_e32 vcc_lo, 0, v7
	v_cmp_ne_u32_e64 s0, 0, v11
	s_delay_alu instid0(VALU_DEP_4) | instskip(NEXT) | instid1(VALU_DEP_1)
	v_dual_cndmask_b32 v7, v19, v17, vcc_lo :: v_dual_cndmask_b32 v11, v18, v16, vcc_lo
	v_dual_cndmask_b32 v7, v15, v7, s0 :: v_dual_bitop2_b32 v10, s14, v10 bitop3:0x14
	s_delay_alu instid0(VALU_DEP_1) | instskip(NEXT) | instid1(VALU_DEP_1)
	v_dual_cndmask_b32 v13, v14, v11, s0 :: v_dual_bitop2_b32 v15, v7, v10 bitop3:0x14
	v_dual_mov_b32 v11, v10 :: v_dual_bitop2_b32 v14, v13, v10 bitop3:0x14
	s_delay_alu instid0(VALU_DEP_1)
	v_sub_nc_u64_e32 v[10:11], v[14:15], v[10:11]
.LBB125_154:                            ;   in Loop: Header=BB125_152 Depth=1
	s_and_not1_saveexec_b32 s0, s19
	s_cbranch_execz .LBB125_151
; %bb.155:                              ;   in Loop: Header=BB125_152 Depth=1
	v_cvt_f32_u32_e32 v7, s12
	s_sub_co_i32 s14, 0, s12
	s_delay_alu instid0(VALU_DEP_1) | instskip(SKIP_1) | instid1(TRANS32_DEP_1)
	v_rcp_iflag_f32_e32 v7, v7
	v_nop
	v_mul_f32_e32 v7, 0x4f7ffffe, v7
	s_delay_alu instid0(VALU_DEP_1) | instskip(NEXT) | instid1(VALU_DEP_1)
	v_cvt_u32_f32_e32 v7, v7
	v_mul_lo_u32 v10, s14, v7
	s_delay_alu instid0(VALU_DEP_1) | instskip(NEXT) | instid1(VALU_DEP_1)
	v_mul_hi_u32 v10, v7, v10
	v_add_nc_u32_e32 v7, v7, v10
	s_delay_alu instid0(VALU_DEP_1) | instskip(NEXT) | instid1(VALU_DEP_1)
	v_mul_hi_u32 v7, v8, v7
	v_mul_lo_u32 v10, v7, s12
	s_delay_alu instid0(VALU_DEP_1) | instskip(NEXT) | instid1(VALU_DEP_1)
	v_dual_add_nc_u32 v11, 1, v7 :: v_dual_sub_nc_u32 v10, v8, v10
	v_subrev_nc_u32_e32 v13, s12, v10
	v_cmp_le_u32_e32 vcc_lo, s12, v10
	s_delay_alu instid0(VALU_DEP_2) | instskip(NEXT) | instid1(VALU_DEP_1)
	v_dual_cndmask_b32 v10, v10, v13 :: v_dual_cndmask_b32 v7, v7, v11
	v_cmp_le_u32_e32 vcc_lo, s12, v10
	s_delay_alu instid0(VALU_DEP_2) | instskip(NEXT) | instid1(VALU_DEP_1)
	v_add_nc_u32_e32 v11, 1, v7
	v_dual_cndmask_b32 v10, v7, v11 :: v_dual_mov_b32 v11, v6
	s_branch .LBB125_151
.LBB125_156:
	s_mov_b32 s6, -1
                                        ; implicit-def: $vgpr3
                                        ; implicit-def: $vgpr16
                                        ; implicit-def: $vgpr9
                                        ; implicit-def: $vgpr1
                                        ; implicit-def: $vgpr10
                                        ; implicit-def: $vgpr8
.LBB125_157:
	s_delay_alu instid0(SALU_CYCLE_1)
	s_and_not1_b32 vcc_lo, exec_lo, s6
	s_cbranch_vccnz .LBB125_169
.LBB125_158:
	s_clause 0x2
	s_load_b96 s[8:10], s[2:3], 0x4
	s_load_b128 s[4:7], s[2:3], 0xc4
	s_load_b64 s[0:1], s[2:3], 0xd4
	s_cmp_lt_u32 s33, 2
	s_wait_kmcnt 0x0
	v_mul_hi_u32 v1, s9, v0
	s_delay_alu instid0(VALU_DEP_1) | instskip(NEXT) | instid1(VALU_DEP_1)
	v_add_nc_u32_e32 v1, v0, v1
	v_lshrrev_b32_e32 v5, s10, v1
	s_delay_alu instid0(VALU_DEP_1) | instskip(NEXT) | instid1(VALU_DEP_1)
	v_mul_lo_u32 v1, v5, s8
	v_sub_nc_u32_e32 v6, v0, v1
	s_delay_alu instid0(VALU_DEP_1)
	v_mul_lo_u32 v3, v6, s5
	v_mul_lo_u32 v16, v6, s4
	;; [unrolled: 1-line block ×6, first 2 shown]
	s_cbranch_scc1 .LBB125_169
; %bb.159:
	s_clause 0x2
	s_load_b96 s[8:10], s[2:3], 0x10
	s_load_b128 s[4:7], s[2:3], 0xdc
	s_load_b64 s[0:1], s[2:3], 0xec
	s_wait_kmcnt 0x0
	v_mul_hi_u32 v6, s9, v5
	s_delay_alu instid0(VALU_DEP_1) | instskip(NEXT) | instid1(VALU_DEP_1)
	v_add_nc_u32_e32 v6, v5, v6
	v_lshrrev_b32_e32 v6, s10, v6
	s_delay_alu instid0(VALU_DEP_1) | instskip(NEXT) | instid1(VALU_DEP_1)
	v_mul_lo_u32 v6, v6, s8
	v_sub_nc_u32_e32 v5, v5, v6
	s_delay_alu instid0(VALU_DEP_1)
	v_mad_u32 v16, v5, s4, v16
	v_mad_u32 v3, v5, s5, v3
	;; [unrolled: 1-line block ×6, first 2 shown]
	s_branch .LBB125_169
.LBB125_160:
	s_mov_b32 s6, s79
	s_mov_b32 s0, exec_lo
	v_cmpx_gt_i64_e64 v[0:1], v[2:3]
	s_cbranch_execz .LBB125_166
; %bb.161:
	s_delay_alu instid0(VALU_DEP_2) | instskip(SKIP_2) | instid1(VALU_DEP_1)
	v_lshlrev_b64_e32 v[4:5], 3, v[4:5]
	s_mov_b32 s6, 0
	s_xor_b32 s8, s23, -1
                                        ; implicit-def: $sgpr7
                                        ; implicit-def: $sgpr10
                                        ; implicit-def: $sgpr9
	v_lshl_add_u64 v[2:3], v[2:3], 3, v[4:5]
	v_add_nc_u64_e32 v[4:5], s[48:49], v[4:5]
	s_delay_alu instid0(VALU_DEP_2) | instskip(NEXT) | instid1(VALU_DEP_2)
	v_add_nc_u64_e32 v[2:3], s[48:49], v[2:3]
	v_lshl_add_u64 v[0:1], v[0:1], 3, v[4:5]
	s_delay_alu instid0(VALU_DEP_2)
	v_add_nc_u64_e32 v[2:3], 8, v[2:3]
	s_branch .LBB125_163
.LBB125_162:                            ;   in Loop: Header=BB125_163 Depth=1
	s_or_b32 exec_lo, exec_lo, s11
	s_xor_b32 s11, s9, -1
	s_and_b32 s12, exec_lo, s10
	s_delay_alu instid0(SALU_CYCLE_1) | instskip(SKIP_2) | instid1(SALU_CYCLE_1)
	s_or_b32 s6, s12, s6
	s_and_not1_b32 s7, s7, exec_lo
	s_and_b32 s11, s11, exec_lo
	s_or_b32 s7, s7, s11
	s_and_not1_b32 exec_lo, exec_lo, s6
	s_cbranch_execz .LBB125_165
.LBB125_163:                            ; =>This Inner Loop Header: Depth=1
	s_or_b32 s9, s9, exec_lo
	s_or_b32 s10, s10, exec_lo
	s_mov_b32 s11, exec_lo
	s_delay_alu instid0(VALU_DEP_1)
	v_cmpx_lt_u64_e64 v[2:3], v[0:1]
	s_cbranch_execz .LBB125_162
; %bb.164:                              ;   in Loop: Header=BB125_163 Depth=1
	global_load_b128 v[4:7], v[2:3], off offset:-8
	s_wait_xcnt 0x0
	v_add_nc_u64_e32 v[2:3], 8, v[2:3]
	s_and_not1_b32 s10, s10, exec_lo
	s_and_not1_b32 s9, s9, exec_lo
	s_wait_loadcnt 0x0
	v_cmp_ge_i64_e32 vcc_lo, v[4:5], v[6:7]
	s_or_b32 s12, s8, vcc_lo
	s_delay_alu instid0(SALU_CYCLE_1) | instskip(NEXT) | instid1(SALU_CYCLE_1)
	s_and_b32 s12, s12, exec_lo
	s_or_b32 s10, s10, s12
	s_branch .LBB125_162
.LBB125_165:
	s_or_b32 exec_lo, exec_lo, s6
	s_delay_alu instid0(SALU_CYCLE_1) | instskip(SKIP_1) | instid1(SALU_CYCLE_1)
	s_and_not1_b32 s6, s79, exec_lo
	s_and_b32 s7, s7, exec_lo
	s_or_b32 s6, s6, s7
.LBB125_166:
	s_or_b32 exec_lo, exec_lo, s0
	s_delay_alu instid0(SALU_CYCLE_1)
	s_and_not1_b32 s7, s79, exec_lo
	s_and_b32 s6, s6, exec_lo
	s_mov_b32 s0, exec_lo
	s_or_b32 s79, s7, s6
	s_or_b32 exec_lo, exec_lo, s18
	s_and_saveexec_b32 s6, s79
	s_cbranch_execz .LBB125_134
.LBB125_167:
	s_or_b32 s1, s1, exec_lo
	s_and_not1_b32 s0, s0, exec_lo
	s_trap 2
	s_or_b32 exec_lo, exec_lo, s6
	s_and_saveexec_b32 s6, s0
	s_delay_alu instid0(SALU_CYCLE_1)
	s_xor_b32 s0, exec_lo, s6
	s_cbranch_execnz .LBB125_135
	s_branch .LBB125_136
.LBB125_168:
	v_dual_mov_b32 v3, 0 :: v_dual_mov_b32 v16, 0
	v_dual_mov_b32 v9, 0 :: v_dual_mov_b32 v1, 0
	;; [unrolled: 1-line block ×3, first 2 shown]
	s_and_not1_b32 vcc_lo, exec_lo, s6
	s_cbranch_vccz .LBB125_158
.LBB125_169:
	v_cmp_ne_u32_e32 vcc_lo, 1, v4
	v_add_nc_u32_e32 v5, 0x80, v0
	s_cbranch_vccnz .LBB125_175
; %bb.170:
	s_cmp_lg_u32 s33, 0
	s_mov_b32 s6, 0
	s_cbranch_scc0 .LBB125_179
; %bb.171:
	s_min_u32 s7, s70, 15
	v_dual_mov_b32 v31, 0 :: v_dual_mov_b32 v6, v5
	v_dual_mov_b32 v30, 0 :: v_dual_mov_b32 v33, 0
	;; [unrolled: 1-line block ×3, first 2 shown]
	v_mov_b32_e32 v34, 0
	s_add_co_i32 s4, s7, 1
	s_mov_b64 s[0:1], 0xffffffffffffffd0
	s_and_b32 s8, s4, 30
	s_add_nc_u64 s[0:1], s[2:3], s[0:1]
	s_mov_b64 s[4:5], s[2:3]
.LBB125_172:                            ; =>This Inner Loop Header: Depth=1
	s_clause 0x1
	s_load_b128 s[20:23], s[4:5], 0x4
	s_load_b64 s[10:11], s[4:5], 0x14
	s_clause 0x1
	s_load_b256 s[12:19], s[0:1], 0xf4
	s_load_b128 s[24:27], s[0:1], 0x114
	s_add_co_i32 s8, s8, -2
	s_wait_xcnt 0x0
	s_add_nc_u64 s[4:5], s[4:5], 24
	s_cmp_lg_u32 s8, 0
	s_add_nc_u64 s[0:1], s[0:1], 48
	s_wait_kmcnt 0x0
	v_mul_hi_u32 v7, s21, v6
	s_delay_alu instid0(VALU_DEP_1) | instskip(NEXT) | instid1(VALU_DEP_1)
	v_add_nc_u32_e32 v7, v6, v7
	v_lshrrev_b32_e32 v7, s22, v7
	s_delay_alu instid0(VALU_DEP_1) | instskip(SKIP_1) | instid1(VALU_DEP_1)
	v_mul_hi_u32 v11, s10, v7
	v_mul_lo_u32 v12, v7, s20
	v_dual_add_nc_u32 v11, v7, v11 :: v_dual_sub_nc_u32 v12, v6, v12
	s_delay_alu instid0(VALU_DEP_1) | instskip(NEXT) | instid1(VALU_DEP_2)
	v_lshrrev_b32_e32 v6, s11, v11
	v_mad_u32 v11, v12, s13, v34
	v_mad_u32 v14, v12, s12, v17
	;; [unrolled: 1-line block ×4, first 2 shown]
	v_mul_lo_u32 v13, v6, s23
	v_mad_u32 v19, s17, v12, v30
	v_mad_u32 v12, s16, v12, v31
	s_delay_alu instid0(VALU_DEP_3) | instskip(NEXT) | instid1(VALU_DEP_1)
	v_sub_nc_u32_e32 v7, v7, v13
	v_mad_u32 v34, v7, s19, v11
	v_mad_u32 v17, v7, s18, v14
	;; [unrolled: 1-line block ×6, first 2 shown]
	s_cbranch_scc1 .LBB125_172
; %bb.173:
	s_bitcmp1_b32 s7, 0
	s_cselect_b32 s7, -1, 0
	s_delay_alu instid0(SALU_CYCLE_1)
	s_and_b32 vcc_lo, exec_lo, s7
	s_cbranch_vccnz .LBB125_176
; %bb.174:
	s_load_b96 s[12:14], s[4:5], 0x4
	s_load_b128 s[8:11], s[0:1], 0xf4
	s_wait_xcnt 0x0
	s_load_b64 s[4:5], s[0:1], 0x104
	s_wait_kmcnt 0x0
	v_mul_hi_u32 v7, s13, v6
	s_delay_alu instid0(VALU_DEP_1) | instskip(NEXT) | instid1(VALU_DEP_1)
	v_add_nc_u32_e32 v7, v6, v7
	v_lshrrev_b32_e32 v7, s14, v7
	s_delay_alu instid0(VALU_DEP_1) | instskip(NEXT) | instid1(VALU_DEP_1)
	v_mul_lo_u32 v7, v7, s12
	v_sub_nc_u32_e32 v6, v6, v7
	s_delay_alu instid0(VALU_DEP_1)
	v_mad_u32 v17, v6, s8, v17
	v_mad_u32 v34, v6, s9, v34
	;; [unrolled: 1-line block ×6, first 2 shown]
	s_and_not1_b32 vcc_lo, exec_lo, s6
	s_cbranch_vccz .LBB125_177
	s_branch .LBB125_180
.LBB125_175:
	s_mov_b32 s6, -1
                                        ; implicit-def: $vgpr34
                                        ; implicit-def: $vgpr17
                                        ; implicit-def: $vgpr32
                                        ; implicit-def: $vgpr33
                                        ; implicit-def: $vgpr30
                                        ; implicit-def: $vgpr31
.LBB125_176:
	s_delay_alu instid0(SALU_CYCLE_1)
	s_and_not1_b32 vcc_lo, exec_lo, s6
	s_cbranch_vccnz .LBB125_180
.LBB125_177:
	s_clause 0x2
	s_load_b96 s[8:10], s[2:3], 0x4
	s_load_b128 s[4:7], s[2:3], 0xc4
	s_load_b64 s[0:1], s[2:3], 0xd4
	s_cmp_lt_u32 s33, 2
	s_wait_kmcnt 0x0
	v_mul_hi_u32 v6, s9, v5
	s_delay_alu instid0(VALU_DEP_1) | instskip(NEXT) | instid1(VALU_DEP_1)
	v_add_nc_u32_e32 v6, v5, v6
	v_lshrrev_b32_e32 v6, s10, v6
	s_delay_alu instid0(VALU_DEP_1) | instskip(NEXT) | instid1(VALU_DEP_1)
	v_mul_lo_u32 v7, v6, s8
	v_sub_nc_u32_e32 v5, v5, v7
	s_delay_alu instid0(VALU_DEP_1)
	v_mul_lo_u32 v34, v5, s5
	v_mul_lo_u32 v17, v5, s4
	;; [unrolled: 1-line block ×6, first 2 shown]
	s_cbranch_scc1 .LBB125_180
; %bb.178:
	s_clause 0x2
	s_load_b96 s[8:10], s[2:3], 0x10
	s_load_b128 s[4:7], s[2:3], 0xdc
	s_load_b64 s[0:1], s[2:3], 0xec
	s_wait_kmcnt 0x0
	v_mul_hi_u32 v5, s9, v6
	s_delay_alu instid0(VALU_DEP_1) | instskip(NEXT) | instid1(VALU_DEP_1)
	v_add_nc_u32_e32 v5, v6, v5
	v_lshrrev_b32_e32 v5, s10, v5
	s_delay_alu instid0(VALU_DEP_1) | instskip(NEXT) | instid1(VALU_DEP_1)
	v_mul_lo_u32 v5, v5, s8
	v_sub_nc_u32_e32 v5, v6, v5
	s_delay_alu instid0(VALU_DEP_1)
	v_mad_u32 v17, v5, s4, v17
	v_mad_u32 v34, v5, s5, v34
	;; [unrolled: 1-line block ×6, first 2 shown]
	s_branch .LBB125_180
.LBB125_179:
	v_dual_mov_b32 v34, 0 :: v_dual_mov_b32 v17, 0
	v_dual_mov_b32 v32, 0 :: v_dual_mov_b32 v33, 0
	;; [unrolled: 1-line block ×3, first 2 shown]
	s_and_not1_b32 vcc_lo, exec_lo, s6
	s_cbranch_vccz .LBB125_177
.LBB125_180:
	v_cmp_ne_u32_e32 vcc_lo, 1, v4
	v_add_nc_u32_e32 v0, 0x100, v0
	s_cbranch_vccnz .LBB125_186
; %bb.181:
	s_cmp_lg_u32 s33, 0
	s_mov_b32 s6, 0
	s_cbranch_scc0 .LBB125_190
; %bb.182:
	s_min_u32 s7, s70, 15
	v_dual_mov_b32 v26, 0 :: v_dual_mov_b32 v5, v0
	v_dual_mov_b32 v25, 0 :: v_dual_mov_b32 v28, 0
	;; [unrolled: 1-line block ×3, first 2 shown]
	v_mov_b32_e32 v29, 0
	s_add_co_i32 s4, s7, 1
	s_mov_b64 s[0:1], 0xffffffffffffffd0
	s_and_b32 s8, s4, 30
	s_add_nc_u64 s[0:1], s[2:3], s[0:1]
	s_mov_b64 s[4:5], s[2:3]
.LBB125_183:                            ; =>This Inner Loop Header: Depth=1
	s_clause 0x1
	s_load_b128 s[20:23], s[4:5], 0x4
	s_load_b64 s[10:11], s[4:5], 0x14
	s_clause 0x1
	s_load_b256 s[12:19], s[0:1], 0xf4
	s_load_b128 s[24:27], s[0:1], 0x114
	s_add_co_i32 s8, s8, -2
	s_wait_xcnt 0x0
	s_add_nc_u64 s[4:5], s[4:5], 24
	s_cmp_lg_u32 s8, 0
	s_add_nc_u64 s[0:1], s[0:1], 48
	s_wait_kmcnt 0x0
	v_mul_hi_u32 v6, s21, v5
	s_delay_alu instid0(VALU_DEP_1) | instskip(NEXT) | instid1(VALU_DEP_1)
	v_add_nc_u32_e32 v6, v5, v6
	v_lshrrev_b32_e32 v6, s22, v6
	s_delay_alu instid0(VALU_DEP_1) | instskip(SKIP_1) | instid1(VALU_DEP_2)
	v_mul_hi_u32 v7, s10, v6
	v_mul_lo_u32 v11, v6, s20
	v_add_nc_u32_e32 v7, v6, v7
	s_delay_alu instid0(VALU_DEP_2) | instskip(NEXT) | instid1(VALU_DEP_2)
	v_sub_nc_u32_e32 v11, v5, v11
	v_lshrrev_b32_e32 v5, s11, v7
	s_delay_alu instid0(VALU_DEP_2)
	v_mad_u32 v7, v11, s13, v29
	v_mad_u32 v13, v11, s12, v18
	;; [unrolled: 1-line block ×4, first 2 shown]
	v_mul_lo_u32 v12, v5, s23
	v_mad_u32 v19, s17, v11, v25
	v_mad_u32 v11, s16, v11, v26
	s_delay_alu instid0(VALU_DEP_3) | instskip(NEXT) | instid1(VALU_DEP_1)
	v_sub_nc_u32_e32 v6, v6, v12
	v_mad_u32 v29, v6, s19, v7
	v_mad_u32 v18, v6, s18, v13
	v_mad_u32 v27, v6, s25, v14
	v_mad_u32 v28, v6, s24, v15
	v_mad_u32 v25, s27, v6, v19
	v_mad_u32 v26, s26, v6, v11
	s_cbranch_scc1 .LBB125_183
; %bb.184:
	s_bitcmp1_b32 s7, 0
	s_cselect_b32 s7, -1, 0
	s_delay_alu instid0(SALU_CYCLE_1)
	s_and_b32 vcc_lo, exec_lo, s7
	s_cbranch_vccnz .LBB125_187
; %bb.185:
	s_load_b96 s[12:14], s[4:5], 0x4
	s_load_b128 s[8:11], s[0:1], 0xf4
	s_wait_xcnt 0x0
	s_load_b64 s[4:5], s[0:1], 0x104
	s_wait_kmcnt 0x0
	v_mul_hi_u32 v6, s13, v5
	s_delay_alu instid0(VALU_DEP_1) | instskip(NEXT) | instid1(VALU_DEP_1)
	v_add_nc_u32_e32 v6, v5, v6
	v_lshrrev_b32_e32 v6, s14, v6
	s_delay_alu instid0(VALU_DEP_1) | instskip(NEXT) | instid1(VALU_DEP_1)
	v_mul_lo_u32 v6, v6, s12
	v_sub_nc_u32_e32 v5, v5, v6
	s_delay_alu instid0(VALU_DEP_1)
	v_mad_u32 v18, v5, s8, v18
	v_mad_u32 v29, v5, s9, v29
	;; [unrolled: 1-line block ×6, first 2 shown]
	s_and_not1_b32 vcc_lo, exec_lo, s6
	s_cbranch_vccz .LBB125_188
	s_branch .LBB125_191
.LBB125_186:
	s_mov_b32 s6, -1
                                        ; implicit-def: $vgpr29
                                        ; implicit-def: $vgpr18
                                        ; implicit-def: $vgpr27
                                        ; implicit-def: $vgpr28
                                        ; implicit-def: $vgpr25
                                        ; implicit-def: $vgpr26
.LBB125_187:
	s_delay_alu instid0(SALU_CYCLE_1)
	s_and_not1_b32 vcc_lo, exec_lo, s6
	s_cbranch_vccnz .LBB125_191
.LBB125_188:
	s_clause 0x2
	s_load_b96 s[8:10], s[2:3], 0x4
	s_load_b128 s[4:7], s[2:3], 0xc4
	s_load_b64 s[0:1], s[2:3], 0xd4
	s_cmp_lt_u32 s33, 2
	s_wait_kmcnt 0x0
	v_mul_hi_u32 v5, s9, v0
	s_delay_alu instid0(VALU_DEP_1) | instskip(NEXT) | instid1(VALU_DEP_1)
	v_add_nc_u32_e32 v5, v0, v5
	v_lshrrev_b32_e32 v5, s10, v5
	s_delay_alu instid0(VALU_DEP_1) | instskip(NEXT) | instid1(VALU_DEP_1)
	v_mul_lo_u32 v6, v5, s8
	v_sub_nc_u32_e32 v0, v0, v6
	s_delay_alu instid0(VALU_DEP_1)
	v_mul_lo_u32 v29, v0, s5
	v_mul_lo_u32 v18, v0, s4
	;; [unrolled: 1-line block ×6, first 2 shown]
	s_cbranch_scc1 .LBB125_191
; %bb.189:
	s_clause 0x2
	s_load_b96 s[8:10], s[2:3], 0x10
	s_load_b128 s[4:7], s[2:3], 0xdc
	s_load_b64 s[0:1], s[2:3], 0xec
	s_wait_kmcnt 0x0
	v_mul_hi_u32 v0, s9, v5
	s_delay_alu instid0(VALU_DEP_1) | instskip(NEXT) | instid1(VALU_DEP_1)
	v_add_nc_u32_e32 v0, v5, v0
	v_lshrrev_b32_e32 v0, s10, v0
	s_delay_alu instid0(VALU_DEP_1) | instskip(NEXT) | instid1(VALU_DEP_1)
	v_mul_lo_u32 v0, v0, s8
	v_sub_nc_u32_e32 v0, v5, v0
	s_delay_alu instid0(VALU_DEP_1)
	v_mad_u32 v18, v0, s4, v18
	v_mad_u32 v29, v0, s5, v29
	;; [unrolled: 1-line block ×6, first 2 shown]
	s_branch .LBB125_191
.LBB125_190:
	v_dual_mov_b32 v29, 0 :: v_dual_mov_b32 v18, 0
	v_dual_mov_b32 v27, 0 :: v_dual_mov_b32 v28, 0
	;; [unrolled: 1-line block ×3, first 2 shown]
	s_and_not1_b32 vcc_lo, exec_lo, s6
	s_cbranch_vccz .LBB125_188
.LBB125_191:
	v_cmp_ne_u32_e32 vcc_lo, 1, v4
	s_cbranch_vccnz .LBB125_197
; %bb.192:
	s_cmp_lg_u32 s33, 0
	s_mov_b32 s6, 0
	s_cbranch_scc0 .LBB125_201
; %bb.193:
	s_min_u32 s7, s70, 15
	v_dual_mov_b32 v21, 0 :: v_dual_mov_b32 v0, v2
	v_dual_mov_b32 v20, 0 :: v_dual_mov_b32 v23, 0
	;; [unrolled: 1-line block ×3, first 2 shown]
	v_mov_b32_e32 v24, 0
	s_add_co_i32 s4, s7, 1
	s_mov_b64 s[0:1], 0xffffffffffffffd0
	s_and_b32 s8, s4, 30
	s_add_nc_u64 s[0:1], s[2:3], s[0:1]
	s_mov_b64 s[4:5], s[2:3]
.LBB125_194:                            ; =>This Inner Loop Header: Depth=1
	s_clause 0x1
	s_load_b128 s[20:23], s[4:5], 0x4
	s_load_b64 s[10:11], s[4:5], 0x14
	s_clause 0x1
	s_load_b256 s[12:19], s[0:1], 0xf4
	s_load_b128 s[24:27], s[0:1], 0x114
	s_add_co_i32 s8, s8, -2
	s_wait_xcnt 0x0
	s_add_nc_u64 s[4:5], s[4:5], 24
	s_cmp_lg_u32 s8, 0
	s_add_nc_u64 s[0:1], s[0:1], 48
	s_wait_kmcnt 0x0
	v_mul_hi_u32 v4, s21, v0
	s_delay_alu instid0(VALU_DEP_1) | instskip(NEXT) | instid1(VALU_DEP_1)
	v_add_nc_u32_e32 v4, v0, v4
	v_lshrrev_b32_e32 v4, s22, v4
	s_delay_alu instid0(VALU_DEP_1) | instskip(SKIP_1) | instid1(VALU_DEP_2)
	v_mul_hi_u32 v5, s10, v4
	v_mul_lo_u32 v6, v4, s20
	v_add_nc_u32_e32 v5, v4, v5
	s_delay_alu instid0(VALU_DEP_1) | instskip(NEXT) | instid1(VALU_DEP_1)
	v_dual_sub_nc_u32 v6, v0, v6 :: v_dual_lshrrev_b32 v0, s11, v5
	v_mad_u32 v5, v6, s13, v24
	v_mad_u32 v11, v6, s12, v19
	;; [unrolled: 1-line block ×4, first 2 shown]
	v_mul_lo_u32 v7, v0, s23
	v_mad_u32 v14, s17, v6, v20
	v_mad_u32 v6, s16, v6, v21
	s_delay_alu instid0(VALU_DEP_3) | instskip(NEXT) | instid1(VALU_DEP_1)
	v_sub_nc_u32_e32 v4, v4, v7
	v_mad_u32 v24, v4, s19, v5
	v_mad_u32 v19, v4, s18, v11
	v_mad_u32 v22, v4, s25, v12
	v_mad_u32 v23, v4, s24, v13
	v_mad_u32 v20, s27, v4, v14
	v_mad_u32 v21, s26, v4, v6
	s_cbranch_scc1 .LBB125_194
; %bb.195:
	s_bitcmp1_b32 s7, 0
	s_cselect_b32 s7, -1, 0
	s_delay_alu instid0(SALU_CYCLE_1)
	s_and_b32 vcc_lo, exec_lo, s7
	s_cbranch_vccnz .LBB125_198
; %bb.196:
	s_load_b96 s[12:14], s[4:5], 0x4
	s_load_b128 s[8:11], s[0:1], 0xf4
	s_wait_xcnt 0x0
	s_load_b64 s[4:5], s[0:1], 0x104
	s_wait_kmcnt 0x0
	v_mul_hi_u32 v4, s13, v0
	s_delay_alu instid0(VALU_DEP_1) | instskip(NEXT) | instid1(VALU_DEP_1)
	v_add_nc_u32_e32 v4, v0, v4
	v_lshrrev_b32_e32 v4, s14, v4
	s_delay_alu instid0(VALU_DEP_1) | instskip(NEXT) | instid1(VALU_DEP_1)
	v_mul_lo_u32 v4, v4, s12
	v_sub_nc_u32_e32 v0, v0, v4
	s_delay_alu instid0(VALU_DEP_1)
	v_mad_u32 v19, v0, s8, v19
	v_mad_u32 v24, v0, s9, v24
	;; [unrolled: 1-line block ×6, first 2 shown]
	s_and_not1_b32 vcc_lo, exec_lo, s6
	s_cbranch_vccz .LBB125_199
	s_branch .LBB125_202
.LBB125_197:
	s_mov_b32 s6, -1
                                        ; implicit-def: $vgpr24
                                        ; implicit-def: $vgpr19
                                        ; implicit-def: $vgpr22
                                        ; implicit-def: $vgpr23
                                        ; implicit-def: $vgpr20
                                        ; implicit-def: $vgpr21
.LBB125_198:
	s_delay_alu instid0(SALU_CYCLE_1)
	s_and_not1_b32 vcc_lo, exec_lo, s6
	s_cbranch_vccnz .LBB125_202
.LBB125_199:
	s_clause 0x2
	s_load_b96 s[8:10], s[2:3], 0x4
	s_load_b128 s[4:7], s[2:3], 0xc4
	s_load_b64 s[0:1], s[2:3], 0xd4
	s_cmp_lt_u32 s33, 2
	s_wait_kmcnt 0x0
	v_mul_hi_u32 v0, s9, v2
	s_delay_alu instid0(VALU_DEP_1) | instskip(NEXT) | instid1(VALU_DEP_1)
	v_add_nc_u32_e32 v0, v2, v0
	v_lshrrev_b32_e32 v0, s10, v0
	s_delay_alu instid0(VALU_DEP_1) | instskip(NEXT) | instid1(VALU_DEP_1)
	v_mul_lo_u32 v4, v0, s8
	v_sub_nc_u32_e32 v2, v2, v4
	s_delay_alu instid0(VALU_DEP_1)
	v_mul_lo_u32 v24, v2, s5
	v_mul_lo_u32 v19, v2, s4
	;; [unrolled: 1-line block ×6, first 2 shown]
	s_cbranch_scc1 .LBB125_202
; %bb.200:
	s_clause 0x2
	s_load_b96 s[8:10], s[2:3], 0x10
	s_load_b128 s[4:7], s[2:3], 0xdc
	s_load_b64 s[0:1], s[2:3], 0xec
	s_wait_kmcnt 0x0
	v_mul_hi_u32 v2, s9, v0
	s_delay_alu instid0(VALU_DEP_1) | instskip(NEXT) | instid1(VALU_DEP_1)
	v_add_nc_u32_e32 v2, v0, v2
	v_lshrrev_b32_e32 v2, s10, v2
	s_delay_alu instid0(VALU_DEP_1) | instskip(NEXT) | instid1(VALU_DEP_1)
	v_mul_lo_u32 v2, v2, s8
	v_sub_nc_u32_e32 v0, v0, v2
	s_delay_alu instid0(VALU_DEP_1)
	v_mad_u32 v19, v0, s4, v19
	v_mad_u32 v24, v0, s5, v24
	;; [unrolled: 1-line block ×6, first 2 shown]
	s_branch .LBB125_202
.LBB125_201:
	v_dual_mov_b32 v24, 0 :: v_dual_mov_b32 v19, 0
	v_dual_mov_b32 v22, 0 :: v_dual_mov_b32 v23, 0
	;; [unrolled: 1-line block ×3, first 2 shown]
	s_and_not1_b32 vcc_lo, exec_lo, s6
	s_cbranch_vccz .LBB125_199
.LBB125_202:
	s_load_b256 s[4:11], s[2:3], 0x248
	s_cmp_eq_u64 s[34:35], 0
	s_mov_b32 s33, s36
	s_wait_kmcnt 0x0
	global_load_b64 v[2:3], v3, s[6:7]
	s_clause 0x1
	s_load_b64 s[0:1], s[2:3], 0x278
	s_load_b128 s[12:15], s[2:3], 0x268
	s_wait_loadcnt 0x0
	s_wait_kmcnt 0x0
	v_cmp_ne_u64_e32 vcc_lo, s[0:1], v[2:3]
	s_cselect_b32 s0, -1, 0
	s_delay_alu instid0(SALU_CYCLE_1) | instskip(NEXT) | instid1(SALU_CYCLE_1)
	s_or_b32 s0, s0, vcc_lo
	s_and_saveexec_b32 s1, s0
	s_delay_alu instid0(SALU_CYCLE_1)
	s_xor_b32 s0, exec_lo, s1
	s_cbranch_execnz .LBB125_258
; %bb.203:
	s_or_saveexec_b32 s38, s0
	s_mov_b32 s0, 0
	s_xor_b32 exec_lo, exec_lo, s38
	s_cbranch_execz .LBB125_307
.LBB125_204:
	global_load_b64 v[0:1], v1, s[8:9]
	s_load_b64 s[0:1], s[2:3], 0x288
	s_get_pc_i64 s[16:17]
	s_add_nc_u64 s[16:17], s[16:17], .str.7@rel64+4
	s_mov_b32 s39, s33
	s_cmp_eq_u64 s[16:17], 0
	s_wait_loadcnt 0x0
	s_wait_kmcnt 0x0
	v_cmp_ne_u64_e32 vcc_lo, s[0:1], v[0:1]
	s_cselect_b32 s0, -1, 0
	s_delay_alu instid0(SALU_CYCLE_1) | instskip(NEXT) | instid1(SALU_CYCLE_1)
	s_or_b32 s0, s0, vcc_lo
	s_and_saveexec_b32 s1, s0
	s_delay_alu instid0(SALU_CYCLE_1)
	s_xor_b32 s0, exec_lo, s1
	s_cbranch_execnz .LBB125_264
; %bb.205:
	s_or_saveexec_b32 s40, s0
	s_mov_b32 s0, 0
	s_xor_b32 exec_lo, exec_lo, s40
	s_cbranch_execz .LBB125_306
.LBB125_206:
	global_load_b64 v[6:7], v9, s[10:11]
	global_load_b64 v[4:5], v8, s[12:13]
	s_load_b64 s[18:19], s[2:3], 0x280
	s_get_pc_i64 s[16:17]
	s_add_nc_u64 s[16:17], s[16:17], .str.8@rel64+4
	s_mov_b32 s41, s39
	s_wait_loadcnt 0x0
	v_sub_nc_u64_e32 v[8:9], v[4:5], v[6:7]
	s_delay_alu instid0(VALU_DEP_1)
	v_cmp_gt_i64_e32 vcc_lo, v[2:3], v[8:9]
	s_wait_kmcnt 0x0
	v_cmp_lt_i64_e64 s0, s[18:19], v[8:9]
	s_or_b32 s0, vcc_lo, s0
	s_cmp_eq_u64 s[16:17], 0
	s_cselect_b32 s1, -1, 0
	s_delay_alu instid0(SALU_CYCLE_1) | instskip(NEXT) | instid1(SALU_CYCLE_1)
	s_or_b32 s0, s1, s0
	s_and_saveexec_b32 s1, s0
	s_delay_alu instid0(SALU_CYCLE_1)
	s_xor_b32 s0, exec_lo, s1
	s_cbranch_execnz .LBB125_282
; %bb.207:
	s_or_saveexec_b32 s42, s0
	s_mov_b32 s0, 0
	s_xor_b32 exec_lo, exec_lo, s42
	s_cbranch_execz .LBB125_305
.LBB125_208:
	s_load_b32 s43, s[2:3], 0x290
	v_cmp_lt_i64_e32 vcc_lo, 0, v[0:1]
	v_mov_b64_e32 v[8:9], 0
	s_wait_kmcnt 0x0
	s_add_co_i32 s16, s43, -1
	s_delay_alu instid0(SALU_CYCLE_1) | instskip(SKIP_1) | instid1(SALU_CYCLE_1)
	s_cmp_gt_i32 s16, -1
	s_cselect_b32 s0, -1, 0
	s_and_b32 s50, vcc_lo, s0
	s_delay_alu instid0(SALU_CYCLE_1)
	s_and_saveexec_b32 s34, s50
	s_cbranch_execz .LBB125_215
; %bb.209:
	global_load_b64 v[8:9], v10, s[14:15]
	s_load_b128 s[24:27], s[2:3], 0x298
	s_mov_b32 s1, 0
	v_mov_b32_e32 v12, 0
	s_mov_b32 s17, s1
	s_mov_b64 s[20:21], 0xffffffff
	s_lshl_b64 s[28:29], s[16:17], 3
	s_mov_b32 s17, s43
	s_wait_kmcnt 0x0
	s_add_nc_u64 s[22:23], s[24:25], s[28:29]
	s_add_nc_u64 s[24:25], s[26:27], s[28:29]
	s_wait_loadcnt 0x0
	v_mul_u64_e32 v[10:11], v[8:9], v[0:1]
	v_mov_b64_e32 v[8:9], 0
	s_branch .LBB125_211
.LBB125_210:                            ;   in Loop: Header=BB125_211 Depth=1
	s_or_b32 exec_lo, exec_lo, s0
	global_load_b64 v[36:37], v12, s[24:25]
	v_mul_u64_e32 v[38:39], s[26:27], v[14:15]
	s_add_co_i32 s17, s17, -1
	s_add_nc_u64 s[22:23], s[22:23], -8
	s_cmp_eq_u32 s17, 0
	s_wait_xcnt 0x0
	s_add_nc_u64 s[24:25], s[24:25], -8
	s_delay_alu instid0(VALU_DEP_1) | instskip(SKIP_1) | instid1(VALU_DEP_1)
	v_sub_nc_u64_e32 v[10:11], v[10:11], v[38:39]
	s_wait_loadcnt 0x0
	v_mad_nc_u64_u32 v[8:9], v10, v36, v[8:9]
	s_delay_alu instid0(VALU_DEP_1) | instskip(NEXT) | instid1(VALU_DEP_1)
	v_mad_u32 v9, v11, v36, v9
	v_mad_u32 v9, v10, v37, v9
	v_mov_b64_e32 v[10:11], v[14:15]
	s_cbranch_scc1 .LBB125_215
.LBB125_211:                            ; =>This Inner Loop Header: Depth=1
	global_load_b64 v[14:15], v12, s[22:23]
	s_mov_b32 s0, exec_lo
	s_wait_loadcnt 0x0
	v_or_b32_e32 v13, v11, v15
	v_readfirstlane_b32 s26, v14
	v_readfirstlane_b32 s27, v15
                                        ; implicit-def: $vgpr14_vgpr15
	s_wait_xcnt 0x0
	s_delay_alu instid0(VALU_DEP_3)
	v_cmpx_ne_u64_e32 0, v[12:13]
	s_xor_b32 s35, exec_lo, s0
	s_cbranch_execz .LBB125_213
; %bb.212:                              ;   in Loop: Header=BB125_211 Depth=1
	s_ashr_i32 s28, s27, 31
	v_dual_mov_b32 v39, v12 :: v_dual_ashrrev_i32 v14, 31, v11
	s_mov_b32 s29, s28
	s_delay_alu instid0(SALU_CYCLE_1) | instskip(NEXT) | instid1(VALU_DEP_1)
	s_add_nc_u64 s[30:31], s[26:27], s[28:29]
	v_mov_b32_e32 v15, v14
	s_xor_b64 s[30:31], s[30:31], s[28:29]
	s_delay_alu instid0(SALU_CYCLE_1)
	s_cvt_f32_u32 s0, s30
	s_cvt_f32_u32 s29, s31
	s_sub_nc_u64 s[46:47], 0, s[30:31]
	v_add_nc_u64_e32 v[36:37], v[10:11], v[14:15]
	v_mov_b32_e32 v43, v12
	s_fmamk_f32 s0, s29, 0x4f800000, s0
	s_delay_alu instid0(SALU_CYCLE_3) | instskip(NEXT) | instid1(VALU_DEP_2)
	v_s_rcp_f32 s0, s0
	v_xor_b32_e32 v38, v36, v14
	s_delay_alu instid0(VALU_DEP_3) | instskip(SKIP_1) | instid1(TRANS32_DEP_1)
	v_dual_mov_b32 v47, v12 :: v_dual_bitop2_b32 v42, v37, v14 bitop3:0x14
	v_xor_b32_e32 v14, s28, v14
	s_mul_f32 s0, s0, 0x5f7ffffc
	s_delay_alu instid0(SALU_CYCLE_3) | instskip(NEXT) | instid1(SALU_CYCLE_3)
	s_mul_f32 s29, s0, 0x2f800000
	s_trunc_f32 s29, s29
	s_delay_alu instid0(SALU_CYCLE_3) | instskip(SKIP_1) | instid1(SALU_CYCLE_2)
	s_fmamk_f32 s0, s29, 0xcf800000, s0
	s_cvt_u32_f32 s45, s29
	s_cvt_u32_f32 s44, s0
	s_delay_alu instid0(SALU_CYCLE_3) | instskip(NEXT) | instid1(SALU_CYCLE_1)
	s_mul_u64 s[48:49], s[46:47], s[44:45]
	s_mul_hi_u32 s53, s44, s49
	s_mul_i32 s52, s44, s49
	s_mul_hi_u32 s0, s44, s48
	s_mul_i32 s51, s45, s48
	s_add_nc_u64 s[52:53], s[0:1], s[52:53]
	s_mul_hi_u32 s29, s45, s48
	s_mul_hi_u32 s54, s45, s49
	s_add_co_u32 s0, s52, s51
	s_add_co_ci_u32 s0, s53, s29
	s_mul_i32 s48, s45, s49
	s_add_co_ci_u32 s49, s54, 0
	s_delay_alu instid0(SALU_CYCLE_1) | instskip(NEXT) | instid1(SALU_CYCLE_1)
	s_add_nc_u64 s[48:49], s[0:1], s[48:49]
	s_add_co_u32 s44, s44, s48
	s_cselect_b32 s0, -1, 0
	s_delay_alu instid0(SALU_CYCLE_1) | instskip(SKIP_1) | instid1(SALU_CYCLE_1)
	s_cmp_lg_u32 s0, 0
	s_add_co_ci_u32 s45, s45, s49
	s_mul_u64 s[46:47], s[46:47], s[44:45]
	s_delay_alu instid0(SALU_CYCLE_1)
	s_mul_hi_u32 s49, s44, s47
	s_mul_i32 s48, s44, s47
	s_mul_hi_u32 s0, s44, s46
	s_mul_i32 s51, s45, s46
	s_add_nc_u64 s[48:49], s[0:1], s[48:49]
	s_mul_hi_u32 s29, s45, s46
	s_mul_hi_u32 s52, s45, s47
	s_add_co_u32 s0, s48, s51
	s_add_co_ci_u32 s0, s49, s29
	s_mul_i32 s46, s45, s47
	s_add_co_ci_u32 s47, s52, 0
	s_delay_alu instid0(SALU_CYCLE_1) | instskip(NEXT) | instid1(SALU_CYCLE_1)
	s_add_nc_u64 s[46:47], s[0:1], s[46:47]
	s_add_co_u32 s44, s44, s46
	s_cselect_b32 s0, -1, 0
	v_mul_hi_u32 v46, v38, s44
	s_cmp_lg_u32 s0, 0
	s_add_co_ci_u32 s0, s45, s47
	s_and_b64 s[46:47], s[44:45], s[20:21]
	v_mul_u64_e32 v[40:41], s[0:1], v[38:39]
	v_mul_u64_e32 v[36:37], s[46:47], v[42:43]
	;; [unrolled: 1-line block ×3, first 2 shown]
	s_delay_alu instid0(VALU_DEP_3) | instskip(NEXT) | instid1(VALU_DEP_1)
	v_add_nc_u64_e32 v[40:41], v[46:47], v[40:41]
	v_add_co_u32 v13, vcc_lo, v40, v36
	s_delay_alu instid0(VALU_DEP_2) | instskip(NEXT) | instid1(VALU_DEP_4)
	v_add_co_ci_u32_e32 v46, vcc_lo, v41, v37, vcc_lo
	v_add_co_ci_u32_e32 v45, vcc_lo, 0, v45, vcc_lo
	s_delay_alu instid0(VALU_DEP_1) | instskip(NEXT) | instid1(VALU_DEP_1)
	v_add_nc_u64_e32 v[36:37], v[46:47], v[44:45]
	v_mul_u64_e32 v[40:41], s[30:31], v[36:37]
	s_delay_alu instid0(VALU_DEP_1) | instskip(NEXT) | instid1(VALU_DEP_2)
	v_sub_nc_u32_e32 v13, v42, v41
	v_sub_co_u32 v15, vcc_lo, v38, v40
	s_delay_alu instid0(VALU_DEP_1) | instskip(NEXT) | instid1(VALU_DEP_3)
	v_sub_co_ci_u32_e64 v42, null, v42, v41, vcc_lo
	v_subrev_co_ci_u32_e64 v13, null, s31, v13, vcc_lo
	s_delay_alu instid0(VALU_DEP_3) | instskip(SKIP_1) | instid1(VALU_DEP_3)
	v_sub_co_u32 v35, s0, v15, s30
	v_add_nc_u64_e32 v[40:41], 1, v[36:37]
	v_subrev_co_ci_u32_e64 v13, null, 0, v13, s0
	s_delay_alu instid0(VALU_DEP_3) | instskip(SKIP_1) | instid1(VALU_DEP_3)
	v_cmp_le_u32_e32 vcc_lo, s30, v35
	v_cndmask_b32_e64 v35, 0, -1, vcc_lo
	v_cmp_le_u32_e32 vcc_lo, s31, v13
	v_cndmask_b32_e64 v38, 0, -1, vcc_lo
	v_cmp_le_u32_e32 vcc_lo, s30, v15
	v_cndmask_b32_e64 v15, 0, -1, vcc_lo
	v_cmp_le_u32_e32 vcc_lo, s31, v42
	v_cndmask_b32_e64 v43, 0, -1, vcc_lo
	v_cmp_eq_u32_e32 vcc_lo, s31, v13
	v_cndmask_b32_e32 v13, v38, v35, vcc_lo
	v_cmp_eq_u32_e32 vcc_lo, s31, v42
	v_add_nc_u64_e32 v[38:39], 2, v[36:37]
	v_cndmask_b32_e32 v15, v43, v15, vcc_lo
	s_delay_alu instid0(VALU_DEP_4) | instskip(NEXT) | instid1(VALU_DEP_2)
	v_cmp_ne_u32_e32 vcc_lo, 0, v13
	v_cmp_ne_u32_e64 s0, 0, v15
	s_delay_alu instid0(VALU_DEP_4) | instskip(NEXT) | instid1(VALU_DEP_1)
	v_dual_cndmask_b32 v13, v41, v39, vcc_lo :: v_dual_cndmask_b32 v15, v40, v38, vcc_lo
	v_dual_cndmask_b32 v35, v36, v15, s0 :: v_dual_mov_b32 v15, v14
	s_delay_alu instid0(VALU_DEP_1) | instskip(NEXT) | instid1(VALU_DEP_1)
	v_dual_cndmask_b32 v13, v37, v13, s0 :: v_dual_bitop2_b32 v36, v35, v14 bitop3:0x14
	v_xor_b32_e32 v37, v13, v14
	s_delay_alu instid0(VALU_DEP_1)
	v_sub_nc_u64_e32 v[14:15], v[36:37], v[14:15]
.LBB125_213:                            ;   in Loop: Header=BB125_211 Depth=1
	s_and_not1_saveexec_b32 s0, s35
	s_cbranch_execz .LBB125_210
; %bb.214:                              ;   in Loop: Header=BB125_211 Depth=1
	v_cvt_f32_u32_e32 v13, s26
	s_sub_co_i32 s28, 0, s26
	s_delay_alu instid0(VALU_DEP_1) | instskip(SKIP_1) | instid1(TRANS32_DEP_1)
	v_rcp_iflag_f32_e32 v13, v13
	v_nop
	v_mul_f32_e32 v13, 0x4f7ffffe, v13
	s_delay_alu instid0(VALU_DEP_1) | instskip(NEXT) | instid1(VALU_DEP_1)
	v_cvt_u32_f32_e32 v13, v13
	v_mul_lo_u32 v14, s28, v13
	s_delay_alu instid0(VALU_DEP_1) | instskip(NEXT) | instid1(VALU_DEP_1)
	v_mul_hi_u32 v14, v13, v14
	v_add_nc_u32_e32 v13, v13, v14
	s_delay_alu instid0(VALU_DEP_1) | instskip(NEXT) | instid1(VALU_DEP_1)
	v_mul_hi_u32 v13, v10, v13
	v_mul_lo_u32 v14, v13, s26
	s_delay_alu instid0(VALU_DEP_1) | instskip(NEXT) | instid1(VALU_DEP_1)
	v_dual_add_nc_u32 v15, 1, v13 :: v_dual_sub_nc_u32 v14, v10, v14
	v_subrev_nc_u32_e32 v35, s26, v14
	v_cmp_le_u32_e32 vcc_lo, s26, v14
	s_delay_alu instid0(VALU_DEP_2) | instskip(NEXT) | instid1(VALU_DEP_4)
	v_cndmask_b32_e32 v14, v14, v35, vcc_lo
	v_cndmask_b32_e32 v13, v13, v15, vcc_lo
	s_delay_alu instid0(VALU_DEP_2) | instskip(NEXT) | instid1(VALU_DEP_2)
	v_cmp_le_u32_e32 vcc_lo, s26, v14
	v_add_nc_u32_e32 v15, 1, v13
	s_delay_alu instid0(VALU_DEP_1)
	v_dual_cndmask_b32 v14, v13, v15 :: v_dual_mov_b32 v15, v12
	s_branch .LBB125_210
.LBB125_215:
	s_or_b32 exec_lo, exec_lo, s34
	s_load_b64 s[20:21], s[2:3], 0x2a8
	s_get_pc_i64 s[0:1]
	s_add_nc_u64 s[0:1], s[0:1], .str.9@rel64+4
	s_mov_b32 s44, s41
	s_cmp_lg_u64 s[0:1], 0
	s_mov_b32 s1, -1
	s_cselect_b32 s49, -1, 0
	s_mov_b32 s0, exec_lo
	v_cmpx_gt_i64_e64 v[4:5], v[6:7]
	s_cbranch_execz .LBB125_222
; %bb.216:
	v_lshlrev_b64_e32 v[8:9], 3, v[8:9]
	s_mov_b32 s17, 0
	s_xor_b32 s22, s49, -1
                                        ; implicit-def: $sgpr1
                                        ; implicit-def: $sgpr24
                                        ; implicit-def: $sgpr23
	s_delay_alu instid0(VALU_DEP_1) | instskip(SKIP_2) | instid1(VALU_DEP_2)
	v_lshl_add_u64 v[6:7], v[6:7], 3, v[8:9]
	s_wait_kmcnt 0x0
	v_add_nc_u64_e32 v[8:9], s[20:21], v[8:9]
	v_add_nc_u64_e32 v[6:7], s[20:21], v[6:7]
	s_delay_alu instid0(VALU_DEP_2) | instskip(NEXT) | instid1(VALU_DEP_2)
	v_lshl_add_u64 v[4:5], v[4:5], 3, v[8:9]
	v_add_nc_u64_e32 v[6:7], 8, v[6:7]
	s_branch .LBB125_218
.LBB125_217:                            ;   in Loop: Header=BB125_218 Depth=1
	s_or_b32 exec_lo, exec_lo, s25
	s_xor_b32 s25, s23, -1
	s_and_b32 s26, exec_lo, s24
	s_delay_alu instid0(SALU_CYCLE_1) | instskip(SKIP_2) | instid1(SALU_CYCLE_1)
	s_or_b32 s17, s26, s17
	s_and_not1_b32 s1, s1, exec_lo
	s_and_b32 s25, s25, exec_lo
	s_or_b32 s1, s1, s25
	s_and_not1_b32 exec_lo, exec_lo, s17
	s_cbranch_execz .LBB125_220
.LBB125_218:                            ; =>This Inner Loop Header: Depth=1
	s_or_b32 s23, s23, exec_lo
	s_or_b32 s24, s24, exec_lo
	s_mov_b32 s25, exec_lo
	s_delay_alu instid0(VALU_DEP_1)
	v_cmpx_lt_u64_e64 v[6:7], v[4:5]
	s_cbranch_execz .LBB125_217
; %bb.219:                              ;   in Loop: Header=BB125_218 Depth=1
	global_load_b128 v[8:11], v[6:7], off offset:-8
	s_wait_xcnt 0x0
	v_add_nc_u64_e32 v[6:7], 8, v[6:7]
	s_and_not1_b32 s24, s24, exec_lo
	s_and_not1_b32 s23, s23, exec_lo
	s_wait_loadcnt 0x0
	v_cmp_ge_i64_e32 vcc_lo, v[8:9], v[10:11]
	s_or_b32 s26, s22, vcc_lo
	s_delay_alu instid0(SALU_CYCLE_1) | instskip(NEXT) | instid1(SALU_CYCLE_1)
	s_and_b32 s26, s26, exec_lo
	s_or_b32 s24, s24, s26
	s_branch .LBB125_217
.LBB125_220:
	s_or_b32 exec_lo, exec_lo, s17
	s_mov_b32 s17, -1
	s_mov_b32 s22, s41
	s_and_saveexec_b32 s23, s1
	s_delay_alu instid0(SALU_CYCLE_1)
	s_xor_b32 s1, exec_lo, s23
	s_cbranch_execnz .LBB125_257
.LBB125_221:
	s_or_b32 exec_lo, exec_lo, s1
	s_delay_alu instid0(SALU_CYCLE_1) | instskip(SKIP_1) | instid1(SALU_CYCLE_1)
	s_and_not1_b32 s1, s41, exec_lo
	s_and_b32 s22, s22, exec_lo
	s_or_b32 s44, s1, s22
	s_or_not1_b32 s1, s17, exec_lo
.LBB125_222:
	s_or_b32 exec_lo, exec_lo, s0
	s_mov_b32 s0, 0
	s_and_saveexec_b32 s45, s1
	s_cbranch_execz .LBB125_304
; %bb.223:
	global_load_b64 v[4:5], v34, s[6:7]
	s_mov_b32 s46, s44
	s_mov_b32 s0, exec_lo
	s_wait_loadcnt 0x0
	v_cmpx_ne_u64_e64 v[4:5], v[2:3]
	s_xor_b32 s0, exec_lo, s0
	s_cbranch_execnz .LBB125_283
; %bb.224:
	s_or_saveexec_b32 s47, s0
	s_mov_b32 s0, 0
	s_xor_b32 exec_lo, exec_lo, s47
	s_cbranch_execz .LBB125_303
.LBB125_225:
	global_load_b64 v[4:5], v33, s[8:9]
	s_mov_b32 s48, s46
	s_mov_b32 s0, exec_lo
	s_wait_loadcnt 0x0
	v_cmpx_ne_u64_e64 v[4:5], v[0:1]
	s_xor_b32 s0, exec_lo, s0
	s_cbranch_execnz .LBB125_289
; %bb.226:
	s_or_saveexec_b32 s51, s0
	s_mov_b32 s0, 0
	s_xor_b32 exec_lo, exec_lo, s51
	s_cbranch_execz .LBB125_302
.LBB125_227:
	global_load_b64 v[6:7], v32, s[10:11]
	global_load_b64 v[4:5], v31, s[12:13]
	s_mov_b32 s52, s48
	s_wait_loadcnt 0x0
	v_sub_nc_u64_e32 v[8:9], v[4:5], v[6:7]
	s_delay_alu instid0(VALU_DEP_1) | instskip(SKIP_4) | instid1(SALU_CYCLE_1)
	v_cmp_gt_i64_e32 vcc_lo, v[2:3], v[8:9]
	v_cmp_lt_i64_e64 s0, s[18:19], v[8:9]
	s_or_b32 s0, vcc_lo, s0
	s_wait_xcnt 0x0
	s_and_saveexec_b32 s1, s0
	s_xor_b32 s0, exec_lo, s1
	s_cbranch_execnz .LBB125_311
; %bb.228:
	s_or_saveexec_b32 s53, s0
	s_mov_b32 s0, 0
	s_xor_b32 exec_lo, exec_lo, s53
	s_cbranch_execz .LBB125_301
.LBB125_229:
	v_mov_b64_e32 v[8:9], 0
	s_and_saveexec_b32 s54, s50
	s_cbranch_execz .LBB125_236
; %bb.230:
	global_load_b64 v[8:9], v30, s[14:15]
	s_load_b128 s[24:27], s[2:3], 0x298
	s_mov_b32 s1, 0
	v_mov_b32_e32 v12, 0
	s_mov_b32 s17, s1
	s_mov_b64 s[22:23], 0xffffffff
	s_lshl_b64 s[28:29], s[16:17], 3
	s_mov_b32 s17, s43
	s_wait_kmcnt 0x0
	s_add_nc_u64 s[24:25], s[24:25], s[28:29]
	s_add_nc_u64 s[26:27], s[26:27], s[28:29]
	s_wait_loadcnt 0x0
	v_mul_u64_e32 v[10:11], v[8:9], v[0:1]
	v_mov_b64_e32 v[8:9], 0
	s_branch .LBB125_232
.LBB125_231:                            ;   in Loop: Header=BB125_232 Depth=1
	s_or_b32 exec_lo, exec_lo, s0
	global_load_b64 v[30:31], v12, s[26:27]
	v_mul_u64_e32 v[32:33], s[28:29], v[14:15]
	s_add_co_i32 s17, s17, -1
	s_add_nc_u64 s[24:25], s[24:25], -8
	s_cmp_eq_u32 s17, 0
	s_wait_xcnt 0x0
	s_add_nc_u64 s[26:27], s[26:27], -8
	s_delay_alu instid0(VALU_DEP_1) | instskip(SKIP_1) | instid1(VALU_DEP_1)
	v_sub_nc_u64_e32 v[10:11], v[10:11], v[32:33]
	s_wait_loadcnt 0x0
	v_mad_nc_u64_u32 v[8:9], v10, v30, v[8:9]
	s_delay_alu instid0(VALU_DEP_1) | instskip(NEXT) | instid1(VALU_DEP_1)
	v_mad_u32 v9, v11, v30, v9
	v_mad_u32 v9, v10, v31, v9
	v_mov_b64_e32 v[10:11], v[14:15]
	s_cbranch_scc1 .LBB125_236
.LBB125_232:                            ; =>This Inner Loop Header: Depth=1
	global_load_b64 v[14:15], v12, s[24:25]
	s_mov_b32 s0, exec_lo
	s_wait_loadcnt 0x0
	v_or_b32_e32 v13, v11, v15
	v_readfirstlane_b32 s28, v14
	v_readfirstlane_b32 s29, v15
                                        ; implicit-def: $vgpr14_vgpr15
	s_wait_xcnt 0x0
	s_delay_alu instid0(VALU_DEP_3)
	v_cmpx_ne_u64_e32 0, v[12:13]
	s_xor_b32 s55, exec_lo, s0
	s_cbranch_execz .LBB125_234
; %bb.233:                              ;   in Loop: Header=BB125_232 Depth=1
	s_ashr_i32 s30, s29, 31
	v_dual_mov_b32 v33, v12 :: v_dual_ashrrev_i32 v14, 31, v11
	s_mov_b32 s31, s30
	v_mov_b32_e32 v37, v12
	s_add_nc_u64 s[34:35], s[28:29], s[30:31]
	s_delay_alu instid0(VALU_DEP_2)
	v_mov_b32_e32 v15, v14
	s_xor_b64 s[34:35], s[34:35], s[30:31]
	v_mov_b32_e32 v41, v12
	s_cvt_f32_u32 s0, s34
	s_cvt_f32_u32 s31, s35
	s_sub_nc_u64 s[58:59], 0, s[34:35]
	v_add_nc_u64_e32 v[30:31], v[10:11], v[14:15]
	s_delay_alu instid0(SALU_CYCLE_1) | instskip(NEXT) | instid1(SALU_CYCLE_3)
	s_fmamk_f32 s0, s31, 0x4f800000, s0
	v_s_rcp_f32 s0, s0
	s_delay_alu instid0(VALU_DEP_1) | instskip(NEXT) | instid1(VALU_DEP_2)
	v_xor_b32_e32 v32, v30, v14
	v_xor_b32_e32 v36, v31, v14
	s_delay_alu instid0(TRANS32_DEP_1) | instskip(NEXT) | instid1(SALU_CYCLE_3)
	s_mul_f32 s0, s0, 0x5f7ffffc
	s_mul_f32 s31, s0, 0x2f800000
	s_delay_alu instid0(SALU_CYCLE_3) | instskip(NEXT) | instid1(SALU_CYCLE_3)
	s_trunc_f32 s31, s31
	s_fmamk_f32 s0, s31, 0xcf800000, s0
	s_cvt_u32_f32 s57, s31
	s_delay_alu instid0(SALU_CYCLE_2) | instskip(NEXT) | instid1(SALU_CYCLE_3)
	s_cvt_u32_f32 s56, s0
	s_mul_u64 s[60:61], s[58:59], s[56:57]
	s_delay_alu instid0(SALU_CYCLE_1)
	s_mul_hi_u32 s63, s56, s61
	s_mul_i32 s62, s56, s61
	s_mul_hi_u32 s0, s56, s60
	s_mul_i32 s64, s57, s60
	s_add_nc_u64 s[62:63], s[0:1], s[62:63]
	s_mul_hi_u32 s31, s57, s60
	s_mul_hi_u32 s65, s57, s61
	s_add_co_u32 s0, s62, s64
	s_add_co_ci_u32 s0, s63, s31
	s_mul_i32 s60, s57, s61
	s_add_co_ci_u32 s61, s65, 0
	s_delay_alu instid0(SALU_CYCLE_1) | instskip(NEXT) | instid1(SALU_CYCLE_1)
	s_add_nc_u64 s[60:61], s[0:1], s[60:61]
	s_add_co_u32 s56, s56, s60
	s_cselect_b32 s0, -1, 0
	s_delay_alu instid0(SALU_CYCLE_1) | instskip(SKIP_1) | instid1(SALU_CYCLE_1)
	s_cmp_lg_u32 s0, 0
	s_add_co_ci_u32 s57, s57, s61
	s_mul_u64 s[58:59], s[58:59], s[56:57]
	s_delay_alu instid0(SALU_CYCLE_1)
	s_mul_hi_u32 s61, s56, s59
	s_mul_i32 s60, s56, s59
	s_mul_hi_u32 s0, s56, s58
	s_mul_i32 s62, s57, s58
	s_add_nc_u64 s[60:61], s[0:1], s[60:61]
	s_mul_hi_u32 s31, s57, s58
	s_mul_hi_u32 s63, s57, s59
	s_add_co_u32 s0, s60, s62
	s_add_co_ci_u32 s0, s61, s31
	s_mul_i32 s58, s57, s59
	s_add_co_ci_u32 s59, s63, 0
	s_delay_alu instid0(SALU_CYCLE_1) | instskip(NEXT) | instid1(SALU_CYCLE_1)
	s_add_nc_u64 s[58:59], s[0:1], s[58:59]
	s_add_co_u32 s56, s56, s58
	s_cselect_b32 s0, -1, 0
	v_mul_hi_u32 v40, v32, s56
	s_cmp_lg_u32 s0, 0
	s_add_co_ci_u32 s0, s57, s59
	s_and_b64 s[58:59], s[56:57], s[22:23]
	v_mul_u64_e32 v[34:35], s[0:1], v[32:33]
	v_mul_u64_e32 v[30:31], s[58:59], v[36:37]
	;; [unrolled: 1-line block ×3, first 2 shown]
	s_delay_alu instid0(VALU_DEP_3) | instskip(NEXT) | instid1(VALU_DEP_1)
	v_add_nc_u64_e32 v[34:35], v[40:41], v[34:35]
	v_add_co_u32 v13, vcc_lo, v34, v30
	s_delay_alu instid0(VALU_DEP_2) | instskip(NEXT) | instid1(VALU_DEP_4)
	v_add_co_ci_u32_e32 v40, vcc_lo, v35, v31, vcc_lo
	v_add_co_ci_u32_e32 v39, vcc_lo, 0, v39, vcc_lo
	s_delay_alu instid0(VALU_DEP_1) | instskip(NEXT) | instid1(VALU_DEP_1)
	v_add_nc_u64_e32 v[30:31], v[40:41], v[38:39]
	v_mul_u64_e32 v[34:35], s[34:35], v[30:31]
	s_delay_alu instid0(VALU_DEP_1) | instskip(NEXT) | instid1(VALU_DEP_2)
	v_sub_nc_u32_e32 v13, v36, v35
	v_sub_co_u32 v15, vcc_lo, v32, v34
	s_delay_alu instid0(VALU_DEP_1) | instskip(NEXT) | instid1(VALU_DEP_3)
	v_sub_co_ci_u32_e64 v36, null, v36, v35, vcc_lo
	v_subrev_co_ci_u32_e64 v13, null, s35, v13, vcc_lo
	s_delay_alu instid0(VALU_DEP_3) | instskip(SKIP_1) | instid1(VALU_DEP_3)
	v_sub_co_u32 v32, s0, v15, s34
	v_add_nc_u64_e32 v[34:35], 1, v[30:31]
	v_subrev_co_ci_u32_e64 v13, null, 0, v13, s0
	s_delay_alu instid0(VALU_DEP_3) | instskip(SKIP_1) | instid1(VALU_DEP_3)
	v_cmp_le_u32_e32 vcc_lo, s34, v32
	v_cndmask_b32_e64 v32, 0, -1, vcc_lo
	v_cmp_le_u32_e32 vcc_lo, s35, v13
	v_cndmask_b32_e64 v33, 0, -1, vcc_lo
	;; [unrolled: 2-line block ×4, first 2 shown]
	v_cmp_eq_u32_e32 vcc_lo, s35, v13
	v_cndmask_b32_e32 v13, v33, v32, vcc_lo
	v_cmp_eq_u32_e32 vcc_lo, s35, v36
	v_add_nc_u64_e32 v[32:33], 2, v[30:31]
	v_cndmask_b32_e32 v15, v37, v15, vcc_lo
	s_delay_alu instid0(VALU_DEP_4) | instskip(NEXT) | instid1(VALU_DEP_3)
	v_cmp_ne_u32_e32 vcc_lo, 0, v13
	v_cndmask_b32_e32 v13, v35, v33, vcc_lo
	s_delay_alu instid0(VALU_DEP_3) | instskip(SKIP_1) | instid1(VALU_DEP_1)
	v_cmp_ne_u32_e64 s0, 0, v15
	v_dual_cndmask_b32 v15, v34, v32, vcc_lo :: v_dual_bitop2_b32 v14, s30, v14 bitop3:0x14
	v_dual_cndmask_b32 v13, v31, v13, s0 :: v_dual_cndmask_b32 v30, v30, v15, s0
	s_delay_alu instid0(VALU_DEP_1) | instskip(NEXT) | instid1(VALU_DEP_2)
	v_dual_mov_b32 v15, v14 :: v_dual_bitop2_b32 v31, v13, v14 bitop3:0x14
	v_xor_b32_e32 v30, v30, v14
	s_delay_alu instid0(VALU_DEP_1)
	v_sub_nc_u64_e32 v[14:15], v[30:31], v[14:15]
.LBB125_234:                            ;   in Loop: Header=BB125_232 Depth=1
	s_and_not1_saveexec_b32 s0, s55
	s_cbranch_execz .LBB125_231
; %bb.235:                              ;   in Loop: Header=BB125_232 Depth=1
	v_cvt_f32_u32_e32 v13, s28
	s_sub_co_i32 s30, 0, s28
	s_delay_alu instid0(VALU_DEP_1) | instskip(SKIP_1) | instid1(TRANS32_DEP_1)
	v_rcp_iflag_f32_e32 v13, v13
	v_nop
	v_mul_f32_e32 v13, 0x4f7ffffe, v13
	s_delay_alu instid0(VALU_DEP_1) | instskip(NEXT) | instid1(VALU_DEP_1)
	v_cvt_u32_f32_e32 v13, v13
	v_mul_lo_u32 v14, s30, v13
	s_delay_alu instid0(VALU_DEP_1) | instskip(NEXT) | instid1(VALU_DEP_1)
	v_mul_hi_u32 v14, v13, v14
	v_add_nc_u32_e32 v13, v13, v14
	s_delay_alu instid0(VALU_DEP_1) | instskip(NEXT) | instid1(VALU_DEP_1)
	v_mul_hi_u32 v13, v10, v13
	v_mul_lo_u32 v14, v13, s28
	s_delay_alu instid0(VALU_DEP_1) | instskip(NEXT) | instid1(VALU_DEP_1)
	v_sub_nc_u32_e32 v14, v10, v14
	v_subrev_nc_u32_e32 v30, s28, v14
	v_cmp_le_u32_e32 vcc_lo, s28, v14
	s_delay_alu instid0(VALU_DEP_2) | instskip(NEXT) | instid1(VALU_DEP_1)
	v_dual_cndmask_b32 v14, v14, v30 :: v_dual_add_nc_u32 v15, 1, v13
	v_cndmask_b32_e32 v13, v13, v15, vcc_lo
	s_delay_alu instid0(VALU_DEP_2) | instskip(NEXT) | instid1(VALU_DEP_2)
	v_cmp_le_u32_e32 vcc_lo, s28, v14
	v_add_nc_u32_e32 v15, 1, v13
	s_delay_alu instid0(VALU_DEP_1)
	v_dual_cndmask_b32 v14, v13, v15 :: v_dual_mov_b32 v15, v12
	s_branch .LBB125_231
.LBB125_236:
	s_or_b32 exec_lo, exec_lo, s54
	s_mov_b32 s1, -1
	s_mov_b32 s54, s52
	s_mov_b32 s0, exec_lo
	v_cmpx_gt_i64_e64 v[4:5], v[6:7]
	s_cbranch_execz .LBB125_243
; %bb.237:
	s_delay_alu instid0(VALU_DEP_2) | instskip(SKIP_2) | instid1(VALU_DEP_1)
	v_lshlrev_b64_e32 v[8:9], 3, v[8:9]
	s_mov_b32 s17, 0
	s_xor_b32 s22, s49, -1
                                        ; implicit-def: $sgpr1
                                        ; implicit-def: $sgpr24
                                        ; implicit-def: $sgpr23
	v_lshl_add_u64 v[6:7], v[6:7], 3, v[8:9]
	s_wait_kmcnt 0x0
	v_add_nc_u64_e32 v[8:9], s[20:21], v[8:9]
	s_delay_alu instid0(VALU_DEP_2) | instskip(NEXT) | instid1(VALU_DEP_2)
	v_add_nc_u64_e32 v[6:7], s[20:21], v[6:7]
	v_lshl_add_u64 v[4:5], v[4:5], 3, v[8:9]
	s_delay_alu instid0(VALU_DEP_2)
	v_add_nc_u64_e32 v[6:7], 8, v[6:7]
	s_branch .LBB125_239
.LBB125_238:                            ;   in Loop: Header=BB125_239 Depth=1
	s_or_b32 exec_lo, exec_lo, s25
	s_xor_b32 s25, s23, -1
	s_and_b32 s26, exec_lo, s24
	s_delay_alu instid0(SALU_CYCLE_1) | instskip(SKIP_2) | instid1(SALU_CYCLE_1)
	s_or_b32 s17, s26, s17
	s_and_not1_b32 s1, s1, exec_lo
	s_and_b32 s25, s25, exec_lo
	s_or_b32 s1, s1, s25
	s_and_not1_b32 exec_lo, exec_lo, s17
	s_cbranch_execz .LBB125_241
.LBB125_239:                            ; =>This Inner Loop Header: Depth=1
	s_or_b32 s23, s23, exec_lo
	s_or_b32 s24, s24, exec_lo
	s_mov_b32 s25, exec_lo
	s_delay_alu instid0(VALU_DEP_1)
	v_cmpx_lt_u64_e64 v[6:7], v[4:5]
	s_cbranch_execz .LBB125_238
; %bb.240:                              ;   in Loop: Header=BB125_239 Depth=1
	global_load_b128 v[8:11], v[6:7], off offset:-8
	s_wait_xcnt 0x0
	v_add_nc_u64_e32 v[6:7], 8, v[6:7]
	s_and_not1_b32 s24, s24, exec_lo
	s_and_not1_b32 s23, s23, exec_lo
	s_wait_loadcnt 0x0
	v_cmp_ge_i64_e32 vcc_lo, v[8:9], v[10:11]
	s_or_b32 s26, s22, vcc_lo
	s_delay_alu instid0(SALU_CYCLE_1) | instskip(NEXT) | instid1(SALU_CYCLE_1)
	s_and_b32 s26, s26, exec_lo
	s_or_b32 s24, s24, s26
	s_branch .LBB125_238
.LBB125_241:
	s_or_b32 exec_lo, exec_lo, s17
	s_mov_b32 s17, -1
	s_mov_b32 s22, s52
	s_and_saveexec_b32 s23, s1
	s_delay_alu instid0(SALU_CYCLE_1)
	s_xor_b32 s1, exec_lo, s23
	s_cbranch_execnz .LBB125_281
.LBB125_242:
	s_or_b32 exec_lo, exec_lo, s1
	s_delay_alu instid0(SALU_CYCLE_1) | instskip(SKIP_1) | instid1(SALU_CYCLE_1)
	s_and_not1_b32 s1, s52, exec_lo
	s_and_b32 s22, s22, exec_lo
	s_or_b32 s54, s1, s22
	s_or_not1_b32 s1, s17, exec_lo
.LBB125_243:
	s_or_b32 exec_lo, exec_lo, s0
	s_mov_b32 s0, 0
	s_and_saveexec_b32 s55, s1
	s_cbranch_execz .LBB125_300
; %bb.244:
	global_load_b64 v[4:5], v29, s[6:7]
	s_mov_b32 s56, s54
	s_mov_b32 s0, exec_lo
	s_wait_loadcnt 0x0
	v_cmpx_ne_u64_e64 v[4:5], v[2:3]
	s_xor_b32 s0, exec_lo, s0
	s_cbranch_execnz .LBB125_312
; %bb.245:
	s_or_saveexec_b32 s57, s0
	s_mov_b32 s0, 0
	s_xor_b32 exec_lo, exec_lo, s57
	s_cbranch_execz .LBB125_299
.LBB125_246:
	global_load_b64 v[4:5], v28, s[8:9]
	s_mov_b32 s58, s56
	s_mov_b32 s0, exec_lo
	s_wait_loadcnt 0x0
	v_cmpx_ne_u64_e64 v[4:5], v[0:1]
	s_xor_b32 s0, exec_lo, s0
	s_cbranch_execnz .LBB125_313
; %bb.247:
	s_or_saveexec_b32 s59, s0
	s_mov_b32 s0, 0
	s_xor_b32 exec_lo, exec_lo, s59
	s_cbranch_execz .LBB125_298
.LBB125_248:
	global_load_b64 v[6:7], v27, s[10:11]
	global_load_b64 v[4:5], v26, s[12:13]
	s_mov_b32 s60, s58
	s_wait_loadcnt 0x0
	v_sub_nc_u64_e32 v[8:9], v[4:5], v[6:7]
	s_delay_alu instid0(VALU_DEP_1) | instskip(SKIP_4) | instid1(SALU_CYCLE_1)
	v_cmp_gt_i64_e32 vcc_lo, v[2:3], v[8:9]
	v_cmp_lt_i64_e64 s0, s[18:19], v[8:9]
	s_or_b32 s0, vcc_lo, s0
	s_wait_xcnt 0x0
	s_and_saveexec_b32 s1, s0
	s_xor_b32 s0, exec_lo, s1
	s_cbranch_execnz .LBB125_315
; %bb.249:
	s_or_saveexec_b32 s61, s0
	s_mov_b32 s0, 0
	s_xor_b32 exec_lo, exec_lo, s61
	s_cbranch_execz .LBB125_297
.LBB125_250:
	v_mov_b64_e32 v[8:9], 0
	s_and_saveexec_b32 s62, s50
	s_cbranch_execz .LBB125_259
; %bb.251:
	global_load_b64 v[8:9], v25, s[14:15]
	s_load_b128 s[24:27], s[2:3], 0x298
	s_mov_b32 s1, 0
	v_mov_b32_e32 v12, 0
	s_mov_b32 s17, s1
	s_mov_b64 s[22:23], 0xffffffff
	s_lshl_b64 s[28:29], s[16:17], 3
	s_mov_b32 s17, s43
	s_wait_kmcnt 0x0
	s_add_nc_u64 s[24:25], s[24:25], s[28:29]
	s_add_nc_u64 s[26:27], s[26:27], s[28:29]
	s_wait_loadcnt 0x0
	v_mul_u64_e32 v[10:11], v[8:9], v[0:1]
	v_mov_b64_e32 v[8:9], 0
	s_branch .LBB125_253
.LBB125_252:                            ;   in Loop: Header=BB125_253 Depth=1
	s_or_b32 exec_lo, exec_lo, s0
	global_load_b64 v[26:27], v12, s[26:27]
	v_mul_u64_e32 v[28:29], s[28:29], v[14:15]
	s_add_co_i32 s17, s17, -1
	s_add_nc_u64 s[24:25], s[24:25], -8
	s_cmp_eq_u32 s17, 0
	s_wait_xcnt 0x0
	s_add_nc_u64 s[26:27], s[26:27], -8
	s_delay_alu instid0(VALU_DEP_1) | instskip(SKIP_1) | instid1(VALU_DEP_1)
	v_sub_nc_u64_e32 v[10:11], v[10:11], v[28:29]
	s_wait_loadcnt 0x0
	v_mad_nc_u64_u32 v[8:9], v10, v26, v[8:9]
	s_delay_alu instid0(VALU_DEP_1) | instskip(NEXT) | instid1(VALU_DEP_1)
	v_mad_u32 v9, v11, v26, v9
	v_mad_u32 v9, v10, v27, v9
	v_mov_b64_e32 v[10:11], v[14:15]
	s_cbranch_scc1 .LBB125_259
.LBB125_253:                            ; =>This Inner Loop Header: Depth=1
	global_load_b64 v[14:15], v12, s[24:25]
	s_mov_b32 s0, exec_lo
	s_wait_loadcnt 0x0
	v_or_b32_e32 v13, v11, v15
	v_readfirstlane_b32 s28, v14
	v_readfirstlane_b32 s29, v15
                                        ; implicit-def: $vgpr14_vgpr15
	s_wait_xcnt 0x0
	s_delay_alu instid0(VALU_DEP_3)
	v_cmpx_ne_u64_e32 0, v[12:13]
	s_xor_b32 s63, exec_lo, s0
	s_cbranch_execz .LBB125_255
; %bb.254:                              ;   in Loop: Header=BB125_253 Depth=1
	s_ashr_i32 s30, s29, 31
	v_dual_mov_b32 v29, v12 :: v_dual_ashrrev_i32 v14, 31, v11
	s_mov_b32 s31, s30
	v_mov_b32_e32 v33, v12
	s_add_nc_u64 s[34:35], s[28:29], s[30:31]
	s_delay_alu instid0(VALU_DEP_2)
	v_mov_b32_e32 v15, v14
	s_xor_b64 s[34:35], s[34:35], s[30:31]
	v_mov_b32_e32 v37, v12
	s_cvt_f32_u32 s0, s34
	s_cvt_f32_u32 s31, s35
	s_sub_nc_u64 s[66:67], 0, s[34:35]
	v_add_nc_u64_e32 v[26:27], v[10:11], v[14:15]
	s_delay_alu instid0(SALU_CYCLE_1) | instskip(NEXT) | instid1(SALU_CYCLE_3)
	s_fmamk_f32 s0, s31, 0x4f800000, s0
	v_s_rcp_f32 s0, s0
	s_delay_alu instid0(VALU_DEP_1) | instskip(NEXT) | instid1(VALU_DEP_2)
	v_xor_b32_e32 v28, v26, v14
	v_xor_b32_e32 v32, v27, v14
	s_delay_alu instid0(TRANS32_DEP_1) | instskip(NEXT) | instid1(SALU_CYCLE_3)
	s_mul_f32 s0, s0, 0x5f7ffffc
	s_mul_f32 s31, s0, 0x2f800000
	s_delay_alu instid0(SALU_CYCLE_3) | instskip(NEXT) | instid1(SALU_CYCLE_3)
	s_trunc_f32 s31, s31
	s_fmamk_f32 s0, s31, 0xcf800000, s0
	s_cvt_u32_f32 s65, s31
	s_delay_alu instid0(SALU_CYCLE_2) | instskip(NEXT) | instid1(SALU_CYCLE_3)
	s_cvt_u32_f32 s64, s0
	s_mul_u64 s[68:69], s[66:67], s[64:65]
	s_delay_alu instid0(SALU_CYCLE_1)
	s_mul_hi_u32 s71, s64, s69
	s_mul_i32 s70, s64, s69
	s_mul_hi_u32 s0, s64, s68
	s_mul_i32 s72, s65, s68
	s_add_nc_u64 s[70:71], s[0:1], s[70:71]
	s_mul_hi_u32 s31, s65, s68
	s_mul_hi_u32 s73, s65, s69
	s_add_co_u32 s0, s70, s72
	s_add_co_ci_u32 s0, s71, s31
	s_mul_i32 s68, s65, s69
	s_add_co_ci_u32 s69, s73, 0
	s_delay_alu instid0(SALU_CYCLE_1) | instskip(NEXT) | instid1(SALU_CYCLE_1)
	s_add_nc_u64 s[68:69], s[0:1], s[68:69]
	s_add_co_u32 s64, s64, s68
	s_cselect_b32 s0, -1, 0
	s_delay_alu instid0(SALU_CYCLE_1) | instskip(SKIP_1) | instid1(SALU_CYCLE_1)
	s_cmp_lg_u32 s0, 0
	s_add_co_ci_u32 s65, s65, s69
	s_mul_u64 s[66:67], s[66:67], s[64:65]
	s_delay_alu instid0(SALU_CYCLE_1)
	s_mul_hi_u32 s69, s64, s67
	s_mul_i32 s68, s64, s67
	s_mul_hi_u32 s0, s64, s66
	s_mul_i32 s70, s65, s66
	s_add_nc_u64 s[68:69], s[0:1], s[68:69]
	s_mul_hi_u32 s31, s65, s66
	s_mul_hi_u32 s71, s65, s67
	s_add_co_u32 s0, s68, s70
	s_add_co_ci_u32 s0, s69, s31
	s_mul_i32 s66, s65, s67
	s_add_co_ci_u32 s67, s71, 0
	s_delay_alu instid0(SALU_CYCLE_1) | instskip(NEXT) | instid1(SALU_CYCLE_1)
	s_add_nc_u64 s[66:67], s[0:1], s[66:67]
	s_add_co_u32 s64, s64, s66
	s_cselect_b32 s0, -1, 0
	v_mul_hi_u32 v36, v28, s64
	s_cmp_lg_u32 s0, 0
	s_add_co_ci_u32 s0, s65, s67
	s_and_b64 s[66:67], s[64:65], s[22:23]
	v_mul_u64_e32 v[30:31], s[0:1], v[28:29]
	v_mul_u64_e32 v[26:27], s[66:67], v[32:33]
	;; [unrolled: 1-line block ×3, first 2 shown]
	s_delay_alu instid0(VALU_DEP_3) | instskip(NEXT) | instid1(VALU_DEP_1)
	v_add_nc_u64_e32 v[30:31], v[36:37], v[30:31]
	v_add_co_u32 v13, vcc_lo, v30, v26
	s_delay_alu instid0(VALU_DEP_2) | instskip(NEXT) | instid1(VALU_DEP_4)
	v_add_co_ci_u32_e32 v36, vcc_lo, v31, v27, vcc_lo
	v_add_co_ci_u32_e32 v35, vcc_lo, 0, v35, vcc_lo
	s_delay_alu instid0(VALU_DEP_1) | instskip(NEXT) | instid1(VALU_DEP_1)
	v_add_nc_u64_e32 v[26:27], v[36:37], v[34:35]
	v_mul_u64_e32 v[30:31], s[34:35], v[26:27]
	s_delay_alu instid0(VALU_DEP_1) | instskip(NEXT) | instid1(VALU_DEP_2)
	v_sub_nc_u32_e32 v13, v32, v31
	v_sub_co_u32 v15, vcc_lo, v28, v30
	s_delay_alu instid0(VALU_DEP_1) | instskip(NEXT) | instid1(VALU_DEP_3)
	v_sub_co_ci_u32_e64 v32, null, v32, v31, vcc_lo
	v_subrev_co_ci_u32_e64 v13, null, s35, v13, vcc_lo
	s_delay_alu instid0(VALU_DEP_3) | instskip(SKIP_1) | instid1(VALU_DEP_3)
	v_sub_co_u32 v25, s0, v15, s34
	v_add_nc_u64_e32 v[30:31], 1, v[26:27]
	v_subrev_co_ci_u32_e64 v13, null, 0, v13, s0
	s_delay_alu instid0(VALU_DEP_3) | instskip(SKIP_1) | instid1(VALU_DEP_3)
	v_cmp_le_u32_e32 vcc_lo, s34, v25
	v_cndmask_b32_e64 v25, 0, -1, vcc_lo
	v_cmp_le_u32_e32 vcc_lo, s35, v13
	v_cndmask_b32_e64 v28, 0, -1, vcc_lo
	;; [unrolled: 2-line block ×4, first 2 shown]
	v_cmp_eq_u32_e32 vcc_lo, s35, v13
	v_cndmask_b32_e32 v13, v28, v25, vcc_lo
	v_cmp_eq_u32_e32 vcc_lo, s35, v32
	v_add_nc_u64_e32 v[28:29], 2, v[26:27]
	v_cndmask_b32_e32 v15, v33, v15, vcc_lo
	s_delay_alu instid0(VALU_DEP_4) | instskip(NEXT) | instid1(VALU_DEP_3)
	v_cmp_ne_u32_e32 vcc_lo, 0, v13
	v_cndmask_b32_e32 v13, v31, v29, vcc_lo
	s_delay_alu instid0(VALU_DEP_3) | instskip(SKIP_1) | instid1(VALU_DEP_1)
	v_cmp_ne_u32_e64 s0, 0, v15
	v_dual_cndmask_b32 v15, v30, v28, vcc_lo :: v_dual_bitop2_b32 v14, s30, v14 bitop3:0x14
	v_dual_cndmask_b32 v13, v27, v13, s0 :: v_dual_cndmask_b32 v25, v26, v15, s0
	s_delay_alu instid0(VALU_DEP_1) | instskip(NEXT) | instid1(VALU_DEP_2)
	v_dual_mov_b32 v15, v14 :: v_dual_bitop2_b32 v27, v13, v14 bitop3:0x14
	v_xor_b32_e32 v26, v25, v14
	s_delay_alu instid0(VALU_DEP_1)
	v_sub_nc_u64_e32 v[14:15], v[26:27], v[14:15]
.LBB125_255:                            ;   in Loop: Header=BB125_253 Depth=1
	s_and_not1_saveexec_b32 s0, s63
	s_cbranch_execz .LBB125_252
; %bb.256:                              ;   in Loop: Header=BB125_253 Depth=1
	v_cvt_f32_u32_e32 v13, s28
	s_sub_co_i32 s30, 0, s28
	s_delay_alu instid0(VALU_DEP_1) | instskip(SKIP_1) | instid1(TRANS32_DEP_1)
	v_rcp_iflag_f32_e32 v13, v13
	v_nop
	v_mul_f32_e32 v13, 0x4f7ffffe, v13
	s_delay_alu instid0(VALU_DEP_1) | instskip(NEXT) | instid1(VALU_DEP_1)
	v_cvt_u32_f32_e32 v13, v13
	v_mul_lo_u32 v14, s30, v13
	s_delay_alu instid0(VALU_DEP_1) | instskip(NEXT) | instid1(VALU_DEP_1)
	v_mul_hi_u32 v14, v13, v14
	v_add_nc_u32_e32 v13, v13, v14
	s_delay_alu instid0(VALU_DEP_1) | instskip(NEXT) | instid1(VALU_DEP_1)
	v_mul_hi_u32 v13, v10, v13
	v_mul_lo_u32 v14, v13, s28
	s_delay_alu instid0(VALU_DEP_1) | instskip(NEXT) | instid1(VALU_DEP_1)
	v_dual_add_nc_u32 v15, 1, v13 :: v_dual_sub_nc_u32 v14, v10, v14
	v_subrev_nc_u32_e32 v25, s28, v14
	v_cmp_le_u32_e32 vcc_lo, s28, v14
	s_delay_alu instid0(VALU_DEP_2) | instskip(NEXT) | instid1(VALU_DEP_1)
	v_dual_cndmask_b32 v14, v14, v25 :: v_dual_cndmask_b32 v13, v13, v15
	v_cmp_le_u32_e32 vcc_lo, s28, v14
	s_delay_alu instid0(VALU_DEP_2) | instskip(NEXT) | instid1(VALU_DEP_1)
	v_add_nc_u32_e32 v15, 1, v13
	v_dual_cndmask_b32 v14, v13, v15 :: v_dual_mov_b32 v15, v12
	s_branch .LBB125_252
.LBB125_257:
	s_or_b32 s22, s41, exec_lo
	s_xor_b32 s17, exec_lo, -1
	s_trap 2
	s_branch .LBB125_221
.LBB125_258:
	s_or_b32 s33, s36, exec_lo
	s_trap 2
                                        ; implicit-def: $vgpr8
                                        ; implicit-def: $vgpr10
                                        ; implicit-def: $vgpr1
                                        ; implicit-def: $vgpr9
                                        ; implicit-def: $vgpr31
                                        ; implicit-def: $vgpr30
                                        ; implicit-def: $vgpr33
                                        ; implicit-def: $vgpr32
                                        ; implicit-def: $vgpr34
                                        ; implicit-def: $vgpr26
                                        ; implicit-def: $vgpr25
                                        ; implicit-def: $vgpr28
                                        ; implicit-def: $vgpr27
                                        ; implicit-def: $vgpr29
                                        ; implicit-def: $vgpr21
                                        ; implicit-def: $vgpr20
                                        ; implicit-def: $vgpr23
                                        ; implicit-def: $vgpr22
                                        ; implicit-def: $vgpr24
                                        ; implicit-def: $vgpr2_vgpr3
	s_or_saveexec_b32 s38, s0
	s_mov_b32 s0, 0
	s_xor_b32 exec_lo, exec_lo, s38
	s_cbranch_execnz .LBB125_204
	s_branch .LBB125_307
.LBB125_259:
	s_or_b32 exec_lo, exec_lo, s62
	s_mov_b32 s17, -1
	s_mov_b32 s1, s60
	s_mov_b32 s0, exec_lo
	v_cmpx_gt_i64_e64 v[4:5], v[6:7]
	s_cbranch_execz .LBB125_267
; %bb.260:
	s_delay_alu instid0(VALU_DEP_2) | instskip(SKIP_2) | instid1(VALU_DEP_1)
	v_lshlrev_b64_e32 v[8:9], 3, v[8:9]
	s_mov_b32 s17, 0
	s_xor_b32 s22, s49, -1
                                        ; implicit-def: $sgpr1
                                        ; implicit-def: $sgpr24
                                        ; implicit-def: $sgpr23
	v_lshl_add_u64 v[6:7], v[6:7], 3, v[8:9]
	s_wait_kmcnt 0x0
	v_add_nc_u64_e32 v[8:9], s[20:21], v[8:9]
	s_delay_alu instid0(VALU_DEP_2) | instskip(NEXT) | instid1(VALU_DEP_2)
	v_add_nc_u64_e32 v[6:7], s[20:21], v[6:7]
	v_lshl_add_u64 v[4:5], v[4:5], 3, v[8:9]
	s_delay_alu instid0(VALU_DEP_2)
	v_add_nc_u64_e32 v[6:7], 8, v[6:7]
	s_branch .LBB125_262
.LBB125_261:                            ;   in Loop: Header=BB125_262 Depth=1
	s_or_b32 exec_lo, exec_lo, s25
	s_xor_b32 s25, s23, -1
	s_and_b32 s26, exec_lo, s24
	s_delay_alu instid0(SALU_CYCLE_1) | instskip(SKIP_2) | instid1(SALU_CYCLE_1)
	s_or_b32 s17, s26, s17
	s_and_not1_b32 s1, s1, exec_lo
	s_and_b32 s25, s25, exec_lo
	s_or_b32 s1, s1, s25
	s_and_not1_b32 exec_lo, exec_lo, s17
	s_cbranch_execz .LBB125_265
.LBB125_262:                            ; =>This Inner Loop Header: Depth=1
	s_or_b32 s23, s23, exec_lo
	s_or_b32 s24, s24, exec_lo
	s_mov_b32 s25, exec_lo
	s_delay_alu instid0(VALU_DEP_1)
	v_cmpx_lt_u64_e64 v[6:7], v[4:5]
	s_cbranch_execz .LBB125_261
; %bb.263:                              ;   in Loop: Header=BB125_262 Depth=1
	global_load_b128 v[8:11], v[6:7], off offset:-8
	s_wait_xcnt 0x0
	v_add_nc_u64_e32 v[6:7], 8, v[6:7]
	s_and_not1_b32 s24, s24, exec_lo
	s_and_not1_b32 s23, s23, exec_lo
	s_wait_loadcnt 0x0
	v_cmp_ge_i64_e32 vcc_lo, v[8:9], v[10:11]
	s_or_b32 s26, s22, vcc_lo
	s_delay_alu instid0(SALU_CYCLE_1) | instskip(NEXT) | instid1(SALU_CYCLE_1)
	s_and_b32 s26, s26, exec_lo
	s_or_b32 s24, s24, s26
	s_branch .LBB125_261
.LBB125_264:
	s_or_b32 s39, s33, exec_lo
	s_trap 2
                                        ; implicit-def: $vgpr0_vgpr1
                                        ; implicit-def: $vgpr8
                                        ; implicit-def: $vgpr10
                                        ; implicit-def: $vgpr9
                                        ; implicit-def: $vgpr31
                                        ; implicit-def: $vgpr30
                                        ; implicit-def: $vgpr33
                                        ; implicit-def: $vgpr32
                                        ; implicit-def: $vgpr34
                                        ; implicit-def: $vgpr26
                                        ; implicit-def: $vgpr25
                                        ; implicit-def: $vgpr28
                                        ; implicit-def: $vgpr27
                                        ; implicit-def: $vgpr29
                                        ; implicit-def: $vgpr21
                                        ; implicit-def: $vgpr20
                                        ; implicit-def: $vgpr23
                                        ; implicit-def: $vgpr22
                                        ; implicit-def: $vgpr24
                                        ; implicit-def: $vgpr2_vgpr3
	s_or_saveexec_b32 s40, s0
	s_mov_b32 s0, 0
	s_xor_b32 exec_lo, exec_lo, s40
	s_cbranch_execnz .LBB125_206
	s_branch .LBB125_306
.LBB125_265:
	s_or_b32 exec_lo, exec_lo, s17
	s_mov_b32 s17, -1
	s_mov_b32 s22, s60
	s_and_saveexec_b32 s23, s1
	s_delay_alu instid0(SALU_CYCLE_1)
	s_xor_b32 s1, exec_lo, s23
	s_cbranch_execnz .LBB125_310
.LBB125_266:
	s_or_b32 exec_lo, exec_lo, s1
	s_delay_alu instid0(SALU_CYCLE_1)
	s_and_not1_b32 s1, s60, exec_lo
	s_and_b32 s22, s22, exec_lo
	s_or_not1_b32 s17, s17, exec_lo
	s_or_b32 s1, s1, s22
.LBB125_267:
	s_or_b32 exec_lo, exec_lo, s0
	s_mov_b32 s0, 0
	s_and_saveexec_b32 s22, s17
	s_cbranch_execz .LBB125_296
; %bb.268:
	global_load_b64 v[4:5], v24, s[6:7]
	s_mov_b32 s23, s1
	s_mov_b32 s0, exec_lo
	s_wait_loadcnt 0x0
	v_cmpx_ne_u64_e64 v[4:5], v[2:3]
	s_xor_b32 s0, exec_lo, s0
	s_cbranch_execnz .LBB125_316
; %bb.269:
	s_or_saveexec_b32 s24, s0
	s_mov_b32 s0, 0
	s_xor_b32 exec_lo, exec_lo, s24
	s_cbranch_execz .LBB125_295
.LBB125_270:
	global_load_b64 v[4:5], v23, s[8:9]
	s_mov_b32 s25, s23
	s_mov_b32 s0, exec_lo
	s_wait_loadcnt 0x0
	v_cmpx_ne_u64_e64 v[4:5], v[0:1]
	s_xor_b32 s0, exec_lo, s0
	s_cbranch_execnz .LBB125_317
; %bb.271:
	s_or_saveexec_b32 s26, s0
	s_mov_b32 s0, 0
	s_xor_b32 exec_lo, exec_lo, s26
	s_cbranch_execz .LBB125_294
.LBB125_272:
	global_load_b64 v[6:7], v22, s[10:11]
	global_load_b64 v[4:5], v21, s[12:13]
	s_wait_loadcnt 0x0
	v_sub_nc_u64_e32 v[8:9], v[4:5], v[6:7]
	s_delay_alu instid0(VALU_DEP_1)
	v_cmp_gt_i64_e32 vcc_lo, v[2:3], v[8:9]
	v_cmp_lt_i64_e64 s0, s[18:19], v[8:9]
	s_mov_b32 s18, s25
	s_or_b32 s0, vcc_lo, s0
	s_wait_xcnt 0x0
	s_and_saveexec_b32 s6, s0
	s_delay_alu instid0(SALU_CYCLE_1)
	s_xor_b32 s0, exec_lo, s6
	s_cbranch_execnz .LBB125_318
; %bb.273:
	s_or_saveexec_b32 s19, s0
	s_mov_b32 s0, 0
	s_xor_b32 exec_lo, exec_lo, s19
	s_cbranch_execz .LBB125_293
.LBB125_274:
	v_mov_b64_e32 v[2:3], 0
	s_and_saveexec_b32 s27, s50
	s_cbranch_execz .LBB125_284
; %bb.275:
	global_load_b64 v[2:3], v20, s[14:15]
	s_load_b128 s[8:11], s[2:3], 0x298
	s_mov_b32 s17, 0
	v_mov_b32_e32 v8, 0
	s_lshl_b64 s[12:13], s[16:17], 3
	s_wait_xcnt 0x0
	s_mov_b64 s[2:3], 0xffffffff
	s_wait_kmcnt 0x0
	s_add_nc_u64 s[6:7], s[8:9], s[12:13]
	s_add_nc_u64 s[8:9], s[10:11], s[12:13]
	s_wait_loadcnt 0x0
	v_mul_u64_e32 v[0:1], v[2:3], v[0:1]
	v_mov_b64_e32 v[2:3], 0
	s_branch .LBB125_277
.LBB125_276:                            ;   in Loop: Header=BB125_277 Depth=1
	s_or_b32 exec_lo, exec_lo, s0
	global_load_b64 v[12:13], v8, s[8:9]
	v_mul_u64_e32 v[14:15], s[10:11], v[10:11]
	s_add_co_i32 s43, s43, -1
	s_add_nc_u64 s[6:7], s[6:7], -8
	s_cmp_eq_u32 s43, 0
	s_wait_xcnt 0x0
	s_add_nc_u64 s[8:9], s[8:9], -8
	s_delay_alu instid0(VALU_DEP_1) | instskip(SKIP_1) | instid1(VALU_DEP_1)
	v_sub_nc_u64_e32 v[0:1], v[0:1], v[14:15]
	s_wait_loadcnt 0x0
	v_mad_nc_u64_u32 v[2:3], v0, v12, v[2:3]
	s_delay_alu instid0(VALU_DEP_1) | instskip(NEXT) | instid1(VALU_DEP_1)
	v_mad_u32 v1, v1, v12, v3
	v_mad_u32 v3, v0, v13, v1
	v_mov_b64_e32 v[0:1], v[10:11]
	s_cbranch_scc1 .LBB125_284
.LBB125_277:                            ; =>This Inner Loop Header: Depth=1
	global_load_b64 v[10:11], v8, s[6:7]
	s_mov_b32 s0, exec_lo
	s_wait_loadcnt 0x0
	v_or_b32_e32 v9, v1, v11
	v_readfirstlane_b32 s10, v10
	v_readfirstlane_b32 s11, v11
                                        ; implicit-def: $vgpr10_vgpr11
	s_wait_xcnt 0x0
	s_delay_alu instid0(VALU_DEP_3)
	v_cmpx_ne_u64_e32 0, v[8:9]
	s_xor_b32 s28, exec_lo, s0
	s_cbranch_execz .LBB125_279
; %bb.278:                              ;   in Loop: Header=BB125_277 Depth=1
	s_ashr_i32 s12, s11, 31
	v_dual_mov_b32 v15, v8 :: v_dual_ashrrev_i32 v10, 31, v1
	s_mov_b32 s13, s12
	s_delay_alu instid0(SALU_CYCLE_1) | instskip(NEXT) | instid1(VALU_DEP_1)
	s_add_nc_u64 s[14:15], s[10:11], s[12:13]
	v_mov_b32_e32 v11, v10
	s_xor_b64 s[14:15], s[14:15], s[12:13]
	s_delay_alu instid0(SALU_CYCLE_1)
	s_cvt_f32_u32 s0, s14
	s_cvt_f32_u32 s13, s15
	s_sub_nc_u64 s[34:35], 0, s[14:15]
	v_add_nc_u64_e32 v[12:13], v[0:1], v[10:11]
	v_mov_b32_e32 v23, v8
	s_fmamk_f32 s0, s13, 0x4f800000, s0
	s_delay_alu instid0(SALU_CYCLE_3) | instskip(NEXT) | instid1(VALU_DEP_2)
	v_s_rcp_f32 s0, s0
	v_xor_b32_e32 v14, v12, v10
	s_delay_alu instid0(VALU_DEP_3) | instskip(SKIP_1) | instid1(TRANS32_DEP_1)
	v_dual_mov_b32 v27, v8 :: v_dual_bitop2_b32 v22, v13, v10 bitop3:0x14
	v_xor_b32_e32 v10, s12, v10
	s_mul_f32 s0, s0, 0x5f7ffffc
	s_delay_alu instid0(SALU_CYCLE_3) | instskip(NEXT) | instid1(SALU_CYCLE_3)
	s_mul_f32 s13, s0, 0x2f800000
	s_trunc_f32 s13, s13
	s_delay_alu instid0(SALU_CYCLE_3) | instskip(SKIP_1) | instid1(SALU_CYCLE_2)
	s_fmamk_f32 s0, s13, 0xcf800000, s0
	s_cvt_u32_f32 s31, s13
	s_cvt_u32_f32 s30, s0
	s_delay_alu instid0(SALU_CYCLE_3) | instskip(NEXT) | instid1(SALU_CYCLE_1)
	s_mul_u64 s[62:63], s[34:35], s[30:31]
	s_mul_hi_u32 s65, s30, s63
	s_mul_i32 s64, s30, s63
	s_mul_hi_u32 s16, s30, s62
	s_mul_i32 s13, s31, s62
	s_add_nc_u64 s[64:65], s[16:17], s[64:65]
	s_mul_hi_u32 s0, s31, s62
	s_mul_hi_u32 s29, s31, s63
	s_add_co_u32 s13, s64, s13
	s_add_co_ci_u32 s16, s65, s0
	s_mul_i32 s62, s31, s63
	s_add_co_ci_u32 s63, s29, 0
	s_delay_alu instid0(SALU_CYCLE_1) | instskip(NEXT) | instid1(SALU_CYCLE_1)
	s_add_nc_u64 s[62:63], s[16:17], s[62:63]
	s_add_co_u32 s30, s30, s62
	s_cselect_b32 s0, -1, 0
	s_delay_alu instid0(SALU_CYCLE_1) | instskip(SKIP_1) | instid1(SALU_CYCLE_1)
	s_cmp_lg_u32 s0, 0
	s_add_co_ci_u32 s31, s31, s63
	s_mul_u64 s[34:35], s[34:35], s[30:31]
	s_delay_alu instid0(SALU_CYCLE_1)
	s_mul_hi_u32 s63, s30, s35
	s_mul_i32 s62, s30, s35
	s_mul_hi_u32 s16, s30, s34
	s_mul_i32 s13, s31, s34
	s_add_nc_u64 s[62:63], s[16:17], s[62:63]
	s_mul_hi_u32 s0, s31, s34
	s_mul_hi_u32 s29, s31, s35
	s_add_co_u32 s13, s62, s13
	s_add_co_ci_u32 s16, s63, s0
	s_mul_i32 s34, s31, s35
	s_add_co_ci_u32 s35, s29, 0
	s_delay_alu instid0(SALU_CYCLE_1) | instskip(NEXT) | instid1(SALU_CYCLE_1)
	s_add_nc_u64 s[34:35], s[16:17], s[34:35]
	s_add_co_u32 s0, s30, s34
	s_cselect_b32 s13, -1, 0
	v_mul_hi_u32 v26, v14, s0
	s_cmp_lg_u32 s13, 0
	s_add_co_ci_u32 s16, s31, s35
	s_and_b64 s[30:31], s[0:1], s[2:3]
	v_mul_u64_e32 v[20:21], s[16:17], v[14:15]
	v_mul_u64_e32 v[12:13], s[30:31], v[22:23]
	;; [unrolled: 1-line block ×3, first 2 shown]
	s_delay_alu instid0(VALU_DEP_3) | instskip(NEXT) | instid1(VALU_DEP_1)
	v_add_nc_u64_e32 v[20:21], v[26:27], v[20:21]
	v_add_co_u32 v9, vcc_lo, v20, v12
	s_delay_alu instid0(VALU_DEP_2) | instskip(NEXT) | instid1(VALU_DEP_4)
	v_add_co_ci_u32_e32 v26, vcc_lo, v21, v13, vcc_lo
	v_add_co_ci_u32_e32 v25, vcc_lo, 0, v25, vcc_lo
	s_delay_alu instid0(VALU_DEP_1) | instskip(NEXT) | instid1(VALU_DEP_1)
	v_add_nc_u64_e32 v[12:13], v[26:27], v[24:25]
	v_mul_u64_e32 v[20:21], s[14:15], v[12:13]
	s_delay_alu instid0(VALU_DEP_1) | instskip(NEXT) | instid1(VALU_DEP_2)
	v_sub_nc_u32_e32 v9, v22, v21
	v_sub_co_u32 v11, vcc_lo, v14, v20
	s_delay_alu instid0(VALU_DEP_1) | instskip(NEXT) | instid1(VALU_DEP_3)
	v_sub_co_ci_u32_e64 v22, null, v22, v21, vcc_lo
	v_subrev_co_ci_u32_e64 v9, null, s15, v9, vcc_lo
	s_delay_alu instid0(VALU_DEP_3) | instskip(SKIP_1) | instid1(VALU_DEP_3)
	v_sub_co_u32 v14, s0, v11, s14
	v_add_nc_u64_e32 v[20:21], 1, v[12:13]
	v_subrev_co_ci_u32_e64 v9, null, 0, v9, s0
	s_delay_alu instid0(VALU_DEP_3) | instskip(SKIP_1) | instid1(VALU_DEP_3)
	v_cmp_le_u32_e32 vcc_lo, s14, v14
	v_cndmask_b32_e64 v14, 0, -1, vcc_lo
	v_cmp_le_u32_e32 vcc_lo, s15, v9
	v_cndmask_b32_e64 v15, 0, -1, vcc_lo
	v_cmp_le_u32_e32 vcc_lo, s14, v11
	v_cndmask_b32_e64 v11, 0, -1, vcc_lo
	v_cmp_le_u32_e32 vcc_lo, s15, v22
	v_cndmask_b32_e64 v23, 0, -1, vcc_lo
	v_cmp_eq_u32_e32 vcc_lo, s15, v9
	v_cndmask_b32_e32 v9, v15, v14, vcc_lo
	v_cmp_eq_u32_e32 vcc_lo, s15, v22
	v_add_nc_u64_e32 v[14:15], 2, v[12:13]
	v_cndmask_b32_e32 v11, v23, v11, vcc_lo
	s_delay_alu instid0(VALU_DEP_4) | instskip(NEXT) | instid1(VALU_DEP_2)
	v_cmp_ne_u32_e32 vcc_lo, 0, v9
	v_cmp_ne_u32_e64 s0, 0, v11
	s_delay_alu instid0(VALU_DEP_4) | instskip(NEXT) | instid1(VALU_DEP_1)
	v_dual_cndmask_b32 v9, v21, v15, vcc_lo :: v_dual_cndmask_b32 v11, v20, v14, vcc_lo
	v_dual_cndmask_b32 v12, v12, v11, s0 :: v_dual_mov_b32 v11, v10
	s_delay_alu instid0(VALU_DEP_1) | instskip(NEXT) | instid1(VALU_DEP_1)
	v_dual_cndmask_b32 v9, v13, v9, s0 :: v_dual_bitop2_b32 v12, v12, v10 bitop3:0x14
	v_xor_b32_e32 v13, v9, v10
	s_delay_alu instid0(VALU_DEP_1)
	v_sub_nc_u64_e32 v[10:11], v[12:13], v[10:11]
.LBB125_279:                            ;   in Loop: Header=BB125_277 Depth=1
	s_and_not1_saveexec_b32 s0, s28
	s_cbranch_execz .LBB125_276
; %bb.280:                              ;   in Loop: Header=BB125_277 Depth=1
	v_cvt_f32_u32_e32 v9, s10
	s_sub_co_i32 s12, 0, s10
	s_delay_alu instid0(VALU_DEP_1) | instskip(SKIP_1) | instid1(TRANS32_DEP_1)
	v_rcp_iflag_f32_e32 v9, v9
	v_nop
	v_mul_f32_e32 v9, 0x4f7ffffe, v9
	s_delay_alu instid0(VALU_DEP_1) | instskip(NEXT) | instid1(VALU_DEP_1)
	v_cvt_u32_f32_e32 v9, v9
	v_mul_lo_u32 v10, s12, v9
	s_delay_alu instid0(VALU_DEP_1) | instskip(NEXT) | instid1(VALU_DEP_1)
	v_mul_hi_u32 v10, v9, v10
	v_add_nc_u32_e32 v9, v9, v10
	s_delay_alu instid0(VALU_DEP_1) | instskip(NEXT) | instid1(VALU_DEP_1)
	v_mul_hi_u32 v9, v0, v9
	v_mul_lo_u32 v10, v9, s10
	s_delay_alu instid0(VALU_DEP_1) | instskip(NEXT) | instid1(VALU_DEP_1)
	v_dual_add_nc_u32 v11, 1, v9 :: v_dual_sub_nc_u32 v10, v0, v10
	v_subrev_nc_u32_e32 v12, s10, v10
	v_cmp_le_u32_e32 vcc_lo, s10, v10
	s_delay_alu instid0(VALU_DEP_2) | instskip(NEXT) | instid1(VALU_DEP_1)
	v_dual_cndmask_b32 v10, v10, v12 :: v_dual_cndmask_b32 v9, v9, v11
	v_cmp_le_u32_e32 vcc_lo, s10, v10
	s_delay_alu instid0(VALU_DEP_2) | instskip(NEXT) | instid1(VALU_DEP_1)
	v_add_nc_u32_e32 v11, 1, v9
	v_dual_cndmask_b32 v10, v9, v11 :: v_dual_mov_b32 v11, v8
	s_branch .LBB125_276
.LBB125_281:
	s_or_b32 s22, s52, exec_lo
	s_xor_b32 s17, exec_lo, -1
	s_trap 2
	s_branch .LBB125_242
.LBB125_282:
	s_or_b32 s41, s39, exec_lo
	s_trap 2
                                        ; implicit-def: $vgpr6_vgpr7
                                        ; implicit-def: $vgpr4_vgpr5
                                        ; implicit-def: $vgpr0_vgpr1
                                        ; implicit-def: $vgpr10
                                        ; implicit-def: $vgpr31
                                        ; implicit-def: $vgpr30
                                        ; implicit-def: $vgpr33
                                        ; implicit-def: $vgpr32
                                        ; implicit-def: $vgpr34
                                        ; implicit-def: $vgpr26
                                        ; implicit-def: $vgpr25
                                        ; implicit-def: $vgpr28
                                        ; implicit-def: $vgpr27
                                        ; implicit-def: $vgpr29
                                        ; implicit-def: $vgpr21
                                        ; implicit-def: $vgpr20
                                        ; implicit-def: $vgpr23
                                        ; implicit-def: $vgpr22
                                        ; implicit-def: $vgpr24
                                        ; implicit-def: $vgpr2_vgpr3
	s_or_saveexec_b32 s42, s0
	s_mov_b32 s0, 0
	s_xor_b32 exec_lo, exec_lo, s42
	s_cbranch_execnz .LBB125_208
	s_branch .LBB125_305
.LBB125_283:
	s_or_b32 s46, s44, exec_lo
	s_trap 2
                                        ; implicit-def: $vgpr0_vgpr1
                                        ; implicit-def: $vgpr31
                                        ; implicit-def: $vgpr30
                                        ; implicit-def: $vgpr33
                                        ; implicit-def: $vgpr32
                                        ; implicit-def: $vgpr26
                                        ; implicit-def: $vgpr25
                                        ; implicit-def: $vgpr28
                                        ; implicit-def: $vgpr27
                                        ; implicit-def: $vgpr29
                                        ; implicit-def: $vgpr21
                                        ; implicit-def: $vgpr20
                                        ; implicit-def: $vgpr23
                                        ; implicit-def: $vgpr22
                                        ; implicit-def: $vgpr24
                                        ; implicit-def: $vgpr2_vgpr3
	s_or_saveexec_b32 s47, s0
	s_mov_b32 s0, 0
	s_xor_b32 exec_lo, exec_lo, s47
	s_cbranch_execnz .LBB125_225
	s_branch .LBB125_303
.LBB125_284:
	s_or_b32 exec_lo, exec_lo, s27
	s_mov_b32 s2, -1
	s_mov_b32 s3, s18
	s_mov_b32 s0, exec_lo
	v_cmpx_gt_i64_e64 v[4:5], v[6:7]
	s_cbranch_execz .LBB125_292
; %bb.285:
	s_delay_alu instid0(VALU_DEP_2) | instskip(SKIP_2) | instid1(VALU_DEP_1)
	v_lshlrev_b64_e32 v[0:1], 3, v[2:3]
	s_mov_b32 s3, 0
	s_xor_b32 s6, s49, -1
                                        ; implicit-def: $sgpr2
                                        ; implicit-def: $sgpr8
                                        ; implicit-def: $sgpr7
	v_lshl_add_u64 v[2:3], v[6:7], 3, v[0:1]
	s_wait_kmcnt 0x0
	v_add_nc_u64_e32 v[6:7], s[20:21], v[0:1]
	s_delay_alu instid0(VALU_DEP_2) | instskip(NEXT) | instid1(VALU_DEP_1)
	v_add_nc_u64_e32 v[2:3], s[20:21], v[2:3]
	v_add_nc_u64_e32 v[0:1], 8, v[2:3]
	s_delay_alu instid0(VALU_DEP_3)
	v_lshl_add_u64 v[2:3], v[4:5], 3, v[6:7]
	s_branch .LBB125_287
.LBB125_286:                            ;   in Loop: Header=BB125_287 Depth=1
	s_or_b32 exec_lo, exec_lo, s9
	s_xor_b32 s9, s7, -1
	s_and_b32 s10, exec_lo, s8
	s_delay_alu instid0(SALU_CYCLE_1) | instskip(SKIP_2) | instid1(SALU_CYCLE_1)
	s_or_b32 s3, s10, s3
	s_and_not1_b32 s2, s2, exec_lo
	s_and_b32 s9, s9, exec_lo
	s_or_b32 s2, s2, s9
	s_and_not1_b32 exec_lo, exec_lo, s3
	s_cbranch_execz .LBB125_290
.LBB125_287:                            ; =>This Inner Loop Header: Depth=1
	s_or_b32 s7, s7, exec_lo
	s_or_b32 s8, s8, exec_lo
	s_mov_b32 s9, exec_lo
	s_delay_alu instid0(VALU_DEP_2)
	v_cmpx_lt_u64_e64 v[0:1], v[2:3]
	s_cbranch_execz .LBB125_286
; %bb.288:                              ;   in Loop: Header=BB125_287 Depth=1
	global_load_b128 v[4:7], v[0:1], off offset:-8
	s_wait_xcnt 0x0
	v_add_nc_u64_e32 v[0:1], 8, v[0:1]
	s_and_not1_b32 s8, s8, exec_lo
	s_and_not1_b32 s7, s7, exec_lo
	s_wait_loadcnt 0x0
	v_cmp_ge_i64_e32 vcc_lo, v[4:5], v[6:7]
	s_or_b32 s10, s6, vcc_lo
	s_delay_alu instid0(SALU_CYCLE_1) | instskip(NEXT) | instid1(SALU_CYCLE_1)
	s_and_b32 s10, s10, exec_lo
	s_or_b32 s8, s8, s10
	s_branch .LBB125_286
.LBB125_289:
	s_or_b32 s48, s46, exec_lo
	s_trap 2
                                        ; implicit-def: $vgpr0_vgpr1
                                        ; implicit-def: $vgpr31
                                        ; implicit-def: $vgpr30
                                        ; implicit-def: $vgpr32
                                        ; implicit-def: $vgpr26
                                        ; implicit-def: $vgpr25
                                        ; implicit-def: $vgpr28
                                        ; implicit-def: $vgpr27
                                        ; implicit-def: $vgpr29
                                        ; implicit-def: $vgpr21
                                        ; implicit-def: $vgpr20
                                        ; implicit-def: $vgpr23
                                        ; implicit-def: $vgpr22
                                        ; implicit-def: $vgpr24
                                        ; implicit-def: $vgpr2_vgpr3
	s_or_saveexec_b32 s51, s0
	s_mov_b32 s0, 0
	s_xor_b32 exec_lo, exec_lo, s51
	s_cbranch_execnz .LBB125_227
	s_branch .LBB125_302
.LBB125_290:
	s_or_b32 exec_lo, exec_lo, s3
	s_mov_b32 s3, -1
	s_mov_b32 s6, s18
	s_and_saveexec_b32 s7, s2
	s_delay_alu instid0(SALU_CYCLE_1)
	s_xor_b32 s2, exec_lo, s7
	s_cbranch_execnz .LBB125_314
.LBB125_291:
	s_or_b32 exec_lo, exec_lo, s2
	s_delay_alu instid0(SALU_CYCLE_1)
	s_and_not1_b32 s7, s18, exec_lo
	s_and_b32 s6, s6, exec_lo
	s_or_not1_b32 s2, s3, exec_lo
	s_or_b32 s3, s7, s6
.LBB125_292:
	s_or_b32 exec_lo, exec_lo, s0
	s_delay_alu instid0(SALU_CYCLE_1)
	s_and_not1_b32 s6, s18, exec_lo
	s_and_b32 s3, s3, exec_lo
	s_and_b32 s0, s2, exec_lo
	s_or_b32 s18, s6, s3
.LBB125_293:
	s_or_b32 exec_lo, exec_lo, s19
	s_delay_alu instid0(SALU_CYCLE_1)
	s_and_not1_b32 s2, s25, exec_lo
	s_and_b32 s3, s18, exec_lo
	s_and_b32 s0, s0, exec_lo
	s_or_b32 s25, s2, s3
.LBB125_294:
	s_or_b32 exec_lo, exec_lo, s26
	s_delay_alu instid0(SALU_CYCLE_1)
	s_and_not1_b32 s2, s23, exec_lo
	s_and_b32 s3, s25, exec_lo
	s_and_b32 s0, s0, exec_lo
	s_or_b32 s23, s2, s3
.LBB125_295:
	s_or_b32 exec_lo, exec_lo, s24
	s_delay_alu instid0(SALU_CYCLE_1)
	s_and_not1_b32 s1, s1, exec_lo
	s_and_b32 s2, s23, exec_lo
	s_and_b32 s0, s0, exec_lo
	s_or_b32 s1, s1, s2
.LBB125_296:
	s_or_b32 exec_lo, exec_lo, s22
	s_delay_alu instid0(SALU_CYCLE_1)
	s_and_not1_b32 s2, s60, exec_lo
	s_and_b32 s1, s1, exec_lo
	s_and_b32 s0, s0, exec_lo
	s_or_b32 s60, s2, s1
.LBB125_297:
	s_or_b32 exec_lo, exec_lo, s61
	s_delay_alu instid0(SALU_CYCLE_1)
	s_and_not1_b32 s1, s58, exec_lo
	s_and_b32 s2, s60, exec_lo
	s_and_b32 s0, s0, exec_lo
	s_or_b32 s58, s1, s2
.LBB125_298:
	s_or_b32 exec_lo, exec_lo, s59
	s_delay_alu instid0(SALU_CYCLE_1)
	s_and_not1_b32 s1, s56, exec_lo
	s_and_b32 s2, s58, exec_lo
	s_and_b32 s0, s0, exec_lo
	s_or_b32 s56, s1, s2
.LBB125_299:
	s_or_b32 exec_lo, exec_lo, s57
	s_delay_alu instid0(SALU_CYCLE_1)
	s_and_not1_b32 s1, s54, exec_lo
	s_and_b32 s2, s56, exec_lo
	s_and_b32 s0, s0, exec_lo
	s_or_b32 s54, s1, s2
.LBB125_300:
	s_or_b32 exec_lo, exec_lo, s55
	s_delay_alu instid0(SALU_CYCLE_1)
	s_and_not1_b32 s1, s52, exec_lo
	s_and_b32 s2, s54, exec_lo
	s_and_b32 s0, s0, exec_lo
	s_or_b32 s52, s1, s2
.LBB125_301:
	s_or_b32 exec_lo, exec_lo, s53
	s_delay_alu instid0(SALU_CYCLE_1)
	s_and_not1_b32 s1, s48, exec_lo
	s_and_b32 s2, s52, exec_lo
	s_and_b32 s0, s0, exec_lo
	s_or_b32 s48, s1, s2
.LBB125_302:
	s_or_b32 exec_lo, exec_lo, s51
	s_delay_alu instid0(SALU_CYCLE_1)
	s_and_not1_b32 s1, s46, exec_lo
	s_and_b32 s2, s48, exec_lo
	s_and_b32 s0, s0, exec_lo
	s_or_b32 s46, s1, s2
.LBB125_303:
	s_or_b32 exec_lo, exec_lo, s47
	s_delay_alu instid0(SALU_CYCLE_1)
	s_and_not1_b32 s1, s44, exec_lo
	s_and_b32 s2, s46, exec_lo
	s_and_b32 s0, s0, exec_lo
	s_or_b32 s44, s1, s2
.LBB125_304:
	s_or_b32 exec_lo, exec_lo, s45
	s_delay_alu instid0(SALU_CYCLE_1)
	s_and_not1_b32 s1, s41, exec_lo
	s_wait_xcnt 0x0
	s_and_b32 s2, s44, exec_lo
	s_and_b32 s0, s0, exec_lo
	s_or_b32 s41, s1, s2
.LBB125_305:
	s_or_b32 exec_lo, exec_lo, s42
	s_delay_alu instid0(SALU_CYCLE_1)
	s_and_not1_b32 s1, s39, exec_lo
	s_and_b32 s2, s41, exec_lo
	s_and_b32 s0, s0, exec_lo
	s_or_b32 s39, s1, s2
.LBB125_306:
	s_or_b32 exec_lo, exec_lo, s40
	s_delay_alu instid0(SALU_CYCLE_1)
	s_and_not1_b32 s1, s33, exec_lo
	s_and_b32 s2, s39, exec_lo
	s_and_b32 s0, s0, exec_lo
	s_or_b32 s33, s1, s2
.LBB125_307:
	s_or_b32 exec_lo, exec_lo, s38
	s_delay_alu instid0(SALU_CYCLE_1)
	s_and_not1_b32 s1, s36, exec_lo
	s_and_b32 s2, s33, exec_lo
	s_and_b32 s71, s0, exec_lo
	s_or_b32 s36, s1, s2
	s_or_b32 exec_lo, exec_lo, s37
	s_and_saveexec_b32 s0, s36
	s_cbranch_execnz .LBB125_145
.LBB125_308:
	s_or_b32 exec_lo, exec_lo, s0
	s_and_saveexec_b32 s0, s71
	s_cbranch_execz .LBB125_146
.LBB125_309:
	v_mov_b64_e32 v[0:1], 0
	s_clause 0x3
	global_store_b64 v16, v[0:1], s[4:5]
	global_store_b64 v17, v[0:1], s[4:5]
	;; [unrolled: 1-line block ×4, first 2 shown]
	s_endpgm
.LBB125_310:
	s_or_b32 s22, s60, exec_lo
	s_xor_b32 s17, exec_lo, -1
	s_trap 2
	s_branch .LBB125_266
.LBB125_311:
	s_or_b32 s52, s48, exec_lo
	s_trap 2
                                        ; implicit-def: $vgpr6_vgpr7
                                        ; implicit-def: $vgpr4_vgpr5
                                        ; implicit-def: $vgpr0_vgpr1
                                        ; implicit-def: $vgpr30
                                        ; implicit-def: $vgpr26
                                        ; implicit-def: $vgpr25
                                        ; implicit-def: $vgpr28
                                        ; implicit-def: $vgpr27
                                        ; implicit-def: $vgpr29
                                        ; implicit-def: $vgpr21
                                        ; implicit-def: $vgpr20
                                        ; implicit-def: $vgpr23
                                        ; implicit-def: $vgpr22
                                        ; implicit-def: $vgpr24
                                        ; implicit-def: $vgpr2_vgpr3
	s_or_saveexec_b32 s53, s0
	s_mov_b32 s0, 0
	s_xor_b32 exec_lo, exec_lo, s53
	s_cbranch_execnz .LBB125_229
	s_branch .LBB125_301
.LBB125_312:
	s_or_b32 s56, s54, exec_lo
	s_trap 2
                                        ; implicit-def: $vgpr0_vgpr1
                                        ; implicit-def: $vgpr26
                                        ; implicit-def: $vgpr25
                                        ; implicit-def: $vgpr28
                                        ; implicit-def: $vgpr27
                                        ; implicit-def: $vgpr21
                                        ; implicit-def: $vgpr20
                                        ; implicit-def: $vgpr23
                                        ; implicit-def: $vgpr22
                                        ; implicit-def: $vgpr24
                                        ; implicit-def: $vgpr2_vgpr3
	s_or_saveexec_b32 s57, s0
	s_mov_b32 s0, 0
	s_xor_b32 exec_lo, exec_lo, s57
	s_cbranch_execnz .LBB125_246
	s_branch .LBB125_299
.LBB125_313:
	s_or_b32 s58, s56, exec_lo
	s_trap 2
                                        ; implicit-def: $vgpr0_vgpr1
                                        ; implicit-def: $vgpr26
                                        ; implicit-def: $vgpr25
                                        ; implicit-def: $vgpr27
                                        ; implicit-def: $vgpr21
                                        ; implicit-def: $vgpr20
                                        ; implicit-def: $vgpr23
                                        ; implicit-def: $vgpr22
                                        ; implicit-def: $vgpr24
                                        ; implicit-def: $vgpr2_vgpr3
	s_or_saveexec_b32 s59, s0
	s_mov_b32 s0, 0
	s_xor_b32 exec_lo, exec_lo, s59
	s_cbranch_execnz .LBB125_248
	s_branch .LBB125_298
.LBB125_314:
	s_xor_b32 s3, exec_lo, -1
	s_or_b32 s6, s18, exec_lo
	s_trap 2
	s_branch .LBB125_291
.LBB125_315:
	s_or_b32 s60, s58, exec_lo
	s_trap 2
                                        ; implicit-def: $vgpr6_vgpr7
                                        ; implicit-def: $vgpr4_vgpr5
                                        ; implicit-def: $vgpr0_vgpr1
                                        ; implicit-def: $vgpr25
                                        ; implicit-def: $vgpr21
                                        ; implicit-def: $vgpr20
                                        ; implicit-def: $vgpr23
                                        ; implicit-def: $vgpr22
                                        ; implicit-def: $vgpr24
                                        ; implicit-def: $vgpr2_vgpr3
	s_or_saveexec_b32 s61, s0
	s_mov_b32 s0, 0
	s_xor_b32 exec_lo, exec_lo, s61
	s_cbranch_execnz .LBB125_250
	s_branch .LBB125_297
.LBB125_316:
	s_or_b32 s23, s1, exec_lo
	s_trap 2
                                        ; implicit-def: $vgpr23
                                        ; implicit-def: $vgpr0_vgpr1
                                        ; implicit-def: $vgpr22
                                        ; implicit-def: $vgpr21
                                        ; implicit-def: $vgpr2_vgpr3
                                        ; implicit-def: $vgpr20
	s_or_saveexec_b32 s24, s0
	s_mov_b32 s0, 0
	s_xor_b32 exec_lo, exec_lo, s24
	s_cbranch_execnz .LBB125_270
	s_branch .LBB125_295
.LBB125_317:
	s_or_b32 s25, s23, exec_lo
	s_trap 2
                                        ; implicit-def: $vgpr22
                                        ; implicit-def: $vgpr21
                                        ; implicit-def: $vgpr2_vgpr3
                                        ; implicit-def: $vgpr20
                                        ; implicit-def: $vgpr0_vgpr1
	s_or_saveexec_b32 s26, s0
	s_mov_b32 s0, 0
	s_xor_b32 exec_lo, exec_lo, s26
	s_cbranch_execnz .LBB125_272
	s_branch .LBB125_294
.LBB125_318:
	s_or_b32 s18, s25, exec_lo
	s_trap 2
                                        ; implicit-def: $vgpr4_vgpr5
                                        ; implicit-def: $vgpr6_vgpr7
                                        ; implicit-def: $vgpr20
                                        ; implicit-def: $vgpr0_vgpr1
	s_or_saveexec_b32 s19, s0
	s_mov_b32 s0, 0
	s_xor_b32 exec_lo, exec_lo, s19
	s_cbranch_execnz .LBB125_274
	s_branch .LBB125_293
	.section	.rodata,"a",@progbits
	.p2align	6, 0x0
	.amdhsa_kernel _ZN2at6native32elementwise_kernel_manual_unrollILi128ELi4EZNS0_22gpu_kernel_impl_nocastIZZZNS0_12_GLOBAL__N_142_validate_compressed_sparse_indices_kernelILNS3_8CDimNameE1ENS3_18CUDAKernelLauncherENS3_14EmptyVecKernelENS3_8DummyVecELm0EEEvRKNS_6TensorESB_lllENKUlvE1_clEvENKUlvE0_clEvEUllllllE_EEvRNS_18TensorIteratorBaseERKT_EUlibE_EEviT1_
		.amdhsa_group_segment_fixed_size 0
		.amdhsa_private_segment_fixed_size 0
		.amdhsa_kernarg_size 696
		.amdhsa_user_sgpr_count 2
		.amdhsa_user_sgpr_dispatch_ptr 0
		.amdhsa_user_sgpr_queue_ptr 0
		.amdhsa_user_sgpr_kernarg_segment_ptr 1
		.amdhsa_user_sgpr_dispatch_id 0
		.amdhsa_user_sgpr_kernarg_preload_length 0
		.amdhsa_user_sgpr_kernarg_preload_offset 0
		.amdhsa_user_sgpr_private_segment_size 0
		.amdhsa_wavefront_size32 1
		.amdhsa_uses_dynamic_stack 0
		.amdhsa_enable_private_segment 0
		.amdhsa_system_sgpr_workgroup_id_x 1
		.amdhsa_system_sgpr_workgroup_id_y 0
		.amdhsa_system_sgpr_workgroup_id_z 0
		.amdhsa_system_sgpr_workgroup_info 0
		.amdhsa_system_vgpr_workitem_id 0
		.amdhsa_next_free_vgpr 48
		.amdhsa_next_free_sgpr 104
		.amdhsa_named_barrier_count 0
		.amdhsa_reserve_vcc 1
		.amdhsa_float_round_mode_32 0
		.amdhsa_float_round_mode_16_64 0
		.amdhsa_float_denorm_mode_32 3
		.amdhsa_float_denorm_mode_16_64 3
		.amdhsa_fp16_overflow 0
		.amdhsa_memory_ordered 1
		.amdhsa_forward_progress 1
		.amdhsa_inst_pref_size 154
		.amdhsa_round_robin_scheduling 0
		.amdhsa_exception_fp_ieee_invalid_op 0
		.amdhsa_exception_fp_denorm_src 0
		.amdhsa_exception_fp_ieee_div_zero 0
		.amdhsa_exception_fp_ieee_overflow 0
		.amdhsa_exception_fp_ieee_underflow 0
		.amdhsa_exception_fp_ieee_inexact 0
		.amdhsa_exception_int_div_zero 0
	.end_amdhsa_kernel
	.section	.text._ZN2at6native32elementwise_kernel_manual_unrollILi128ELi4EZNS0_22gpu_kernel_impl_nocastIZZZNS0_12_GLOBAL__N_142_validate_compressed_sparse_indices_kernelILNS3_8CDimNameE1ENS3_18CUDAKernelLauncherENS3_14EmptyVecKernelENS3_8DummyVecELm0EEEvRKNS_6TensorESB_lllENKUlvE1_clEvENKUlvE0_clEvEUllllllE_EEvRNS_18TensorIteratorBaseERKT_EUlibE_EEviT1_,"axG",@progbits,_ZN2at6native32elementwise_kernel_manual_unrollILi128ELi4EZNS0_22gpu_kernel_impl_nocastIZZZNS0_12_GLOBAL__N_142_validate_compressed_sparse_indices_kernelILNS3_8CDimNameE1ENS3_18CUDAKernelLauncherENS3_14EmptyVecKernelENS3_8DummyVecELm0EEEvRKNS_6TensorESB_lllENKUlvE1_clEvENKUlvE0_clEvEUllllllE_EEvRNS_18TensorIteratorBaseERKT_EUlibE_EEviT1_,comdat
.Lfunc_end125:
	.size	_ZN2at6native32elementwise_kernel_manual_unrollILi128ELi4EZNS0_22gpu_kernel_impl_nocastIZZZNS0_12_GLOBAL__N_142_validate_compressed_sparse_indices_kernelILNS3_8CDimNameE1ENS3_18CUDAKernelLauncherENS3_14EmptyVecKernelENS3_8DummyVecELm0EEEvRKNS_6TensorESB_lllENKUlvE1_clEvENKUlvE0_clEvEUllllllE_EEvRNS_18TensorIteratorBaseERKT_EUlibE_EEviT1_, .Lfunc_end125-_ZN2at6native32elementwise_kernel_manual_unrollILi128ELi4EZNS0_22gpu_kernel_impl_nocastIZZZNS0_12_GLOBAL__N_142_validate_compressed_sparse_indices_kernelILNS3_8CDimNameE1ENS3_18CUDAKernelLauncherENS3_14EmptyVecKernelENS3_8DummyVecELm0EEEvRKNS_6TensorESB_lllENKUlvE1_clEvENKUlvE0_clEvEUllllllE_EEvRNS_18TensorIteratorBaseERKT_EUlibE_EEviT1_
                                        ; -- End function
	.set _ZN2at6native32elementwise_kernel_manual_unrollILi128ELi4EZNS0_22gpu_kernel_impl_nocastIZZZNS0_12_GLOBAL__N_142_validate_compressed_sparse_indices_kernelILNS3_8CDimNameE1ENS3_18CUDAKernelLauncherENS3_14EmptyVecKernelENS3_8DummyVecELm0EEEvRKNS_6TensorESB_lllENKUlvE1_clEvENKUlvE0_clEvEUllllllE_EEvRNS_18TensorIteratorBaseERKT_EUlibE_EEviT1_.num_vgpr, 48
	.set _ZN2at6native32elementwise_kernel_manual_unrollILi128ELi4EZNS0_22gpu_kernel_impl_nocastIZZZNS0_12_GLOBAL__N_142_validate_compressed_sparse_indices_kernelILNS3_8CDimNameE1ENS3_18CUDAKernelLauncherENS3_14EmptyVecKernelENS3_8DummyVecELm0EEEvRKNS_6TensorESB_lllENKUlvE1_clEvENKUlvE0_clEvEUllllllE_EEvRNS_18TensorIteratorBaseERKT_EUlibE_EEviT1_.num_agpr, 0
	.set _ZN2at6native32elementwise_kernel_manual_unrollILi128ELi4EZNS0_22gpu_kernel_impl_nocastIZZZNS0_12_GLOBAL__N_142_validate_compressed_sparse_indices_kernelILNS3_8CDimNameE1ENS3_18CUDAKernelLauncherENS3_14EmptyVecKernelENS3_8DummyVecELm0EEEvRKNS_6TensorESB_lllENKUlvE1_clEvENKUlvE0_clEvEUllllllE_EEvRNS_18TensorIteratorBaseERKT_EUlibE_EEviT1_.numbered_sgpr, 104
	.set _ZN2at6native32elementwise_kernel_manual_unrollILi128ELi4EZNS0_22gpu_kernel_impl_nocastIZZZNS0_12_GLOBAL__N_142_validate_compressed_sparse_indices_kernelILNS3_8CDimNameE1ENS3_18CUDAKernelLauncherENS3_14EmptyVecKernelENS3_8DummyVecELm0EEEvRKNS_6TensorESB_lllENKUlvE1_clEvENKUlvE0_clEvEUllllllE_EEvRNS_18TensorIteratorBaseERKT_EUlibE_EEviT1_.num_named_barrier, 0
	.set _ZN2at6native32elementwise_kernel_manual_unrollILi128ELi4EZNS0_22gpu_kernel_impl_nocastIZZZNS0_12_GLOBAL__N_142_validate_compressed_sparse_indices_kernelILNS3_8CDimNameE1ENS3_18CUDAKernelLauncherENS3_14EmptyVecKernelENS3_8DummyVecELm0EEEvRKNS_6TensorESB_lllENKUlvE1_clEvENKUlvE0_clEvEUllllllE_EEvRNS_18TensorIteratorBaseERKT_EUlibE_EEviT1_.private_seg_size, 0
	.set _ZN2at6native32elementwise_kernel_manual_unrollILi128ELi4EZNS0_22gpu_kernel_impl_nocastIZZZNS0_12_GLOBAL__N_142_validate_compressed_sparse_indices_kernelILNS3_8CDimNameE1ENS3_18CUDAKernelLauncherENS3_14EmptyVecKernelENS3_8DummyVecELm0EEEvRKNS_6TensorESB_lllENKUlvE1_clEvENKUlvE0_clEvEUllllllE_EEvRNS_18TensorIteratorBaseERKT_EUlibE_EEviT1_.uses_vcc, 1
	.set _ZN2at6native32elementwise_kernel_manual_unrollILi128ELi4EZNS0_22gpu_kernel_impl_nocastIZZZNS0_12_GLOBAL__N_142_validate_compressed_sparse_indices_kernelILNS3_8CDimNameE1ENS3_18CUDAKernelLauncherENS3_14EmptyVecKernelENS3_8DummyVecELm0EEEvRKNS_6TensorESB_lllENKUlvE1_clEvENKUlvE0_clEvEUllllllE_EEvRNS_18TensorIteratorBaseERKT_EUlibE_EEviT1_.uses_flat_scratch, 0
	.set _ZN2at6native32elementwise_kernel_manual_unrollILi128ELi4EZNS0_22gpu_kernel_impl_nocastIZZZNS0_12_GLOBAL__N_142_validate_compressed_sparse_indices_kernelILNS3_8CDimNameE1ENS3_18CUDAKernelLauncherENS3_14EmptyVecKernelENS3_8DummyVecELm0EEEvRKNS_6TensorESB_lllENKUlvE1_clEvENKUlvE0_clEvEUllllllE_EEvRNS_18TensorIteratorBaseERKT_EUlibE_EEviT1_.has_dyn_sized_stack, 0
	.set _ZN2at6native32elementwise_kernel_manual_unrollILi128ELi4EZNS0_22gpu_kernel_impl_nocastIZZZNS0_12_GLOBAL__N_142_validate_compressed_sparse_indices_kernelILNS3_8CDimNameE1ENS3_18CUDAKernelLauncherENS3_14EmptyVecKernelENS3_8DummyVecELm0EEEvRKNS_6TensorESB_lllENKUlvE1_clEvENKUlvE0_clEvEUllllllE_EEvRNS_18TensorIteratorBaseERKT_EUlibE_EEviT1_.has_recursion, 0
	.set _ZN2at6native32elementwise_kernel_manual_unrollILi128ELi4EZNS0_22gpu_kernel_impl_nocastIZZZNS0_12_GLOBAL__N_142_validate_compressed_sparse_indices_kernelILNS3_8CDimNameE1ENS3_18CUDAKernelLauncherENS3_14EmptyVecKernelENS3_8DummyVecELm0EEEvRKNS_6TensorESB_lllENKUlvE1_clEvENKUlvE0_clEvEUllllllE_EEvRNS_18TensorIteratorBaseERKT_EUlibE_EEviT1_.has_indirect_call, 0
	.section	.AMDGPU.csdata,"",@progbits
; Kernel info:
; codeLenInByte = 19680
; TotalNumSgprs: 106
; NumVgprs: 48
; ScratchSize: 0
; MemoryBound: 0
; FloatMode: 240
; IeeeMode: 1
; LDSByteSize: 0 bytes/workgroup (compile time only)
; SGPRBlocks: 0
; VGPRBlocks: 2
; NumSGPRsForWavesPerEU: 106
; NumVGPRsForWavesPerEU: 48
; NamedBarCnt: 0
; Occupancy: 16
; WaveLimiterHint : 1
; COMPUTE_PGM_RSRC2:SCRATCH_EN: 0
; COMPUTE_PGM_RSRC2:USER_SGPR: 2
; COMPUTE_PGM_RSRC2:TRAP_HANDLER: 0
; COMPUTE_PGM_RSRC2:TGID_X_EN: 1
; COMPUTE_PGM_RSRC2:TGID_Y_EN: 0
; COMPUTE_PGM_RSRC2:TGID_Z_EN: 0
; COMPUTE_PGM_RSRC2:TIDIG_COMP_CNT: 0
	.section	.text._ZN2at6native32elementwise_kernel_manual_unrollILi128ELi4EZNS0_15gpu_kernel_implIZZZNS0_12_GLOBAL__N_142_validate_compressed_sparse_indices_kernelILNS3_8CDimNameE1ENS3_18CUDAKernelLauncherENS3_14EmptyVecKernelENS3_8DummyVecELm0EEEvRKNS_6TensorESB_lllENKUlvE1_clEvENKUlvE0_clEvEUllllllE_EEvRNS_18TensorIteratorBaseERKT_EUlibE_EEviT1_,"axG",@progbits,_ZN2at6native32elementwise_kernel_manual_unrollILi128ELi4EZNS0_15gpu_kernel_implIZZZNS0_12_GLOBAL__N_142_validate_compressed_sparse_indices_kernelILNS3_8CDimNameE1ENS3_18CUDAKernelLauncherENS3_14EmptyVecKernelENS3_8DummyVecELm0EEEvRKNS_6TensorESB_lllENKUlvE1_clEvENKUlvE0_clEvEUllllllE_EEvRNS_18TensorIteratorBaseERKT_EUlibE_EEviT1_,comdat
	.globl	_ZN2at6native32elementwise_kernel_manual_unrollILi128ELi4EZNS0_15gpu_kernel_implIZZZNS0_12_GLOBAL__N_142_validate_compressed_sparse_indices_kernelILNS3_8CDimNameE1ENS3_18CUDAKernelLauncherENS3_14EmptyVecKernelENS3_8DummyVecELm0EEEvRKNS_6TensorESB_lllENKUlvE1_clEvENKUlvE0_clEvEUllllllE_EEvRNS_18TensorIteratorBaseERKT_EUlibE_EEviT1_ ; -- Begin function _ZN2at6native32elementwise_kernel_manual_unrollILi128ELi4EZNS0_15gpu_kernel_implIZZZNS0_12_GLOBAL__N_142_validate_compressed_sparse_indices_kernelILNS3_8CDimNameE1ENS3_18CUDAKernelLauncherENS3_14EmptyVecKernelENS3_8DummyVecELm0EEEvRKNS_6TensorESB_lllENKUlvE1_clEvENKUlvE0_clEvEUllllllE_EEvRNS_18TensorIteratorBaseERKT_EUlibE_EEviT1_
	.p2align	8
	.type	_ZN2at6native32elementwise_kernel_manual_unrollILi128ELi4EZNS0_15gpu_kernel_implIZZZNS0_12_GLOBAL__N_142_validate_compressed_sparse_indices_kernelILNS3_8CDimNameE1ENS3_18CUDAKernelLauncherENS3_14EmptyVecKernelENS3_8DummyVecELm0EEEvRKNS_6TensorESB_lllENKUlvE1_clEvENKUlvE0_clEvEUllllllE_EEvRNS_18TensorIteratorBaseERKT_EUlibE_EEviT1_,@function
_ZN2at6native32elementwise_kernel_manual_unrollILi128ELi4EZNS0_15gpu_kernel_implIZZZNS0_12_GLOBAL__N_142_validate_compressed_sparse_indices_kernelILNS3_8CDimNameE1ENS3_18CUDAKernelLauncherENS3_14EmptyVecKernelENS3_8DummyVecELm0EEEvRKNS_6TensorESB_lllENKUlvE1_clEvENKUlvE0_clEvEUllllllE_EEvRNS_18TensorIteratorBaseERKT_EUlibE_EEviT1_: ; @_ZN2at6native32elementwise_kernel_manual_unrollILi128ELi4EZNS0_15gpu_kernel_implIZZZNS0_12_GLOBAL__N_142_validate_compressed_sparse_indices_kernelILNS3_8CDimNameE1ENS3_18CUDAKernelLauncherENS3_14EmptyVecKernelENS3_8DummyVecELm0EEEvRKNS_6TensorESB_lllENKUlvE1_clEvENKUlvE0_clEvEUllllllE_EEvRNS_18TensorIteratorBaseERKT_EUlibE_EEviT1_
; %bb.0:
	s_load_b256 s[20:27], s[0:1], 0x70
	s_bfe_u32 s28, ttmp6, 0x4000c
	s_load_b256 s[36:43], s[0:1], 0x50
	s_add_co_i32 s28, s28, 1
	s_and_b32 s30, ttmp6, 15
	s_clause 0x3
	s_load_b32 s62, s[0:1], 0x0
	s_load_b256 s[4:11], s[0:1], 0x8
	s_load_b256 s[12:19], s[0:1], 0x28
	s_load_b64 s[2:3], s[0:1], 0x48
	s_wait_xcnt 0x0
	s_mul_i32 s0, ttmp9, s28
	s_getreg_b32 s31, hwreg(HW_REG_IB_STS2, 6, 4)
	s_add_co_i32 s30, s30, s0
	s_wait_kmcnt 0x0
	s_mov_b32 s43, 0
	s_mov_b32 s52, 0
	s_lshr_b64 s[28:29], s[26:27], 24
	s_lshr_b32 s54, s26, 8
	s_lshr_b32 s33, s26, 16
	;; [unrolled: 1-line block ×3, first 2 shown]
	s_cmp_eq_u32 s31, 0
	s_cselect_b32 s0, ttmp9, s30
	s_delay_alu instid0(SALU_CYCLE_1) | instskip(SKIP_1) | instid1(VALU_DEP_1)
	v_lshl_or_b32 v22, s0, 9, v0
	s_mov_b32 s0, exec_lo
	v_or_b32_e32 v0, 0x180, v22
	s_delay_alu instid0(VALU_DEP_1)
	v_cmpx_le_i32_e64 s62, v0
	s_xor_b32 s55, exec_lo, s0
	s_cbranch_execz .LBB126_2803
; %bb.1:
	s_get_pc_i64 s[0:1]
	s_add_nc_u64 s[0:1], s[0:1], .str.6@rel64+4
	s_get_pc_i64 s[30:31]
	s_add_nc_u64 s[30:31], s[30:31], .str.7@rel64+4
	s_cmp_lg_u64 s[0:1], 0
	s_get_pc_i64 s[0:1]
	s_add_nc_u64 s[0:1], s[0:1], .str.8@rel64+4
	s_cselect_b32 s60, -1, 0
	s_cmp_lg_u64 s[30:31], 0
	s_get_pc_i64 s[34:35]
	s_add_nc_u64 s[34:35], s[34:35], .str.9@rel64+4
	s_cselect_b32 s59, -1, 0
	s_cmp_lg_u64 s[0:1], 0
	s_mov_b32 s1, -1
	s_cselect_b32 s58, -1, 0
	s_add_co_i32 s30, s42, -1
	s_mov_b32 s73, 0
	s_cmp_gt_i32 s30, -1
	s_mov_b32 s71, 0
	s_cselect_b32 s57, -1, 0
	s_cmp_lg_u64 s[34:35], 0
	s_mov_b32 s70, 0
	s_cselect_b32 s56, -1, 0
	s_mov_b32 s69, 0
	s_mov_b32 s68, 0
	;; [unrolled: 1-line block ×8, first 2 shown]
	s_mov_b32 s72, exec_lo
	v_cmpx_gt_i32_e64 s62, v22
	s_cbranch_execz .LBB126_630
; %bb.2:
	v_mul_lo_u32 v0, v22, s17
	s_and_b32 s0, s54, 0xff
	s_delay_alu instid0(SALU_CYCLE_1) | instskip(NEXT) | instid1(VALU_DEP_1)
	s_cmp_lt_i32 s0, 11
	v_ashrrev_i32_e32 v1, 31, v0
	s_delay_alu instid0(VALU_DEP_1)
	v_add_nc_u64_e32 v[2:3], s[6:7], v[0:1]
	s_cbranch_scc1 .LBB126_9
; %bb.3:
	s_and_b32 s1, 0xffff, s0
	s_delay_alu instid0(SALU_CYCLE_1)
	s_cmp_gt_i32 s1, 25
	s_cbranch_scc0 .LBB126_11
; %bb.4:
	s_cmp_gt_i32 s1, 28
	s_cbranch_scc0 .LBB126_12
; %bb.5:
	;; [unrolled: 3-line block ×4, first 2 shown]
	s_cmp_eq_u32 s1, 46
	s_mov_b32 s34, 0
	s_cbranch_scc0 .LBB126_15
; %bb.8:
	global_load_b32 v0, v[2:3], off
	s_mov_b32 s31, -1
	s_wait_loadcnt 0x0
	v_lshlrev_b32_e32 v0, 16, v0
	s_delay_alu instid0(VALU_DEP_1) | instskip(NEXT) | instid1(VALU_DEP_1)
	v_trunc_f32_e32 v0, v0
	v_mul_f32_e64 v1, 0x2f800000, |v0|
	s_delay_alu instid0(VALU_DEP_1) | instskip(NEXT) | instid1(VALU_DEP_1)
	v_floor_f32_e32 v1, v1
	v_fma_f32 v4, 0xcf800000, v1, |v0|
	v_ashrrev_i32_e32 v0, 31, v0
	v_cvt_u32_f32_e32 v5, v1
	s_delay_alu instid0(VALU_DEP_3) | instskip(NEXT) | instid1(VALU_DEP_2)
	v_cvt_u32_f32_e32 v4, v4
	v_dual_mov_b32 v1, v0 :: v_dual_bitop2_b32 v5, v5, v0 bitop3:0x14
	s_delay_alu instid0(VALU_DEP_2) | instskip(NEXT) | instid1(VALU_DEP_1)
	v_xor_b32_e32 v4, v4, v0
	v_sub_nc_u64_e32 v[0:1], v[4:5], v[0:1]
	s_branch .LBB126_17
.LBB126_9:
	s_mov_b32 s31, 0
                                        ; implicit-def: $vgpr0_vgpr1
	s_and_b32 vcc_lo, exec_lo, s1
	s_cbranch_vccnz .LBB126_77
.LBB126_10:
	s_and_not1_b32 vcc_lo, exec_lo, s31
	s_cbranch_vccz .LBB126_124
	s_branch .LBB126_628
.LBB126_11:
	s_mov_b32 s31, 0
                                        ; implicit-def: $vgpr0_vgpr1
	s_cbranch_execnz .LBB126_44
	s_branch .LBB126_76
.LBB126_12:
	s_mov_b32 s34, -1
	s_mov_b32 s31, 0
                                        ; implicit-def: $vgpr0_vgpr1
	s_branch .LBB126_27
.LBB126_13:
	s_mov_b32 s34, -1
	s_mov_b32 s31, 0
                                        ; implicit-def: $vgpr0_vgpr1
	s_branch .LBB126_22
.LBB126_14:
	s_mov_b32 s34, -1
	s_branch .LBB126_16
.LBB126_15:
	s_mov_b32 s71, -1
.LBB126_16:
	s_mov_b32 s31, 0
                                        ; implicit-def: $vgpr0_vgpr1
.LBB126_17:
	s_and_b32 vcc_lo, exec_lo, s34
	s_cbranch_vccz .LBB126_21
; %bb.18:
	s_cmp_eq_u32 s1, 44
	s_cbranch_scc0 .LBB126_20
; %bb.19:
	global_load_u8 v6, v[2:3], off
	s_mov_b32 s71, 0
	s_mov_b32 s31, -1
	s_wait_loadcnt 0x0
	v_cmp_ne_u32_e32 vcc_lo, 0, v6
	v_lshlrev_b32_e32 v0, 23, v6
	s_delay_alu instid0(VALU_DEP_1) | instskip(NEXT) | instid1(VALU_DEP_1)
	v_trunc_f32_e32 v0, v0
	v_mul_f32_e64 v1, 0x2f800000, |v0|
	s_delay_alu instid0(VALU_DEP_1) | instskip(NEXT) | instid1(VALU_DEP_1)
	v_floor_f32_e32 v1, v1
	v_fma_f32 v4, 0xcf800000, v1, |v0|
	v_ashrrev_i32_e32 v0, 31, v0
	v_cvt_u32_f32_e32 v5, v1
	s_delay_alu instid0(VALU_DEP_3) | instskip(NEXT) | instid1(VALU_DEP_2)
	v_cvt_u32_f32_e32 v4, v4
	v_dual_mov_b32 v1, v0 :: v_dual_bitop2_b32 v5, v5, v0 bitop3:0x14
	s_delay_alu instid0(VALU_DEP_2) | instskip(NEXT) | instid1(VALU_DEP_1)
	v_xor_b32_e32 v4, v4, v0
	v_sub_nc_u64_e32 v[0:1], v[4:5], v[0:1]
	s_delay_alu instid0(VALU_DEP_1)
	v_dual_cndmask_b32 v1, 0, v1 :: v_dual_cndmask_b32 v0, 0, v0
	s_branch .LBB126_21
.LBB126_20:
	s_mov_b32 s71, -1
                                        ; implicit-def: $vgpr0_vgpr1
.LBB126_21:
	s_mov_b32 s34, 0
.LBB126_22:
	s_delay_alu instid0(SALU_CYCLE_1)
	s_and_b32 vcc_lo, exec_lo, s34
	s_cbranch_vccz .LBB126_26
; %bb.23:
	s_cmp_eq_u32 s1, 29
	s_cbranch_scc0 .LBB126_25
; %bb.24:
	global_load_b64 v[0:1], v[2:3], off
	s_mov_b32 s31, -1
	s_mov_b32 s71, 0
	s_branch .LBB126_26
.LBB126_25:
	s_mov_b32 s71, -1
                                        ; implicit-def: $vgpr0_vgpr1
.LBB126_26:
	s_mov_b32 s34, 0
.LBB126_27:
	s_delay_alu instid0(SALU_CYCLE_1)
	s_and_b32 vcc_lo, exec_lo, s34
	s_cbranch_vccz .LBB126_43
; %bb.28:
	s_cmp_lt_i32 s1, 27
	s_cbranch_scc1 .LBB126_31
; %bb.29:
	s_cmp_gt_i32 s1, 27
	s_cbranch_scc0 .LBB126_32
; %bb.30:
	s_wait_loadcnt 0x0
	global_load_b32 v0, v[2:3], off
	v_mov_b32_e32 v1, 0
	s_mov_b32 s31, 0
	s_branch .LBB126_33
.LBB126_31:
	s_mov_b32 s31, -1
                                        ; implicit-def: $vgpr0_vgpr1
	s_branch .LBB126_36
.LBB126_32:
	s_mov_b32 s31, -1
                                        ; implicit-def: $vgpr0_vgpr1
.LBB126_33:
	s_delay_alu instid0(SALU_CYCLE_1)
	s_and_not1_b32 vcc_lo, exec_lo, s31
	s_cbranch_vccnz .LBB126_35
; %bb.34:
	s_wait_loadcnt 0x0
	global_load_u16 v0, v[2:3], off
	s_mov_b32 s31, 0
	s_delay_alu instid0(SALU_CYCLE_1)
	v_mov_b32_e32 v1, s31
	s_wait_loadcnt 0x0
	v_and_b32_e32 v0, 0xffff, v0
.LBB126_35:
	s_mov_b32 s31, 0
.LBB126_36:
	s_delay_alu instid0(SALU_CYCLE_1)
	s_and_not1_b32 vcc_lo, exec_lo, s31
	s_cbranch_vccnz .LBB126_42
; %bb.37:
	global_load_u8 v4, v[2:3], off
	s_mov_b32 s34, 0
	s_mov_b32 s31, exec_lo
	s_wait_loadcnt 0x0
	v_cmpx_lt_i16_e32 0x7f, v4
	s_xor_b32 s31, exec_lo, s31
	s_cbranch_execz .LBB126_53
; %bb.38:
	v_cmp_ne_u16_e32 vcc_lo, 0x80, v4
	s_and_b32 s34, vcc_lo, exec_lo
	s_and_not1_saveexec_b32 s31, s31
	s_cbranch_execnz .LBB126_54
.LBB126_39:
	s_or_b32 exec_lo, exec_lo, s31
	v_mov_b64_e32 v[0:1], 0
	s_and_saveexec_b32 s31, s34
	s_cbranch_execz .LBB126_41
.LBB126_40:
	v_and_b32_e32 v0, 0xffff, v4
	s_delay_alu instid0(VALU_DEP_1) | instskip(SKIP_1) | instid1(VALU_DEP_2)
	v_and_b32_e32 v1, 7, v0
	v_bfe_u32 v7, v0, 3, 4
	v_clz_i32_u32_e32 v5, v1
	s_delay_alu instid0(VALU_DEP_2) | instskip(NEXT) | instid1(VALU_DEP_2)
	v_cmp_eq_u32_e32 vcc_lo, 0, v7
	v_min_u32_e32 v5, 32, v5
	s_delay_alu instid0(VALU_DEP_1) | instskip(NEXT) | instid1(VALU_DEP_1)
	v_subrev_nc_u32_e32 v6, 28, v5
	v_dual_lshlrev_b32 v0, v6, v0 :: v_dual_sub_nc_u32 v5, 29, v5
	s_delay_alu instid0(VALU_DEP_1) | instskip(NEXT) | instid1(VALU_DEP_2)
	v_and_b32_e32 v0, 7, v0
	v_dual_cndmask_b32 v5, v7, v5 :: v_dual_lshlrev_b32 v4, 24, v4
	s_delay_alu instid0(VALU_DEP_2) | instskip(NEXT) | instid1(VALU_DEP_2)
	v_cndmask_b32_e32 v0, v1, v0, vcc_lo
	v_and_b32_e32 v1, 0x80000000, v4
	s_delay_alu instid0(VALU_DEP_3) | instskip(NEXT) | instid1(VALU_DEP_3)
	v_lshl_add_u32 v4, v5, 23, 0x3b800000
	v_lshlrev_b32_e32 v0, 20, v0
	s_delay_alu instid0(VALU_DEP_1) | instskip(NEXT) | instid1(VALU_DEP_1)
	v_or3_b32 v0, v1, v4, v0
	v_trunc_f32_e32 v0, v0
	s_delay_alu instid0(VALU_DEP_1) | instskip(NEXT) | instid1(VALU_DEP_1)
	v_mul_f32_e64 v1, 0x2f800000, |v0|
	v_floor_f32_e32 v1, v1
	s_delay_alu instid0(VALU_DEP_1) | instskip(SKIP_2) | instid1(VALU_DEP_3)
	v_fma_f32 v4, 0xcf800000, v1, |v0|
	v_ashrrev_i32_e32 v0, 31, v0
	v_cvt_u32_f32_e32 v5, v1
	v_cvt_u32_f32_e32 v4, v4
	s_delay_alu instid0(VALU_DEP_2) | instskip(NEXT) | instid1(VALU_DEP_2)
	v_dual_mov_b32 v1, v0 :: v_dual_bitop2_b32 v5, v5, v0 bitop3:0x14
	v_xor_b32_e32 v4, v4, v0
	s_delay_alu instid0(VALU_DEP_1)
	v_sub_nc_u64_e32 v[0:1], v[4:5], v[0:1]
.LBB126_41:
	s_or_b32 exec_lo, exec_lo, s31
.LBB126_42:
	s_mov_b32 s31, -1
.LBB126_43:
	s_branch .LBB126_76
.LBB126_44:
	s_cmp_gt_i32 s1, 22
	s_cbranch_scc0 .LBB126_52
; %bb.45:
	s_cmp_lt_i32 s1, 24
	s_cbranch_scc1 .LBB126_55
; %bb.46:
	s_cmp_gt_i32 s1, 24
	s_cbranch_scc0 .LBB126_56
; %bb.47:
	global_load_u8 v4, v[2:3], off
	s_mov_b32 s34, 0
	s_mov_b32 s31, exec_lo
	s_wait_loadcnt 0x0
	v_cmpx_lt_i16_e32 0x7f, v4
	s_xor_b32 s31, exec_lo, s31
	s_cbranch_execz .LBB126_68
; %bb.48:
	v_cmp_ne_u16_e32 vcc_lo, 0x80, v4
	s_and_b32 s34, vcc_lo, exec_lo
	s_and_not1_saveexec_b32 s31, s31
	s_cbranch_execnz .LBB126_69
.LBB126_49:
	s_or_b32 exec_lo, exec_lo, s31
	v_mov_b64_e32 v[0:1], 0
	s_and_saveexec_b32 s31, s34
	s_cbranch_execz .LBB126_51
.LBB126_50:
	v_and_b32_e32 v0, 0xffff, v4
	s_delay_alu instid0(VALU_DEP_1) | instskip(SKIP_1) | instid1(VALU_DEP_2)
	v_and_b32_e32 v1, 3, v0
	v_bfe_u32 v7, v0, 2, 5
	v_clz_i32_u32_e32 v5, v1
	s_delay_alu instid0(VALU_DEP_2) | instskip(NEXT) | instid1(VALU_DEP_2)
	v_cmp_eq_u32_e32 vcc_lo, 0, v7
	v_min_u32_e32 v5, 32, v5
	s_delay_alu instid0(VALU_DEP_1) | instskip(NEXT) | instid1(VALU_DEP_1)
	v_subrev_nc_u32_e32 v6, 29, v5
	v_dual_lshlrev_b32 v0, v6, v0 :: v_dual_sub_nc_u32 v5, 30, v5
	s_delay_alu instid0(VALU_DEP_1) | instskip(NEXT) | instid1(VALU_DEP_2)
	v_and_b32_e32 v0, 3, v0
	v_dual_cndmask_b32 v5, v7, v5 :: v_dual_lshlrev_b32 v4, 24, v4
	s_delay_alu instid0(VALU_DEP_2) | instskip(NEXT) | instid1(VALU_DEP_2)
	v_cndmask_b32_e32 v0, v1, v0, vcc_lo
	v_and_b32_e32 v1, 0x80000000, v4
	s_delay_alu instid0(VALU_DEP_3) | instskip(NEXT) | instid1(VALU_DEP_3)
	v_lshl_add_u32 v4, v5, 23, 0x37800000
	v_lshlrev_b32_e32 v0, 21, v0
	s_delay_alu instid0(VALU_DEP_1) | instskip(NEXT) | instid1(VALU_DEP_1)
	v_or3_b32 v0, v1, v4, v0
	v_trunc_f32_e32 v0, v0
	s_delay_alu instid0(VALU_DEP_1) | instskip(NEXT) | instid1(VALU_DEP_1)
	v_mul_f32_e64 v1, 0x2f800000, |v0|
	v_floor_f32_e32 v1, v1
	s_delay_alu instid0(VALU_DEP_1) | instskip(SKIP_2) | instid1(VALU_DEP_3)
	v_fma_f32 v4, 0xcf800000, v1, |v0|
	v_ashrrev_i32_e32 v0, 31, v0
	v_cvt_u32_f32_e32 v5, v1
	v_cvt_u32_f32_e32 v4, v4
	s_delay_alu instid0(VALU_DEP_2) | instskip(NEXT) | instid1(VALU_DEP_2)
	v_dual_mov_b32 v1, v0 :: v_dual_bitop2_b32 v5, v5, v0 bitop3:0x14
	v_xor_b32_e32 v4, v4, v0
	s_delay_alu instid0(VALU_DEP_1)
	v_sub_nc_u64_e32 v[0:1], v[4:5], v[0:1]
.LBB126_51:
	s_or_b32 exec_lo, exec_lo, s31
	s_mov_b32 s31, 0
	s_branch .LBB126_57
.LBB126_52:
	s_mov_b32 s34, -1
                                        ; implicit-def: $vgpr0_vgpr1
	s_branch .LBB126_63
.LBB126_53:
	s_and_not1_saveexec_b32 s31, s31
	s_cbranch_execz .LBB126_39
.LBB126_54:
	v_cmp_ne_u16_e32 vcc_lo, 0, v4
	s_and_not1_b32 s34, s34, exec_lo
	s_and_b32 s35, vcc_lo, exec_lo
	s_delay_alu instid0(SALU_CYCLE_1)
	s_or_b32 s34, s34, s35
	s_or_b32 exec_lo, exec_lo, s31
	v_mov_b64_e32 v[0:1], 0
	s_and_saveexec_b32 s31, s34
	s_cbranch_execnz .LBB126_40
	s_branch .LBB126_41
.LBB126_55:
	s_mov_b32 s31, -1
                                        ; implicit-def: $vgpr0_vgpr1
	s_branch .LBB126_60
.LBB126_56:
	s_mov_b32 s31, -1
                                        ; implicit-def: $vgpr0_vgpr1
.LBB126_57:
	s_delay_alu instid0(SALU_CYCLE_1)
	s_and_b32 vcc_lo, exec_lo, s31
	s_cbranch_vccz .LBB126_59
; %bb.58:
	s_wait_loadcnt 0x0
	global_load_u8 v0, v[2:3], off
	s_wait_loadcnt 0x0
	v_lshlrev_b32_e32 v0, 24, v0
	s_delay_alu instid0(VALU_DEP_1) | instskip(NEXT) | instid1(VALU_DEP_1)
	v_and_b32_e32 v1, 0x7f000000, v0
	v_clz_i32_u32_e32 v4, v1
	v_cmp_ne_u32_e32 vcc_lo, 0, v1
	v_add_nc_u32_e32 v6, 0x1000000, v1
	s_delay_alu instid0(VALU_DEP_3) | instskip(NEXT) | instid1(VALU_DEP_1)
	v_min_u32_e32 v4, 32, v4
	v_sub_nc_u32_e64 v4, v4, 4 clamp
	s_delay_alu instid0(VALU_DEP_1) | instskip(NEXT) | instid1(VALU_DEP_1)
	v_dual_lshlrev_b32 v5, v4, v1 :: v_dual_lshlrev_b32 v4, 23, v4
	v_lshrrev_b32_e32 v5, 4, v5
	s_delay_alu instid0(VALU_DEP_1) | instskip(NEXT) | instid1(VALU_DEP_1)
	v_dual_sub_nc_u32 v4, v5, v4 :: v_dual_ashrrev_i32 v5, 8, v6
	v_add_nc_u32_e32 v4, 0x3c000000, v4
	s_delay_alu instid0(VALU_DEP_1) | instskip(NEXT) | instid1(VALU_DEP_1)
	v_and_or_b32 v4, 0x7f800000, v5, v4
	v_cndmask_b32_e32 v1, 0, v4, vcc_lo
	s_delay_alu instid0(VALU_DEP_1) | instskip(NEXT) | instid1(VALU_DEP_1)
	v_and_or_b32 v0, 0x80000000, v0, v1
	v_trunc_f32_e32 v0, v0
	s_delay_alu instid0(VALU_DEP_1) | instskip(NEXT) | instid1(VALU_DEP_1)
	v_mul_f32_e64 v1, 0x2f800000, |v0|
	v_floor_f32_e32 v1, v1
	s_delay_alu instid0(VALU_DEP_1) | instskip(SKIP_2) | instid1(VALU_DEP_3)
	v_fma_f32 v4, 0xcf800000, v1, |v0|
	v_ashrrev_i32_e32 v0, 31, v0
	v_cvt_u32_f32_e32 v5, v1
	v_cvt_u32_f32_e32 v4, v4
	s_delay_alu instid0(VALU_DEP_2) | instskip(NEXT) | instid1(VALU_DEP_2)
	v_dual_mov_b32 v1, v0 :: v_dual_bitop2_b32 v5, v5, v0 bitop3:0x14
	v_xor_b32_e32 v4, v4, v0
	s_delay_alu instid0(VALU_DEP_1)
	v_sub_nc_u64_e32 v[0:1], v[4:5], v[0:1]
.LBB126_59:
	s_mov_b32 s31, 0
.LBB126_60:
	s_delay_alu instid0(SALU_CYCLE_1)
	s_and_not1_b32 vcc_lo, exec_lo, s31
	s_cbranch_vccnz .LBB126_62
; %bb.61:
	s_wait_loadcnt 0x0
	global_load_u8 v0, v[2:3], off
	s_wait_loadcnt 0x0
	v_lshlrev_b32_e32 v1, 25, v0
	v_lshlrev_b16 v0, 8, v0
	s_delay_alu instid0(VALU_DEP_1) | instskip(SKIP_1) | instid1(VALU_DEP_2)
	v_and_or_b32 v5, 0x7f00, v0, 0.5
	v_bfe_i32 v0, v0, 0, 16
	v_add_f32_e32 v5, -0.5, v5
	v_lshrrev_b32_e32 v4, 4, v1
	v_cmp_gt_u32_e32 vcc_lo, 0x8000000, v1
	s_delay_alu instid0(VALU_DEP_2) | instskip(NEXT) | instid1(VALU_DEP_1)
	v_or_b32_e32 v4, 0x70000000, v4
	v_mul_f32_e32 v4, 0x7800000, v4
	s_delay_alu instid0(VALU_DEP_1) | instskip(NEXT) | instid1(VALU_DEP_1)
	v_cndmask_b32_e32 v1, v4, v5, vcc_lo
	v_and_or_b32 v0, 0x80000000, v0, v1
	s_delay_alu instid0(VALU_DEP_1) | instskip(NEXT) | instid1(VALU_DEP_1)
	v_trunc_f32_e32 v0, v0
	v_mul_f32_e64 v1, 0x2f800000, |v0|
	s_delay_alu instid0(VALU_DEP_1) | instskip(NEXT) | instid1(VALU_DEP_1)
	v_floor_f32_e32 v1, v1
	v_fma_f32 v4, 0xcf800000, v1, |v0|
	v_ashrrev_i32_e32 v0, 31, v0
	v_cvt_u32_f32_e32 v5, v1
	s_delay_alu instid0(VALU_DEP_3) | instskip(NEXT) | instid1(VALU_DEP_2)
	v_cvt_u32_f32_e32 v4, v4
	v_dual_mov_b32 v1, v0 :: v_dual_bitop2_b32 v5, v5, v0 bitop3:0x14
	s_delay_alu instid0(VALU_DEP_2) | instskip(NEXT) | instid1(VALU_DEP_1)
	v_xor_b32_e32 v4, v4, v0
	v_sub_nc_u64_e32 v[0:1], v[4:5], v[0:1]
.LBB126_62:
	s_mov_b32 s34, 0
	s_mov_b32 s31, -1
.LBB126_63:
	s_and_not1_b32 vcc_lo, exec_lo, s34
	s_cbranch_vccnz .LBB126_76
; %bb.64:
	s_cmp_gt_i32 s1, 14
	s_cbranch_scc0 .LBB126_67
; %bb.65:
	s_cmp_eq_u32 s1, 15
	s_cbranch_scc0 .LBB126_70
; %bb.66:
	s_wait_loadcnt 0x0
	global_load_u16 v0, v[2:3], off
	s_mov_b32 s31, -1
	s_mov_b32 s71, 0
	s_wait_loadcnt 0x0
	v_lshlrev_b32_e32 v0, 16, v0
	s_delay_alu instid0(VALU_DEP_1) | instskip(NEXT) | instid1(VALU_DEP_1)
	v_trunc_f32_e32 v0, v0
	v_mul_f32_e64 v1, 0x2f800000, |v0|
	s_delay_alu instid0(VALU_DEP_1) | instskip(NEXT) | instid1(VALU_DEP_1)
	v_floor_f32_e32 v1, v1
	v_fma_f32 v4, 0xcf800000, v1, |v0|
	v_ashrrev_i32_e32 v0, 31, v0
	v_cvt_u32_f32_e32 v5, v1
	s_delay_alu instid0(VALU_DEP_3) | instskip(NEXT) | instid1(VALU_DEP_2)
	v_cvt_u32_f32_e32 v4, v4
	v_dual_mov_b32 v1, v0 :: v_dual_bitop2_b32 v5, v5, v0 bitop3:0x14
	s_delay_alu instid0(VALU_DEP_2) | instskip(NEXT) | instid1(VALU_DEP_1)
	v_xor_b32_e32 v4, v4, v0
	v_sub_nc_u64_e32 v[0:1], v[4:5], v[0:1]
	s_branch .LBB126_71
.LBB126_67:
	s_mov_b32 s34, -1
                                        ; implicit-def: $vgpr0_vgpr1
	s_branch .LBB126_72
.LBB126_68:
	s_and_not1_saveexec_b32 s31, s31
	s_cbranch_execz .LBB126_49
.LBB126_69:
	v_cmp_ne_u16_e32 vcc_lo, 0, v4
	s_and_not1_b32 s34, s34, exec_lo
	s_and_b32 s35, vcc_lo, exec_lo
	s_delay_alu instid0(SALU_CYCLE_1)
	s_or_b32 s34, s34, s35
	s_or_b32 exec_lo, exec_lo, s31
	v_mov_b64_e32 v[0:1], 0
	s_and_saveexec_b32 s31, s34
	s_cbranch_execnz .LBB126_50
	s_branch .LBB126_51
.LBB126_70:
	s_mov_b32 s71, -1
                                        ; implicit-def: $vgpr0_vgpr1
.LBB126_71:
	s_mov_b32 s34, 0
.LBB126_72:
	s_delay_alu instid0(SALU_CYCLE_1)
	s_and_b32 vcc_lo, exec_lo, s34
	s_cbranch_vccz .LBB126_76
; %bb.73:
	s_cmp_eq_u32 s1, 11
	s_cbranch_scc0 .LBB126_75
; %bb.74:
	s_wait_loadcnt 0x0
	global_load_u8 v0, v[2:3], off
	s_mov_b32 s71, 0
	s_mov_b32 s31, -1
	v_mov_b32_e32 v1, s71
	s_wait_loadcnt 0x0
	v_cmp_ne_u16_e32 vcc_lo, 0, v0
	v_cndmask_b32_e64 v0, 0, 1, vcc_lo
	s_branch .LBB126_76
.LBB126_75:
	s_mov_b32 s71, -1
                                        ; implicit-def: $vgpr0_vgpr1
.LBB126_76:
	s_branch .LBB126_10
.LBB126_77:
	s_and_b32 s0, 0xffff, s0
	s_delay_alu instid0(SALU_CYCLE_1)
	s_cmp_lt_i32 s0, 5
	s_cbranch_scc1 .LBB126_82
; %bb.78:
	s_cmp_lt_i32 s0, 8
	s_cbranch_scc1 .LBB126_83
; %bb.79:
	;; [unrolled: 3-line block ×3, first 2 shown]
	s_cmp_gt_i32 s0, 9
	s_cbranch_scc0 .LBB126_85
; %bb.81:
	s_wait_loadcnt 0x0
	global_load_b64 v[0:1], v[2:3], off
	s_mov_b32 s1, 0
	s_wait_loadcnt 0x0
	v_trunc_f64_e32 v[0:1], v[0:1]
	s_delay_alu instid0(VALU_DEP_1) | instskip(NEXT) | instid1(VALU_DEP_1)
	v_ldexp_f64 v[4:5], v[0:1], 0xffffffe0
	v_floor_f64_e32 v[4:5], v[4:5]
	s_delay_alu instid0(VALU_DEP_1) | instskip(SKIP_1) | instid1(VALU_DEP_2)
	v_fmamk_f64 v[6:7], v[4:5], 0xc1f00000, v[0:1]
	v_cvt_i32_f64_e32 v1, v[4:5]
	v_cvt_u32_f64_e32 v0, v[6:7]
	s_branch .LBB126_86
.LBB126_82:
                                        ; implicit-def: $vgpr0_vgpr1
	s_branch .LBB126_104
.LBB126_83:
	s_mov_b32 s1, -1
                                        ; implicit-def: $vgpr0_vgpr1
	s_branch .LBB126_92
.LBB126_84:
	s_mov_b32 s1, -1
                                        ; implicit-def: $vgpr0_vgpr1
	s_branch .LBB126_89
.LBB126_85:
	s_mov_b32 s1, -1
                                        ; implicit-def: $vgpr0_vgpr1
.LBB126_86:
	s_delay_alu instid0(SALU_CYCLE_1)
	s_and_not1_b32 vcc_lo, exec_lo, s1
	s_cbranch_vccnz .LBB126_88
; %bb.87:
	s_wait_loadcnt 0x0
	global_load_b32 v0, v[2:3], off
	s_wait_loadcnt 0x0
	v_trunc_f32_e32 v0, v0
	s_delay_alu instid0(VALU_DEP_1) | instskip(NEXT) | instid1(VALU_DEP_1)
	v_mul_f32_e64 v1, 0x2f800000, |v0|
	v_floor_f32_e32 v1, v1
	s_delay_alu instid0(VALU_DEP_1) | instskip(SKIP_2) | instid1(VALU_DEP_3)
	v_fma_f32 v4, 0xcf800000, v1, |v0|
	v_ashrrev_i32_e32 v0, 31, v0
	v_cvt_u32_f32_e32 v5, v1
	v_cvt_u32_f32_e32 v4, v4
	s_delay_alu instid0(VALU_DEP_2) | instskip(NEXT) | instid1(VALU_DEP_2)
	v_dual_mov_b32 v1, v0 :: v_dual_bitop2_b32 v5, v5, v0 bitop3:0x14
	v_xor_b32_e32 v4, v4, v0
	s_delay_alu instid0(VALU_DEP_1)
	v_sub_nc_u64_e32 v[0:1], v[4:5], v[0:1]
.LBB126_88:
	s_mov_b32 s1, 0
.LBB126_89:
	s_delay_alu instid0(SALU_CYCLE_1)
	s_and_not1_b32 vcc_lo, exec_lo, s1
	s_cbranch_vccnz .LBB126_91
; %bb.90:
	s_wait_loadcnt 0x0
	global_load_b32 v0, v[2:3], off
	s_wait_loadcnt 0x0
	v_cvt_f32_f16_e32 v0, v0
	s_delay_alu instid0(VALU_DEP_1) | instskip(NEXT) | instid1(VALU_DEP_1)
	v_cvt_i32_f32_e32 v0, v0
	v_ashrrev_i32_e32 v1, 31, v0
.LBB126_91:
	s_mov_b32 s1, 0
.LBB126_92:
	s_delay_alu instid0(SALU_CYCLE_1)
	s_and_not1_b32 vcc_lo, exec_lo, s1
	s_cbranch_vccnz .LBB126_103
; %bb.93:
	s_cmp_lt_i32 s0, 6
	s_cbranch_scc1 .LBB126_96
; %bb.94:
	s_cmp_gt_i32 s0, 6
	s_cbranch_scc0 .LBB126_97
; %bb.95:
	s_wait_loadcnt 0x0
	global_load_b64 v[0:1], v[2:3], off
	s_mov_b32 s1, 0
	s_wait_loadcnt 0x0
	v_trunc_f64_e32 v[0:1], v[0:1]
	s_delay_alu instid0(VALU_DEP_1) | instskip(NEXT) | instid1(VALU_DEP_1)
	v_ldexp_f64 v[4:5], v[0:1], 0xffffffe0
	v_floor_f64_e32 v[4:5], v[4:5]
	s_delay_alu instid0(VALU_DEP_1) | instskip(SKIP_1) | instid1(VALU_DEP_2)
	v_fmamk_f64 v[6:7], v[4:5], 0xc1f00000, v[0:1]
	v_cvt_i32_f64_e32 v1, v[4:5]
	v_cvt_u32_f64_e32 v0, v[6:7]
	s_branch .LBB126_98
.LBB126_96:
	s_mov_b32 s1, -1
                                        ; implicit-def: $vgpr0_vgpr1
	s_branch .LBB126_101
.LBB126_97:
	s_mov_b32 s1, -1
                                        ; implicit-def: $vgpr0_vgpr1
.LBB126_98:
	s_delay_alu instid0(SALU_CYCLE_1)
	s_and_not1_b32 vcc_lo, exec_lo, s1
	s_cbranch_vccnz .LBB126_100
; %bb.99:
	s_wait_loadcnt 0x0
	global_load_b32 v0, v[2:3], off
	s_wait_loadcnt 0x0
	v_trunc_f32_e32 v0, v0
	s_delay_alu instid0(VALU_DEP_1) | instskip(NEXT) | instid1(VALU_DEP_1)
	v_mul_f32_e64 v1, 0x2f800000, |v0|
	v_floor_f32_e32 v1, v1
	s_delay_alu instid0(VALU_DEP_1) | instskip(SKIP_2) | instid1(VALU_DEP_3)
	v_fma_f32 v4, 0xcf800000, v1, |v0|
	v_ashrrev_i32_e32 v0, 31, v0
	v_cvt_u32_f32_e32 v5, v1
	v_cvt_u32_f32_e32 v4, v4
	s_delay_alu instid0(VALU_DEP_2) | instskip(NEXT) | instid1(VALU_DEP_2)
	v_dual_mov_b32 v1, v0 :: v_dual_bitop2_b32 v5, v5, v0 bitop3:0x14
	v_xor_b32_e32 v4, v4, v0
	s_delay_alu instid0(VALU_DEP_1)
	v_sub_nc_u64_e32 v[0:1], v[4:5], v[0:1]
.LBB126_100:
	s_mov_b32 s1, 0
.LBB126_101:
	s_delay_alu instid0(SALU_CYCLE_1)
	s_and_not1_b32 vcc_lo, exec_lo, s1
	s_cbranch_vccnz .LBB126_103
; %bb.102:
	s_wait_loadcnt 0x0
	global_load_u16 v0, v[2:3], off
	s_wait_loadcnt 0x0
	v_cvt_f32_f16_e32 v0, v0
	s_delay_alu instid0(VALU_DEP_1) | instskip(NEXT) | instid1(VALU_DEP_1)
	v_cvt_i32_f32_e32 v0, v0
	v_ashrrev_i32_e32 v1, 31, v0
.LBB126_103:
	s_cbranch_execnz .LBB126_123
.LBB126_104:
	s_cmp_lt_i32 s0, 2
	s_cbranch_scc1 .LBB126_108
; %bb.105:
	s_cmp_lt_i32 s0, 3
	s_cbranch_scc1 .LBB126_109
; %bb.106:
	s_cmp_gt_i32 s0, 3
	s_cbranch_scc0 .LBB126_110
; %bb.107:
	s_wait_loadcnt 0x0
	global_load_b64 v[0:1], v[2:3], off
	s_mov_b32 s1, 0
	s_branch .LBB126_111
.LBB126_108:
	s_mov_b32 s1, -1
                                        ; implicit-def: $vgpr0_vgpr1
	s_branch .LBB126_117
.LBB126_109:
	s_mov_b32 s1, -1
                                        ; implicit-def: $vgpr0_vgpr1
	s_branch .LBB126_114
.LBB126_110:
	s_mov_b32 s1, -1
                                        ; implicit-def: $vgpr0_vgpr1
.LBB126_111:
	s_delay_alu instid0(SALU_CYCLE_1)
	s_and_not1_b32 vcc_lo, exec_lo, s1
	s_cbranch_vccnz .LBB126_113
; %bb.112:
	s_wait_loadcnt 0x0
	global_load_b32 v0, v[2:3], off
	s_wait_loadcnt 0x0
	v_ashrrev_i32_e32 v1, 31, v0
.LBB126_113:
	s_mov_b32 s1, 0
.LBB126_114:
	s_delay_alu instid0(SALU_CYCLE_1)
	s_and_not1_b32 vcc_lo, exec_lo, s1
	s_cbranch_vccnz .LBB126_116
; %bb.115:
	s_wait_loadcnt 0x0
	global_load_u16 v0, v[2:3], off
	s_wait_loadcnt 0x0
	v_bfe_i32 v0, v0, 0, 16
	s_delay_alu instid0(VALU_DEP_1)
	v_ashrrev_i32_e32 v1, 31, v0
.LBB126_116:
	s_mov_b32 s1, 0
.LBB126_117:
	s_delay_alu instid0(SALU_CYCLE_1)
	s_and_not1_b32 vcc_lo, exec_lo, s1
	s_cbranch_vccnz .LBB126_123
; %bb.118:
	s_cmp_gt_i32 s0, 0
	s_mov_b32 s0, 0
	s_cbranch_scc0 .LBB126_120
; %bb.119:
	s_wait_loadcnt 0x0
	global_load_i8 v0, v[2:3], off
	s_wait_loadcnt 0x0
	v_bfe_i32 v0, v0, 0, 16
	s_delay_alu instid0(VALU_DEP_1)
	v_ashrrev_i32_e32 v1, 31, v0
	s_branch .LBB126_121
.LBB126_120:
	s_mov_b32 s0, -1
                                        ; implicit-def: $vgpr0_vgpr1
.LBB126_121:
	s_delay_alu instid0(SALU_CYCLE_1)
	s_and_not1_b32 vcc_lo, exec_lo, s0
	s_cbranch_vccnz .LBB126_123
; %bb.122:
	s_wait_loadcnt 0x0
	global_load_u8 v0, v[2:3], off
	s_mov_b32 s0, 0
	s_delay_alu instid0(SALU_CYCLE_1)
	v_mov_b32_e32 v1, s0
	s_wait_loadcnt 0x0
	v_and_b32_e32 v0, 0xffff, v0
.LBB126_123:
.LBB126_124:
	s_wait_xcnt 0x0
	v_mul_lo_u32 v2, v22, s18
	s_and_b32 s0, s33, 0xff
	s_delay_alu instid0(SALU_CYCLE_1) | instskip(NEXT) | instid1(VALU_DEP_1)
	s_cmp_lt_i32 s0, 11
	v_ashrrev_i32_e32 v3, 31, v2
	s_delay_alu instid0(VALU_DEP_1)
	v_add_nc_u64_e32 v[4:5], s[8:9], v[2:3]
	s_cbranch_scc1 .LBB126_131
; %bb.125:
	s_and_b32 s1, 0xffff, s0
	s_delay_alu instid0(SALU_CYCLE_1)
	s_cmp_gt_i32 s1, 25
	s_cbranch_scc0 .LBB126_133
; %bb.126:
	s_cmp_gt_i32 s1, 28
	s_cbranch_scc0 .LBB126_134
; %bb.127:
	;; [unrolled: 3-line block ×4, first 2 shown]
	s_cmp_eq_u32 s1, 46
	s_mov_b32 s34, 0
	s_cbranch_scc0 .LBB126_137
; %bb.130:
	global_load_b32 v2, v[4:5], off
	s_mov_b32 s31, -1
	s_wait_loadcnt 0x0
	v_lshlrev_b32_e32 v2, 16, v2
	s_delay_alu instid0(VALU_DEP_1) | instskip(NEXT) | instid1(VALU_DEP_1)
	v_trunc_f32_e32 v2, v2
	v_mul_f32_e64 v3, 0x2f800000, |v2|
	s_delay_alu instid0(VALU_DEP_1) | instskip(NEXT) | instid1(VALU_DEP_1)
	v_floor_f32_e32 v3, v3
	v_fma_f32 v6, 0xcf800000, v3, |v2|
	v_ashrrev_i32_e32 v2, 31, v2
	v_cvt_u32_f32_e32 v7, v3
	s_delay_alu instid0(VALU_DEP_3) | instskip(NEXT) | instid1(VALU_DEP_2)
	v_cvt_u32_f32_e32 v6, v6
	v_dual_mov_b32 v3, v2 :: v_dual_bitop2_b32 v7, v7, v2 bitop3:0x14
	s_delay_alu instid0(VALU_DEP_2) | instskip(NEXT) | instid1(VALU_DEP_1)
	v_xor_b32_e32 v6, v6, v2
	v_sub_nc_u64_e32 v[2:3], v[6:7], v[2:3]
	s_branch .LBB126_139
.LBB126_131:
	s_mov_b32 s31, 0
                                        ; implicit-def: $vgpr2_vgpr3
	s_cbranch_execnz .LBB126_200
.LBB126_132:
	s_and_not1_b32 vcc_lo, exec_lo, s31
	s_cbranch_vccnz .LBB126_628
	s_branch .LBB126_248
.LBB126_133:
	s_mov_b32 s34, -1
	s_mov_b32 s31, 0
                                        ; implicit-def: $vgpr2_vgpr3
	s_branch .LBB126_166
.LBB126_134:
	s_mov_b32 s34, -1
	s_mov_b32 s31, 0
                                        ; implicit-def: $vgpr2_vgpr3
	s_branch .LBB126_149
.LBB126_135:
	s_mov_b32 s34, -1
	s_mov_b32 s31, 0
                                        ; implicit-def: $vgpr2_vgpr3
	s_branch .LBB126_144
.LBB126_136:
	s_mov_b32 s34, -1
	s_branch .LBB126_138
.LBB126_137:
	s_mov_b32 s70, -1
.LBB126_138:
	s_mov_b32 s31, 0
                                        ; implicit-def: $vgpr2_vgpr3
.LBB126_139:
	s_and_b32 vcc_lo, exec_lo, s34
	s_cbranch_vccz .LBB126_143
; %bb.140:
	s_cmp_eq_u32 s1, 44
	s_cbranch_scc0 .LBB126_142
; %bb.141:
	global_load_u8 v8, v[4:5], off
	s_mov_b32 s70, 0
	s_mov_b32 s31, -1
	s_wait_loadcnt 0x0
	v_cmp_ne_u32_e32 vcc_lo, 0, v8
	v_lshlrev_b32_e32 v2, 23, v8
	s_delay_alu instid0(VALU_DEP_1) | instskip(NEXT) | instid1(VALU_DEP_1)
	v_trunc_f32_e32 v2, v2
	v_mul_f32_e64 v3, 0x2f800000, |v2|
	s_delay_alu instid0(VALU_DEP_1) | instskip(NEXT) | instid1(VALU_DEP_1)
	v_floor_f32_e32 v3, v3
	v_fma_f32 v6, 0xcf800000, v3, |v2|
	v_ashrrev_i32_e32 v2, 31, v2
	v_cvt_u32_f32_e32 v7, v3
	s_delay_alu instid0(VALU_DEP_3) | instskip(NEXT) | instid1(VALU_DEP_2)
	v_cvt_u32_f32_e32 v6, v6
	v_dual_mov_b32 v3, v2 :: v_dual_bitop2_b32 v7, v7, v2 bitop3:0x14
	s_delay_alu instid0(VALU_DEP_2) | instskip(NEXT) | instid1(VALU_DEP_1)
	v_xor_b32_e32 v6, v6, v2
	v_sub_nc_u64_e32 v[2:3], v[6:7], v[2:3]
	s_delay_alu instid0(VALU_DEP_1)
	v_dual_cndmask_b32 v3, 0, v3 :: v_dual_cndmask_b32 v2, 0, v2
	s_branch .LBB126_143
.LBB126_142:
	s_mov_b32 s70, -1
                                        ; implicit-def: $vgpr2_vgpr3
.LBB126_143:
	s_mov_b32 s34, 0
.LBB126_144:
	s_delay_alu instid0(SALU_CYCLE_1)
	s_and_b32 vcc_lo, exec_lo, s34
	s_cbranch_vccz .LBB126_148
; %bb.145:
	s_cmp_eq_u32 s1, 29
	s_cbranch_scc0 .LBB126_147
; %bb.146:
	global_load_b64 v[2:3], v[4:5], off
	s_mov_b32 s31, -1
	s_mov_b32 s70, 0
	s_branch .LBB126_148
.LBB126_147:
	s_mov_b32 s70, -1
                                        ; implicit-def: $vgpr2_vgpr3
.LBB126_148:
	s_mov_b32 s34, 0
.LBB126_149:
	s_delay_alu instid0(SALU_CYCLE_1)
	s_and_b32 vcc_lo, exec_lo, s34
	s_cbranch_vccz .LBB126_165
; %bb.150:
	s_cmp_lt_i32 s1, 27
	s_cbranch_scc1 .LBB126_153
; %bb.151:
	s_cmp_gt_i32 s1, 27
	s_cbranch_scc0 .LBB126_154
; %bb.152:
	s_wait_loadcnt 0x0
	global_load_b32 v2, v[4:5], off
	v_mov_b32_e32 v3, 0
	s_mov_b32 s31, 0
	s_branch .LBB126_155
.LBB126_153:
	s_mov_b32 s31, -1
                                        ; implicit-def: $vgpr2_vgpr3
	s_branch .LBB126_158
.LBB126_154:
	s_mov_b32 s31, -1
                                        ; implicit-def: $vgpr2_vgpr3
.LBB126_155:
	s_delay_alu instid0(SALU_CYCLE_1)
	s_and_not1_b32 vcc_lo, exec_lo, s31
	s_cbranch_vccnz .LBB126_157
; %bb.156:
	s_wait_loadcnt 0x0
	global_load_u16 v2, v[4:5], off
	s_mov_b32 s31, 0
	s_delay_alu instid0(SALU_CYCLE_1)
	v_mov_b32_e32 v3, s31
	s_wait_loadcnt 0x0
	v_and_b32_e32 v2, 0xffff, v2
.LBB126_157:
	s_mov_b32 s31, 0
.LBB126_158:
	s_delay_alu instid0(SALU_CYCLE_1)
	s_and_not1_b32 vcc_lo, exec_lo, s31
	s_cbranch_vccnz .LBB126_164
; %bb.159:
	global_load_u8 v6, v[4:5], off
	s_mov_b32 s34, 0
	s_mov_b32 s31, exec_lo
	s_wait_loadcnt 0x0
	v_cmpx_lt_i16_e32 0x7f, v6
	s_xor_b32 s31, exec_lo, s31
	s_cbranch_execz .LBB126_176
; %bb.160:
	v_cmp_ne_u16_e32 vcc_lo, 0x80, v6
	s_and_b32 s34, vcc_lo, exec_lo
	s_and_not1_saveexec_b32 s31, s31
	s_cbranch_execnz .LBB126_177
.LBB126_161:
	s_or_b32 exec_lo, exec_lo, s31
	v_mov_b64_e32 v[2:3], 0
	s_and_saveexec_b32 s31, s34
	s_cbranch_execz .LBB126_163
.LBB126_162:
	v_and_b32_e32 v2, 0xffff, v6
	s_delay_alu instid0(VALU_DEP_1) | instskip(SKIP_1) | instid1(VALU_DEP_2)
	v_and_b32_e32 v3, 7, v2
	v_bfe_u32 v9, v2, 3, 4
	v_clz_i32_u32_e32 v7, v3
	s_delay_alu instid0(VALU_DEP_2) | instskip(NEXT) | instid1(VALU_DEP_2)
	v_cmp_eq_u32_e32 vcc_lo, 0, v9
	v_min_u32_e32 v7, 32, v7
	s_delay_alu instid0(VALU_DEP_1) | instskip(NEXT) | instid1(VALU_DEP_1)
	v_subrev_nc_u32_e32 v8, 28, v7
	v_dual_lshlrev_b32 v2, v8, v2 :: v_dual_sub_nc_u32 v7, 29, v7
	s_delay_alu instid0(VALU_DEP_1) | instskip(NEXT) | instid1(VALU_DEP_2)
	v_and_b32_e32 v2, 7, v2
	v_dual_cndmask_b32 v7, v9, v7 :: v_dual_lshlrev_b32 v6, 24, v6
	s_delay_alu instid0(VALU_DEP_2) | instskip(NEXT) | instid1(VALU_DEP_2)
	v_cndmask_b32_e32 v2, v3, v2, vcc_lo
	v_and_b32_e32 v3, 0x80000000, v6
	s_delay_alu instid0(VALU_DEP_3) | instskip(NEXT) | instid1(VALU_DEP_3)
	v_lshl_add_u32 v6, v7, 23, 0x3b800000
	v_lshlrev_b32_e32 v2, 20, v2
	s_delay_alu instid0(VALU_DEP_1) | instskip(NEXT) | instid1(VALU_DEP_1)
	v_or3_b32 v2, v3, v6, v2
	v_trunc_f32_e32 v2, v2
	s_delay_alu instid0(VALU_DEP_1) | instskip(NEXT) | instid1(VALU_DEP_1)
	v_mul_f32_e64 v3, 0x2f800000, |v2|
	v_floor_f32_e32 v3, v3
	s_delay_alu instid0(VALU_DEP_1) | instskip(SKIP_2) | instid1(VALU_DEP_3)
	v_fma_f32 v6, 0xcf800000, v3, |v2|
	v_ashrrev_i32_e32 v2, 31, v2
	v_cvt_u32_f32_e32 v7, v3
	v_cvt_u32_f32_e32 v6, v6
	s_delay_alu instid0(VALU_DEP_2) | instskip(NEXT) | instid1(VALU_DEP_2)
	v_dual_mov_b32 v3, v2 :: v_dual_bitop2_b32 v7, v7, v2 bitop3:0x14
	v_xor_b32_e32 v6, v6, v2
	s_delay_alu instid0(VALU_DEP_1)
	v_sub_nc_u64_e32 v[2:3], v[6:7], v[2:3]
.LBB126_163:
	s_or_b32 exec_lo, exec_lo, s31
.LBB126_164:
	s_mov_b32 s31, -1
.LBB126_165:
	s_mov_b32 s34, 0
.LBB126_166:
	s_delay_alu instid0(SALU_CYCLE_1)
	s_and_b32 vcc_lo, exec_lo, s34
	s_cbranch_vccz .LBB126_199
; %bb.167:
	s_cmp_gt_i32 s1, 22
	s_cbranch_scc0 .LBB126_175
; %bb.168:
	s_cmp_lt_i32 s1, 24
	s_cbranch_scc1 .LBB126_178
; %bb.169:
	s_cmp_gt_i32 s1, 24
	s_cbranch_scc0 .LBB126_179
; %bb.170:
	global_load_u8 v6, v[4:5], off
	s_mov_b32 s34, 0
	s_mov_b32 s31, exec_lo
	s_wait_loadcnt 0x0
	v_cmpx_lt_i16_e32 0x7f, v6
	s_xor_b32 s31, exec_lo, s31
	s_cbranch_execz .LBB126_191
; %bb.171:
	v_cmp_ne_u16_e32 vcc_lo, 0x80, v6
	s_and_b32 s34, vcc_lo, exec_lo
	s_and_not1_saveexec_b32 s31, s31
	s_cbranch_execnz .LBB126_192
.LBB126_172:
	s_or_b32 exec_lo, exec_lo, s31
	v_mov_b64_e32 v[2:3], 0
	s_and_saveexec_b32 s31, s34
	s_cbranch_execz .LBB126_174
.LBB126_173:
	v_and_b32_e32 v2, 0xffff, v6
	s_delay_alu instid0(VALU_DEP_1) | instskip(SKIP_1) | instid1(VALU_DEP_2)
	v_and_b32_e32 v3, 3, v2
	v_bfe_u32 v9, v2, 2, 5
	v_clz_i32_u32_e32 v7, v3
	s_delay_alu instid0(VALU_DEP_2) | instskip(NEXT) | instid1(VALU_DEP_2)
	v_cmp_eq_u32_e32 vcc_lo, 0, v9
	v_min_u32_e32 v7, 32, v7
	s_delay_alu instid0(VALU_DEP_1) | instskip(NEXT) | instid1(VALU_DEP_1)
	v_subrev_nc_u32_e32 v8, 29, v7
	v_dual_lshlrev_b32 v2, v8, v2 :: v_dual_sub_nc_u32 v7, 30, v7
	s_delay_alu instid0(VALU_DEP_1) | instskip(NEXT) | instid1(VALU_DEP_2)
	v_and_b32_e32 v2, 3, v2
	v_dual_cndmask_b32 v7, v9, v7 :: v_dual_lshlrev_b32 v6, 24, v6
	s_delay_alu instid0(VALU_DEP_2) | instskip(NEXT) | instid1(VALU_DEP_2)
	v_cndmask_b32_e32 v2, v3, v2, vcc_lo
	v_and_b32_e32 v3, 0x80000000, v6
	s_delay_alu instid0(VALU_DEP_3) | instskip(NEXT) | instid1(VALU_DEP_3)
	v_lshl_add_u32 v6, v7, 23, 0x37800000
	v_lshlrev_b32_e32 v2, 21, v2
	s_delay_alu instid0(VALU_DEP_1) | instskip(NEXT) | instid1(VALU_DEP_1)
	v_or3_b32 v2, v3, v6, v2
	v_trunc_f32_e32 v2, v2
	s_delay_alu instid0(VALU_DEP_1) | instskip(NEXT) | instid1(VALU_DEP_1)
	v_mul_f32_e64 v3, 0x2f800000, |v2|
	v_floor_f32_e32 v3, v3
	s_delay_alu instid0(VALU_DEP_1) | instskip(SKIP_2) | instid1(VALU_DEP_3)
	v_fma_f32 v6, 0xcf800000, v3, |v2|
	v_ashrrev_i32_e32 v2, 31, v2
	v_cvt_u32_f32_e32 v7, v3
	v_cvt_u32_f32_e32 v6, v6
	s_delay_alu instid0(VALU_DEP_2) | instskip(NEXT) | instid1(VALU_DEP_2)
	v_dual_mov_b32 v3, v2 :: v_dual_bitop2_b32 v7, v7, v2 bitop3:0x14
	v_xor_b32_e32 v6, v6, v2
	s_delay_alu instid0(VALU_DEP_1)
	v_sub_nc_u64_e32 v[2:3], v[6:7], v[2:3]
.LBB126_174:
	s_or_b32 exec_lo, exec_lo, s31
	s_mov_b32 s31, 0
	s_branch .LBB126_180
.LBB126_175:
	s_mov_b32 s34, -1
                                        ; implicit-def: $vgpr2_vgpr3
	s_branch .LBB126_186
.LBB126_176:
	s_and_not1_saveexec_b32 s31, s31
	s_cbranch_execz .LBB126_161
.LBB126_177:
	v_cmp_ne_u16_e32 vcc_lo, 0, v6
	s_and_not1_b32 s34, s34, exec_lo
	s_and_b32 s35, vcc_lo, exec_lo
	s_delay_alu instid0(SALU_CYCLE_1)
	s_or_b32 s34, s34, s35
	s_or_b32 exec_lo, exec_lo, s31
	v_mov_b64_e32 v[2:3], 0
	s_and_saveexec_b32 s31, s34
	s_cbranch_execnz .LBB126_162
	s_branch .LBB126_163
.LBB126_178:
	s_mov_b32 s31, -1
                                        ; implicit-def: $vgpr2_vgpr3
	s_branch .LBB126_183
.LBB126_179:
	s_mov_b32 s31, -1
                                        ; implicit-def: $vgpr2_vgpr3
.LBB126_180:
	s_delay_alu instid0(SALU_CYCLE_1)
	s_and_b32 vcc_lo, exec_lo, s31
	s_cbranch_vccz .LBB126_182
; %bb.181:
	s_wait_loadcnt 0x0
	global_load_u8 v2, v[4:5], off
	s_wait_loadcnt 0x0
	v_lshlrev_b32_e32 v2, 24, v2
	s_delay_alu instid0(VALU_DEP_1) | instskip(NEXT) | instid1(VALU_DEP_1)
	v_and_b32_e32 v3, 0x7f000000, v2
	v_clz_i32_u32_e32 v6, v3
	v_cmp_ne_u32_e32 vcc_lo, 0, v3
	v_add_nc_u32_e32 v8, 0x1000000, v3
	s_delay_alu instid0(VALU_DEP_3) | instskip(NEXT) | instid1(VALU_DEP_1)
	v_min_u32_e32 v6, 32, v6
	v_sub_nc_u32_e64 v6, v6, 4 clamp
	s_delay_alu instid0(VALU_DEP_1) | instskip(NEXT) | instid1(VALU_DEP_1)
	v_dual_lshlrev_b32 v7, v6, v3 :: v_dual_lshlrev_b32 v6, 23, v6
	v_lshrrev_b32_e32 v7, 4, v7
	s_delay_alu instid0(VALU_DEP_1) | instskip(NEXT) | instid1(VALU_DEP_1)
	v_dual_sub_nc_u32 v6, v7, v6 :: v_dual_ashrrev_i32 v7, 8, v8
	v_add_nc_u32_e32 v6, 0x3c000000, v6
	s_delay_alu instid0(VALU_DEP_1) | instskip(NEXT) | instid1(VALU_DEP_1)
	v_and_or_b32 v6, 0x7f800000, v7, v6
	v_cndmask_b32_e32 v3, 0, v6, vcc_lo
	s_delay_alu instid0(VALU_DEP_1) | instskip(NEXT) | instid1(VALU_DEP_1)
	v_and_or_b32 v2, 0x80000000, v2, v3
	v_trunc_f32_e32 v2, v2
	s_delay_alu instid0(VALU_DEP_1) | instskip(NEXT) | instid1(VALU_DEP_1)
	v_mul_f32_e64 v3, 0x2f800000, |v2|
	v_floor_f32_e32 v3, v3
	s_delay_alu instid0(VALU_DEP_1) | instskip(SKIP_2) | instid1(VALU_DEP_3)
	v_fma_f32 v6, 0xcf800000, v3, |v2|
	v_ashrrev_i32_e32 v2, 31, v2
	v_cvt_u32_f32_e32 v7, v3
	v_cvt_u32_f32_e32 v6, v6
	s_delay_alu instid0(VALU_DEP_2) | instskip(NEXT) | instid1(VALU_DEP_2)
	v_dual_mov_b32 v3, v2 :: v_dual_bitop2_b32 v7, v7, v2 bitop3:0x14
	v_xor_b32_e32 v6, v6, v2
	s_delay_alu instid0(VALU_DEP_1)
	v_sub_nc_u64_e32 v[2:3], v[6:7], v[2:3]
.LBB126_182:
	s_mov_b32 s31, 0
.LBB126_183:
	s_delay_alu instid0(SALU_CYCLE_1)
	s_and_not1_b32 vcc_lo, exec_lo, s31
	s_cbranch_vccnz .LBB126_185
; %bb.184:
	s_wait_loadcnt 0x0
	global_load_u8 v2, v[4:5], off
	s_wait_loadcnt 0x0
	v_lshlrev_b32_e32 v3, 25, v2
	v_lshlrev_b16 v2, 8, v2
	s_delay_alu instid0(VALU_DEP_1) | instskip(SKIP_1) | instid1(VALU_DEP_2)
	v_and_or_b32 v7, 0x7f00, v2, 0.5
	v_bfe_i32 v2, v2, 0, 16
	v_add_f32_e32 v7, -0.5, v7
	v_lshrrev_b32_e32 v6, 4, v3
	v_cmp_gt_u32_e32 vcc_lo, 0x8000000, v3
	s_delay_alu instid0(VALU_DEP_2) | instskip(NEXT) | instid1(VALU_DEP_1)
	v_or_b32_e32 v6, 0x70000000, v6
	v_mul_f32_e32 v6, 0x7800000, v6
	s_delay_alu instid0(VALU_DEP_1) | instskip(NEXT) | instid1(VALU_DEP_1)
	v_cndmask_b32_e32 v3, v6, v7, vcc_lo
	v_and_or_b32 v2, 0x80000000, v2, v3
	s_delay_alu instid0(VALU_DEP_1) | instskip(NEXT) | instid1(VALU_DEP_1)
	v_trunc_f32_e32 v2, v2
	v_mul_f32_e64 v3, 0x2f800000, |v2|
	s_delay_alu instid0(VALU_DEP_1) | instskip(NEXT) | instid1(VALU_DEP_1)
	v_floor_f32_e32 v3, v3
	v_fma_f32 v6, 0xcf800000, v3, |v2|
	v_ashrrev_i32_e32 v2, 31, v2
	v_cvt_u32_f32_e32 v7, v3
	s_delay_alu instid0(VALU_DEP_3) | instskip(NEXT) | instid1(VALU_DEP_2)
	v_cvt_u32_f32_e32 v6, v6
	v_dual_mov_b32 v3, v2 :: v_dual_bitop2_b32 v7, v7, v2 bitop3:0x14
	s_delay_alu instid0(VALU_DEP_2) | instskip(NEXT) | instid1(VALU_DEP_1)
	v_xor_b32_e32 v6, v6, v2
	v_sub_nc_u64_e32 v[2:3], v[6:7], v[2:3]
.LBB126_185:
	s_mov_b32 s34, 0
	s_mov_b32 s31, -1
.LBB126_186:
	s_and_not1_b32 vcc_lo, exec_lo, s34
	s_cbranch_vccnz .LBB126_199
; %bb.187:
	s_cmp_gt_i32 s1, 14
	s_cbranch_scc0 .LBB126_190
; %bb.188:
	s_cmp_eq_u32 s1, 15
	s_cbranch_scc0 .LBB126_193
; %bb.189:
	s_wait_loadcnt 0x0
	global_load_u16 v2, v[4:5], off
	s_mov_b32 s31, -1
	s_mov_b32 s70, 0
	s_wait_loadcnt 0x0
	v_lshlrev_b32_e32 v2, 16, v2
	s_delay_alu instid0(VALU_DEP_1) | instskip(NEXT) | instid1(VALU_DEP_1)
	v_trunc_f32_e32 v2, v2
	v_mul_f32_e64 v3, 0x2f800000, |v2|
	s_delay_alu instid0(VALU_DEP_1) | instskip(NEXT) | instid1(VALU_DEP_1)
	v_floor_f32_e32 v3, v3
	v_fma_f32 v6, 0xcf800000, v3, |v2|
	v_ashrrev_i32_e32 v2, 31, v2
	v_cvt_u32_f32_e32 v7, v3
	s_delay_alu instid0(VALU_DEP_3) | instskip(NEXT) | instid1(VALU_DEP_2)
	v_cvt_u32_f32_e32 v6, v6
	v_dual_mov_b32 v3, v2 :: v_dual_bitop2_b32 v7, v7, v2 bitop3:0x14
	s_delay_alu instid0(VALU_DEP_2) | instskip(NEXT) | instid1(VALU_DEP_1)
	v_xor_b32_e32 v6, v6, v2
	v_sub_nc_u64_e32 v[2:3], v[6:7], v[2:3]
	s_branch .LBB126_194
.LBB126_190:
	s_mov_b32 s34, -1
                                        ; implicit-def: $vgpr2_vgpr3
	s_branch .LBB126_195
.LBB126_191:
	s_and_not1_saveexec_b32 s31, s31
	s_cbranch_execz .LBB126_172
.LBB126_192:
	v_cmp_ne_u16_e32 vcc_lo, 0, v6
	s_and_not1_b32 s34, s34, exec_lo
	s_and_b32 s35, vcc_lo, exec_lo
	s_delay_alu instid0(SALU_CYCLE_1)
	s_or_b32 s34, s34, s35
	s_or_b32 exec_lo, exec_lo, s31
	v_mov_b64_e32 v[2:3], 0
	s_and_saveexec_b32 s31, s34
	s_cbranch_execnz .LBB126_173
	s_branch .LBB126_174
.LBB126_193:
	s_mov_b32 s70, -1
                                        ; implicit-def: $vgpr2_vgpr3
.LBB126_194:
	s_mov_b32 s34, 0
.LBB126_195:
	s_delay_alu instid0(SALU_CYCLE_1)
	s_and_b32 vcc_lo, exec_lo, s34
	s_cbranch_vccz .LBB126_199
; %bb.196:
	s_cmp_eq_u32 s1, 11
	s_cbranch_scc0 .LBB126_198
; %bb.197:
	s_wait_loadcnt 0x0
	global_load_u8 v2, v[4:5], off
	s_mov_b32 s70, 0
	s_mov_b32 s31, -1
	v_mov_b32_e32 v3, s70
	s_wait_loadcnt 0x0
	v_cmp_ne_u16_e32 vcc_lo, 0, v2
	v_cndmask_b32_e64 v2, 0, 1, vcc_lo
	s_branch .LBB126_199
.LBB126_198:
	s_mov_b32 s70, -1
                                        ; implicit-def: $vgpr2_vgpr3
.LBB126_199:
	s_branch .LBB126_132
.LBB126_200:
	s_and_b32 s0, 0xffff, s0
	s_delay_alu instid0(SALU_CYCLE_1)
	s_cmp_lt_i32 s0, 5
	s_cbranch_scc1 .LBB126_205
; %bb.201:
	s_cmp_lt_i32 s0, 8
	s_cbranch_scc1 .LBB126_206
; %bb.202:
	;; [unrolled: 3-line block ×3, first 2 shown]
	s_cmp_gt_i32 s0, 9
	s_cbranch_scc0 .LBB126_208
; %bb.204:
	s_wait_loadcnt 0x0
	global_load_b64 v[2:3], v[4:5], off
	s_mov_b32 s1, 0
	s_wait_loadcnt 0x0
	v_trunc_f64_e32 v[2:3], v[2:3]
	s_delay_alu instid0(VALU_DEP_1) | instskip(NEXT) | instid1(VALU_DEP_1)
	v_ldexp_f64 v[6:7], v[2:3], 0xffffffe0
	v_floor_f64_e32 v[6:7], v[6:7]
	s_delay_alu instid0(VALU_DEP_1) | instskip(SKIP_1) | instid1(VALU_DEP_2)
	v_fmamk_f64 v[8:9], v[6:7], 0xc1f00000, v[2:3]
	v_cvt_i32_f64_e32 v3, v[6:7]
	v_cvt_u32_f64_e32 v2, v[8:9]
	s_branch .LBB126_209
.LBB126_205:
	s_mov_b32 s1, -1
                                        ; implicit-def: $vgpr2_vgpr3
	s_branch .LBB126_227
.LBB126_206:
	s_mov_b32 s1, -1
                                        ; implicit-def: $vgpr2_vgpr3
	s_branch .LBB126_215
.LBB126_207:
	s_mov_b32 s1, -1
                                        ; implicit-def: $vgpr2_vgpr3
	s_branch .LBB126_212
.LBB126_208:
	s_mov_b32 s1, -1
                                        ; implicit-def: $vgpr2_vgpr3
.LBB126_209:
	s_delay_alu instid0(SALU_CYCLE_1)
	s_and_not1_b32 vcc_lo, exec_lo, s1
	s_cbranch_vccnz .LBB126_211
; %bb.210:
	s_wait_loadcnt 0x0
	global_load_b32 v2, v[4:5], off
	s_wait_loadcnt 0x0
	v_trunc_f32_e32 v2, v2
	s_delay_alu instid0(VALU_DEP_1) | instskip(NEXT) | instid1(VALU_DEP_1)
	v_mul_f32_e64 v3, 0x2f800000, |v2|
	v_floor_f32_e32 v3, v3
	s_delay_alu instid0(VALU_DEP_1) | instskip(SKIP_2) | instid1(VALU_DEP_3)
	v_fma_f32 v6, 0xcf800000, v3, |v2|
	v_ashrrev_i32_e32 v2, 31, v2
	v_cvt_u32_f32_e32 v7, v3
	v_cvt_u32_f32_e32 v6, v6
	s_delay_alu instid0(VALU_DEP_2) | instskip(NEXT) | instid1(VALU_DEP_2)
	v_dual_mov_b32 v3, v2 :: v_dual_bitop2_b32 v7, v7, v2 bitop3:0x14
	v_xor_b32_e32 v6, v6, v2
	s_delay_alu instid0(VALU_DEP_1)
	v_sub_nc_u64_e32 v[2:3], v[6:7], v[2:3]
.LBB126_211:
	s_mov_b32 s1, 0
.LBB126_212:
	s_delay_alu instid0(SALU_CYCLE_1)
	s_and_not1_b32 vcc_lo, exec_lo, s1
	s_cbranch_vccnz .LBB126_214
; %bb.213:
	s_wait_loadcnt 0x0
	global_load_b32 v2, v[4:5], off
	s_wait_loadcnt 0x0
	v_cvt_f32_f16_e32 v2, v2
	s_delay_alu instid0(VALU_DEP_1) | instskip(NEXT) | instid1(VALU_DEP_1)
	v_cvt_i32_f32_e32 v2, v2
	v_ashrrev_i32_e32 v3, 31, v2
.LBB126_214:
	s_mov_b32 s1, 0
.LBB126_215:
	s_delay_alu instid0(SALU_CYCLE_1)
	s_and_not1_b32 vcc_lo, exec_lo, s1
	s_cbranch_vccnz .LBB126_226
; %bb.216:
	s_cmp_lt_i32 s0, 6
	s_cbranch_scc1 .LBB126_219
; %bb.217:
	s_cmp_gt_i32 s0, 6
	s_cbranch_scc0 .LBB126_220
; %bb.218:
	s_wait_loadcnt 0x0
	global_load_b64 v[2:3], v[4:5], off
	s_mov_b32 s1, 0
	s_wait_loadcnt 0x0
	v_trunc_f64_e32 v[2:3], v[2:3]
	s_delay_alu instid0(VALU_DEP_1) | instskip(NEXT) | instid1(VALU_DEP_1)
	v_ldexp_f64 v[6:7], v[2:3], 0xffffffe0
	v_floor_f64_e32 v[6:7], v[6:7]
	s_delay_alu instid0(VALU_DEP_1) | instskip(SKIP_1) | instid1(VALU_DEP_2)
	v_fmamk_f64 v[8:9], v[6:7], 0xc1f00000, v[2:3]
	v_cvt_i32_f64_e32 v3, v[6:7]
	v_cvt_u32_f64_e32 v2, v[8:9]
	s_branch .LBB126_221
.LBB126_219:
	s_mov_b32 s1, -1
                                        ; implicit-def: $vgpr2_vgpr3
	s_branch .LBB126_224
.LBB126_220:
	s_mov_b32 s1, -1
                                        ; implicit-def: $vgpr2_vgpr3
.LBB126_221:
	s_delay_alu instid0(SALU_CYCLE_1)
	s_and_not1_b32 vcc_lo, exec_lo, s1
	s_cbranch_vccnz .LBB126_223
; %bb.222:
	s_wait_loadcnt 0x0
	global_load_b32 v2, v[4:5], off
	s_wait_loadcnt 0x0
	v_trunc_f32_e32 v2, v2
	s_delay_alu instid0(VALU_DEP_1) | instskip(NEXT) | instid1(VALU_DEP_1)
	v_mul_f32_e64 v3, 0x2f800000, |v2|
	v_floor_f32_e32 v3, v3
	s_delay_alu instid0(VALU_DEP_1) | instskip(SKIP_2) | instid1(VALU_DEP_3)
	v_fma_f32 v6, 0xcf800000, v3, |v2|
	v_ashrrev_i32_e32 v2, 31, v2
	v_cvt_u32_f32_e32 v7, v3
	v_cvt_u32_f32_e32 v6, v6
	s_delay_alu instid0(VALU_DEP_2) | instskip(NEXT) | instid1(VALU_DEP_2)
	v_dual_mov_b32 v3, v2 :: v_dual_bitop2_b32 v7, v7, v2 bitop3:0x14
	v_xor_b32_e32 v6, v6, v2
	s_delay_alu instid0(VALU_DEP_1)
	v_sub_nc_u64_e32 v[2:3], v[6:7], v[2:3]
.LBB126_223:
	s_mov_b32 s1, 0
.LBB126_224:
	s_delay_alu instid0(SALU_CYCLE_1)
	s_and_not1_b32 vcc_lo, exec_lo, s1
	s_cbranch_vccnz .LBB126_226
; %bb.225:
	s_wait_loadcnt 0x0
	global_load_u16 v2, v[4:5], off
	s_wait_loadcnt 0x0
	v_cvt_f32_f16_e32 v2, v2
	s_delay_alu instid0(VALU_DEP_1) | instskip(NEXT) | instid1(VALU_DEP_1)
	v_cvt_i32_f32_e32 v2, v2
	v_ashrrev_i32_e32 v3, 31, v2
.LBB126_226:
	s_mov_b32 s1, 0
.LBB126_227:
	s_delay_alu instid0(SALU_CYCLE_1)
	s_and_not1_b32 vcc_lo, exec_lo, s1
	s_cbranch_vccnz .LBB126_247
; %bb.228:
	s_cmp_lt_i32 s0, 2
	s_cbranch_scc1 .LBB126_232
; %bb.229:
	s_cmp_lt_i32 s0, 3
	s_cbranch_scc1 .LBB126_233
; %bb.230:
	s_cmp_gt_i32 s0, 3
	s_cbranch_scc0 .LBB126_234
; %bb.231:
	s_wait_loadcnt 0x0
	global_load_b64 v[2:3], v[4:5], off
	s_mov_b32 s1, 0
	s_branch .LBB126_235
.LBB126_232:
	s_mov_b32 s1, -1
                                        ; implicit-def: $vgpr2_vgpr3
	s_branch .LBB126_241
.LBB126_233:
	s_mov_b32 s1, -1
                                        ; implicit-def: $vgpr2_vgpr3
	s_branch .LBB126_238
.LBB126_234:
	s_mov_b32 s1, -1
                                        ; implicit-def: $vgpr2_vgpr3
.LBB126_235:
	s_delay_alu instid0(SALU_CYCLE_1)
	s_and_not1_b32 vcc_lo, exec_lo, s1
	s_cbranch_vccnz .LBB126_237
; %bb.236:
	s_wait_loadcnt 0x0
	global_load_b32 v2, v[4:5], off
	s_wait_loadcnt 0x0
	v_ashrrev_i32_e32 v3, 31, v2
.LBB126_237:
	s_mov_b32 s1, 0
.LBB126_238:
	s_delay_alu instid0(SALU_CYCLE_1)
	s_and_not1_b32 vcc_lo, exec_lo, s1
	s_cbranch_vccnz .LBB126_240
; %bb.239:
	s_wait_loadcnt 0x0
	global_load_u16 v2, v[4:5], off
	s_wait_loadcnt 0x0
	v_bfe_i32 v2, v2, 0, 16
	s_delay_alu instid0(VALU_DEP_1)
	v_ashrrev_i32_e32 v3, 31, v2
.LBB126_240:
	s_mov_b32 s1, 0
.LBB126_241:
	s_delay_alu instid0(SALU_CYCLE_1)
	s_and_not1_b32 vcc_lo, exec_lo, s1
	s_cbranch_vccnz .LBB126_247
; %bb.242:
	s_cmp_gt_i32 s0, 0
	s_mov_b32 s0, 0
	s_cbranch_scc0 .LBB126_244
; %bb.243:
	s_wait_loadcnt 0x0
	global_load_i8 v2, v[4:5], off
	s_wait_loadcnt 0x0
	v_bfe_i32 v2, v2, 0, 16
	s_delay_alu instid0(VALU_DEP_1)
	v_ashrrev_i32_e32 v3, 31, v2
	s_branch .LBB126_245
.LBB126_244:
	s_mov_b32 s0, -1
                                        ; implicit-def: $vgpr2_vgpr3
.LBB126_245:
	s_delay_alu instid0(SALU_CYCLE_1)
	s_and_not1_b32 vcc_lo, exec_lo, s0
	s_cbranch_vccnz .LBB126_247
; %bb.246:
	s_wait_loadcnt 0x0
	global_load_u8 v2, v[4:5], off
	s_mov_b32 s0, 0
	s_delay_alu instid0(SALU_CYCLE_1)
	v_mov_b32_e32 v3, s0
	s_wait_loadcnt 0x0
	v_and_b32_e32 v2, 0xffff, v2
.LBB126_247:
.LBB126_248:
	s_wait_xcnt 0x0
	v_mul_lo_u32 v4, v22, s19
	s_and_b32 s0, s28, 0xff
	s_delay_alu instid0(SALU_CYCLE_1) | instskip(NEXT) | instid1(VALU_DEP_1)
	s_cmp_lt_i32 s0, 11
	v_ashrrev_i32_e32 v5, 31, v4
	s_delay_alu instid0(VALU_DEP_1)
	v_add_nc_u64_e32 v[6:7], s[10:11], v[4:5]
	s_cbranch_scc1 .LBB126_255
; %bb.249:
	s_and_b32 s1, 0xffff, s0
	s_delay_alu instid0(SALU_CYCLE_1)
	s_cmp_gt_i32 s1, 25
	s_cbranch_scc0 .LBB126_256
; %bb.250:
	s_cmp_gt_i32 s1, 28
	s_cbranch_scc0 .LBB126_257
; %bb.251:
	s_cmp_gt_i32 s1, 43
	s_cbranch_scc0 .LBB126_258
; %bb.252:
	s_cmp_gt_i32 s1, 45
	s_cbranch_scc0 .LBB126_259
; %bb.253:
	s_cmp_eq_u32 s1, 46
	s_mov_b32 s34, 0
	s_cbranch_scc0 .LBB126_260
; %bb.254:
	global_load_b32 v4, v[6:7], off
	s_mov_b32 s31, -1
	s_wait_loadcnt 0x0
	v_lshlrev_b32_e32 v4, 16, v4
	s_delay_alu instid0(VALU_DEP_1) | instskip(NEXT) | instid1(VALU_DEP_1)
	v_trunc_f32_e32 v4, v4
	v_mul_f32_e64 v5, 0x2f800000, |v4|
	s_delay_alu instid0(VALU_DEP_1) | instskip(NEXT) | instid1(VALU_DEP_1)
	v_floor_f32_e32 v5, v5
	v_fma_f32 v8, 0xcf800000, v5, |v4|
	v_ashrrev_i32_e32 v4, 31, v4
	v_cvt_u32_f32_e32 v9, v5
	s_delay_alu instid0(VALU_DEP_3) | instskip(NEXT) | instid1(VALU_DEP_2)
	v_cvt_u32_f32_e32 v8, v8
	v_dual_mov_b32 v5, v4 :: v_dual_bitop2_b32 v9, v9, v4 bitop3:0x14
	s_delay_alu instid0(VALU_DEP_2) | instskip(NEXT) | instid1(VALU_DEP_1)
	v_xor_b32_e32 v8, v8, v4
	v_sub_nc_u64_e32 v[4:5], v[8:9], v[4:5]
	s_branch .LBB126_262
.LBB126_255:
	s_mov_b32 s1, -1
	s_mov_b32 s31, 0
                                        ; implicit-def: $vgpr4_vgpr5
	s_branch .LBB126_323
.LBB126_256:
	s_mov_b32 s34, -1
	s_mov_b32 s31, 0
                                        ; implicit-def: $vgpr4_vgpr5
	s_branch .LBB126_289
.LBB126_257:
	s_mov_b32 s34, -1
	s_mov_b32 s31, 0
                                        ; implicit-def: $vgpr4_vgpr5
	s_branch .LBB126_272
.LBB126_258:
	s_mov_b32 s34, -1
	s_mov_b32 s31, 0
                                        ; implicit-def: $vgpr4_vgpr5
	s_branch .LBB126_267
.LBB126_259:
	s_mov_b32 s34, -1
	s_branch .LBB126_261
.LBB126_260:
	s_mov_b32 s69, -1
.LBB126_261:
	s_mov_b32 s31, 0
                                        ; implicit-def: $vgpr4_vgpr5
.LBB126_262:
	s_and_b32 vcc_lo, exec_lo, s34
	s_cbranch_vccz .LBB126_266
; %bb.263:
	s_cmp_eq_u32 s1, 44
	s_cbranch_scc0 .LBB126_265
; %bb.264:
	global_load_u8 v10, v[6:7], off
	s_mov_b32 s69, 0
	s_mov_b32 s31, -1
	s_wait_loadcnt 0x0
	v_cmp_ne_u32_e32 vcc_lo, 0, v10
	v_lshlrev_b32_e32 v4, 23, v10
	s_delay_alu instid0(VALU_DEP_1) | instskip(NEXT) | instid1(VALU_DEP_1)
	v_trunc_f32_e32 v4, v4
	v_mul_f32_e64 v5, 0x2f800000, |v4|
	s_delay_alu instid0(VALU_DEP_1) | instskip(NEXT) | instid1(VALU_DEP_1)
	v_floor_f32_e32 v5, v5
	v_fma_f32 v8, 0xcf800000, v5, |v4|
	v_ashrrev_i32_e32 v4, 31, v4
	v_cvt_u32_f32_e32 v9, v5
	s_delay_alu instid0(VALU_DEP_3) | instskip(NEXT) | instid1(VALU_DEP_2)
	v_cvt_u32_f32_e32 v8, v8
	v_dual_mov_b32 v5, v4 :: v_dual_bitop2_b32 v9, v9, v4 bitop3:0x14
	s_delay_alu instid0(VALU_DEP_2) | instskip(NEXT) | instid1(VALU_DEP_1)
	v_xor_b32_e32 v8, v8, v4
	v_sub_nc_u64_e32 v[4:5], v[8:9], v[4:5]
	s_delay_alu instid0(VALU_DEP_1)
	v_dual_cndmask_b32 v5, 0, v5 :: v_dual_cndmask_b32 v4, 0, v4
	s_branch .LBB126_266
.LBB126_265:
	s_mov_b32 s69, -1
                                        ; implicit-def: $vgpr4_vgpr5
.LBB126_266:
	s_mov_b32 s34, 0
.LBB126_267:
	s_delay_alu instid0(SALU_CYCLE_1)
	s_and_b32 vcc_lo, exec_lo, s34
	s_cbranch_vccz .LBB126_271
; %bb.268:
	s_cmp_eq_u32 s1, 29
	s_cbranch_scc0 .LBB126_270
; %bb.269:
	global_load_b64 v[4:5], v[6:7], off
	s_mov_b32 s31, -1
	s_mov_b32 s69, 0
	s_branch .LBB126_271
.LBB126_270:
	s_mov_b32 s69, -1
                                        ; implicit-def: $vgpr4_vgpr5
.LBB126_271:
	s_mov_b32 s34, 0
.LBB126_272:
	s_delay_alu instid0(SALU_CYCLE_1)
	s_and_b32 vcc_lo, exec_lo, s34
	s_cbranch_vccz .LBB126_288
; %bb.273:
	s_cmp_lt_i32 s1, 27
	s_cbranch_scc1 .LBB126_276
; %bb.274:
	s_cmp_gt_i32 s1, 27
	s_cbranch_scc0 .LBB126_277
; %bb.275:
	s_wait_loadcnt 0x0
	global_load_b32 v4, v[6:7], off
	v_mov_b32_e32 v5, 0
	s_mov_b32 s31, 0
	s_branch .LBB126_278
.LBB126_276:
	s_mov_b32 s31, -1
                                        ; implicit-def: $vgpr4_vgpr5
	s_branch .LBB126_281
.LBB126_277:
	s_mov_b32 s31, -1
                                        ; implicit-def: $vgpr4_vgpr5
.LBB126_278:
	s_delay_alu instid0(SALU_CYCLE_1)
	s_and_not1_b32 vcc_lo, exec_lo, s31
	s_cbranch_vccnz .LBB126_280
; %bb.279:
	s_wait_loadcnt 0x0
	global_load_u16 v4, v[6:7], off
	s_mov_b32 s31, 0
	s_delay_alu instid0(SALU_CYCLE_1)
	v_mov_b32_e32 v5, s31
	s_wait_loadcnt 0x0
	v_and_b32_e32 v4, 0xffff, v4
.LBB126_280:
	s_mov_b32 s31, 0
.LBB126_281:
	s_delay_alu instid0(SALU_CYCLE_1)
	s_and_not1_b32 vcc_lo, exec_lo, s31
	s_cbranch_vccnz .LBB126_287
; %bb.282:
	global_load_u8 v8, v[6:7], off
	s_mov_b32 s34, 0
	s_mov_b32 s31, exec_lo
	s_wait_loadcnt 0x0
	v_cmpx_lt_i16_e32 0x7f, v8
	s_xor_b32 s31, exec_lo, s31
	s_cbranch_execz .LBB126_299
; %bb.283:
	v_cmp_ne_u16_e32 vcc_lo, 0x80, v8
	s_and_b32 s34, vcc_lo, exec_lo
	s_and_not1_saveexec_b32 s31, s31
	s_cbranch_execnz .LBB126_300
.LBB126_284:
	s_or_b32 exec_lo, exec_lo, s31
	v_mov_b64_e32 v[4:5], 0
	s_and_saveexec_b32 s31, s34
	s_cbranch_execz .LBB126_286
.LBB126_285:
	v_and_b32_e32 v4, 0xffff, v8
	s_delay_alu instid0(VALU_DEP_1) | instskip(SKIP_1) | instid1(VALU_DEP_2)
	v_and_b32_e32 v5, 7, v4
	v_bfe_u32 v11, v4, 3, 4
	v_clz_i32_u32_e32 v9, v5
	s_delay_alu instid0(VALU_DEP_2) | instskip(NEXT) | instid1(VALU_DEP_2)
	v_cmp_eq_u32_e32 vcc_lo, 0, v11
	v_min_u32_e32 v9, 32, v9
	s_delay_alu instid0(VALU_DEP_1) | instskip(NEXT) | instid1(VALU_DEP_1)
	v_subrev_nc_u32_e32 v10, 28, v9
	v_dual_lshlrev_b32 v4, v10, v4 :: v_dual_sub_nc_u32 v9, 29, v9
	s_delay_alu instid0(VALU_DEP_1) | instskip(NEXT) | instid1(VALU_DEP_2)
	v_and_b32_e32 v4, 7, v4
	v_dual_cndmask_b32 v9, v11, v9 :: v_dual_lshlrev_b32 v8, 24, v8
	s_delay_alu instid0(VALU_DEP_2) | instskip(NEXT) | instid1(VALU_DEP_2)
	v_cndmask_b32_e32 v4, v5, v4, vcc_lo
	v_and_b32_e32 v5, 0x80000000, v8
	s_delay_alu instid0(VALU_DEP_3) | instskip(NEXT) | instid1(VALU_DEP_3)
	v_lshl_add_u32 v8, v9, 23, 0x3b800000
	v_lshlrev_b32_e32 v4, 20, v4
	s_delay_alu instid0(VALU_DEP_1) | instskip(NEXT) | instid1(VALU_DEP_1)
	v_or3_b32 v4, v5, v8, v4
	v_trunc_f32_e32 v4, v4
	s_delay_alu instid0(VALU_DEP_1) | instskip(NEXT) | instid1(VALU_DEP_1)
	v_mul_f32_e64 v5, 0x2f800000, |v4|
	v_floor_f32_e32 v5, v5
	s_delay_alu instid0(VALU_DEP_1) | instskip(SKIP_2) | instid1(VALU_DEP_3)
	v_fma_f32 v8, 0xcf800000, v5, |v4|
	v_ashrrev_i32_e32 v4, 31, v4
	v_cvt_u32_f32_e32 v9, v5
	v_cvt_u32_f32_e32 v8, v8
	s_delay_alu instid0(VALU_DEP_2) | instskip(NEXT) | instid1(VALU_DEP_2)
	v_dual_mov_b32 v5, v4 :: v_dual_bitop2_b32 v9, v9, v4 bitop3:0x14
	v_xor_b32_e32 v8, v8, v4
	s_delay_alu instid0(VALU_DEP_1)
	v_sub_nc_u64_e32 v[4:5], v[8:9], v[4:5]
.LBB126_286:
	s_or_b32 exec_lo, exec_lo, s31
.LBB126_287:
	s_mov_b32 s31, -1
.LBB126_288:
	s_mov_b32 s34, 0
.LBB126_289:
	s_delay_alu instid0(SALU_CYCLE_1)
	s_and_b32 vcc_lo, exec_lo, s34
	s_cbranch_vccz .LBB126_322
; %bb.290:
	s_cmp_gt_i32 s1, 22
	s_cbranch_scc0 .LBB126_298
; %bb.291:
	s_cmp_lt_i32 s1, 24
	s_cbranch_scc1 .LBB126_301
; %bb.292:
	s_cmp_gt_i32 s1, 24
	s_cbranch_scc0 .LBB126_302
; %bb.293:
	global_load_u8 v8, v[6:7], off
	s_mov_b32 s34, 0
	s_mov_b32 s31, exec_lo
	s_wait_loadcnt 0x0
	v_cmpx_lt_i16_e32 0x7f, v8
	s_xor_b32 s31, exec_lo, s31
	s_cbranch_execz .LBB126_314
; %bb.294:
	v_cmp_ne_u16_e32 vcc_lo, 0x80, v8
	s_and_b32 s34, vcc_lo, exec_lo
	s_and_not1_saveexec_b32 s31, s31
	s_cbranch_execnz .LBB126_315
.LBB126_295:
	s_or_b32 exec_lo, exec_lo, s31
	v_mov_b64_e32 v[4:5], 0
	s_and_saveexec_b32 s31, s34
	s_cbranch_execz .LBB126_297
.LBB126_296:
	v_and_b32_e32 v4, 0xffff, v8
	s_delay_alu instid0(VALU_DEP_1) | instskip(SKIP_1) | instid1(VALU_DEP_2)
	v_and_b32_e32 v5, 3, v4
	v_bfe_u32 v11, v4, 2, 5
	v_clz_i32_u32_e32 v9, v5
	s_delay_alu instid0(VALU_DEP_2) | instskip(NEXT) | instid1(VALU_DEP_2)
	v_cmp_eq_u32_e32 vcc_lo, 0, v11
	v_min_u32_e32 v9, 32, v9
	s_delay_alu instid0(VALU_DEP_1) | instskip(NEXT) | instid1(VALU_DEP_1)
	v_subrev_nc_u32_e32 v10, 29, v9
	v_dual_lshlrev_b32 v4, v10, v4 :: v_dual_sub_nc_u32 v9, 30, v9
	s_delay_alu instid0(VALU_DEP_1) | instskip(NEXT) | instid1(VALU_DEP_2)
	v_and_b32_e32 v4, 3, v4
	v_dual_cndmask_b32 v9, v11, v9 :: v_dual_lshlrev_b32 v8, 24, v8
	s_delay_alu instid0(VALU_DEP_2) | instskip(NEXT) | instid1(VALU_DEP_2)
	v_cndmask_b32_e32 v4, v5, v4, vcc_lo
	v_and_b32_e32 v5, 0x80000000, v8
	s_delay_alu instid0(VALU_DEP_3) | instskip(NEXT) | instid1(VALU_DEP_3)
	v_lshl_add_u32 v8, v9, 23, 0x37800000
	v_lshlrev_b32_e32 v4, 21, v4
	s_delay_alu instid0(VALU_DEP_1) | instskip(NEXT) | instid1(VALU_DEP_1)
	v_or3_b32 v4, v5, v8, v4
	v_trunc_f32_e32 v4, v4
	s_delay_alu instid0(VALU_DEP_1) | instskip(NEXT) | instid1(VALU_DEP_1)
	v_mul_f32_e64 v5, 0x2f800000, |v4|
	v_floor_f32_e32 v5, v5
	s_delay_alu instid0(VALU_DEP_1) | instskip(SKIP_2) | instid1(VALU_DEP_3)
	v_fma_f32 v8, 0xcf800000, v5, |v4|
	v_ashrrev_i32_e32 v4, 31, v4
	v_cvt_u32_f32_e32 v9, v5
	v_cvt_u32_f32_e32 v8, v8
	s_delay_alu instid0(VALU_DEP_2) | instskip(NEXT) | instid1(VALU_DEP_2)
	v_dual_mov_b32 v5, v4 :: v_dual_bitop2_b32 v9, v9, v4 bitop3:0x14
	v_xor_b32_e32 v8, v8, v4
	s_delay_alu instid0(VALU_DEP_1)
	v_sub_nc_u64_e32 v[4:5], v[8:9], v[4:5]
.LBB126_297:
	s_or_b32 exec_lo, exec_lo, s31
	s_mov_b32 s31, 0
	s_branch .LBB126_303
.LBB126_298:
	s_mov_b32 s34, -1
                                        ; implicit-def: $vgpr4_vgpr5
	s_branch .LBB126_309
.LBB126_299:
	s_and_not1_saveexec_b32 s31, s31
	s_cbranch_execz .LBB126_284
.LBB126_300:
	v_cmp_ne_u16_e32 vcc_lo, 0, v8
	s_and_not1_b32 s34, s34, exec_lo
	s_and_b32 s35, vcc_lo, exec_lo
	s_delay_alu instid0(SALU_CYCLE_1)
	s_or_b32 s34, s34, s35
	s_or_b32 exec_lo, exec_lo, s31
	v_mov_b64_e32 v[4:5], 0
	s_and_saveexec_b32 s31, s34
	s_cbranch_execnz .LBB126_285
	s_branch .LBB126_286
.LBB126_301:
	s_mov_b32 s31, -1
                                        ; implicit-def: $vgpr4_vgpr5
	s_branch .LBB126_306
.LBB126_302:
	s_mov_b32 s31, -1
                                        ; implicit-def: $vgpr4_vgpr5
.LBB126_303:
	s_delay_alu instid0(SALU_CYCLE_1)
	s_and_b32 vcc_lo, exec_lo, s31
	s_cbranch_vccz .LBB126_305
; %bb.304:
	s_wait_loadcnt 0x0
	global_load_u8 v4, v[6:7], off
	s_wait_loadcnt 0x0
	v_lshlrev_b32_e32 v4, 24, v4
	s_delay_alu instid0(VALU_DEP_1) | instskip(NEXT) | instid1(VALU_DEP_1)
	v_and_b32_e32 v5, 0x7f000000, v4
	v_clz_i32_u32_e32 v8, v5
	v_cmp_ne_u32_e32 vcc_lo, 0, v5
	v_add_nc_u32_e32 v10, 0x1000000, v5
	s_delay_alu instid0(VALU_DEP_3) | instskip(NEXT) | instid1(VALU_DEP_1)
	v_min_u32_e32 v8, 32, v8
	v_sub_nc_u32_e64 v8, v8, 4 clamp
	s_delay_alu instid0(VALU_DEP_1) | instskip(NEXT) | instid1(VALU_DEP_1)
	v_dual_lshlrev_b32 v9, v8, v5 :: v_dual_lshlrev_b32 v8, 23, v8
	v_lshrrev_b32_e32 v9, 4, v9
	s_delay_alu instid0(VALU_DEP_1) | instskip(NEXT) | instid1(VALU_DEP_1)
	v_dual_sub_nc_u32 v8, v9, v8 :: v_dual_ashrrev_i32 v9, 8, v10
	v_add_nc_u32_e32 v8, 0x3c000000, v8
	s_delay_alu instid0(VALU_DEP_1) | instskip(NEXT) | instid1(VALU_DEP_1)
	v_and_or_b32 v8, 0x7f800000, v9, v8
	v_cndmask_b32_e32 v5, 0, v8, vcc_lo
	s_delay_alu instid0(VALU_DEP_1) | instskip(NEXT) | instid1(VALU_DEP_1)
	v_and_or_b32 v4, 0x80000000, v4, v5
	v_trunc_f32_e32 v4, v4
	s_delay_alu instid0(VALU_DEP_1) | instskip(NEXT) | instid1(VALU_DEP_1)
	v_mul_f32_e64 v5, 0x2f800000, |v4|
	v_floor_f32_e32 v5, v5
	s_delay_alu instid0(VALU_DEP_1) | instskip(SKIP_2) | instid1(VALU_DEP_3)
	v_fma_f32 v8, 0xcf800000, v5, |v4|
	v_ashrrev_i32_e32 v4, 31, v4
	v_cvt_u32_f32_e32 v9, v5
	v_cvt_u32_f32_e32 v8, v8
	s_delay_alu instid0(VALU_DEP_2) | instskip(NEXT) | instid1(VALU_DEP_2)
	v_dual_mov_b32 v5, v4 :: v_dual_bitop2_b32 v9, v9, v4 bitop3:0x14
	v_xor_b32_e32 v8, v8, v4
	s_delay_alu instid0(VALU_DEP_1)
	v_sub_nc_u64_e32 v[4:5], v[8:9], v[4:5]
.LBB126_305:
	s_mov_b32 s31, 0
.LBB126_306:
	s_delay_alu instid0(SALU_CYCLE_1)
	s_and_not1_b32 vcc_lo, exec_lo, s31
	s_cbranch_vccnz .LBB126_308
; %bb.307:
	s_wait_loadcnt 0x0
	global_load_u8 v4, v[6:7], off
	s_wait_loadcnt 0x0
	v_lshlrev_b32_e32 v5, 25, v4
	v_lshlrev_b16 v4, 8, v4
	s_delay_alu instid0(VALU_DEP_1) | instskip(SKIP_1) | instid1(VALU_DEP_2)
	v_and_or_b32 v9, 0x7f00, v4, 0.5
	v_bfe_i32 v4, v4, 0, 16
	v_add_f32_e32 v9, -0.5, v9
	v_lshrrev_b32_e32 v8, 4, v5
	v_cmp_gt_u32_e32 vcc_lo, 0x8000000, v5
	s_delay_alu instid0(VALU_DEP_2) | instskip(NEXT) | instid1(VALU_DEP_1)
	v_or_b32_e32 v8, 0x70000000, v8
	v_mul_f32_e32 v8, 0x7800000, v8
	s_delay_alu instid0(VALU_DEP_1) | instskip(NEXT) | instid1(VALU_DEP_1)
	v_cndmask_b32_e32 v5, v8, v9, vcc_lo
	v_and_or_b32 v4, 0x80000000, v4, v5
	s_delay_alu instid0(VALU_DEP_1) | instskip(NEXT) | instid1(VALU_DEP_1)
	v_trunc_f32_e32 v4, v4
	v_mul_f32_e64 v5, 0x2f800000, |v4|
	s_delay_alu instid0(VALU_DEP_1) | instskip(NEXT) | instid1(VALU_DEP_1)
	v_floor_f32_e32 v5, v5
	v_fma_f32 v8, 0xcf800000, v5, |v4|
	v_ashrrev_i32_e32 v4, 31, v4
	v_cvt_u32_f32_e32 v9, v5
	s_delay_alu instid0(VALU_DEP_3) | instskip(NEXT) | instid1(VALU_DEP_2)
	v_cvt_u32_f32_e32 v8, v8
	v_dual_mov_b32 v5, v4 :: v_dual_bitop2_b32 v9, v9, v4 bitop3:0x14
	s_delay_alu instid0(VALU_DEP_2) | instskip(NEXT) | instid1(VALU_DEP_1)
	v_xor_b32_e32 v8, v8, v4
	v_sub_nc_u64_e32 v[4:5], v[8:9], v[4:5]
.LBB126_308:
	s_mov_b32 s34, 0
	s_mov_b32 s31, -1
.LBB126_309:
	s_and_not1_b32 vcc_lo, exec_lo, s34
	s_cbranch_vccnz .LBB126_322
; %bb.310:
	s_cmp_gt_i32 s1, 14
	s_cbranch_scc0 .LBB126_313
; %bb.311:
	s_cmp_eq_u32 s1, 15
	s_cbranch_scc0 .LBB126_316
; %bb.312:
	s_wait_loadcnt 0x0
	global_load_u16 v4, v[6:7], off
	s_mov_b32 s31, -1
	s_mov_b32 s69, 0
	s_wait_loadcnt 0x0
	v_lshlrev_b32_e32 v4, 16, v4
	s_delay_alu instid0(VALU_DEP_1) | instskip(NEXT) | instid1(VALU_DEP_1)
	v_trunc_f32_e32 v4, v4
	v_mul_f32_e64 v5, 0x2f800000, |v4|
	s_delay_alu instid0(VALU_DEP_1) | instskip(NEXT) | instid1(VALU_DEP_1)
	v_floor_f32_e32 v5, v5
	v_fma_f32 v8, 0xcf800000, v5, |v4|
	v_ashrrev_i32_e32 v4, 31, v4
	v_cvt_u32_f32_e32 v9, v5
	s_delay_alu instid0(VALU_DEP_3) | instskip(NEXT) | instid1(VALU_DEP_2)
	v_cvt_u32_f32_e32 v8, v8
	v_dual_mov_b32 v5, v4 :: v_dual_bitop2_b32 v9, v9, v4 bitop3:0x14
	s_delay_alu instid0(VALU_DEP_2) | instskip(NEXT) | instid1(VALU_DEP_1)
	v_xor_b32_e32 v8, v8, v4
	v_sub_nc_u64_e32 v[4:5], v[8:9], v[4:5]
	s_branch .LBB126_317
.LBB126_313:
	s_mov_b32 s34, -1
                                        ; implicit-def: $vgpr4_vgpr5
	s_branch .LBB126_318
.LBB126_314:
	s_and_not1_saveexec_b32 s31, s31
	s_cbranch_execz .LBB126_295
.LBB126_315:
	v_cmp_ne_u16_e32 vcc_lo, 0, v8
	s_and_not1_b32 s34, s34, exec_lo
	s_and_b32 s35, vcc_lo, exec_lo
	s_delay_alu instid0(SALU_CYCLE_1)
	s_or_b32 s34, s34, s35
	s_or_b32 exec_lo, exec_lo, s31
	v_mov_b64_e32 v[4:5], 0
	s_and_saveexec_b32 s31, s34
	s_cbranch_execnz .LBB126_296
	s_branch .LBB126_297
.LBB126_316:
	s_mov_b32 s69, -1
                                        ; implicit-def: $vgpr4_vgpr5
.LBB126_317:
	s_mov_b32 s34, 0
.LBB126_318:
	s_delay_alu instid0(SALU_CYCLE_1)
	s_and_b32 vcc_lo, exec_lo, s34
	s_cbranch_vccz .LBB126_322
; %bb.319:
	s_cmp_eq_u32 s1, 11
	s_cbranch_scc0 .LBB126_321
; %bb.320:
	s_wait_loadcnt 0x0
	global_load_u8 v4, v[6:7], off
	s_mov_b32 s69, 0
	s_mov_b32 s31, -1
	v_mov_b32_e32 v5, s69
	s_wait_loadcnt 0x0
	v_cmp_ne_u16_e32 vcc_lo, 0, v4
	v_cndmask_b32_e64 v4, 0, 1, vcc_lo
	s_branch .LBB126_322
.LBB126_321:
	s_mov_b32 s69, -1
                                        ; implicit-def: $vgpr4_vgpr5
.LBB126_322:
	s_mov_b32 s1, 0
.LBB126_323:
	s_delay_alu instid0(SALU_CYCLE_1)
	s_and_b32 vcc_lo, exec_lo, s1
	s_cbranch_vccz .LBB126_372
; %bb.324:
	s_and_b32 s0, 0xffff, s0
	s_delay_alu instid0(SALU_CYCLE_1)
	s_cmp_lt_i32 s0, 5
	s_cbranch_scc1 .LBB126_329
; %bb.325:
	s_cmp_lt_i32 s0, 8
	s_cbranch_scc1 .LBB126_330
; %bb.326:
	s_cmp_lt_i32 s0, 9
	s_cbranch_scc1 .LBB126_331
; %bb.327:
	s_cmp_gt_i32 s0, 9
	s_cbranch_scc0 .LBB126_332
; %bb.328:
	s_wait_loadcnt 0x0
	global_load_b64 v[4:5], v[6:7], off
	s_mov_b32 s1, 0
	s_wait_loadcnt 0x0
	v_trunc_f64_e32 v[4:5], v[4:5]
	s_delay_alu instid0(VALU_DEP_1) | instskip(NEXT) | instid1(VALU_DEP_1)
	v_ldexp_f64 v[8:9], v[4:5], 0xffffffe0
	v_floor_f64_e32 v[8:9], v[8:9]
	s_delay_alu instid0(VALU_DEP_1) | instskip(SKIP_1) | instid1(VALU_DEP_2)
	v_fmamk_f64 v[10:11], v[8:9], 0xc1f00000, v[4:5]
	v_cvt_i32_f64_e32 v5, v[8:9]
	v_cvt_u32_f64_e32 v4, v[10:11]
	s_branch .LBB126_333
.LBB126_329:
	s_mov_b32 s1, -1
                                        ; implicit-def: $vgpr4_vgpr5
	s_branch .LBB126_351
.LBB126_330:
	s_mov_b32 s1, -1
                                        ; implicit-def: $vgpr4_vgpr5
	s_branch .LBB126_339
.LBB126_331:
	s_mov_b32 s1, -1
                                        ; implicit-def: $vgpr4_vgpr5
	s_branch .LBB126_336
.LBB126_332:
	s_mov_b32 s1, -1
                                        ; implicit-def: $vgpr4_vgpr5
.LBB126_333:
	s_delay_alu instid0(SALU_CYCLE_1)
	s_and_not1_b32 vcc_lo, exec_lo, s1
	s_cbranch_vccnz .LBB126_335
; %bb.334:
	s_wait_loadcnt 0x0
	global_load_b32 v4, v[6:7], off
	s_wait_loadcnt 0x0
	v_trunc_f32_e32 v4, v4
	s_delay_alu instid0(VALU_DEP_1) | instskip(NEXT) | instid1(VALU_DEP_1)
	v_mul_f32_e64 v5, 0x2f800000, |v4|
	v_floor_f32_e32 v5, v5
	s_delay_alu instid0(VALU_DEP_1) | instskip(SKIP_2) | instid1(VALU_DEP_3)
	v_fma_f32 v8, 0xcf800000, v5, |v4|
	v_ashrrev_i32_e32 v4, 31, v4
	v_cvt_u32_f32_e32 v9, v5
	v_cvt_u32_f32_e32 v8, v8
	s_delay_alu instid0(VALU_DEP_2) | instskip(NEXT) | instid1(VALU_DEP_2)
	v_dual_mov_b32 v5, v4 :: v_dual_bitop2_b32 v9, v9, v4 bitop3:0x14
	v_xor_b32_e32 v8, v8, v4
	s_delay_alu instid0(VALU_DEP_1)
	v_sub_nc_u64_e32 v[4:5], v[8:9], v[4:5]
.LBB126_335:
	s_mov_b32 s1, 0
.LBB126_336:
	s_delay_alu instid0(SALU_CYCLE_1)
	s_and_not1_b32 vcc_lo, exec_lo, s1
	s_cbranch_vccnz .LBB126_338
; %bb.337:
	s_wait_loadcnt 0x0
	global_load_b32 v4, v[6:7], off
	s_wait_loadcnt 0x0
	v_cvt_f32_f16_e32 v4, v4
	s_delay_alu instid0(VALU_DEP_1) | instskip(NEXT) | instid1(VALU_DEP_1)
	v_cvt_i32_f32_e32 v4, v4
	v_ashrrev_i32_e32 v5, 31, v4
.LBB126_338:
	s_mov_b32 s1, 0
.LBB126_339:
	s_delay_alu instid0(SALU_CYCLE_1)
	s_and_not1_b32 vcc_lo, exec_lo, s1
	s_cbranch_vccnz .LBB126_350
; %bb.340:
	s_cmp_lt_i32 s0, 6
	s_cbranch_scc1 .LBB126_343
; %bb.341:
	s_cmp_gt_i32 s0, 6
	s_cbranch_scc0 .LBB126_344
; %bb.342:
	s_wait_loadcnt 0x0
	global_load_b64 v[4:5], v[6:7], off
	s_mov_b32 s1, 0
	s_wait_loadcnt 0x0
	v_trunc_f64_e32 v[4:5], v[4:5]
	s_delay_alu instid0(VALU_DEP_1) | instskip(NEXT) | instid1(VALU_DEP_1)
	v_ldexp_f64 v[8:9], v[4:5], 0xffffffe0
	v_floor_f64_e32 v[8:9], v[8:9]
	s_delay_alu instid0(VALU_DEP_1) | instskip(SKIP_1) | instid1(VALU_DEP_2)
	v_fmamk_f64 v[10:11], v[8:9], 0xc1f00000, v[4:5]
	v_cvt_i32_f64_e32 v5, v[8:9]
	v_cvt_u32_f64_e32 v4, v[10:11]
	s_branch .LBB126_345
.LBB126_343:
	s_mov_b32 s1, -1
                                        ; implicit-def: $vgpr4_vgpr5
	s_branch .LBB126_348
.LBB126_344:
	s_mov_b32 s1, -1
                                        ; implicit-def: $vgpr4_vgpr5
.LBB126_345:
	s_delay_alu instid0(SALU_CYCLE_1)
	s_and_not1_b32 vcc_lo, exec_lo, s1
	s_cbranch_vccnz .LBB126_347
; %bb.346:
	s_wait_loadcnt 0x0
	global_load_b32 v4, v[6:7], off
	s_wait_loadcnt 0x0
	v_trunc_f32_e32 v4, v4
	s_delay_alu instid0(VALU_DEP_1) | instskip(NEXT) | instid1(VALU_DEP_1)
	v_mul_f32_e64 v5, 0x2f800000, |v4|
	v_floor_f32_e32 v5, v5
	s_delay_alu instid0(VALU_DEP_1) | instskip(SKIP_2) | instid1(VALU_DEP_3)
	v_fma_f32 v8, 0xcf800000, v5, |v4|
	v_ashrrev_i32_e32 v4, 31, v4
	v_cvt_u32_f32_e32 v9, v5
	v_cvt_u32_f32_e32 v8, v8
	s_delay_alu instid0(VALU_DEP_2) | instskip(NEXT) | instid1(VALU_DEP_2)
	v_dual_mov_b32 v5, v4 :: v_dual_bitop2_b32 v9, v9, v4 bitop3:0x14
	v_xor_b32_e32 v8, v8, v4
	s_delay_alu instid0(VALU_DEP_1)
	v_sub_nc_u64_e32 v[4:5], v[8:9], v[4:5]
.LBB126_347:
	s_mov_b32 s1, 0
.LBB126_348:
	s_delay_alu instid0(SALU_CYCLE_1)
	s_and_not1_b32 vcc_lo, exec_lo, s1
	s_cbranch_vccnz .LBB126_350
; %bb.349:
	s_wait_loadcnt 0x0
	global_load_u16 v4, v[6:7], off
	s_wait_loadcnt 0x0
	v_cvt_f32_f16_e32 v4, v4
	s_delay_alu instid0(VALU_DEP_1) | instskip(NEXT) | instid1(VALU_DEP_1)
	v_cvt_i32_f32_e32 v4, v4
	v_ashrrev_i32_e32 v5, 31, v4
.LBB126_350:
	s_mov_b32 s1, 0
.LBB126_351:
	s_delay_alu instid0(SALU_CYCLE_1)
	s_and_not1_b32 vcc_lo, exec_lo, s1
	s_cbranch_vccnz .LBB126_371
; %bb.352:
	s_cmp_lt_i32 s0, 2
	s_cbranch_scc1 .LBB126_356
; %bb.353:
	s_cmp_lt_i32 s0, 3
	s_cbranch_scc1 .LBB126_357
; %bb.354:
	s_cmp_gt_i32 s0, 3
	s_cbranch_scc0 .LBB126_358
; %bb.355:
	s_wait_loadcnt 0x0
	global_load_b64 v[4:5], v[6:7], off
	s_mov_b32 s1, 0
	s_branch .LBB126_359
.LBB126_356:
	s_mov_b32 s1, -1
                                        ; implicit-def: $vgpr4_vgpr5
	s_branch .LBB126_365
.LBB126_357:
	s_mov_b32 s1, -1
                                        ; implicit-def: $vgpr4_vgpr5
	s_branch .LBB126_362
.LBB126_358:
	s_mov_b32 s1, -1
                                        ; implicit-def: $vgpr4_vgpr5
.LBB126_359:
	s_delay_alu instid0(SALU_CYCLE_1)
	s_and_not1_b32 vcc_lo, exec_lo, s1
	s_cbranch_vccnz .LBB126_361
; %bb.360:
	s_wait_loadcnt 0x0
	global_load_b32 v4, v[6:7], off
	s_wait_loadcnt 0x0
	v_ashrrev_i32_e32 v5, 31, v4
.LBB126_361:
	s_mov_b32 s1, 0
.LBB126_362:
	s_delay_alu instid0(SALU_CYCLE_1)
	s_and_not1_b32 vcc_lo, exec_lo, s1
	s_cbranch_vccnz .LBB126_364
; %bb.363:
	s_wait_loadcnt 0x0
	global_load_u16 v4, v[6:7], off
	s_wait_loadcnt 0x0
	v_bfe_i32 v4, v4, 0, 16
	s_delay_alu instid0(VALU_DEP_1)
	v_ashrrev_i32_e32 v5, 31, v4
.LBB126_364:
	s_mov_b32 s1, 0
.LBB126_365:
	s_delay_alu instid0(SALU_CYCLE_1)
	s_and_not1_b32 vcc_lo, exec_lo, s1
	s_cbranch_vccnz .LBB126_371
; %bb.366:
	s_cmp_gt_i32 s0, 0
	s_mov_b32 s0, 0
	s_cbranch_scc0 .LBB126_368
; %bb.367:
	s_wait_loadcnt 0x0
	global_load_i8 v4, v[6:7], off
	s_wait_loadcnt 0x0
	v_bfe_i32 v4, v4, 0, 16
	s_delay_alu instid0(VALU_DEP_1)
	v_ashrrev_i32_e32 v5, 31, v4
	s_branch .LBB126_369
.LBB126_368:
	s_mov_b32 s0, -1
                                        ; implicit-def: $vgpr4_vgpr5
.LBB126_369:
	s_delay_alu instid0(SALU_CYCLE_1)
	s_and_not1_b32 vcc_lo, exec_lo, s0
	s_cbranch_vccnz .LBB126_371
; %bb.370:
	s_wait_loadcnt 0x0
	global_load_u8 v4, v[6:7], off
	s_mov_b32 s0, 0
	s_delay_alu instid0(SALU_CYCLE_1)
	v_mov_b32_e32 v5, s0
	s_wait_loadcnt 0x0
	v_and_b32_e32 v4, 0xffff, v4
.LBB126_371:
	s_mov_b32 s31, -1
.LBB126_372:
	s_delay_alu instid0(SALU_CYCLE_1)
	s_and_not1_b32 vcc_lo, exec_lo, s31
	s_cbranch_vccnz .LBB126_628
; %bb.373:
	s_wait_xcnt 0x0
	v_mul_lo_u32 v6, v22, s2
	s_and_b32 s0, s27, 0xff
	s_delay_alu instid0(SALU_CYCLE_1) | instskip(NEXT) | instid1(VALU_DEP_1)
	s_cmp_lt_i32 s0, 11
	v_ashrrev_i32_e32 v7, 31, v6
	s_delay_alu instid0(VALU_DEP_1)
	v_add_nc_u64_e32 v[8:9], s[12:13], v[6:7]
	s_cbranch_scc1 .LBB126_380
; %bb.374:
	s_and_b32 s1, 0xffff, s0
	s_delay_alu instid0(SALU_CYCLE_1)
	s_cmp_gt_i32 s1, 25
	s_cbranch_scc0 .LBB126_381
; %bb.375:
	s_cmp_gt_i32 s1, 28
	s_cbranch_scc0 .LBB126_382
; %bb.376:
	;; [unrolled: 3-line block ×4, first 2 shown]
	s_cmp_eq_u32 s1, 46
	s_mov_b32 s34, 0
	s_cbranch_scc0 .LBB126_385
; %bb.379:
	global_load_b32 v6, v[8:9], off
	s_mov_b32 s31, -1
	s_wait_loadcnt 0x0
	v_lshlrev_b32_e32 v6, 16, v6
	s_delay_alu instid0(VALU_DEP_1) | instskip(NEXT) | instid1(VALU_DEP_1)
	v_trunc_f32_e32 v6, v6
	v_mul_f32_e64 v7, 0x2f800000, |v6|
	s_delay_alu instid0(VALU_DEP_1) | instskip(NEXT) | instid1(VALU_DEP_1)
	v_floor_f32_e32 v7, v7
	v_fma_f32 v10, 0xcf800000, v7, |v6|
	v_ashrrev_i32_e32 v6, 31, v6
	v_cvt_u32_f32_e32 v11, v7
	s_delay_alu instid0(VALU_DEP_3) | instskip(NEXT) | instid1(VALU_DEP_2)
	v_cvt_u32_f32_e32 v10, v10
	v_dual_mov_b32 v7, v6 :: v_dual_bitop2_b32 v11, v11, v6 bitop3:0x14
	s_delay_alu instid0(VALU_DEP_2) | instskip(NEXT) | instid1(VALU_DEP_1)
	v_xor_b32_e32 v10, v10, v6
	v_sub_nc_u64_e32 v[6:7], v[10:11], v[6:7]
	s_branch .LBB126_387
.LBB126_380:
	s_mov_b32 s1, -1
	s_mov_b32 s31, 0
                                        ; implicit-def: $vgpr6_vgpr7
	s_branch .LBB126_448
.LBB126_381:
	s_mov_b32 s34, -1
	s_mov_b32 s31, 0
                                        ; implicit-def: $vgpr6_vgpr7
	s_branch .LBB126_414
.LBB126_382:
	s_mov_b32 s34, -1
	s_mov_b32 s31, 0
                                        ; implicit-def: $vgpr6_vgpr7
	s_branch .LBB126_397
.LBB126_383:
	s_mov_b32 s34, -1
	s_mov_b32 s31, 0
                                        ; implicit-def: $vgpr6_vgpr7
	s_branch .LBB126_392
.LBB126_384:
	s_mov_b32 s34, -1
	s_branch .LBB126_386
.LBB126_385:
	s_mov_b32 s68, -1
.LBB126_386:
	s_mov_b32 s31, 0
                                        ; implicit-def: $vgpr6_vgpr7
.LBB126_387:
	s_and_b32 vcc_lo, exec_lo, s34
	s_cbranch_vccz .LBB126_391
; %bb.388:
	s_cmp_eq_u32 s1, 44
	s_cbranch_scc0 .LBB126_390
; %bb.389:
	global_load_u8 v12, v[8:9], off
	s_mov_b32 s68, 0
	s_mov_b32 s31, -1
	s_wait_loadcnt 0x0
	v_cmp_ne_u32_e32 vcc_lo, 0, v12
	v_lshlrev_b32_e32 v6, 23, v12
	s_delay_alu instid0(VALU_DEP_1) | instskip(NEXT) | instid1(VALU_DEP_1)
	v_trunc_f32_e32 v6, v6
	v_mul_f32_e64 v7, 0x2f800000, |v6|
	s_delay_alu instid0(VALU_DEP_1) | instskip(NEXT) | instid1(VALU_DEP_1)
	v_floor_f32_e32 v7, v7
	v_fma_f32 v10, 0xcf800000, v7, |v6|
	v_ashrrev_i32_e32 v6, 31, v6
	v_cvt_u32_f32_e32 v11, v7
	s_delay_alu instid0(VALU_DEP_3) | instskip(NEXT) | instid1(VALU_DEP_2)
	v_cvt_u32_f32_e32 v10, v10
	v_dual_mov_b32 v7, v6 :: v_dual_bitop2_b32 v11, v11, v6 bitop3:0x14
	s_delay_alu instid0(VALU_DEP_2) | instskip(NEXT) | instid1(VALU_DEP_1)
	v_xor_b32_e32 v10, v10, v6
	v_sub_nc_u64_e32 v[6:7], v[10:11], v[6:7]
	s_delay_alu instid0(VALU_DEP_1)
	v_dual_cndmask_b32 v7, 0, v7 :: v_dual_cndmask_b32 v6, 0, v6
	s_branch .LBB126_391
.LBB126_390:
	s_mov_b32 s68, -1
                                        ; implicit-def: $vgpr6_vgpr7
.LBB126_391:
	s_mov_b32 s34, 0
.LBB126_392:
	s_delay_alu instid0(SALU_CYCLE_1)
	s_and_b32 vcc_lo, exec_lo, s34
	s_cbranch_vccz .LBB126_396
; %bb.393:
	s_cmp_eq_u32 s1, 29
	s_cbranch_scc0 .LBB126_395
; %bb.394:
	global_load_b64 v[6:7], v[8:9], off
	s_mov_b32 s31, -1
	s_mov_b32 s68, 0
	s_branch .LBB126_396
.LBB126_395:
	s_mov_b32 s68, -1
                                        ; implicit-def: $vgpr6_vgpr7
.LBB126_396:
	s_mov_b32 s34, 0
.LBB126_397:
	s_delay_alu instid0(SALU_CYCLE_1)
	s_and_b32 vcc_lo, exec_lo, s34
	s_cbranch_vccz .LBB126_413
; %bb.398:
	s_cmp_lt_i32 s1, 27
	s_cbranch_scc1 .LBB126_401
; %bb.399:
	s_cmp_gt_i32 s1, 27
	s_cbranch_scc0 .LBB126_402
; %bb.400:
	s_wait_loadcnt 0x0
	global_load_b32 v6, v[8:9], off
	v_mov_b32_e32 v7, 0
	s_mov_b32 s31, 0
	s_branch .LBB126_403
.LBB126_401:
	s_mov_b32 s31, -1
                                        ; implicit-def: $vgpr6_vgpr7
	s_branch .LBB126_406
.LBB126_402:
	s_mov_b32 s31, -1
                                        ; implicit-def: $vgpr6_vgpr7
.LBB126_403:
	s_delay_alu instid0(SALU_CYCLE_1)
	s_and_not1_b32 vcc_lo, exec_lo, s31
	s_cbranch_vccnz .LBB126_405
; %bb.404:
	s_wait_loadcnt 0x0
	global_load_u16 v6, v[8:9], off
	s_mov_b32 s31, 0
	s_delay_alu instid0(SALU_CYCLE_1)
	v_mov_b32_e32 v7, s31
	s_wait_loadcnt 0x0
	v_and_b32_e32 v6, 0xffff, v6
.LBB126_405:
	s_mov_b32 s31, 0
.LBB126_406:
	s_delay_alu instid0(SALU_CYCLE_1)
	s_and_not1_b32 vcc_lo, exec_lo, s31
	s_cbranch_vccnz .LBB126_412
; %bb.407:
	global_load_u8 v10, v[8:9], off
	s_mov_b32 s34, 0
	s_mov_b32 s31, exec_lo
	s_wait_loadcnt 0x0
	v_cmpx_lt_i16_e32 0x7f, v10
	s_xor_b32 s31, exec_lo, s31
	s_cbranch_execz .LBB126_424
; %bb.408:
	v_cmp_ne_u16_e32 vcc_lo, 0x80, v10
	s_and_b32 s34, vcc_lo, exec_lo
	s_and_not1_saveexec_b32 s31, s31
	s_cbranch_execnz .LBB126_425
.LBB126_409:
	s_or_b32 exec_lo, exec_lo, s31
	v_mov_b64_e32 v[6:7], 0
	s_and_saveexec_b32 s31, s34
	s_cbranch_execz .LBB126_411
.LBB126_410:
	v_and_b32_e32 v6, 0xffff, v10
	s_delay_alu instid0(VALU_DEP_1) | instskip(SKIP_1) | instid1(VALU_DEP_2)
	v_and_b32_e32 v7, 7, v6
	v_bfe_u32 v13, v6, 3, 4
	v_clz_i32_u32_e32 v11, v7
	s_delay_alu instid0(VALU_DEP_2) | instskip(NEXT) | instid1(VALU_DEP_2)
	v_cmp_eq_u32_e32 vcc_lo, 0, v13
	v_min_u32_e32 v11, 32, v11
	s_delay_alu instid0(VALU_DEP_1) | instskip(NEXT) | instid1(VALU_DEP_1)
	v_subrev_nc_u32_e32 v12, 28, v11
	v_dual_lshlrev_b32 v6, v12, v6 :: v_dual_sub_nc_u32 v11, 29, v11
	s_delay_alu instid0(VALU_DEP_1) | instskip(NEXT) | instid1(VALU_DEP_2)
	v_and_b32_e32 v6, 7, v6
	v_dual_cndmask_b32 v11, v13, v11 :: v_dual_lshlrev_b32 v10, 24, v10
	s_delay_alu instid0(VALU_DEP_2) | instskip(NEXT) | instid1(VALU_DEP_2)
	v_cndmask_b32_e32 v6, v7, v6, vcc_lo
	v_and_b32_e32 v7, 0x80000000, v10
	s_delay_alu instid0(VALU_DEP_3) | instskip(NEXT) | instid1(VALU_DEP_3)
	v_lshl_add_u32 v10, v11, 23, 0x3b800000
	v_lshlrev_b32_e32 v6, 20, v6
	s_delay_alu instid0(VALU_DEP_1) | instskip(NEXT) | instid1(VALU_DEP_1)
	v_or3_b32 v6, v7, v10, v6
	v_trunc_f32_e32 v6, v6
	s_delay_alu instid0(VALU_DEP_1) | instskip(NEXT) | instid1(VALU_DEP_1)
	v_mul_f32_e64 v7, 0x2f800000, |v6|
	v_floor_f32_e32 v7, v7
	s_delay_alu instid0(VALU_DEP_1) | instskip(SKIP_2) | instid1(VALU_DEP_3)
	v_fma_f32 v10, 0xcf800000, v7, |v6|
	v_ashrrev_i32_e32 v6, 31, v6
	v_cvt_u32_f32_e32 v11, v7
	v_cvt_u32_f32_e32 v10, v10
	s_delay_alu instid0(VALU_DEP_2) | instskip(NEXT) | instid1(VALU_DEP_2)
	v_dual_mov_b32 v7, v6 :: v_dual_bitop2_b32 v11, v11, v6 bitop3:0x14
	v_xor_b32_e32 v10, v10, v6
	s_delay_alu instid0(VALU_DEP_1)
	v_sub_nc_u64_e32 v[6:7], v[10:11], v[6:7]
.LBB126_411:
	s_or_b32 exec_lo, exec_lo, s31
.LBB126_412:
	s_mov_b32 s31, -1
.LBB126_413:
	s_mov_b32 s34, 0
.LBB126_414:
	s_delay_alu instid0(SALU_CYCLE_1)
	s_and_b32 vcc_lo, exec_lo, s34
	s_cbranch_vccz .LBB126_447
; %bb.415:
	s_cmp_gt_i32 s1, 22
	s_cbranch_scc0 .LBB126_423
; %bb.416:
	s_cmp_lt_i32 s1, 24
	s_cbranch_scc1 .LBB126_426
; %bb.417:
	s_cmp_gt_i32 s1, 24
	s_cbranch_scc0 .LBB126_427
; %bb.418:
	global_load_u8 v10, v[8:9], off
	s_mov_b32 s34, 0
	s_mov_b32 s31, exec_lo
	s_wait_loadcnt 0x0
	v_cmpx_lt_i16_e32 0x7f, v10
	s_xor_b32 s31, exec_lo, s31
	s_cbranch_execz .LBB126_439
; %bb.419:
	v_cmp_ne_u16_e32 vcc_lo, 0x80, v10
	s_and_b32 s34, vcc_lo, exec_lo
	s_and_not1_saveexec_b32 s31, s31
	s_cbranch_execnz .LBB126_440
.LBB126_420:
	s_or_b32 exec_lo, exec_lo, s31
	v_mov_b64_e32 v[6:7], 0
	s_and_saveexec_b32 s31, s34
	s_cbranch_execz .LBB126_422
.LBB126_421:
	v_and_b32_e32 v6, 0xffff, v10
	s_delay_alu instid0(VALU_DEP_1) | instskip(SKIP_1) | instid1(VALU_DEP_2)
	v_and_b32_e32 v7, 3, v6
	v_bfe_u32 v13, v6, 2, 5
	v_clz_i32_u32_e32 v11, v7
	s_delay_alu instid0(VALU_DEP_2) | instskip(NEXT) | instid1(VALU_DEP_2)
	v_cmp_eq_u32_e32 vcc_lo, 0, v13
	v_min_u32_e32 v11, 32, v11
	s_delay_alu instid0(VALU_DEP_1) | instskip(NEXT) | instid1(VALU_DEP_1)
	v_subrev_nc_u32_e32 v12, 29, v11
	v_dual_lshlrev_b32 v6, v12, v6 :: v_dual_sub_nc_u32 v11, 30, v11
	s_delay_alu instid0(VALU_DEP_1) | instskip(NEXT) | instid1(VALU_DEP_2)
	v_and_b32_e32 v6, 3, v6
	v_dual_cndmask_b32 v11, v13, v11 :: v_dual_lshlrev_b32 v10, 24, v10
	s_delay_alu instid0(VALU_DEP_2) | instskip(NEXT) | instid1(VALU_DEP_2)
	v_cndmask_b32_e32 v6, v7, v6, vcc_lo
	v_and_b32_e32 v7, 0x80000000, v10
	s_delay_alu instid0(VALU_DEP_3) | instskip(NEXT) | instid1(VALU_DEP_3)
	v_lshl_add_u32 v10, v11, 23, 0x37800000
	v_lshlrev_b32_e32 v6, 21, v6
	s_delay_alu instid0(VALU_DEP_1) | instskip(NEXT) | instid1(VALU_DEP_1)
	v_or3_b32 v6, v7, v10, v6
	v_trunc_f32_e32 v6, v6
	s_delay_alu instid0(VALU_DEP_1) | instskip(NEXT) | instid1(VALU_DEP_1)
	v_mul_f32_e64 v7, 0x2f800000, |v6|
	v_floor_f32_e32 v7, v7
	s_delay_alu instid0(VALU_DEP_1) | instskip(SKIP_2) | instid1(VALU_DEP_3)
	v_fma_f32 v10, 0xcf800000, v7, |v6|
	v_ashrrev_i32_e32 v6, 31, v6
	v_cvt_u32_f32_e32 v11, v7
	v_cvt_u32_f32_e32 v10, v10
	s_delay_alu instid0(VALU_DEP_2) | instskip(NEXT) | instid1(VALU_DEP_2)
	v_dual_mov_b32 v7, v6 :: v_dual_bitop2_b32 v11, v11, v6 bitop3:0x14
	v_xor_b32_e32 v10, v10, v6
	s_delay_alu instid0(VALU_DEP_1)
	v_sub_nc_u64_e32 v[6:7], v[10:11], v[6:7]
.LBB126_422:
	s_or_b32 exec_lo, exec_lo, s31
	s_mov_b32 s31, 0
	s_branch .LBB126_428
.LBB126_423:
	s_mov_b32 s34, -1
                                        ; implicit-def: $vgpr6_vgpr7
	s_branch .LBB126_434
.LBB126_424:
	s_and_not1_saveexec_b32 s31, s31
	s_cbranch_execz .LBB126_409
.LBB126_425:
	v_cmp_ne_u16_e32 vcc_lo, 0, v10
	s_and_not1_b32 s34, s34, exec_lo
	s_and_b32 s35, vcc_lo, exec_lo
	s_delay_alu instid0(SALU_CYCLE_1)
	s_or_b32 s34, s34, s35
	s_or_b32 exec_lo, exec_lo, s31
	v_mov_b64_e32 v[6:7], 0
	s_and_saveexec_b32 s31, s34
	s_cbranch_execnz .LBB126_410
	s_branch .LBB126_411
.LBB126_426:
	s_mov_b32 s31, -1
                                        ; implicit-def: $vgpr6_vgpr7
	s_branch .LBB126_431
.LBB126_427:
	s_mov_b32 s31, -1
                                        ; implicit-def: $vgpr6_vgpr7
.LBB126_428:
	s_delay_alu instid0(SALU_CYCLE_1)
	s_and_b32 vcc_lo, exec_lo, s31
	s_cbranch_vccz .LBB126_430
; %bb.429:
	s_wait_loadcnt 0x0
	global_load_u8 v6, v[8:9], off
	s_wait_loadcnt 0x0
	v_lshlrev_b32_e32 v6, 24, v6
	s_delay_alu instid0(VALU_DEP_1) | instskip(NEXT) | instid1(VALU_DEP_1)
	v_and_b32_e32 v7, 0x7f000000, v6
	v_clz_i32_u32_e32 v10, v7
	v_cmp_ne_u32_e32 vcc_lo, 0, v7
	v_add_nc_u32_e32 v12, 0x1000000, v7
	s_delay_alu instid0(VALU_DEP_3) | instskip(NEXT) | instid1(VALU_DEP_1)
	v_min_u32_e32 v10, 32, v10
	v_sub_nc_u32_e64 v10, v10, 4 clamp
	s_delay_alu instid0(VALU_DEP_1) | instskip(NEXT) | instid1(VALU_DEP_1)
	v_dual_lshlrev_b32 v11, v10, v7 :: v_dual_lshlrev_b32 v10, 23, v10
	v_lshrrev_b32_e32 v11, 4, v11
	s_delay_alu instid0(VALU_DEP_1) | instskip(NEXT) | instid1(VALU_DEP_1)
	v_dual_sub_nc_u32 v10, v11, v10 :: v_dual_ashrrev_i32 v11, 8, v12
	v_add_nc_u32_e32 v10, 0x3c000000, v10
	s_delay_alu instid0(VALU_DEP_1) | instskip(NEXT) | instid1(VALU_DEP_1)
	v_and_or_b32 v10, 0x7f800000, v11, v10
	v_cndmask_b32_e32 v7, 0, v10, vcc_lo
	s_delay_alu instid0(VALU_DEP_1) | instskip(NEXT) | instid1(VALU_DEP_1)
	v_and_or_b32 v6, 0x80000000, v6, v7
	v_trunc_f32_e32 v6, v6
	s_delay_alu instid0(VALU_DEP_1) | instskip(NEXT) | instid1(VALU_DEP_1)
	v_mul_f32_e64 v7, 0x2f800000, |v6|
	v_floor_f32_e32 v7, v7
	s_delay_alu instid0(VALU_DEP_1) | instskip(SKIP_2) | instid1(VALU_DEP_3)
	v_fma_f32 v10, 0xcf800000, v7, |v6|
	v_ashrrev_i32_e32 v6, 31, v6
	v_cvt_u32_f32_e32 v11, v7
	v_cvt_u32_f32_e32 v10, v10
	s_delay_alu instid0(VALU_DEP_2) | instskip(NEXT) | instid1(VALU_DEP_2)
	v_dual_mov_b32 v7, v6 :: v_dual_bitop2_b32 v11, v11, v6 bitop3:0x14
	v_xor_b32_e32 v10, v10, v6
	s_delay_alu instid0(VALU_DEP_1)
	v_sub_nc_u64_e32 v[6:7], v[10:11], v[6:7]
.LBB126_430:
	s_mov_b32 s31, 0
.LBB126_431:
	s_delay_alu instid0(SALU_CYCLE_1)
	s_and_not1_b32 vcc_lo, exec_lo, s31
	s_cbranch_vccnz .LBB126_433
; %bb.432:
	s_wait_loadcnt 0x0
	global_load_u8 v6, v[8:9], off
	s_wait_loadcnt 0x0
	v_lshlrev_b32_e32 v7, 25, v6
	v_lshlrev_b16 v6, 8, v6
	s_delay_alu instid0(VALU_DEP_1) | instskip(SKIP_1) | instid1(VALU_DEP_2)
	v_and_or_b32 v11, 0x7f00, v6, 0.5
	v_bfe_i32 v6, v6, 0, 16
	v_add_f32_e32 v11, -0.5, v11
	v_lshrrev_b32_e32 v10, 4, v7
	v_cmp_gt_u32_e32 vcc_lo, 0x8000000, v7
	s_delay_alu instid0(VALU_DEP_2) | instskip(NEXT) | instid1(VALU_DEP_1)
	v_or_b32_e32 v10, 0x70000000, v10
	v_mul_f32_e32 v10, 0x7800000, v10
	s_delay_alu instid0(VALU_DEP_1) | instskip(NEXT) | instid1(VALU_DEP_1)
	v_cndmask_b32_e32 v7, v10, v11, vcc_lo
	v_and_or_b32 v6, 0x80000000, v6, v7
	s_delay_alu instid0(VALU_DEP_1) | instskip(NEXT) | instid1(VALU_DEP_1)
	v_trunc_f32_e32 v6, v6
	v_mul_f32_e64 v7, 0x2f800000, |v6|
	s_delay_alu instid0(VALU_DEP_1) | instskip(NEXT) | instid1(VALU_DEP_1)
	v_floor_f32_e32 v7, v7
	v_fma_f32 v10, 0xcf800000, v7, |v6|
	v_ashrrev_i32_e32 v6, 31, v6
	v_cvt_u32_f32_e32 v11, v7
	s_delay_alu instid0(VALU_DEP_3) | instskip(NEXT) | instid1(VALU_DEP_2)
	v_cvt_u32_f32_e32 v10, v10
	v_dual_mov_b32 v7, v6 :: v_dual_bitop2_b32 v11, v11, v6 bitop3:0x14
	s_delay_alu instid0(VALU_DEP_2) | instskip(NEXT) | instid1(VALU_DEP_1)
	v_xor_b32_e32 v10, v10, v6
	v_sub_nc_u64_e32 v[6:7], v[10:11], v[6:7]
.LBB126_433:
	s_mov_b32 s34, 0
	s_mov_b32 s31, -1
.LBB126_434:
	s_and_not1_b32 vcc_lo, exec_lo, s34
	s_cbranch_vccnz .LBB126_447
; %bb.435:
	s_cmp_gt_i32 s1, 14
	s_cbranch_scc0 .LBB126_438
; %bb.436:
	s_cmp_eq_u32 s1, 15
	s_cbranch_scc0 .LBB126_441
; %bb.437:
	s_wait_loadcnt 0x0
	global_load_u16 v6, v[8:9], off
	s_mov_b32 s31, -1
	s_mov_b32 s68, 0
	s_wait_loadcnt 0x0
	v_lshlrev_b32_e32 v6, 16, v6
	s_delay_alu instid0(VALU_DEP_1) | instskip(NEXT) | instid1(VALU_DEP_1)
	v_trunc_f32_e32 v6, v6
	v_mul_f32_e64 v7, 0x2f800000, |v6|
	s_delay_alu instid0(VALU_DEP_1) | instskip(NEXT) | instid1(VALU_DEP_1)
	v_floor_f32_e32 v7, v7
	v_fma_f32 v10, 0xcf800000, v7, |v6|
	v_ashrrev_i32_e32 v6, 31, v6
	v_cvt_u32_f32_e32 v11, v7
	s_delay_alu instid0(VALU_DEP_3) | instskip(NEXT) | instid1(VALU_DEP_2)
	v_cvt_u32_f32_e32 v10, v10
	v_dual_mov_b32 v7, v6 :: v_dual_bitop2_b32 v11, v11, v6 bitop3:0x14
	s_delay_alu instid0(VALU_DEP_2) | instskip(NEXT) | instid1(VALU_DEP_1)
	v_xor_b32_e32 v10, v10, v6
	v_sub_nc_u64_e32 v[6:7], v[10:11], v[6:7]
	s_branch .LBB126_442
.LBB126_438:
	s_mov_b32 s34, -1
                                        ; implicit-def: $vgpr6_vgpr7
	s_branch .LBB126_443
.LBB126_439:
	s_and_not1_saveexec_b32 s31, s31
	s_cbranch_execz .LBB126_420
.LBB126_440:
	v_cmp_ne_u16_e32 vcc_lo, 0, v10
	s_and_not1_b32 s34, s34, exec_lo
	s_and_b32 s35, vcc_lo, exec_lo
	s_delay_alu instid0(SALU_CYCLE_1)
	s_or_b32 s34, s34, s35
	s_or_b32 exec_lo, exec_lo, s31
	v_mov_b64_e32 v[6:7], 0
	s_and_saveexec_b32 s31, s34
	s_cbranch_execnz .LBB126_421
	s_branch .LBB126_422
.LBB126_441:
	s_mov_b32 s68, -1
                                        ; implicit-def: $vgpr6_vgpr7
.LBB126_442:
	s_mov_b32 s34, 0
.LBB126_443:
	s_delay_alu instid0(SALU_CYCLE_1)
	s_and_b32 vcc_lo, exec_lo, s34
	s_cbranch_vccz .LBB126_447
; %bb.444:
	s_cmp_eq_u32 s1, 11
	s_cbranch_scc0 .LBB126_446
; %bb.445:
	s_wait_loadcnt 0x0
	global_load_u8 v6, v[8:9], off
	s_mov_b32 s68, 0
	s_mov_b32 s31, -1
	v_mov_b32_e32 v7, s68
	s_wait_loadcnt 0x0
	v_cmp_ne_u16_e32 vcc_lo, 0, v6
	v_cndmask_b32_e64 v6, 0, 1, vcc_lo
	s_branch .LBB126_447
.LBB126_446:
	s_mov_b32 s68, -1
                                        ; implicit-def: $vgpr6_vgpr7
.LBB126_447:
	s_mov_b32 s1, 0
.LBB126_448:
	s_delay_alu instid0(SALU_CYCLE_1)
	s_and_b32 vcc_lo, exec_lo, s1
	s_cbranch_vccz .LBB126_497
; %bb.449:
	s_and_b32 s0, 0xffff, s0
	s_delay_alu instid0(SALU_CYCLE_1)
	s_cmp_lt_i32 s0, 5
	s_cbranch_scc1 .LBB126_454
; %bb.450:
	s_cmp_lt_i32 s0, 8
	s_cbranch_scc1 .LBB126_455
; %bb.451:
	;; [unrolled: 3-line block ×3, first 2 shown]
	s_cmp_gt_i32 s0, 9
	s_cbranch_scc0 .LBB126_457
; %bb.453:
	s_wait_loadcnt 0x0
	global_load_b64 v[6:7], v[8:9], off
	s_mov_b32 s1, 0
	s_wait_loadcnt 0x0
	v_trunc_f64_e32 v[6:7], v[6:7]
	s_delay_alu instid0(VALU_DEP_1) | instskip(NEXT) | instid1(VALU_DEP_1)
	v_ldexp_f64 v[10:11], v[6:7], 0xffffffe0
	v_floor_f64_e32 v[10:11], v[10:11]
	s_delay_alu instid0(VALU_DEP_1) | instskip(SKIP_1) | instid1(VALU_DEP_2)
	v_fmamk_f64 v[12:13], v[10:11], 0xc1f00000, v[6:7]
	v_cvt_i32_f64_e32 v7, v[10:11]
	v_cvt_u32_f64_e32 v6, v[12:13]
	s_branch .LBB126_458
.LBB126_454:
	s_mov_b32 s1, -1
                                        ; implicit-def: $vgpr6_vgpr7
	s_branch .LBB126_476
.LBB126_455:
	s_mov_b32 s1, -1
                                        ; implicit-def: $vgpr6_vgpr7
	s_branch .LBB126_464
.LBB126_456:
	s_mov_b32 s1, -1
                                        ; implicit-def: $vgpr6_vgpr7
	s_branch .LBB126_461
.LBB126_457:
	s_mov_b32 s1, -1
                                        ; implicit-def: $vgpr6_vgpr7
.LBB126_458:
	s_delay_alu instid0(SALU_CYCLE_1)
	s_and_not1_b32 vcc_lo, exec_lo, s1
	s_cbranch_vccnz .LBB126_460
; %bb.459:
	s_wait_loadcnt 0x0
	global_load_b32 v6, v[8:9], off
	s_wait_loadcnt 0x0
	v_trunc_f32_e32 v6, v6
	s_delay_alu instid0(VALU_DEP_1) | instskip(NEXT) | instid1(VALU_DEP_1)
	v_mul_f32_e64 v7, 0x2f800000, |v6|
	v_floor_f32_e32 v7, v7
	s_delay_alu instid0(VALU_DEP_1) | instskip(SKIP_2) | instid1(VALU_DEP_3)
	v_fma_f32 v10, 0xcf800000, v7, |v6|
	v_ashrrev_i32_e32 v6, 31, v6
	v_cvt_u32_f32_e32 v11, v7
	v_cvt_u32_f32_e32 v10, v10
	s_delay_alu instid0(VALU_DEP_2) | instskip(NEXT) | instid1(VALU_DEP_2)
	v_dual_mov_b32 v7, v6 :: v_dual_bitop2_b32 v11, v11, v6 bitop3:0x14
	v_xor_b32_e32 v10, v10, v6
	s_delay_alu instid0(VALU_DEP_1)
	v_sub_nc_u64_e32 v[6:7], v[10:11], v[6:7]
.LBB126_460:
	s_mov_b32 s1, 0
.LBB126_461:
	s_delay_alu instid0(SALU_CYCLE_1)
	s_and_not1_b32 vcc_lo, exec_lo, s1
	s_cbranch_vccnz .LBB126_463
; %bb.462:
	s_wait_loadcnt 0x0
	global_load_b32 v6, v[8:9], off
	s_wait_loadcnt 0x0
	v_cvt_f32_f16_e32 v6, v6
	s_delay_alu instid0(VALU_DEP_1) | instskip(NEXT) | instid1(VALU_DEP_1)
	v_cvt_i32_f32_e32 v6, v6
	v_ashrrev_i32_e32 v7, 31, v6
.LBB126_463:
	s_mov_b32 s1, 0
.LBB126_464:
	s_delay_alu instid0(SALU_CYCLE_1)
	s_and_not1_b32 vcc_lo, exec_lo, s1
	s_cbranch_vccnz .LBB126_475
; %bb.465:
	s_cmp_lt_i32 s0, 6
	s_cbranch_scc1 .LBB126_468
; %bb.466:
	s_cmp_gt_i32 s0, 6
	s_cbranch_scc0 .LBB126_469
; %bb.467:
	s_wait_loadcnt 0x0
	global_load_b64 v[6:7], v[8:9], off
	s_mov_b32 s1, 0
	s_wait_loadcnt 0x0
	v_trunc_f64_e32 v[6:7], v[6:7]
	s_delay_alu instid0(VALU_DEP_1) | instskip(NEXT) | instid1(VALU_DEP_1)
	v_ldexp_f64 v[10:11], v[6:7], 0xffffffe0
	v_floor_f64_e32 v[10:11], v[10:11]
	s_delay_alu instid0(VALU_DEP_1) | instskip(SKIP_1) | instid1(VALU_DEP_2)
	v_fmamk_f64 v[12:13], v[10:11], 0xc1f00000, v[6:7]
	v_cvt_i32_f64_e32 v7, v[10:11]
	v_cvt_u32_f64_e32 v6, v[12:13]
	s_branch .LBB126_470
.LBB126_468:
	s_mov_b32 s1, -1
                                        ; implicit-def: $vgpr6_vgpr7
	s_branch .LBB126_473
.LBB126_469:
	s_mov_b32 s1, -1
                                        ; implicit-def: $vgpr6_vgpr7
.LBB126_470:
	s_delay_alu instid0(SALU_CYCLE_1)
	s_and_not1_b32 vcc_lo, exec_lo, s1
	s_cbranch_vccnz .LBB126_472
; %bb.471:
	s_wait_loadcnt 0x0
	global_load_b32 v6, v[8:9], off
	s_wait_loadcnt 0x0
	v_trunc_f32_e32 v6, v6
	s_delay_alu instid0(VALU_DEP_1) | instskip(NEXT) | instid1(VALU_DEP_1)
	v_mul_f32_e64 v7, 0x2f800000, |v6|
	v_floor_f32_e32 v7, v7
	s_delay_alu instid0(VALU_DEP_1) | instskip(SKIP_2) | instid1(VALU_DEP_3)
	v_fma_f32 v10, 0xcf800000, v7, |v6|
	v_ashrrev_i32_e32 v6, 31, v6
	v_cvt_u32_f32_e32 v11, v7
	v_cvt_u32_f32_e32 v10, v10
	s_delay_alu instid0(VALU_DEP_2) | instskip(NEXT) | instid1(VALU_DEP_2)
	v_dual_mov_b32 v7, v6 :: v_dual_bitop2_b32 v11, v11, v6 bitop3:0x14
	v_xor_b32_e32 v10, v10, v6
	s_delay_alu instid0(VALU_DEP_1)
	v_sub_nc_u64_e32 v[6:7], v[10:11], v[6:7]
.LBB126_472:
	s_mov_b32 s1, 0
.LBB126_473:
	s_delay_alu instid0(SALU_CYCLE_1)
	s_and_not1_b32 vcc_lo, exec_lo, s1
	s_cbranch_vccnz .LBB126_475
; %bb.474:
	s_wait_loadcnt 0x0
	global_load_u16 v6, v[8:9], off
	s_wait_loadcnt 0x0
	v_cvt_f32_f16_e32 v6, v6
	s_delay_alu instid0(VALU_DEP_1) | instskip(NEXT) | instid1(VALU_DEP_1)
	v_cvt_i32_f32_e32 v6, v6
	v_ashrrev_i32_e32 v7, 31, v6
.LBB126_475:
	s_mov_b32 s1, 0
.LBB126_476:
	s_delay_alu instid0(SALU_CYCLE_1)
	s_and_not1_b32 vcc_lo, exec_lo, s1
	s_cbranch_vccnz .LBB126_496
; %bb.477:
	s_cmp_lt_i32 s0, 2
	s_cbranch_scc1 .LBB126_481
; %bb.478:
	s_cmp_lt_i32 s0, 3
	s_cbranch_scc1 .LBB126_482
; %bb.479:
	s_cmp_gt_i32 s0, 3
	s_cbranch_scc0 .LBB126_483
; %bb.480:
	s_wait_loadcnt 0x0
	global_load_b64 v[6:7], v[8:9], off
	s_mov_b32 s1, 0
	s_branch .LBB126_484
.LBB126_481:
	s_mov_b32 s1, -1
                                        ; implicit-def: $vgpr6_vgpr7
	s_branch .LBB126_490
.LBB126_482:
	s_mov_b32 s1, -1
                                        ; implicit-def: $vgpr6_vgpr7
	s_branch .LBB126_487
.LBB126_483:
	s_mov_b32 s1, -1
                                        ; implicit-def: $vgpr6_vgpr7
.LBB126_484:
	s_delay_alu instid0(SALU_CYCLE_1)
	s_and_not1_b32 vcc_lo, exec_lo, s1
	s_cbranch_vccnz .LBB126_486
; %bb.485:
	s_wait_loadcnt 0x0
	global_load_b32 v6, v[8:9], off
	s_wait_loadcnt 0x0
	v_ashrrev_i32_e32 v7, 31, v6
.LBB126_486:
	s_mov_b32 s1, 0
.LBB126_487:
	s_delay_alu instid0(SALU_CYCLE_1)
	s_and_not1_b32 vcc_lo, exec_lo, s1
	s_cbranch_vccnz .LBB126_489
; %bb.488:
	s_wait_loadcnt 0x0
	global_load_u16 v6, v[8:9], off
	s_wait_loadcnt 0x0
	v_bfe_i32 v6, v6, 0, 16
	s_delay_alu instid0(VALU_DEP_1)
	v_ashrrev_i32_e32 v7, 31, v6
.LBB126_489:
	s_mov_b32 s1, 0
.LBB126_490:
	s_delay_alu instid0(SALU_CYCLE_1)
	s_and_not1_b32 vcc_lo, exec_lo, s1
	s_cbranch_vccnz .LBB126_496
; %bb.491:
	s_cmp_gt_i32 s0, 0
	s_mov_b32 s0, 0
	s_cbranch_scc0 .LBB126_493
; %bb.492:
	s_wait_loadcnt 0x0
	global_load_i8 v6, v[8:9], off
	s_wait_loadcnt 0x0
	v_bfe_i32 v6, v6, 0, 16
	s_delay_alu instid0(VALU_DEP_1)
	v_ashrrev_i32_e32 v7, 31, v6
	s_branch .LBB126_494
.LBB126_493:
	s_mov_b32 s0, -1
                                        ; implicit-def: $vgpr6_vgpr7
.LBB126_494:
	s_delay_alu instid0(SALU_CYCLE_1)
	s_and_not1_b32 vcc_lo, exec_lo, s0
	s_cbranch_vccnz .LBB126_496
; %bb.495:
	s_wait_loadcnt 0x0
	global_load_u8 v6, v[8:9], off
	s_mov_b32 s0, 0
	s_delay_alu instid0(SALU_CYCLE_1)
	v_mov_b32_e32 v7, s0
	s_wait_loadcnt 0x0
	v_and_b32_e32 v6, 0xffff, v6
.LBB126_496:
	s_mov_b32 s31, -1
.LBB126_497:
	s_delay_alu instid0(SALU_CYCLE_1)
	s_and_not1_b32 vcc_lo, exec_lo, s31
	s_cbranch_vccnz .LBB126_628
; %bb.498:
	s_wait_xcnt 0x0
	v_mul_lo_u32 v8, v22, s3
	s_and_b32 s0, s29, 0xff
	s_delay_alu instid0(SALU_CYCLE_1) | instskip(NEXT) | instid1(VALU_DEP_1)
	s_cmp_lt_i32 s0, 11
	v_ashrrev_i32_e32 v9, 31, v8
	s_delay_alu instid0(VALU_DEP_1)
	v_add_nc_u64_e32 v[8:9], s[14:15], v[8:9]
	s_cbranch_scc1 .LBB126_505
; %bb.499:
	s_and_b32 s1, 0xffff, s0
	s_delay_alu instid0(SALU_CYCLE_1)
	s_cmp_gt_i32 s1, 25
	s_cbranch_scc0 .LBB126_506
; %bb.500:
	s_cmp_gt_i32 s1, 28
	s_cbranch_scc0 .LBB126_507
; %bb.501:
	;; [unrolled: 3-line block ×4, first 2 shown]
	s_cmp_eq_u32 s1, 46
	s_mov_b32 s34, 0
	s_cbranch_scc0 .LBB126_510
; %bb.504:
	global_load_b32 v10, v[8:9], off
	s_mov_b32 s31, -1
	s_wait_loadcnt 0x0
	v_lshlrev_b32_e32 v10, 16, v10
	s_delay_alu instid0(VALU_DEP_1) | instskip(NEXT) | instid1(VALU_DEP_1)
	v_trunc_f32_e32 v10, v10
	v_mul_f32_e64 v11, 0x2f800000, |v10|
	s_delay_alu instid0(VALU_DEP_1) | instskip(NEXT) | instid1(VALU_DEP_1)
	v_floor_f32_e32 v11, v11
	v_fma_f32 v12, 0xcf800000, v11, |v10|
	v_ashrrev_i32_e32 v10, 31, v10
	v_cvt_u32_f32_e32 v13, v11
	s_delay_alu instid0(VALU_DEP_3) | instskip(NEXT) | instid1(VALU_DEP_2)
	v_cvt_u32_f32_e32 v12, v12
	v_dual_mov_b32 v11, v10 :: v_dual_bitop2_b32 v13, v13, v10 bitop3:0x14
	s_delay_alu instid0(VALU_DEP_2) | instskip(NEXT) | instid1(VALU_DEP_1)
	v_xor_b32_e32 v12, v12, v10
	v_sub_nc_u64_e32 v[10:11], v[12:13], v[10:11]
	s_branch .LBB126_512
.LBB126_505:
	s_mov_b32 s1, -1
	s_mov_b32 s31, 0
                                        ; implicit-def: $vgpr10_vgpr11
	s_branch .LBB126_573
.LBB126_506:
	s_mov_b32 s34, -1
	s_mov_b32 s31, 0
                                        ; implicit-def: $vgpr10_vgpr11
	s_branch .LBB126_539
.LBB126_507:
	s_mov_b32 s34, -1
	s_mov_b32 s31, 0
                                        ; implicit-def: $vgpr10_vgpr11
	s_branch .LBB126_522
.LBB126_508:
	s_mov_b32 s34, -1
	s_mov_b32 s31, 0
                                        ; implicit-def: $vgpr10_vgpr11
	s_branch .LBB126_517
.LBB126_509:
	s_mov_b32 s34, -1
	s_branch .LBB126_511
.LBB126_510:
	s_mov_b32 s67, -1
.LBB126_511:
	s_mov_b32 s31, 0
                                        ; implicit-def: $vgpr10_vgpr11
.LBB126_512:
	s_and_b32 vcc_lo, exec_lo, s34
	s_cbranch_vccz .LBB126_516
; %bb.513:
	s_cmp_eq_u32 s1, 44
	s_cbranch_scc0 .LBB126_515
; %bb.514:
	global_load_u8 v14, v[8:9], off
	s_mov_b32 s67, 0
	s_mov_b32 s31, -1
	s_wait_loadcnt 0x0
	v_cmp_ne_u32_e32 vcc_lo, 0, v14
	v_lshlrev_b32_e32 v10, 23, v14
	s_delay_alu instid0(VALU_DEP_1) | instskip(NEXT) | instid1(VALU_DEP_1)
	v_trunc_f32_e32 v10, v10
	v_mul_f32_e64 v11, 0x2f800000, |v10|
	s_delay_alu instid0(VALU_DEP_1) | instskip(NEXT) | instid1(VALU_DEP_1)
	v_floor_f32_e32 v11, v11
	v_fma_f32 v12, 0xcf800000, v11, |v10|
	v_ashrrev_i32_e32 v10, 31, v10
	v_cvt_u32_f32_e32 v13, v11
	s_delay_alu instid0(VALU_DEP_3) | instskip(NEXT) | instid1(VALU_DEP_2)
	v_cvt_u32_f32_e32 v12, v12
	v_dual_mov_b32 v11, v10 :: v_dual_bitop2_b32 v13, v13, v10 bitop3:0x14
	s_delay_alu instid0(VALU_DEP_2) | instskip(NEXT) | instid1(VALU_DEP_1)
	v_xor_b32_e32 v12, v12, v10
	v_sub_nc_u64_e32 v[10:11], v[12:13], v[10:11]
	s_delay_alu instid0(VALU_DEP_1)
	v_dual_cndmask_b32 v11, 0, v11 :: v_dual_cndmask_b32 v10, 0, v10
	s_branch .LBB126_516
.LBB126_515:
	s_mov_b32 s67, -1
                                        ; implicit-def: $vgpr10_vgpr11
.LBB126_516:
	s_mov_b32 s34, 0
.LBB126_517:
	s_delay_alu instid0(SALU_CYCLE_1)
	s_and_b32 vcc_lo, exec_lo, s34
	s_cbranch_vccz .LBB126_521
; %bb.518:
	s_cmp_eq_u32 s1, 29
	s_cbranch_scc0 .LBB126_520
; %bb.519:
	global_load_b64 v[10:11], v[8:9], off
	s_mov_b32 s31, -1
	s_mov_b32 s67, 0
	s_branch .LBB126_521
.LBB126_520:
	s_mov_b32 s67, -1
                                        ; implicit-def: $vgpr10_vgpr11
.LBB126_521:
	s_mov_b32 s34, 0
.LBB126_522:
	s_delay_alu instid0(SALU_CYCLE_1)
	s_and_b32 vcc_lo, exec_lo, s34
	s_cbranch_vccz .LBB126_538
; %bb.523:
	s_cmp_lt_i32 s1, 27
	s_cbranch_scc1 .LBB126_526
; %bb.524:
	s_cmp_gt_i32 s1, 27
	s_cbranch_scc0 .LBB126_527
; %bb.525:
	s_wait_loadcnt 0x0
	global_load_b32 v10, v[8:9], off
	v_mov_b32_e32 v11, 0
	s_mov_b32 s31, 0
	s_branch .LBB126_528
.LBB126_526:
	s_mov_b32 s31, -1
                                        ; implicit-def: $vgpr10_vgpr11
	s_branch .LBB126_531
.LBB126_527:
	s_mov_b32 s31, -1
                                        ; implicit-def: $vgpr10_vgpr11
.LBB126_528:
	s_delay_alu instid0(SALU_CYCLE_1)
	s_and_not1_b32 vcc_lo, exec_lo, s31
	s_cbranch_vccnz .LBB126_530
; %bb.529:
	s_wait_loadcnt 0x0
	global_load_u16 v10, v[8:9], off
	s_mov_b32 s31, 0
	s_delay_alu instid0(SALU_CYCLE_1)
	v_mov_b32_e32 v11, s31
	s_wait_loadcnt 0x0
	v_and_b32_e32 v10, 0xffff, v10
.LBB126_530:
	s_mov_b32 s31, 0
.LBB126_531:
	s_delay_alu instid0(SALU_CYCLE_1)
	s_and_not1_b32 vcc_lo, exec_lo, s31
	s_cbranch_vccnz .LBB126_537
; %bb.532:
	global_load_u8 v12, v[8:9], off
	s_mov_b32 s34, 0
	s_mov_b32 s31, exec_lo
	s_wait_loadcnt 0x0
	v_cmpx_lt_i16_e32 0x7f, v12
	s_xor_b32 s31, exec_lo, s31
	s_cbranch_execz .LBB126_549
; %bb.533:
	v_cmp_ne_u16_e32 vcc_lo, 0x80, v12
	s_and_b32 s34, vcc_lo, exec_lo
	s_and_not1_saveexec_b32 s31, s31
	s_cbranch_execnz .LBB126_550
.LBB126_534:
	s_or_b32 exec_lo, exec_lo, s31
	v_mov_b64_e32 v[10:11], 0
	s_and_saveexec_b32 s31, s34
	s_cbranch_execz .LBB126_536
.LBB126_535:
	v_and_b32_e32 v10, 0xffff, v12
	s_delay_alu instid0(VALU_DEP_1) | instskip(SKIP_1) | instid1(VALU_DEP_2)
	v_and_b32_e32 v11, 7, v10
	v_bfe_u32 v15, v10, 3, 4
	v_clz_i32_u32_e32 v13, v11
	s_delay_alu instid0(VALU_DEP_2) | instskip(NEXT) | instid1(VALU_DEP_2)
	v_cmp_eq_u32_e32 vcc_lo, 0, v15
	v_min_u32_e32 v13, 32, v13
	s_delay_alu instid0(VALU_DEP_1) | instskip(NEXT) | instid1(VALU_DEP_1)
	v_subrev_nc_u32_e32 v14, 28, v13
	v_dual_lshlrev_b32 v10, v14, v10 :: v_dual_sub_nc_u32 v13, 29, v13
	s_delay_alu instid0(VALU_DEP_1) | instskip(NEXT) | instid1(VALU_DEP_2)
	v_dual_lshlrev_b32 v12, 24, v12 :: v_dual_bitop2_b32 v10, 7, v10 bitop3:0x40
	v_cndmask_b32_e32 v13, v15, v13, vcc_lo
	s_delay_alu instid0(VALU_DEP_2) | instskip(NEXT) | instid1(VALU_DEP_3)
	v_cndmask_b32_e32 v10, v11, v10, vcc_lo
	v_and_b32_e32 v11, 0x80000000, v12
	s_delay_alu instid0(VALU_DEP_3) | instskip(NEXT) | instid1(VALU_DEP_3)
	v_lshl_add_u32 v12, v13, 23, 0x3b800000
	v_lshlrev_b32_e32 v10, 20, v10
	s_delay_alu instid0(VALU_DEP_1) | instskip(NEXT) | instid1(VALU_DEP_1)
	v_or3_b32 v10, v11, v12, v10
	v_trunc_f32_e32 v10, v10
	s_delay_alu instid0(VALU_DEP_1) | instskip(NEXT) | instid1(VALU_DEP_1)
	v_mul_f32_e64 v11, 0x2f800000, |v10|
	v_floor_f32_e32 v11, v11
	s_delay_alu instid0(VALU_DEP_1) | instskip(SKIP_2) | instid1(VALU_DEP_3)
	v_fma_f32 v12, 0xcf800000, v11, |v10|
	v_ashrrev_i32_e32 v10, 31, v10
	v_cvt_u32_f32_e32 v13, v11
	v_cvt_u32_f32_e32 v12, v12
	s_delay_alu instid0(VALU_DEP_2) | instskip(NEXT) | instid1(VALU_DEP_2)
	v_dual_mov_b32 v11, v10 :: v_dual_bitop2_b32 v13, v13, v10 bitop3:0x14
	v_xor_b32_e32 v12, v12, v10
	s_delay_alu instid0(VALU_DEP_1)
	v_sub_nc_u64_e32 v[10:11], v[12:13], v[10:11]
.LBB126_536:
	s_or_b32 exec_lo, exec_lo, s31
.LBB126_537:
	s_mov_b32 s31, -1
.LBB126_538:
	s_mov_b32 s34, 0
.LBB126_539:
	s_delay_alu instid0(SALU_CYCLE_1)
	s_and_b32 vcc_lo, exec_lo, s34
	s_cbranch_vccz .LBB126_572
; %bb.540:
	s_cmp_gt_i32 s1, 22
	s_cbranch_scc0 .LBB126_548
; %bb.541:
	s_cmp_lt_i32 s1, 24
	s_cbranch_scc1 .LBB126_551
; %bb.542:
	s_cmp_gt_i32 s1, 24
	s_cbranch_scc0 .LBB126_552
; %bb.543:
	global_load_u8 v12, v[8:9], off
	s_mov_b32 s34, 0
	s_mov_b32 s31, exec_lo
	s_wait_loadcnt 0x0
	v_cmpx_lt_i16_e32 0x7f, v12
	s_xor_b32 s31, exec_lo, s31
	s_cbranch_execz .LBB126_564
; %bb.544:
	v_cmp_ne_u16_e32 vcc_lo, 0x80, v12
	s_and_b32 s34, vcc_lo, exec_lo
	s_and_not1_saveexec_b32 s31, s31
	s_cbranch_execnz .LBB126_565
.LBB126_545:
	s_or_b32 exec_lo, exec_lo, s31
	v_mov_b64_e32 v[10:11], 0
	s_and_saveexec_b32 s31, s34
	s_cbranch_execz .LBB126_547
.LBB126_546:
	v_and_b32_e32 v10, 0xffff, v12
	s_delay_alu instid0(VALU_DEP_1) | instskip(SKIP_1) | instid1(VALU_DEP_2)
	v_and_b32_e32 v11, 3, v10
	v_bfe_u32 v15, v10, 2, 5
	v_clz_i32_u32_e32 v13, v11
	s_delay_alu instid0(VALU_DEP_2) | instskip(NEXT) | instid1(VALU_DEP_2)
	v_cmp_eq_u32_e32 vcc_lo, 0, v15
	v_min_u32_e32 v13, 32, v13
	s_delay_alu instid0(VALU_DEP_1) | instskip(NEXT) | instid1(VALU_DEP_1)
	v_subrev_nc_u32_e32 v14, 29, v13
	v_dual_lshlrev_b32 v10, v14, v10 :: v_dual_sub_nc_u32 v13, 30, v13
	s_delay_alu instid0(VALU_DEP_1) | instskip(NEXT) | instid1(VALU_DEP_2)
	v_dual_lshlrev_b32 v12, 24, v12 :: v_dual_bitop2_b32 v10, 3, v10 bitop3:0x40
	v_cndmask_b32_e32 v13, v15, v13, vcc_lo
	s_delay_alu instid0(VALU_DEP_2) | instskip(NEXT) | instid1(VALU_DEP_3)
	v_cndmask_b32_e32 v10, v11, v10, vcc_lo
	v_and_b32_e32 v11, 0x80000000, v12
	s_delay_alu instid0(VALU_DEP_3) | instskip(NEXT) | instid1(VALU_DEP_3)
	v_lshl_add_u32 v12, v13, 23, 0x37800000
	v_lshlrev_b32_e32 v10, 21, v10
	s_delay_alu instid0(VALU_DEP_1) | instskip(NEXT) | instid1(VALU_DEP_1)
	v_or3_b32 v10, v11, v12, v10
	v_trunc_f32_e32 v10, v10
	s_delay_alu instid0(VALU_DEP_1) | instskip(NEXT) | instid1(VALU_DEP_1)
	v_mul_f32_e64 v11, 0x2f800000, |v10|
	v_floor_f32_e32 v11, v11
	s_delay_alu instid0(VALU_DEP_1) | instskip(SKIP_2) | instid1(VALU_DEP_3)
	v_fma_f32 v12, 0xcf800000, v11, |v10|
	v_ashrrev_i32_e32 v10, 31, v10
	v_cvt_u32_f32_e32 v13, v11
	v_cvt_u32_f32_e32 v12, v12
	s_delay_alu instid0(VALU_DEP_2) | instskip(NEXT) | instid1(VALU_DEP_2)
	v_dual_mov_b32 v11, v10 :: v_dual_bitop2_b32 v13, v13, v10 bitop3:0x14
	v_xor_b32_e32 v12, v12, v10
	s_delay_alu instid0(VALU_DEP_1)
	v_sub_nc_u64_e32 v[10:11], v[12:13], v[10:11]
.LBB126_547:
	s_or_b32 exec_lo, exec_lo, s31
	s_mov_b32 s31, 0
	s_branch .LBB126_553
.LBB126_548:
	s_mov_b32 s34, -1
                                        ; implicit-def: $vgpr10_vgpr11
	s_branch .LBB126_559
.LBB126_549:
	s_and_not1_saveexec_b32 s31, s31
	s_cbranch_execz .LBB126_534
.LBB126_550:
	v_cmp_ne_u16_e32 vcc_lo, 0, v12
	s_and_not1_b32 s34, s34, exec_lo
	s_and_b32 s35, vcc_lo, exec_lo
	s_delay_alu instid0(SALU_CYCLE_1)
	s_or_b32 s34, s34, s35
	s_or_b32 exec_lo, exec_lo, s31
	v_mov_b64_e32 v[10:11], 0
	s_and_saveexec_b32 s31, s34
	s_cbranch_execnz .LBB126_535
	s_branch .LBB126_536
.LBB126_551:
	s_mov_b32 s31, -1
                                        ; implicit-def: $vgpr10_vgpr11
	s_branch .LBB126_556
.LBB126_552:
	s_mov_b32 s31, -1
                                        ; implicit-def: $vgpr10_vgpr11
.LBB126_553:
	s_delay_alu instid0(SALU_CYCLE_1)
	s_and_b32 vcc_lo, exec_lo, s31
	s_cbranch_vccz .LBB126_555
; %bb.554:
	s_wait_loadcnt 0x0
	global_load_u8 v10, v[8:9], off
	s_wait_loadcnt 0x0
	v_lshlrev_b32_e32 v10, 24, v10
	s_delay_alu instid0(VALU_DEP_1) | instskip(NEXT) | instid1(VALU_DEP_1)
	v_and_b32_e32 v11, 0x7f000000, v10
	v_clz_i32_u32_e32 v12, v11
	v_cmp_ne_u32_e32 vcc_lo, 0, v11
	v_add_nc_u32_e32 v14, 0x1000000, v11
	s_delay_alu instid0(VALU_DEP_3) | instskip(NEXT) | instid1(VALU_DEP_1)
	v_min_u32_e32 v12, 32, v12
	v_sub_nc_u32_e64 v12, v12, 4 clamp
	s_delay_alu instid0(VALU_DEP_1) | instskip(NEXT) | instid1(VALU_DEP_1)
	v_dual_lshlrev_b32 v13, v12, v11 :: v_dual_lshlrev_b32 v12, 23, v12
	v_lshrrev_b32_e32 v13, 4, v13
	s_delay_alu instid0(VALU_DEP_1) | instskip(NEXT) | instid1(VALU_DEP_1)
	v_dual_sub_nc_u32 v12, v13, v12 :: v_dual_ashrrev_i32 v13, 8, v14
	v_add_nc_u32_e32 v12, 0x3c000000, v12
	s_delay_alu instid0(VALU_DEP_1) | instskip(NEXT) | instid1(VALU_DEP_1)
	v_and_or_b32 v12, 0x7f800000, v13, v12
	v_cndmask_b32_e32 v11, 0, v12, vcc_lo
	s_delay_alu instid0(VALU_DEP_1) | instskip(NEXT) | instid1(VALU_DEP_1)
	v_and_or_b32 v10, 0x80000000, v10, v11
	v_trunc_f32_e32 v10, v10
	s_delay_alu instid0(VALU_DEP_1) | instskip(NEXT) | instid1(VALU_DEP_1)
	v_mul_f32_e64 v11, 0x2f800000, |v10|
	v_floor_f32_e32 v11, v11
	s_delay_alu instid0(VALU_DEP_1) | instskip(SKIP_2) | instid1(VALU_DEP_3)
	v_fma_f32 v12, 0xcf800000, v11, |v10|
	v_ashrrev_i32_e32 v10, 31, v10
	v_cvt_u32_f32_e32 v13, v11
	v_cvt_u32_f32_e32 v12, v12
	s_delay_alu instid0(VALU_DEP_2) | instskip(NEXT) | instid1(VALU_DEP_2)
	v_dual_mov_b32 v11, v10 :: v_dual_bitop2_b32 v13, v13, v10 bitop3:0x14
	v_xor_b32_e32 v12, v12, v10
	s_delay_alu instid0(VALU_DEP_1)
	v_sub_nc_u64_e32 v[10:11], v[12:13], v[10:11]
.LBB126_555:
	s_mov_b32 s31, 0
.LBB126_556:
	s_delay_alu instid0(SALU_CYCLE_1)
	s_and_not1_b32 vcc_lo, exec_lo, s31
	s_cbranch_vccnz .LBB126_558
; %bb.557:
	s_wait_loadcnt 0x0
	global_load_u8 v10, v[8:9], off
	s_wait_loadcnt 0x0
	v_lshlrev_b32_e32 v11, 25, v10
	v_lshlrev_b16 v10, 8, v10
	s_delay_alu instid0(VALU_DEP_1) | instskip(SKIP_1) | instid1(VALU_DEP_2)
	v_and_or_b32 v13, 0x7f00, v10, 0.5
	v_bfe_i32 v10, v10, 0, 16
	v_dual_add_f32 v13, -0.5, v13 :: v_dual_lshrrev_b32 v12, 4, v11
	v_cmp_gt_u32_e32 vcc_lo, 0x8000000, v11
	s_delay_alu instid0(VALU_DEP_2) | instskip(NEXT) | instid1(VALU_DEP_1)
	v_or_b32_e32 v12, 0x70000000, v12
	v_mul_f32_e32 v12, 0x7800000, v12
	s_delay_alu instid0(VALU_DEP_1) | instskip(NEXT) | instid1(VALU_DEP_1)
	v_cndmask_b32_e32 v11, v12, v13, vcc_lo
	v_and_or_b32 v10, 0x80000000, v10, v11
	s_delay_alu instid0(VALU_DEP_1) | instskip(NEXT) | instid1(VALU_DEP_1)
	v_trunc_f32_e32 v10, v10
	v_mul_f32_e64 v11, 0x2f800000, |v10|
	s_delay_alu instid0(VALU_DEP_1) | instskip(NEXT) | instid1(VALU_DEP_1)
	v_floor_f32_e32 v11, v11
	v_fma_f32 v12, 0xcf800000, v11, |v10|
	v_ashrrev_i32_e32 v10, 31, v10
	v_cvt_u32_f32_e32 v13, v11
	s_delay_alu instid0(VALU_DEP_3) | instskip(NEXT) | instid1(VALU_DEP_2)
	v_cvt_u32_f32_e32 v12, v12
	v_dual_mov_b32 v11, v10 :: v_dual_bitop2_b32 v13, v13, v10 bitop3:0x14
	s_delay_alu instid0(VALU_DEP_2) | instskip(NEXT) | instid1(VALU_DEP_1)
	v_xor_b32_e32 v12, v12, v10
	v_sub_nc_u64_e32 v[10:11], v[12:13], v[10:11]
.LBB126_558:
	s_mov_b32 s34, 0
	s_mov_b32 s31, -1
.LBB126_559:
	s_and_not1_b32 vcc_lo, exec_lo, s34
	s_cbranch_vccnz .LBB126_572
; %bb.560:
	s_cmp_gt_i32 s1, 14
	s_cbranch_scc0 .LBB126_563
; %bb.561:
	s_cmp_eq_u32 s1, 15
	s_cbranch_scc0 .LBB126_566
; %bb.562:
	s_wait_loadcnt 0x0
	global_load_u16 v10, v[8:9], off
	s_mov_b32 s31, -1
	s_mov_b32 s67, 0
	s_wait_loadcnt 0x0
	v_lshlrev_b32_e32 v10, 16, v10
	s_delay_alu instid0(VALU_DEP_1) | instskip(NEXT) | instid1(VALU_DEP_1)
	v_trunc_f32_e32 v10, v10
	v_mul_f32_e64 v11, 0x2f800000, |v10|
	s_delay_alu instid0(VALU_DEP_1) | instskip(NEXT) | instid1(VALU_DEP_1)
	v_floor_f32_e32 v11, v11
	v_fma_f32 v12, 0xcf800000, v11, |v10|
	v_ashrrev_i32_e32 v10, 31, v10
	v_cvt_u32_f32_e32 v13, v11
	s_delay_alu instid0(VALU_DEP_3) | instskip(NEXT) | instid1(VALU_DEP_2)
	v_cvt_u32_f32_e32 v12, v12
	v_dual_mov_b32 v11, v10 :: v_dual_bitop2_b32 v13, v13, v10 bitop3:0x14
	s_delay_alu instid0(VALU_DEP_2) | instskip(NEXT) | instid1(VALU_DEP_1)
	v_xor_b32_e32 v12, v12, v10
	v_sub_nc_u64_e32 v[10:11], v[12:13], v[10:11]
	s_branch .LBB126_567
.LBB126_563:
	s_mov_b32 s34, -1
                                        ; implicit-def: $vgpr10_vgpr11
	s_branch .LBB126_568
.LBB126_564:
	s_and_not1_saveexec_b32 s31, s31
	s_cbranch_execz .LBB126_545
.LBB126_565:
	v_cmp_ne_u16_e32 vcc_lo, 0, v12
	s_and_not1_b32 s34, s34, exec_lo
	s_and_b32 s35, vcc_lo, exec_lo
	s_delay_alu instid0(SALU_CYCLE_1)
	s_or_b32 s34, s34, s35
	s_or_b32 exec_lo, exec_lo, s31
	v_mov_b64_e32 v[10:11], 0
	s_and_saveexec_b32 s31, s34
	s_cbranch_execnz .LBB126_546
	s_branch .LBB126_547
.LBB126_566:
	s_mov_b32 s67, -1
                                        ; implicit-def: $vgpr10_vgpr11
.LBB126_567:
	s_mov_b32 s34, 0
.LBB126_568:
	s_delay_alu instid0(SALU_CYCLE_1)
	s_and_b32 vcc_lo, exec_lo, s34
	s_cbranch_vccz .LBB126_572
; %bb.569:
	s_cmp_eq_u32 s1, 11
	s_cbranch_scc0 .LBB126_571
; %bb.570:
	s_wait_loadcnt 0x0
	global_load_u8 v10, v[8:9], off
	s_mov_b32 s67, 0
	s_mov_b32 s31, -1
	v_mov_b32_e32 v11, s67
	s_wait_loadcnt 0x0
	v_cmp_ne_u16_e32 vcc_lo, 0, v10
	v_cndmask_b32_e64 v10, 0, 1, vcc_lo
	s_branch .LBB126_572
.LBB126_571:
	s_mov_b32 s67, -1
                                        ; implicit-def: $vgpr10_vgpr11
.LBB126_572:
	s_mov_b32 s1, 0
.LBB126_573:
	s_delay_alu instid0(SALU_CYCLE_1)
	s_and_b32 vcc_lo, exec_lo, s1
	s_cbranch_vccz .LBB126_622
; %bb.574:
	s_and_b32 s0, 0xffff, s0
	s_delay_alu instid0(SALU_CYCLE_1)
	s_cmp_lt_i32 s0, 5
	s_cbranch_scc1 .LBB126_579
; %bb.575:
	s_cmp_lt_i32 s0, 8
	s_cbranch_scc1 .LBB126_580
; %bb.576:
	;; [unrolled: 3-line block ×3, first 2 shown]
	s_cmp_gt_i32 s0, 9
	s_cbranch_scc0 .LBB126_582
; %bb.578:
	s_wait_loadcnt 0x0
	global_load_b64 v[10:11], v[8:9], off
	s_mov_b32 s1, 0
	s_wait_loadcnt 0x0
	v_trunc_f64_e32 v[10:11], v[10:11]
	s_delay_alu instid0(VALU_DEP_1) | instskip(NEXT) | instid1(VALU_DEP_1)
	v_ldexp_f64 v[12:13], v[10:11], 0xffffffe0
	v_floor_f64_e32 v[12:13], v[12:13]
	s_delay_alu instid0(VALU_DEP_1) | instskip(SKIP_1) | instid1(VALU_DEP_2)
	v_fmamk_f64 v[14:15], v[12:13], 0xc1f00000, v[10:11]
	v_cvt_i32_f64_e32 v11, v[12:13]
	v_cvt_u32_f64_e32 v10, v[14:15]
	s_branch .LBB126_583
.LBB126_579:
	s_mov_b32 s1, -1
                                        ; implicit-def: $vgpr10_vgpr11
	s_branch .LBB126_601
.LBB126_580:
	s_mov_b32 s1, -1
                                        ; implicit-def: $vgpr10_vgpr11
	s_branch .LBB126_589
.LBB126_581:
	s_mov_b32 s1, -1
                                        ; implicit-def: $vgpr10_vgpr11
	s_branch .LBB126_586
.LBB126_582:
	s_mov_b32 s1, -1
                                        ; implicit-def: $vgpr10_vgpr11
.LBB126_583:
	s_delay_alu instid0(SALU_CYCLE_1)
	s_and_not1_b32 vcc_lo, exec_lo, s1
	s_cbranch_vccnz .LBB126_585
; %bb.584:
	s_wait_loadcnt 0x0
	global_load_b32 v10, v[8:9], off
	s_wait_loadcnt 0x0
	v_trunc_f32_e32 v10, v10
	s_delay_alu instid0(VALU_DEP_1) | instskip(NEXT) | instid1(VALU_DEP_1)
	v_mul_f32_e64 v11, 0x2f800000, |v10|
	v_floor_f32_e32 v11, v11
	s_delay_alu instid0(VALU_DEP_1) | instskip(SKIP_2) | instid1(VALU_DEP_3)
	v_fma_f32 v12, 0xcf800000, v11, |v10|
	v_ashrrev_i32_e32 v10, 31, v10
	v_cvt_u32_f32_e32 v13, v11
	v_cvt_u32_f32_e32 v12, v12
	s_delay_alu instid0(VALU_DEP_2) | instskip(NEXT) | instid1(VALU_DEP_2)
	v_dual_mov_b32 v11, v10 :: v_dual_bitop2_b32 v13, v13, v10 bitop3:0x14
	v_xor_b32_e32 v12, v12, v10
	s_delay_alu instid0(VALU_DEP_1)
	v_sub_nc_u64_e32 v[10:11], v[12:13], v[10:11]
.LBB126_585:
	s_mov_b32 s1, 0
.LBB126_586:
	s_delay_alu instid0(SALU_CYCLE_1)
	s_and_not1_b32 vcc_lo, exec_lo, s1
	s_cbranch_vccnz .LBB126_588
; %bb.587:
	s_wait_loadcnt 0x0
	global_load_b32 v10, v[8:9], off
	s_wait_loadcnt 0x0
	v_cvt_f32_f16_e32 v10, v10
	s_delay_alu instid0(VALU_DEP_1) | instskip(NEXT) | instid1(VALU_DEP_1)
	v_cvt_i32_f32_e32 v10, v10
	v_ashrrev_i32_e32 v11, 31, v10
.LBB126_588:
	s_mov_b32 s1, 0
.LBB126_589:
	s_delay_alu instid0(SALU_CYCLE_1)
	s_and_not1_b32 vcc_lo, exec_lo, s1
	s_cbranch_vccnz .LBB126_600
; %bb.590:
	s_cmp_lt_i32 s0, 6
	s_cbranch_scc1 .LBB126_593
; %bb.591:
	s_cmp_gt_i32 s0, 6
	s_cbranch_scc0 .LBB126_594
; %bb.592:
	s_wait_loadcnt 0x0
	global_load_b64 v[10:11], v[8:9], off
	s_mov_b32 s1, 0
	s_wait_loadcnt 0x0
	v_trunc_f64_e32 v[10:11], v[10:11]
	s_delay_alu instid0(VALU_DEP_1) | instskip(NEXT) | instid1(VALU_DEP_1)
	v_ldexp_f64 v[12:13], v[10:11], 0xffffffe0
	v_floor_f64_e32 v[12:13], v[12:13]
	s_delay_alu instid0(VALU_DEP_1) | instskip(SKIP_1) | instid1(VALU_DEP_2)
	v_fmamk_f64 v[14:15], v[12:13], 0xc1f00000, v[10:11]
	v_cvt_i32_f64_e32 v11, v[12:13]
	v_cvt_u32_f64_e32 v10, v[14:15]
	s_branch .LBB126_595
.LBB126_593:
	s_mov_b32 s1, -1
                                        ; implicit-def: $vgpr10_vgpr11
	s_branch .LBB126_598
.LBB126_594:
	s_mov_b32 s1, -1
                                        ; implicit-def: $vgpr10_vgpr11
.LBB126_595:
	s_delay_alu instid0(SALU_CYCLE_1)
	s_and_not1_b32 vcc_lo, exec_lo, s1
	s_cbranch_vccnz .LBB126_597
; %bb.596:
	s_wait_loadcnt 0x0
	global_load_b32 v10, v[8:9], off
	s_wait_loadcnt 0x0
	v_trunc_f32_e32 v10, v10
	s_delay_alu instid0(VALU_DEP_1) | instskip(NEXT) | instid1(VALU_DEP_1)
	v_mul_f32_e64 v11, 0x2f800000, |v10|
	v_floor_f32_e32 v11, v11
	s_delay_alu instid0(VALU_DEP_1) | instskip(SKIP_2) | instid1(VALU_DEP_3)
	v_fma_f32 v12, 0xcf800000, v11, |v10|
	v_ashrrev_i32_e32 v10, 31, v10
	v_cvt_u32_f32_e32 v13, v11
	v_cvt_u32_f32_e32 v12, v12
	s_delay_alu instid0(VALU_DEP_2) | instskip(NEXT) | instid1(VALU_DEP_2)
	v_dual_mov_b32 v11, v10 :: v_dual_bitop2_b32 v13, v13, v10 bitop3:0x14
	v_xor_b32_e32 v12, v12, v10
	s_delay_alu instid0(VALU_DEP_1)
	v_sub_nc_u64_e32 v[10:11], v[12:13], v[10:11]
.LBB126_597:
	s_mov_b32 s1, 0
.LBB126_598:
	s_delay_alu instid0(SALU_CYCLE_1)
	s_and_not1_b32 vcc_lo, exec_lo, s1
	s_cbranch_vccnz .LBB126_600
; %bb.599:
	s_wait_loadcnt 0x0
	global_load_u16 v10, v[8:9], off
	s_wait_loadcnt 0x0
	v_cvt_f32_f16_e32 v10, v10
	s_delay_alu instid0(VALU_DEP_1) | instskip(NEXT) | instid1(VALU_DEP_1)
	v_cvt_i32_f32_e32 v10, v10
	v_ashrrev_i32_e32 v11, 31, v10
.LBB126_600:
	s_mov_b32 s1, 0
.LBB126_601:
	s_delay_alu instid0(SALU_CYCLE_1)
	s_and_not1_b32 vcc_lo, exec_lo, s1
	s_cbranch_vccnz .LBB126_621
; %bb.602:
	s_cmp_lt_i32 s0, 2
	s_cbranch_scc1 .LBB126_606
; %bb.603:
	s_cmp_lt_i32 s0, 3
	s_cbranch_scc1 .LBB126_607
; %bb.604:
	s_cmp_gt_i32 s0, 3
	s_cbranch_scc0 .LBB126_608
; %bb.605:
	s_wait_loadcnt 0x0
	global_load_b64 v[10:11], v[8:9], off
	s_mov_b32 s1, 0
	s_branch .LBB126_609
.LBB126_606:
	s_mov_b32 s1, -1
                                        ; implicit-def: $vgpr10_vgpr11
	s_branch .LBB126_615
.LBB126_607:
	s_mov_b32 s1, -1
                                        ; implicit-def: $vgpr10_vgpr11
	s_branch .LBB126_612
.LBB126_608:
	s_mov_b32 s1, -1
                                        ; implicit-def: $vgpr10_vgpr11
.LBB126_609:
	s_delay_alu instid0(SALU_CYCLE_1)
	s_and_not1_b32 vcc_lo, exec_lo, s1
	s_cbranch_vccnz .LBB126_611
; %bb.610:
	s_wait_loadcnt 0x0
	global_load_b32 v10, v[8:9], off
	s_wait_loadcnt 0x0
	v_ashrrev_i32_e32 v11, 31, v10
.LBB126_611:
	s_mov_b32 s1, 0
.LBB126_612:
	s_delay_alu instid0(SALU_CYCLE_1)
	s_and_not1_b32 vcc_lo, exec_lo, s1
	s_cbranch_vccnz .LBB126_614
; %bb.613:
	s_wait_loadcnt 0x0
	global_load_u16 v10, v[8:9], off
	s_wait_loadcnt 0x0
	v_bfe_i32 v10, v10, 0, 16
	s_delay_alu instid0(VALU_DEP_1)
	v_ashrrev_i32_e32 v11, 31, v10
.LBB126_614:
	s_mov_b32 s1, 0
.LBB126_615:
	s_delay_alu instid0(SALU_CYCLE_1)
	s_and_not1_b32 vcc_lo, exec_lo, s1
	s_cbranch_vccnz .LBB126_621
; %bb.616:
	s_cmp_gt_i32 s0, 0
	s_mov_b32 s0, 0
	s_cbranch_scc0 .LBB126_618
; %bb.617:
	s_wait_loadcnt 0x0
	global_load_i8 v10, v[8:9], off
	s_wait_loadcnt 0x0
	v_bfe_i32 v10, v10, 0, 16
	s_delay_alu instid0(VALU_DEP_1)
	v_ashrrev_i32_e32 v11, 31, v10
	s_branch .LBB126_619
.LBB126_618:
	s_mov_b32 s0, -1
                                        ; implicit-def: $vgpr10_vgpr11
.LBB126_619:
	s_delay_alu instid0(SALU_CYCLE_1)
	s_and_not1_b32 vcc_lo, exec_lo, s0
	s_cbranch_vccnz .LBB126_621
; %bb.620:
	global_load_u8 v8, v[8:9], off
	s_mov_b32 s0, 0
	s_wait_loadcnt 0x1
	v_mov_b32_e32 v11, s0
	s_wait_loadcnt 0x0
	v_and_b32_e32 v10, 0xffff, v8
.LBB126_621:
	s_mov_b32 s31, -1
.LBB126_622:
	s_delay_alu instid0(SALU_CYCLE_1)
	s_and_not1_b32 vcc_lo, exec_lo, s31
	s_cbranch_vccnz .LBB126_628
; %bb.623:
	s_wait_loadcnt 0x0
	v_cmp_eq_u64_e32 vcc_lo, s[36:37], v[0:1]
	s_mov_b32 s1, -1
	s_mov_b32 s0, 0
	s_mov_b32 s31, 0
	;; [unrolled: 1-line block ×5, first 2 shown]
	s_and_b32 s45, s60, vcc_lo
	s_delay_alu instid0(SALU_CYCLE_1)
	s_and_saveexec_b32 s61, s45
	s_cbranch_execz .LBB126_3937
; %bb.624:
	v_cmp_eq_u64_e32 vcc_lo, s[40:41], v[2:3]
	s_and_b32 s31, s59, vcc_lo
	s_delay_alu instid0(SALU_CYCLE_1)
	s_and_saveexec_b32 s63, s31
	s_cbranch_execz .LBB126_1919
; %bb.625:
	v_sub_nc_u64_e32 v[0:1], v[6:7], v[4:5]
	s_mov_b32 s31, 0
	s_delay_alu instid0(VALU_DEP_1)
	v_cmp_le_i64_e32 vcc_lo, s[36:37], v[0:1]
	v_cmp_ge_i64_e64 s0, s[38:39], v[0:1]
	s_and_b32 s34, vcc_lo, s0
	s_mov_b32 s0, 0
	s_and_b32 s35, s58, s34
	s_mov_b32 s34, 0
	s_and_saveexec_b32 s64, s35
	s_cbranch_execz .LBB126_1918
; %bb.626:
	v_cmp_lt_i64_e64 s0, s[40:41], 1
	v_mov_b64_e32 v[0:1], 0
	s_xor_b32 s1, s57, -1
	s_delay_alu instid0(SALU_CYCLE_1) | instskip(NEXT) | instid1(SALU_CYCLE_1)
	s_or_b32 s0, s1, s0
	s_and_b32 vcc_lo, exec_lo, s0
	s_cbranch_vccnz .LBB126_662
; %bb.627:
	v_mul_u64_e32 v[8:9], s[40:41], v[10:11]
	s_mov_b32 s1, 0
	v_mov_b64_e32 v[0:1], 0
	s_mov_b32 s31, s1
	v_mov_b32_e32 v2, 0
	s_lshl_b64 s[46:47], s[30:31], 3
	s_mov_b64 s[34:35], 0xffffffff
	s_add_nc_u64 s[44:45], s[20:21], s[46:47]
	s_add_nc_u64 s[46:47], s[22:23], s[46:47]
	s_mov_b32 s31, s42
	s_branch .LBB126_643
.LBB126_628:
	s_mov_b32 s0, 0
	s_mov_b32 s1, 0
	;; [unrolled: 1-line block ×6, first 2 shown]
                                        ; implicit-def: $vgpr22
.LBB126_629:
	s_delay_alu instid0(SALU_CYCLE_1)
	s_and_b32 s61, s44, exec_lo
	s_and_b32 s63, s35, exec_lo
	;; [unrolled: 1-line block ×10, first 2 shown]
	s_or_not1_b32 s1, s0, exec_lo
.LBB126_630:
	s_wait_xcnt 0x0
	s_or_b32 exec_lo, exec_lo, s72
	s_mov_b32 s35, 0
	s_mov_b32 s34, 0
                                        ; implicit-def: $sgpr0
                                        ; implicit-def: $vgpr2_vgpr3
                                        ; implicit-def: $vgpr0_vgpr1
	s_and_saveexec_b32 s72, s1
	s_cbranch_execz .LBB126_639
; %bb.631:
	s_mov_b32 s35, -1
	s_mov_b32 s73, s71
	s_mov_b32 s75, s70
	;; [unrolled: 1-line block ×10, first 2 shown]
	s_mov_b32 s83, exec_lo
	v_cmpx_gt_i32_e64 s62, v22
	s_cbranch_execz .LBB126_1299
; %bb.632:
	s_wait_loadcnt 0x0
	v_mul_lo_u32 v0, v22, s17
	s_and_b32 s0, s54, 0xff
	s_delay_alu instid0(SALU_CYCLE_1) | instskip(NEXT) | instid1(VALU_DEP_1)
	s_cmp_lt_i32 s0, 11
	v_ashrrev_i32_e32 v1, 31, v0
	s_delay_alu instid0(VALU_DEP_1)
	v_add_nc_u64_e32 v[2:3], s[6:7], v[0:1]
	s_cbranch_scc1 .LBB126_647
; %bb.633:
	s_and_b32 s1, 0xffff, s0
	s_delay_alu instid0(SALU_CYCLE_1)
	s_cmp_gt_i32 s1, 25
	s_cbranch_scc0 .LBB126_656
; %bb.634:
	s_cmp_gt_i32 s1, 28
	s_cbranch_scc0 .LBB126_658
; %bb.635:
	;; [unrolled: 3-line block ×4, first 2 shown]
	s_cmp_eq_u32 s1, 46
	s_cbranch_scc0 .LBB126_678
; %bb.638:
	global_load_b32 v0, v[2:3], off
	s_mov_b32 s31, -1
	s_mov_b32 s73, 0
	s_wait_loadcnt 0x0
	v_lshlrev_b32_e32 v0, 16, v0
	s_delay_alu instid0(VALU_DEP_1) | instskip(NEXT) | instid1(VALU_DEP_1)
	v_trunc_f32_e32 v0, v0
	v_mul_f32_e64 v1, 0x2f800000, |v0|
	s_delay_alu instid0(VALU_DEP_1) | instskip(NEXT) | instid1(VALU_DEP_1)
	v_floor_f32_e32 v1, v1
	v_fma_f32 v4, 0xcf800000, v1, |v0|
	v_ashrrev_i32_e32 v0, 31, v0
	v_cvt_u32_f32_e32 v5, v1
	s_delay_alu instid0(VALU_DEP_3) | instskip(NEXT) | instid1(VALU_DEP_2)
	v_cvt_u32_f32_e32 v4, v4
	v_dual_mov_b32 v1, v0 :: v_dual_bitop2_b32 v5, v5, v0 bitop3:0x14
	s_delay_alu instid0(VALU_DEP_2) | instskip(NEXT) | instid1(VALU_DEP_1)
	v_xor_b32_e32 v4, v4, v0
	v_sub_nc_u64_e32 v[0:1], v[4:5], v[0:1]
	s_branch .LBB126_680
.LBB126_639:
	s_or_b32 exec_lo, exec_lo, s72
	s_mov_b32 s1, 0
	s_and_saveexec_b32 s31, s71
	s_cbranch_execnz .LBB126_2140
.LBB126_640:
	s_or_b32 exec_lo, exec_lo, s31
	s_and_saveexec_b32 s31, s73
	s_delay_alu instid0(SALU_CYCLE_1)
	s_xor_b32 s31, exec_lo, s31
	s_cbranch_execz .LBB126_2141
.LBB126_641:
	s_wait_loadcnt 0x0
	global_load_u8 v0, v[2:3], off
	s_mov_b32 s44, 0
	s_or_b32 s34, s34, exec_lo
	v_mov_b32_e32 v1, s44
	s_wait_loadcnt 0x0
	v_cmp_ne_u16_e32 vcc_lo, 0, v0
	v_cndmask_b32_e64 v0, 0, 1, vcc_lo
	s_wait_xcnt 0x0
	s_or_b32 exec_lo, exec_lo, s31
	s_and_saveexec_b32 s31, s35
	s_cbranch_execz .LBB126_2187
	s_branch .LBB126_2142
.LBB126_642:                            ;   in Loop: Header=BB126_643 Depth=1
	s_or_b32 exec_lo, exec_lo, s0
	s_delay_alu instid0(VALU_DEP_1)
	v_mul_u64_e32 v[12:13], s[48:49], v[10:11]
	s_load_b64 s[48:49], s[46:47], 0x0
	s_add_co_i32 s31, s31, -1
	s_add_nc_u64 s[44:45], s[44:45], -8
	s_cmp_eq_u32 s31, 0
	s_wait_xcnt 0x0
	s_add_nc_u64 s[46:47], s[46:47], -8
	s_delay_alu instid0(VALU_DEP_1) | instskip(SKIP_1) | instid1(VALU_DEP_1)
	v_sub_nc_u64_e32 v[8:9], v[8:9], v[12:13]
	s_wait_kmcnt 0x0
	v_mad_nc_u64_u32 v[0:1], v8, s48, v[0:1]
	s_delay_alu instid0(VALU_DEP_1) | instskip(NEXT) | instid1(VALU_DEP_1)
	v_mad_u32 v1, v9, s48, v1
	v_mad_u32 v1, v8, s49, v1
	v_mov_b64_e32 v[8:9], v[10:11]
	s_cbranch_scc1 .LBB126_662
.LBB126_643:                            ; =>This Inner Loop Header: Depth=1
	s_load_b64 s[48:49], s[44:45], 0x0
                                        ; implicit-def: $vgpr10_vgpr11
	s_mov_b32 s0, exec_lo
	s_wait_kmcnt 0x0
	s_delay_alu instid0(VALU_DEP_1) | instskip(NEXT) | instid1(VALU_DEP_1)
	v_or_b32_e32 v3, s49, v9
	v_cmpx_ne_u64_e32 0, v[2:3]
	s_xor_b32 s65, exec_lo, s0
	s_cbranch_execz .LBB126_645
; %bb.644:                              ;   in Loop: Header=BB126_643 Depth=1
	s_ashr_i32 s50, s49, 31
	v_dual_mov_b32 v15, v2 :: v_dual_ashrrev_i32 v10, 31, v9
	s_mov_b32 s51, s50
	v_mov_b32_e32 v25, v2
	s_add_nc_u64 s[52:53], s[48:49], s[50:51]
	s_delay_alu instid0(VALU_DEP_2) | instskip(SKIP_1) | instid1(SALU_CYCLE_1)
	v_mov_b32_e32 v11, v10
	s_xor_b64 s[52:53], s[52:53], s[50:51]
	s_cvt_f32_u32 s0, s52
	s_cvt_f32_u32 s51, s53
	s_sub_nc_u64 s[76:77], 0, s[52:53]
	v_add_nc_u64_e32 v[12:13], v[8:9], v[10:11]
	v_mov_b32_e32 v19, v2
	s_fmamk_f32 s0, s51, 0x4f800000, s0
	s_delay_alu instid0(SALU_CYCLE_3) | instskip(NEXT) | instid1(VALU_DEP_2)
	v_s_rcp_f32 s0, s0
	v_xor_b32_e32 v14, v12, v10
	s_delay_alu instid0(VALU_DEP_3) | instskip(NEXT) | instid1(TRANS32_DEP_1)
	v_xor_b32_e32 v18, v13, v10
	s_mul_f32 s0, s0, 0x5f7ffffc
	s_delay_alu instid0(SALU_CYCLE_3) | instskip(NEXT) | instid1(SALU_CYCLE_3)
	s_mul_f32 s51, s0, 0x2f800000
	s_trunc_f32 s51, s51
	s_delay_alu instid0(SALU_CYCLE_3) | instskip(SKIP_1) | instid1(SALU_CYCLE_2)
	s_fmamk_f32 s0, s51, 0xcf800000, s0
	s_cvt_u32_f32 s75, s51
	s_cvt_u32_f32 s74, s0
	s_delay_alu instid0(SALU_CYCLE_3) | instskip(NEXT) | instid1(SALU_CYCLE_1)
	s_mul_u64 s[78:79], s[76:77], s[74:75]
	s_mul_hi_u32 s81, s74, s79
	s_mul_i32 s80, s74, s79
	s_mul_hi_u32 s0, s74, s78
	s_mul_i32 s66, s75, s78
	s_add_nc_u64 s[80:81], s[0:1], s[80:81]
	s_mul_hi_u32 s51, s75, s78
	s_mul_hi_u32 s82, s75, s79
	s_add_co_u32 s0, s80, s66
	s_add_co_ci_u32 s0, s81, s51
	s_mul_i32 s78, s75, s79
	s_add_co_ci_u32 s79, s82, 0
	s_delay_alu instid0(SALU_CYCLE_1) | instskip(NEXT) | instid1(SALU_CYCLE_1)
	s_add_nc_u64 s[78:79], s[0:1], s[78:79]
	s_add_co_u32 s74, s74, s78
	s_cselect_b32 s0, -1, 0
	s_delay_alu instid0(SALU_CYCLE_1) | instskip(SKIP_1) | instid1(SALU_CYCLE_1)
	s_cmp_lg_u32 s0, 0
	s_add_co_ci_u32 s75, s75, s79
	s_mul_u64 s[76:77], s[76:77], s[74:75]
	s_delay_alu instid0(SALU_CYCLE_1)
	s_mul_hi_u32 s79, s74, s77
	s_mul_i32 s78, s74, s77
	s_mul_hi_u32 s0, s74, s76
	s_mul_i32 s66, s75, s76
	s_add_nc_u64 s[78:79], s[0:1], s[78:79]
	s_mul_hi_u32 s51, s75, s76
	s_mul_hi_u32 s80, s75, s77
	s_add_co_u32 s0, s78, s66
	s_add_co_ci_u32 s0, s79, s51
	s_mul_i32 s76, s75, s77
	s_add_co_ci_u32 s77, s80, 0
	s_delay_alu instid0(SALU_CYCLE_1) | instskip(NEXT) | instid1(SALU_CYCLE_1)
	s_add_nc_u64 s[76:77], s[0:1], s[76:77]
	s_add_co_u32 s66, s74, s76
	s_cselect_b32 s0, -1, 0
	v_mul_hi_u32 v24, v14, s66
	s_cmp_lg_u32 s0, 0
	s_add_co_ci_u32 s0, s75, s77
	s_and_b64 s[74:75], s[66:67], s[34:35]
	v_mul_u64_e32 v[16:17], s[0:1], v[14:15]
	v_mul_u64_e32 v[12:13], s[74:75], v[18:19]
	;; [unrolled: 1-line block ×3, first 2 shown]
	s_delay_alu instid0(VALU_DEP_3) | instskip(NEXT) | instid1(VALU_DEP_1)
	v_add_nc_u64_e32 v[16:17], v[24:25], v[16:17]
	v_add_co_u32 v3, vcc_lo, v16, v12
	s_delay_alu instid0(VALU_DEP_2) | instskip(NEXT) | instid1(VALU_DEP_4)
	v_add_co_ci_u32_e32 v24, vcc_lo, v17, v13, vcc_lo
	v_add_co_ci_u32_e32 v21, vcc_lo, 0, v21, vcc_lo
	s_delay_alu instid0(VALU_DEP_1) | instskip(NEXT) | instid1(VALU_DEP_1)
	v_add_nc_u64_e32 v[12:13], v[24:25], v[20:21]
	v_mul_u64_e32 v[16:17], s[52:53], v[12:13]
	s_delay_alu instid0(VALU_DEP_1) | instskip(NEXT) | instid1(VALU_DEP_2)
	v_sub_nc_u32_e32 v3, v18, v17
	v_sub_co_u32 v11, vcc_lo, v14, v16
	s_delay_alu instid0(VALU_DEP_1) | instskip(NEXT) | instid1(VALU_DEP_3)
	v_sub_co_ci_u32_e64 v18, null, v18, v17, vcc_lo
	v_subrev_co_ci_u32_e64 v3, null, s53, v3, vcc_lo
	s_delay_alu instid0(VALU_DEP_3) | instskip(SKIP_1) | instid1(VALU_DEP_3)
	v_sub_co_u32 v14, s0, v11, s52
	v_add_nc_u64_e32 v[16:17], 1, v[12:13]
	v_subrev_co_ci_u32_e64 v3, null, 0, v3, s0
	s_delay_alu instid0(VALU_DEP_3) | instskip(SKIP_1) | instid1(VALU_DEP_3)
	v_cmp_le_u32_e32 vcc_lo, s52, v14
	v_cndmask_b32_e64 v14, 0, -1, vcc_lo
	v_cmp_le_u32_e32 vcc_lo, s53, v3
	v_cndmask_b32_e64 v15, 0, -1, vcc_lo
	;; [unrolled: 2-line block ×4, first 2 shown]
	v_cmp_eq_u32_e32 vcc_lo, s53, v3
	v_cndmask_b32_e32 v3, v15, v14, vcc_lo
	v_cmp_eq_u32_e32 vcc_lo, s53, v18
	v_add_nc_u64_e32 v[14:15], 2, v[12:13]
	v_cndmask_b32_e32 v11, v19, v11, vcc_lo
	s_delay_alu instid0(VALU_DEP_4) | instskip(NEXT) | instid1(VALU_DEP_2)
	v_cmp_ne_u32_e32 vcc_lo, 0, v3
	v_cmp_ne_u32_e64 s0, 0, v11
	s_delay_alu instid0(VALU_DEP_4) | instskip(NEXT) | instid1(VALU_DEP_1)
	v_dual_cndmask_b32 v3, v17, v15, vcc_lo :: v_dual_cndmask_b32 v11, v16, v14, vcc_lo
	v_dual_cndmask_b32 v3, v13, v3, s0 :: v_dual_bitop2_b32 v10, s50, v10 bitop3:0x14
	s_delay_alu instid0(VALU_DEP_1) | instskip(NEXT) | instid1(VALU_DEP_2)
	v_dual_cndmask_b32 v12, v12, v11, s0 :: v_dual_mov_b32 v11, v10
	v_xor_b32_e32 v13, v3, v10
	s_delay_alu instid0(VALU_DEP_2) | instskip(NEXT) | instid1(VALU_DEP_1)
	v_xor_b32_e32 v12, v12, v10
	v_sub_nc_u64_e32 v[10:11], v[12:13], v[10:11]
.LBB126_645:                            ;   in Loop: Header=BB126_643 Depth=1
	s_and_not1_saveexec_b32 s0, s65
	s_cbranch_execz .LBB126_642
; %bb.646:                              ;   in Loop: Header=BB126_643 Depth=1
	v_cvt_f32_u32_e32 v3, s48
	s_sub_co_i32 s50, 0, s48
	s_delay_alu instid0(VALU_DEP_1) | instskip(SKIP_1) | instid1(TRANS32_DEP_1)
	v_rcp_iflag_f32_e32 v3, v3
	v_nop
	v_mul_f32_e32 v3, 0x4f7ffffe, v3
	s_delay_alu instid0(VALU_DEP_1) | instskip(NEXT) | instid1(VALU_DEP_1)
	v_cvt_u32_f32_e32 v3, v3
	v_mul_lo_u32 v10, s50, v3
	s_delay_alu instid0(VALU_DEP_1) | instskip(NEXT) | instid1(VALU_DEP_1)
	v_mul_hi_u32 v10, v3, v10
	v_add_nc_u32_e32 v3, v3, v10
	s_delay_alu instid0(VALU_DEP_1) | instskip(NEXT) | instid1(VALU_DEP_1)
	v_mul_hi_u32 v3, v8, v3
	v_mul_lo_u32 v10, v3, s48
	s_delay_alu instid0(VALU_DEP_1) | instskip(NEXT) | instid1(VALU_DEP_1)
	v_dual_add_nc_u32 v11, 1, v3 :: v_dual_sub_nc_u32 v10, v8, v10
	v_subrev_nc_u32_e32 v12, s48, v10
	v_cmp_le_u32_e32 vcc_lo, s48, v10
	s_delay_alu instid0(VALU_DEP_2) | instskip(NEXT) | instid1(VALU_DEP_1)
	v_dual_cndmask_b32 v10, v10, v12 :: v_dual_cndmask_b32 v3, v3, v11
	v_cmp_le_u32_e32 vcc_lo, s48, v10
	s_delay_alu instid0(VALU_DEP_2) | instskip(NEXT) | instid1(VALU_DEP_1)
	v_add_nc_u32_e32 v11, 1, v3
	v_dual_cndmask_b32 v10, v3, v11 :: v_dual_mov_b32 v11, v2
	s_branch .LBB126_642
.LBB126_647:
	s_mov_b32 s31, 0
	s_mov_b32 s73, s71
                                        ; implicit-def: $vgpr0_vgpr1
	s_cbranch_execnz .LBB126_742
.LBB126_648:
	s_and_not1_b32 vcc_lo, exec_lo, s31
	s_cbranch_vccnz .LBB126_790
.LBB126_649:
	s_wait_xcnt 0x0
	v_mul_lo_u32 v2, v22, s18
	s_and_b32 s0, s33, 0xff
	s_delay_alu instid0(SALU_CYCLE_1) | instskip(NEXT) | instid1(VALU_DEP_1)
	s_cmp_lt_i32 s0, 11
	v_ashrrev_i32_e32 v3, 31, v2
	s_delay_alu instid0(VALU_DEP_1)
	v_add_nc_u64_e32 v[4:5], s[8:9], v[2:3]
	s_cbranch_scc1 .LBB126_657
; %bb.650:
	s_and_b32 s1, 0xffff, s0
	s_delay_alu instid0(SALU_CYCLE_1)
	s_cmp_gt_i32 s1, 25
	s_cbranch_scc0 .LBB126_659
; %bb.651:
	s_cmp_gt_i32 s1, 28
	s_cbranch_scc0 .LBB126_661
; %bb.652:
	;; [unrolled: 3-line block ×4, first 2 shown]
	s_cmp_eq_u32 s1, 46
	s_mov_b32 s34, 0
	s_cbranch_scc0 .LBB126_792
; %bb.655:
	global_load_b32 v2, v[4:5], off
	s_mov_b32 s31, -1
	s_mov_b32 s75, 0
	s_wait_loadcnt 0x0
	v_lshlrev_b32_e32 v2, 16, v2
	s_delay_alu instid0(VALU_DEP_1) | instskip(NEXT) | instid1(VALU_DEP_1)
	v_trunc_f32_e32 v2, v2
	v_mul_f32_e64 v3, 0x2f800000, |v2|
	s_delay_alu instid0(VALU_DEP_1) | instskip(NEXT) | instid1(VALU_DEP_1)
	v_floor_f32_e32 v3, v3
	v_fma_f32 v6, 0xcf800000, v3, |v2|
	v_ashrrev_i32_e32 v2, 31, v2
	v_cvt_u32_f32_e32 v7, v3
	s_delay_alu instid0(VALU_DEP_3) | instskip(NEXT) | instid1(VALU_DEP_2)
	v_cvt_u32_f32_e32 v6, v6
	v_dual_mov_b32 v3, v2 :: v_dual_bitop2_b32 v7, v7, v2 bitop3:0x14
	s_delay_alu instid0(VALU_DEP_2) | instskip(NEXT) | instid1(VALU_DEP_1)
	v_xor_b32_e32 v6, v6, v2
	v_sub_nc_u64_e32 v[2:3], v[6:7], v[2:3]
	s_branch .LBB126_794
.LBB126_656:
	s_mov_b32 s34, -1
	s_mov_b32 s31, 0
	s_mov_b32 s73, s71
                                        ; implicit-def: $vgpr0_vgpr1
	s_branch .LBB126_708
.LBB126_657:
	s_mov_b32 s1, -1
	s_mov_b32 s31, 0
	s_mov_b32 s75, s70
                                        ; implicit-def: $vgpr2_vgpr3
	s_branch .LBB126_855
.LBB126_658:
	s_mov_b32 s34, -1
	s_mov_b32 s31, 0
	s_mov_b32 s73, s71
                                        ; implicit-def: $vgpr0_vgpr1
	s_branch .LBB126_691
.LBB126_659:
	s_mov_b32 s34, -1
	s_mov_b32 s31, 0
	s_mov_b32 s75, s70
                                        ; implicit-def: $vgpr2_vgpr3
	s_branch .LBB126_821
.LBB126_660:
	s_mov_b32 s34, -1
	s_mov_b32 s31, 0
	s_mov_b32 s73, s71
                                        ; implicit-def: $vgpr0_vgpr1
	s_branch .LBB126_686
.LBB126_661:
	s_mov_b32 s34, -1
	s_mov_b32 s31, 0
	s_mov_b32 s75, s70
                                        ; implicit-def: $vgpr2_vgpr3
	s_branch .LBB126_804
.LBB126_662:
	s_mov_b32 s35, -1
	s_mov_b32 s31, 0
	s_mov_b32 s0, 0
	s_mov_b32 s1, exec_lo
	v_cmpx_gt_i64_e64 v[6:7], v[4:5]
	s_cbranch_execz .LBB126_670
; %bb.663:
	s_delay_alu instid0(VALU_DEP_2) | instskip(SKIP_1) | instid1(VALU_DEP_1)
	v_lshlrev_b64_e32 v[0:1], 3, v[0:1]
	s_xor_b32 s35, s56, -1
                                        ; implicit-def: $sgpr34
                                        ; implicit-def: $sgpr45
                                        ; implicit-def: $sgpr44
	v_lshl_add_u64 v[2:3], v[4:5], 3, v[0:1]
	v_add_nc_u64_e32 v[4:5], s[24:25], v[0:1]
	s_delay_alu instid0(VALU_DEP_2) | instskip(NEXT) | instid1(VALU_DEP_1)
	v_add_nc_u64_e32 v[2:3], s[24:25], v[2:3]
	v_add_nc_u64_e32 v[0:1], 8, v[2:3]
	s_delay_alu instid0(VALU_DEP_3)
	v_lshl_add_u64 v[2:3], v[6:7], 3, v[4:5]
	s_branch .LBB126_665
.LBB126_664:                            ;   in Loop: Header=BB126_665 Depth=1
	s_or_b32 exec_lo, exec_lo, s46
	s_delay_alu instid0(SALU_CYCLE_1) | instskip(NEXT) | instid1(SALU_CYCLE_1)
	s_and_b32 s46, exec_lo, s45
	s_or_b32 s0, s46, s0
	s_and_not1_b32 s34, s34, exec_lo
	s_and_b32 s46, s44, exec_lo
	s_delay_alu instid0(SALU_CYCLE_1)
	s_or_b32 s34, s34, s46
	s_and_not1_b32 exec_lo, exec_lo, s0
	s_cbranch_execz .LBB126_669
.LBB126_665:                            ; =>This Inner Loop Header: Depth=1
	s_or_b32 s44, s44, exec_lo
	s_or_b32 s45, s45, exec_lo
	s_mov_b32 s46, exec_lo
	s_delay_alu instid0(VALU_DEP_2)
	v_cmpx_lt_u64_e64 v[0:1], v[2:3]
	s_cbranch_execz .LBB126_664
; %bb.666:                              ;   in Loop: Header=BB126_665 Depth=1
	global_load_b128 v[4:7], v[0:1], off offset:-8
	s_wait_xcnt 0x0
	v_add_nc_u64_e32 v[0:1], 8, v[0:1]
	s_and_not1_b32 s45, s45, exec_lo
	s_and_not1_b32 s44, s44, exec_lo
	s_wait_loadcnt 0x0
	v_cmp_ge_i64_e32 vcc_lo, v[4:5], v[6:7]
	s_or_b32 s47, s35, vcc_lo
	s_delay_alu instid0(SALU_CYCLE_1) | instskip(NEXT) | instid1(SALU_CYCLE_1)
	s_and_b32 s47, s47, exec_lo
	s_or_b32 s45, s45, s47
	s_branch .LBB126_664
.LBB126_667:
	s_mov_b32 s34, -1
	s_mov_b32 s31, 0
	s_mov_b32 s73, s71
	s_branch .LBB126_679
.LBB126_668:
	s_mov_b32 s34, -1
	s_mov_b32 s31, 0
	s_mov_b32 s75, s70
                                        ; implicit-def: $vgpr2_vgpr3
	s_branch .LBB126_799
.LBB126_669:
	s_or_b32 exec_lo, exec_lo, s0
	s_delay_alu instid0(SALU_CYCLE_1)
	s_mov_b32 s0, exec_lo
	s_or_not1_b32 s35, s34, exec_lo
.LBB126_670:
	s_or_b32 exec_lo, exec_lo, s1
	s_mov_b32 s34, 0
	s_and_saveexec_b32 s1, s35
	s_cbranch_execz .LBB126_1917
; %bb.671:
	v_mul_lo_u32 v0, v22, s16
	s_and_b32 s34, s26, 0xff
	s_delay_alu instid0(SALU_CYCLE_1) | instskip(NEXT) | instid1(VALU_DEP_1)
	s_cmp_lt_i32 s34, 11
	v_ashrrev_i32_e32 v1, 31, v0
	s_delay_alu instid0(VALU_DEP_1)
	v_add_nc_u64_e32 v[0:1], s[4:5], v[0:1]
	s_cbranch_scc1 .LBB126_791
; %bb.672:
	s_and_b32 s35, 0xffff, s34
	s_delay_alu instid0(SALU_CYCLE_1)
	s_cmp_gt_i32 s35, 25
	s_cbranch_scc0 .LBB126_918
; %bb.673:
	s_cmp_gt_i32 s35, 28
	s_cbranch_scc0 .LBB126_1045
; %bb.674:
	;; [unrolled: 3-line block ×4, first 2 shown]
	s_mov_b32 s45, 0
	s_mov_b32 s31, -1
	s_cmp_eq_u32 s35, 46
	s_mov_b32 s44, 0
	s_cbranch_scc0 .LBB126_1835
; %bb.677:
	v_mov_b32_e32 v2, 0
	s_mov_b32 s44, -1
	s_mov_b32 s31, 0
	global_store_b32 v[0:1], v2, off
	s_branch .LBB126_1835
.LBB126_678:
	s_mov_b32 s73, -1
	s_mov_b32 s31, 0
.LBB126_679:
                                        ; implicit-def: $vgpr0_vgpr1
.LBB126_680:
	s_and_b32 vcc_lo, exec_lo, s34
	s_cbranch_vccz .LBB126_685
; %bb.681:
	s_cmp_eq_u32 s1, 44
	s_cbranch_scc0 .LBB126_684
; %bb.682:
	global_load_u8 v6, v[2:3], off
	s_mov_b32 s73, 0
	s_mov_b32 s31, -1
	s_wait_loadcnt 0x0
	v_cmp_ne_u32_e32 vcc_lo, 0, v6
	v_lshlrev_b32_e32 v0, 23, v6
	s_delay_alu instid0(VALU_DEP_1) | instskip(NEXT) | instid1(VALU_DEP_1)
	v_trunc_f32_e32 v0, v0
	v_mul_f32_e64 v1, 0x2f800000, |v0|
	s_delay_alu instid0(VALU_DEP_1) | instskip(NEXT) | instid1(VALU_DEP_1)
	v_floor_f32_e32 v1, v1
	v_fma_f32 v4, 0xcf800000, v1, |v0|
	v_ashrrev_i32_e32 v0, 31, v0
	v_cvt_u32_f32_e32 v5, v1
	s_delay_alu instid0(VALU_DEP_3) | instskip(NEXT) | instid1(VALU_DEP_2)
	v_cvt_u32_f32_e32 v4, v4
	v_dual_mov_b32 v1, v0 :: v_dual_bitop2_b32 v5, v5, v0 bitop3:0x14
	s_delay_alu instid0(VALU_DEP_2) | instskip(NEXT) | instid1(VALU_DEP_1)
	v_xor_b32_e32 v4, v4, v0
	v_sub_nc_u64_e32 v[0:1], v[4:5], v[0:1]
	s_delay_alu instid0(VALU_DEP_1)
	v_dual_cndmask_b32 v1, 0, v1 :: v_dual_cndmask_b32 v0, 0, v0
	s_branch .LBB126_685
.LBB126_683:
	s_mov_b32 s34, -1
	s_mov_b32 s31, 0
	s_mov_b32 s75, s70
	s_branch .LBB126_793
.LBB126_684:
	s_mov_b32 s73, -1
                                        ; implicit-def: $vgpr0_vgpr1
.LBB126_685:
	s_mov_b32 s34, 0
.LBB126_686:
	s_delay_alu instid0(SALU_CYCLE_1)
	s_and_b32 vcc_lo, exec_lo, s34
	s_cbranch_vccz .LBB126_690
; %bb.687:
	s_cmp_eq_u32 s1, 29
	s_cbranch_scc0 .LBB126_689
; %bb.688:
	global_load_b64 v[0:1], v[2:3], off
	s_mov_b32 s31, -1
	s_mov_b32 s73, 0
	s_branch .LBB126_690
.LBB126_689:
	s_mov_b32 s73, -1
                                        ; implicit-def: $vgpr0_vgpr1
.LBB126_690:
	s_mov_b32 s34, 0
.LBB126_691:
	s_delay_alu instid0(SALU_CYCLE_1)
	s_and_b32 vcc_lo, exec_lo, s34
	s_cbranch_vccz .LBB126_707
; %bb.692:
	s_cmp_lt_i32 s1, 27
	s_cbranch_scc1 .LBB126_695
; %bb.693:
	s_cmp_gt_i32 s1, 27
	s_cbranch_scc0 .LBB126_696
; %bb.694:
	s_wait_loadcnt 0x0
	global_load_b32 v0, v[2:3], off
	v_mov_b32_e32 v1, 0
	s_mov_b32 s31, 0
	s_branch .LBB126_697
.LBB126_695:
	s_mov_b32 s31, -1
                                        ; implicit-def: $vgpr0_vgpr1
	s_branch .LBB126_700
.LBB126_696:
	s_mov_b32 s31, -1
                                        ; implicit-def: $vgpr0_vgpr1
.LBB126_697:
	s_delay_alu instid0(SALU_CYCLE_1)
	s_and_not1_b32 vcc_lo, exec_lo, s31
	s_cbranch_vccnz .LBB126_699
; %bb.698:
	s_wait_loadcnt 0x0
	global_load_u16 v0, v[2:3], off
	s_mov_b32 s31, 0
	s_delay_alu instid0(SALU_CYCLE_1)
	v_mov_b32_e32 v1, s31
	s_wait_loadcnt 0x0
	v_and_b32_e32 v0, 0xffff, v0
.LBB126_699:
	s_mov_b32 s31, 0
.LBB126_700:
	s_delay_alu instid0(SALU_CYCLE_1)
	s_and_not1_b32 vcc_lo, exec_lo, s31
	s_cbranch_vccnz .LBB126_706
; %bb.701:
	global_load_u8 v4, v[2:3], off
	s_mov_b32 s34, 0
	s_mov_b32 s31, exec_lo
	s_wait_loadcnt 0x0
	v_cmpx_lt_i16_e32 0x7f, v4
	s_xor_b32 s31, exec_lo, s31
	s_cbranch_execz .LBB126_718
; %bb.702:
	v_cmp_ne_u16_e32 vcc_lo, 0x80, v4
	s_and_b32 s34, vcc_lo, exec_lo
	s_and_not1_saveexec_b32 s31, s31
	s_cbranch_execnz .LBB126_719
.LBB126_703:
	s_or_b32 exec_lo, exec_lo, s31
	v_mov_b64_e32 v[0:1], 0
	s_and_saveexec_b32 s31, s34
	s_cbranch_execz .LBB126_705
.LBB126_704:
	v_and_b32_e32 v0, 0xffff, v4
	s_delay_alu instid0(VALU_DEP_1) | instskip(SKIP_1) | instid1(VALU_DEP_2)
	v_and_b32_e32 v1, 7, v0
	v_bfe_u32 v7, v0, 3, 4
	v_clz_i32_u32_e32 v5, v1
	s_delay_alu instid0(VALU_DEP_2) | instskip(NEXT) | instid1(VALU_DEP_2)
	v_cmp_eq_u32_e32 vcc_lo, 0, v7
	v_min_u32_e32 v5, 32, v5
	s_delay_alu instid0(VALU_DEP_1) | instskip(NEXT) | instid1(VALU_DEP_1)
	v_subrev_nc_u32_e32 v6, 28, v5
	v_dual_lshlrev_b32 v0, v6, v0 :: v_dual_sub_nc_u32 v5, 29, v5
	s_delay_alu instid0(VALU_DEP_1) | instskip(NEXT) | instid1(VALU_DEP_2)
	v_and_b32_e32 v0, 7, v0
	v_dual_cndmask_b32 v5, v7, v5 :: v_dual_lshlrev_b32 v4, 24, v4
	s_delay_alu instid0(VALU_DEP_2) | instskip(NEXT) | instid1(VALU_DEP_2)
	v_cndmask_b32_e32 v0, v1, v0, vcc_lo
	v_and_b32_e32 v1, 0x80000000, v4
	s_delay_alu instid0(VALU_DEP_3) | instskip(NEXT) | instid1(VALU_DEP_3)
	v_lshl_add_u32 v4, v5, 23, 0x3b800000
	v_lshlrev_b32_e32 v0, 20, v0
	s_delay_alu instid0(VALU_DEP_1) | instskip(NEXT) | instid1(VALU_DEP_1)
	v_or3_b32 v0, v1, v4, v0
	v_trunc_f32_e32 v0, v0
	s_delay_alu instid0(VALU_DEP_1) | instskip(NEXT) | instid1(VALU_DEP_1)
	v_mul_f32_e64 v1, 0x2f800000, |v0|
	v_floor_f32_e32 v1, v1
	s_delay_alu instid0(VALU_DEP_1) | instskip(SKIP_2) | instid1(VALU_DEP_3)
	v_fma_f32 v4, 0xcf800000, v1, |v0|
	v_ashrrev_i32_e32 v0, 31, v0
	v_cvt_u32_f32_e32 v5, v1
	v_cvt_u32_f32_e32 v4, v4
	s_delay_alu instid0(VALU_DEP_2) | instskip(NEXT) | instid1(VALU_DEP_2)
	v_dual_mov_b32 v1, v0 :: v_dual_bitop2_b32 v5, v5, v0 bitop3:0x14
	v_xor_b32_e32 v4, v4, v0
	s_delay_alu instid0(VALU_DEP_1)
	v_sub_nc_u64_e32 v[0:1], v[4:5], v[0:1]
.LBB126_705:
	s_or_b32 exec_lo, exec_lo, s31
.LBB126_706:
	s_mov_b32 s31, -1
.LBB126_707:
	s_mov_b32 s34, 0
.LBB126_708:
	s_delay_alu instid0(SALU_CYCLE_1)
	s_and_b32 vcc_lo, exec_lo, s34
	s_cbranch_vccz .LBB126_741
; %bb.709:
	s_cmp_gt_i32 s1, 22
	s_cbranch_scc0 .LBB126_717
; %bb.710:
	s_cmp_lt_i32 s1, 24
	s_cbranch_scc1 .LBB126_720
; %bb.711:
	s_cmp_gt_i32 s1, 24
	s_cbranch_scc0 .LBB126_721
; %bb.712:
	global_load_u8 v4, v[2:3], off
	s_mov_b32 s34, 0
	s_mov_b32 s31, exec_lo
	s_wait_loadcnt 0x0
	v_cmpx_lt_i16_e32 0x7f, v4
	s_xor_b32 s31, exec_lo, s31
	s_cbranch_execz .LBB126_733
; %bb.713:
	v_cmp_ne_u16_e32 vcc_lo, 0x80, v4
	s_and_b32 s34, vcc_lo, exec_lo
	s_and_not1_saveexec_b32 s31, s31
	s_cbranch_execnz .LBB126_734
.LBB126_714:
	s_or_b32 exec_lo, exec_lo, s31
	v_mov_b64_e32 v[0:1], 0
	s_and_saveexec_b32 s31, s34
	s_cbranch_execz .LBB126_716
.LBB126_715:
	v_and_b32_e32 v0, 0xffff, v4
	s_delay_alu instid0(VALU_DEP_1) | instskip(SKIP_1) | instid1(VALU_DEP_2)
	v_and_b32_e32 v1, 3, v0
	v_bfe_u32 v7, v0, 2, 5
	v_clz_i32_u32_e32 v5, v1
	s_delay_alu instid0(VALU_DEP_2) | instskip(NEXT) | instid1(VALU_DEP_2)
	v_cmp_eq_u32_e32 vcc_lo, 0, v7
	v_min_u32_e32 v5, 32, v5
	s_delay_alu instid0(VALU_DEP_1) | instskip(NEXT) | instid1(VALU_DEP_1)
	v_subrev_nc_u32_e32 v6, 29, v5
	v_dual_lshlrev_b32 v0, v6, v0 :: v_dual_sub_nc_u32 v5, 30, v5
	s_delay_alu instid0(VALU_DEP_1) | instskip(NEXT) | instid1(VALU_DEP_2)
	v_and_b32_e32 v0, 3, v0
	v_dual_cndmask_b32 v5, v7, v5 :: v_dual_lshlrev_b32 v4, 24, v4
	s_delay_alu instid0(VALU_DEP_2) | instskip(NEXT) | instid1(VALU_DEP_2)
	v_cndmask_b32_e32 v0, v1, v0, vcc_lo
	v_and_b32_e32 v1, 0x80000000, v4
	s_delay_alu instid0(VALU_DEP_3) | instskip(NEXT) | instid1(VALU_DEP_3)
	v_lshl_add_u32 v4, v5, 23, 0x37800000
	v_lshlrev_b32_e32 v0, 21, v0
	s_delay_alu instid0(VALU_DEP_1) | instskip(NEXT) | instid1(VALU_DEP_1)
	v_or3_b32 v0, v1, v4, v0
	v_trunc_f32_e32 v0, v0
	s_delay_alu instid0(VALU_DEP_1) | instskip(NEXT) | instid1(VALU_DEP_1)
	v_mul_f32_e64 v1, 0x2f800000, |v0|
	v_floor_f32_e32 v1, v1
	s_delay_alu instid0(VALU_DEP_1) | instskip(SKIP_2) | instid1(VALU_DEP_3)
	v_fma_f32 v4, 0xcf800000, v1, |v0|
	v_ashrrev_i32_e32 v0, 31, v0
	v_cvt_u32_f32_e32 v5, v1
	v_cvt_u32_f32_e32 v4, v4
	s_delay_alu instid0(VALU_DEP_2) | instskip(NEXT) | instid1(VALU_DEP_2)
	v_dual_mov_b32 v1, v0 :: v_dual_bitop2_b32 v5, v5, v0 bitop3:0x14
	v_xor_b32_e32 v4, v4, v0
	s_delay_alu instid0(VALU_DEP_1)
	v_sub_nc_u64_e32 v[0:1], v[4:5], v[0:1]
.LBB126_716:
	s_or_b32 exec_lo, exec_lo, s31
	s_mov_b32 s31, 0
	s_branch .LBB126_722
.LBB126_717:
	s_mov_b32 s34, -1
                                        ; implicit-def: $vgpr0_vgpr1
	s_branch .LBB126_728
.LBB126_718:
	s_and_not1_saveexec_b32 s31, s31
	s_cbranch_execz .LBB126_703
.LBB126_719:
	v_cmp_ne_u16_e32 vcc_lo, 0, v4
	s_and_not1_b32 s34, s34, exec_lo
	s_and_b32 s35, vcc_lo, exec_lo
	s_delay_alu instid0(SALU_CYCLE_1)
	s_or_b32 s34, s34, s35
	s_or_b32 exec_lo, exec_lo, s31
	v_mov_b64_e32 v[0:1], 0
	s_and_saveexec_b32 s31, s34
	s_cbranch_execnz .LBB126_704
	s_branch .LBB126_705
.LBB126_720:
	s_mov_b32 s31, -1
                                        ; implicit-def: $vgpr0_vgpr1
	s_branch .LBB126_725
.LBB126_721:
	s_mov_b32 s31, -1
                                        ; implicit-def: $vgpr0_vgpr1
.LBB126_722:
	s_delay_alu instid0(SALU_CYCLE_1)
	s_and_b32 vcc_lo, exec_lo, s31
	s_cbranch_vccz .LBB126_724
; %bb.723:
	s_wait_loadcnt 0x0
	global_load_u8 v0, v[2:3], off
	s_wait_loadcnt 0x0
	v_lshlrev_b32_e32 v0, 24, v0
	s_delay_alu instid0(VALU_DEP_1) | instskip(NEXT) | instid1(VALU_DEP_1)
	v_and_b32_e32 v1, 0x7f000000, v0
	v_clz_i32_u32_e32 v4, v1
	v_cmp_ne_u32_e32 vcc_lo, 0, v1
	v_add_nc_u32_e32 v6, 0x1000000, v1
	s_delay_alu instid0(VALU_DEP_3) | instskip(NEXT) | instid1(VALU_DEP_1)
	v_min_u32_e32 v4, 32, v4
	v_sub_nc_u32_e64 v4, v4, 4 clamp
	s_delay_alu instid0(VALU_DEP_1) | instskip(NEXT) | instid1(VALU_DEP_1)
	v_dual_lshlrev_b32 v5, v4, v1 :: v_dual_lshlrev_b32 v4, 23, v4
	v_lshrrev_b32_e32 v5, 4, v5
	s_delay_alu instid0(VALU_DEP_1) | instskip(NEXT) | instid1(VALU_DEP_1)
	v_dual_sub_nc_u32 v4, v5, v4 :: v_dual_ashrrev_i32 v5, 8, v6
	v_add_nc_u32_e32 v4, 0x3c000000, v4
	s_delay_alu instid0(VALU_DEP_1) | instskip(NEXT) | instid1(VALU_DEP_1)
	v_and_or_b32 v4, 0x7f800000, v5, v4
	v_cndmask_b32_e32 v1, 0, v4, vcc_lo
	s_delay_alu instid0(VALU_DEP_1) | instskip(NEXT) | instid1(VALU_DEP_1)
	v_and_or_b32 v0, 0x80000000, v0, v1
	v_trunc_f32_e32 v0, v0
	s_delay_alu instid0(VALU_DEP_1) | instskip(NEXT) | instid1(VALU_DEP_1)
	v_mul_f32_e64 v1, 0x2f800000, |v0|
	v_floor_f32_e32 v1, v1
	s_delay_alu instid0(VALU_DEP_1) | instskip(SKIP_2) | instid1(VALU_DEP_3)
	v_fma_f32 v4, 0xcf800000, v1, |v0|
	v_ashrrev_i32_e32 v0, 31, v0
	v_cvt_u32_f32_e32 v5, v1
	v_cvt_u32_f32_e32 v4, v4
	s_delay_alu instid0(VALU_DEP_2) | instskip(NEXT) | instid1(VALU_DEP_2)
	v_dual_mov_b32 v1, v0 :: v_dual_bitop2_b32 v5, v5, v0 bitop3:0x14
	v_xor_b32_e32 v4, v4, v0
	s_delay_alu instid0(VALU_DEP_1)
	v_sub_nc_u64_e32 v[0:1], v[4:5], v[0:1]
.LBB126_724:
	s_mov_b32 s31, 0
.LBB126_725:
	s_delay_alu instid0(SALU_CYCLE_1)
	s_and_not1_b32 vcc_lo, exec_lo, s31
	s_cbranch_vccnz .LBB126_727
; %bb.726:
	s_wait_loadcnt 0x0
	global_load_u8 v0, v[2:3], off
	s_wait_loadcnt 0x0
	v_lshlrev_b32_e32 v1, 25, v0
	v_lshlrev_b16 v0, 8, v0
	s_delay_alu instid0(VALU_DEP_1) | instskip(SKIP_1) | instid1(VALU_DEP_2)
	v_and_or_b32 v5, 0x7f00, v0, 0.5
	v_bfe_i32 v0, v0, 0, 16
	v_add_f32_e32 v5, -0.5, v5
	v_lshrrev_b32_e32 v4, 4, v1
	v_cmp_gt_u32_e32 vcc_lo, 0x8000000, v1
	s_delay_alu instid0(VALU_DEP_2) | instskip(NEXT) | instid1(VALU_DEP_1)
	v_or_b32_e32 v4, 0x70000000, v4
	v_mul_f32_e32 v4, 0x7800000, v4
	s_delay_alu instid0(VALU_DEP_1) | instskip(NEXT) | instid1(VALU_DEP_1)
	v_cndmask_b32_e32 v1, v4, v5, vcc_lo
	v_and_or_b32 v0, 0x80000000, v0, v1
	s_delay_alu instid0(VALU_DEP_1) | instskip(NEXT) | instid1(VALU_DEP_1)
	v_trunc_f32_e32 v0, v0
	v_mul_f32_e64 v1, 0x2f800000, |v0|
	s_delay_alu instid0(VALU_DEP_1) | instskip(NEXT) | instid1(VALU_DEP_1)
	v_floor_f32_e32 v1, v1
	v_fma_f32 v4, 0xcf800000, v1, |v0|
	v_ashrrev_i32_e32 v0, 31, v0
	v_cvt_u32_f32_e32 v5, v1
	s_delay_alu instid0(VALU_DEP_3) | instskip(NEXT) | instid1(VALU_DEP_2)
	v_cvt_u32_f32_e32 v4, v4
	v_dual_mov_b32 v1, v0 :: v_dual_bitop2_b32 v5, v5, v0 bitop3:0x14
	s_delay_alu instid0(VALU_DEP_2) | instskip(NEXT) | instid1(VALU_DEP_1)
	v_xor_b32_e32 v4, v4, v0
	v_sub_nc_u64_e32 v[0:1], v[4:5], v[0:1]
.LBB126_727:
	s_mov_b32 s34, 0
	s_mov_b32 s31, -1
.LBB126_728:
	s_and_not1_b32 vcc_lo, exec_lo, s34
	s_cbranch_vccnz .LBB126_741
; %bb.729:
	s_cmp_gt_i32 s1, 14
	s_cbranch_scc0 .LBB126_732
; %bb.730:
	s_cmp_eq_u32 s1, 15
	s_cbranch_scc0 .LBB126_735
; %bb.731:
	s_wait_loadcnt 0x0
	global_load_u16 v0, v[2:3], off
	s_mov_b32 s31, -1
	s_mov_b32 s73, 0
	s_wait_loadcnt 0x0
	v_lshlrev_b32_e32 v0, 16, v0
	s_delay_alu instid0(VALU_DEP_1) | instskip(NEXT) | instid1(VALU_DEP_1)
	v_trunc_f32_e32 v0, v0
	v_mul_f32_e64 v1, 0x2f800000, |v0|
	s_delay_alu instid0(VALU_DEP_1) | instskip(NEXT) | instid1(VALU_DEP_1)
	v_floor_f32_e32 v1, v1
	v_fma_f32 v4, 0xcf800000, v1, |v0|
	v_ashrrev_i32_e32 v0, 31, v0
	v_cvt_u32_f32_e32 v5, v1
	s_delay_alu instid0(VALU_DEP_3) | instskip(NEXT) | instid1(VALU_DEP_2)
	v_cvt_u32_f32_e32 v4, v4
	v_dual_mov_b32 v1, v0 :: v_dual_bitop2_b32 v5, v5, v0 bitop3:0x14
	s_delay_alu instid0(VALU_DEP_2) | instskip(NEXT) | instid1(VALU_DEP_1)
	v_xor_b32_e32 v4, v4, v0
	v_sub_nc_u64_e32 v[0:1], v[4:5], v[0:1]
	s_branch .LBB126_736
.LBB126_732:
	s_mov_b32 s34, -1
                                        ; implicit-def: $vgpr0_vgpr1
	s_branch .LBB126_737
.LBB126_733:
	s_and_not1_saveexec_b32 s31, s31
	s_cbranch_execz .LBB126_714
.LBB126_734:
	v_cmp_ne_u16_e32 vcc_lo, 0, v4
	s_and_not1_b32 s34, s34, exec_lo
	s_and_b32 s35, vcc_lo, exec_lo
	s_delay_alu instid0(SALU_CYCLE_1)
	s_or_b32 s34, s34, s35
	s_or_b32 exec_lo, exec_lo, s31
	v_mov_b64_e32 v[0:1], 0
	s_and_saveexec_b32 s31, s34
	s_cbranch_execnz .LBB126_715
	s_branch .LBB126_716
.LBB126_735:
	s_mov_b32 s73, -1
                                        ; implicit-def: $vgpr0_vgpr1
.LBB126_736:
	s_mov_b32 s34, 0
.LBB126_737:
	s_delay_alu instid0(SALU_CYCLE_1)
	s_and_b32 vcc_lo, exec_lo, s34
	s_cbranch_vccz .LBB126_741
; %bb.738:
	s_cmp_eq_u32 s1, 11
	s_cbranch_scc0 .LBB126_740
; %bb.739:
	s_wait_loadcnt 0x0
	global_load_u8 v0, v[2:3], off
	s_mov_b32 s73, 0
	s_mov_b32 s31, -1
	v_mov_b32_e32 v1, s73
	s_wait_loadcnt 0x0
	v_cmp_ne_u16_e32 vcc_lo, 0, v0
	v_cndmask_b32_e64 v0, 0, 1, vcc_lo
	s_branch .LBB126_741
.LBB126_740:
	s_mov_b32 s73, -1
                                        ; implicit-def: $vgpr0_vgpr1
.LBB126_741:
	s_branch .LBB126_648
.LBB126_742:
	s_and_b32 s0, 0xffff, s0
	s_delay_alu instid0(SALU_CYCLE_1)
	s_cmp_lt_i32 s0, 5
	s_cbranch_scc1 .LBB126_747
; %bb.743:
	s_cmp_lt_i32 s0, 8
	s_cbranch_scc1 .LBB126_748
; %bb.744:
	;; [unrolled: 3-line block ×3, first 2 shown]
	s_cmp_gt_i32 s0, 9
	s_cbranch_scc0 .LBB126_750
; %bb.746:
	s_wait_loadcnt 0x0
	global_load_b64 v[0:1], v[2:3], off
	s_mov_b32 s1, 0
	s_wait_loadcnt 0x0
	v_trunc_f64_e32 v[0:1], v[0:1]
	s_delay_alu instid0(VALU_DEP_1) | instskip(NEXT) | instid1(VALU_DEP_1)
	v_ldexp_f64 v[4:5], v[0:1], 0xffffffe0
	v_floor_f64_e32 v[4:5], v[4:5]
	s_delay_alu instid0(VALU_DEP_1) | instskip(SKIP_1) | instid1(VALU_DEP_2)
	v_fmamk_f64 v[6:7], v[4:5], 0xc1f00000, v[0:1]
	v_cvt_i32_f64_e32 v1, v[4:5]
	v_cvt_u32_f64_e32 v0, v[6:7]
	s_branch .LBB126_751
.LBB126_747:
	s_mov_b32 s1, -1
                                        ; implicit-def: $vgpr0_vgpr1
	s_branch .LBB126_769
.LBB126_748:
	s_mov_b32 s1, -1
                                        ; implicit-def: $vgpr0_vgpr1
	s_branch .LBB126_757
.LBB126_749:
	s_mov_b32 s1, -1
                                        ; implicit-def: $vgpr0_vgpr1
	s_branch .LBB126_754
.LBB126_750:
	s_mov_b32 s1, -1
                                        ; implicit-def: $vgpr0_vgpr1
.LBB126_751:
	s_delay_alu instid0(SALU_CYCLE_1)
	s_and_not1_b32 vcc_lo, exec_lo, s1
	s_cbranch_vccnz .LBB126_753
; %bb.752:
	s_wait_loadcnt 0x0
	global_load_b32 v0, v[2:3], off
	s_wait_loadcnt 0x0
	v_trunc_f32_e32 v0, v0
	s_delay_alu instid0(VALU_DEP_1) | instskip(NEXT) | instid1(VALU_DEP_1)
	v_mul_f32_e64 v1, 0x2f800000, |v0|
	v_floor_f32_e32 v1, v1
	s_delay_alu instid0(VALU_DEP_1) | instskip(SKIP_2) | instid1(VALU_DEP_3)
	v_fma_f32 v4, 0xcf800000, v1, |v0|
	v_ashrrev_i32_e32 v0, 31, v0
	v_cvt_u32_f32_e32 v5, v1
	v_cvt_u32_f32_e32 v4, v4
	s_delay_alu instid0(VALU_DEP_2) | instskip(NEXT) | instid1(VALU_DEP_2)
	v_dual_mov_b32 v1, v0 :: v_dual_bitop2_b32 v5, v5, v0 bitop3:0x14
	v_xor_b32_e32 v4, v4, v0
	s_delay_alu instid0(VALU_DEP_1)
	v_sub_nc_u64_e32 v[0:1], v[4:5], v[0:1]
.LBB126_753:
	s_mov_b32 s1, 0
.LBB126_754:
	s_delay_alu instid0(SALU_CYCLE_1)
	s_and_not1_b32 vcc_lo, exec_lo, s1
	s_cbranch_vccnz .LBB126_756
; %bb.755:
	s_wait_loadcnt 0x0
	global_load_b32 v0, v[2:3], off
	s_wait_loadcnt 0x0
	v_cvt_f32_f16_e32 v0, v0
	s_delay_alu instid0(VALU_DEP_1) | instskip(NEXT) | instid1(VALU_DEP_1)
	v_cvt_i32_f32_e32 v0, v0
	v_ashrrev_i32_e32 v1, 31, v0
.LBB126_756:
	s_mov_b32 s1, 0
.LBB126_757:
	s_delay_alu instid0(SALU_CYCLE_1)
	s_and_not1_b32 vcc_lo, exec_lo, s1
	s_cbranch_vccnz .LBB126_768
; %bb.758:
	s_cmp_lt_i32 s0, 6
	s_cbranch_scc1 .LBB126_761
; %bb.759:
	s_cmp_gt_i32 s0, 6
	s_cbranch_scc0 .LBB126_762
; %bb.760:
	s_wait_loadcnt 0x0
	global_load_b64 v[0:1], v[2:3], off
	s_mov_b32 s1, 0
	s_wait_loadcnt 0x0
	v_trunc_f64_e32 v[0:1], v[0:1]
	s_delay_alu instid0(VALU_DEP_1) | instskip(NEXT) | instid1(VALU_DEP_1)
	v_ldexp_f64 v[4:5], v[0:1], 0xffffffe0
	v_floor_f64_e32 v[4:5], v[4:5]
	s_delay_alu instid0(VALU_DEP_1) | instskip(SKIP_1) | instid1(VALU_DEP_2)
	v_fmamk_f64 v[6:7], v[4:5], 0xc1f00000, v[0:1]
	v_cvt_i32_f64_e32 v1, v[4:5]
	v_cvt_u32_f64_e32 v0, v[6:7]
	s_branch .LBB126_763
.LBB126_761:
	s_mov_b32 s1, -1
                                        ; implicit-def: $vgpr0_vgpr1
	s_branch .LBB126_766
.LBB126_762:
	s_mov_b32 s1, -1
                                        ; implicit-def: $vgpr0_vgpr1
.LBB126_763:
	s_delay_alu instid0(SALU_CYCLE_1)
	s_and_not1_b32 vcc_lo, exec_lo, s1
	s_cbranch_vccnz .LBB126_765
; %bb.764:
	s_wait_loadcnt 0x0
	global_load_b32 v0, v[2:3], off
	s_wait_loadcnt 0x0
	v_trunc_f32_e32 v0, v0
	s_delay_alu instid0(VALU_DEP_1) | instskip(NEXT) | instid1(VALU_DEP_1)
	v_mul_f32_e64 v1, 0x2f800000, |v0|
	v_floor_f32_e32 v1, v1
	s_delay_alu instid0(VALU_DEP_1) | instskip(SKIP_2) | instid1(VALU_DEP_3)
	v_fma_f32 v4, 0xcf800000, v1, |v0|
	v_ashrrev_i32_e32 v0, 31, v0
	v_cvt_u32_f32_e32 v5, v1
	v_cvt_u32_f32_e32 v4, v4
	s_delay_alu instid0(VALU_DEP_2) | instskip(NEXT) | instid1(VALU_DEP_2)
	v_dual_mov_b32 v1, v0 :: v_dual_bitop2_b32 v5, v5, v0 bitop3:0x14
	v_xor_b32_e32 v4, v4, v0
	s_delay_alu instid0(VALU_DEP_1)
	v_sub_nc_u64_e32 v[0:1], v[4:5], v[0:1]
.LBB126_765:
	s_mov_b32 s1, 0
.LBB126_766:
	s_delay_alu instid0(SALU_CYCLE_1)
	s_and_not1_b32 vcc_lo, exec_lo, s1
	s_cbranch_vccnz .LBB126_768
; %bb.767:
	s_wait_loadcnt 0x0
	global_load_u16 v0, v[2:3], off
	s_wait_loadcnt 0x0
	v_cvt_f32_f16_e32 v0, v0
	s_delay_alu instid0(VALU_DEP_1) | instskip(NEXT) | instid1(VALU_DEP_1)
	v_cvt_i32_f32_e32 v0, v0
	v_ashrrev_i32_e32 v1, 31, v0
.LBB126_768:
	s_mov_b32 s1, 0
.LBB126_769:
	s_delay_alu instid0(SALU_CYCLE_1)
	s_and_not1_b32 vcc_lo, exec_lo, s1
	s_cbranch_vccnz .LBB126_789
; %bb.770:
	s_cmp_lt_i32 s0, 2
	s_cbranch_scc1 .LBB126_774
; %bb.771:
	s_cmp_lt_i32 s0, 3
	s_cbranch_scc1 .LBB126_775
; %bb.772:
	s_cmp_gt_i32 s0, 3
	s_cbranch_scc0 .LBB126_776
; %bb.773:
	s_wait_loadcnt 0x0
	global_load_b64 v[0:1], v[2:3], off
	s_mov_b32 s1, 0
	s_branch .LBB126_777
.LBB126_774:
	s_mov_b32 s1, -1
                                        ; implicit-def: $vgpr0_vgpr1
	s_branch .LBB126_783
.LBB126_775:
	s_mov_b32 s1, -1
                                        ; implicit-def: $vgpr0_vgpr1
	s_branch .LBB126_780
.LBB126_776:
	s_mov_b32 s1, -1
                                        ; implicit-def: $vgpr0_vgpr1
.LBB126_777:
	s_delay_alu instid0(SALU_CYCLE_1)
	s_and_not1_b32 vcc_lo, exec_lo, s1
	s_cbranch_vccnz .LBB126_779
; %bb.778:
	s_wait_loadcnt 0x0
	global_load_b32 v0, v[2:3], off
	s_wait_loadcnt 0x0
	v_ashrrev_i32_e32 v1, 31, v0
.LBB126_779:
	s_mov_b32 s1, 0
.LBB126_780:
	s_delay_alu instid0(SALU_CYCLE_1)
	s_and_not1_b32 vcc_lo, exec_lo, s1
	s_cbranch_vccnz .LBB126_782
; %bb.781:
	s_wait_loadcnt 0x0
	global_load_u16 v0, v[2:3], off
	s_wait_loadcnt 0x0
	v_bfe_i32 v0, v0, 0, 16
	s_delay_alu instid0(VALU_DEP_1)
	v_ashrrev_i32_e32 v1, 31, v0
.LBB126_782:
	s_mov_b32 s1, 0
.LBB126_783:
	s_delay_alu instid0(SALU_CYCLE_1)
	s_and_not1_b32 vcc_lo, exec_lo, s1
	s_cbranch_vccnz .LBB126_789
; %bb.784:
	s_cmp_gt_i32 s0, 0
	s_mov_b32 s0, 0
	s_cbranch_scc0 .LBB126_786
; %bb.785:
	s_wait_loadcnt 0x0
	global_load_i8 v0, v[2:3], off
	s_wait_loadcnt 0x0
	v_bfe_i32 v0, v0, 0, 16
	s_delay_alu instid0(VALU_DEP_1)
	v_ashrrev_i32_e32 v1, 31, v0
	s_branch .LBB126_787
.LBB126_786:
	s_mov_b32 s0, -1
                                        ; implicit-def: $vgpr0_vgpr1
.LBB126_787:
	s_delay_alu instid0(SALU_CYCLE_1)
	s_and_not1_b32 vcc_lo, exec_lo, s0
	s_cbranch_vccnz .LBB126_789
; %bb.788:
	s_wait_loadcnt 0x0
	global_load_u8 v0, v[2:3], off
	s_mov_b32 s0, 0
	s_delay_alu instid0(SALU_CYCLE_1)
	v_mov_b32_e32 v1, s0
	s_wait_loadcnt 0x0
	v_and_b32_e32 v0, 0xffff, v0
.LBB126_789:
	s_branch .LBB126_649
.LBB126_790:
	s_mov_b32 s0, 0
	s_mov_b32 s1, s61
	;; [unrolled: 1-line block ×10, first 2 shown]
	s_branch .LBB126_1297
.LBB126_791:
	s_mov_b32 s35, -1
	s_mov_b32 s31, 0
	s_mov_b32 s44, 0
	s_branch .LBB126_1874
.LBB126_792:
	s_mov_b32 s75, -1
	s_mov_b32 s31, 0
.LBB126_793:
                                        ; implicit-def: $vgpr2_vgpr3
.LBB126_794:
	s_and_b32 vcc_lo, exec_lo, s34
	s_cbranch_vccz .LBB126_798
; %bb.795:
	s_cmp_eq_u32 s1, 44
	s_cbranch_scc0 .LBB126_797
; %bb.796:
	global_load_u8 v8, v[4:5], off
	s_mov_b32 s75, 0
	s_mov_b32 s31, -1
	s_wait_loadcnt 0x0
	v_cmp_ne_u32_e32 vcc_lo, 0, v8
	v_lshlrev_b32_e32 v2, 23, v8
	s_delay_alu instid0(VALU_DEP_1) | instskip(NEXT) | instid1(VALU_DEP_1)
	v_trunc_f32_e32 v2, v2
	v_mul_f32_e64 v3, 0x2f800000, |v2|
	s_delay_alu instid0(VALU_DEP_1) | instskip(NEXT) | instid1(VALU_DEP_1)
	v_floor_f32_e32 v3, v3
	v_fma_f32 v6, 0xcf800000, v3, |v2|
	v_ashrrev_i32_e32 v2, 31, v2
	v_cvt_u32_f32_e32 v7, v3
	s_delay_alu instid0(VALU_DEP_3) | instskip(NEXT) | instid1(VALU_DEP_2)
	v_cvt_u32_f32_e32 v6, v6
	v_dual_mov_b32 v3, v2 :: v_dual_bitop2_b32 v7, v7, v2 bitop3:0x14
	s_delay_alu instid0(VALU_DEP_2) | instskip(NEXT) | instid1(VALU_DEP_1)
	v_xor_b32_e32 v6, v6, v2
	v_sub_nc_u64_e32 v[2:3], v[6:7], v[2:3]
	s_delay_alu instid0(VALU_DEP_1)
	v_dual_cndmask_b32 v3, 0, v3 :: v_dual_cndmask_b32 v2, 0, v2
	s_branch .LBB126_798
.LBB126_797:
	s_mov_b32 s75, -1
                                        ; implicit-def: $vgpr2_vgpr3
.LBB126_798:
	s_mov_b32 s34, 0
.LBB126_799:
	s_delay_alu instid0(SALU_CYCLE_1)
	s_and_b32 vcc_lo, exec_lo, s34
	s_cbranch_vccz .LBB126_803
; %bb.800:
	s_cmp_eq_u32 s1, 29
	s_cbranch_scc0 .LBB126_802
; %bb.801:
	global_load_b64 v[2:3], v[4:5], off
	s_mov_b32 s31, -1
	s_mov_b32 s75, 0
	s_branch .LBB126_803
.LBB126_802:
	s_mov_b32 s75, -1
                                        ; implicit-def: $vgpr2_vgpr3
.LBB126_803:
	s_mov_b32 s34, 0
.LBB126_804:
	s_delay_alu instid0(SALU_CYCLE_1)
	s_and_b32 vcc_lo, exec_lo, s34
	s_cbranch_vccz .LBB126_820
; %bb.805:
	s_cmp_lt_i32 s1, 27
	s_cbranch_scc1 .LBB126_808
; %bb.806:
	s_cmp_gt_i32 s1, 27
	s_cbranch_scc0 .LBB126_809
; %bb.807:
	s_wait_loadcnt 0x0
	global_load_b32 v2, v[4:5], off
	v_mov_b32_e32 v3, 0
	s_mov_b32 s31, 0
	s_branch .LBB126_810
.LBB126_808:
	s_mov_b32 s31, -1
                                        ; implicit-def: $vgpr2_vgpr3
	s_branch .LBB126_813
.LBB126_809:
	s_mov_b32 s31, -1
                                        ; implicit-def: $vgpr2_vgpr3
.LBB126_810:
	s_delay_alu instid0(SALU_CYCLE_1)
	s_and_not1_b32 vcc_lo, exec_lo, s31
	s_cbranch_vccnz .LBB126_812
; %bb.811:
	s_wait_loadcnt 0x0
	global_load_u16 v2, v[4:5], off
	s_mov_b32 s31, 0
	s_delay_alu instid0(SALU_CYCLE_1)
	v_mov_b32_e32 v3, s31
	s_wait_loadcnt 0x0
	v_and_b32_e32 v2, 0xffff, v2
.LBB126_812:
	s_mov_b32 s31, 0
.LBB126_813:
	s_delay_alu instid0(SALU_CYCLE_1)
	s_and_not1_b32 vcc_lo, exec_lo, s31
	s_cbranch_vccnz .LBB126_819
; %bb.814:
	global_load_u8 v6, v[4:5], off
	s_mov_b32 s34, 0
	s_mov_b32 s31, exec_lo
	s_wait_loadcnt 0x0
	v_cmpx_lt_i16_e32 0x7f, v6
	s_xor_b32 s31, exec_lo, s31
	s_cbranch_execz .LBB126_831
; %bb.815:
	v_cmp_ne_u16_e32 vcc_lo, 0x80, v6
	s_and_b32 s34, vcc_lo, exec_lo
	s_and_not1_saveexec_b32 s31, s31
	s_cbranch_execnz .LBB126_832
.LBB126_816:
	s_or_b32 exec_lo, exec_lo, s31
	v_mov_b64_e32 v[2:3], 0
	s_and_saveexec_b32 s31, s34
	s_cbranch_execz .LBB126_818
.LBB126_817:
	v_and_b32_e32 v2, 0xffff, v6
	s_delay_alu instid0(VALU_DEP_1) | instskip(SKIP_1) | instid1(VALU_DEP_2)
	v_and_b32_e32 v3, 7, v2
	v_bfe_u32 v9, v2, 3, 4
	v_clz_i32_u32_e32 v7, v3
	s_delay_alu instid0(VALU_DEP_2) | instskip(NEXT) | instid1(VALU_DEP_2)
	v_cmp_eq_u32_e32 vcc_lo, 0, v9
	v_min_u32_e32 v7, 32, v7
	s_delay_alu instid0(VALU_DEP_1) | instskip(NEXT) | instid1(VALU_DEP_1)
	v_subrev_nc_u32_e32 v8, 28, v7
	v_dual_lshlrev_b32 v2, v8, v2 :: v_dual_sub_nc_u32 v7, 29, v7
	s_delay_alu instid0(VALU_DEP_1) | instskip(NEXT) | instid1(VALU_DEP_2)
	v_and_b32_e32 v2, 7, v2
	v_dual_cndmask_b32 v7, v9, v7 :: v_dual_lshlrev_b32 v6, 24, v6
	s_delay_alu instid0(VALU_DEP_2) | instskip(NEXT) | instid1(VALU_DEP_2)
	v_cndmask_b32_e32 v2, v3, v2, vcc_lo
	v_and_b32_e32 v3, 0x80000000, v6
	s_delay_alu instid0(VALU_DEP_3) | instskip(NEXT) | instid1(VALU_DEP_3)
	v_lshl_add_u32 v6, v7, 23, 0x3b800000
	v_lshlrev_b32_e32 v2, 20, v2
	s_delay_alu instid0(VALU_DEP_1) | instskip(NEXT) | instid1(VALU_DEP_1)
	v_or3_b32 v2, v3, v6, v2
	v_trunc_f32_e32 v2, v2
	s_delay_alu instid0(VALU_DEP_1) | instskip(NEXT) | instid1(VALU_DEP_1)
	v_mul_f32_e64 v3, 0x2f800000, |v2|
	v_floor_f32_e32 v3, v3
	s_delay_alu instid0(VALU_DEP_1) | instskip(SKIP_2) | instid1(VALU_DEP_3)
	v_fma_f32 v6, 0xcf800000, v3, |v2|
	v_ashrrev_i32_e32 v2, 31, v2
	v_cvt_u32_f32_e32 v7, v3
	v_cvt_u32_f32_e32 v6, v6
	s_delay_alu instid0(VALU_DEP_2) | instskip(NEXT) | instid1(VALU_DEP_2)
	v_dual_mov_b32 v3, v2 :: v_dual_bitop2_b32 v7, v7, v2 bitop3:0x14
	v_xor_b32_e32 v6, v6, v2
	s_delay_alu instid0(VALU_DEP_1)
	v_sub_nc_u64_e32 v[2:3], v[6:7], v[2:3]
.LBB126_818:
	s_or_b32 exec_lo, exec_lo, s31
.LBB126_819:
	s_mov_b32 s31, -1
.LBB126_820:
	s_mov_b32 s34, 0
.LBB126_821:
	s_delay_alu instid0(SALU_CYCLE_1)
	s_and_b32 vcc_lo, exec_lo, s34
	s_cbranch_vccz .LBB126_854
; %bb.822:
	s_cmp_gt_i32 s1, 22
	s_cbranch_scc0 .LBB126_830
; %bb.823:
	s_cmp_lt_i32 s1, 24
	s_cbranch_scc1 .LBB126_833
; %bb.824:
	s_cmp_gt_i32 s1, 24
	s_cbranch_scc0 .LBB126_834
; %bb.825:
	global_load_u8 v6, v[4:5], off
	s_mov_b32 s34, 0
	s_mov_b32 s31, exec_lo
	s_wait_loadcnt 0x0
	v_cmpx_lt_i16_e32 0x7f, v6
	s_xor_b32 s31, exec_lo, s31
	s_cbranch_execz .LBB126_846
; %bb.826:
	v_cmp_ne_u16_e32 vcc_lo, 0x80, v6
	s_and_b32 s34, vcc_lo, exec_lo
	s_and_not1_saveexec_b32 s31, s31
	s_cbranch_execnz .LBB126_847
.LBB126_827:
	s_or_b32 exec_lo, exec_lo, s31
	v_mov_b64_e32 v[2:3], 0
	s_and_saveexec_b32 s31, s34
	s_cbranch_execz .LBB126_829
.LBB126_828:
	v_and_b32_e32 v2, 0xffff, v6
	s_delay_alu instid0(VALU_DEP_1) | instskip(SKIP_1) | instid1(VALU_DEP_2)
	v_and_b32_e32 v3, 3, v2
	v_bfe_u32 v9, v2, 2, 5
	v_clz_i32_u32_e32 v7, v3
	s_delay_alu instid0(VALU_DEP_2) | instskip(NEXT) | instid1(VALU_DEP_2)
	v_cmp_eq_u32_e32 vcc_lo, 0, v9
	v_min_u32_e32 v7, 32, v7
	s_delay_alu instid0(VALU_DEP_1) | instskip(NEXT) | instid1(VALU_DEP_1)
	v_subrev_nc_u32_e32 v8, 29, v7
	v_dual_lshlrev_b32 v2, v8, v2 :: v_dual_sub_nc_u32 v7, 30, v7
	s_delay_alu instid0(VALU_DEP_1) | instskip(NEXT) | instid1(VALU_DEP_2)
	v_and_b32_e32 v2, 3, v2
	v_dual_cndmask_b32 v7, v9, v7 :: v_dual_lshlrev_b32 v6, 24, v6
	s_delay_alu instid0(VALU_DEP_2) | instskip(NEXT) | instid1(VALU_DEP_2)
	v_cndmask_b32_e32 v2, v3, v2, vcc_lo
	v_and_b32_e32 v3, 0x80000000, v6
	s_delay_alu instid0(VALU_DEP_3) | instskip(NEXT) | instid1(VALU_DEP_3)
	v_lshl_add_u32 v6, v7, 23, 0x37800000
	v_lshlrev_b32_e32 v2, 21, v2
	s_delay_alu instid0(VALU_DEP_1) | instskip(NEXT) | instid1(VALU_DEP_1)
	v_or3_b32 v2, v3, v6, v2
	v_trunc_f32_e32 v2, v2
	s_delay_alu instid0(VALU_DEP_1) | instskip(NEXT) | instid1(VALU_DEP_1)
	v_mul_f32_e64 v3, 0x2f800000, |v2|
	v_floor_f32_e32 v3, v3
	s_delay_alu instid0(VALU_DEP_1) | instskip(SKIP_2) | instid1(VALU_DEP_3)
	v_fma_f32 v6, 0xcf800000, v3, |v2|
	v_ashrrev_i32_e32 v2, 31, v2
	v_cvt_u32_f32_e32 v7, v3
	v_cvt_u32_f32_e32 v6, v6
	s_delay_alu instid0(VALU_DEP_2) | instskip(NEXT) | instid1(VALU_DEP_2)
	v_dual_mov_b32 v3, v2 :: v_dual_bitop2_b32 v7, v7, v2 bitop3:0x14
	v_xor_b32_e32 v6, v6, v2
	s_delay_alu instid0(VALU_DEP_1)
	v_sub_nc_u64_e32 v[2:3], v[6:7], v[2:3]
.LBB126_829:
	s_or_b32 exec_lo, exec_lo, s31
	s_mov_b32 s31, 0
	s_branch .LBB126_835
.LBB126_830:
	s_mov_b32 s34, -1
                                        ; implicit-def: $vgpr2_vgpr3
	s_branch .LBB126_841
.LBB126_831:
	s_and_not1_saveexec_b32 s31, s31
	s_cbranch_execz .LBB126_816
.LBB126_832:
	v_cmp_ne_u16_e32 vcc_lo, 0, v6
	s_and_not1_b32 s34, s34, exec_lo
	s_and_b32 s35, vcc_lo, exec_lo
	s_delay_alu instid0(SALU_CYCLE_1)
	s_or_b32 s34, s34, s35
	s_or_b32 exec_lo, exec_lo, s31
	v_mov_b64_e32 v[2:3], 0
	s_and_saveexec_b32 s31, s34
	s_cbranch_execnz .LBB126_817
	s_branch .LBB126_818
.LBB126_833:
	s_mov_b32 s31, -1
                                        ; implicit-def: $vgpr2_vgpr3
	s_branch .LBB126_838
.LBB126_834:
	s_mov_b32 s31, -1
                                        ; implicit-def: $vgpr2_vgpr3
.LBB126_835:
	s_delay_alu instid0(SALU_CYCLE_1)
	s_and_b32 vcc_lo, exec_lo, s31
	s_cbranch_vccz .LBB126_837
; %bb.836:
	s_wait_loadcnt 0x0
	global_load_u8 v2, v[4:5], off
	s_wait_loadcnt 0x0
	v_lshlrev_b32_e32 v2, 24, v2
	s_delay_alu instid0(VALU_DEP_1) | instskip(NEXT) | instid1(VALU_DEP_1)
	v_and_b32_e32 v3, 0x7f000000, v2
	v_clz_i32_u32_e32 v6, v3
	v_cmp_ne_u32_e32 vcc_lo, 0, v3
	v_add_nc_u32_e32 v8, 0x1000000, v3
	s_delay_alu instid0(VALU_DEP_3) | instskip(NEXT) | instid1(VALU_DEP_1)
	v_min_u32_e32 v6, 32, v6
	v_sub_nc_u32_e64 v6, v6, 4 clamp
	s_delay_alu instid0(VALU_DEP_1) | instskip(NEXT) | instid1(VALU_DEP_1)
	v_dual_lshlrev_b32 v7, v6, v3 :: v_dual_lshlrev_b32 v6, 23, v6
	v_lshrrev_b32_e32 v7, 4, v7
	s_delay_alu instid0(VALU_DEP_1) | instskip(NEXT) | instid1(VALU_DEP_1)
	v_dual_sub_nc_u32 v6, v7, v6 :: v_dual_ashrrev_i32 v7, 8, v8
	v_add_nc_u32_e32 v6, 0x3c000000, v6
	s_delay_alu instid0(VALU_DEP_1) | instskip(NEXT) | instid1(VALU_DEP_1)
	v_and_or_b32 v6, 0x7f800000, v7, v6
	v_cndmask_b32_e32 v3, 0, v6, vcc_lo
	s_delay_alu instid0(VALU_DEP_1) | instskip(NEXT) | instid1(VALU_DEP_1)
	v_and_or_b32 v2, 0x80000000, v2, v3
	v_trunc_f32_e32 v2, v2
	s_delay_alu instid0(VALU_DEP_1) | instskip(NEXT) | instid1(VALU_DEP_1)
	v_mul_f32_e64 v3, 0x2f800000, |v2|
	v_floor_f32_e32 v3, v3
	s_delay_alu instid0(VALU_DEP_1) | instskip(SKIP_2) | instid1(VALU_DEP_3)
	v_fma_f32 v6, 0xcf800000, v3, |v2|
	v_ashrrev_i32_e32 v2, 31, v2
	v_cvt_u32_f32_e32 v7, v3
	v_cvt_u32_f32_e32 v6, v6
	s_delay_alu instid0(VALU_DEP_2) | instskip(NEXT) | instid1(VALU_DEP_2)
	v_dual_mov_b32 v3, v2 :: v_dual_bitop2_b32 v7, v7, v2 bitop3:0x14
	v_xor_b32_e32 v6, v6, v2
	s_delay_alu instid0(VALU_DEP_1)
	v_sub_nc_u64_e32 v[2:3], v[6:7], v[2:3]
.LBB126_837:
	s_mov_b32 s31, 0
.LBB126_838:
	s_delay_alu instid0(SALU_CYCLE_1)
	s_and_not1_b32 vcc_lo, exec_lo, s31
	s_cbranch_vccnz .LBB126_840
; %bb.839:
	s_wait_loadcnt 0x0
	global_load_u8 v2, v[4:5], off
	s_wait_loadcnt 0x0
	v_lshlrev_b32_e32 v3, 25, v2
	v_lshlrev_b16 v2, 8, v2
	s_delay_alu instid0(VALU_DEP_1) | instskip(SKIP_1) | instid1(VALU_DEP_2)
	v_and_or_b32 v7, 0x7f00, v2, 0.5
	v_bfe_i32 v2, v2, 0, 16
	v_add_f32_e32 v7, -0.5, v7
	v_lshrrev_b32_e32 v6, 4, v3
	v_cmp_gt_u32_e32 vcc_lo, 0x8000000, v3
	s_delay_alu instid0(VALU_DEP_2) | instskip(NEXT) | instid1(VALU_DEP_1)
	v_or_b32_e32 v6, 0x70000000, v6
	v_mul_f32_e32 v6, 0x7800000, v6
	s_delay_alu instid0(VALU_DEP_1) | instskip(NEXT) | instid1(VALU_DEP_1)
	v_cndmask_b32_e32 v3, v6, v7, vcc_lo
	v_and_or_b32 v2, 0x80000000, v2, v3
	s_delay_alu instid0(VALU_DEP_1) | instskip(NEXT) | instid1(VALU_DEP_1)
	v_trunc_f32_e32 v2, v2
	v_mul_f32_e64 v3, 0x2f800000, |v2|
	s_delay_alu instid0(VALU_DEP_1) | instskip(NEXT) | instid1(VALU_DEP_1)
	v_floor_f32_e32 v3, v3
	v_fma_f32 v6, 0xcf800000, v3, |v2|
	v_ashrrev_i32_e32 v2, 31, v2
	v_cvt_u32_f32_e32 v7, v3
	s_delay_alu instid0(VALU_DEP_3) | instskip(NEXT) | instid1(VALU_DEP_2)
	v_cvt_u32_f32_e32 v6, v6
	v_dual_mov_b32 v3, v2 :: v_dual_bitop2_b32 v7, v7, v2 bitop3:0x14
	s_delay_alu instid0(VALU_DEP_2) | instskip(NEXT) | instid1(VALU_DEP_1)
	v_xor_b32_e32 v6, v6, v2
	v_sub_nc_u64_e32 v[2:3], v[6:7], v[2:3]
.LBB126_840:
	s_mov_b32 s34, 0
	s_mov_b32 s31, -1
.LBB126_841:
	s_and_not1_b32 vcc_lo, exec_lo, s34
	s_cbranch_vccnz .LBB126_854
; %bb.842:
	s_cmp_gt_i32 s1, 14
	s_cbranch_scc0 .LBB126_845
; %bb.843:
	s_cmp_eq_u32 s1, 15
	s_cbranch_scc0 .LBB126_848
; %bb.844:
	s_wait_loadcnt 0x0
	global_load_u16 v2, v[4:5], off
	s_mov_b32 s31, -1
	s_mov_b32 s75, 0
	s_wait_loadcnt 0x0
	v_lshlrev_b32_e32 v2, 16, v2
	s_delay_alu instid0(VALU_DEP_1) | instskip(NEXT) | instid1(VALU_DEP_1)
	v_trunc_f32_e32 v2, v2
	v_mul_f32_e64 v3, 0x2f800000, |v2|
	s_delay_alu instid0(VALU_DEP_1) | instskip(NEXT) | instid1(VALU_DEP_1)
	v_floor_f32_e32 v3, v3
	v_fma_f32 v6, 0xcf800000, v3, |v2|
	v_ashrrev_i32_e32 v2, 31, v2
	v_cvt_u32_f32_e32 v7, v3
	s_delay_alu instid0(VALU_DEP_3) | instskip(NEXT) | instid1(VALU_DEP_2)
	v_cvt_u32_f32_e32 v6, v6
	v_dual_mov_b32 v3, v2 :: v_dual_bitop2_b32 v7, v7, v2 bitop3:0x14
	s_delay_alu instid0(VALU_DEP_2) | instskip(NEXT) | instid1(VALU_DEP_1)
	v_xor_b32_e32 v6, v6, v2
	v_sub_nc_u64_e32 v[2:3], v[6:7], v[2:3]
	s_branch .LBB126_849
.LBB126_845:
	s_mov_b32 s34, -1
                                        ; implicit-def: $vgpr2_vgpr3
	s_branch .LBB126_850
.LBB126_846:
	s_and_not1_saveexec_b32 s31, s31
	s_cbranch_execz .LBB126_827
.LBB126_847:
	v_cmp_ne_u16_e32 vcc_lo, 0, v6
	s_and_not1_b32 s34, s34, exec_lo
	s_and_b32 s35, vcc_lo, exec_lo
	s_delay_alu instid0(SALU_CYCLE_1)
	s_or_b32 s34, s34, s35
	s_or_b32 exec_lo, exec_lo, s31
	v_mov_b64_e32 v[2:3], 0
	s_and_saveexec_b32 s31, s34
	s_cbranch_execnz .LBB126_828
	s_branch .LBB126_829
.LBB126_848:
	s_mov_b32 s75, -1
                                        ; implicit-def: $vgpr2_vgpr3
.LBB126_849:
	s_mov_b32 s34, 0
.LBB126_850:
	s_delay_alu instid0(SALU_CYCLE_1)
	s_and_b32 vcc_lo, exec_lo, s34
	s_cbranch_vccz .LBB126_854
; %bb.851:
	s_cmp_eq_u32 s1, 11
	s_cbranch_scc0 .LBB126_853
; %bb.852:
	s_wait_loadcnt 0x0
	global_load_u8 v2, v[4:5], off
	s_mov_b32 s75, 0
	s_mov_b32 s31, -1
	v_mov_b32_e32 v3, s75
	s_wait_loadcnt 0x0
	v_cmp_ne_u16_e32 vcc_lo, 0, v2
	v_cndmask_b32_e64 v2, 0, 1, vcc_lo
	s_branch .LBB126_854
.LBB126_853:
	s_mov_b32 s75, -1
                                        ; implicit-def: $vgpr2_vgpr3
.LBB126_854:
	s_mov_b32 s1, 0
.LBB126_855:
	s_delay_alu instid0(SALU_CYCLE_1)
	s_and_b32 vcc_lo, exec_lo, s1
	s_cbranch_vccz .LBB126_904
; %bb.856:
	s_and_b32 s0, 0xffff, s0
	s_delay_alu instid0(SALU_CYCLE_1)
	s_cmp_lt_i32 s0, 5
	s_cbranch_scc1 .LBB126_861
; %bb.857:
	s_cmp_lt_i32 s0, 8
	s_cbranch_scc1 .LBB126_862
; %bb.858:
	;; [unrolled: 3-line block ×3, first 2 shown]
	s_cmp_gt_i32 s0, 9
	s_cbranch_scc0 .LBB126_864
; %bb.860:
	s_wait_loadcnt 0x0
	global_load_b64 v[2:3], v[4:5], off
	s_mov_b32 s1, 0
	s_wait_loadcnt 0x0
	v_trunc_f64_e32 v[2:3], v[2:3]
	s_delay_alu instid0(VALU_DEP_1) | instskip(NEXT) | instid1(VALU_DEP_1)
	v_ldexp_f64 v[6:7], v[2:3], 0xffffffe0
	v_floor_f64_e32 v[6:7], v[6:7]
	s_delay_alu instid0(VALU_DEP_1) | instskip(SKIP_1) | instid1(VALU_DEP_2)
	v_fmamk_f64 v[8:9], v[6:7], 0xc1f00000, v[2:3]
	v_cvt_i32_f64_e32 v3, v[6:7]
	v_cvt_u32_f64_e32 v2, v[8:9]
	s_branch .LBB126_865
.LBB126_861:
	s_mov_b32 s1, -1
                                        ; implicit-def: $vgpr2_vgpr3
	s_branch .LBB126_883
.LBB126_862:
	s_mov_b32 s1, -1
                                        ; implicit-def: $vgpr2_vgpr3
	s_branch .LBB126_871
.LBB126_863:
	s_mov_b32 s1, -1
                                        ; implicit-def: $vgpr2_vgpr3
	s_branch .LBB126_868
.LBB126_864:
	s_mov_b32 s1, -1
                                        ; implicit-def: $vgpr2_vgpr3
.LBB126_865:
	s_delay_alu instid0(SALU_CYCLE_1)
	s_and_not1_b32 vcc_lo, exec_lo, s1
	s_cbranch_vccnz .LBB126_867
; %bb.866:
	s_wait_loadcnt 0x0
	global_load_b32 v2, v[4:5], off
	s_wait_loadcnt 0x0
	v_trunc_f32_e32 v2, v2
	s_delay_alu instid0(VALU_DEP_1) | instskip(NEXT) | instid1(VALU_DEP_1)
	v_mul_f32_e64 v3, 0x2f800000, |v2|
	v_floor_f32_e32 v3, v3
	s_delay_alu instid0(VALU_DEP_1) | instskip(SKIP_2) | instid1(VALU_DEP_3)
	v_fma_f32 v6, 0xcf800000, v3, |v2|
	v_ashrrev_i32_e32 v2, 31, v2
	v_cvt_u32_f32_e32 v7, v3
	v_cvt_u32_f32_e32 v6, v6
	s_delay_alu instid0(VALU_DEP_2) | instskip(NEXT) | instid1(VALU_DEP_2)
	v_dual_mov_b32 v3, v2 :: v_dual_bitop2_b32 v7, v7, v2 bitop3:0x14
	v_xor_b32_e32 v6, v6, v2
	s_delay_alu instid0(VALU_DEP_1)
	v_sub_nc_u64_e32 v[2:3], v[6:7], v[2:3]
.LBB126_867:
	s_mov_b32 s1, 0
.LBB126_868:
	s_delay_alu instid0(SALU_CYCLE_1)
	s_and_not1_b32 vcc_lo, exec_lo, s1
	s_cbranch_vccnz .LBB126_870
; %bb.869:
	s_wait_loadcnt 0x0
	global_load_b32 v2, v[4:5], off
	s_wait_loadcnt 0x0
	v_cvt_f32_f16_e32 v2, v2
	s_delay_alu instid0(VALU_DEP_1) | instskip(NEXT) | instid1(VALU_DEP_1)
	v_cvt_i32_f32_e32 v2, v2
	v_ashrrev_i32_e32 v3, 31, v2
.LBB126_870:
	s_mov_b32 s1, 0
.LBB126_871:
	s_delay_alu instid0(SALU_CYCLE_1)
	s_and_not1_b32 vcc_lo, exec_lo, s1
	s_cbranch_vccnz .LBB126_882
; %bb.872:
	s_cmp_lt_i32 s0, 6
	s_cbranch_scc1 .LBB126_875
; %bb.873:
	s_cmp_gt_i32 s0, 6
	s_cbranch_scc0 .LBB126_876
; %bb.874:
	s_wait_loadcnt 0x0
	global_load_b64 v[2:3], v[4:5], off
	s_mov_b32 s1, 0
	s_wait_loadcnt 0x0
	v_trunc_f64_e32 v[2:3], v[2:3]
	s_delay_alu instid0(VALU_DEP_1) | instskip(NEXT) | instid1(VALU_DEP_1)
	v_ldexp_f64 v[6:7], v[2:3], 0xffffffe0
	v_floor_f64_e32 v[6:7], v[6:7]
	s_delay_alu instid0(VALU_DEP_1) | instskip(SKIP_1) | instid1(VALU_DEP_2)
	v_fmamk_f64 v[8:9], v[6:7], 0xc1f00000, v[2:3]
	v_cvt_i32_f64_e32 v3, v[6:7]
	v_cvt_u32_f64_e32 v2, v[8:9]
	s_branch .LBB126_877
.LBB126_875:
	s_mov_b32 s1, -1
                                        ; implicit-def: $vgpr2_vgpr3
	s_branch .LBB126_880
.LBB126_876:
	s_mov_b32 s1, -1
                                        ; implicit-def: $vgpr2_vgpr3
.LBB126_877:
	s_delay_alu instid0(SALU_CYCLE_1)
	s_and_not1_b32 vcc_lo, exec_lo, s1
	s_cbranch_vccnz .LBB126_879
; %bb.878:
	s_wait_loadcnt 0x0
	global_load_b32 v2, v[4:5], off
	s_wait_loadcnt 0x0
	v_trunc_f32_e32 v2, v2
	s_delay_alu instid0(VALU_DEP_1) | instskip(NEXT) | instid1(VALU_DEP_1)
	v_mul_f32_e64 v3, 0x2f800000, |v2|
	v_floor_f32_e32 v3, v3
	s_delay_alu instid0(VALU_DEP_1) | instskip(SKIP_2) | instid1(VALU_DEP_3)
	v_fma_f32 v6, 0xcf800000, v3, |v2|
	v_ashrrev_i32_e32 v2, 31, v2
	v_cvt_u32_f32_e32 v7, v3
	v_cvt_u32_f32_e32 v6, v6
	s_delay_alu instid0(VALU_DEP_2) | instskip(NEXT) | instid1(VALU_DEP_2)
	v_dual_mov_b32 v3, v2 :: v_dual_bitop2_b32 v7, v7, v2 bitop3:0x14
	v_xor_b32_e32 v6, v6, v2
	s_delay_alu instid0(VALU_DEP_1)
	v_sub_nc_u64_e32 v[2:3], v[6:7], v[2:3]
.LBB126_879:
	s_mov_b32 s1, 0
.LBB126_880:
	s_delay_alu instid0(SALU_CYCLE_1)
	s_and_not1_b32 vcc_lo, exec_lo, s1
	s_cbranch_vccnz .LBB126_882
; %bb.881:
	s_wait_loadcnt 0x0
	global_load_u16 v2, v[4:5], off
	s_wait_loadcnt 0x0
	v_cvt_f32_f16_e32 v2, v2
	s_delay_alu instid0(VALU_DEP_1) | instskip(NEXT) | instid1(VALU_DEP_1)
	v_cvt_i32_f32_e32 v2, v2
	v_ashrrev_i32_e32 v3, 31, v2
.LBB126_882:
	s_mov_b32 s1, 0
.LBB126_883:
	s_delay_alu instid0(SALU_CYCLE_1)
	s_and_not1_b32 vcc_lo, exec_lo, s1
	s_cbranch_vccnz .LBB126_903
; %bb.884:
	s_cmp_lt_i32 s0, 2
	s_cbranch_scc1 .LBB126_888
; %bb.885:
	s_cmp_lt_i32 s0, 3
	s_cbranch_scc1 .LBB126_889
; %bb.886:
	s_cmp_gt_i32 s0, 3
	s_cbranch_scc0 .LBB126_890
; %bb.887:
	s_wait_loadcnt 0x0
	global_load_b64 v[2:3], v[4:5], off
	s_mov_b32 s1, 0
	s_branch .LBB126_891
.LBB126_888:
	s_mov_b32 s1, -1
                                        ; implicit-def: $vgpr2_vgpr3
	s_branch .LBB126_897
.LBB126_889:
	s_mov_b32 s1, -1
                                        ; implicit-def: $vgpr2_vgpr3
	s_branch .LBB126_894
.LBB126_890:
	s_mov_b32 s1, -1
                                        ; implicit-def: $vgpr2_vgpr3
.LBB126_891:
	s_delay_alu instid0(SALU_CYCLE_1)
	s_and_not1_b32 vcc_lo, exec_lo, s1
	s_cbranch_vccnz .LBB126_893
; %bb.892:
	s_wait_loadcnt 0x0
	global_load_b32 v2, v[4:5], off
	s_wait_loadcnt 0x0
	v_ashrrev_i32_e32 v3, 31, v2
.LBB126_893:
	s_mov_b32 s1, 0
.LBB126_894:
	s_delay_alu instid0(SALU_CYCLE_1)
	s_and_not1_b32 vcc_lo, exec_lo, s1
	s_cbranch_vccnz .LBB126_896
; %bb.895:
	s_wait_loadcnt 0x0
	global_load_u16 v2, v[4:5], off
	s_wait_loadcnt 0x0
	v_bfe_i32 v2, v2, 0, 16
	s_delay_alu instid0(VALU_DEP_1)
	v_ashrrev_i32_e32 v3, 31, v2
.LBB126_896:
	s_mov_b32 s1, 0
.LBB126_897:
	s_delay_alu instid0(SALU_CYCLE_1)
	s_and_not1_b32 vcc_lo, exec_lo, s1
	s_cbranch_vccnz .LBB126_903
; %bb.898:
	s_cmp_gt_i32 s0, 0
	s_mov_b32 s0, 0
	s_cbranch_scc0 .LBB126_900
; %bb.899:
	s_wait_loadcnt 0x0
	global_load_i8 v2, v[4:5], off
	s_wait_loadcnt 0x0
	v_bfe_i32 v2, v2, 0, 16
	s_delay_alu instid0(VALU_DEP_1)
	v_ashrrev_i32_e32 v3, 31, v2
	s_branch .LBB126_901
.LBB126_900:
	s_mov_b32 s0, -1
                                        ; implicit-def: $vgpr2_vgpr3
.LBB126_901:
	s_delay_alu instid0(SALU_CYCLE_1)
	s_and_not1_b32 vcc_lo, exec_lo, s0
	s_cbranch_vccnz .LBB126_903
; %bb.902:
	s_wait_loadcnt 0x0
	global_load_u8 v2, v[4:5], off
	s_mov_b32 s0, 0
	s_delay_alu instid0(SALU_CYCLE_1)
	v_mov_b32_e32 v3, s0
	s_wait_loadcnt 0x0
	v_and_b32_e32 v2, 0xffff, v2
.LBB126_903:
	s_mov_b32 s31, -1
.LBB126_904:
	s_delay_alu instid0(SALU_CYCLE_1)
	s_and_not1_b32 vcc_lo, exec_lo, s31
	s_cbranch_vccnz .LBB126_912
; %bb.905:
	s_wait_xcnt 0x0
	v_mul_lo_u32 v4, v22, s19
	s_and_b32 s0, s28, 0xff
	s_delay_alu instid0(SALU_CYCLE_1) | instskip(NEXT) | instid1(VALU_DEP_1)
	s_cmp_lt_i32 s0, 11
	v_ashrrev_i32_e32 v5, 31, v4
	s_delay_alu instid0(VALU_DEP_1)
	v_add_nc_u64_e32 v[6:7], s[10:11], v[4:5]
	s_cbranch_scc1 .LBB126_913
; %bb.906:
	s_and_b32 s1, 0xffff, s0
	s_delay_alu instid0(SALU_CYCLE_1)
	s_cmp_gt_i32 s1, 25
	s_cbranch_scc0 .LBB126_914
; %bb.907:
	s_cmp_gt_i32 s1, 28
	s_cbranch_scc0 .LBB126_915
; %bb.908:
	;; [unrolled: 3-line block ×4, first 2 shown]
	s_cmp_eq_u32 s1, 46
	s_mov_b32 s34, 0
	s_cbranch_scc0 .LBB126_919
; %bb.911:
	global_load_b32 v4, v[6:7], off
	s_mov_b32 s31, -1
	s_mov_b32 s74, 0
	s_wait_loadcnt 0x0
	v_lshlrev_b32_e32 v4, 16, v4
	s_delay_alu instid0(VALU_DEP_1) | instskip(NEXT) | instid1(VALU_DEP_1)
	v_trunc_f32_e32 v4, v4
	v_mul_f32_e64 v5, 0x2f800000, |v4|
	s_delay_alu instid0(VALU_DEP_1) | instskip(NEXT) | instid1(VALU_DEP_1)
	v_floor_f32_e32 v5, v5
	v_fma_f32 v8, 0xcf800000, v5, |v4|
	v_ashrrev_i32_e32 v4, 31, v4
	v_cvt_u32_f32_e32 v9, v5
	s_delay_alu instid0(VALU_DEP_3) | instskip(NEXT) | instid1(VALU_DEP_2)
	v_cvt_u32_f32_e32 v8, v8
	v_dual_mov_b32 v5, v4 :: v_dual_bitop2_b32 v9, v9, v4 bitop3:0x14
	s_delay_alu instid0(VALU_DEP_2) | instskip(NEXT) | instid1(VALU_DEP_1)
	v_xor_b32_e32 v8, v8, v4
	v_sub_nc_u64_e32 v[4:5], v[8:9], v[4:5]
	s_branch .LBB126_921
.LBB126_912:
	s_mov_b32 s0, 0
	s_mov_b32 s1, s61
	;; [unrolled: 1-line block ×9, first 2 shown]
	s_branch .LBB126_1297
.LBB126_913:
	s_mov_b32 s1, -1
	s_mov_b32 s31, 0
	s_mov_b32 s74, s69
                                        ; implicit-def: $vgpr4_vgpr5
	s_branch .LBB126_982
.LBB126_914:
	s_mov_b32 s34, -1
	s_mov_b32 s31, 0
	s_mov_b32 s74, s69
                                        ; implicit-def: $vgpr4_vgpr5
	s_branch .LBB126_948
.LBB126_915:
	s_mov_b32 s34, -1
	s_mov_b32 s31, 0
	s_mov_b32 s74, s69
                                        ; implicit-def: $vgpr4_vgpr5
	s_branch .LBB126_931
.LBB126_916:
	s_mov_b32 s34, -1
	s_mov_b32 s31, 0
	s_mov_b32 s74, s69
                                        ; implicit-def: $vgpr4_vgpr5
	s_branch .LBB126_926
.LBB126_917:
	s_mov_b32 s34, -1
	s_mov_b32 s31, 0
	s_mov_b32 s74, s69
	s_branch .LBB126_920
.LBB126_918:
	s_mov_b32 s45, -1
	s_mov_b32 s31, 0
	s_mov_b32 s44, 0
	s_branch .LBB126_1854
.LBB126_919:
	s_mov_b32 s74, -1
	s_mov_b32 s31, 0
.LBB126_920:
                                        ; implicit-def: $vgpr4_vgpr5
.LBB126_921:
	s_and_b32 vcc_lo, exec_lo, s34
	s_cbranch_vccz .LBB126_925
; %bb.922:
	s_cmp_eq_u32 s1, 44
	s_cbranch_scc0 .LBB126_924
; %bb.923:
	global_load_u8 v10, v[6:7], off
	s_mov_b32 s74, 0
	s_mov_b32 s31, -1
	s_wait_loadcnt 0x0
	v_cmp_ne_u32_e32 vcc_lo, 0, v10
	v_lshlrev_b32_e32 v4, 23, v10
	s_delay_alu instid0(VALU_DEP_1) | instskip(NEXT) | instid1(VALU_DEP_1)
	v_trunc_f32_e32 v4, v4
	v_mul_f32_e64 v5, 0x2f800000, |v4|
	s_delay_alu instid0(VALU_DEP_1) | instskip(NEXT) | instid1(VALU_DEP_1)
	v_floor_f32_e32 v5, v5
	v_fma_f32 v8, 0xcf800000, v5, |v4|
	v_ashrrev_i32_e32 v4, 31, v4
	v_cvt_u32_f32_e32 v9, v5
	s_delay_alu instid0(VALU_DEP_3) | instskip(NEXT) | instid1(VALU_DEP_2)
	v_cvt_u32_f32_e32 v8, v8
	v_dual_mov_b32 v5, v4 :: v_dual_bitop2_b32 v9, v9, v4 bitop3:0x14
	s_delay_alu instid0(VALU_DEP_2) | instskip(NEXT) | instid1(VALU_DEP_1)
	v_xor_b32_e32 v8, v8, v4
	v_sub_nc_u64_e32 v[4:5], v[8:9], v[4:5]
	s_delay_alu instid0(VALU_DEP_1)
	v_dual_cndmask_b32 v5, 0, v5 :: v_dual_cndmask_b32 v4, 0, v4
	s_branch .LBB126_925
.LBB126_924:
	s_mov_b32 s74, -1
                                        ; implicit-def: $vgpr4_vgpr5
.LBB126_925:
	s_mov_b32 s34, 0
.LBB126_926:
	s_delay_alu instid0(SALU_CYCLE_1)
	s_and_b32 vcc_lo, exec_lo, s34
	s_cbranch_vccz .LBB126_930
; %bb.927:
	s_cmp_eq_u32 s1, 29
	s_cbranch_scc0 .LBB126_929
; %bb.928:
	global_load_b64 v[4:5], v[6:7], off
	s_mov_b32 s31, -1
	s_mov_b32 s74, 0
	s_branch .LBB126_930
.LBB126_929:
	s_mov_b32 s74, -1
                                        ; implicit-def: $vgpr4_vgpr5
.LBB126_930:
	s_mov_b32 s34, 0
.LBB126_931:
	s_delay_alu instid0(SALU_CYCLE_1)
	s_and_b32 vcc_lo, exec_lo, s34
	s_cbranch_vccz .LBB126_947
; %bb.932:
	s_cmp_lt_i32 s1, 27
	s_cbranch_scc1 .LBB126_935
; %bb.933:
	s_cmp_gt_i32 s1, 27
	s_cbranch_scc0 .LBB126_936
; %bb.934:
	s_wait_loadcnt 0x0
	global_load_b32 v4, v[6:7], off
	v_mov_b32_e32 v5, 0
	s_mov_b32 s31, 0
	s_branch .LBB126_937
.LBB126_935:
	s_mov_b32 s31, -1
                                        ; implicit-def: $vgpr4_vgpr5
	s_branch .LBB126_940
.LBB126_936:
	s_mov_b32 s31, -1
                                        ; implicit-def: $vgpr4_vgpr5
.LBB126_937:
	s_delay_alu instid0(SALU_CYCLE_1)
	s_and_not1_b32 vcc_lo, exec_lo, s31
	s_cbranch_vccnz .LBB126_939
; %bb.938:
	s_wait_loadcnt 0x0
	global_load_u16 v4, v[6:7], off
	s_mov_b32 s31, 0
	s_delay_alu instid0(SALU_CYCLE_1)
	v_mov_b32_e32 v5, s31
	s_wait_loadcnt 0x0
	v_and_b32_e32 v4, 0xffff, v4
.LBB126_939:
	s_mov_b32 s31, 0
.LBB126_940:
	s_delay_alu instid0(SALU_CYCLE_1)
	s_and_not1_b32 vcc_lo, exec_lo, s31
	s_cbranch_vccnz .LBB126_946
; %bb.941:
	global_load_u8 v8, v[6:7], off
	s_mov_b32 s34, 0
	s_mov_b32 s31, exec_lo
	s_wait_loadcnt 0x0
	v_cmpx_lt_i16_e32 0x7f, v8
	s_xor_b32 s31, exec_lo, s31
	s_cbranch_execz .LBB126_958
; %bb.942:
	v_cmp_ne_u16_e32 vcc_lo, 0x80, v8
	s_and_b32 s34, vcc_lo, exec_lo
	s_and_not1_saveexec_b32 s31, s31
	s_cbranch_execnz .LBB126_959
.LBB126_943:
	s_or_b32 exec_lo, exec_lo, s31
	v_mov_b64_e32 v[4:5], 0
	s_and_saveexec_b32 s31, s34
	s_cbranch_execz .LBB126_945
.LBB126_944:
	v_and_b32_e32 v4, 0xffff, v8
	s_delay_alu instid0(VALU_DEP_1) | instskip(SKIP_1) | instid1(VALU_DEP_2)
	v_and_b32_e32 v5, 7, v4
	v_bfe_u32 v11, v4, 3, 4
	v_clz_i32_u32_e32 v9, v5
	s_delay_alu instid0(VALU_DEP_2) | instskip(NEXT) | instid1(VALU_DEP_2)
	v_cmp_eq_u32_e32 vcc_lo, 0, v11
	v_min_u32_e32 v9, 32, v9
	s_delay_alu instid0(VALU_DEP_1) | instskip(NEXT) | instid1(VALU_DEP_1)
	v_subrev_nc_u32_e32 v10, 28, v9
	v_dual_lshlrev_b32 v4, v10, v4 :: v_dual_sub_nc_u32 v9, 29, v9
	s_delay_alu instid0(VALU_DEP_1) | instskip(NEXT) | instid1(VALU_DEP_2)
	v_and_b32_e32 v4, 7, v4
	v_dual_cndmask_b32 v9, v11, v9 :: v_dual_lshlrev_b32 v8, 24, v8
	s_delay_alu instid0(VALU_DEP_2) | instskip(NEXT) | instid1(VALU_DEP_2)
	v_cndmask_b32_e32 v4, v5, v4, vcc_lo
	v_and_b32_e32 v5, 0x80000000, v8
	s_delay_alu instid0(VALU_DEP_3) | instskip(NEXT) | instid1(VALU_DEP_3)
	v_lshl_add_u32 v8, v9, 23, 0x3b800000
	v_lshlrev_b32_e32 v4, 20, v4
	s_delay_alu instid0(VALU_DEP_1) | instskip(NEXT) | instid1(VALU_DEP_1)
	v_or3_b32 v4, v5, v8, v4
	v_trunc_f32_e32 v4, v4
	s_delay_alu instid0(VALU_DEP_1) | instskip(NEXT) | instid1(VALU_DEP_1)
	v_mul_f32_e64 v5, 0x2f800000, |v4|
	v_floor_f32_e32 v5, v5
	s_delay_alu instid0(VALU_DEP_1) | instskip(SKIP_2) | instid1(VALU_DEP_3)
	v_fma_f32 v8, 0xcf800000, v5, |v4|
	v_ashrrev_i32_e32 v4, 31, v4
	v_cvt_u32_f32_e32 v9, v5
	v_cvt_u32_f32_e32 v8, v8
	s_delay_alu instid0(VALU_DEP_2) | instskip(NEXT) | instid1(VALU_DEP_2)
	v_dual_mov_b32 v5, v4 :: v_dual_bitop2_b32 v9, v9, v4 bitop3:0x14
	v_xor_b32_e32 v8, v8, v4
	s_delay_alu instid0(VALU_DEP_1)
	v_sub_nc_u64_e32 v[4:5], v[8:9], v[4:5]
.LBB126_945:
	s_or_b32 exec_lo, exec_lo, s31
.LBB126_946:
	s_mov_b32 s31, -1
.LBB126_947:
	s_mov_b32 s34, 0
.LBB126_948:
	s_delay_alu instid0(SALU_CYCLE_1)
	s_and_b32 vcc_lo, exec_lo, s34
	s_cbranch_vccz .LBB126_981
; %bb.949:
	s_cmp_gt_i32 s1, 22
	s_cbranch_scc0 .LBB126_957
; %bb.950:
	s_cmp_lt_i32 s1, 24
	s_cbranch_scc1 .LBB126_960
; %bb.951:
	s_cmp_gt_i32 s1, 24
	s_cbranch_scc0 .LBB126_961
; %bb.952:
	global_load_u8 v8, v[6:7], off
	s_mov_b32 s34, 0
	s_mov_b32 s31, exec_lo
	s_wait_loadcnt 0x0
	v_cmpx_lt_i16_e32 0x7f, v8
	s_xor_b32 s31, exec_lo, s31
	s_cbranch_execz .LBB126_973
; %bb.953:
	v_cmp_ne_u16_e32 vcc_lo, 0x80, v8
	s_and_b32 s34, vcc_lo, exec_lo
	s_and_not1_saveexec_b32 s31, s31
	s_cbranch_execnz .LBB126_974
.LBB126_954:
	s_or_b32 exec_lo, exec_lo, s31
	v_mov_b64_e32 v[4:5], 0
	s_and_saveexec_b32 s31, s34
	s_cbranch_execz .LBB126_956
.LBB126_955:
	v_and_b32_e32 v4, 0xffff, v8
	s_delay_alu instid0(VALU_DEP_1) | instskip(SKIP_1) | instid1(VALU_DEP_2)
	v_and_b32_e32 v5, 3, v4
	v_bfe_u32 v11, v4, 2, 5
	v_clz_i32_u32_e32 v9, v5
	s_delay_alu instid0(VALU_DEP_2) | instskip(NEXT) | instid1(VALU_DEP_2)
	v_cmp_eq_u32_e32 vcc_lo, 0, v11
	v_min_u32_e32 v9, 32, v9
	s_delay_alu instid0(VALU_DEP_1) | instskip(NEXT) | instid1(VALU_DEP_1)
	v_subrev_nc_u32_e32 v10, 29, v9
	v_dual_lshlrev_b32 v4, v10, v4 :: v_dual_sub_nc_u32 v9, 30, v9
	s_delay_alu instid0(VALU_DEP_1) | instskip(NEXT) | instid1(VALU_DEP_2)
	v_and_b32_e32 v4, 3, v4
	v_dual_cndmask_b32 v9, v11, v9 :: v_dual_lshlrev_b32 v8, 24, v8
	s_delay_alu instid0(VALU_DEP_2) | instskip(NEXT) | instid1(VALU_DEP_2)
	v_cndmask_b32_e32 v4, v5, v4, vcc_lo
	v_and_b32_e32 v5, 0x80000000, v8
	s_delay_alu instid0(VALU_DEP_3) | instskip(NEXT) | instid1(VALU_DEP_3)
	v_lshl_add_u32 v8, v9, 23, 0x37800000
	v_lshlrev_b32_e32 v4, 21, v4
	s_delay_alu instid0(VALU_DEP_1) | instskip(NEXT) | instid1(VALU_DEP_1)
	v_or3_b32 v4, v5, v8, v4
	v_trunc_f32_e32 v4, v4
	s_delay_alu instid0(VALU_DEP_1) | instskip(NEXT) | instid1(VALU_DEP_1)
	v_mul_f32_e64 v5, 0x2f800000, |v4|
	v_floor_f32_e32 v5, v5
	s_delay_alu instid0(VALU_DEP_1) | instskip(SKIP_2) | instid1(VALU_DEP_3)
	v_fma_f32 v8, 0xcf800000, v5, |v4|
	v_ashrrev_i32_e32 v4, 31, v4
	v_cvt_u32_f32_e32 v9, v5
	v_cvt_u32_f32_e32 v8, v8
	s_delay_alu instid0(VALU_DEP_2) | instskip(NEXT) | instid1(VALU_DEP_2)
	v_dual_mov_b32 v5, v4 :: v_dual_bitop2_b32 v9, v9, v4 bitop3:0x14
	v_xor_b32_e32 v8, v8, v4
	s_delay_alu instid0(VALU_DEP_1)
	v_sub_nc_u64_e32 v[4:5], v[8:9], v[4:5]
.LBB126_956:
	s_or_b32 exec_lo, exec_lo, s31
	s_mov_b32 s31, 0
	s_branch .LBB126_962
.LBB126_957:
	s_mov_b32 s34, -1
                                        ; implicit-def: $vgpr4_vgpr5
	s_branch .LBB126_968
.LBB126_958:
	s_and_not1_saveexec_b32 s31, s31
	s_cbranch_execz .LBB126_943
.LBB126_959:
	v_cmp_ne_u16_e32 vcc_lo, 0, v8
	s_and_not1_b32 s34, s34, exec_lo
	s_and_b32 s35, vcc_lo, exec_lo
	s_delay_alu instid0(SALU_CYCLE_1)
	s_or_b32 s34, s34, s35
	s_or_b32 exec_lo, exec_lo, s31
	v_mov_b64_e32 v[4:5], 0
	s_and_saveexec_b32 s31, s34
	s_cbranch_execnz .LBB126_944
	s_branch .LBB126_945
.LBB126_960:
	s_mov_b32 s31, -1
                                        ; implicit-def: $vgpr4_vgpr5
	s_branch .LBB126_965
.LBB126_961:
	s_mov_b32 s31, -1
                                        ; implicit-def: $vgpr4_vgpr5
.LBB126_962:
	s_delay_alu instid0(SALU_CYCLE_1)
	s_and_b32 vcc_lo, exec_lo, s31
	s_cbranch_vccz .LBB126_964
; %bb.963:
	s_wait_loadcnt 0x0
	global_load_u8 v4, v[6:7], off
	s_wait_loadcnt 0x0
	v_lshlrev_b32_e32 v4, 24, v4
	s_delay_alu instid0(VALU_DEP_1) | instskip(NEXT) | instid1(VALU_DEP_1)
	v_and_b32_e32 v5, 0x7f000000, v4
	v_clz_i32_u32_e32 v8, v5
	v_cmp_ne_u32_e32 vcc_lo, 0, v5
	v_add_nc_u32_e32 v10, 0x1000000, v5
	s_delay_alu instid0(VALU_DEP_3) | instskip(NEXT) | instid1(VALU_DEP_1)
	v_min_u32_e32 v8, 32, v8
	v_sub_nc_u32_e64 v8, v8, 4 clamp
	s_delay_alu instid0(VALU_DEP_1) | instskip(NEXT) | instid1(VALU_DEP_1)
	v_dual_lshlrev_b32 v9, v8, v5 :: v_dual_lshlrev_b32 v8, 23, v8
	v_lshrrev_b32_e32 v9, 4, v9
	s_delay_alu instid0(VALU_DEP_1) | instskip(NEXT) | instid1(VALU_DEP_1)
	v_dual_sub_nc_u32 v8, v9, v8 :: v_dual_ashrrev_i32 v9, 8, v10
	v_add_nc_u32_e32 v8, 0x3c000000, v8
	s_delay_alu instid0(VALU_DEP_1) | instskip(NEXT) | instid1(VALU_DEP_1)
	v_and_or_b32 v8, 0x7f800000, v9, v8
	v_cndmask_b32_e32 v5, 0, v8, vcc_lo
	s_delay_alu instid0(VALU_DEP_1) | instskip(NEXT) | instid1(VALU_DEP_1)
	v_and_or_b32 v4, 0x80000000, v4, v5
	v_trunc_f32_e32 v4, v4
	s_delay_alu instid0(VALU_DEP_1) | instskip(NEXT) | instid1(VALU_DEP_1)
	v_mul_f32_e64 v5, 0x2f800000, |v4|
	v_floor_f32_e32 v5, v5
	s_delay_alu instid0(VALU_DEP_1) | instskip(SKIP_2) | instid1(VALU_DEP_3)
	v_fma_f32 v8, 0xcf800000, v5, |v4|
	v_ashrrev_i32_e32 v4, 31, v4
	v_cvt_u32_f32_e32 v9, v5
	v_cvt_u32_f32_e32 v8, v8
	s_delay_alu instid0(VALU_DEP_2) | instskip(NEXT) | instid1(VALU_DEP_2)
	v_dual_mov_b32 v5, v4 :: v_dual_bitop2_b32 v9, v9, v4 bitop3:0x14
	v_xor_b32_e32 v8, v8, v4
	s_delay_alu instid0(VALU_DEP_1)
	v_sub_nc_u64_e32 v[4:5], v[8:9], v[4:5]
.LBB126_964:
	s_mov_b32 s31, 0
.LBB126_965:
	s_delay_alu instid0(SALU_CYCLE_1)
	s_and_not1_b32 vcc_lo, exec_lo, s31
	s_cbranch_vccnz .LBB126_967
; %bb.966:
	s_wait_loadcnt 0x0
	global_load_u8 v4, v[6:7], off
	s_wait_loadcnt 0x0
	v_lshlrev_b32_e32 v5, 25, v4
	v_lshlrev_b16 v4, 8, v4
	s_delay_alu instid0(VALU_DEP_1) | instskip(SKIP_1) | instid1(VALU_DEP_2)
	v_and_or_b32 v9, 0x7f00, v4, 0.5
	v_bfe_i32 v4, v4, 0, 16
	v_add_f32_e32 v9, -0.5, v9
	v_lshrrev_b32_e32 v8, 4, v5
	v_cmp_gt_u32_e32 vcc_lo, 0x8000000, v5
	s_delay_alu instid0(VALU_DEP_2) | instskip(NEXT) | instid1(VALU_DEP_1)
	v_or_b32_e32 v8, 0x70000000, v8
	v_mul_f32_e32 v8, 0x7800000, v8
	s_delay_alu instid0(VALU_DEP_1) | instskip(NEXT) | instid1(VALU_DEP_1)
	v_cndmask_b32_e32 v5, v8, v9, vcc_lo
	v_and_or_b32 v4, 0x80000000, v4, v5
	s_delay_alu instid0(VALU_DEP_1) | instskip(NEXT) | instid1(VALU_DEP_1)
	v_trunc_f32_e32 v4, v4
	v_mul_f32_e64 v5, 0x2f800000, |v4|
	s_delay_alu instid0(VALU_DEP_1) | instskip(NEXT) | instid1(VALU_DEP_1)
	v_floor_f32_e32 v5, v5
	v_fma_f32 v8, 0xcf800000, v5, |v4|
	v_ashrrev_i32_e32 v4, 31, v4
	v_cvt_u32_f32_e32 v9, v5
	s_delay_alu instid0(VALU_DEP_3) | instskip(NEXT) | instid1(VALU_DEP_2)
	v_cvt_u32_f32_e32 v8, v8
	v_dual_mov_b32 v5, v4 :: v_dual_bitop2_b32 v9, v9, v4 bitop3:0x14
	s_delay_alu instid0(VALU_DEP_2) | instskip(NEXT) | instid1(VALU_DEP_1)
	v_xor_b32_e32 v8, v8, v4
	v_sub_nc_u64_e32 v[4:5], v[8:9], v[4:5]
.LBB126_967:
	s_mov_b32 s34, 0
	s_mov_b32 s31, -1
.LBB126_968:
	s_and_not1_b32 vcc_lo, exec_lo, s34
	s_cbranch_vccnz .LBB126_981
; %bb.969:
	s_cmp_gt_i32 s1, 14
	s_cbranch_scc0 .LBB126_972
; %bb.970:
	s_cmp_eq_u32 s1, 15
	s_cbranch_scc0 .LBB126_975
; %bb.971:
	s_wait_loadcnt 0x0
	global_load_u16 v4, v[6:7], off
	s_mov_b32 s31, -1
	s_mov_b32 s74, 0
	s_wait_loadcnt 0x0
	v_lshlrev_b32_e32 v4, 16, v4
	s_delay_alu instid0(VALU_DEP_1) | instskip(NEXT) | instid1(VALU_DEP_1)
	v_trunc_f32_e32 v4, v4
	v_mul_f32_e64 v5, 0x2f800000, |v4|
	s_delay_alu instid0(VALU_DEP_1) | instskip(NEXT) | instid1(VALU_DEP_1)
	v_floor_f32_e32 v5, v5
	v_fma_f32 v8, 0xcf800000, v5, |v4|
	v_ashrrev_i32_e32 v4, 31, v4
	v_cvt_u32_f32_e32 v9, v5
	s_delay_alu instid0(VALU_DEP_3) | instskip(NEXT) | instid1(VALU_DEP_2)
	v_cvt_u32_f32_e32 v8, v8
	v_dual_mov_b32 v5, v4 :: v_dual_bitop2_b32 v9, v9, v4 bitop3:0x14
	s_delay_alu instid0(VALU_DEP_2) | instskip(NEXT) | instid1(VALU_DEP_1)
	v_xor_b32_e32 v8, v8, v4
	v_sub_nc_u64_e32 v[4:5], v[8:9], v[4:5]
	s_branch .LBB126_976
.LBB126_972:
	s_mov_b32 s34, -1
                                        ; implicit-def: $vgpr4_vgpr5
	s_branch .LBB126_977
.LBB126_973:
	s_and_not1_saveexec_b32 s31, s31
	s_cbranch_execz .LBB126_954
.LBB126_974:
	v_cmp_ne_u16_e32 vcc_lo, 0, v8
	s_and_not1_b32 s34, s34, exec_lo
	s_and_b32 s35, vcc_lo, exec_lo
	s_delay_alu instid0(SALU_CYCLE_1)
	s_or_b32 s34, s34, s35
	s_or_b32 exec_lo, exec_lo, s31
	v_mov_b64_e32 v[4:5], 0
	s_and_saveexec_b32 s31, s34
	s_cbranch_execnz .LBB126_955
	s_branch .LBB126_956
.LBB126_975:
	s_mov_b32 s74, -1
                                        ; implicit-def: $vgpr4_vgpr5
.LBB126_976:
	s_mov_b32 s34, 0
.LBB126_977:
	s_delay_alu instid0(SALU_CYCLE_1)
	s_and_b32 vcc_lo, exec_lo, s34
	s_cbranch_vccz .LBB126_981
; %bb.978:
	s_cmp_eq_u32 s1, 11
	s_cbranch_scc0 .LBB126_980
; %bb.979:
	s_wait_loadcnt 0x0
	global_load_u8 v4, v[6:7], off
	s_mov_b32 s74, 0
	s_mov_b32 s31, -1
	v_mov_b32_e32 v5, s74
	s_wait_loadcnt 0x0
	v_cmp_ne_u16_e32 vcc_lo, 0, v4
	v_cndmask_b32_e64 v4, 0, 1, vcc_lo
	s_branch .LBB126_981
.LBB126_980:
	s_mov_b32 s74, -1
                                        ; implicit-def: $vgpr4_vgpr5
.LBB126_981:
	s_mov_b32 s1, 0
.LBB126_982:
	s_delay_alu instid0(SALU_CYCLE_1)
	s_and_b32 vcc_lo, exec_lo, s1
	s_cbranch_vccz .LBB126_1031
; %bb.983:
	s_and_b32 s0, 0xffff, s0
	s_delay_alu instid0(SALU_CYCLE_1)
	s_cmp_lt_i32 s0, 5
	s_cbranch_scc1 .LBB126_988
; %bb.984:
	s_cmp_lt_i32 s0, 8
	s_cbranch_scc1 .LBB126_989
; %bb.985:
	;; [unrolled: 3-line block ×3, first 2 shown]
	s_cmp_gt_i32 s0, 9
	s_cbranch_scc0 .LBB126_991
; %bb.987:
	s_wait_loadcnt 0x0
	global_load_b64 v[4:5], v[6:7], off
	s_mov_b32 s1, 0
	s_wait_loadcnt 0x0
	v_trunc_f64_e32 v[4:5], v[4:5]
	s_delay_alu instid0(VALU_DEP_1) | instskip(NEXT) | instid1(VALU_DEP_1)
	v_ldexp_f64 v[8:9], v[4:5], 0xffffffe0
	v_floor_f64_e32 v[8:9], v[8:9]
	s_delay_alu instid0(VALU_DEP_1) | instskip(SKIP_1) | instid1(VALU_DEP_2)
	v_fmamk_f64 v[10:11], v[8:9], 0xc1f00000, v[4:5]
	v_cvt_i32_f64_e32 v5, v[8:9]
	v_cvt_u32_f64_e32 v4, v[10:11]
	s_branch .LBB126_992
.LBB126_988:
	s_mov_b32 s1, -1
                                        ; implicit-def: $vgpr4_vgpr5
	s_branch .LBB126_1010
.LBB126_989:
	s_mov_b32 s1, -1
                                        ; implicit-def: $vgpr4_vgpr5
	s_branch .LBB126_998
.LBB126_990:
	s_mov_b32 s1, -1
                                        ; implicit-def: $vgpr4_vgpr5
	s_branch .LBB126_995
.LBB126_991:
	s_mov_b32 s1, -1
                                        ; implicit-def: $vgpr4_vgpr5
.LBB126_992:
	s_delay_alu instid0(SALU_CYCLE_1)
	s_and_not1_b32 vcc_lo, exec_lo, s1
	s_cbranch_vccnz .LBB126_994
; %bb.993:
	s_wait_loadcnt 0x0
	global_load_b32 v4, v[6:7], off
	s_wait_loadcnt 0x0
	v_trunc_f32_e32 v4, v4
	s_delay_alu instid0(VALU_DEP_1) | instskip(NEXT) | instid1(VALU_DEP_1)
	v_mul_f32_e64 v5, 0x2f800000, |v4|
	v_floor_f32_e32 v5, v5
	s_delay_alu instid0(VALU_DEP_1) | instskip(SKIP_2) | instid1(VALU_DEP_3)
	v_fma_f32 v8, 0xcf800000, v5, |v4|
	v_ashrrev_i32_e32 v4, 31, v4
	v_cvt_u32_f32_e32 v9, v5
	v_cvt_u32_f32_e32 v8, v8
	s_delay_alu instid0(VALU_DEP_2) | instskip(NEXT) | instid1(VALU_DEP_2)
	v_dual_mov_b32 v5, v4 :: v_dual_bitop2_b32 v9, v9, v4 bitop3:0x14
	v_xor_b32_e32 v8, v8, v4
	s_delay_alu instid0(VALU_DEP_1)
	v_sub_nc_u64_e32 v[4:5], v[8:9], v[4:5]
.LBB126_994:
	s_mov_b32 s1, 0
.LBB126_995:
	s_delay_alu instid0(SALU_CYCLE_1)
	s_and_not1_b32 vcc_lo, exec_lo, s1
	s_cbranch_vccnz .LBB126_997
; %bb.996:
	s_wait_loadcnt 0x0
	global_load_b32 v4, v[6:7], off
	s_wait_loadcnt 0x0
	v_cvt_f32_f16_e32 v4, v4
	s_delay_alu instid0(VALU_DEP_1) | instskip(NEXT) | instid1(VALU_DEP_1)
	v_cvt_i32_f32_e32 v4, v4
	v_ashrrev_i32_e32 v5, 31, v4
.LBB126_997:
	s_mov_b32 s1, 0
.LBB126_998:
	s_delay_alu instid0(SALU_CYCLE_1)
	s_and_not1_b32 vcc_lo, exec_lo, s1
	s_cbranch_vccnz .LBB126_1009
; %bb.999:
	s_cmp_lt_i32 s0, 6
	s_cbranch_scc1 .LBB126_1002
; %bb.1000:
	s_cmp_gt_i32 s0, 6
	s_cbranch_scc0 .LBB126_1003
; %bb.1001:
	s_wait_loadcnt 0x0
	global_load_b64 v[4:5], v[6:7], off
	s_mov_b32 s1, 0
	s_wait_loadcnt 0x0
	v_trunc_f64_e32 v[4:5], v[4:5]
	s_delay_alu instid0(VALU_DEP_1) | instskip(NEXT) | instid1(VALU_DEP_1)
	v_ldexp_f64 v[8:9], v[4:5], 0xffffffe0
	v_floor_f64_e32 v[8:9], v[8:9]
	s_delay_alu instid0(VALU_DEP_1) | instskip(SKIP_1) | instid1(VALU_DEP_2)
	v_fmamk_f64 v[10:11], v[8:9], 0xc1f00000, v[4:5]
	v_cvt_i32_f64_e32 v5, v[8:9]
	v_cvt_u32_f64_e32 v4, v[10:11]
	s_branch .LBB126_1004
.LBB126_1002:
	s_mov_b32 s1, -1
                                        ; implicit-def: $vgpr4_vgpr5
	s_branch .LBB126_1007
.LBB126_1003:
	s_mov_b32 s1, -1
                                        ; implicit-def: $vgpr4_vgpr5
.LBB126_1004:
	s_delay_alu instid0(SALU_CYCLE_1)
	s_and_not1_b32 vcc_lo, exec_lo, s1
	s_cbranch_vccnz .LBB126_1006
; %bb.1005:
	s_wait_loadcnt 0x0
	global_load_b32 v4, v[6:7], off
	s_wait_loadcnt 0x0
	v_trunc_f32_e32 v4, v4
	s_delay_alu instid0(VALU_DEP_1) | instskip(NEXT) | instid1(VALU_DEP_1)
	v_mul_f32_e64 v5, 0x2f800000, |v4|
	v_floor_f32_e32 v5, v5
	s_delay_alu instid0(VALU_DEP_1) | instskip(SKIP_2) | instid1(VALU_DEP_3)
	v_fma_f32 v8, 0xcf800000, v5, |v4|
	v_ashrrev_i32_e32 v4, 31, v4
	v_cvt_u32_f32_e32 v9, v5
	v_cvt_u32_f32_e32 v8, v8
	s_delay_alu instid0(VALU_DEP_2) | instskip(NEXT) | instid1(VALU_DEP_2)
	v_dual_mov_b32 v5, v4 :: v_dual_bitop2_b32 v9, v9, v4 bitop3:0x14
	v_xor_b32_e32 v8, v8, v4
	s_delay_alu instid0(VALU_DEP_1)
	v_sub_nc_u64_e32 v[4:5], v[8:9], v[4:5]
.LBB126_1006:
	s_mov_b32 s1, 0
.LBB126_1007:
	s_delay_alu instid0(SALU_CYCLE_1)
	s_and_not1_b32 vcc_lo, exec_lo, s1
	s_cbranch_vccnz .LBB126_1009
; %bb.1008:
	s_wait_loadcnt 0x0
	global_load_u16 v4, v[6:7], off
	s_wait_loadcnt 0x0
	v_cvt_f32_f16_e32 v4, v4
	s_delay_alu instid0(VALU_DEP_1) | instskip(NEXT) | instid1(VALU_DEP_1)
	v_cvt_i32_f32_e32 v4, v4
	v_ashrrev_i32_e32 v5, 31, v4
.LBB126_1009:
	s_mov_b32 s1, 0
.LBB126_1010:
	s_delay_alu instid0(SALU_CYCLE_1)
	s_and_not1_b32 vcc_lo, exec_lo, s1
	s_cbranch_vccnz .LBB126_1030
; %bb.1011:
	s_cmp_lt_i32 s0, 2
	s_cbranch_scc1 .LBB126_1015
; %bb.1012:
	s_cmp_lt_i32 s0, 3
	s_cbranch_scc1 .LBB126_1016
; %bb.1013:
	s_cmp_gt_i32 s0, 3
	s_cbranch_scc0 .LBB126_1017
; %bb.1014:
	s_wait_loadcnt 0x0
	global_load_b64 v[4:5], v[6:7], off
	s_mov_b32 s1, 0
	s_branch .LBB126_1018
.LBB126_1015:
	s_mov_b32 s1, -1
                                        ; implicit-def: $vgpr4_vgpr5
	s_branch .LBB126_1024
.LBB126_1016:
	s_mov_b32 s1, -1
                                        ; implicit-def: $vgpr4_vgpr5
	s_branch .LBB126_1021
.LBB126_1017:
	s_mov_b32 s1, -1
                                        ; implicit-def: $vgpr4_vgpr5
.LBB126_1018:
	s_delay_alu instid0(SALU_CYCLE_1)
	s_and_not1_b32 vcc_lo, exec_lo, s1
	s_cbranch_vccnz .LBB126_1020
; %bb.1019:
	s_wait_loadcnt 0x0
	global_load_b32 v4, v[6:7], off
	s_wait_loadcnt 0x0
	v_ashrrev_i32_e32 v5, 31, v4
.LBB126_1020:
	s_mov_b32 s1, 0
.LBB126_1021:
	s_delay_alu instid0(SALU_CYCLE_1)
	s_and_not1_b32 vcc_lo, exec_lo, s1
	s_cbranch_vccnz .LBB126_1023
; %bb.1022:
	s_wait_loadcnt 0x0
	global_load_u16 v4, v[6:7], off
	s_wait_loadcnt 0x0
	v_bfe_i32 v4, v4, 0, 16
	s_delay_alu instid0(VALU_DEP_1)
	v_ashrrev_i32_e32 v5, 31, v4
.LBB126_1023:
	s_mov_b32 s1, 0
.LBB126_1024:
	s_delay_alu instid0(SALU_CYCLE_1)
	s_and_not1_b32 vcc_lo, exec_lo, s1
	s_cbranch_vccnz .LBB126_1030
; %bb.1025:
	s_cmp_gt_i32 s0, 0
	s_mov_b32 s0, 0
	s_cbranch_scc0 .LBB126_1027
; %bb.1026:
	s_wait_loadcnt 0x0
	global_load_i8 v4, v[6:7], off
	s_wait_loadcnt 0x0
	v_bfe_i32 v4, v4, 0, 16
	s_delay_alu instid0(VALU_DEP_1)
	v_ashrrev_i32_e32 v5, 31, v4
	s_branch .LBB126_1028
.LBB126_1027:
	s_mov_b32 s0, -1
                                        ; implicit-def: $vgpr4_vgpr5
.LBB126_1028:
	s_delay_alu instid0(SALU_CYCLE_1)
	s_and_not1_b32 vcc_lo, exec_lo, s0
	s_cbranch_vccnz .LBB126_1030
; %bb.1029:
	s_wait_loadcnt 0x0
	global_load_u8 v4, v[6:7], off
	s_mov_b32 s0, 0
	s_delay_alu instid0(SALU_CYCLE_1)
	v_mov_b32_e32 v5, s0
	s_wait_loadcnt 0x0
	v_and_b32_e32 v4, 0xffff, v4
.LBB126_1030:
	s_mov_b32 s31, -1
.LBB126_1031:
	s_delay_alu instid0(SALU_CYCLE_1)
	s_and_not1_b32 vcc_lo, exec_lo, s31
	s_cbranch_vccnz .LBB126_1039
; %bb.1032:
	s_wait_xcnt 0x0
	v_mul_lo_u32 v6, v22, s2
	s_and_b32 s0, s27, 0xff
	s_delay_alu instid0(SALU_CYCLE_1) | instskip(NEXT) | instid1(VALU_DEP_1)
	s_cmp_lt_i32 s0, 11
	v_ashrrev_i32_e32 v7, 31, v6
	s_delay_alu instid0(VALU_DEP_1)
	v_add_nc_u64_e32 v[8:9], s[12:13], v[6:7]
	s_cbranch_scc1 .LBB126_1040
; %bb.1033:
	s_and_b32 s1, 0xffff, s0
	s_delay_alu instid0(SALU_CYCLE_1)
	s_cmp_gt_i32 s1, 25
	s_cbranch_scc0 .LBB126_1041
; %bb.1034:
	s_cmp_gt_i32 s1, 28
	s_cbranch_scc0 .LBB126_1042
; %bb.1035:
	;; [unrolled: 3-line block ×4, first 2 shown]
	s_cmp_eq_u32 s1, 46
	s_mov_b32 s34, 0
	s_cbranch_scc0 .LBB126_1046
; %bb.1038:
	global_load_b32 v6, v[8:9], off
	s_mov_b32 s31, -1
	s_mov_b32 s77, 0
	s_wait_loadcnt 0x0
	v_lshlrev_b32_e32 v6, 16, v6
	s_delay_alu instid0(VALU_DEP_1) | instskip(NEXT) | instid1(VALU_DEP_1)
	v_trunc_f32_e32 v6, v6
	v_mul_f32_e64 v7, 0x2f800000, |v6|
	s_delay_alu instid0(VALU_DEP_1) | instskip(NEXT) | instid1(VALU_DEP_1)
	v_floor_f32_e32 v7, v7
	v_fma_f32 v10, 0xcf800000, v7, |v6|
	v_ashrrev_i32_e32 v6, 31, v6
	v_cvt_u32_f32_e32 v11, v7
	s_delay_alu instid0(VALU_DEP_3) | instskip(NEXT) | instid1(VALU_DEP_2)
	v_cvt_u32_f32_e32 v10, v10
	v_dual_mov_b32 v7, v6 :: v_dual_bitop2_b32 v11, v11, v6 bitop3:0x14
	s_delay_alu instid0(VALU_DEP_2) | instskip(NEXT) | instid1(VALU_DEP_1)
	v_xor_b32_e32 v10, v10, v6
	v_sub_nc_u64_e32 v[6:7], v[10:11], v[6:7]
	s_branch .LBB126_1048
.LBB126_1039:
	s_mov_b32 s0, 0
	s_mov_b32 s1, s61
	;; [unrolled: 1-line block ×8, first 2 shown]
	s_branch .LBB126_1297
.LBB126_1040:
	s_mov_b32 s1, -1
	s_mov_b32 s31, 0
	s_mov_b32 s77, s68
                                        ; implicit-def: $vgpr6_vgpr7
	s_branch .LBB126_1109
.LBB126_1041:
	s_mov_b32 s34, -1
	s_mov_b32 s31, 0
	s_mov_b32 s77, s68
                                        ; implicit-def: $vgpr6_vgpr7
	s_branch .LBB126_1075
.LBB126_1042:
	s_mov_b32 s34, -1
	s_mov_b32 s31, 0
	s_mov_b32 s77, s68
                                        ; implicit-def: $vgpr6_vgpr7
	s_branch .LBB126_1058
.LBB126_1043:
	s_mov_b32 s34, -1
	s_mov_b32 s31, 0
	s_mov_b32 s77, s68
                                        ; implicit-def: $vgpr6_vgpr7
	s_branch .LBB126_1053
.LBB126_1044:
	s_mov_b32 s34, -1
	s_mov_b32 s31, 0
	s_mov_b32 s77, s68
	s_branch .LBB126_1047
.LBB126_1045:
	s_mov_b32 s45, -1
	s_mov_b32 s31, 0
	s_mov_b32 s44, 0
	s_branch .LBB126_1843
.LBB126_1046:
	s_mov_b32 s77, -1
	s_mov_b32 s31, 0
.LBB126_1047:
                                        ; implicit-def: $vgpr6_vgpr7
.LBB126_1048:
	s_and_b32 vcc_lo, exec_lo, s34
	s_cbranch_vccz .LBB126_1052
; %bb.1049:
	s_cmp_eq_u32 s1, 44
	s_cbranch_scc0 .LBB126_1051
; %bb.1050:
	global_load_u8 v12, v[8:9], off
	s_mov_b32 s77, 0
	s_mov_b32 s31, -1
	s_wait_loadcnt 0x0
	v_cmp_ne_u32_e32 vcc_lo, 0, v12
	v_lshlrev_b32_e32 v6, 23, v12
	s_delay_alu instid0(VALU_DEP_1) | instskip(NEXT) | instid1(VALU_DEP_1)
	v_trunc_f32_e32 v6, v6
	v_mul_f32_e64 v7, 0x2f800000, |v6|
	s_delay_alu instid0(VALU_DEP_1) | instskip(NEXT) | instid1(VALU_DEP_1)
	v_floor_f32_e32 v7, v7
	v_fma_f32 v10, 0xcf800000, v7, |v6|
	v_ashrrev_i32_e32 v6, 31, v6
	v_cvt_u32_f32_e32 v11, v7
	s_delay_alu instid0(VALU_DEP_3) | instskip(NEXT) | instid1(VALU_DEP_2)
	v_cvt_u32_f32_e32 v10, v10
	v_dual_mov_b32 v7, v6 :: v_dual_bitop2_b32 v11, v11, v6 bitop3:0x14
	s_delay_alu instid0(VALU_DEP_2) | instskip(NEXT) | instid1(VALU_DEP_1)
	v_xor_b32_e32 v10, v10, v6
	v_sub_nc_u64_e32 v[6:7], v[10:11], v[6:7]
	s_delay_alu instid0(VALU_DEP_1)
	v_dual_cndmask_b32 v7, 0, v7 :: v_dual_cndmask_b32 v6, 0, v6
	s_branch .LBB126_1052
.LBB126_1051:
	s_mov_b32 s77, -1
                                        ; implicit-def: $vgpr6_vgpr7
.LBB126_1052:
	s_mov_b32 s34, 0
.LBB126_1053:
	s_delay_alu instid0(SALU_CYCLE_1)
	s_and_b32 vcc_lo, exec_lo, s34
	s_cbranch_vccz .LBB126_1057
; %bb.1054:
	s_cmp_eq_u32 s1, 29
	s_cbranch_scc0 .LBB126_1056
; %bb.1055:
	global_load_b64 v[6:7], v[8:9], off
	s_mov_b32 s31, -1
	s_mov_b32 s77, 0
	s_branch .LBB126_1057
.LBB126_1056:
	s_mov_b32 s77, -1
                                        ; implicit-def: $vgpr6_vgpr7
.LBB126_1057:
	s_mov_b32 s34, 0
.LBB126_1058:
	s_delay_alu instid0(SALU_CYCLE_1)
	s_and_b32 vcc_lo, exec_lo, s34
	s_cbranch_vccz .LBB126_1074
; %bb.1059:
	s_cmp_lt_i32 s1, 27
	s_cbranch_scc1 .LBB126_1062
; %bb.1060:
	s_cmp_gt_i32 s1, 27
	s_cbranch_scc0 .LBB126_1063
; %bb.1061:
	s_wait_loadcnt 0x0
	global_load_b32 v6, v[8:9], off
	v_mov_b32_e32 v7, 0
	s_mov_b32 s31, 0
	s_branch .LBB126_1064
.LBB126_1062:
	s_mov_b32 s31, -1
                                        ; implicit-def: $vgpr6_vgpr7
	s_branch .LBB126_1067
.LBB126_1063:
	s_mov_b32 s31, -1
                                        ; implicit-def: $vgpr6_vgpr7
.LBB126_1064:
	s_delay_alu instid0(SALU_CYCLE_1)
	s_and_not1_b32 vcc_lo, exec_lo, s31
	s_cbranch_vccnz .LBB126_1066
; %bb.1065:
	s_wait_loadcnt 0x0
	global_load_u16 v6, v[8:9], off
	s_mov_b32 s31, 0
	s_delay_alu instid0(SALU_CYCLE_1)
	v_mov_b32_e32 v7, s31
	s_wait_loadcnt 0x0
	v_and_b32_e32 v6, 0xffff, v6
.LBB126_1066:
	s_mov_b32 s31, 0
.LBB126_1067:
	s_delay_alu instid0(SALU_CYCLE_1)
	s_and_not1_b32 vcc_lo, exec_lo, s31
	s_cbranch_vccnz .LBB126_1073
; %bb.1068:
	global_load_u8 v10, v[8:9], off
	s_mov_b32 s34, 0
	s_mov_b32 s31, exec_lo
	s_wait_loadcnt 0x0
	v_cmpx_lt_i16_e32 0x7f, v10
	s_xor_b32 s31, exec_lo, s31
	s_cbranch_execz .LBB126_1085
; %bb.1069:
	v_cmp_ne_u16_e32 vcc_lo, 0x80, v10
	s_and_b32 s34, vcc_lo, exec_lo
	s_and_not1_saveexec_b32 s31, s31
	s_cbranch_execnz .LBB126_1086
.LBB126_1070:
	s_or_b32 exec_lo, exec_lo, s31
	v_mov_b64_e32 v[6:7], 0
	s_and_saveexec_b32 s31, s34
	s_cbranch_execz .LBB126_1072
.LBB126_1071:
	v_and_b32_e32 v6, 0xffff, v10
	s_delay_alu instid0(VALU_DEP_1) | instskip(SKIP_1) | instid1(VALU_DEP_2)
	v_and_b32_e32 v7, 7, v6
	v_bfe_u32 v13, v6, 3, 4
	v_clz_i32_u32_e32 v11, v7
	s_delay_alu instid0(VALU_DEP_2) | instskip(NEXT) | instid1(VALU_DEP_2)
	v_cmp_eq_u32_e32 vcc_lo, 0, v13
	v_min_u32_e32 v11, 32, v11
	s_delay_alu instid0(VALU_DEP_1) | instskip(NEXT) | instid1(VALU_DEP_1)
	v_subrev_nc_u32_e32 v12, 28, v11
	v_dual_lshlrev_b32 v6, v12, v6 :: v_dual_sub_nc_u32 v11, 29, v11
	s_delay_alu instid0(VALU_DEP_1) | instskip(NEXT) | instid1(VALU_DEP_2)
	v_and_b32_e32 v6, 7, v6
	v_dual_cndmask_b32 v11, v13, v11 :: v_dual_lshlrev_b32 v10, 24, v10
	s_delay_alu instid0(VALU_DEP_2) | instskip(NEXT) | instid1(VALU_DEP_2)
	v_cndmask_b32_e32 v6, v7, v6, vcc_lo
	v_and_b32_e32 v7, 0x80000000, v10
	s_delay_alu instid0(VALU_DEP_3) | instskip(NEXT) | instid1(VALU_DEP_3)
	v_lshl_add_u32 v10, v11, 23, 0x3b800000
	v_lshlrev_b32_e32 v6, 20, v6
	s_delay_alu instid0(VALU_DEP_1) | instskip(NEXT) | instid1(VALU_DEP_1)
	v_or3_b32 v6, v7, v10, v6
	v_trunc_f32_e32 v6, v6
	s_delay_alu instid0(VALU_DEP_1) | instskip(NEXT) | instid1(VALU_DEP_1)
	v_mul_f32_e64 v7, 0x2f800000, |v6|
	v_floor_f32_e32 v7, v7
	s_delay_alu instid0(VALU_DEP_1) | instskip(SKIP_2) | instid1(VALU_DEP_3)
	v_fma_f32 v10, 0xcf800000, v7, |v6|
	v_ashrrev_i32_e32 v6, 31, v6
	v_cvt_u32_f32_e32 v11, v7
	v_cvt_u32_f32_e32 v10, v10
	s_delay_alu instid0(VALU_DEP_2) | instskip(NEXT) | instid1(VALU_DEP_2)
	v_dual_mov_b32 v7, v6 :: v_dual_bitop2_b32 v11, v11, v6 bitop3:0x14
	v_xor_b32_e32 v10, v10, v6
	s_delay_alu instid0(VALU_DEP_1)
	v_sub_nc_u64_e32 v[6:7], v[10:11], v[6:7]
.LBB126_1072:
	s_or_b32 exec_lo, exec_lo, s31
.LBB126_1073:
	s_mov_b32 s31, -1
.LBB126_1074:
	s_mov_b32 s34, 0
.LBB126_1075:
	s_delay_alu instid0(SALU_CYCLE_1)
	s_and_b32 vcc_lo, exec_lo, s34
	s_cbranch_vccz .LBB126_1108
; %bb.1076:
	s_cmp_gt_i32 s1, 22
	s_cbranch_scc0 .LBB126_1084
; %bb.1077:
	s_cmp_lt_i32 s1, 24
	s_cbranch_scc1 .LBB126_1087
; %bb.1078:
	s_cmp_gt_i32 s1, 24
	s_cbranch_scc0 .LBB126_1088
; %bb.1079:
	global_load_u8 v10, v[8:9], off
	s_mov_b32 s34, 0
	s_mov_b32 s31, exec_lo
	s_wait_loadcnt 0x0
	v_cmpx_lt_i16_e32 0x7f, v10
	s_xor_b32 s31, exec_lo, s31
	s_cbranch_execz .LBB126_1100
; %bb.1080:
	v_cmp_ne_u16_e32 vcc_lo, 0x80, v10
	s_and_b32 s34, vcc_lo, exec_lo
	s_and_not1_saveexec_b32 s31, s31
	s_cbranch_execnz .LBB126_1101
.LBB126_1081:
	s_or_b32 exec_lo, exec_lo, s31
	v_mov_b64_e32 v[6:7], 0
	s_and_saveexec_b32 s31, s34
	s_cbranch_execz .LBB126_1083
.LBB126_1082:
	v_and_b32_e32 v6, 0xffff, v10
	s_delay_alu instid0(VALU_DEP_1) | instskip(SKIP_1) | instid1(VALU_DEP_2)
	v_and_b32_e32 v7, 3, v6
	v_bfe_u32 v13, v6, 2, 5
	v_clz_i32_u32_e32 v11, v7
	s_delay_alu instid0(VALU_DEP_2) | instskip(NEXT) | instid1(VALU_DEP_2)
	v_cmp_eq_u32_e32 vcc_lo, 0, v13
	v_min_u32_e32 v11, 32, v11
	s_delay_alu instid0(VALU_DEP_1) | instskip(NEXT) | instid1(VALU_DEP_1)
	v_subrev_nc_u32_e32 v12, 29, v11
	v_dual_lshlrev_b32 v6, v12, v6 :: v_dual_sub_nc_u32 v11, 30, v11
	s_delay_alu instid0(VALU_DEP_1) | instskip(NEXT) | instid1(VALU_DEP_2)
	v_and_b32_e32 v6, 3, v6
	v_dual_cndmask_b32 v11, v13, v11 :: v_dual_lshlrev_b32 v10, 24, v10
	s_delay_alu instid0(VALU_DEP_2) | instskip(NEXT) | instid1(VALU_DEP_2)
	v_cndmask_b32_e32 v6, v7, v6, vcc_lo
	v_and_b32_e32 v7, 0x80000000, v10
	s_delay_alu instid0(VALU_DEP_3) | instskip(NEXT) | instid1(VALU_DEP_3)
	v_lshl_add_u32 v10, v11, 23, 0x37800000
	v_lshlrev_b32_e32 v6, 21, v6
	s_delay_alu instid0(VALU_DEP_1) | instskip(NEXT) | instid1(VALU_DEP_1)
	v_or3_b32 v6, v7, v10, v6
	v_trunc_f32_e32 v6, v6
	s_delay_alu instid0(VALU_DEP_1) | instskip(NEXT) | instid1(VALU_DEP_1)
	v_mul_f32_e64 v7, 0x2f800000, |v6|
	v_floor_f32_e32 v7, v7
	s_delay_alu instid0(VALU_DEP_1) | instskip(SKIP_2) | instid1(VALU_DEP_3)
	v_fma_f32 v10, 0xcf800000, v7, |v6|
	v_ashrrev_i32_e32 v6, 31, v6
	v_cvt_u32_f32_e32 v11, v7
	v_cvt_u32_f32_e32 v10, v10
	s_delay_alu instid0(VALU_DEP_2) | instskip(NEXT) | instid1(VALU_DEP_2)
	v_dual_mov_b32 v7, v6 :: v_dual_bitop2_b32 v11, v11, v6 bitop3:0x14
	v_xor_b32_e32 v10, v10, v6
	s_delay_alu instid0(VALU_DEP_1)
	v_sub_nc_u64_e32 v[6:7], v[10:11], v[6:7]
.LBB126_1083:
	s_or_b32 exec_lo, exec_lo, s31
	s_mov_b32 s31, 0
	s_branch .LBB126_1089
.LBB126_1084:
	s_mov_b32 s34, -1
                                        ; implicit-def: $vgpr6_vgpr7
	s_branch .LBB126_1095
.LBB126_1085:
	s_and_not1_saveexec_b32 s31, s31
	s_cbranch_execz .LBB126_1070
.LBB126_1086:
	v_cmp_ne_u16_e32 vcc_lo, 0, v10
	s_and_not1_b32 s34, s34, exec_lo
	s_and_b32 s35, vcc_lo, exec_lo
	s_delay_alu instid0(SALU_CYCLE_1)
	s_or_b32 s34, s34, s35
	s_or_b32 exec_lo, exec_lo, s31
	v_mov_b64_e32 v[6:7], 0
	s_and_saveexec_b32 s31, s34
	s_cbranch_execnz .LBB126_1071
	s_branch .LBB126_1072
.LBB126_1087:
	s_mov_b32 s31, -1
                                        ; implicit-def: $vgpr6_vgpr7
	s_branch .LBB126_1092
.LBB126_1088:
	s_mov_b32 s31, -1
                                        ; implicit-def: $vgpr6_vgpr7
.LBB126_1089:
	s_delay_alu instid0(SALU_CYCLE_1)
	s_and_b32 vcc_lo, exec_lo, s31
	s_cbranch_vccz .LBB126_1091
; %bb.1090:
	s_wait_loadcnt 0x0
	global_load_u8 v6, v[8:9], off
	s_wait_loadcnt 0x0
	v_lshlrev_b32_e32 v6, 24, v6
	s_delay_alu instid0(VALU_DEP_1) | instskip(NEXT) | instid1(VALU_DEP_1)
	v_and_b32_e32 v7, 0x7f000000, v6
	v_clz_i32_u32_e32 v10, v7
	v_cmp_ne_u32_e32 vcc_lo, 0, v7
	v_add_nc_u32_e32 v12, 0x1000000, v7
	s_delay_alu instid0(VALU_DEP_3) | instskip(NEXT) | instid1(VALU_DEP_1)
	v_min_u32_e32 v10, 32, v10
	v_sub_nc_u32_e64 v10, v10, 4 clamp
	s_delay_alu instid0(VALU_DEP_1) | instskip(NEXT) | instid1(VALU_DEP_1)
	v_dual_lshlrev_b32 v11, v10, v7 :: v_dual_lshlrev_b32 v10, 23, v10
	v_lshrrev_b32_e32 v11, 4, v11
	s_delay_alu instid0(VALU_DEP_1) | instskip(NEXT) | instid1(VALU_DEP_1)
	v_dual_sub_nc_u32 v10, v11, v10 :: v_dual_ashrrev_i32 v11, 8, v12
	v_add_nc_u32_e32 v10, 0x3c000000, v10
	s_delay_alu instid0(VALU_DEP_1) | instskip(NEXT) | instid1(VALU_DEP_1)
	v_and_or_b32 v10, 0x7f800000, v11, v10
	v_cndmask_b32_e32 v7, 0, v10, vcc_lo
	s_delay_alu instid0(VALU_DEP_1) | instskip(NEXT) | instid1(VALU_DEP_1)
	v_and_or_b32 v6, 0x80000000, v6, v7
	v_trunc_f32_e32 v6, v6
	s_delay_alu instid0(VALU_DEP_1) | instskip(NEXT) | instid1(VALU_DEP_1)
	v_mul_f32_e64 v7, 0x2f800000, |v6|
	v_floor_f32_e32 v7, v7
	s_delay_alu instid0(VALU_DEP_1) | instskip(SKIP_2) | instid1(VALU_DEP_3)
	v_fma_f32 v10, 0xcf800000, v7, |v6|
	v_ashrrev_i32_e32 v6, 31, v6
	v_cvt_u32_f32_e32 v11, v7
	v_cvt_u32_f32_e32 v10, v10
	s_delay_alu instid0(VALU_DEP_2) | instskip(NEXT) | instid1(VALU_DEP_2)
	v_dual_mov_b32 v7, v6 :: v_dual_bitop2_b32 v11, v11, v6 bitop3:0x14
	v_xor_b32_e32 v10, v10, v6
	s_delay_alu instid0(VALU_DEP_1)
	v_sub_nc_u64_e32 v[6:7], v[10:11], v[6:7]
.LBB126_1091:
	s_mov_b32 s31, 0
.LBB126_1092:
	s_delay_alu instid0(SALU_CYCLE_1)
	s_and_not1_b32 vcc_lo, exec_lo, s31
	s_cbranch_vccnz .LBB126_1094
; %bb.1093:
	s_wait_loadcnt 0x0
	global_load_u8 v6, v[8:9], off
	s_wait_loadcnt 0x0
	v_lshlrev_b32_e32 v7, 25, v6
	v_lshlrev_b16 v6, 8, v6
	s_delay_alu instid0(VALU_DEP_1) | instskip(SKIP_1) | instid1(VALU_DEP_2)
	v_and_or_b32 v11, 0x7f00, v6, 0.5
	v_bfe_i32 v6, v6, 0, 16
	v_add_f32_e32 v11, -0.5, v11
	v_lshrrev_b32_e32 v10, 4, v7
	v_cmp_gt_u32_e32 vcc_lo, 0x8000000, v7
	s_delay_alu instid0(VALU_DEP_2) | instskip(NEXT) | instid1(VALU_DEP_1)
	v_or_b32_e32 v10, 0x70000000, v10
	v_mul_f32_e32 v10, 0x7800000, v10
	s_delay_alu instid0(VALU_DEP_1) | instskip(NEXT) | instid1(VALU_DEP_1)
	v_cndmask_b32_e32 v7, v10, v11, vcc_lo
	v_and_or_b32 v6, 0x80000000, v6, v7
	s_delay_alu instid0(VALU_DEP_1) | instskip(NEXT) | instid1(VALU_DEP_1)
	v_trunc_f32_e32 v6, v6
	v_mul_f32_e64 v7, 0x2f800000, |v6|
	s_delay_alu instid0(VALU_DEP_1) | instskip(NEXT) | instid1(VALU_DEP_1)
	v_floor_f32_e32 v7, v7
	v_fma_f32 v10, 0xcf800000, v7, |v6|
	v_ashrrev_i32_e32 v6, 31, v6
	v_cvt_u32_f32_e32 v11, v7
	s_delay_alu instid0(VALU_DEP_3) | instskip(NEXT) | instid1(VALU_DEP_2)
	v_cvt_u32_f32_e32 v10, v10
	v_dual_mov_b32 v7, v6 :: v_dual_bitop2_b32 v11, v11, v6 bitop3:0x14
	s_delay_alu instid0(VALU_DEP_2) | instskip(NEXT) | instid1(VALU_DEP_1)
	v_xor_b32_e32 v10, v10, v6
	v_sub_nc_u64_e32 v[6:7], v[10:11], v[6:7]
.LBB126_1094:
	s_mov_b32 s34, 0
	s_mov_b32 s31, -1
.LBB126_1095:
	s_and_not1_b32 vcc_lo, exec_lo, s34
	s_cbranch_vccnz .LBB126_1108
; %bb.1096:
	s_cmp_gt_i32 s1, 14
	s_cbranch_scc0 .LBB126_1099
; %bb.1097:
	s_cmp_eq_u32 s1, 15
	s_cbranch_scc0 .LBB126_1102
; %bb.1098:
	s_wait_loadcnt 0x0
	global_load_u16 v6, v[8:9], off
	s_mov_b32 s31, -1
	s_mov_b32 s77, 0
	s_wait_loadcnt 0x0
	v_lshlrev_b32_e32 v6, 16, v6
	s_delay_alu instid0(VALU_DEP_1) | instskip(NEXT) | instid1(VALU_DEP_1)
	v_trunc_f32_e32 v6, v6
	v_mul_f32_e64 v7, 0x2f800000, |v6|
	s_delay_alu instid0(VALU_DEP_1) | instskip(NEXT) | instid1(VALU_DEP_1)
	v_floor_f32_e32 v7, v7
	v_fma_f32 v10, 0xcf800000, v7, |v6|
	v_ashrrev_i32_e32 v6, 31, v6
	v_cvt_u32_f32_e32 v11, v7
	s_delay_alu instid0(VALU_DEP_3) | instskip(NEXT) | instid1(VALU_DEP_2)
	v_cvt_u32_f32_e32 v10, v10
	v_dual_mov_b32 v7, v6 :: v_dual_bitop2_b32 v11, v11, v6 bitop3:0x14
	s_delay_alu instid0(VALU_DEP_2) | instskip(NEXT) | instid1(VALU_DEP_1)
	v_xor_b32_e32 v10, v10, v6
	v_sub_nc_u64_e32 v[6:7], v[10:11], v[6:7]
	s_branch .LBB126_1103
.LBB126_1099:
	s_mov_b32 s34, -1
                                        ; implicit-def: $vgpr6_vgpr7
	s_branch .LBB126_1104
.LBB126_1100:
	s_and_not1_saveexec_b32 s31, s31
	s_cbranch_execz .LBB126_1081
.LBB126_1101:
	v_cmp_ne_u16_e32 vcc_lo, 0, v10
	s_and_not1_b32 s34, s34, exec_lo
	s_and_b32 s35, vcc_lo, exec_lo
	s_delay_alu instid0(SALU_CYCLE_1)
	s_or_b32 s34, s34, s35
	s_or_b32 exec_lo, exec_lo, s31
	v_mov_b64_e32 v[6:7], 0
	s_and_saveexec_b32 s31, s34
	s_cbranch_execnz .LBB126_1082
	s_branch .LBB126_1083
.LBB126_1102:
	s_mov_b32 s77, -1
                                        ; implicit-def: $vgpr6_vgpr7
.LBB126_1103:
	s_mov_b32 s34, 0
.LBB126_1104:
	s_delay_alu instid0(SALU_CYCLE_1)
	s_and_b32 vcc_lo, exec_lo, s34
	s_cbranch_vccz .LBB126_1108
; %bb.1105:
	s_cmp_eq_u32 s1, 11
	s_cbranch_scc0 .LBB126_1107
; %bb.1106:
	s_wait_loadcnt 0x0
	global_load_u8 v6, v[8:9], off
	s_mov_b32 s77, 0
	s_mov_b32 s31, -1
	v_mov_b32_e32 v7, s77
	s_wait_loadcnt 0x0
	v_cmp_ne_u16_e32 vcc_lo, 0, v6
	v_cndmask_b32_e64 v6, 0, 1, vcc_lo
	s_branch .LBB126_1108
.LBB126_1107:
	s_mov_b32 s77, -1
                                        ; implicit-def: $vgpr6_vgpr7
.LBB126_1108:
	s_mov_b32 s1, 0
.LBB126_1109:
	s_delay_alu instid0(SALU_CYCLE_1)
	s_and_b32 vcc_lo, exec_lo, s1
	s_cbranch_vccz .LBB126_1158
; %bb.1110:
	s_and_b32 s0, 0xffff, s0
	s_delay_alu instid0(SALU_CYCLE_1)
	s_cmp_lt_i32 s0, 5
	s_cbranch_scc1 .LBB126_1115
; %bb.1111:
	s_cmp_lt_i32 s0, 8
	s_cbranch_scc1 .LBB126_1116
; %bb.1112:
	;; [unrolled: 3-line block ×3, first 2 shown]
	s_cmp_gt_i32 s0, 9
	s_cbranch_scc0 .LBB126_1118
; %bb.1114:
	s_wait_loadcnt 0x0
	global_load_b64 v[6:7], v[8:9], off
	s_mov_b32 s1, 0
	s_wait_loadcnt 0x0
	v_trunc_f64_e32 v[6:7], v[6:7]
	s_delay_alu instid0(VALU_DEP_1) | instskip(NEXT) | instid1(VALU_DEP_1)
	v_ldexp_f64 v[10:11], v[6:7], 0xffffffe0
	v_floor_f64_e32 v[10:11], v[10:11]
	s_delay_alu instid0(VALU_DEP_1) | instskip(SKIP_1) | instid1(VALU_DEP_2)
	v_fmamk_f64 v[12:13], v[10:11], 0xc1f00000, v[6:7]
	v_cvt_i32_f64_e32 v7, v[10:11]
	v_cvt_u32_f64_e32 v6, v[12:13]
	s_branch .LBB126_1119
.LBB126_1115:
	s_mov_b32 s1, -1
                                        ; implicit-def: $vgpr6_vgpr7
	s_branch .LBB126_1137
.LBB126_1116:
	s_mov_b32 s1, -1
                                        ; implicit-def: $vgpr6_vgpr7
	s_branch .LBB126_1125
.LBB126_1117:
	s_mov_b32 s1, -1
                                        ; implicit-def: $vgpr6_vgpr7
	s_branch .LBB126_1122
.LBB126_1118:
	s_mov_b32 s1, -1
                                        ; implicit-def: $vgpr6_vgpr7
.LBB126_1119:
	s_delay_alu instid0(SALU_CYCLE_1)
	s_and_not1_b32 vcc_lo, exec_lo, s1
	s_cbranch_vccnz .LBB126_1121
; %bb.1120:
	s_wait_loadcnt 0x0
	global_load_b32 v6, v[8:9], off
	s_wait_loadcnt 0x0
	v_trunc_f32_e32 v6, v6
	s_delay_alu instid0(VALU_DEP_1) | instskip(NEXT) | instid1(VALU_DEP_1)
	v_mul_f32_e64 v7, 0x2f800000, |v6|
	v_floor_f32_e32 v7, v7
	s_delay_alu instid0(VALU_DEP_1) | instskip(SKIP_2) | instid1(VALU_DEP_3)
	v_fma_f32 v10, 0xcf800000, v7, |v6|
	v_ashrrev_i32_e32 v6, 31, v6
	v_cvt_u32_f32_e32 v11, v7
	v_cvt_u32_f32_e32 v10, v10
	s_delay_alu instid0(VALU_DEP_2) | instskip(NEXT) | instid1(VALU_DEP_2)
	v_dual_mov_b32 v7, v6 :: v_dual_bitop2_b32 v11, v11, v6 bitop3:0x14
	v_xor_b32_e32 v10, v10, v6
	s_delay_alu instid0(VALU_DEP_1)
	v_sub_nc_u64_e32 v[6:7], v[10:11], v[6:7]
.LBB126_1121:
	s_mov_b32 s1, 0
.LBB126_1122:
	s_delay_alu instid0(SALU_CYCLE_1)
	s_and_not1_b32 vcc_lo, exec_lo, s1
	s_cbranch_vccnz .LBB126_1124
; %bb.1123:
	s_wait_loadcnt 0x0
	global_load_b32 v6, v[8:9], off
	s_wait_loadcnt 0x0
	v_cvt_f32_f16_e32 v6, v6
	s_delay_alu instid0(VALU_DEP_1) | instskip(NEXT) | instid1(VALU_DEP_1)
	v_cvt_i32_f32_e32 v6, v6
	v_ashrrev_i32_e32 v7, 31, v6
.LBB126_1124:
	s_mov_b32 s1, 0
.LBB126_1125:
	s_delay_alu instid0(SALU_CYCLE_1)
	s_and_not1_b32 vcc_lo, exec_lo, s1
	s_cbranch_vccnz .LBB126_1136
; %bb.1126:
	s_cmp_lt_i32 s0, 6
	s_cbranch_scc1 .LBB126_1129
; %bb.1127:
	s_cmp_gt_i32 s0, 6
	s_cbranch_scc0 .LBB126_1130
; %bb.1128:
	s_wait_loadcnt 0x0
	global_load_b64 v[6:7], v[8:9], off
	s_mov_b32 s1, 0
	s_wait_loadcnt 0x0
	v_trunc_f64_e32 v[6:7], v[6:7]
	s_delay_alu instid0(VALU_DEP_1) | instskip(NEXT) | instid1(VALU_DEP_1)
	v_ldexp_f64 v[10:11], v[6:7], 0xffffffe0
	v_floor_f64_e32 v[10:11], v[10:11]
	s_delay_alu instid0(VALU_DEP_1) | instskip(SKIP_1) | instid1(VALU_DEP_2)
	v_fmamk_f64 v[12:13], v[10:11], 0xc1f00000, v[6:7]
	v_cvt_i32_f64_e32 v7, v[10:11]
	v_cvt_u32_f64_e32 v6, v[12:13]
	s_branch .LBB126_1131
.LBB126_1129:
	s_mov_b32 s1, -1
                                        ; implicit-def: $vgpr6_vgpr7
	s_branch .LBB126_1134
.LBB126_1130:
	s_mov_b32 s1, -1
                                        ; implicit-def: $vgpr6_vgpr7
.LBB126_1131:
	s_delay_alu instid0(SALU_CYCLE_1)
	s_and_not1_b32 vcc_lo, exec_lo, s1
	s_cbranch_vccnz .LBB126_1133
; %bb.1132:
	s_wait_loadcnt 0x0
	global_load_b32 v6, v[8:9], off
	s_wait_loadcnt 0x0
	v_trunc_f32_e32 v6, v6
	s_delay_alu instid0(VALU_DEP_1) | instskip(NEXT) | instid1(VALU_DEP_1)
	v_mul_f32_e64 v7, 0x2f800000, |v6|
	v_floor_f32_e32 v7, v7
	s_delay_alu instid0(VALU_DEP_1) | instskip(SKIP_2) | instid1(VALU_DEP_3)
	v_fma_f32 v10, 0xcf800000, v7, |v6|
	v_ashrrev_i32_e32 v6, 31, v6
	v_cvt_u32_f32_e32 v11, v7
	v_cvt_u32_f32_e32 v10, v10
	s_delay_alu instid0(VALU_DEP_2) | instskip(NEXT) | instid1(VALU_DEP_2)
	v_dual_mov_b32 v7, v6 :: v_dual_bitop2_b32 v11, v11, v6 bitop3:0x14
	v_xor_b32_e32 v10, v10, v6
	s_delay_alu instid0(VALU_DEP_1)
	v_sub_nc_u64_e32 v[6:7], v[10:11], v[6:7]
.LBB126_1133:
	s_mov_b32 s1, 0
.LBB126_1134:
	s_delay_alu instid0(SALU_CYCLE_1)
	s_and_not1_b32 vcc_lo, exec_lo, s1
	s_cbranch_vccnz .LBB126_1136
; %bb.1135:
	s_wait_loadcnt 0x0
	global_load_u16 v6, v[8:9], off
	s_wait_loadcnt 0x0
	v_cvt_f32_f16_e32 v6, v6
	s_delay_alu instid0(VALU_DEP_1) | instskip(NEXT) | instid1(VALU_DEP_1)
	v_cvt_i32_f32_e32 v6, v6
	v_ashrrev_i32_e32 v7, 31, v6
.LBB126_1136:
	s_mov_b32 s1, 0
.LBB126_1137:
	s_delay_alu instid0(SALU_CYCLE_1)
	s_and_not1_b32 vcc_lo, exec_lo, s1
	s_cbranch_vccnz .LBB126_1157
; %bb.1138:
	s_cmp_lt_i32 s0, 2
	s_cbranch_scc1 .LBB126_1142
; %bb.1139:
	s_cmp_lt_i32 s0, 3
	s_cbranch_scc1 .LBB126_1143
; %bb.1140:
	s_cmp_gt_i32 s0, 3
	s_cbranch_scc0 .LBB126_1144
; %bb.1141:
	s_wait_loadcnt 0x0
	global_load_b64 v[6:7], v[8:9], off
	s_mov_b32 s1, 0
	s_branch .LBB126_1145
.LBB126_1142:
	s_mov_b32 s1, -1
                                        ; implicit-def: $vgpr6_vgpr7
	s_branch .LBB126_1151
.LBB126_1143:
	s_mov_b32 s1, -1
                                        ; implicit-def: $vgpr6_vgpr7
	s_branch .LBB126_1148
.LBB126_1144:
	s_mov_b32 s1, -1
                                        ; implicit-def: $vgpr6_vgpr7
.LBB126_1145:
	s_delay_alu instid0(SALU_CYCLE_1)
	s_and_not1_b32 vcc_lo, exec_lo, s1
	s_cbranch_vccnz .LBB126_1147
; %bb.1146:
	s_wait_loadcnt 0x0
	global_load_b32 v6, v[8:9], off
	s_wait_loadcnt 0x0
	v_ashrrev_i32_e32 v7, 31, v6
.LBB126_1147:
	s_mov_b32 s1, 0
.LBB126_1148:
	s_delay_alu instid0(SALU_CYCLE_1)
	s_and_not1_b32 vcc_lo, exec_lo, s1
	s_cbranch_vccnz .LBB126_1150
; %bb.1149:
	s_wait_loadcnt 0x0
	global_load_u16 v6, v[8:9], off
	s_wait_loadcnt 0x0
	v_bfe_i32 v6, v6, 0, 16
	s_delay_alu instid0(VALU_DEP_1)
	v_ashrrev_i32_e32 v7, 31, v6
.LBB126_1150:
	s_mov_b32 s1, 0
.LBB126_1151:
	s_delay_alu instid0(SALU_CYCLE_1)
	s_and_not1_b32 vcc_lo, exec_lo, s1
	s_cbranch_vccnz .LBB126_1157
; %bb.1152:
	s_cmp_gt_i32 s0, 0
	s_mov_b32 s0, 0
	s_cbranch_scc0 .LBB126_1154
; %bb.1153:
	s_wait_loadcnt 0x0
	global_load_i8 v6, v[8:9], off
	s_wait_loadcnt 0x0
	v_bfe_i32 v6, v6, 0, 16
	s_delay_alu instid0(VALU_DEP_1)
	v_ashrrev_i32_e32 v7, 31, v6
	s_branch .LBB126_1155
.LBB126_1154:
	s_mov_b32 s0, -1
                                        ; implicit-def: $vgpr6_vgpr7
.LBB126_1155:
	s_delay_alu instid0(SALU_CYCLE_1)
	s_and_not1_b32 vcc_lo, exec_lo, s0
	s_cbranch_vccnz .LBB126_1157
; %bb.1156:
	s_wait_loadcnt 0x0
	global_load_u8 v6, v[8:9], off
	s_mov_b32 s0, 0
	s_delay_alu instid0(SALU_CYCLE_1)
	v_mov_b32_e32 v7, s0
	s_wait_loadcnt 0x0
	v_and_b32_e32 v6, 0xffff, v6
.LBB126_1157:
	s_mov_b32 s31, -1
.LBB126_1158:
	s_delay_alu instid0(SALU_CYCLE_1)
	s_and_not1_b32 vcc_lo, exec_lo, s31
	s_cbranch_vccnz .LBB126_1166
; %bb.1159:
	s_wait_xcnt 0x0
	v_mul_lo_u32 v8, v22, s3
	s_and_b32 s0, s29, 0xff
	s_delay_alu instid0(SALU_CYCLE_1) | instskip(NEXT) | instid1(VALU_DEP_1)
	s_cmp_lt_i32 s0, 11
	v_ashrrev_i32_e32 v9, 31, v8
	s_delay_alu instid0(VALU_DEP_1)
	v_add_nc_u64_e32 v[8:9], s[14:15], v[8:9]
	s_cbranch_scc1 .LBB126_1167
; %bb.1160:
	s_and_b32 s1, 0xffff, s0
	s_delay_alu instid0(SALU_CYCLE_1)
	s_cmp_gt_i32 s1, 25
	s_cbranch_scc0 .LBB126_1168
; %bb.1161:
	s_cmp_gt_i32 s1, 28
	s_cbranch_scc0 .LBB126_1169
; %bb.1162:
	;; [unrolled: 3-line block ×4, first 2 shown]
	s_cmp_eq_u32 s1, 46
	s_mov_b32 s34, 0
	s_cbranch_scc0 .LBB126_1173
; %bb.1165:
	global_load_b32 v10, v[8:9], off
	s_mov_b32 s31, -1
	s_mov_b32 s76, 0
	s_wait_loadcnt 0x0
	v_lshlrev_b32_e32 v10, 16, v10
	s_delay_alu instid0(VALU_DEP_1) | instskip(NEXT) | instid1(VALU_DEP_1)
	v_trunc_f32_e32 v10, v10
	v_mul_f32_e64 v11, 0x2f800000, |v10|
	s_delay_alu instid0(VALU_DEP_1) | instskip(NEXT) | instid1(VALU_DEP_1)
	v_floor_f32_e32 v11, v11
	v_fma_f32 v12, 0xcf800000, v11, |v10|
	v_ashrrev_i32_e32 v10, 31, v10
	v_cvt_u32_f32_e32 v13, v11
	s_delay_alu instid0(VALU_DEP_3) | instskip(NEXT) | instid1(VALU_DEP_2)
	v_cvt_u32_f32_e32 v12, v12
	v_dual_mov_b32 v11, v10 :: v_dual_bitop2_b32 v13, v13, v10 bitop3:0x14
	s_delay_alu instid0(VALU_DEP_2) | instskip(NEXT) | instid1(VALU_DEP_1)
	v_xor_b32_e32 v12, v12, v10
	v_sub_nc_u64_e32 v[10:11], v[12:13], v[10:11]
	s_branch .LBB126_1175
.LBB126_1166:
	s_mov_b32 s0, 0
	s_mov_b32 s1, s61
	;; [unrolled: 1-line block ×7, first 2 shown]
	s_branch .LBB126_1297
.LBB126_1167:
	s_mov_b32 s1, -1
	s_mov_b32 s31, 0
	s_mov_b32 s76, s67
                                        ; implicit-def: $vgpr10_vgpr11
	s_branch .LBB126_1236
.LBB126_1168:
	s_mov_b32 s34, -1
	s_mov_b32 s31, 0
	s_mov_b32 s76, s67
                                        ; implicit-def: $vgpr10_vgpr11
	s_branch .LBB126_1202
.LBB126_1169:
	s_mov_b32 s34, -1
	s_mov_b32 s31, 0
	s_mov_b32 s76, s67
                                        ; implicit-def: $vgpr10_vgpr11
	s_branch .LBB126_1185
.LBB126_1170:
	s_mov_b32 s34, -1
	s_mov_b32 s31, 0
	s_mov_b32 s76, s67
                                        ; implicit-def: $vgpr10_vgpr11
	s_branch .LBB126_1180
.LBB126_1171:
	s_mov_b32 s34, -1
	s_mov_b32 s31, 0
	s_mov_b32 s76, s67
	s_branch .LBB126_1174
.LBB126_1172:
	s_mov_b32 s45, -1
	s_mov_b32 s31, 0
	s_mov_b32 s44, 0
	s_branch .LBB126_1839
.LBB126_1173:
	s_mov_b32 s76, -1
	s_mov_b32 s31, 0
.LBB126_1174:
                                        ; implicit-def: $vgpr10_vgpr11
.LBB126_1175:
	s_and_b32 vcc_lo, exec_lo, s34
	s_cbranch_vccz .LBB126_1179
; %bb.1176:
	s_cmp_eq_u32 s1, 44
	s_cbranch_scc0 .LBB126_1178
; %bb.1177:
	global_load_u8 v14, v[8:9], off
	s_mov_b32 s76, 0
	s_mov_b32 s31, -1
	s_wait_loadcnt 0x0
	v_cmp_ne_u32_e32 vcc_lo, 0, v14
	v_lshlrev_b32_e32 v10, 23, v14
	s_delay_alu instid0(VALU_DEP_1) | instskip(NEXT) | instid1(VALU_DEP_1)
	v_trunc_f32_e32 v10, v10
	v_mul_f32_e64 v11, 0x2f800000, |v10|
	s_delay_alu instid0(VALU_DEP_1) | instskip(NEXT) | instid1(VALU_DEP_1)
	v_floor_f32_e32 v11, v11
	v_fma_f32 v12, 0xcf800000, v11, |v10|
	v_ashrrev_i32_e32 v10, 31, v10
	v_cvt_u32_f32_e32 v13, v11
	s_delay_alu instid0(VALU_DEP_3) | instskip(NEXT) | instid1(VALU_DEP_2)
	v_cvt_u32_f32_e32 v12, v12
	v_dual_mov_b32 v11, v10 :: v_dual_bitop2_b32 v13, v13, v10 bitop3:0x14
	s_delay_alu instid0(VALU_DEP_2) | instskip(NEXT) | instid1(VALU_DEP_1)
	v_xor_b32_e32 v12, v12, v10
	v_sub_nc_u64_e32 v[10:11], v[12:13], v[10:11]
	s_delay_alu instid0(VALU_DEP_1)
	v_dual_cndmask_b32 v11, 0, v11 :: v_dual_cndmask_b32 v10, 0, v10
	s_branch .LBB126_1179
.LBB126_1178:
	s_mov_b32 s76, -1
                                        ; implicit-def: $vgpr10_vgpr11
.LBB126_1179:
	s_mov_b32 s34, 0
.LBB126_1180:
	s_delay_alu instid0(SALU_CYCLE_1)
	s_and_b32 vcc_lo, exec_lo, s34
	s_cbranch_vccz .LBB126_1184
; %bb.1181:
	s_cmp_eq_u32 s1, 29
	s_cbranch_scc0 .LBB126_1183
; %bb.1182:
	global_load_b64 v[10:11], v[8:9], off
	s_mov_b32 s31, -1
	s_mov_b32 s76, 0
	s_branch .LBB126_1184
.LBB126_1183:
	s_mov_b32 s76, -1
                                        ; implicit-def: $vgpr10_vgpr11
.LBB126_1184:
	s_mov_b32 s34, 0
.LBB126_1185:
	s_delay_alu instid0(SALU_CYCLE_1)
	s_and_b32 vcc_lo, exec_lo, s34
	s_cbranch_vccz .LBB126_1201
; %bb.1186:
	s_cmp_lt_i32 s1, 27
	s_cbranch_scc1 .LBB126_1189
; %bb.1187:
	s_cmp_gt_i32 s1, 27
	s_cbranch_scc0 .LBB126_1190
; %bb.1188:
	s_wait_loadcnt 0x0
	global_load_b32 v10, v[8:9], off
	v_mov_b32_e32 v11, 0
	s_mov_b32 s31, 0
	s_branch .LBB126_1191
.LBB126_1189:
	s_mov_b32 s31, -1
                                        ; implicit-def: $vgpr10_vgpr11
	s_branch .LBB126_1194
.LBB126_1190:
	s_mov_b32 s31, -1
                                        ; implicit-def: $vgpr10_vgpr11
.LBB126_1191:
	s_delay_alu instid0(SALU_CYCLE_1)
	s_and_not1_b32 vcc_lo, exec_lo, s31
	s_cbranch_vccnz .LBB126_1193
; %bb.1192:
	s_wait_loadcnt 0x0
	global_load_u16 v10, v[8:9], off
	s_mov_b32 s31, 0
	s_delay_alu instid0(SALU_CYCLE_1)
	v_mov_b32_e32 v11, s31
	s_wait_loadcnt 0x0
	v_and_b32_e32 v10, 0xffff, v10
.LBB126_1193:
	s_mov_b32 s31, 0
.LBB126_1194:
	s_delay_alu instid0(SALU_CYCLE_1)
	s_and_not1_b32 vcc_lo, exec_lo, s31
	s_cbranch_vccnz .LBB126_1200
; %bb.1195:
	global_load_u8 v12, v[8:9], off
	s_mov_b32 s34, 0
	s_mov_b32 s31, exec_lo
	s_wait_loadcnt 0x0
	v_cmpx_lt_i16_e32 0x7f, v12
	s_xor_b32 s31, exec_lo, s31
	s_cbranch_execz .LBB126_1212
; %bb.1196:
	v_cmp_ne_u16_e32 vcc_lo, 0x80, v12
	s_and_b32 s34, vcc_lo, exec_lo
	s_and_not1_saveexec_b32 s31, s31
	s_cbranch_execnz .LBB126_1213
.LBB126_1197:
	s_or_b32 exec_lo, exec_lo, s31
	v_mov_b64_e32 v[10:11], 0
	s_and_saveexec_b32 s31, s34
	s_cbranch_execz .LBB126_1199
.LBB126_1198:
	v_and_b32_e32 v10, 0xffff, v12
	s_delay_alu instid0(VALU_DEP_1) | instskip(SKIP_1) | instid1(VALU_DEP_2)
	v_and_b32_e32 v11, 7, v10
	v_bfe_u32 v15, v10, 3, 4
	v_clz_i32_u32_e32 v13, v11
	s_delay_alu instid0(VALU_DEP_2) | instskip(NEXT) | instid1(VALU_DEP_2)
	v_cmp_eq_u32_e32 vcc_lo, 0, v15
	v_min_u32_e32 v13, 32, v13
	s_delay_alu instid0(VALU_DEP_1) | instskip(NEXT) | instid1(VALU_DEP_1)
	v_subrev_nc_u32_e32 v14, 28, v13
	v_dual_lshlrev_b32 v10, v14, v10 :: v_dual_sub_nc_u32 v13, 29, v13
	s_delay_alu instid0(VALU_DEP_1) | instskip(NEXT) | instid1(VALU_DEP_2)
	v_dual_lshlrev_b32 v12, 24, v12 :: v_dual_bitop2_b32 v10, 7, v10 bitop3:0x40
	v_cndmask_b32_e32 v13, v15, v13, vcc_lo
	s_delay_alu instid0(VALU_DEP_2) | instskip(NEXT) | instid1(VALU_DEP_3)
	v_cndmask_b32_e32 v10, v11, v10, vcc_lo
	v_and_b32_e32 v11, 0x80000000, v12
	s_delay_alu instid0(VALU_DEP_3) | instskip(NEXT) | instid1(VALU_DEP_3)
	v_lshl_add_u32 v12, v13, 23, 0x3b800000
	v_lshlrev_b32_e32 v10, 20, v10
	s_delay_alu instid0(VALU_DEP_1) | instskip(NEXT) | instid1(VALU_DEP_1)
	v_or3_b32 v10, v11, v12, v10
	v_trunc_f32_e32 v10, v10
	s_delay_alu instid0(VALU_DEP_1) | instskip(NEXT) | instid1(VALU_DEP_1)
	v_mul_f32_e64 v11, 0x2f800000, |v10|
	v_floor_f32_e32 v11, v11
	s_delay_alu instid0(VALU_DEP_1) | instskip(SKIP_2) | instid1(VALU_DEP_3)
	v_fma_f32 v12, 0xcf800000, v11, |v10|
	v_ashrrev_i32_e32 v10, 31, v10
	v_cvt_u32_f32_e32 v13, v11
	v_cvt_u32_f32_e32 v12, v12
	s_delay_alu instid0(VALU_DEP_2) | instskip(NEXT) | instid1(VALU_DEP_2)
	v_dual_mov_b32 v11, v10 :: v_dual_bitop2_b32 v13, v13, v10 bitop3:0x14
	v_xor_b32_e32 v12, v12, v10
	s_delay_alu instid0(VALU_DEP_1)
	v_sub_nc_u64_e32 v[10:11], v[12:13], v[10:11]
.LBB126_1199:
	s_or_b32 exec_lo, exec_lo, s31
.LBB126_1200:
	s_mov_b32 s31, -1
.LBB126_1201:
	s_mov_b32 s34, 0
.LBB126_1202:
	s_delay_alu instid0(SALU_CYCLE_1)
	s_and_b32 vcc_lo, exec_lo, s34
	s_cbranch_vccz .LBB126_1235
; %bb.1203:
	s_cmp_gt_i32 s1, 22
	s_cbranch_scc0 .LBB126_1211
; %bb.1204:
	s_cmp_lt_i32 s1, 24
	s_cbranch_scc1 .LBB126_1214
; %bb.1205:
	s_cmp_gt_i32 s1, 24
	s_cbranch_scc0 .LBB126_1215
; %bb.1206:
	global_load_u8 v12, v[8:9], off
	s_mov_b32 s34, 0
	s_mov_b32 s31, exec_lo
	s_wait_loadcnt 0x0
	v_cmpx_lt_i16_e32 0x7f, v12
	s_xor_b32 s31, exec_lo, s31
	s_cbranch_execz .LBB126_1227
; %bb.1207:
	v_cmp_ne_u16_e32 vcc_lo, 0x80, v12
	s_and_b32 s34, vcc_lo, exec_lo
	s_and_not1_saveexec_b32 s31, s31
	s_cbranch_execnz .LBB126_1228
.LBB126_1208:
	s_or_b32 exec_lo, exec_lo, s31
	v_mov_b64_e32 v[10:11], 0
	s_and_saveexec_b32 s31, s34
	s_cbranch_execz .LBB126_1210
.LBB126_1209:
	v_and_b32_e32 v10, 0xffff, v12
	s_delay_alu instid0(VALU_DEP_1) | instskip(SKIP_1) | instid1(VALU_DEP_2)
	v_and_b32_e32 v11, 3, v10
	v_bfe_u32 v15, v10, 2, 5
	v_clz_i32_u32_e32 v13, v11
	s_delay_alu instid0(VALU_DEP_2) | instskip(NEXT) | instid1(VALU_DEP_2)
	v_cmp_eq_u32_e32 vcc_lo, 0, v15
	v_min_u32_e32 v13, 32, v13
	s_delay_alu instid0(VALU_DEP_1) | instskip(NEXT) | instid1(VALU_DEP_1)
	v_subrev_nc_u32_e32 v14, 29, v13
	v_dual_lshlrev_b32 v10, v14, v10 :: v_dual_sub_nc_u32 v13, 30, v13
	s_delay_alu instid0(VALU_DEP_1) | instskip(NEXT) | instid1(VALU_DEP_2)
	v_dual_lshlrev_b32 v12, 24, v12 :: v_dual_bitop2_b32 v10, 3, v10 bitop3:0x40
	v_cndmask_b32_e32 v13, v15, v13, vcc_lo
	s_delay_alu instid0(VALU_DEP_2) | instskip(NEXT) | instid1(VALU_DEP_3)
	v_cndmask_b32_e32 v10, v11, v10, vcc_lo
	v_and_b32_e32 v11, 0x80000000, v12
	s_delay_alu instid0(VALU_DEP_3) | instskip(NEXT) | instid1(VALU_DEP_3)
	v_lshl_add_u32 v12, v13, 23, 0x37800000
	v_lshlrev_b32_e32 v10, 21, v10
	s_delay_alu instid0(VALU_DEP_1) | instskip(NEXT) | instid1(VALU_DEP_1)
	v_or3_b32 v10, v11, v12, v10
	v_trunc_f32_e32 v10, v10
	s_delay_alu instid0(VALU_DEP_1) | instskip(NEXT) | instid1(VALU_DEP_1)
	v_mul_f32_e64 v11, 0x2f800000, |v10|
	v_floor_f32_e32 v11, v11
	s_delay_alu instid0(VALU_DEP_1) | instskip(SKIP_2) | instid1(VALU_DEP_3)
	v_fma_f32 v12, 0xcf800000, v11, |v10|
	v_ashrrev_i32_e32 v10, 31, v10
	v_cvt_u32_f32_e32 v13, v11
	v_cvt_u32_f32_e32 v12, v12
	s_delay_alu instid0(VALU_DEP_2) | instskip(NEXT) | instid1(VALU_DEP_2)
	v_dual_mov_b32 v11, v10 :: v_dual_bitop2_b32 v13, v13, v10 bitop3:0x14
	v_xor_b32_e32 v12, v12, v10
	s_delay_alu instid0(VALU_DEP_1)
	v_sub_nc_u64_e32 v[10:11], v[12:13], v[10:11]
.LBB126_1210:
	s_or_b32 exec_lo, exec_lo, s31
	s_mov_b32 s31, 0
	s_branch .LBB126_1216
.LBB126_1211:
	s_mov_b32 s34, -1
                                        ; implicit-def: $vgpr10_vgpr11
	s_branch .LBB126_1222
.LBB126_1212:
	s_and_not1_saveexec_b32 s31, s31
	s_cbranch_execz .LBB126_1197
.LBB126_1213:
	v_cmp_ne_u16_e32 vcc_lo, 0, v12
	s_and_not1_b32 s34, s34, exec_lo
	s_and_b32 s35, vcc_lo, exec_lo
	s_delay_alu instid0(SALU_CYCLE_1)
	s_or_b32 s34, s34, s35
	s_or_b32 exec_lo, exec_lo, s31
	v_mov_b64_e32 v[10:11], 0
	s_and_saveexec_b32 s31, s34
	s_cbranch_execnz .LBB126_1198
	s_branch .LBB126_1199
.LBB126_1214:
	s_mov_b32 s31, -1
                                        ; implicit-def: $vgpr10_vgpr11
	s_branch .LBB126_1219
.LBB126_1215:
	s_mov_b32 s31, -1
                                        ; implicit-def: $vgpr10_vgpr11
.LBB126_1216:
	s_delay_alu instid0(SALU_CYCLE_1)
	s_and_b32 vcc_lo, exec_lo, s31
	s_cbranch_vccz .LBB126_1218
; %bb.1217:
	s_wait_loadcnt 0x0
	global_load_u8 v10, v[8:9], off
	s_wait_loadcnt 0x0
	v_lshlrev_b32_e32 v10, 24, v10
	s_delay_alu instid0(VALU_DEP_1) | instskip(NEXT) | instid1(VALU_DEP_1)
	v_and_b32_e32 v11, 0x7f000000, v10
	v_clz_i32_u32_e32 v12, v11
	v_cmp_ne_u32_e32 vcc_lo, 0, v11
	v_add_nc_u32_e32 v14, 0x1000000, v11
	s_delay_alu instid0(VALU_DEP_3) | instskip(NEXT) | instid1(VALU_DEP_1)
	v_min_u32_e32 v12, 32, v12
	v_sub_nc_u32_e64 v12, v12, 4 clamp
	s_delay_alu instid0(VALU_DEP_1) | instskip(NEXT) | instid1(VALU_DEP_1)
	v_dual_lshlrev_b32 v13, v12, v11 :: v_dual_lshlrev_b32 v12, 23, v12
	v_lshrrev_b32_e32 v13, 4, v13
	s_delay_alu instid0(VALU_DEP_1) | instskip(NEXT) | instid1(VALU_DEP_1)
	v_dual_sub_nc_u32 v12, v13, v12 :: v_dual_ashrrev_i32 v13, 8, v14
	v_add_nc_u32_e32 v12, 0x3c000000, v12
	s_delay_alu instid0(VALU_DEP_1) | instskip(NEXT) | instid1(VALU_DEP_1)
	v_and_or_b32 v12, 0x7f800000, v13, v12
	v_cndmask_b32_e32 v11, 0, v12, vcc_lo
	s_delay_alu instid0(VALU_DEP_1) | instskip(NEXT) | instid1(VALU_DEP_1)
	v_and_or_b32 v10, 0x80000000, v10, v11
	v_trunc_f32_e32 v10, v10
	s_delay_alu instid0(VALU_DEP_1) | instskip(NEXT) | instid1(VALU_DEP_1)
	v_mul_f32_e64 v11, 0x2f800000, |v10|
	v_floor_f32_e32 v11, v11
	s_delay_alu instid0(VALU_DEP_1) | instskip(SKIP_2) | instid1(VALU_DEP_3)
	v_fma_f32 v12, 0xcf800000, v11, |v10|
	v_ashrrev_i32_e32 v10, 31, v10
	v_cvt_u32_f32_e32 v13, v11
	v_cvt_u32_f32_e32 v12, v12
	s_delay_alu instid0(VALU_DEP_2) | instskip(NEXT) | instid1(VALU_DEP_2)
	v_dual_mov_b32 v11, v10 :: v_dual_bitop2_b32 v13, v13, v10 bitop3:0x14
	v_xor_b32_e32 v12, v12, v10
	s_delay_alu instid0(VALU_DEP_1)
	v_sub_nc_u64_e32 v[10:11], v[12:13], v[10:11]
.LBB126_1218:
	s_mov_b32 s31, 0
.LBB126_1219:
	s_delay_alu instid0(SALU_CYCLE_1)
	s_and_not1_b32 vcc_lo, exec_lo, s31
	s_cbranch_vccnz .LBB126_1221
; %bb.1220:
	s_wait_loadcnt 0x0
	global_load_u8 v10, v[8:9], off
	s_wait_loadcnt 0x0
	v_lshlrev_b32_e32 v11, 25, v10
	v_lshlrev_b16 v10, 8, v10
	s_delay_alu instid0(VALU_DEP_1) | instskip(SKIP_1) | instid1(VALU_DEP_2)
	v_and_or_b32 v13, 0x7f00, v10, 0.5
	v_bfe_i32 v10, v10, 0, 16
	v_dual_add_f32 v13, -0.5, v13 :: v_dual_lshrrev_b32 v12, 4, v11
	v_cmp_gt_u32_e32 vcc_lo, 0x8000000, v11
	s_delay_alu instid0(VALU_DEP_2) | instskip(NEXT) | instid1(VALU_DEP_1)
	v_or_b32_e32 v12, 0x70000000, v12
	v_mul_f32_e32 v12, 0x7800000, v12
	s_delay_alu instid0(VALU_DEP_1) | instskip(NEXT) | instid1(VALU_DEP_1)
	v_cndmask_b32_e32 v11, v12, v13, vcc_lo
	v_and_or_b32 v10, 0x80000000, v10, v11
	s_delay_alu instid0(VALU_DEP_1) | instskip(NEXT) | instid1(VALU_DEP_1)
	v_trunc_f32_e32 v10, v10
	v_mul_f32_e64 v11, 0x2f800000, |v10|
	s_delay_alu instid0(VALU_DEP_1) | instskip(NEXT) | instid1(VALU_DEP_1)
	v_floor_f32_e32 v11, v11
	v_fma_f32 v12, 0xcf800000, v11, |v10|
	v_ashrrev_i32_e32 v10, 31, v10
	v_cvt_u32_f32_e32 v13, v11
	s_delay_alu instid0(VALU_DEP_3) | instskip(NEXT) | instid1(VALU_DEP_2)
	v_cvt_u32_f32_e32 v12, v12
	v_dual_mov_b32 v11, v10 :: v_dual_bitop2_b32 v13, v13, v10 bitop3:0x14
	s_delay_alu instid0(VALU_DEP_2) | instskip(NEXT) | instid1(VALU_DEP_1)
	v_xor_b32_e32 v12, v12, v10
	v_sub_nc_u64_e32 v[10:11], v[12:13], v[10:11]
.LBB126_1221:
	s_mov_b32 s34, 0
	s_mov_b32 s31, -1
.LBB126_1222:
	s_and_not1_b32 vcc_lo, exec_lo, s34
	s_cbranch_vccnz .LBB126_1235
; %bb.1223:
	s_cmp_gt_i32 s1, 14
	s_cbranch_scc0 .LBB126_1226
; %bb.1224:
	s_cmp_eq_u32 s1, 15
	s_cbranch_scc0 .LBB126_1229
; %bb.1225:
	s_wait_loadcnt 0x0
	global_load_u16 v10, v[8:9], off
	s_mov_b32 s31, -1
	s_mov_b32 s76, 0
	s_wait_loadcnt 0x0
	v_lshlrev_b32_e32 v10, 16, v10
	s_delay_alu instid0(VALU_DEP_1) | instskip(NEXT) | instid1(VALU_DEP_1)
	v_trunc_f32_e32 v10, v10
	v_mul_f32_e64 v11, 0x2f800000, |v10|
	s_delay_alu instid0(VALU_DEP_1) | instskip(NEXT) | instid1(VALU_DEP_1)
	v_floor_f32_e32 v11, v11
	v_fma_f32 v12, 0xcf800000, v11, |v10|
	v_ashrrev_i32_e32 v10, 31, v10
	v_cvt_u32_f32_e32 v13, v11
	s_delay_alu instid0(VALU_DEP_3) | instskip(NEXT) | instid1(VALU_DEP_2)
	v_cvt_u32_f32_e32 v12, v12
	v_dual_mov_b32 v11, v10 :: v_dual_bitop2_b32 v13, v13, v10 bitop3:0x14
	s_delay_alu instid0(VALU_DEP_2) | instskip(NEXT) | instid1(VALU_DEP_1)
	v_xor_b32_e32 v12, v12, v10
	v_sub_nc_u64_e32 v[10:11], v[12:13], v[10:11]
	s_branch .LBB126_1230
.LBB126_1226:
	s_mov_b32 s34, -1
                                        ; implicit-def: $vgpr10_vgpr11
	s_branch .LBB126_1231
.LBB126_1227:
	s_and_not1_saveexec_b32 s31, s31
	s_cbranch_execz .LBB126_1208
.LBB126_1228:
	v_cmp_ne_u16_e32 vcc_lo, 0, v12
	s_and_not1_b32 s34, s34, exec_lo
	s_and_b32 s35, vcc_lo, exec_lo
	s_delay_alu instid0(SALU_CYCLE_1)
	s_or_b32 s34, s34, s35
	s_or_b32 exec_lo, exec_lo, s31
	v_mov_b64_e32 v[10:11], 0
	s_and_saveexec_b32 s31, s34
	s_cbranch_execnz .LBB126_1209
	s_branch .LBB126_1210
.LBB126_1229:
	s_mov_b32 s76, -1
                                        ; implicit-def: $vgpr10_vgpr11
.LBB126_1230:
	s_mov_b32 s34, 0
.LBB126_1231:
	s_delay_alu instid0(SALU_CYCLE_1)
	s_and_b32 vcc_lo, exec_lo, s34
	s_cbranch_vccz .LBB126_1235
; %bb.1232:
	s_cmp_eq_u32 s1, 11
	s_cbranch_scc0 .LBB126_1234
; %bb.1233:
	s_wait_loadcnt 0x0
	global_load_u8 v10, v[8:9], off
	s_mov_b32 s76, 0
	s_mov_b32 s31, -1
	v_mov_b32_e32 v11, s76
	s_wait_loadcnt 0x0
	v_cmp_ne_u16_e32 vcc_lo, 0, v10
	v_cndmask_b32_e64 v10, 0, 1, vcc_lo
	s_branch .LBB126_1235
.LBB126_1234:
	s_mov_b32 s76, -1
                                        ; implicit-def: $vgpr10_vgpr11
.LBB126_1235:
	s_mov_b32 s1, 0
.LBB126_1236:
	s_delay_alu instid0(SALU_CYCLE_1)
	s_and_b32 vcc_lo, exec_lo, s1
	s_cbranch_vccz .LBB126_1285
; %bb.1237:
	s_and_b32 s0, 0xffff, s0
	s_delay_alu instid0(SALU_CYCLE_1)
	s_cmp_lt_i32 s0, 5
	s_cbranch_scc1 .LBB126_1242
; %bb.1238:
	s_cmp_lt_i32 s0, 8
	s_cbranch_scc1 .LBB126_1243
; %bb.1239:
	;; [unrolled: 3-line block ×3, first 2 shown]
	s_cmp_gt_i32 s0, 9
	s_cbranch_scc0 .LBB126_1245
; %bb.1241:
	s_wait_loadcnt 0x0
	global_load_b64 v[10:11], v[8:9], off
	s_mov_b32 s1, 0
	s_wait_loadcnt 0x0
	v_trunc_f64_e32 v[10:11], v[10:11]
	s_delay_alu instid0(VALU_DEP_1) | instskip(NEXT) | instid1(VALU_DEP_1)
	v_ldexp_f64 v[12:13], v[10:11], 0xffffffe0
	v_floor_f64_e32 v[12:13], v[12:13]
	s_delay_alu instid0(VALU_DEP_1) | instskip(SKIP_1) | instid1(VALU_DEP_2)
	v_fmamk_f64 v[14:15], v[12:13], 0xc1f00000, v[10:11]
	v_cvt_i32_f64_e32 v11, v[12:13]
	v_cvt_u32_f64_e32 v10, v[14:15]
	s_branch .LBB126_1246
.LBB126_1242:
	s_mov_b32 s1, -1
                                        ; implicit-def: $vgpr10_vgpr11
	s_branch .LBB126_1264
.LBB126_1243:
	s_mov_b32 s1, -1
                                        ; implicit-def: $vgpr10_vgpr11
	s_branch .LBB126_1252
.LBB126_1244:
	s_mov_b32 s1, -1
                                        ; implicit-def: $vgpr10_vgpr11
	s_branch .LBB126_1249
.LBB126_1245:
	s_mov_b32 s1, -1
                                        ; implicit-def: $vgpr10_vgpr11
.LBB126_1246:
	s_delay_alu instid0(SALU_CYCLE_1)
	s_and_not1_b32 vcc_lo, exec_lo, s1
	s_cbranch_vccnz .LBB126_1248
; %bb.1247:
	s_wait_loadcnt 0x0
	global_load_b32 v10, v[8:9], off
	s_wait_loadcnt 0x0
	v_trunc_f32_e32 v10, v10
	s_delay_alu instid0(VALU_DEP_1) | instskip(NEXT) | instid1(VALU_DEP_1)
	v_mul_f32_e64 v11, 0x2f800000, |v10|
	v_floor_f32_e32 v11, v11
	s_delay_alu instid0(VALU_DEP_1) | instskip(SKIP_2) | instid1(VALU_DEP_3)
	v_fma_f32 v12, 0xcf800000, v11, |v10|
	v_ashrrev_i32_e32 v10, 31, v10
	v_cvt_u32_f32_e32 v13, v11
	v_cvt_u32_f32_e32 v12, v12
	s_delay_alu instid0(VALU_DEP_2) | instskip(NEXT) | instid1(VALU_DEP_2)
	v_dual_mov_b32 v11, v10 :: v_dual_bitop2_b32 v13, v13, v10 bitop3:0x14
	v_xor_b32_e32 v12, v12, v10
	s_delay_alu instid0(VALU_DEP_1)
	v_sub_nc_u64_e32 v[10:11], v[12:13], v[10:11]
.LBB126_1248:
	s_mov_b32 s1, 0
.LBB126_1249:
	s_delay_alu instid0(SALU_CYCLE_1)
	s_and_not1_b32 vcc_lo, exec_lo, s1
	s_cbranch_vccnz .LBB126_1251
; %bb.1250:
	s_wait_loadcnt 0x0
	global_load_b32 v10, v[8:9], off
	s_wait_loadcnt 0x0
	v_cvt_f32_f16_e32 v10, v10
	s_delay_alu instid0(VALU_DEP_1) | instskip(NEXT) | instid1(VALU_DEP_1)
	v_cvt_i32_f32_e32 v10, v10
	v_ashrrev_i32_e32 v11, 31, v10
.LBB126_1251:
	s_mov_b32 s1, 0
.LBB126_1252:
	s_delay_alu instid0(SALU_CYCLE_1)
	s_and_not1_b32 vcc_lo, exec_lo, s1
	s_cbranch_vccnz .LBB126_1263
; %bb.1253:
	s_cmp_lt_i32 s0, 6
	s_cbranch_scc1 .LBB126_1256
; %bb.1254:
	s_cmp_gt_i32 s0, 6
	s_cbranch_scc0 .LBB126_1257
; %bb.1255:
	s_wait_loadcnt 0x0
	global_load_b64 v[10:11], v[8:9], off
	s_mov_b32 s1, 0
	s_wait_loadcnt 0x0
	v_trunc_f64_e32 v[10:11], v[10:11]
	s_delay_alu instid0(VALU_DEP_1) | instskip(NEXT) | instid1(VALU_DEP_1)
	v_ldexp_f64 v[12:13], v[10:11], 0xffffffe0
	v_floor_f64_e32 v[12:13], v[12:13]
	s_delay_alu instid0(VALU_DEP_1) | instskip(SKIP_1) | instid1(VALU_DEP_2)
	v_fmamk_f64 v[14:15], v[12:13], 0xc1f00000, v[10:11]
	v_cvt_i32_f64_e32 v11, v[12:13]
	v_cvt_u32_f64_e32 v10, v[14:15]
	s_branch .LBB126_1258
.LBB126_1256:
	s_mov_b32 s1, -1
                                        ; implicit-def: $vgpr10_vgpr11
	s_branch .LBB126_1261
.LBB126_1257:
	s_mov_b32 s1, -1
                                        ; implicit-def: $vgpr10_vgpr11
.LBB126_1258:
	s_delay_alu instid0(SALU_CYCLE_1)
	s_and_not1_b32 vcc_lo, exec_lo, s1
	s_cbranch_vccnz .LBB126_1260
; %bb.1259:
	s_wait_loadcnt 0x0
	global_load_b32 v10, v[8:9], off
	s_wait_loadcnt 0x0
	v_trunc_f32_e32 v10, v10
	s_delay_alu instid0(VALU_DEP_1) | instskip(NEXT) | instid1(VALU_DEP_1)
	v_mul_f32_e64 v11, 0x2f800000, |v10|
	v_floor_f32_e32 v11, v11
	s_delay_alu instid0(VALU_DEP_1) | instskip(SKIP_2) | instid1(VALU_DEP_3)
	v_fma_f32 v12, 0xcf800000, v11, |v10|
	v_ashrrev_i32_e32 v10, 31, v10
	v_cvt_u32_f32_e32 v13, v11
	v_cvt_u32_f32_e32 v12, v12
	s_delay_alu instid0(VALU_DEP_2) | instskip(NEXT) | instid1(VALU_DEP_2)
	v_dual_mov_b32 v11, v10 :: v_dual_bitop2_b32 v13, v13, v10 bitop3:0x14
	v_xor_b32_e32 v12, v12, v10
	s_delay_alu instid0(VALU_DEP_1)
	v_sub_nc_u64_e32 v[10:11], v[12:13], v[10:11]
.LBB126_1260:
	s_mov_b32 s1, 0
.LBB126_1261:
	s_delay_alu instid0(SALU_CYCLE_1)
	s_and_not1_b32 vcc_lo, exec_lo, s1
	s_cbranch_vccnz .LBB126_1263
; %bb.1262:
	s_wait_loadcnt 0x0
	global_load_u16 v10, v[8:9], off
	s_wait_loadcnt 0x0
	v_cvt_f32_f16_e32 v10, v10
	s_delay_alu instid0(VALU_DEP_1) | instskip(NEXT) | instid1(VALU_DEP_1)
	v_cvt_i32_f32_e32 v10, v10
	v_ashrrev_i32_e32 v11, 31, v10
.LBB126_1263:
	s_mov_b32 s1, 0
.LBB126_1264:
	s_delay_alu instid0(SALU_CYCLE_1)
	s_and_not1_b32 vcc_lo, exec_lo, s1
	s_cbranch_vccnz .LBB126_1284
; %bb.1265:
	s_cmp_lt_i32 s0, 2
	s_cbranch_scc1 .LBB126_1269
; %bb.1266:
	s_cmp_lt_i32 s0, 3
	s_cbranch_scc1 .LBB126_1270
; %bb.1267:
	s_cmp_gt_i32 s0, 3
	s_cbranch_scc0 .LBB126_1271
; %bb.1268:
	s_wait_loadcnt 0x0
	global_load_b64 v[10:11], v[8:9], off
	s_mov_b32 s1, 0
	s_branch .LBB126_1272
.LBB126_1269:
	s_mov_b32 s1, -1
                                        ; implicit-def: $vgpr10_vgpr11
	s_branch .LBB126_1278
.LBB126_1270:
	s_mov_b32 s1, -1
                                        ; implicit-def: $vgpr10_vgpr11
	s_branch .LBB126_1275
.LBB126_1271:
	s_mov_b32 s1, -1
                                        ; implicit-def: $vgpr10_vgpr11
.LBB126_1272:
	s_delay_alu instid0(SALU_CYCLE_1)
	s_and_not1_b32 vcc_lo, exec_lo, s1
	s_cbranch_vccnz .LBB126_1274
; %bb.1273:
	s_wait_loadcnt 0x0
	global_load_b32 v10, v[8:9], off
	s_wait_loadcnt 0x0
	v_ashrrev_i32_e32 v11, 31, v10
.LBB126_1274:
	s_mov_b32 s1, 0
.LBB126_1275:
	s_delay_alu instid0(SALU_CYCLE_1)
	s_and_not1_b32 vcc_lo, exec_lo, s1
	s_cbranch_vccnz .LBB126_1277
; %bb.1276:
	s_wait_loadcnt 0x0
	global_load_u16 v10, v[8:9], off
	s_wait_loadcnt 0x0
	v_bfe_i32 v10, v10, 0, 16
	s_delay_alu instid0(VALU_DEP_1)
	v_ashrrev_i32_e32 v11, 31, v10
.LBB126_1277:
	s_mov_b32 s1, 0
.LBB126_1278:
	s_delay_alu instid0(SALU_CYCLE_1)
	s_and_not1_b32 vcc_lo, exec_lo, s1
	s_cbranch_vccnz .LBB126_1284
; %bb.1279:
	s_cmp_gt_i32 s0, 0
	s_mov_b32 s0, 0
	s_cbranch_scc0 .LBB126_1281
; %bb.1280:
	s_wait_loadcnt 0x0
	global_load_i8 v10, v[8:9], off
	s_wait_loadcnt 0x0
	v_bfe_i32 v10, v10, 0, 16
	s_delay_alu instid0(VALU_DEP_1)
	v_ashrrev_i32_e32 v11, 31, v10
	s_branch .LBB126_1282
.LBB126_1281:
	s_mov_b32 s0, -1
                                        ; implicit-def: $vgpr10_vgpr11
.LBB126_1282:
	s_delay_alu instid0(SALU_CYCLE_1)
	s_and_not1_b32 vcc_lo, exec_lo, s0
	s_cbranch_vccnz .LBB126_1284
; %bb.1283:
	global_load_u8 v8, v[8:9], off
	s_mov_b32 s0, 0
	s_wait_loadcnt 0x1
	v_mov_b32_e32 v11, s0
	s_wait_loadcnt 0x0
	v_and_b32_e32 v10, 0xffff, v8
.LBB126_1284:
	s_mov_b32 s31, -1
.LBB126_1285:
	s_delay_alu instid0(SALU_CYCLE_1)
	s_and_not1_b32 vcc_lo, exec_lo, s31
	s_cbranch_vccnz .LBB126_1296
; %bb.1286:
	s_wait_loadcnt 0x0
	v_cmp_eq_u64_e32 vcc_lo, s[36:37], v[0:1]
	s_mov_b32 s0, 0
	s_mov_b32 s35, -1
	s_mov_b32 s44, s65
	s_mov_b32 s34, s64
	;; [unrolled: 1-line block ×4, first 2 shown]
	s_and_b32 s45, s60, vcc_lo
	s_wait_xcnt 0x0
	s_and_saveexec_b32 s78, s45
	s_cbranch_execz .LBB126_4066
; %bb.1287:
	v_cmp_eq_u64_e32 vcc_lo, s[40:41], v[2:3]
	s_mov_b32 s34, -1
	s_mov_b32 s35, s64
	s_mov_b32 s31, s63
	;; [unrolled: 1-line block ×3, first 2 shown]
	s_and_b32 s1, s59, vcc_lo
	s_delay_alu instid0(SALU_CYCLE_1)
	s_and_saveexec_b32 s79, s1
	s_cbranch_execz .LBB126_3592
; %bb.1288:
	v_sub_nc_u64_e32 v[0:1], v[6:7], v[4:5]
	s_mov_b32 s1, 0
	s_mov_b32 s31, -1
	s_mov_b32 s35, s61
	s_delay_alu instid0(VALU_DEP_1) | instskip(SKIP_4) | instid1(SALU_CYCLE_1)
	v_cmp_le_i64_e32 vcc_lo, s[36:37], v[0:1]
	v_cmp_ge_i64_e64 s0, s[38:39], v[0:1]
	s_and_b32 s34, vcc_lo, s0
	s_mov_b32 s0, s63
	s_and_b32 s34, s58, s34
	s_and_saveexec_b32 s80, s34
	s_cbranch_execz .LBB126_3591
; %bb.1289:
	v_cmp_lt_i64_e64 s0, s[40:41], 1
	v_mov_b64_e32 v[0:1], 0
	s_xor_b32 s1, s57, -1
	s_delay_alu instid0(SALU_CYCLE_1) | instskip(NEXT) | instid1(SALU_CYCLE_1)
	s_or_b32 s0, s1, s0
	s_and_b32 vcc_lo, exec_lo, s0
	s_cbranch_vccnz .LBB126_1312
; %bb.1290:
	v_mul_u64_e32 v[8:9], s[40:41], v[10:11]
	s_mov_b32 s1, 0
	v_mov_b64_e32 v[0:1], 0
	s_mov_b32 s31, s1
	v_mov_b32_e32 v2, 0
	s_lshl_b64 s[46:47], s[30:31], 3
	s_mov_b64 s[34:35], 0xffffffff
	s_add_nc_u64 s[44:45], s[20:21], s[46:47]
	s_add_nc_u64 s[46:47], s[22:23], s[46:47]
	s_mov_b32 s31, s42
	s_branch .LBB126_1292
.LBB126_1291:                           ;   in Loop: Header=BB126_1292 Depth=1
	s_or_b32 exec_lo, exec_lo, s0
	global_load_b64 v[12:13], v2, s[46:47]
	v_mul_u64_e32 v[14:15], s[48:49], v[10:11]
	s_add_co_i32 s31, s31, -1
	s_add_nc_u64 s[44:45], s[44:45], -8
	s_cmp_lg_u32 s31, 0
	s_wait_xcnt 0x0
	s_add_nc_u64 s[46:47], s[46:47], -8
	s_delay_alu instid0(VALU_DEP_1) | instskip(SKIP_1) | instid1(VALU_DEP_1)
	v_sub_nc_u64_e32 v[8:9], v[8:9], v[14:15]
	s_wait_loadcnt 0x0
	v_mad_nc_u64_u32 v[0:1], v8, v12, v[0:1]
	s_delay_alu instid0(VALU_DEP_1) | instskip(NEXT) | instid1(VALU_DEP_1)
	v_mad_u32 v1, v9, v12, v1
	v_mad_u32 v1, v8, v13, v1
	v_mov_b64_e32 v[8:9], v[10:11]
	s_cbranch_scc0 .LBB126_1312
.LBB126_1292:                           ; =>This Inner Loop Header: Depth=1
	global_load_b64 v[10:11], v2, s[44:45]
	s_mov_b32 s0, exec_lo
	s_wait_loadcnt 0x0
	v_or_b32_e32 v3, v9, v11
	v_readfirstlane_b32 s48, v10
	v_readfirstlane_b32 s49, v11
                                        ; implicit-def: $vgpr10_vgpr11
	s_wait_xcnt 0x0
	s_delay_alu instid0(VALU_DEP_3)
	v_cmpx_ne_u64_e32 0, v[2:3]
	s_xor_b32 s81, exec_lo, s0
	s_cbranch_execz .LBB126_1294
; %bb.1293:                             ;   in Loop: Header=BB126_1292 Depth=1
	s_ashr_i32 s50, s49, 31
	v_dual_mov_b32 v15, v2 :: v_dual_ashrrev_i32 v10, 31, v9
	s_mov_b32 s51, s50
	v_mov_b32_e32 v25, v2
	s_add_nc_u64 s[52:53], s[48:49], s[50:51]
	s_delay_alu instid0(VALU_DEP_2) | instskip(SKIP_1) | instid1(SALU_CYCLE_1)
	v_mov_b32_e32 v11, v10
	s_xor_b64 s[52:53], s[52:53], s[50:51]
	s_cvt_f32_u32 s0, s52
	s_cvt_f32_u32 s51, s53
	s_sub_nc_u64 s[86:87], 0, s[52:53]
	v_add_nc_u64_e32 v[12:13], v[8:9], v[10:11]
	v_mov_b32_e32 v19, v2
	s_fmamk_f32 s0, s51, 0x4f800000, s0
	s_delay_alu instid0(SALU_CYCLE_3) | instskip(NEXT) | instid1(VALU_DEP_2)
	v_s_rcp_f32 s0, s0
	v_xor_b32_e32 v14, v12, v10
	s_delay_alu instid0(VALU_DEP_3) | instskip(NEXT) | instid1(TRANS32_DEP_1)
	v_xor_b32_e32 v18, v13, v10
	s_mul_f32 s0, s0, 0x5f7ffffc
	s_delay_alu instid0(SALU_CYCLE_3) | instskip(NEXT) | instid1(SALU_CYCLE_3)
	s_mul_f32 s51, s0, 0x2f800000
	s_trunc_f32 s51, s51
	s_delay_alu instid0(SALU_CYCLE_3) | instskip(SKIP_1) | instid1(SALU_CYCLE_2)
	s_fmamk_f32 s0, s51, 0xcf800000, s0
	s_cvt_u32_f32 s85, s51
	s_cvt_u32_f32 s84, s0
	s_delay_alu instid0(SALU_CYCLE_3) | instskip(NEXT) | instid1(SALU_CYCLE_1)
	s_mul_u64 s[88:89], s[86:87], s[84:85]
	s_mul_hi_u32 s91, s84, s89
	s_mul_i32 s90, s84, s89
	s_mul_hi_u32 s0, s84, s88
	s_mul_i32 s82, s85, s88
	s_add_nc_u64 s[90:91], s[0:1], s[90:91]
	s_mul_hi_u32 s51, s85, s88
	s_mul_hi_u32 s92, s85, s89
	s_add_co_u32 s0, s90, s82
	s_add_co_ci_u32 s0, s91, s51
	s_mul_i32 s88, s85, s89
	s_add_co_ci_u32 s89, s92, 0
	s_delay_alu instid0(SALU_CYCLE_1) | instskip(NEXT) | instid1(SALU_CYCLE_1)
	s_add_nc_u64 s[88:89], s[0:1], s[88:89]
	s_add_co_u32 s84, s84, s88
	s_cselect_b32 s0, -1, 0
	s_delay_alu instid0(SALU_CYCLE_1) | instskip(SKIP_1) | instid1(SALU_CYCLE_1)
	s_cmp_lg_u32 s0, 0
	s_add_co_ci_u32 s85, s85, s89
	s_mul_u64 s[86:87], s[86:87], s[84:85]
	s_delay_alu instid0(SALU_CYCLE_1)
	s_mul_hi_u32 s89, s84, s87
	s_mul_i32 s88, s84, s87
	s_mul_hi_u32 s0, s84, s86
	s_mul_i32 s82, s85, s86
	s_add_nc_u64 s[88:89], s[0:1], s[88:89]
	s_mul_hi_u32 s51, s85, s86
	s_mul_hi_u32 s90, s85, s87
	s_add_co_u32 s0, s88, s82
	s_add_co_ci_u32 s0, s89, s51
	s_mul_i32 s86, s85, s87
	s_add_co_ci_u32 s87, s90, 0
	s_delay_alu instid0(SALU_CYCLE_1) | instskip(NEXT) | instid1(SALU_CYCLE_1)
	s_add_nc_u64 s[86:87], s[0:1], s[86:87]
	s_add_co_u32 s82, s84, s86
	s_cselect_b32 s0, -1, 0
	v_mul_hi_u32 v24, v14, s82
	s_cmp_lg_u32 s0, 0
	s_add_co_ci_u32 s0, s85, s87
	s_and_b64 s[84:85], s[82:83], s[34:35]
	v_mul_u64_e32 v[16:17], s[0:1], v[14:15]
	v_mul_u64_e32 v[12:13], s[84:85], v[18:19]
	;; [unrolled: 1-line block ×3, first 2 shown]
	s_delay_alu instid0(VALU_DEP_3) | instskip(NEXT) | instid1(VALU_DEP_1)
	v_add_nc_u64_e32 v[16:17], v[24:25], v[16:17]
	v_add_co_u32 v3, vcc_lo, v16, v12
	s_delay_alu instid0(VALU_DEP_2) | instskip(NEXT) | instid1(VALU_DEP_4)
	v_add_co_ci_u32_e32 v24, vcc_lo, v17, v13, vcc_lo
	v_add_co_ci_u32_e32 v21, vcc_lo, 0, v21, vcc_lo
	s_delay_alu instid0(VALU_DEP_1) | instskip(NEXT) | instid1(VALU_DEP_1)
	v_add_nc_u64_e32 v[12:13], v[24:25], v[20:21]
	v_mul_u64_e32 v[16:17], s[52:53], v[12:13]
	s_delay_alu instid0(VALU_DEP_1) | instskip(NEXT) | instid1(VALU_DEP_2)
	v_sub_nc_u32_e32 v3, v18, v17
	v_sub_co_u32 v11, vcc_lo, v14, v16
	s_delay_alu instid0(VALU_DEP_1) | instskip(NEXT) | instid1(VALU_DEP_3)
	v_sub_co_ci_u32_e64 v18, null, v18, v17, vcc_lo
	v_subrev_co_ci_u32_e64 v3, null, s53, v3, vcc_lo
	s_delay_alu instid0(VALU_DEP_3) | instskip(SKIP_1) | instid1(VALU_DEP_3)
	v_sub_co_u32 v14, s0, v11, s52
	v_add_nc_u64_e32 v[16:17], 1, v[12:13]
	v_subrev_co_ci_u32_e64 v3, null, 0, v3, s0
	s_delay_alu instid0(VALU_DEP_3) | instskip(SKIP_1) | instid1(VALU_DEP_3)
	v_cmp_le_u32_e32 vcc_lo, s52, v14
	v_cndmask_b32_e64 v14, 0, -1, vcc_lo
	v_cmp_le_u32_e32 vcc_lo, s53, v3
	v_cndmask_b32_e64 v15, 0, -1, vcc_lo
	;; [unrolled: 2-line block ×4, first 2 shown]
	v_cmp_eq_u32_e32 vcc_lo, s53, v3
	v_cndmask_b32_e32 v3, v15, v14, vcc_lo
	v_cmp_eq_u32_e32 vcc_lo, s53, v18
	v_add_nc_u64_e32 v[14:15], 2, v[12:13]
	v_cndmask_b32_e32 v11, v19, v11, vcc_lo
	s_delay_alu instid0(VALU_DEP_4) | instskip(NEXT) | instid1(VALU_DEP_2)
	v_cmp_ne_u32_e32 vcc_lo, 0, v3
	v_cmp_ne_u32_e64 s0, 0, v11
	s_delay_alu instid0(VALU_DEP_4) | instskip(NEXT) | instid1(VALU_DEP_1)
	v_dual_cndmask_b32 v3, v17, v15, vcc_lo :: v_dual_cndmask_b32 v11, v16, v14, vcc_lo
	v_dual_cndmask_b32 v3, v13, v3, s0 :: v_dual_bitop2_b32 v10, s50, v10 bitop3:0x14
	s_delay_alu instid0(VALU_DEP_1) | instskip(NEXT) | instid1(VALU_DEP_2)
	v_dual_cndmask_b32 v12, v12, v11, s0 :: v_dual_mov_b32 v11, v10
	v_xor_b32_e32 v13, v3, v10
	s_delay_alu instid0(VALU_DEP_2) | instskip(NEXT) | instid1(VALU_DEP_1)
	v_xor_b32_e32 v12, v12, v10
	v_sub_nc_u64_e32 v[10:11], v[12:13], v[10:11]
.LBB126_1294:                           ;   in Loop: Header=BB126_1292 Depth=1
	s_and_not1_saveexec_b32 s0, s81
	s_cbranch_execz .LBB126_1291
; %bb.1295:                             ;   in Loop: Header=BB126_1292 Depth=1
	v_cvt_f32_u32_e32 v3, s48
	s_sub_co_i32 s50, 0, s48
	s_delay_alu instid0(VALU_DEP_1) | instskip(SKIP_1) | instid1(TRANS32_DEP_1)
	v_rcp_iflag_f32_e32 v3, v3
	v_nop
	v_mul_f32_e32 v3, 0x4f7ffffe, v3
	s_delay_alu instid0(VALU_DEP_1) | instskip(NEXT) | instid1(VALU_DEP_1)
	v_cvt_u32_f32_e32 v3, v3
	v_mul_lo_u32 v10, s50, v3
	s_delay_alu instid0(VALU_DEP_1) | instskip(NEXT) | instid1(VALU_DEP_1)
	v_mul_hi_u32 v10, v3, v10
	v_add_nc_u32_e32 v3, v3, v10
	s_delay_alu instid0(VALU_DEP_1) | instskip(NEXT) | instid1(VALU_DEP_1)
	v_mul_hi_u32 v3, v8, v3
	v_mul_lo_u32 v10, v3, s48
	s_delay_alu instid0(VALU_DEP_1) | instskip(NEXT) | instid1(VALU_DEP_1)
	v_dual_add_nc_u32 v11, 1, v3 :: v_dual_sub_nc_u32 v10, v8, v10
	v_subrev_nc_u32_e32 v12, s48, v10
	v_cmp_le_u32_e32 vcc_lo, s48, v10
	s_delay_alu instid0(VALU_DEP_2) | instskip(NEXT) | instid1(VALU_DEP_1)
	v_dual_cndmask_b32 v10, v10, v12 :: v_dual_cndmask_b32 v3, v3, v11
	v_cmp_le_u32_e32 vcc_lo, s48, v10
	s_delay_alu instid0(VALU_DEP_2) | instskip(NEXT) | instid1(VALU_DEP_1)
	v_add_nc_u32_e32 v11, 1, v3
	v_dual_cndmask_b32 v10, v3, v11 :: v_dual_mov_b32 v11, v2
	s_branch .LBB126_1291
.LBB126_1296:
	s_mov_b32 s0, 0
	s_mov_b32 s1, s61
	s_mov_b32 s31, s63
	s_mov_b32 s34, s64
	s_mov_b32 s44, s65
	s_mov_b32 s35, s66
.LBB126_1297:
                                        ; implicit-def: $vgpr22
.LBB126_1298:
	s_and_not1_b32 s45, s61, exec_lo
	s_and_b32 s1, s1, exec_lo
	s_and_not1_b32 s46, s63, exec_lo
	s_and_b32 s31, s31, exec_lo
	s_or_b32 s80, s45, s1
	s_or_b32 s81, s46, s31
	s_and_not1_b32 s1, s64, exec_lo
	s_and_b32 s31, s34, exec_lo
	s_and_not1_b32 s34, s65, exec_lo
	s_and_b32 s44, s44, exec_lo
	s_or_b32 s82, s1, s31
	s_or_b32 s78, s34, s44
	;; [unrolled: 6-line block ×5, first 2 shown]
	s_or_not1_b32 s35, s0, exec_lo
.LBB126_1299:
	s_wait_xcnt 0x0
	s_or_b32 exec_lo, exec_lo, s83
	s_mov_b32 s1, 0
	s_mov_b32 s31, 0
	;; [unrolled: 1-line block ×3, first 2 shown]
                                        ; implicit-def: $sgpr0
                                        ; implicit-def: $vgpr2_vgpr3
                                        ; implicit-def: $vgpr0_vgpr1
	s_and_saveexec_b32 s83, s35
	s_cbranch_execz .LBB126_2139
; %bb.1300:
	s_mov_b32 s85, -1
	s_mov_b32 s1, s73
	s_mov_b32 s35, s75
	;; [unrolled: 1-line block ×10, first 2 shown]
	s_mov_b32 s84, exec_lo
	v_cmpx_gt_i32_e64 s62, v22
	s_cbranch_execz .LBB126_2047
; %bb.1301:
	s_wait_loadcnt 0x0
	v_mul_lo_u32 v0, v22, s17
	s_and_b32 s0, s54, 0xff
	s_delay_alu instid0(SALU_CYCLE_1) | instskip(NEXT) | instid1(VALU_DEP_1)
	s_cmp_lt_i32 s0, 11
	v_ashrrev_i32_e32 v1, 31, v0
	s_delay_alu instid0(VALU_DEP_1)
	v_add_nc_u64_e32 v[2:3], s[6:7], v[0:1]
	s_cbranch_scc1 .LBB126_1308
; %bb.1302:
	s_and_b32 s1, 0xffff, s0
	s_delay_alu instid0(SALU_CYCLE_1)
	s_cmp_gt_i32 s1, 25
	s_cbranch_scc0 .LBB126_1309
; %bb.1303:
	s_cmp_gt_i32 s1, 28
	s_cbranch_scc0 .LBB126_1310
; %bb.1304:
	s_cmp_gt_i32 s1, 43
	s_cbranch_scc0 .LBB126_1311
; %bb.1305:
	s_cmp_gt_i32 s1, 45
	s_cbranch_scc0 .LBB126_1317
; %bb.1306:
	s_cmp_eq_u32 s1, 46
	s_mov_b32 s34, 0
	s_cbranch_scc0 .LBB126_1327
; %bb.1307:
	global_load_b32 v0, v[2:3], off
	s_mov_b32 s31, -1
	s_mov_b32 s85, 0
	s_wait_loadcnt 0x0
	v_lshlrev_b32_e32 v0, 16, v0
	s_delay_alu instid0(VALU_DEP_1) | instskip(NEXT) | instid1(VALU_DEP_1)
	v_trunc_f32_e32 v0, v0
	v_mul_f32_e64 v1, 0x2f800000, |v0|
	s_delay_alu instid0(VALU_DEP_1) | instskip(NEXT) | instid1(VALU_DEP_1)
	v_floor_f32_e32 v1, v1
	v_fma_f32 v4, 0xcf800000, v1, |v0|
	v_ashrrev_i32_e32 v0, 31, v0
	v_cvt_u32_f32_e32 v5, v1
	s_delay_alu instid0(VALU_DEP_3) | instskip(NEXT) | instid1(VALU_DEP_2)
	v_cvt_u32_f32_e32 v4, v4
	v_dual_mov_b32 v1, v0 :: v_dual_bitop2_b32 v5, v5, v0 bitop3:0x14
	s_delay_alu instid0(VALU_DEP_2) | instskip(NEXT) | instid1(VALU_DEP_1)
	v_xor_b32_e32 v4, v4, v0
	v_sub_nc_u64_e32 v[0:1], v[4:5], v[0:1]
	s_branch .LBB126_1329
.LBB126_1308:
	s_mov_b32 s1, -1
	s_mov_b32 s31, 0
	s_mov_b32 s85, s73
                                        ; implicit-def: $vgpr0_vgpr1
	s_branch .LBB126_1390
.LBB126_1309:
	s_mov_b32 s34, -1
	s_mov_b32 s31, 0
	s_mov_b32 s85, s73
                                        ; implicit-def: $vgpr0_vgpr1
	s_branch .LBB126_1356
.LBB126_1310:
	s_mov_b32 s34, -1
	s_mov_b32 s31, 0
	s_mov_b32 s85, s73
                                        ; implicit-def: $vgpr0_vgpr1
	s_branch .LBB126_1339
.LBB126_1311:
	s_mov_b32 s34, -1
	s_mov_b32 s31, 0
	s_mov_b32 s85, s73
                                        ; implicit-def: $vgpr0_vgpr1
	s_branch .LBB126_1334
.LBB126_1312:
	s_mov_b32 s35, -1
	s_mov_b32 s0, s63
	s_mov_b32 s1, exec_lo
	v_cmpx_gt_i64_e64 v[6:7], v[4:5]
	s_cbranch_execz .LBB126_1319
; %bb.1313:
	s_delay_alu instid0(VALU_DEP_2) | instskip(SKIP_2) | instid1(VALU_DEP_1)
	v_lshlrev_b64_e32 v[0:1], 3, v[0:1]
	s_mov_b32 s0, 0
	s_xor_b32 s34, s56, -1
                                        ; implicit-def: $sgpr31
                                        ; implicit-def: $sgpr44
                                        ; implicit-def: $sgpr35
	v_lshl_add_u64 v[2:3], v[4:5], 3, v[0:1]
	v_add_nc_u64_e32 v[4:5], s[24:25], v[0:1]
	s_delay_alu instid0(VALU_DEP_2) | instskip(NEXT) | instid1(VALU_DEP_1)
	v_add_nc_u64_e32 v[2:3], s[24:25], v[2:3]
	v_add_nc_u64_e32 v[0:1], 8, v[2:3]
	s_delay_alu instid0(VALU_DEP_3)
	v_lshl_add_u64 v[2:3], v[6:7], 3, v[4:5]
	s_branch .LBB126_1315
.LBB126_1314:                           ;   in Loop: Header=BB126_1315 Depth=1
	s_or_b32 exec_lo, exec_lo, s45
	s_delay_alu instid0(SALU_CYCLE_1) | instskip(NEXT) | instid1(SALU_CYCLE_1)
	s_and_b32 s45, exec_lo, s44
	s_or_b32 s0, s45, s0
	s_and_not1_b32 s31, s31, exec_lo
	s_and_b32 s45, s35, exec_lo
	s_delay_alu instid0(SALU_CYCLE_1)
	s_or_b32 s31, s31, s45
	s_and_not1_b32 exec_lo, exec_lo, s0
	s_cbranch_execz .LBB126_1318
.LBB126_1315:                           ; =>This Inner Loop Header: Depth=1
	s_or_b32 s35, s35, exec_lo
	s_or_b32 s44, s44, exec_lo
	s_mov_b32 s45, exec_lo
	s_delay_alu instid0(VALU_DEP_2)
	v_cmpx_lt_u64_e64 v[0:1], v[2:3]
	s_cbranch_execz .LBB126_1314
; %bb.1316:                             ;   in Loop: Header=BB126_1315 Depth=1
	global_load_b128 v[4:7], v[0:1], off offset:-8
	s_wait_xcnt 0x0
	v_add_nc_u64_e32 v[0:1], 8, v[0:1]
	s_and_not1_b32 s44, s44, exec_lo
	s_and_not1_b32 s35, s35, exec_lo
	s_wait_loadcnt 0x0
	v_cmp_ge_i64_e32 vcc_lo, v[4:5], v[6:7]
	s_or_b32 s46, s34, vcc_lo
	s_delay_alu instid0(SALU_CYCLE_1) | instskip(NEXT) | instid1(SALU_CYCLE_1)
	s_and_b32 s46, s46, exec_lo
	s_or_b32 s44, s44, s46
	s_branch .LBB126_1314
.LBB126_1317:
	s_mov_b32 s34, -1
	s_mov_b32 s31, 0
	s_mov_b32 s85, s73
	s_branch .LBB126_1328
.LBB126_1318:
	s_or_b32 exec_lo, exec_lo, s0
	s_delay_alu instid0(SALU_CYCLE_1)
	s_or_b32 s0, s63, exec_lo
	s_or_not1_b32 s35, s31, exec_lo
.LBB126_1319:
	s_or_b32 exec_lo, exec_lo, s1
	s_mov_b32 s34, 0
	s_mov_b32 s31, s61
	s_and_saveexec_b32 s1, s35
	s_cbranch_execz .LBB126_3590
; %bb.1320:
	v_mul_lo_u32 v0, v22, s16
	s_and_b32 s34, s26, 0xff
	s_delay_alu instid0(SALU_CYCLE_1) | instskip(NEXT) | instid1(VALU_DEP_1)
	s_cmp_lt_i32 s34, 11
	v_ashrrev_i32_e32 v1, 31, v0
	s_delay_alu instid0(VALU_DEP_1)
	v_add_nc_u64_e32 v[0:1], s[4:5], v[0:1]
	s_cbranch_scc1 .LBB126_1453
; %bb.1321:
	s_and_b32 s35, 0xffff, s34
	s_delay_alu instid0(SALU_CYCLE_1)
	s_cmp_gt_i32 s35, 25
	s_cbranch_scc0 .LBB126_1580
; %bb.1322:
	s_cmp_gt_i32 s35, 28
	s_cbranch_scc0 .LBB126_1707
; %bb.1323:
	;; [unrolled: 3-line block ×4, first 2 shown]
	s_mov_b32 s45, 0
	s_mov_b32 s31, -1
	s_cmp_eq_u32 s35, 46
	s_mov_b32 s44, 0
	s_cbranch_scc0 .LBB126_3508
; %bb.1326:
	v_mov_b32_e32 v2, 0
	s_mov_b32 s44, -1
	s_mov_b32 s31, 0
	global_store_b32 v[0:1], v2, off
	s_branch .LBB126_3508
.LBB126_1327:
	s_mov_b32 s31, 0
.LBB126_1328:
                                        ; implicit-def: $vgpr0_vgpr1
.LBB126_1329:
	s_and_b32 vcc_lo, exec_lo, s34
	s_cbranch_vccz .LBB126_1333
; %bb.1330:
	s_cmp_eq_u32 s1, 44
	s_cbranch_scc0 .LBB126_1332
; %bb.1331:
	global_load_u8 v6, v[2:3], off
	s_mov_b32 s85, 0
	s_mov_b32 s31, -1
	s_wait_loadcnt 0x0
	v_cmp_ne_u32_e32 vcc_lo, 0, v6
	v_lshlrev_b32_e32 v0, 23, v6
	s_delay_alu instid0(VALU_DEP_1) | instskip(NEXT) | instid1(VALU_DEP_1)
	v_trunc_f32_e32 v0, v0
	v_mul_f32_e64 v1, 0x2f800000, |v0|
	s_delay_alu instid0(VALU_DEP_1) | instskip(NEXT) | instid1(VALU_DEP_1)
	v_floor_f32_e32 v1, v1
	v_fma_f32 v4, 0xcf800000, v1, |v0|
	v_ashrrev_i32_e32 v0, 31, v0
	v_cvt_u32_f32_e32 v5, v1
	s_delay_alu instid0(VALU_DEP_3) | instskip(NEXT) | instid1(VALU_DEP_2)
	v_cvt_u32_f32_e32 v4, v4
	v_dual_mov_b32 v1, v0 :: v_dual_bitop2_b32 v5, v5, v0 bitop3:0x14
	s_delay_alu instid0(VALU_DEP_2) | instskip(NEXT) | instid1(VALU_DEP_1)
	v_xor_b32_e32 v4, v4, v0
	v_sub_nc_u64_e32 v[0:1], v[4:5], v[0:1]
	s_delay_alu instid0(VALU_DEP_1)
	v_dual_cndmask_b32 v1, 0, v1 :: v_dual_cndmask_b32 v0, 0, v0
	s_branch .LBB126_1333
.LBB126_1332:
	s_mov_b32 s85, -1
                                        ; implicit-def: $vgpr0_vgpr1
.LBB126_1333:
	s_mov_b32 s34, 0
.LBB126_1334:
	s_delay_alu instid0(SALU_CYCLE_1)
	s_and_b32 vcc_lo, exec_lo, s34
	s_cbranch_vccz .LBB126_1338
; %bb.1335:
	s_cmp_eq_u32 s1, 29
	s_cbranch_scc0 .LBB126_1337
; %bb.1336:
	global_load_b64 v[0:1], v[2:3], off
	s_mov_b32 s31, -1
	s_mov_b32 s85, 0
	s_branch .LBB126_1338
.LBB126_1337:
	s_mov_b32 s85, -1
                                        ; implicit-def: $vgpr0_vgpr1
.LBB126_1338:
	s_mov_b32 s34, 0
.LBB126_1339:
	s_delay_alu instid0(SALU_CYCLE_1)
	s_and_b32 vcc_lo, exec_lo, s34
	s_cbranch_vccz .LBB126_1355
; %bb.1340:
	s_cmp_lt_i32 s1, 27
	s_cbranch_scc1 .LBB126_1343
; %bb.1341:
	s_cmp_gt_i32 s1, 27
	s_cbranch_scc0 .LBB126_1344
; %bb.1342:
	s_wait_loadcnt 0x0
	global_load_b32 v0, v[2:3], off
	v_mov_b32_e32 v1, 0
	s_mov_b32 s31, 0
	s_branch .LBB126_1345
.LBB126_1343:
	s_mov_b32 s31, -1
                                        ; implicit-def: $vgpr0_vgpr1
	s_branch .LBB126_1348
.LBB126_1344:
	s_mov_b32 s31, -1
                                        ; implicit-def: $vgpr0_vgpr1
.LBB126_1345:
	s_delay_alu instid0(SALU_CYCLE_1)
	s_and_not1_b32 vcc_lo, exec_lo, s31
	s_cbranch_vccnz .LBB126_1347
; %bb.1346:
	s_wait_loadcnt 0x0
	global_load_u16 v0, v[2:3], off
	s_mov_b32 s31, 0
	s_delay_alu instid0(SALU_CYCLE_1)
	v_mov_b32_e32 v1, s31
	s_wait_loadcnt 0x0
	v_and_b32_e32 v0, 0xffff, v0
.LBB126_1347:
	s_mov_b32 s31, 0
.LBB126_1348:
	s_delay_alu instid0(SALU_CYCLE_1)
	s_and_not1_b32 vcc_lo, exec_lo, s31
	s_cbranch_vccnz .LBB126_1354
; %bb.1349:
	global_load_u8 v4, v[2:3], off
	s_mov_b32 s34, 0
	s_mov_b32 s31, exec_lo
	s_wait_loadcnt 0x0
	v_cmpx_lt_i16_e32 0x7f, v4
	s_xor_b32 s31, exec_lo, s31
	s_cbranch_execz .LBB126_1366
; %bb.1350:
	v_cmp_ne_u16_e32 vcc_lo, 0x80, v4
	s_and_b32 s34, vcc_lo, exec_lo
	s_and_not1_saveexec_b32 s31, s31
	s_cbranch_execnz .LBB126_1367
.LBB126_1351:
	s_or_b32 exec_lo, exec_lo, s31
	v_mov_b64_e32 v[0:1], 0
	s_and_saveexec_b32 s31, s34
	s_cbranch_execz .LBB126_1353
.LBB126_1352:
	v_and_b32_e32 v0, 0xffff, v4
	s_delay_alu instid0(VALU_DEP_1) | instskip(SKIP_1) | instid1(VALU_DEP_2)
	v_and_b32_e32 v1, 7, v0
	v_bfe_u32 v7, v0, 3, 4
	v_clz_i32_u32_e32 v5, v1
	s_delay_alu instid0(VALU_DEP_2) | instskip(NEXT) | instid1(VALU_DEP_2)
	v_cmp_eq_u32_e32 vcc_lo, 0, v7
	v_min_u32_e32 v5, 32, v5
	s_delay_alu instid0(VALU_DEP_1) | instskip(NEXT) | instid1(VALU_DEP_1)
	v_subrev_nc_u32_e32 v6, 28, v5
	v_dual_lshlrev_b32 v0, v6, v0 :: v_dual_sub_nc_u32 v5, 29, v5
	s_delay_alu instid0(VALU_DEP_1) | instskip(NEXT) | instid1(VALU_DEP_2)
	v_and_b32_e32 v0, 7, v0
	v_dual_cndmask_b32 v5, v7, v5 :: v_dual_lshlrev_b32 v4, 24, v4
	s_delay_alu instid0(VALU_DEP_2) | instskip(NEXT) | instid1(VALU_DEP_2)
	v_cndmask_b32_e32 v0, v1, v0, vcc_lo
	v_and_b32_e32 v1, 0x80000000, v4
	s_delay_alu instid0(VALU_DEP_3) | instskip(NEXT) | instid1(VALU_DEP_3)
	v_lshl_add_u32 v4, v5, 23, 0x3b800000
	v_lshlrev_b32_e32 v0, 20, v0
	s_delay_alu instid0(VALU_DEP_1) | instskip(NEXT) | instid1(VALU_DEP_1)
	v_or3_b32 v0, v1, v4, v0
	v_trunc_f32_e32 v0, v0
	s_delay_alu instid0(VALU_DEP_1) | instskip(NEXT) | instid1(VALU_DEP_1)
	v_mul_f32_e64 v1, 0x2f800000, |v0|
	v_floor_f32_e32 v1, v1
	s_delay_alu instid0(VALU_DEP_1) | instskip(SKIP_2) | instid1(VALU_DEP_3)
	v_fma_f32 v4, 0xcf800000, v1, |v0|
	v_ashrrev_i32_e32 v0, 31, v0
	v_cvt_u32_f32_e32 v5, v1
	v_cvt_u32_f32_e32 v4, v4
	s_delay_alu instid0(VALU_DEP_2) | instskip(NEXT) | instid1(VALU_DEP_2)
	v_dual_mov_b32 v1, v0 :: v_dual_bitop2_b32 v5, v5, v0 bitop3:0x14
	v_xor_b32_e32 v4, v4, v0
	s_delay_alu instid0(VALU_DEP_1)
	v_sub_nc_u64_e32 v[0:1], v[4:5], v[0:1]
.LBB126_1353:
	s_or_b32 exec_lo, exec_lo, s31
.LBB126_1354:
	s_mov_b32 s31, -1
.LBB126_1355:
	s_mov_b32 s34, 0
.LBB126_1356:
	s_delay_alu instid0(SALU_CYCLE_1)
	s_and_b32 vcc_lo, exec_lo, s34
	s_cbranch_vccz .LBB126_1389
; %bb.1357:
	s_cmp_gt_i32 s1, 22
	s_cbranch_scc0 .LBB126_1365
; %bb.1358:
	s_cmp_lt_i32 s1, 24
	s_cbranch_scc1 .LBB126_1368
; %bb.1359:
	s_cmp_gt_i32 s1, 24
	s_cbranch_scc0 .LBB126_1369
; %bb.1360:
	global_load_u8 v4, v[2:3], off
	s_mov_b32 s34, 0
	s_mov_b32 s31, exec_lo
	s_wait_loadcnt 0x0
	v_cmpx_lt_i16_e32 0x7f, v4
	s_xor_b32 s31, exec_lo, s31
	s_cbranch_execz .LBB126_1381
; %bb.1361:
	v_cmp_ne_u16_e32 vcc_lo, 0x80, v4
	s_and_b32 s34, vcc_lo, exec_lo
	s_and_not1_saveexec_b32 s31, s31
	s_cbranch_execnz .LBB126_1382
.LBB126_1362:
	s_or_b32 exec_lo, exec_lo, s31
	v_mov_b64_e32 v[0:1], 0
	s_and_saveexec_b32 s31, s34
	s_cbranch_execz .LBB126_1364
.LBB126_1363:
	v_and_b32_e32 v0, 0xffff, v4
	s_delay_alu instid0(VALU_DEP_1) | instskip(SKIP_1) | instid1(VALU_DEP_2)
	v_and_b32_e32 v1, 3, v0
	v_bfe_u32 v7, v0, 2, 5
	v_clz_i32_u32_e32 v5, v1
	s_delay_alu instid0(VALU_DEP_2) | instskip(NEXT) | instid1(VALU_DEP_2)
	v_cmp_eq_u32_e32 vcc_lo, 0, v7
	v_min_u32_e32 v5, 32, v5
	s_delay_alu instid0(VALU_DEP_1) | instskip(NEXT) | instid1(VALU_DEP_1)
	v_subrev_nc_u32_e32 v6, 29, v5
	v_dual_lshlrev_b32 v0, v6, v0 :: v_dual_sub_nc_u32 v5, 30, v5
	s_delay_alu instid0(VALU_DEP_1) | instskip(NEXT) | instid1(VALU_DEP_2)
	v_and_b32_e32 v0, 3, v0
	v_dual_cndmask_b32 v5, v7, v5 :: v_dual_lshlrev_b32 v4, 24, v4
	s_delay_alu instid0(VALU_DEP_2) | instskip(NEXT) | instid1(VALU_DEP_2)
	v_cndmask_b32_e32 v0, v1, v0, vcc_lo
	v_and_b32_e32 v1, 0x80000000, v4
	s_delay_alu instid0(VALU_DEP_3) | instskip(NEXT) | instid1(VALU_DEP_3)
	v_lshl_add_u32 v4, v5, 23, 0x37800000
	v_lshlrev_b32_e32 v0, 21, v0
	s_delay_alu instid0(VALU_DEP_1) | instskip(NEXT) | instid1(VALU_DEP_1)
	v_or3_b32 v0, v1, v4, v0
	v_trunc_f32_e32 v0, v0
	s_delay_alu instid0(VALU_DEP_1) | instskip(NEXT) | instid1(VALU_DEP_1)
	v_mul_f32_e64 v1, 0x2f800000, |v0|
	v_floor_f32_e32 v1, v1
	s_delay_alu instid0(VALU_DEP_1) | instskip(SKIP_2) | instid1(VALU_DEP_3)
	v_fma_f32 v4, 0xcf800000, v1, |v0|
	v_ashrrev_i32_e32 v0, 31, v0
	v_cvt_u32_f32_e32 v5, v1
	v_cvt_u32_f32_e32 v4, v4
	s_delay_alu instid0(VALU_DEP_2) | instskip(NEXT) | instid1(VALU_DEP_2)
	v_dual_mov_b32 v1, v0 :: v_dual_bitop2_b32 v5, v5, v0 bitop3:0x14
	v_xor_b32_e32 v4, v4, v0
	s_delay_alu instid0(VALU_DEP_1)
	v_sub_nc_u64_e32 v[0:1], v[4:5], v[0:1]
.LBB126_1364:
	s_or_b32 exec_lo, exec_lo, s31
	s_mov_b32 s31, 0
	s_branch .LBB126_1370
.LBB126_1365:
	s_mov_b32 s34, -1
                                        ; implicit-def: $vgpr0_vgpr1
	s_branch .LBB126_1376
.LBB126_1366:
	s_and_not1_saveexec_b32 s31, s31
	s_cbranch_execz .LBB126_1351
.LBB126_1367:
	v_cmp_ne_u16_e32 vcc_lo, 0, v4
	s_and_not1_b32 s34, s34, exec_lo
	s_and_b32 s35, vcc_lo, exec_lo
	s_delay_alu instid0(SALU_CYCLE_1)
	s_or_b32 s34, s34, s35
	s_or_b32 exec_lo, exec_lo, s31
	v_mov_b64_e32 v[0:1], 0
	s_and_saveexec_b32 s31, s34
	s_cbranch_execnz .LBB126_1352
	s_branch .LBB126_1353
.LBB126_1368:
	s_mov_b32 s31, -1
                                        ; implicit-def: $vgpr0_vgpr1
	s_branch .LBB126_1373
.LBB126_1369:
	s_mov_b32 s31, -1
                                        ; implicit-def: $vgpr0_vgpr1
.LBB126_1370:
	s_delay_alu instid0(SALU_CYCLE_1)
	s_and_b32 vcc_lo, exec_lo, s31
	s_cbranch_vccz .LBB126_1372
; %bb.1371:
	s_wait_loadcnt 0x0
	global_load_u8 v0, v[2:3], off
	s_wait_loadcnt 0x0
	v_lshlrev_b32_e32 v0, 24, v0
	s_delay_alu instid0(VALU_DEP_1) | instskip(NEXT) | instid1(VALU_DEP_1)
	v_and_b32_e32 v1, 0x7f000000, v0
	v_clz_i32_u32_e32 v4, v1
	v_cmp_ne_u32_e32 vcc_lo, 0, v1
	v_add_nc_u32_e32 v6, 0x1000000, v1
	s_delay_alu instid0(VALU_DEP_3) | instskip(NEXT) | instid1(VALU_DEP_1)
	v_min_u32_e32 v4, 32, v4
	v_sub_nc_u32_e64 v4, v4, 4 clamp
	s_delay_alu instid0(VALU_DEP_1) | instskip(NEXT) | instid1(VALU_DEP_1)
	v_dual_lshlrev_b32 v5, v4, v1 :: v_dual_lshlrev_b32 v4, 23, v4
	v_lshrrev_b32_e32 v5, 4, v5
	s_delay_alu instid0(VALU_DEP_1) | instskip(NEXT) | instid1(VALU_DEP_1)
	v_dual_sub_nc_u32 v4, v5, v4 :: v_dual_ashrrev_i32 v5, 8, v6
	v_add_nc_u32_e32 v4, 0x3c000000, v4
	s_delay_alu instid0(VALU_DEP_1) | instskip(NEXT) | instid1(VALU_DEP_1)
	v_and_or_b32 v4, 0x7f800000, v5, v4
	v_cndmask_b32_e32 v1, 0, v4, vcc_lo
	s_delay_alu instid0(VALU_DEP_1) | instskip(NEXT) | instid1(VALU_DEP_1)
	v_and_or_b32 v0, 0x80000000, v0, v1
	v_trunc_f32_e32 v0, v0
	s_delay_alu instid0(VALU_DEP_1) | instskip(NEXT) | instid1(VALU_DEP_1)
	v_mul_f32_e64 v1, 0x2f800000, |v0|
	v_floor_f32_e32 v1, v1
	s_delay_alu instid0(VALU_DEP_1) | instskip(SKIP_2) | instid1(VALU_DEP_3)
	v_fma_f32 v4, 0xcf800000, v1, |v0|
	v_ashrrev_i32_e32 v0, 31, v0
	v_cvt_u32_f32_e32 v5, v1
	v_cvt_u32_f32_e32 v4, v4
	s_delay_alu instid0(VALU_DEP_2) | instskip(NEXT) | instid1(VALU_DEP_2)
	v_dual_mov_b32 v1, v0 :: v_dual_bitop2_b32 v5, v5, v0 bitop3:0x14
	v_xor_b32_e32 v4, v4, v0
	s_delay_alu instid0(VALU_DEP_1)
	v_sub_nc_u64_e32 v[0:1], v[4:5], v[0:1]
.LBB126_1372:
	s_mov_b32 s31, 0
.LBB126_1373:
	s_delay_alu instid0(SALU_CYCLE_1)
	s_and_not1_b32 vcc_lo, exec_lo, s31
	s_cbranch_vccnz .LBB126_1375
; %bb.1374:
	s_wait_loadcnt 0x0
	global_load_u8 v0, v[2:3], off
	s_wait_loadcnt 0x0
	v_lshlrev_b32_e32 v1, 25, v0
	v_lshlrev_b16 v0, 8, v0
	s_delay_alu instid0(VALU_DEP_1) | instskip(SKIP_1) | instid1(VALU_DEP_2)
	v_and_or_b32 v5, 0x7f00, v0, 0.5
	v_bfe_i32 v0, v0, 0, 16
	v_add_f32_e32 v5, -0.5, v5
	v_lshrrev_b32_e32 v4, 4, v1
	v_cmp_gt_u32_e32 vcc_lo, 0x8000000, v1
	s_delay_alu instid0(VALU_DEP_2) | instskip(NEXT) | instid1(VALU_DEP_1)
	v_or_b32_e32 v4, 0x70000000, v4
	v_mul_f32_e32 v4, 0x7800000, v4
	s_delay_alu instid0(VALU_DEP_1) | instskip(NEXT) | instid1(VALU_DEP_1)
	v_cndmask_b32_e32 v1, v4, v5, vcc_lo
	v_and_or_b32 v0, 0x80000000, v0, v1
	s_delay_alu instid0(VALU_DEP_1) | instskip(NEXT) | instid1(VALU_DEP_1)
	v_trunc_f32_e32 v0, v0
	v_mul_f32_e64 v1, 0x2f800000, |v0|
	s_delay_alu instid0(VALU_DEP_1) | instskip(NEXT) | instid1(VALU_DEP_1)
	v_floor_f32_e32 v1, v1
	v_fma_f32 v4, 0xcf800000, v1, |v0|
	v_ashrrev_i32_e32 v0, 31, v0
	v_cvt_u32_f32_e32 v5, v1
	s_delay_alu instid0(VALU_DEP_3) | instskip(NEXT) | instid1(VALU_DEP_2)
	v_cvt_u32_f32_e32 v4, v4
	v_dual_mov_b32 v1, v0 :: v_dual_bitop2_b32 v5, v5, v0 bitop3:0x14
	s_delay_alu instid0(VALU_DEP_2) | instskip(NEXT) | instid1(VALU_DEP_1)
	v_xor_b32_e32 v4, v4, v0
	v_sub_nc_u64_e32 v[0:1], v[4:5], v[0:1]
.LBB126_1375:
	s_mov_b32 s34, 0
	s_mov_b32 s31, -1
.LBB126_1376:
	s_and_not1_b32 vcc_lo, exec_lo, s34
	s_cbranch_vccnz .LBB126_1389
; %bb.1377:
	s_cmp_gt_i32 s1, 14
	s_cbranch_scc0 .LBB126_1380
; %bb.1378:
	s_cmp_eq_u32 s1, 15
	s_cbranch_scc0 .LBB126_1383
; %bb.1379:
	s_wait_loadcnt 0x0
	global_load_u16 v0, v[2:3], off
	s_mov_b32 s31, -1
	s_mov_b32 s85, 0
	s_wait_loadcnt 0x0
	v_lshlrev_b32_e32 v0, 16, v0
	s_delay_alu instid0(VALU_DEP_1) | instskip(NEXT) | instid1(VALU_DEP_1)
	v_trunc_f32_e32 v0, v0
	v_mul_f32_e64 v1, 0x2f800000, |v0|
	s_delay_alu instid0(VALU_DEP_1) | instskip(NEXT) | instid1(VALU_DEP_1)
	v_floor_f32_e32 v1, v1
	v_fma_f32 v4, 0xcf800000, v1, |v0|
	v_ashrrev_i32_e32 v0, 31, v0
	v_cvt_u32_f32_e32 v5, v1
	s_delay_alu instid0(VALU_DEP_3) | instskip(NEXT) | instid1(VALU_DEP_2)
	v_cvt_u32_f32_e32 v4, v4
	v_dual_mov_b32 v1, v0 :: v_dual_bitop2_b32 v5, v5, v0 bitop3:0x14
	s_delay_alu instid0(VALU_DEP_2) | instskip(NEXT) | instid1(VALU_DEP_1)
	v_xor_b32_e32 v4, v4, v0
	v_sub_nc_u64_e32 v[0:1], v[4:5], v[0:1]
	s_branch .LBB126_1384
.LBB126_1380:
	s_mov_b32 s34, -1
                                        ; implicit-def: $vgpr0_vgpr1
	s_branch .LBB126_1385
.LBB126_1381:
	s_and_not1_saveexec_b32 s31, s31
	s_cbranch_execz .LBB126_1362
.LBB126_1382:
	v_cmp_ne_u16_e32 vcc_lo, 0, v4
	s_and_not1_b32 s34, s34, exec_lo
	s_and_b32 s35, vcc_lo, exec_lo
	s_delay_alu instid0(SALU_CYCLE_1)
	s_or_b32 s34, s34, s35
	s_or_b32 exec_lo, exec_lo, s31
	v_mov_b64_e32 v[0:1], 0
	s_and_saveexec_b32 s31, s34
	s_cbranch_execnz .LBB126_1363
	s_branch .LBB126_1364
.LBB126_1383:
	s_mov_b32 s85, -1
                                        ; implicit-def: $vgpr0_vgpr1
.LBB126_1384:
	s_mov_b32 s34, 0
.LBB126_1385:
	s_delay_alu instid0(SALU_CYCLE_1)
	s_and_b32 vcc_lo, exec_lo, s34
	s_cbranch_vccz .LBB126_1389
; %bb.1386:
	s_cmp_eq_u32 s1, 11
	s_cbranch_scc0 .LBB126_1388
; %bb.1387:
	s_wait_loadcnt 0x0
	global_load_u8 v0, v[2:3], off
	s_mov_b32 s85, 0
	s_mov_b32 s31, -1
	v_mov_b32_e32 v1, s85
	s_wait_loadcnt 0x0
	v_cmp_ne_u16_e32 vcc_lo, 0, v0
	v_cndmask_b32_e64 v0, 0, 1, vcc_lo
	s_branch .LBB126_1389
.LBB126_1388:
	s_mov_b32 s85, -1
                                        ; implicit-def: $vgpr0_vgpr1
.LBB126_1389:
	s_mov_b32 s1, 0
.LBB126_1390:
	s_delay_alu instid0(SALU_CYCLE_1)
	s_and_b32 vcc_lo, exec_lo, s1
	s_cbranch_vccz .LBB126_1439
; %bb.1391:
	s_and_b32 s0, 0xffff, s0
	s_delay_alu instid0(SALU_CYCLE_1)
	s_cmp_lt_i32 s0, 5
	s_cbranch_scc1 .LBB126_1396
; %bb.1392:
	s_cmp_lt_i32 s0, 8
	s_cbranch_scc1 .LBB126_1397
; %bb.1393:
	;; [unrolled: 3-line block ×3, first 2 shown]
	s_cmp_gt_i32 s0, 9
	s_cbranch_scc0 .LBB126_1399
; %bb.1395:
	s_wait_loadcnt 0x0
	global_load_b64 v[0:1], v[2:3], off
	s_mov_b32 s1, 0
	s_wait_loadcnt 0x0
	v_trunc_f64_e32 v[0:1], v[0:1]
	s_delay_alu instid0(VALU_DEP_1) | instskip(NEXT) | instid1(VALU_DEP_1)
	v_ldexp_f64 v[4:5], v[0:1], 0xffffffe0
	v_floor_f64_e32 v[4:5], v[4:5]
	s_delay_alu instid0(VALU_DEP_1) | instskip(SKIP_1) | instid1(VALU_DEP_2)
	v_fmamk_f64 v[6:7], v[4:5], 0xc1f00000, v[0:1]
	v_cvt_i32_f64_e32 v1, v[4:5]
	v_cvt_u32_f64_e32 v0, v[6:7]
	s_branch .LBB126_1400
.LBB126_1396:
	s_mov_b32 s1, -1
                                        ; implicit-def: $vgpr0_vgpr1
	s_branch .LBB126_1418
.LBB126_1397:
	s_mov_b32 s1, -1
                                        ; implicit-def: $vgpr0_vgpr1
	s_branch .LBB126_1406
.LBB126_1398:
	s_mov_b32 s1, -1
                                        ; implicit-def: $vgpr0_vgpr1
	s_branch .LBB126_1403
.LBB126_1399:
	s_mov_b32 s1, -1
                                        ; implicit-def: $vgpr0_vgpr1
.LBB126_1400:
	s_delay_alu instid0(SALU_CYCLE_1)
	s_and_not1_b32 vcc_lo, exec_lo, s1
	s_cbranch_vccnz .LBB126_1402
; %bb.1401:
	s_wait_loadcnt 0x0
	global_load_b32 v0, v[2:3], off
	s_wait_loadcnt 0x0
	v_trunc_f32_e32 v0, v0
	s_delay_alu instid0(VALU_DEP_1) | instskip(NEXT) | instid1(VALU_DEP_1)
	v_mul_f32_e64 v1, 0x2f800000, |v0|
	v_floor_f32_e32 v1, v1
	s_delay_alu instid0(VALU_DEP_1) | instskip(SKIP_2) | instid1(VALU_DEP_3)
	v_fma_f32 v4, 0xcf800000, v1, |v0|
	v_ashrrev_i32_e32 v0, 31, v0
	v_cvt_u32_f32_e32 v5, v1
	v_cvt_u32_f32_e32 v4, v4
	s_delay_alu instid0(VALU_DEP_2) | instskip(NEXT) | instid1(VALU_DEP_2)
	v_dual_mov_b32 v1, v0 :: v_dual_bitop2_b32 v5, v5, v0 bitop3:0x14
	v_xor_b32_e32 v4, v4, v0
	s_delay_alu instid0(VALU_DEP_1)
	v_sub_nc_u64_e32 v[0:1], v[4:5], v[0:1]
.LBB126_1402:
	s_mov_b32 s1, 0
.LBB126_1403:
	s_delay_alu instid0(SALU_CYCLE_1)
	s_and_not1_b32 vcc_lo, exec_lo, s1
	s_cbranch_vccnz .LBB126_1405
; %bb.1404:
	s_wait_loadcnt 0x0
	global_load_b32 v0, v[2:3], off
	s_wait_loadcnt 0x0
	v_cvt_f32_f16_e32 v0, v0
	s_delay_alu instid0(VALU_DEP_1) | instskip(NEXT) | instid1(VALU_DEP_1)
	v_cvt_i32_f32_e32 v0, v0
	v_ashrrev_i32_e32 v1, 31, v0
.LBB126_1405:
	s_mov_b32 s1, 0
.LBB126_1406:
	s_delay_alu instid0(SALU_CYCLE_1)
	s_and_not1_b32 vcc_lo, exec_lo, s1
	s_cbranch_vccnz .LBB126_1417
; %bb.1407:
	s_cmp_lt_i32 s0, 6
	s_cbranch_scc1 .LBB126_1410
; %bb.1408:
	s_cmp_gt_i32 s0, 6
	s_cbranch_scc0 .LBB126_1411
; %bb.1409:
	s_wait_loadcnt 0x0
	global_load_b64 v[0:1], v[2:3], off
	s_mov_b32 s1, 0
	s_wait_loadcnt 0x0
	v_trunc_f64_e32 v[0:1], v[0:1]
	s_delay_alu instid0(VALU_DEP_1) | instskip(NEXT) | instid1(VALU_DEP_1)
	v_ldexp_f64 v[4:5], v[0:1], 0xffffffe0
	v_floor_f64_e32 v[4:5], v[4:5]
	s_delay_alu instid0(VALU_DEP_1) | instskip(SKIP_1) | instid1(VALU_DEP_2)
	v_fmamk_f64 v[6:7], v[4:5], 0xc1f00000, v[0:1]
	v_cvt_i32_f64_e32 v1, v[4:5]
	v_cvt_u32_f64_e32 v0, v[6:7]
	s_branch .LBB126_1412
.LBB126_1410:
	s_mov_b32 s1, -1
                                        ; implicit-def: $vgpr0_vgpr1
	s_branch .LBB126_1415
.LBB126_1411:
	s_mov_b32 s1, -1
                                        ; implicit-def: $vgpr0_vgpr1
.LBB126_1412:
	s_delay_alu instid0(SALU_CYCLE_1)
	s_and_not1_b32 vcc_lo, exec_lo, s1
	s_cbranch_vccnz .LBB126_1414
; %bb.1413:
	s_wait_loadcnt 0x0
	global_load_b32 v0, v[2:3], off
	s_wait_loadcnt 0x0
	v_trunc_f32_e32 v0, v0
	s_delay_alu instid0(VALU_DEP_1) | instskip(NEXT) | instid1(VALU_DEP_1)
	v_mul_f32_e64 v1, 0x2f800000, |v0|
	v_floor_f32_e32 v1, v1
	s_delay_alu instid0(VALU_DEP_1) | instskip(SKIP_2) | instid1(VALU_DEP_3)
	v_fma_f32 v4, 0xcf800000, v1, |v0|
	v_ashrrev_i32_e32 v0, 31, v0
	v_cvt_u32_f32_e32 v5, v1
	v_cvt_u32_f32_e32 v4, v4
	s_delay_alu instid0(VALU_DEP_2) | instskip(NEXT) | instid1(VALU_DEP_2)
	v_dual_mov_b32 v1, v0 :: v_dual_bitop2_b32 v5, v5, v0 bitop3:0x14
	v_xor_b32_e32 v4, v4, v0
	s_delay_alu instid0(VALU_DEP_1)
	v_sub_nc_u64_e32 v[0:1], v[4:5], v[0:1]
.LBB126_1414:
	s_mov_b32 s1, 0
.LBB126_1415:
	s_delay_alu instid0(SALU_CYCLE_1)
	s_and_not1_b32 vcc_lo, exec_lo, s1
	s_cbranch_vccnz .LBB126_1417
; %bb.1416:
	s_wait_loadcnt 0x0
	global_load_u16 v0, v[2:3], off
	s_wait_loadcnt 0x0
	v_cvt_f32_f16_e32 v0, v0
	s_delay_alu instid0(VALU_DEP_1) | instskip(NEXT) | instid1(VALU_DEP_1)
	v_cvt_i32_f32_e32 v0, v0
	v_ashrrev_i32_e32 v1, 31, v0
.LBB126_1417:
	s_mov_b32 s1, 0
.LBB126_1418:
	s_delay_alu instid0(SALU_CYCLE_1)
	s_and_not1_b32 vcc_lo, exec_lo, s1
	s_cbranch_vccnz .LBB126_1438
; %bb.1419:
	s_cmp_lt_i32 s0, 2
	s_cbranch_scc1 .LBB126_1423
; %bb.1420:
	s_cmp_lt_i32 s0, 3
	s_cbranch_scc1 .LBB126_1424
; %bb.1421:
	s_cmp_gt_i32 s0, 3
	s_cbranch_scc0 .LBB126_1425
; %bb.1422:
	s_wait_loadcnt 0x0
	global_load_b64 v[0:1], v[2:3], off
	s_mov_b32 s1, 0
	s_branch .LBB126_1426
.LBB126_1423:
	s_mov_b32 s1, -1
                                        ; implicit-def: $vgpr0_vgpr1
	s_branch .LBB126_1432
.LBB126_1424:
	s_mov_b32 s1, -1
                                        ; implicit-def: $vgpr0_vgpr1
	s_branch .LBB126_1429
.LBB126_1425:
	s_mov_b32 s1, -1
                                        ; implicit-def: $vgpr0_vgpr1
.LBB126_1426:
	s_delay_alu instid0(SALU_CYCLE_1)
	s_and_not1_b32 vcc_lo, exec_lo, s1
	s_cbranch_vccnz .LBB126_1428
; %bb.1427:
	s_wait_loadcnt 0x0
	global_load_b32 v0, v[2:3], off
	s_wait_loadcnt 0x0
	v_ashrrev_i32_e32 v1, 31, v0
.LBB126_1428:
	s_mov_b32 s1, 0
.LBB126_1429:
	s_delay_alu instid0(SALU_CYCLE_1)
	s_and_not1_b32 vcc_lo, exec_lo, s1
	s_cbranch_vccnz .LBB126_1431
; %bb.1430:
	s_wait_loadcnt 0x0
	global_load_u16 v0, v[2:3], off
	s_wait_loadcnt 0x0
	v_bfe_i32 v0, v0, 0, 16
	s_delay_alu instid0(VALU_DEP_1)
	v_ashrrev_i32_e32 v1, 31, v0
.LBB126_1431:
	s_mov_b32 s1, 0
.LBB126_1432:
	s_delay_alu instid0(SALU_CYCLE_1)
	s_and_not1_b32 vcc_lo, exec_lo, s1
	s_cbranch_vccnz .LBB126_1438
; %bb.1433:
	s_cmp_gt_i32 s0, 0
	s_mov_b32 s0, 0
	s_cbranch_scc0 .LBB126_1435
; %bb.1434:
	s_wait_loadcnt 0x0
	global_load_i8 v0, v[2:3], off
	s_wait_loadcnt 0x0
	v_bfe_i32 v0, v0, 0, 16
	s_delay_alu instid0(VALU_DEP_1)
	v_ashrrev_i32_e32 v1, 31, v0
	s_branch .LBB126_1436
.LBB126_1435:
	s_mov_b32 s0, -1
                                        ; implicit-def: $vgpr0_vgpr1
.LBB126_1436:
	s_delay_alu instid0(SALU_CYCLE_1)
	s_and_not1_b32 vcc_lo, exec_lo, s0
	s_cbranch_vccnz .LBB126_1438
; %bb.1437:
	s_wait_loadcnt 0x0
	global_load_u8 v0, v[2:3], off
	s_mov_b32 s0, 0
	s_delay_alu instid0(SALU_CYCLE_1)
	v_mov_b32_e32 v1, s0
	s_wait_loadcnt 0x0
	v_and_b32_e32 v0, 0xffff, v0
.LBB126_1438:
	s_mov_b32 s31, -1
.LBB126_1439:
	s_delay_alu instid0(SALU_CYCLE_1)
	s_and_not1_b32 vcc_lo, exec_lo, s31
	s_cbranch_vccnz .LBB126_1447
; %bb.1440:
	s_wait_xcnt 0x0
	v_mul_lo_u32 v2, v22, s18
	s_and_b32 s0, s33, 0xff
	s_delay_alu instid0(SALU_CYCLE_1) | instskip(NEXT) | instid1(VALU_DEP_1)
	s_cmp_lt_i32 s0, 11
	v_ashrrev_i32_e32 v3, 31, v2
	s_delay_alu instid0(VALU_DEP_1)
	v_add_nc_u64_e32 v[4:5], s[8:9], v[2:3]
	s_cbranch_scc1 .LBB126_1448
; %bb.1441:
	s_and_b32 s1, 0xffff, s0
	s_delay_alu instid0(SALU_CYCLE_1)
	s_cmp_gt_i32 s1, 25
	s_cbranch_scc0 .LBB126_1449
; %bb.1442:
	s_cmp_gt_i32 s1, 28
	s_cbranch_scc0 .LBB126_1450
; %bb.1443:
	;; [unrolled: 3-line block ×4, first 2 shown]
	s_cmp_eq_u32 s1, 46
	s_mov_b32 s34, 0
	s_cbranch_scc0 .LBB126_1454
; %bb.1446:
	global_load_b32 v2, v[4:5], off
	s_mov_b32 s31, -1
	s_mov_b32 s86, 0
	s_wait_loadcnt 0x0
	v_lshlrev_b32_e32 v2, 16, v2
	s_delay_alu instid0(VALU_DEP_1) | instskip(NEXT) | instid1(VALU_DEP_1)
	v_trunc_f32_e32 v2, v2
	v_mul_f32_e64 v3, 0x2f800000, |v2|
	s_delay_alu instid0(VALU_DEP_1) | instskip(NEXT) | instid1(VALU_DEP_1)
	v_floor_f32_e32 v3, v3
	v_fma_f32 v6, 0xcf800000, v3, |v2|
	v_ashrrev_i32_e32 v2, 31, v2
	v_cvt_u32_f32_e32 v7, v3
	s_delay_alu instid0(VALU_DEP_3) | instskip(NEXT) | instid1(VALU_DEP_2)
	v_cvt_u32_f32_e32 v6, v6
	v_dual_mov_b32 v3, v2 :: v_dual_bitop2_b32 v7, v7, v2 bitop3:0x14
	s_delay_alu instid0(VALU_DEP_2) | instskip(NEXT) | instid1(VALU_DEP_1)
	v_xor_b32_e32 v6, v6, v2
	v_sub_nc_u64_e32 v[2:3], v[6:7], v[2:3]
	s_branch .LBB126_1456
.LBB126_1447:
	s_mov_b32 s0, 0
	s_mov_b32 s1, s80
	;; [unrolled: 1-line block ×10, first 2 shown]
	s_branch .LBB126_2045
.LBB126_1448:
	s_mov_b32 s1, -1
	s_mov_b32 s31, 0
	s_mov_b32 s86, s75
                                        ; implicit-def: $vgpr2_vgpr3
	s_branch .LBB126_1517
.LBB126_1449:
	s_mov_b32 s34, -1
	s_mov_b32 s31, 0
	s_mov_b32 s86, s75
                                        ; implicit-def: $vgpr2_vgpr3
	s_branch .LBB126_1483
.LBB126_1450:
	s_mov_b32 s34, -1
	s_mov_b32 s31, 0
	s_mov_b32 s86, s75
                                        ; implicit-def: $vgpr2_vgpr3
	s_branch .LBB126_1466
.LBB126_1451:
	s_mov_b32 s34, -1
	s_mov_b32 s31, 0
	s_mov_b32 s86, s75
                                        ; implicit-def: $vgpr2_vgpr3
	s_branch .LBB126_1461
.LBB126_1452:
	s_mov_b32 s34, -1
	s_mov_b32 s31, 0
	s_mov_b32 s86, s75
	s_branch .LBB126_1455
.LBB126_1453:
	s_mov_b32 s35, -1
	s_mov_b32 s44, 0
	s_mov_b32 s31, s61
	s_branch .LBB126_3547
.LBB126_1454:
	s_mov_b32 s86, -1
	s_mov_b32 s31, 0
.LBB126_1455:
                                        ; implicit-def: $vgpr2_vgpr3
.LBB126_1456:
	s_and_b32 vcc_lo, exec_lo, s34
	s_cbranch_vccz .LBB126_1460
; %bb.1457:
	s_cmp_eq_u32 s1, 44
	s_cbranch_scc0 .LBB126_1459
; %bb.1458:
	global_load_u8 v8, v[4:5], off
	s_mov_b32 s86, 0
	s_mov_b32 s31, -1
	s_wait_loadcnt 0x0
	v_cmp_ne_u32_e32 vcc_lo, 0, v8
	v_lshlrev_b32_e32 v2, 23, v8
	s_delay_alu instid0(VALU_DEP_1) | instskip(NEXT) | instid1(VALU_DEP_1)
	v_trunc_f32_e32 v2, v2
	v_mul_f32_e64 v3, 0x2f800000, |v2|
	s_delay_alu instid0(VALU_DEP_1) | instskip(NEXT) | instid1(VALU_DEP_1)
	v_floor_f32_e32 v3, v3
	v_fma_f32 v6, 0xcf800000, v3, |v2|
	v_ashrrev_i32_e32 v2, 31, v2
	v_cvt_u32_f32_e32 v7, v3
	s_delay_alu instid0(VALU_DEP_3) | instskip(NEXT) | instid1(VALU_DEP_2)
	v_cvt_u32_f32_e32 v6, v6
	v_dual_mov_b32 v3, v2 :: v_dual_bitop2_b32 v7, v7, v2 bitop3:0x14
	s_delay_alu instid0(VALU_DEP_2) | instskip(NEXT) | instid1(VALU_DEP_1)
	v_xor_b32_e32 v6, v6, v2
	v_sub_nc_u64_e32 v[2:3], v[6:7], v[2:3]
	s_delay_alu instid0(VALU_DEP_1)
	v_dual_cndmask_b32 v3, 0, v3 :: v_dual_cndmask_b32 v2, 0, v2
	s_branch .LBB126_1460
.LBB126_1459:
	s_mov_b32 s86, -1
                                        ; implicit-def: $vgpr2_vgpr3
.LBB126_1460:
	s_mov_b32 s34, 0
.LBB126_1461:
	s_delay_alu instid0(SALU_CYCLE_1)
	s_and_b32 vcc_lo, exec_lo, s34
	s_cbranch_vccz .LBB126_1465
; %bb.1462:
	s_cmp_eq_u32 s1, 29
	s_cbranch_scc0 .LBB126_1464
; %bb.1463:
	global_load_b64 v[2:3], v[4:5], off
	s_mov_b32 s31, -1
	s_mov_b32 s86, 0
	s_branch .LBB126_1465
.LBB126_1464:
	s_mov_b32 s86, -1
                                        ; implicit-def: $vgpr2_vgpr3
.LBB126_1465:
	s_mov_b32 s34, 0
.LBB126_1466:
	s_delay_alu instid0(SALU_CYCLE_1)
	s_and_b32 vcc_lo, exec_lo, s34
	s_cbranch_vccz .LBB126_1482
; %bb.1467:
	s_cmp_lt_i32 s1, 27
	s_cbranch_scc1 .LBB126_1470
; %bb.1468:
	s_cmp_gt_i32 s1, 27
	s_cbranch_scc0 .LBB126_1471
; %bb.1469:
	s_wait_loadcnt 0x0
	global_load_b32 v2, v[4:5], off
	v_mov_b32_e32 v3, 0
	s_mov_b32 s31, 0
	s_branch .LBB126_1472
.LBB126_1470:
	s_mov_b32 s31, -1
                                        ; implicit-def: $vgpr2_vgpr3
	s_branch .LBB126_1475
.LBB126_1471:
	s_mov_b32 s31, -1
                                        ; implicit-def: $vgpr2_vgpr3
.LBB126_1472:
	s_delay_alu instid0(SALU_CYCLE_1)
	s_and_not1_b32 vcc_lo, exec_lo, s31
	s_cbranch_vccnz .LBB126_1474
; %bb.1473:
	s_wait_loadcnt 0x0
	global_load_u16 v2, v[4:5], off
	s_mov_b32 s31, 0
	s_delay_alu instid0(SALU_CYCLE_1)
	v_mov_b32_e32 v3, s31
	s_wait_loadcnt 0x0
	v_and_b32_e32 v2, 0xffff, v2
.LBB126_1474:
	s_mov_b32 s31, 0
.LBB126_1475:
	s_delay_alu instid0(SALU_CYCLE_1)
	s_and_not1_b32 vcc_lo, exec_lo, s31
	s_cbranch_vccnz .LBB126_1481
; %bb.1476:
	global_load_u8 v6, v[4:5], off
	s_mov_b32 s34, 0
	s_mov_b32 s31, exec_lo
	s_wait_loadcnt 0x0
	v_cmpx_lt_i16_e32 0x7f, v6
	s_xor_b32 s31, exec_lo, s31
	s_cbranch_execz .LBB126_1493
; %bb.1477:
	v_cmp_ne_u16_e32 vcc_lo, 0x80, v6
	s_and_b32 s34, vcc_lo, exec_lo
	s_and_not1_saveexec_b32 s31, s31
	s_cbranch_execnz .LBB126_1494
.LBB126_1478:
	s_or_b32 exec_lo, exec_lo, s31
	v_mov_b64_e32 v[2:3], 0
	s_and_saveexec_b32 s31, s34
	s_cbranch_execz .LBB126_1480
.LBB126_1479:
	v_and_b32_e32 v2, 0xffff, v6
	s_delay_alu instid0(VALU_DEP_1) | instskip(SKIP_1) | instid1(VALU_DEP_2)
	v_and_b32_e32 v3, 7, v2
	v_bfe_u32 v9, v2, 3, 4
	v_clz_i32_u32_e32 v7, v3
	s_delay_alu instid0(VALU_DEP_2) | instskip(NEXT) | instid1(VALU_DEP_2)
	v_cmp_eq_u32_e32 vcc_lo, 0, v9
	v_min_u32_e32 v7, 32, v7
	s_delay_alu instid0(VALU_DEP_1) | instskip(NEXT) | instid1(VALU_DEP_1)
	v_subrev_nc_u32_e32 v8, 28, v7
	v_dual_lshlrev_b32 v2, v8, v2 :: v_dual_sub_nc_u32 v7, 29, v7
	s_delay_alu instid0(VALU_DEP_1) | instskip(NEXT) | instid1(VALU_DEP_2)
	v_and_b32_e32 v2, 7, v2
	v_dual_cndmask_b32 v7, v9, v7 :: v_dual_lshlrev_b32 v6, 24, v6
	s_delay_alu instid0(VALU_DEP_2) | instskip(NEXT) | instid1(VALU_DEP_2)
	v_cndmask_b32_e32 v2, v3, v2, vcc_lo
	v_and_b32_e32 v3, 0x80000000, v6
	s_delay_alu instid0(VALU_DEP_3) | instskip(NEXT) | instid1(VALU_DEP_3)
	v_lshl_add_u32 v6, v7, 23, 0x3b800000
	v_lshlrev_b32_e32 v2, 20, v2
	s_delay_alu instid0(VALU_DEP_1) | instskip(NEXT) | instid1(VALU_DEP_1)
	v_or3_b32 v2, v3, v6, v2
	v_trunc_f32_e32 v2, v2
	s_delay_alu instid0(VALU_DEP_1) | instskip(NEXT) | instid1(VALU_DEP_1)
	v_mul_f32_e64 v3, 0x2f800000, |v2|
	v_floor_f32_e32 v3, v3
	s_delay_alu instid0(VALU_DEP_1) | instskip(SKIP_2) | instid1(VALU_DEP_3)
	v_fma_f32 v6, 0xcf800000, v3, |v2|
	v_ashrrev_i32_e32 v2, 31, v2
	v_cvt_u32_f32_e32 v7, v3
	v_cvt_u32_f32_e32 v6, v6
	s_delay_alu instid0(VALU_DEP_2) | instskip(NEXT) | instid1(VALU_DEP_2)
	v_dual_mov_b32 v3, v2 :: v_dual_bitop2_b32 v7, v7, v2 bitop3:0x14
	v_xor_b32_e32 v6, v6, v2
	s_delay_alu instid0(VALU_DEP_1)
	v_sub_nc_u64_e32 v[2:3], v[6:7], v[2:3]
.LBB126_1480:
	s_or_b32 exec_lo, exec_lo, s31
.LBB126_1481:
	s_mov_b32 s31, -1
.LBB126_1482:
	s_mov_b32 s34, 0
.LBB126_1483:
	s_delay_alu instid0(SALU_CYCLE_1)
	s_and_b32 vcc_lo, exec_lo, s34
	s_cbranch_vccz .LBB126_1516
; %bb.1484:
	s_cmp_gt_i32 s1, 22
	s_cbranch_scc0 .LBB126_1492
; %bb.1485:
	s_cmp_lt_i32 s1, 24
	s_cbranch_scc1 .LBB126_1495
; %bb.1486:
	s_cmp_gt_i32 s1, 24
	s_cbranch_scc0 .LBB126_1496
; %bb.1487:
	global_load_u8 v6, v[4:5], off
	s_mov_b32 s34, 0
	s_mov_b32 s31, exec_lo
	s_wait_loadcnt 0x0
	v_cmpx_lt_i16_e32 0x7f, v6
	s_xor_b32 s31, exec_lo, s31
	s_cbranch_execz .LBB126_1508
; %bb.1488:
	v_cmp_ne_u16_e32 vcc_lo, 0x80, v6
	s_and_b32 s34, vcc_lo, exec_lo
	s_and_not1_saveexec_b32 s31, s31
	s_cbranch_execnz .LBB126_1509
.LBB126_1489:
	s_or_b32 exec_lo, exec_lo, s31
	v_mov_b64_e32 v[2:3], 0
	s_and_saveexec_b32 s31, s34
	s_cbranch_execz .LBB126_1491
.LBB126_1490:
	v_and_b32_e32 v2, 0xffff, v6
	s_delay_alu instid0(VALU_DEP_1) | instskip(SKIP_1) | instid1(VALU_DEP_2)
	v_and_b32_e32 v3, 3, v2
	v_bfe_u32 v9, v2, 2, 5
	v_clz_i32_u32_e32 v7, v3
	s_delay_alu instid0(VALU_DEP_2) | instskip(NEXT) | instid1(VALU_DEP_2)
	v_cmp_eq_u32_e32 vcc_lo, 0, v9
	v_min_u32_e32 v7, 32, v7
	s_delay_alu instid0(VALU_DEP_1) | instskip(NEXT) | instid1(VALU_DEP_1)
	v_subrev_nc_u32_e32 v8, 29, v7
	v_dual_lshlrev_b32 v2, v8, v2 :: v_dual_sub_nc_u32 v7, 30, v7
	s_delay_alu instid0(VALU_DEP_1) | instskip(NEXT) | instid1(VALU_DEP_2)
	v_and_b32_e32 v2, 3, v2
	v_dual_cndmask_b32 v7, v9, v7 :: v_dual_lshlrev_b32 v6, 24, v6
	s_delay_alu instid0(VALU_DEP_2) | instskip(NEXT) | instid1(VALU_DEP_2)
	v_cndmask_b32_e32 v2, v3, v2, vcc_lo
	v_and_b32_e32 v3, 0x80000000, v6
	s_delay_alu instid0(VALU_DEP_3) | instskip(NEXT) | instid1(VALU_DEP_3)
	v_lshl_add_u32 v6, v7, 23, 0x37800000
	v_lshlrev_b32_e32 v2, 21, v2
	s_delay_alu instid0(VALU_DEP_1) | instskip(NEXT) | instid1(VALU_DEP_1)
	v_or3_b32 v2, v3, v6, v2
	v_trunc_f32_e32 v2, v2
	s_delay_alu instid0(VALU_DEP_1) | instskip(NEXT) | instid1(VALU_DEP_1)
	v_mul_f32_e64 v3, 0x2f800000, |v2|
	v_floor_f32_e32 v3, v3
	s_delay_alu instid0(VALU_DEP_1) | instskip(SKIP_2) | instid1(VALU_DEP_3)
	v_fma_f32 v6, 0xcf800000, v3, |v2|
	v_ashrrev_i32_e32 v2, 31, v2
	v_cvt_u32_f32_e32 v7, v3
	v_cvt_u32_f32_e32 v6, v6
	s_delay_alu instid0(VALU_DEP_2) | instskip(NEXT) | instid1(VALU_DEP_2)
	v_dual_mov_b32 v3, v2 :: v_dual_bitop2_b32 v7, v7, v2 bitop3:0x14
	v_xor_b32_e32 v6, v6, v2
	s_delay_alu instid0(VALU_DEP_1)
	v_sub_nc_u64_e32 v[2:3], v[6:7], v[2:3]
.LBB126_1491:
	s_or_b32 exec_lo, exec_lo, s31
	s_mov_b32 s31, 0
	s_branch .LBB126_1497
.LBB126_1492:
	s_mov_b32 s34, -1
                                        ; implicit-def: $vgpr2_vgpr3
	s_branch .LBB126_1503
.LBB126_1493:
	s_and_not1_saveexec_b32 s31, s31
	s_cbranch_execz .LBB126_1478
.LBB126_1494:
	v_cmp_ne_u16_e32 vcc_lo, 0, v6
	s_and_not1_b32 s34, s34, exec_lo
	s_and_b32 s35, vcc_lo, exec_lo
	s_delay_alu instid0(SALU_CYCLE_1)
	s_or_b32 s34, s34, s35
	s_or_b32 exec_lo, exec_lo, s31
	v_mov_b64_e32 v[2:3], 0
	s_and_saveexec_b32 s31, s34
	s_cbranch_execnz .LBB126_1479
	s_branch .LBB126_1480
.LBB126_1495:
	s_mov_b32 s31, -1
                                        ; implicit-def: $vgpr2_vgpr3
	s_branch .LBB126_1500
.LBB126_1496:
	s_mov_b32 s31, -1
                                        ; implicit-def: $vgpr2_vgpr3
.LBB126_1497:
	s_delay_alu instid0(SALU_CYCLE_1)
	s_and_b32 vcc_lo, exec_lo, s31
	s_cbranch_vccz .LBB126_1499
; %bb.1498:
	s_wait_loadcnt 0x0
	global_load_u8 v2, v[4:5], off
	s_wait_loadcnt 0x0
	v_lshlrev_b32_e32 v2, 24, v2
	s_delay_alu instid0(VALU_DEP_1) | instskip(NEXT) | instid1(VALU_DEP_1)
	v_and_b32_e32 v3, 0x7f000000, v2
	v_clz_i32_u32_e32 v6, v3
	v_cmp_ne_u32_e32 vcc_lo, 0, v3
	v_add_nc_u32_e32 v8, 0x1000000, v3
	s_delay_alu instid0(VALU_DEP_3) | instskip(NEXT) | instid1(VALU_DEP_1)
	v_min_u32_e32 v6, 32, v6
	v_sub_nc_u32_e64 v6, v6, 4 clamp
	s_delay_alu instid0(VALU_DEP_1) | instskip(NEXT) | instid1(VALU_DEP_1)
	v_dual_lshlrev_b32 v7, v6, v3 :: v_dual_lshlrev_b32 v6, 23, v6
	v_lshrrev_b32_e32 v7, 4, v7
	s_delay_alu instid0(VALU_DEP_1) | instskip(NEXT) | instid1(VALU_DEP_1)
	v_dual_sub_nc_u32 v6, v7, v6 :: v_dual_ashrrev_i32 v7, 8, v8
	v_add_nc_u32_e32 v6, 0x3c000000, v6
	s_delay_alu instid0(VALU_DEP_1) | instskip(NEXT) | instid1(VALU_DEP_1)
	v_and_or_b32 v6, 0x7f800000, v7, v6
	v_cndmask_b32_e32 v3, 0, v6, vcc_lo
	s_delay_alu instid0(VALU_DEP_1) | instskip(NEXT) | instid1(VALU_DEP_1)
	v_and_or_b32 v2, 0x80000000, v2, v3
	v_trunc_f32_e32 v2, v2
	s_delay_alu instid0(VALU_DEP_1) | instskip(NEXT) | instid1(VALU_DEP_1)
	v_mul_f32_e64 v3, 0x2f800000, |v2|
	v_floor_f32_e32 v3, v3
	s_delay_alu instid0(VALU_DEP_1) | instskip(SKIP_2) | instid1(VALU_DEP_3)
	v_fma_f32 v6, 0xcf800000, v3, |v2|
	v_ashrrev_i32_e32 v2, 31, v2
	v_cvt_u32_f32_e32 v7, v3
	v_cvt_u32_f32_e32 v6, v6
	s_delay_alu instid0(VALU_DEP_2) | instskip(NEXT) | instid1(VALU_DEP_2)
	v_dual_mov_b32 v3, v2 :: v_dual_bitop2_b32 v7, v7, v2 bitop3:0x14
	v_xor_b32_e32 v6, v6, v2
	s_delay_alu instid0(VALU_DEP_1)
	v_sub_nc_u64_e32 v[2:3], v[6:7], v[2:3]
.LBB126_1499:
	s_mov_b32 s31, 0
.LBB126_1500:
	s_delay_alu instid0(SALU_CYCLE_1)
	s_and_not1_b32 vcc_lo, exec_lo, s31
	s_cbranch_vccnz .LBB126_1502
; %bb.1501:
	s_wait_loadcnt 0x0
	global_load_u8 v2, v[4:5], off
	s_wait_loadcnt 0x0
	v_lshlrev_b32_e32 v3, 25, v2
	v_lshlrev_b16 v2, 8, v2
	s_delay_alu instid0(VALU_DEP_1) | instskip(SKIP_1) | instid1(VALU_DEP_2)
	v_and_or_b32 v7, 0x7f00, v2, 0.5
	v_bfe_i32 v2, v2, 0, 16
	v_add_f32_e32 v7, -0.5, v7
	v_lshrrev_b32_e32 v6, 4, v3
	v_cmp_gt_u32_e32 vcc_lo, 0x8000000, v3
	s_delay_alu instid0(VALU_DEP_2) | instskip(NEXT) | instid1(VALU_DEP_1)
	v_or_b32_e32 v6, 0x70000000, v6
	v_mul_f32_e32 v6, 0x7800000, v6
	s_delay_alu instid0(VALU_DEP_1) | instskip(NEXT) | instid1(VALU_DEP_1)
	v_cndmask_b32_e32 v3, v6, v7, vcc_lo
	v_and_or_b32 v2, 0x80000000, v2, v3
	s_delay_alu instid0(VALU_DEP_1) | instskip(NEXT) | instid1(VALU_DEP_1)
	v_trunc_f32_e32 v2, v2
	v_mul_f32_e64 v3, 0x2f800000, |v2|
	s_delay_alu instid0(VALU_DEP_1) | instskip(NEXT) | instid1(VALU_DEP_1)
	v_floor_f32_e32 v3, v3
	v_fma_f32 v6, 0xcf800000, v3, |v2|
	v_ashrrev_i32_e32 v2, 31, v2
	v_cvt_u32_f32_e32 v7, v3
	s_delay_alu instid0(VALU_DEP_3) | instskip(NEXT) | instid1(VALU_DEP_2)
	v_cvt_u32_f32_e32 v6, v6
	v_dual_mov_b32 v3, v2 :: v_dual_bitop2_b32 v7, v7, v2 bitop3:0x14
	s_delay_alu instid0(VALU_DEP_2) | instskip(NEXT) | instid1(VALU_DEP_1)
	v_xor_b32_e32 v6, v6, v2
	v_sub_nc_u64_e32 v[2:3], v[6:7], v[2:3]
.LBB126_1502:
	s_mov_b32 s34, 0
	s_mov_b32 s31, -1
.LBB126_1503:
	s_and_not1_b32 vcc_lo, exec_lo, s34
	s_cbranch_vccnz .LBB126_1516
; %bb.1504:
	s_cmp_gt_i32 s1, 14
	s_cbranch_scc0 .LBB126_1507
; %bb.1505:
	s_cmp_eq_u32 s1, 15
	s_cbranch_scc0 .LBB126_1510
; %bb.1506:
	s_wait_loadcnt 0x0
	global_load_u16 v2, v[4:5], off
	s_mov_b32 s31, -1
	s_mov_b32 s86, 0
	s_wait_loadcnt 0x0
	v_lshlrev_b32_e32 v2, 16, v2
	s_delay_alu instid0(VALU_DEP_1) | instskip(NEXT) | instid1(VALU_DEP_1)
	v_trunc_f32_e32 v2, v2
	v_mul_f32_e64 v3, 0x2f800000, |v2|
	s_delay_alu instid0(VALU_DEP_1) | instskip(NEXT) | instid1(VALU_DEP_1)
	v_floor_f32_e32 v3, v3
	v_fma_f32 v6, 0xcf800000, v3, |v2|
	v_ashrrev_i32_e32 v2, 31, v2
	v_cvt_u32_f32_e32 v7, v3
	s_delay_alu instid0(VALU_DEP_3) | instskip(NEXT) | instid1(VALU_DEP_2)
	v_cvt_u32_f32_e32 v6, v6
	v_dual_mov_b32 v3, v2 :: v_dual_bitop2_b32 v7, v7, v2 bitop3:0x14
	s_delay_alu instid0(VALU_DEP_2) | instskip(NEXT) | instid1(VALU_DEP_1)
	v_xor_b32_e32 v6, v6, v2
	v_sub_nc_u64_e32 v[2:3], v[6:7], v[2:3]
	s_branch .LBB126_1511
.LBB126_1507:
	s_mov_b32 s34, -1
                                        ; implicit-def: $vgpr2_vgpr3
	s_branch .LBB126_1512
.LBB126_1508:
	s_and_not1_saveexec_b32 s31, s31
	s_cbranch_execz .LBB126_1489
.LBB126_1509:
	v_cmp_ne_u16_e32 vcc_lo, 0, v6
	s_and_not1_b32 s34, s34, exec_lo
	s_and_b32 s35, vcc_lo, exec_lo
	s_delay_alu instid0(SALU_CYCLE_1)
	s_or_b32 s34, s34, s35
	s_or_b32 exec_lo, exec_lo, s31
	v_mov_b64_e32 v[2:3], 0
	s_and_saveexec_b32 s31, s34
	s_cbranch_execnz .LBB126_1490
	s_branch .LBB126_1491
.LBB126_1510:
	s_mov_b32 s86, -1
                                        ; implicit-def: $vgpr2_vgpr3
.LBB126_1511:
	s_mov_b32 s34, 0
.LBB126_1512:
	s_delay_alu instid0(SALU_CYCLE_1)
	s_and_b32 vcc_lo, exec_lo, s34
	s_cbranch_vccz .LBB126_1516
; %bb.1513:
	s_cmp_eq_u32 s1, 11
	s_cbranch_scc0 .LBB126_1515
; %bb.1514:
	s_wait_loadcnt 0x0
	global_load_u8 v2, v[4:5], off
	s_mov_b32 s86, 0
	s_mov_b32 s31, -1
	v_mov_b32_e32 v3, s86
	s_wait_loadcnt 0x0
	v_cmp_ne_u16_e32 vcc_lo, 0, v2
	v_cndmask_b32_e64 v2, 0, 1, vcc_lo
	s_branch .LBB126_1516
.LBB126_1515:
	s_mov_b32 s86, -1
                                        ; implicit-def: $vgpr2_vgpr3
.LBB126_1516:
	s_mov_b32 s1, 0
.LBB126_1517:
	s_delay_alu instid0(SALU_CYCLE_1)
	s_and_b32 vcc_lo, exec_lo, s1
	s_cbranch_vccz .LBB126_1566
; %bb.1518:
	s_and_b32 s0, 0xffff, s0
	s_delay_alu instid0(SALU_CYCLE_1)
	s_cmp_lt_i32 s0, 5
	s_cbranch_scc1 .LBB126_1523
; %bb.1519:
	s_cmp_lt_i32 s0, 8
	s_cbranch_scc1 .LBB126_1524
; %bb.1520:
	s_cmp_lt_i32 s0, 9
	s_cbranch_scc1 .LBB126_1525
; %bb.1521:
	s_cmp_gt_i32 s0, 9
	s_cbranch_scc0 .LBB126_1526
; %bb.1522:
	s_wait_loadcnt 0x0
	global_load_b64 v[2:3], v[4:5], off
	s_mov_b32 s1, 0
	s_wait_loadcnt 0x0
	v_trunc_f64_e32 v[2:3], v[2:3]
	s_delay_alu instid0(VALU_DEP_1) | instskip(NEXT) | instid1(VALU_DEP_1)
	v_ldexp_f64 v[6:7], v[2:3], 0xffffffe0
	v_floor_f64_e32 v[6:7], v[6:7]
	s_delay_alu instid0(VALU_DEP_1) | instskip(SKIP_1) | instid1(VALU_DEP_2)
	v_fmamk_f64 v[8:9], v[6:7], 0xc1f00000, v[2:3]
	v_cvt_i32_f64_e32 v3, v[6:7]
	v_cvt_u32_f64_e32 v2, v[8:9]
	s_branch .LBB126_1527
.LBB126_1523:
	s_mov_b32 s1, -1
                                        ; implicit-def: $vgpr2_vgpr3
	s_branch .LBB126_1545
.LBB126_1524:
	s_mov_b32 s1, -1
                                        ; implicit-def: $vgpr2_vgpr3
	s_branch .LBB126_1533
.LBB126_1525:
	s_mov_b32 s1, -1
                                        ; implicit-def: $vgpr2_vgpr3
	s_branch .LBB126_1530
.LBB126_1526:
	s_mov_b32 s1, -1
                                        ; implicit-def: $vgpr2_vgpr3
.LBB126_1527:
	s_delay_alu instid0(SALU_CYCLE_1)
	s_and_not1_b32 vcc_lo, exec_lo, s1
	s_cbranch_vccnz .LBB126_1529
; %bb.1528:
	s_wait_loadcnt 0x0
	global_load_b32 v2, v[4:5], off
	s_wait_loadcnt 0x0
	v_trunc_f32_e32 v2, v2
	s_delay_alu instid0(VALU_DEP_1) | instskip(NEXT) | instid1(VALU_DEP_1)
	v_mul_f32_e64 v3, 0x2f800000, |v2|
	v_floor_f32_e32 v3, v3
	s_delay_alu instid0(VALU_DEP_1) | instskip(SKIP_2) | instid1(VALU_DEP_3)
	v_fma_f32 v6, 0xcf800000, v3, |v2|
	v_ashrrev_i32_e32 v2, 31, v2
	v_cvt_u32_f32_e32 v7, v3
	v_cvt_u32_f32_e32 v6, v6
	s_delay_alu instid0(VALU_DEP_2) | instskip(NEXT) | instid1(VALU_DEP_2)
	v_dual_mov_b32 v3, v2 :: v_dual_bitop2_b32 v7, v7, v2 bitop3:0x14
	v_xor_b32_e32 v6, v6, v2
	s_delay_alu instid0(VALU_DEP_1)
	v_sub_nc_u64_e32 v[2:3], v[6:7], v[2:3]
.LBB126_1529:
	s_mov_b32 s1, 0
.LBB126_1530:
	s_delay_alu instid0(SALU_CYCLE_1)
	s_and_not1_b32 vcc_lo, exec_lo, s1
	s_cbranch_vccnz .LBB126_1532
; %bb.1531:
	s_wait_loadcnt 0x0
	global_load_b32 v2, v[4:5], off
	s_wait_loadcnt 0x0
	v_cvt_f32_f16_e32 v2, v2
	s_delay_alu instid0(VALU_DEP_1) | instskip(NEXT) | instid1(VALU_DEP_1)
	v_cvt_i32_f32_e32 v2, v2
	v_ashrrev_i32_e32 v3, 31, v2
.LBB126_1532:
	s_mov_b32 s1, 0
.LBB126_1533:
	s_delay_alu instid0(SALU_CYCLE_1)
	s_and_not1_b32 vcc_lo, exec_lo, s1
	s_cbranch_vccnz .LBB126_1544
; %bb.1534:
	s_cmp_lt_i32 s0, 6
	s_cbranch_scc1 .LBB126_1537
; %bb.1535:
	s_cmp_gt_i32 s0, 6
	s_cbranch_scc0 .LBB126_1538
; %bb.1536:
	s_wait_loadcnt 0x0
	global_load_b64 v[2:3], v[4:5], off
	s_mov_b32 s1, 0
	s_wait_loadcnt 0x0
	v_trunc_f64_e32 v[2:3], v[2:3]
	s_delay_alu instid0(VALU_DEP_1) | instskip(NEXT) | instid1(VALU_DEP_1)
	v_ldexp_f64 v[6:7], v[2:3], 0xffffffe0
	v_floor_f64_e32 v[6:7], v[6:7]
	s_delay_alu instid0(VALU_DEP_1) | instskip(SKIP_1) | instid1(VALU_DEP_2)
	v_fmamk_f64 v[8:9], v[6:7], 0xc1f00000, v[2:3]
	v_cvt_i32_f64_e32 v3, v[6:7]
	v_cvt_u32_f64_e32 v2, v[8:9]
	s_branch .LBB126_1539
.LBB126_1537:
	s_mov_b32 s1, -1
                                        ; implicit-def: $vgpr2_vgpr3
	s_branch .LBB126_1542
.LBB126_1538:
	s_mov_b32 s1, -1
                                        ; implicit-def: $vgpr2_vgpr3
.LBB126_1539:
	s_delay_alu instid0(SALU_CYCLE_1)
	s_and_not1_b32 vcc_lo, exec_lo, s1
	s_cbranch_vccnz .LBB126_1541
; %bb.1540:
	s_wait_loadcnt 0x0
	global_load_b32 v2, v[4:5], off
	s_wait_loadcnt 0x0
	v_trunc_f32_e32 v2, v2
	s_delay_alu instid0(VALU_DEP_1) | instskip(NEXT) | instid1(VALU_DEP_1)
	v_mul_f32_e64 v3, 0x2f800000, |v2|
	v_floor_f32_e32 v3, v3
	s_delay_alu instid0(VALU_DEP_1) | instskip(SKIP_2) | instid1(VALU_DEP_3)
	v_fma_f32 v6, 0xcf800000, v3, |v2|
	v_ashrrev_i32_e32 v2, 31, v2
	v_cvt_u32_f32_e32 v7, v3
	v_cvt_u32_f32_e32 v6, v6
	s_delay_alu instid0(VALU_DEP_2) | instskip(NEXT) | instid1(VALU_DEP_2)
	v_dual_mov_b32 v3, v2 :: v_dual_bitop2_b32 v7, v7, v2 bitop3:0x14
	v_xor_b32_e32 v6, v6, v2
	s_delay_alu instid0(VALU_DEP_1)
	v_sub_nc_u64_e32 v[2:3], v[6:7], v[2:3]
.LBB126_1541:
	s_mov_b32 s1, 0
.LBB126_1542:
	s_delay_alu instid0(SALU_CYCLE_1)
	s_and_not1_b32 vcc_lo, exec_lo, s1
	s_cbranch_vccnz .LBB126_1544
; %bb.1543:
	s_wait_loadcnt 0x0
	global_load_u16 v2, v[4:5], off
	s_wait_loadcnt 0x0
	v_cvt_f32_f16_e32 v2, v2
	s_delay_alu instid0(VALU_DEP_1) | instskip(NEXT) | instid1(VALU_DEP_1)
	v_cvt_i32_f32_e32 v2, v2
	v_ashrrev_i32_e32 v3, 31, v2
.LBB126_1544:
	s_mov_b32 s1, 0
.LBB126_1545:
	s_delay_alu instid0(SALU_CYCLE_1)
	s_and_not1_b32 vcc_lo, exec_lo, s1
	s_cbranch_vccnz .LBB126_1565
; %bb.1546:
	s_cmp_lt_i32 s0, 2
	s_cbranch_scc1 .LBB126_1550
; %bb.1547:
	s_cmp_lt_i32 s0, 3
	s_cbranch_scc1 .LBB126_1551
; %bb.1548:
	s_cmp_gt_i32 s0, 3
	s_cbranch_scc0 .LBB126_1552
; %bb.1549:
	s_wait_loadcnt 0x0
	global_load_b64 v[2:3], v[4:5], off
	s_mov_b32 s1, 0
	s_branch .LBB126_1553
.LBB126_1550:
	s_mov_b32 s1, -1
                                        ; implicit-def: $vgpr2_vgpr3
	s_branch .LBB126_1559
.LBB126_1551:
	s_mov_b32 s1, -1
                                        ; implicit-def: $vgpr2_vgpr3
	s_branch .LBB126_1556
.LBB126_1552:
	s_mov_b32 s1, -1
                                        ; implicit-def: $vgpr2_vgpr3
.LBB126_1553:
	s_delay_alu instid0(SALU_CYCLE_1)
	s_and_not1_b32 vcc_lo, exec_lo, s1
	s_cbranch_vccnz .LBB126_1555
; %bb.1554:
	s_wait_loadcnt 0x0
	global_load_b32 v2, v[4:5], off
	s_wait_loadcnt 0x0
	v_ashrrev_i32_e32 v3, 31, v2
.LBB126_1555:
	s_mov_b32 s1, 0
.LBB126_1556:
	s_delay_alu instid0(SALU_CYCLE_1)
	s_and_not1_b32 vcc_lo, exec_lo, s1
	s_cbranch_vccnz .LBB126_1558
; %bb.1557:
	s_wait_loadcnt 0x0
	global_load_u16 v2, v[4:5], off
	s_wait_loadcnt 0x0
	v_bfe_i32 v2, v2, 0, 16
	s_delay_alu instid0(VALU_DEP_1)
	v_ashrrev_i32_e32 v3, 31, v2
.LBB126_1558:
	s_mov_b32 s1, 0
.LBB126_1559:
	s_delay_alu instid0(SALU_CYCLE_1)
	s_and_not1_b32 vcc_lo, exec_lo, s1
	s_cbranch_vccnz .LBB126_1565
; %bb.1560:
	s_cmp_gt_i32 s0, 0
	s_mov_b32 s0, 0
	s_cbranch_scc0 .LBB126_1562
; %bb.1561:
	s_wait_loadcnt 0x0
	global_load_i8 v2, v[4:5], off
	s_wait_loadcnt 0x0
	v_bfe_i32 v2, v2, 0, 16
	s_delay_alu instid0(VALU_DEP_1)
	v_ashrrev_i32_e32 v3, 31, v2
	s_branch .LBB126_1563
.LBB126_1562:
	s_mov_b32 s0, -1
                                        ; implicit-def: $vgpr2_vgpr3
.LBB126_1563:
	s_delay_alu instid0(SALU_CYCLE_1)
	s_and_not1_b32 vcc_lo, exec_lo, s0
	s_cbranch_vccnz .LBB126_1565
; %bb.1564:
	s_wait_loadcnt 0x0
	global_load_u8 v2, v[4:5], off
	s_mov_b32 s0, 0
	s_delay_alu instid0(SALU_CYCLE_1)
	v_mov_b32_e32 v3, s0
	s_wait_loadcnt 0x0
	v_and_b32_e32 v2, 0xffff, v2
.LBB126_1565:
	s_mov_b32 s31, -1
.LBB126_1566:
	s_delay_alu instid0(SALU_CYCLE_1)
	s_and_not1_b32 vcc_lo, exec_lo, s31
	s_cbranch_vccnz .LBB126_1574
; %bb.1567:
	s_wait_xcnt 0x0
	v_mul_lo_u32 v4, v22, s19
	s_and_b32 s0, s28, 0xff
	s_delay_alu instid0(SALU_CYCLE_1) | instskip(NEXT) | instid1(VALU_DEP_1)
	s_cmp_lt_i32 s0, 11
	v_ashrrev_i32_e32 v5, 31, v4
	s_delay_alu instid0(VALU_DEP_1)
	v_add_nc_u64_e32 v[6:7], s[10:11], v[4:5]
	s_cbranch_scc1 .LBB126_1575
; %bb.1568:
	s_and_b32 s1, 0xffff, s0
	s_delay_alu instid0(SALU_CYCLE_1)
	s_cmp_gt_i32 s1, 25
	s_cbranch_scc0 .LBB126_1576
; %bb.1569:
	s_cmp_gt_i32 s1, 28
	s_cbranch_scc0 .LBB126_1577
; %bb.1570:
	;; [unrolled: 3-line block ×4, first 2 shown]
	s_cmp_eq_u32 s1, 46
	s_mov_b32 s34, 0
	s_cbranch_scc0 .LBB126_1581
; %bb.1573:
	global_load_b32 v4, v[6:7], off
	s_mov_b32 s31, -1
	s_mov_b32 s87, 0
	s_wait_loadcnt 0x0
	v_lshlrev_b32_e32 v4, 16, v4
	s_delay_alu instid0(VALU_DEP_1) | instskip(NEXT) | instid1(VALU_DEP_1)
	v_trunc_f32_e32 v4, v4
	v_mul_f32_e64 v5, 0x2f800000, |v4|
	s_delay_alu instid0(VALU_DEP_1) | instskip(NEXT) | instid1(VALU_DEP_1)
	v_floor_f32_e32 v5, v5
	v_fma_f32 v8, 0xcf800000, v5, |v4|
	v_ashrrev_i32_e32 v4, 31, v4
	v_cvt_u32_f32_e32 v9, v5
	s_delay_alu instid0(VALU_DEP_3) | instskip(NEXT) | instid1(VALU_DEP_2)
	v_cvt_u32_f32_e32 v8, v8
	v_dual_mov_b32 v5, v4 :: v_dual_bitop2_b32 v9, v9, v4 bitop3:0x14
	s_delay_alu instid0(VALU_DEP_2) | instskip(NEXT) | instid1(VALU_DEP_1)
	v_xor_b32_e32 v8, v8, v4
	v_sub_nc_u64_e32 v[4:5], v[8:9], v[4:5]
	s_branch .LBB126_1583
.LBB126_1574:
	s_mov_b32 s0, 0
	s_mov_b32 s1, s80
	;; [unrolled: 1-line block ×9, first 2 shown]
	s_branch .LBB126_2045
.LBB126_1575:
	s_mov_b32 s1, -1
	s_mov_b32 s31, 0
	s_mov_b32 s87, s74
                                        ; implicit-def: $vgpr4_vgpr5
	s_branch .LBB126_1644
.LBB126_1576:
	s_mov_b32 s34, -1
	s_mov_b32 s31, 0
	s_mov_b32 s87, s74
                                        ; implicit-def: $vgpr4_vgpr5
	s_branch .LBB126_1610
.LBB126_1577:
	s_mov_b32 s34, -1
	s_mov_b32 s31, 0
	s_mov_b32 s87, s74
                                        ; implicit-def: $vgpr4_vgpr5
	s_branch .LBB126_1593
.LBB126_1578:
	s_mov_b32 s34, -1
	s_mov_b32 s31, 0
	s_mov_b32 s87, s74
                                        ; implicit-def: $vgpr4_vgpr5
	s_branch .LBB126_1588
.LBB126_1579:
	s_mov_b32 s34, -1
	s_mov_b32 s31, 0
	s_mov_b32 s87, s74
	s_branch .LBB126_1582
.LBB126_1580:
	s_mov_b32 s45, -1
	s_mov_b32 s44, 0
	s_mov_b32 s31, s61
	s_branch .LBB126_3527
.LBB126_1581:
	s_mov_b32 s87, -1
	s_mov_b32 s31, 0
.LBB126_1582:
                                        ; implicit-def: $vgpr4_vgpr5
.LBB126_1583:
	s_and_b32 vcc_lo, exec_lo, s34
	s_cbranch_vccz .LBB126_1587
; %bb.1584:
	s_cmp_eq_u32 s1, 44
	s_cbranch_scc0 .LBB126_1586
; %bb.1585:
	global_load_u8 v10, v[6:7], off
	s_mov_b32 s87, 0
	s_mov_b32 s31, -1
	s_wait_loadcnt 0x0
	v_cmp_ne_u32_e32 vcc_lo, 0, v10
	v_lshlrev_b32_e32 v4, 23, v10
	s_delay_alu instid0(VALU_DEP_1) | instskip(NEXT) | instid1(VALU_DEP_1)
	v_trunc_f32_e32 v4, v4
	v_mul_f32_e64 v5, 0x2f800000, |v4|
	s_delay_alu instid0(VALU_DEP_1) | instskip(NEXT) | instid1(VALU_DEP_1)
	v_floor_f32_e32 v5, v5
	v_fma_f32 v8, 0xcf800000, v5, |v4|
	v_ashrrev_i32_e32 v4, 31, v4
	v_cvt_u32_f32_e32 v9, v5
	s_delay_alu instid0(VALU_DEP_3) | instskip(NEXT) | instid1(VALU_DEP_2)
	v_cvt_u32_f32_e32 v8, v8
	v_dual_mov_b32 v5, v4 :: v_dual_bitop2_b32 v9, v9, v4 bitop3:0x14
	s_delay_alu instid0(VALU_DEP_2) | instskip(NEXT) | instid1(VALU_DEP_1)
	v_xor_b32_e32 v8, v8, v4
	v_sub_nc_u64_e32 v[4:5], v[8:9], v[4:5]
	s_delay_alu instid0(VALU_DEP_1)
	v_dual_cndmask_b32 v5, 0, v5 :: v_dual_cndmask_b32 v4, 0, v4
	s_branch .LBB126_1587
.LBB126_1586:
	s_mov_b32 s87, -1
                                        ; implicit-def: $vgpr4_vgpr5
.LBB126_1587:
	s_mov_b32 s34, 0
.LBB126_1588:
	s_delay_alu instid0(SALU_CYCLE_1)
	s_and_b32 vcc_lo, exec_lo, s34
	s_cbranch_vccz .LBB126_1592
; %bb.1589:
	s_cmp_eq_u32 s1, 29
	s_cbranch_scc0 .LBB126_1591
; %bb.1590:
	global_load_b64 v[4:5], v[6:7], off
	s_mov_b32 s31, -1
	s_mov_b32 s87, 0
	s_branch .LBB126_1592
.LBB126_1591:
	s_mov_b32 s87, -1
                                        ; implicit-def: $vgpr4_vgpr5
.LBB126_1592:
	s_mov_b32 s34, 0
.LBB126_1593:
	s_delay_alu instid0(SALU_CYCLE_1)
	s_and_b32 vcc_lo, exec_lo, s34
	s_cbranch_vccz .LBB126_1609
; %bb.1594:
	s_cmp_lt_i32 s1, 27
	s_cbranch_scc1 .LBB126_1597
; %bb.1595:
	s_cmp_gt_i32 s1, 27
	s_cbranch_scc0 .LBB126_1598
; %bb.1596:
	s_wait_loadcnt 0x0
	global_load_b32 v4, v[6:7], off
	v_mov_b32_e32 v5, 0
	s_mov_b32 s31, 0
	s_branch .LBB126_1599
.LBB126_1597:
	s_mov_b32 s31, -1
                                        ; implicit-def: $vgpr4_vgpr5
	s_branch .LBB126_1602
.LBB126_1598:
	s_mov_b32 s31, -1
                                        ; implicit-def: $vgpr4_vgpr5
.LBB126_1599:
	s_delay_alu instid0(SALU_CYCLE_1)
	s_and_not1_b32 vcc_lo, exec_lo, s31
	s_cbranch_vccnz .LBB126_1601
; %bb.1600:
	s_wait_loadcnt 0x0
	global_load_u16 v4, v[6:7], off
	s_mov_b32 s31, 0
	s_delay_alu instid0(SALU_CYCLE_1)
	v_mov_b32_e32 v5, s31
	s_wait_loadcnt 0x0
	v_and_b32_e32 v4, 0xffff, v4
.LBB126_1601:
	s_mov_b32 s31, 0
.LBB126_1602:
	s_delay_alu instid0(SALU_CYCLE_1)
	s_and_not1_b32 vcc_lo, exec_lo, s31
	s_cbranch_vccnz .LBB126_1608
; %bb.1603:
	global_load_u8 v8, v[6:7], off
	s_mov_b32 s34, 0
	s_mov_b32 s31, exec_lo
	s_wait_loadcnt 0x0
	v_cmpx_lt_i16_e32 0x7f, v8
	s_xor_b32 s31, exec_lo, s31
	s_cbranch_execz .LBB126_1620
; %bb.1604:
	v_cmp_ne_u16_e32 vcc_lo, 0x80, v8
	s_and_b32 s34, vcc_lo, exec_lo
	s_and_not1_saveexec_b32 s31, s31
	s_cbranch_execnz .LBB126_1621
.LBB126_1605:
	s_or_b32 exec_lo, exec_lo, s31
	v_mov_b64_e32 v[4:5], 0
	s_and_saveexec_b32 s31, s34
	s_cbranch_execz .LBB126_1607
.LBB126_1606:
	v_and_b32_e32 v4, 0xffff, v8
	s_delay_alu instid0(VALU_DEP_1) | instskip(SKIP_1) | instid1(VALU_DEP_2)
	v_and_b32_e32 v5, 7, v4
	v_bfe_u32 v11, v4, 3, 4
	v_clz_i32_u32_e32 v9, v5
	s_delay_alu instid0(VALU_DEP_2) | instskip(NEXT) | instid1(VALU_DEP_2)
	v_cmp_eq_u32_e32 vcc_lo, 0, v11
	v_min_u32_e32 v9, 32, v9
	s_delay_alu instid0(VALU_DEP_1) | instskip(NEXT) | instid1(VALU_DEP_1)
	v_subrev_nc_u32_e32 v10, 28, v9
	v_dual_lshlrev_b32 v4, v10, v4 :: v_dual_sub_nc_u32 v9, 29, v9
	s_delay_alu instid0(VALU_DEP_1) | instskip(NEXT) | instid1(VALU_DEP_2)
	v_and_b32_e32 v4, 7, v4
	v_dual_cndmask_b32 v9, v11, v9 :: v_dual_lshlrev_b32 v8, 24, v8
	s_delay_alu instid0(VALU_DEP_2) | instskip(NEXT) | instid1(VALU_DEP_2)
	v_cndmask_b32_e32 v4, v5, v4, vcc_lo
	v_and_b32_e32 v5, 0x80000000, v8
	s_delay_alu instid0(VALU_DEP_3) | instskip(NEXT) | instid1(VALU_DEP_3)
	v_lshl_add_u32 v8, v9, 23, 0x3b800000
	v_lshlrev_b32_e32 v4, 20, v4
	s_delay_alu instid0(VALU_DEP_1) | instskip(NEXT) | instid1(VALU_DEP_1)
	v_or3_b32 v4, v5, v8, v4
	v_trunc_f32_e32 v4, v4
	s_delay_alu instid0(VALU_DEP_1) | instskip(NEXT) | instid1(VALU_DEP_1)
	v_mul_f32_e64 v5, 0x2f800000, |v4|
	v_floor_f32_e32 v5, v5
	s_delay_alu instid0(VALU_DEP_1) | instskip(SKIP_2) | instid1(VALU_DEP_3)
	v_fma_f32 v8, 0xcf800000, v5, |v4|
	v_ashrrev_i32_e32 v4, 31, v4
	v_cvt_u32_f32_e32 v9, v5
	v_cvt_u32_f32_e32 v8, v8
	s_delay_alu instid0(VALU_DEP_2) | instskip(NEXT) | instid1(VALU_DEP_2)
	v_dual_mov_b32 v5, v4 :: v_dual_bitop2_b32 v9, v9, v4 bitop3:0x14
	v_xor_b32_e32 v8, v8, v4
	s_delay_alu instid0(VALU_DEP_1)
	v_sub_nc_u64_e32 v[4:5], v[8:9], v[4:5]
.LBB126_1607:
	s_or_b32 exec_lo, exec_lo, s31
.LBB126_1608:
	s_mov_b32 s31, -1
.LBB126_1609:
	s_mov_b32 s34, 0
.LBB126_1610:
	s_delay_alu instid0(SALU_CYCLE_1)
	s_and_b32 vcc_lo, exec_lo, s34
	s_cbranch_vccz .LBB126_1643
; %bb.1611:
	s_cmp_gt_i32 s1, 22
	s_cbranch_scc0 .LBB126_1619
; %bb.1612:
	s_cmp_lt_i32 s1, 24
	s_cbranch_scc1 .LBB126_1622
; %bb.1613:
	s_cmp_gt_i32 s1, 24
	s_cbranch_scc0 .LBB126_1623
; %bb.1614:
	global_load_u8 v8, v[6:7], off
	s_mov_b32 s34, 0
	s_mov_b32 s31, exec_lo
	s_wait_loadcnt 0x0
	v_cmpx_lt_i16_e32 0x7f, v8
	s_xor_b32 s31, exec_lo, s31
	s_cbranch_execz .LBB126_1635
; %bb.1615:
	v_cmp_ne_u16_e32 vcc_lo, 0x80, v8
	s_and_b32 s34, vcc_lo, exec_lo
	s_and_not1_saveexec_b32 s31, s31
	s_cbranch_execnz .LBB126_1636
.LBB126_1616:
	s_or_b32 exec_lo, exec_lo, s31
	v_mov_b64_e32 v[4:5], 0
	s_and_saveexec_b32 s31, s34
	s_cbranch_execz .LBB126_1618
.LBB126_1617:
	v_and_b32_e32 v4, 0xffff, v8
	s_delay_alu instid0(VALU_DEP_1) | instskip(SKIP_1) | instid1(VALU_DEP_2)
	v_and_b32_e32 v5, 3, v4
	v_bfe_u32 v11, v4, 2, 5
	v_clz_i32_u32_e32 v9, v5
	s_delay_alu instid0(VALU_DEP_2) | instskip(NEXT) | instid1(VALU_DEP_2)
	v_cmp_eq_u32_e32 vcc_lo, 0, v11
	v_min_u32_e32 v9, 32, v9
	s_delay_alu instid0(VALU_DEP_1) | instskip(NEXT) | instid1(VALU_DEP_1)
	v_subrev_nc_u32_e32 v10, 29, v9
	v_dual_lshlrev_b32 v4, v10, v4 :: v_dual_sub_nc_u32 v9, 30, v9
	s_delay_alu instid0(VALU_DEP_1) | instskip(NEXT) | instid1(VALU_DEP_2)
	v_and_b32_e32 v4, 3, v4
	v_dual_cndmask_b32 v9, v11, v9 :: v_dual_lshlrev_b32 v8, 24, v8
	s_delay_alu instid0(VALU_DEP_2) | instskip(NEXT) | instid1(VALU_DEP_2)
	v_cndmask_b32_e32 v4, v5, v4, vcc_lo
	v_and_b32_e32 v5, 0x80000000, v8
	s_delay_alu instid0(VALU_DEP_3) | instskip(NEXT) | instid1(VALU_DEP_3)
	v_lshl_add_u32 v8, v9, 23, 0x37800000
	v_lshlrev_b32_e32 v4, 21, v4
	s_delay_alu instid0(VALU_DEP_1) | instskip(NEXT) | instid1(VALU_DEP_1)
	v_or3_b32 v4, v5, v8, v4
	v_trunc_f32_e32 v4, v4
	s_delay_alu instid0(VALU_DEP_1) | instskip(NEXT) | instid1(VALU_DEP_1)
	v_mul_f32_e64 v5, 0x2f800000, |v4|
	v_floor_f32_e32 v5, v5
	s_delay_alu instid0(VALU_DEP_1) | instskip(SKIP_2) | instid1(VALU_DEP_3)
	v_fma_f32 v8, 0xcf800000, v5, |v4|
	v_ashrrev_i32_e32 v4, 31, v4
	v_cvt_u32_f32_e32 v9, v5
	v_cvt_u32_f32_e32 v8, v8
	s_delay_alu instid0(VALU_DEP_2) | instskip(NEXT) | instid1(VALU_DEP_2)
	v_dual_mov_b32 v5, v4 :: v_dual_bitop2_b32 v9, v9, v4 bitop3:0x14
	v_xor_b32_e32 v8, v8, v4
	s_delay_alu instid0(VALU_DEP_1)
	v_sub_nc_u64_e32 v[4:5], v[8:9], v[4:5]
.LBB126_1618:
	s_or_b32 exec_lo, exec_lo, s31
	s_mov_b32 s31, 0
	s_branch .LBB126_1624
.LBB126_1619:
	s_mov_b32 s34, -1
                                        ; implicit-def: $vgpr4_vgpr5
	s_branch .LBB126_1630
.LBB126_1620:
	s_and_not1_saveexec_b32 s31, s31
	s_cbranch_execz .LBB126_1605
.LBB126_1621:
	v_cmp_ne_u16_e32 vcc_lo, 0, v8
	s_and_not1_b32 s34, s34, exec_lo
	s_and_b32 s35, vcc_lo, exec_lo
	s_delay_alu instid0(SALU_CYCLE_1)
	s_or_b32 s34, s34, s35
	s_or_b32 exec_lo, exec_lo, s31
	v_mov_b64_e32 v[4:5], 0
	s_and_saveexec_b32 s31, s34
	s_cbranch_execnz .LBB126_1606
	s_branch .LBB126_1607
.LBB126_1622:
	s_mov_b32 s31, -1
                                        ; implicit-def: $vgpr4_vgpr5
	s_branch .LBB126_1627
.LBB126_1623:
	s_mov_b32 s31, -1
                                        ; implicit-def: $vgpr4_vgpr5
.LBB126_1624:
	s_delay_alu instid0(SALU_CYCLE_1)
	s_and_b32 vcc_lo, exec_lo, s31
	s_cbranch_vccz .LBB126_1626
; %bb.1625:
	s_wait_loadcnt 0x0
	global_load_u8 v4, v[6:7], off
	s_wait_loadcnt 0x0
	v_lshlrev_b32_e32 v4, 24, v4
	s_delay_alu instid0(VALU_DEP_1) | instskip(NEXT) | instid1(VALU_DEP_1)
	v_and_b32_e32 v5, 0x7f000000, v4
	v_clz_i32_u32_e32 v8, v5
	v_cmp_ne_u32_e32 vcc_lo, 0, v5
	v_add_nc_u32_e32 v10, 0x1000000, v5
	s_delay_alu instid0(VALU_DEP_3) | instskip(NEXT) | instid1(VALU_DEP_1)
	v_min_u32_e32 v8, 32, v8
	v_sub_nc_u32_e64 v8, v8, 4 clamp
	s_delay_alu instid0(VALU_DEP_1) | instskip(NEXT) | instid1(VALU_DEP_1)
	v_dual_lshlrev_b32 v9, v8, v5 :: v_dual_lshlrev_b32 v8, 23, v8
	v_lshrrev_b32_e32 v9, 4, v9
	s_delay_alu instid0(VALU_DEP_1) | instskip(NEXT) | instid1(VALU_DEP_1)
	v_dual_sub_nc_u32 v8, v9, v8 :: v_dual_ashrrev_i32 v9, 8, v10
	v_add_nc_u32_e32 v8, 0x3c000000, v8
	s_delay_alu instid0(VALU_DEP_1) | instskip(NEXT) | instid1(VALU_DEP_1)
	v_and_or_b32 v8, 0x7f800000, v9, v8
	v_cndmask_b32_e32 v5, 0, v8, vcc_lo
	s_delay_alu instid0(VALU_DEP_1) | instskip(NEXT) | instid1(VALU_DEP_1)
	v_and_or_b32 v4, 0x80000000, v4, v5
	v_trunc_f32_e32 v4, v4
	s_delay_alu instid0(VALU_DEP_1) | instskip(NEXT) | instid1(VALU_DEP_1)
	v_mul_f32_e64 v5, 0x2f800000, |v4|
	v_floor_f32_e32 v5, v5
	s_delay_alu instid0(VALU_DEP_1) | instskip(SKIP_2) | instid1(VALU_DEP_3)
	v_fma_f32 v8, 0xcf800000, v5, |v4|
	v_ashrrev_i32_e32 v4, 31, v4
	v_cvt_u32_f32_e32 v9, v5
	v_cvt_u32_f32_e32 v8, v8
	s_delay_alu instid0(VALU_DEP_2) | instskip(NEXT) | instid1(VALU_DEP_2)
	v_dual_mov_b32 v5, v4 :: v_dual_bitop2_b32 v9, v9, v4 bitop3:0x14
	v_xor_b32_e32 v8, v8, v4
	s_delay_alu instid0(VALU_DEP_1)
	v_sub_nc_u64_e32 v[4:5], v[8:9], v[4:5]
.LBB126_1626:
	s_mov_b32 s31, 0
.LBB126_1627:
	s_delay_alu instid0(SALU_CYCLE_1)
	s_and_not1_b32 vcc_lo, exec_lo, s31
	s_cbranch_vccnz .LBB126_1629
; %bb.1628:
	s_wait_loadcnt 0x0
	global_load_u8 v4, v[6:7], off
	s_wait_loadcnt 0x0
	v_lshlrev_b32_e32 v5, 25, v4
	v_lshlrev_b16 v4, 8, v4
	s_delay_alu instid0(VALU_DEP_1) | instskip(SKIP_1) | instid1(VALU_DEP_2)
	v_and_or_b32 v9, 0x7f00, v4, 0.5
	v_bfe_i32 v4, v4, 0, 16
	v_add_f32_e32 v9, -0.5, v9
	v_lshrrev_b32_e32 v8, 4, v5
	v_cmp_gt_u32_e32 vcc_lo, 0x8000000, v5
	s_delay_alu instid0(VALU_DEP_2) | instskip(NEXT) | instid1(VALU_DEP_1)
	v_or_b32_e32 v8, 0x70000000, v8
	v_mul_f32_e32 v8, 0x7800000, v8
	s_delay_alu instid0(VALU_DEP_1) | instskip(NEXT) | instid1(VALU_DEP_1)
	v_cndmask_b32_e32 v5, v8, v9, vcc_lo
	v_and_or_b32 v4, 0x80000000, v4, v5
	s_delay_alu instid0(VALU_DEP_1) | instskip(NEXT) | instid1(VALU_DEP_1)
	v_trunc_f32_e32 v4, v4
	v_mul_f32_e64 v5, 0x2f800000, |v4|
	s_delay_alu instid0(VALU_DEP_1) | instskip(NEXT) | instid1(VALU_DEP_1)
	v_floor_f32_e32 v5, v5
	v_fma_f32 v8, 0xcf800000, v5, |v4|
	v_ashrrev_i32_e32 v4, 31, v4
	v_cvt_u32_f32_e32 v9, v5
	s_delay_alu instid0(VALU_DEP_3) | instskip(NEXT) | instid1(VALU_DEP_2)
	v_cvt_u32_f32_e32 v8, v8
	v_dual_mov_b32 v5, v4 :: v_dual_bitop2_b32 v9, v9, v4 bitop3:0x14
	s_delay_alu instid0(VALU_DEP_2) | instskip(NEXT) | instid1(VALU_DEP_1)
	v_xor_b32_e32 v8, v8, v4
	v_sub_nc_u64_e32 v[4:5], v[8:9], v[4:5]
.LBB126_1629:
	s_mov_b32 s34, 0
	s_mov_b32 s31, -1
.LBB126_1630:
	s_and_not1_b32 vcc_lo, exec_lo, s34
	s_cbranch_vccnz .LBB126_1643
; %bb.1631:
	s_cmp_gt_i32 s1, 14
	s_cbranch_scc0 .LBB126_1634
; %bb.1632:
	s_cmp_eq_u32 s1, 15
	s_cbranch_scc0 .LBB126_1637
; %bb.1633:
	s_wait_loadcnt 0x0
	global_load_u16 v4, v[6:7], off
	s_mov_b32 s31, -1
	s_mov_b32 s87, 0
	s_wait_loadcnt 0x0
	v_lshlrev_b32_e32 v4, 16, v4
	s_delay_alu instid0(VALU_DEP_1) | instskip(NEXT) | instid1(VALU_DEP_1)
	v_trunc_f32_e32 v4, v4
	v_mul_f32_e64 v5, 0x2f800000, |v4|
	s_delay_alu instid0(VALU_DEP_1) | instskip(NEXT) | instid1(VALU_DEP_1)
	v_floor_f32_e32 v5, v5
	v_fma_f32 v8, 0xcf800000, v5, |v4|
	v_ashrrev_i32_e32 v4, 31, v4
	v_cvt_u32_f32_e32 v9, v5
	s_delay_alu instid0(VALU_DEP_3) | instskip(NEXT) | instid1(VALU_DEP_2)
	v_cvt_u32_f32_e32 v8, v8
	v_dual_mov_b32 v5, v4 :: v_dual_bitop2_b32 v9, v9, v4 bitop3:0x14
	s_delay_alu instid0(VALU_DEP_2) | instskip(NEXT) | instid1(VALU_DEP_1)
	v_xor_b32_e32 v8, v8, v4
	v_sub_nc_u64_e32 v[4:5], v[8:9], v[4:5]
	s_branch .LBB126_1638
.LBB126_1634:
	s_mov_b32 s34, -1
                                        ; implicit-def: $vgpr4_vgpr5
	s_branch .LBB126_1639
.LBB126_1635:
	s_and_not1_saveexec_b32 s31, s31
	s_cbranch_execz .LBB126_1616
.LBB126_1636:
	v_cmp_ne_u16_e32 vcc_lo, 0, v8
	s_and_not1_b32 s34, s34, exec_lo
	s_and_b32 s35, vcc_lo, exec_lo
	s_delay_alu instid0(SALU_CYCLE_1)
	s_or_b32 s34, s34, s35
	s_or_b32 exec_lo, exec_lo, s31
	v_mov_b64_e32 v[4:5], 0
	s_and_saveexec_b32 s31, s34
	s_cbranch_execnz .LBB126_1617
	s_branch .LBB126_1618
.LBB126_1637:
	s_mov_b32 s87, -1
                                        ; implicit-def: $vgpr4_vgpr5
.LBB126_1638:
	s_mov_b32 s34, 0
.LBB126_1639:
	s_delay_alu instid0(SALU_CYCLE_1)
	s_and_b32 vcc_lo, exec_lo, s34
	s_cbranch_vccz .LBB126_1643
; %bb.1640:
	s_cmp_eq_u32 s1, 11
	s_cbranch_scc0 .LBB126_1642
; %bb.1641:
	s_wait_loadcnt 0x0
	global_load_u8 v4, v[6:7], off
	s_mov_b32 s87, 0
	s_mov_b32 s31, -1
	v_mov_b32_e32 v5, s87
	s_wait_loadcnt 0x0
	v_cmp_ne_u16_e32 vcc_lo, 0, v4
	v_cndmask_b32_e64 v4, 0, 1, vcc_lo
	s_branch .LBB126_1643
.LBB126_1642:
	s_mov_b32 s87, -1
                                        ; implicit-def: $vgpr4_vgpr5
.LBB126_1643:
	s_mov_b32 s1, 0
.LBB126_1644:
	s_delay_alu instid0(SALU_CYCLE_1)
	s_and_b32 vcc_lo, exec_lo, s1
	s_cbranch_vccz .LBB126_1693
; %bb.1645:
	s_and_b32 s0, 0xffff, s0
	s_delay_alu instid0(SALU_CYCLE_1)
	s_cmp_lt_i32 s0, 5
	s_cbranch_scc1 .LBB126_1650
; %bb.1646:
	s_cmp_lt_i32 s0, 8
	s_cbranch_scc1 .LBB126_1651
; %bb.1647:
	;; [unrolled: 3-line block ×3, first 2 shown]
	s_cmp_gt_i32 s0, 9
	s_cbranch_scc0 .LBB126_1653
; %bb.1649:
	s_wait_loadcnt 0x0
	global_load_b64 v[4:5], v[6:7], off
	s_mov_b32 s1, 0
	s_wait_loadcnt 0x0
	v_trunc_f64_e32 v[4:5], v[4:5]
	s_delay_alu instid0(VALU_DEP_1) | instskip(NEXT) | instid1(VALU_DEP_1)
	v_ldexp_f64 v[8:9], v[4:5], 0xffffffe0
	v_floor_f64_e32 v[8:9], v[8:9]
	s_delay_alu instid0(VALU_DEP_1) | instskip(SKIP_1) | instid1(VALU_DEP_2)
	v_fmamk_f64 v[10:11], v[8:9], 0xc1f00000, v[4:5]
	v_cvt_i32_f64_e32 v5, v[8:9]
	v_cvt_u32_f64_e32 v4, v[10:11]
	s_branch .LBB126_1654
.LBB126_1650:
	s_mov_b32 s1, -1
                                        ; implicit-def: $vgpr4_vgpr5
	s_branch .LBB126_1672
.LBB126_1651:
	s_mov_b32 s1, -1
                                        ; implicit-def: $vgpr4_vgpr5
	s_branch .LBB126_1660
.LBB126_1652:
	s_mov_b32 s1, -1
                                        ; implicit-def: $vgpr4_vgpr5
	s_branch .LBB126_1657
.LBB126_1653:
	s_mov_b32 s1, -1
                                        ; implicit-def: $vgpr4_vgpr5
.LBB126_1654:
	s_delay_alu instid0(SALU_CYCLE_1)
	s_and_not1_b32 vcc_lo, exec_lo, s1
	s_cbranch_vccnz .LBB126_1656
; %bb.1655:
	s_wait_loadcnt 0x0
	global_load_b32 v4, v[6:7], off
	s_wait_loadcnt 0x0
	v_trunc_f32_e32 v4, v4
	s_delay_alu instid0(VALU_DEP_1) | instskip(NEXT) | instid1(VALU_DEP_1)
	v_mul_f32_e64 v5, 0x2f800000, |v4|
	v_floor_f32_e32 v5, v5
	s_delay_alu instid0(VALU_DEP_1) | instskip(SKIP_2) | instid1(VALU_DEP_3)
	v_fma_f32 v8, 0xcf800000, v5, |v4|
	v_ashrrev_i32_e32 v4, 31, v4
	v_cvt_u32_f32_e32 v9, v5
	v_cvt_u32_f32_e32 v8, v8
	s_delay_alu instid0(VALU_DEP_2) | instskip(NEXT) | instid1(VALU_DEP_2)
	v_dual_mov_b32 v5, v4 :: v_dual_bitop2_b32 v9, v9, v4 bitop3:0x14
	v_xor_b32_e32 v8, v8, v4
	s_delay_alu instid0(VALU_DEP_1)
	v_sub_nc_u64_e32 v[4:5], v[8:9], v[4:5]
.LBB126_1656:
	s_mov_b32 s1, 0
.LBB126_1657:
	s_delay_alu instid0(SALU_CYCLE_1)
	s_and_not1_b32 vcc_lo, exec_lo, s1
	s_cbranch_vccnz .LBB126_1659
; %bb.1658:
	s_wait_loadcnt 0x0
	global_load_b32 v4, v[6:7], off
	s_wait_loadcnt 0x0
	v_cvt_f32_f16_e32 v4, v4
	s_delay_alu instid0(VALU_DEP_1) | instskip(NEXT) | instid1(VALU_DEP_1)
	v_cvt_i32_f32_e32 v4, v4
	v_ashrrev_i32_e32 v5, 31, v4
.LBB126_1659:
	s_mov_b32 s1, 0
.LBB126_1660:
	s_delay_alu instid0(SALU_CYCLE_1)
	s_and_not1_b32 vcc_lo, exec_lo, s1
	s_cbranch_vccnz .LBB126_1671
; %bb.1661:
	s_cmp_lt_i32 s0, 6
	s_cbranch_scc1 .LBB126_1664
; %bb.1662:
	s_cmp_gt_i32 s0, 6
	s_cbranch_scc0 .LBB126_1665
; %bb.1663:
	s_wait_loadcnt 0x0
	global_load_b64 v[4:5], v[6:7], off
	s_mov_b32 s1, 0
	s_wait_loadcnt 0x0
	v_trunc_f64_e32 v[4:5], v[4:5]
	s_delay_alu instid0(VALU_DEP_1) | instskip(NEXT) | instid1(VALU_DEP_1)
	v_ldexp_f64 v[8:9], v[4:5], 0xffffffe0
	v_floor_f64_e32 v[8:9], v[8:9]
	s_delay_alu instid0(VALU_DEP_1) | instskip(SKIP_1) | instid1(VALU_DEP_2)
	v_fmamk_f64 v[10:11], v[8:9], 0xc1f00000, v[4:5]
	v_cvt_i32_f64_e32 v5, v[8:9]
	v_cvt_u32_f64_e32 v4, v[10:11]
	s_branch .LBB126_1666
.LBB126_1664:
	s_mov_b32 s1, -1
                                        ; implicit-def: $vgpr4_vgpr5
	s_branch .LBB126_1669
.LBB126_1665:
	s_mov_b32 s1, -1
                                        ; implicit-def: $vgpr4_vgpr5
.LBB126_1666:
	s_delay_alu instid0(SALU_CYCLE_1)
	s_and_not1_b32 vcc_lo, exec_lo, s1
	s_cbranch_vccnz .LBB126_1668
; %bb.1667:
	s_wait_loadcnt 0x0
	global_load_b32 v4, v[6:7], off
	s_wait_loadcnt 0x0
	v_trunc_f32_e32 v4, v4
	s_delay_alu instid0(VALU_DEP_1) | instskip(NEXT) | instid1(VALU_DEP_1)
	v_mul_f32_e64 v5, 0x2f800000, |v4|
	v_floor_f32_e32 v5, v5
	s_delay_alu instid0(VALU_DEP_1) | instskip(SKIP_2) | instid1(VALU_DEP_3)
	v_fma_f32 v8, 0xcf800000, v5, |v4|
	v_ashrrev_i32_e32 v4, 31, v4
	v_cvt_u32_f32_e32 v9, v5
	v_cvt_u32_f32_e32 v8, v8
	s_delay_alu instid0(VALU_DEP_2) | instskip(NEXT) | instid1(VALU_DEP_2)
	v_dual_mov_b32 v5, v4 :: v_dual_bitop2_b32 v9, v9, v4 bitop3:0x14
	v_xor_b32_e32 v8, v8, v4
	s_delay_alu instid0(VALU_DEP_1)
	v_sub_nc_u64_e32 v[4:5], v[8:9], v[4:5]
.LBB126_1668:
	s_mov_b32 s1, 0
.LBB126_1669:
	s_delay_alu instid0(SALU_CYCLE_1)
	s_and_not1_b32 vcc_lo, exec_lo, s1
	s_cbranch_vccnz .LBB126_1671
; %bb.1670:
	s_wait_loadcnt 0x0
	global_load_u16 v4, v[6:7], off
	s_wait_loadcnt 0x0
	v_cvt_f32_f16_e32 v4, v4
	s_delay_alu instid0(VALU_DEP_1) | instskip(NEXT) | instid1(VALU_DEP_1)
	v_cvt_i32_f32_e32 v4, v4
	v_ashrrev_i32_e32 v5, 31, v4
.LBB126_1671:
	s_mov_b32 s1, 0
.LBB126_1672:
	s_delay_alu instid0(SALU_CYCLE_1)
	s_and_not1_b32 vcc_lo, exec_lo, s1
	s_cbranch_vccnz .LBB126_1692
; %bb.1673:
	s_cmp_lt_i32 s0, 2
	s_cbranch_scc1 .LBB126_1677
; %bb.1674:
	s_cmp_lt_i32 s0, 3
	s_cbranch_scc1 .LBB126_1678
; %bb.1675:
	s_cmp_gt_i32 s0, 3
	s_cbranch_scc0 .LBB126_1679
; %bb.1676:
	s_wait_loadcnt 0x0
	global_load_b64 v[4:5], v[6:7], off
	s_mov_b32 s1, 0
	s_branch .LBB126_1680
.LBB126_1677:
	s_mov_b32 s1, -1
                                        ; implicit-def: $vgpr4_vgpr5
	s_branch .LBB126_1686
.LBB126_1678:
	s_mov_b32 s1, -1
                                        ; implicit-def: $vgpr4_vgpr5
	s_branch .LBB126_1683
.LBB126_1679:
	s_mov_b32 s1, -1
                                        ; implicit-def: $vgpr4_vgpr5
.LBB126_1680:
	s_delay_alu instid0(SALU_CYCLE_1)
	s_and_not1_b32 vcc_lo, exec_lo, s1
	s_cbranch_vccnz .LBB126_1682
; %bb.1681:
	s_wait_loadcnt 0x0
	global_load_b32 v4, v[6:7], off
	s_wait_loadcnt 0x0
	v_ashrrev_i32_e32 v5, 31, v4
.LBB126_1682:
	s_mov_b32 s1, 0
.LBB126_1683:
	s_delay_alu instid0(SALU_CYCLE_1)
	s_and_not1_b32 vcc_lo, exec_lo, s1
	s_cbranch_vccnz .LBB126_1685
; %bb.1684:
	s_wait_loadcnt 0x0
	global_load_u16 v4, v[6:7], off
	s_wait_loadcnt 0x0
	v_bfe_i32 v4, v4, 0, 16
	s_delay_alu instid0(VALU_DEP_1)
	v_ashrrev_i32_e32 v5, 31, v4
.LBB126_1685:
	s_mov_b32 s1, 0
.LBB126_1686:
	s_delay_alu instid0(SALU_CYCLE_1)
	s_and_not1_b32 vcc_lo, exec_lo, s1
	s_cbranch_vccnz .LBB126_1692
; %bb.1687:
	s_cmp_gt_i32 s0, 0
	s_mov_b32 s0, 0
	s_cbranch_scc0 .LBB126_1689
; %bb.1688:
	s_wait_loadcnt 0x0
	global_load_i8 v4, v[6:7], off
	s_wait_loadcnt 0x0
	v_bfe_i32 v4, v4, 0, 16
	s_delay_alu instid0(VALU_DEP_1)
	v_ashrrev_i32_e32 v5, 31, v4
	s_branch .LBB126_1690
.LBB126_1689:
	s_mov_b32 s0, -1
                                        ; implicit-def: $vgpr4_vgpr5
.LBB126_1690:
	s_delay_alu instid0(SALU_CYCLE_1)
	s_and_not1_b32 vcc_lo, exec_lo, s0
	s_cbranch_vccnz .LBB126_1692
; %bb.1691:
	s_wait_loadcnt 0x0
	global_load_u8 v4, v[6:7], off
	s_mov_b32 s0, 0
	s_delay_alu instid0(SALU_CYCLE_1)
	v_mov_b32_e32 v5, s0
	s_wait_loadcnt 0x0
	v_and_b32_e32 v4, 0xffff, v4
.LBB126_1692:
	s_mov_b32 s31, -1
.LBB126_1693:
	s_delay_alu instid0(SALU_CYCLE_1)
	s_and_not1_b32 vcc_lo, exec_lo, s31
	s_cbranch_vccnz .LBB126_1701
; %bb.1694:
	s_wait_xcnt 0x0
	v_mul_lo_u32 v6, v22, s2
	s_and_b32 s0, s27, 0xff
	s_delay_alu instid0(SALU_CYCLE_1) | instskip(NEXT) | instid1(VALU_DEP_1)
	s_cmp_lt_i32 s0, 11
	v_ashrrev_i32_e32 v7, 31, v6
	s_delay_alu instid0(VALU_DEP_1)
	v_add_nc_u64_e32 v[8:9], s[12:13], v[6:7]
	s_cbranch_scc1 .LBB126_1702
; %bb.1695:
	s_and_b32 s1, 0xffff, s0
	s_delay_alu instid0(SALU_CYCLE_1)
	s_cmp_gt_i32 s1, 25
	s_cbranch_scc0 .LBB126_1703
; %bb.1696:
	s_cmp_gt_i32 s1, 28
	s_cbranch_scc0 .LBB126_1704
; %bb.1697:
	;; [unrolled: 3-line block ×4, first 2 shown]
	s_cmp_eq_u32 s1, 46
	s_mov_b32 s34, 0
	s_cbranch_scc0 .LBB126_1708
; %bb.1700:
	global_load_b32 v6, v[8:9], off
	s_mov_b32 s31, -1
	s_mov_b32 s88, 0
	s_wait_loadcnt 0x0
	v_lshlrev_b32_e32 v6, 16, v6
	s_delay_alu instid0(VALU_DEP_1) | instskip(NEXT) | instid1(VALU_DEP_1)
	v_trunc_f32_e32 v6, v6
	v_mul_f32_e64 v7, 0x2f800000, |v6|
	s_delay_alu instid0(VALU_DEP_1) | instskip(NEXT) | instid1(VALU_DEP_1)
	v_floor_f32_e32 v7, v7
	v_fma_f32 v10, 0xcf800000, v7, |v6|
	v_ashrrev_i32_e32 v6, 31, v6
	v_cvt_u32_f32_e32 v11, v7
	s_delay_alu instid0(VALU_DEP_3) | instskip(NEXT) | instid1(VALU_DEP_2)
	v_cvt_u32_f32_e32 v10, v10
	v_dual_mov_b32 v7, v6 :: v_dual_bitop2_b32 v11, v11, v6 bitop3:0x14
	s_delay_alu instid0(VALU_DEP_2) | instskip(NEXT) | instid1(VALU_DEP_1)
	v_xor_b32_e32 v10, v10, v6
	v_sub_nc_u64_e32 v[6:7], v[10:11], v[6:7]
	s_branch .LBB126_1710
.LBB126_1701:
	s_mov_b32 s0, 0
	s_mov_b32 s1, s80
	;; [unrolled: 1-line block ×8, first 2 shown]
	s_branch .LBB126_2045
.LBB126_1702:
	s_mov_b32 s1, -1
	s_mov_b32 s31, 0
	s_mov_b32 s88, s77
                                        ; implicit-def: $vgpr6_vgpr7
	s_branch .LBB126_1771
.LBB126_1703:
	s_mov_b32 s34, -1
	s_mov_b32 s31, 0
	s_mov_b32 s88, s77
                                        ; implicit-def: $vgpr6_vgpr7
	s_branch .LBB126_1737
.LBB126_1704:
	s_mov_b32 s34, -1
	s_mov_b32 s31, 0
	s_mov_b32 s88, s77
                                        ; implicit-def: $vgpr6_vgpr7
	s_branch .LBB126_1720
.LBB126_1705:
	s_mov_b32 s34, -1
	s_mov_b32 s31, 0
	s_mov_b32 s88, s77
                                        ; implicit-def: $vgpr6_vgpr7
	s_branch .LBB126_1715
.LBB126_1706:
	s_mov_b32 s34, -1
	s_mov_b32 s31, 0
	s_mov_b32 s88, s77
	s_branch .LBB126_1709
.LBB126_1707:
	s_mov_b32 s45, -1
	s_mov_b32 s44, 0
	s_mov_b32 s31, s61
	s_branch .LBB126_3516
.LBB126_1708:
	s_mov_b32 s88, -1
	s_mov_b32 s31, 0
.LBB126_1709:
                                        ; implicit-def: $vgpr6_vgpr7
.LBB126_1710:
	s_and_b32 vcc_lo, exec_lo, s34
	s_cbranch_vccz .LBB126_1714
; %bb.1711:
	s_cmp_eq_u32 s1, 44
	s_cbranch_scc0 .LBB126_1713
; %bb.1712:
	global_load_u8 v12, v[8:9], off
	s_mov_b32 s88, 0
	s_mov_b32 s31, -1
	s_wait_loadcnt 0x0
	v_cmp_ne_u32_e32 vcc_lo, 0, v12
	v_lshlrev_b32_e32 v6, 23, v12
	s_delay_alu instid0(VALU_DEP_1) | instskip(NEXT) | instid1(VALU_DEP_1)
	v_trunc_f32_e32 v6, v6
	v_mul_f32_e64 v7, 0x2f800000, |v6|
	s_delay_alu instid0(VALU_DEP_1) | instskip(NEXT) | instid1(VALU_DEP_1)
	v_floor_f32_e32 v7, v7
	v_fma_f32 v10, 0xcf800000, v7, |v6|
	v_ashrrev_i32_e32 v6, 31, v6
	v_cvt_u32_f32_e32 v11, v7
	s_delay_alu instid0(VALU_DEP_3) | instskip(NEXT) | instid1(VALU_DEP_2)
	v_cvt_u32_f32_e32 v10, v10
	v_dual_mov_b32 v7, v6 :: v_dual_bitop2_b32 v11, v11, v6 bitop3:0x14
	s_delay_alu instid0(VALU_DEP_2) | instskip(NEXT) | instid1(VALU_DEP_1)
	v_xor_b32_e32 v10, v10, v6
	v_sub_nc_u64_e32 v[6:7], v[10:11], v[6:7]
	s_delay_alu instid0(VALU_DEP_1)
	v_dual_cndmask_b32 v7, 0, v7 :: v_dual_cndmask_b32 v6, 0, v6
	s_branch .LBB126_1714
.LBB126_1713:
	s_mov_b32 s88, -1
                                        ; implicit-def: $vgpr6_vgpr7
.LBB126_1714:
	s_mov_b32 s34, 0
.LBB126_1715:
	s_delay_alu instid0(SALU_CYCLE_1)
	s_and_b32 vcc_lo, exec_lo, s34
	s_cbranch_vccz .LBB126_1719
; %bb.1716:
	s_cmp_eq_u32 s1, 29
	s_cbranch_scc0 .LBB126_1718
; %bb.1717:
	global_load_b64 v[6:7], v[8:9], off
	s_mov_b32 s31, -1
	s_mov_b32 s88, 0
	s_branch .LBB126_1719
.LBB126_1718:
	s_mov_b32 s88, -1
                                        ; implicit-def: $vgpr6_vgpr7
.LBB126_1719:
	s_mov_b32 s34, 0
.LBB126_1720:
	s_delay_alu instid0(SALU_CYCLE_1)
	s_and_b32 vcc_lo, exec_lo, s34
	s_cbranch_vccz .LBB126_1736
; %bb.1721:
	s_cmp_lt_i32 s1, 27
	s_cbranch_scc1 .LBB126_1724
; %bb.1722:
	s_cmp_gt_i32 s1, 27
	s_cbranch_scc0 .LBB126_1725
; %bb.1723:
	s_wait_loadcnt 0x0
	global_load_b32 v6, v[8:9], off
	v_mov_b32_e32 v7, 0
	s_mov_b32 s31, 0
	s_branch .LBB126_1726
.LBB126_1724:
	s_mov_b32 s31, -1
                                        ; implicit-def: $vgpr6_vgpr7
	s_branch .LBB126_1729
.LBB126_1725:
	s_mov_b32 s31, -1
                                        ; implicit-def: $vgpr6_vgpr7
.LBB126_1726:
	s_delay_alu instid0(SALU_CYCLE_1)
	s_and_not1_b32 vcc_lo, exec_lo, s31
	s_cbranch_vccnz .LBB126_1728
; %bb.1727:
	s_wait_loadcnt 0x0
	global_load_u16 v6, v[8:9], off
	s_mov_b32 s31, 0
	s_delay_alu instid0(SALU_CYCLE_1)
	v_mov_b32_e32 v7, s31
	s_wait_loadcnt 0x0
	v_and_b32_e32 v6, 0xffff, v6
.LBB126_1728:
	s_mov_b32 s31, 0
.LBB126_1729:
	s_delay_alu instid0(SALU_CYCLE_1)
	s_and_not1_b32 vcc_lo, exec_lo, s31
	s_cbranch_vccnz .LBB126_1735
; %bb.1730:
	global_load_u8 v10, v[8:9], off
	s_mov_b32 s34, 0
	s_mov_b32 s31, exec_lo
	s_wait_loadcnt 0x0
	v_cmpx_lt_i16_e32 0x7f, v10
	s_xor_b32 s31, exec_lo, s31
	s_cbranch_execz .LBB126_1747
; %bb.1731:
	v_cmp_ne_u16_e32 vcc_lo, 0x80, v10
	s_and_b32 s34, vcc_lo, exec_lo
	s_and_not1_saveexec_b32 s31, s31
	s_cbranch_execnz .LBB126_1748
.LBB126_1732:
	s_or_b32 exec_lo, exec_lo, s31
	v_mov_b64_e32 v[6:7], 0
	s_and_saveexec_b32 s31, s34
	s_cbranch_execz .LBB126_1734
.LBB126_1733:
	v_and_b32_e32 v6, 0xffff, v10
	s_delay_alu instid0(VALU_DEP_1) | instskip(SKIP_1) | instid1(VALU_DEP_2)
	v_and_b32_e32 v7, 7, v6
	v_bfe_u32 v13, v6, 3, 4
	v_clz_i32_u32_e32 v11, v7
	s_delay_alu instid0(VALU_DEP_2) | instskip(NEXT) | instid1(VALU_DEP_2)
	v_cmp_eq_u32_e32 vcc_lo, 0, v13
	v_min_u32_e32 v11, 32, v11
	s_delay_alu instid0(VALU_DEP_1) | instskip(NEXT) | instid1(VALU_DEP_1)
	v_subrev_nc_u32_e32 v12, 28, v11
	v_dual_lshlrev_b32 v6, v12, v6 :: v_dual_sub_nc_u32 v11, 29, v11
	s_delay_alu instid0(VALU_DEP_1) | instskip(NEXT) | instid1(VALU_DEP_2)
	v_and_b32_e32 v6, 7, v6
	v_dual_cndmask_b32 v11, v13, v11 :: v_dual_lshlrev_b32 v10, 24, v10
	s_delay_alu instid0(VALU_DEP_2) | instskip(NEXT) | instid1(VALU_DEP_2)
	v_cndmask_b32_e32 v6, v7, v6, vcc_lo
	v_and_b32_e32 v7, 0x80000000, v10
	s_delay_alu instid0(VALU_DEP_3) | instskip(NEXT) | instid1(VALU_DEP_3)
	v_lshl_add_u32 v10, v11, 23, 0x3b800000
	v_lshlrev_b32_e32 v6, 20, v6
	s_delay_alu instid0(VALU_DEP_1) | instskip(NEXT) | instid1(VALU_DEP_1)
	v_or3_b32 v6, v7, v10, v6
	v_trunc_f32_e32 v6, v6
	s_delay_alu instid0(VALU_DEP_1) | instskip(NEXT) | instid1(VALU_DEP_1)
	v_mul_f32_e64 v7, 0x2f800000, |v6|
	v_floor_f32_e32 v7, v7
	s_delay_alu instid0(VALU_DEP_1) | instskip(SKIP_2) | instid1(VALU_DEP_3)
	v_fma_f32 v10, 0xcf800000, v7, |v6|
	v_ashrrev_i32_e32 v6, 31, v6
	v_cvt_u32_f32_e32 v11, v7
	v_cvt_u32_f32_e32 v10, v10
	s_delay_alu instid0(VALU_DEP_2) | instskip(NEXT) | instid1(VALU_DEP_2)
	v_dual_mov_b32 v7, v6 :: v_dual_bitop2_b32 v11, v11, v6 bitop3:0x14
	v_xor_b32_e32 v10, v10, v6
	s_delay_alu instid0(VALU_DEP_1)
	v_sub_nc_u64_e32 v[6:7], v[10:11], v[6:7]
.LBB126_1734:
	s_or_b32 exec_lo, exec_lo, s31
.LBB126_1735:
	s_mov_b32 s31, -1
.LBB126_1736:
	s_mov_b32 s34, 0
.LBB126_1737:
	s_delay_alu instid0(SALU_CYCLE_1)
	s_and_b32 vcc_lo, exec_lo, s34
	s_cbranch_vccz .LBB126_1770
; %bb.1738:
	s_cmp_gt_i32 s1, 22
	s_cbranch_scc0 .LBB126_1746
; %bb.1739:
	s_cmp_lt_i32 s1, 24
	s_cbranch_scc1 .LBB126_1749
; %bb.1740:
	s_cmp_gt_i32 s1, 24
	s_cbranch_scc0 .LBB126_1750
; %bb.1741:
	global_load_u8 v10, v[8:9], off
	s_mov_b32 s34, 0
	s_mov_b32 s31, exec_lo
	s_wait_loadcnt 0x0
	v_cmpx_lt_i16_e32 0x7f, v10
	s_xor_b32 s31, exec_lo, s31
	s_cbranch_execz .LBB126_1762
; %bb.1742:
	v_cmp_ne_u16_e32 vcc_lo, 0x80, v10
	s_and_b32 s34, vcc_lo, exec_lo
	s_and_not1_saveexec_b32 s31, s31
	s_cbranch_execnz .LBB126_1763
.LBB126_1743:
	s_or_b32 exec_lo, exec_lo, s31
	v_mov_b64_e32 v[6:7], 0
	s_and_saveexec_b32 s31, s34
	s_cbranch_execz .LBB126_1745
.LBB126_1744:
	v_and_b32_e32 v6, 0xffff, v10
	s_delay_alu instid0(VALU_DEP_1) | instskip(SKIP_1) | instid1(VALU_DEP_2)
	v_and_b32_e32 v7, 3, v6
	v_bfe_u32 v13, v6, 2, 5
	v_clz_i32_u32_e32 v11, v7
	s_delay_alu instid0(VALU_DEP_2) | instskip(NEXT) | instid1(VALU_DEP_2)
	v_cmp_eq_u32_e32 vcc_lo, 0, v13
	v_min_u32_e32 v11, 32, v11
	s_delay_alu instid0(VALU_DEP_1) | instskip(NEXT) | instid1(VALU_DEP_1)
	v_subrev_nc_u32_e32 v12, 29, v11
	v_dual_lshlrev_b32 v6, v12, v6 :: v_dual_sub_nc_u32 v11, 30, v11
	s_delay_alu instid0(VALU_DEP_1) | instskip(NEXT) | instid1(VALU_DEP_2)
	v_and_b32_e32 v6, 3, v6
	v_dual_cndmask_b32 v11, v13, v11 :: v_dual_lshlrev_b32 v10, 24, v10
	s_delay_alu instid0(VALU_DEP_2) | instskip(NEXT) | instid1(VALU_DEP_2)
	v_cndmask_b32_e32 v6, v7, v6, vcc_lo
	v_and_b32_e32 v7, 0x80000000, v10
	s_delay_alu instid0(VALU_DEP_3) | instskip(NEXT) | instid1(VALU_DEP_3)
	v_lshl_add_u32 v10, v11, 23, 0x37800000
	v_lshlrev_b32_e32 v6, 21, v6
	s_delay_alu instid0(VALU_DEP_1) | instskip(NEXT) | instid1(VALU_DEP_1)
	v_or3_b32 v6, v7, v10, v6
	v_trunc_f32_e32 v6, v6
	s_delay_alu instid0(VALU_DEP_1) | instskip(NEXT) | instid1(VALU_DEP_1)
	v_mul_f32_e64 v7, 0x2f800000, |v6|
	v_floor_f32_e32 v7, v7
	s_delay_alu instid0(VALU_DEP_1) | instskip(SKIP_2) | instid1(VALU_DEP_3)
	v_fma_f32 v10, 0xcf800000, v7, |v6|
	v_ashrrev_i32_e32 v6, 31, v6
	v_cvt_u32_f32_e32 v11, v7
	v_cvt_u32_f32_e32 v10, v10
	s_delay_alu instid0(VALU_DEP_2) | instskip(NEXT) | instid1(VALU_DEP_2)
	v_dual_mov_b32 v7, v6 :: v_dual_bitop2_b32 v11, v11, v6 bitop3:0x14
	v_xor_b32_e32 v10, v10, v6
	s_delay_alu instid0(VALU_DEP_1)
	v_sub_nc_u64_e32 v[6:7], v[10:11], v[6:7]
.LBB126_1745:
	s_or_b32 exec_lo, exec_lo, s31
	s_mov_b32 s31, 0
	s_branch .LBB126_1751
.LBB126_1746:
	s_mov_b32 s34, -1
                                        ; implicit-def: $vgpr6_vgpr7
	s_branch .LBB126_1757
.LBB126_1747:
	s_and_not1_saveexec_b32 s31, s31
	s_cbranch_execz .LBB126_1732
.LBB126_1748:
	v_cmp_ne_u16_e32 vcc_lo, 0, v10
	s_and_not1_b32 s34, s34, exec_lo
	s_and_b32 s35, vcc_lo, exec_lo
	s_delay_alu instid0(SALU_CYCLE_1)
	s_or_b32 s34, s34, s35
	s_or_b32 exec_lo, exec_lo, s31
	v_mov_b64_e32 v[6:7], 0
	s_and_saveexec_b32 s31, s34
	s_cbranch_execnz .LBB126_1733
	s_branch .LBB126_1734
.LBB126_1749:
	s_mov_b32 s31, -1
                                        ; implicit-def: $vgpr6_vgpr7
	s_branch .LBB126_1754
.LBB126_1750:
	s_mov_b32 s31, -1
                                        ; implicit-def: $vgpr6_vgpr7
.LBB126_1751:
	s_delay_alu instid0(SALU_CYCLE_1)
	s_and_b32 vcc_lo, exec_lo, s31
	s_cbranch_vccz .LBB126_1753
; %bb.1752:
	s_wait_loadcnt 0x0
	global_load_u8 v6, v[8:9], off
	s_wait_loadcnt 0x0
	v_lshlrev_b32_e32 v6, 24, v6
	s_delay_alu instid0(VALU_DEP_1) | instskip(NEXT) | instid1(VALU_DEP_1)
	v_and_b32_e32 v7, 0x7f000000, v6
	v_clz_i32_u32_e32 v10, v7
	v_cmp_ne_u32_e32 vcc_lo, 0, v7
	v_add_nc_u32_e32 v12, 0x1000000, v7
	s_delay_alu instid0(VALU_DEP_3) | instskip(NEXT) | instid1(VALU_DEP_1)
	v_min_u32_e32 v10, 32, v10
	v_sub_nc_u32_e64 v10, v10, 4 clamp
	s_delay_alu instid0(VALU_DEP_1) | instskip(NEXT) | instid1(VALU_DEP_1)
	v_dual_lshlrev_b32 v11, v10, v7 :: v_dual_lshlrev_b32 v10, 23, v10
	v_lshrrev_b32_e32 v11, 4, v11
	s_delay_alu instid0(VALU_DEP_1) | instskip(NEXT) | instid1(VALU_DEP_1)
	v_dual_sub_nc_u32 v10, v11, v10 :: v_dual_ashrrev_i32 v11, 8, v12
	v_add_nc_u32_e32 v10, 0x3c000000, v10
	s_delay_alu instid0(VALU_DEP_1) | instskip(NEXT) | instid1(VALU_DEP_1)
	v_and_or_b32 v10, 0x7f800000, v11, v10
	v_cndmask_b32_e32 v7, 0, v10, vcc_lo
	s_delay_alu instid0(VALU_DEP_1) | instskip(NEXT) | instid1(VALU_DEP_1)
	v_and_or_b32 v6, 0x80000000, v6, v7
	v_trunc_f32_e32 v6, v6
	s_delay_alu instid0(VALU_DEP_1) | instskip(NEXT) | instid1(VALU_DEP_1)
	v_mul_f32_e64 v7, 0x2f800000, |v6|
	v_floor_f32_e32 v7, v7
	s_delay_alu instid0(VALU_DEP_1) | instskip(SKIP_2) | instid1(VALU_DEP_3)
	v_fma_f32 v10, 0xcf800000, v7, |v6|
	v_ashrrev_i32_e32 v6, 31, v6
	v_cvt_u32_f32_e32 v11, v7
	v_cvt_u32_f32_e32 v10, v10
	s_delay_alu instid0(VALU_DEP_2) | instskip(NEXT) | instid1(VALU_DEP_2)
	v_dual_mov_b32 v7, v6 :: v_dual_bitop2_b32 v11, v11, v6 bitop3:0x14
	v_xor_b32_e32 v10, v10, v6
	s_delay_alu instid0(VALU_DEP_1)
	v_sub_nc_u64_e32 v[6:7], v[10:11], v[6:7]
.LBB126_1753:
	s_mov_b32 s31, 0
.LBB126_1754:
	s_delay_alu instid0(SALU_CYCLE_1)
	s_and_not1_b32 vcc_lo, exec_lo, s31
	s_cbranch_vccnz .LBB126_1756
; %bb.1755:
	s_wait_loadcnt 0x0
	global_load_u8 v6, v[8:9], off
	s_wait_loadcnt 0x0
	v_lshlrev_b32_e32 v7, 25, v6
	v_lshlrev_b16 v6, 8, v6
	s_delay_alu instid0(VALU_DEP_1) | instskip(SKIP_1) | instid1(VALU_DEP_2)
	v_and_or_b32 v11, 0x7f00, v6, 0.5
	v_bfe_i32 v6, v6, 0, 16
	v_add_f32_e32 v11, -0.5, v11
	v_lshrrev_b32_e32 v10, 4, v7
	v_cmp_gt_u32_e32 vcc_lo, 0x8000000, v7
	s_delay_alu instid0(VALU_DEP_2) | instskip(NEXT) | instid1(VALU_DEP_1)
	v_or_b32_e32 v10, 0x70000000, v10
	v_mul_f32_e32 v10, 0x7800000, v10
	s_delay_alu instid0(VALU_DEP_1) | instskip(NEXT) | instid1(VALU_DEP_1)
	v_cndmask_b32_e32 v7, v10, v11, vcc_lo
	v_and_or_b32 v6, 0x80000000, v6, v7
	s_delay_alu instid0(VALU_DEP_1) | instskip(NEXT) | instid1(VALU_DEP_1)
	v_trunc_f32_e32 v6, v6
	v_mul_f32_e64 v7, 0x2f800000, |v6|
	s_delay_alu instid0(VALU_DEP_1) | instskip(NEXT) | instid1(VALU_DEP_1)
	v_floor_f32_e32 v7, v7
	v_fma_f32 v10, 0xcf800000, v7, |v6|
	v_ashrrev_i32_e32 v6, 31, v6
	v_cvt_u32_f32_e32 v11, v7
	s_delay_alu instid0(VALU_DEP_3) | instskip(NEXT) | instid1(VALU_DEP_2)
	v_cvt_u32_f32_e32 v10, v10
	v_dual_mov_b32 v7, v6 :: v_dual_bitop2_b32 v11, v11, v6 bitop3:0x14
	s_delay_alu instid0(VALU_DEP_2) | instskip(NEXT) | instid1(VALU_DEP_1)
	v_xor_b32_e32 v10, v10, v6
	v_sub_nc_u64_e32 v[6:7], v[10:11], v[6:7]
.LBB126_1756:
	s_mov_b32 s34, 0
	s_mov_b32 s31, -1
.LBB126_1757:
	s_and_not1_b32 vcc_lo, exec_lo, s34
	s_cbranch_vccnz .LBB126_1770
; %bb.1758:
	s_cmp_gt_i32 s1, 14
	s_cbranch_scc0 .LBB126_1761
; %bb.1759:
	s_cmp_eq_u32 s1, 15
	s_cbranch_scc0 .LBB126_1764
; %bb.1760:
	s_wait_loadcnt 0x0
	global_load_u16 v6, v[8:9], off
	s_mov_b32 s31, -1
	s_mov_b32 s88, 0
	s_wait_loadcnt 0x0
	v_lshlrev_b32_e32 v6, 16, v6
	s_delay_alu instid0(VALU_DEP_1) | instskip(NEXT) | instid1(VALU_DEP_1)
	v_trunc_f32_e32 v6, v6
	v_mul_f32_e64 v7, 0x2f800000, |v6|
	s_delay_alu instid0(VALU_DEP_1) | instskip(NEXT) | instid1(VALU_DEP_1)
	v_floor_f32_e32 v7, v7
	v_fma_f32 v10, 0xcf800000, v7, |v6|
	v_ashrrev_i32_e32 v6, 31, v6
	v_cvt_u32_f32_e32 v11, v7
	s_delay_alu instid0(VALU_DEP_3) | instskip(NEXT) | instid1(VALU_DEP_2)
	v_cvt_u32_f32_e32 v10, v10
	v_dual_mov_b32 v7, v6 :: v_dual_bitop2_b32 v11, v11, v6 bitop3:0x14
	s_delay_alu instid0(VALU_DEP_2) | instskip(NEXT) | instid1(VALU_DEP_1)
	v_xor_b32_e32 v10, v10, v6
	v_sub_nc_u64_e32 v[6:7], v[10:11], v[6:7]
	s_branch .LBB126_1765
.LBB126_1761:
	s_mov_b32 s34, -1
                                        ; implicit-def: $vgpr6_vgpr7
	s_branch .LBB126_1766
.LBB126_1762:
	s_and_not1_saveexec_b32 s31, s31
	s_cbranch_execz .LBB126_1743
.LBB126_1763:
	v_cmp_ne_u16_e32 vcc_lo, 0, v10
	s_and_not1_b32 s34, s34, exec_lo
	s_and_b32 s35, vcc_lo, exec_lo
	s_delay_alu instid0(SALU_CYCLE_1)
	s_or_b32 s34, s34, s35
	s_or_b32 exec_lo, exec_lo, s31
	v_mov_b64_e32 v[6:7], 0
	s_and_saveexec_b32 s31, s34
	s_cbranch_execnz .LBB126_1744
	s_branch .LBB126_1745
.LBB126_1764:
	s_mov_b32 s88, -1
                                        ; implicit-def: $vgpr6_vgpr7
.LBB126_1765:
	s_mov_b32 s34, 0
.LBB126_1766:
	s_delay_alu instid0(SALU_CYCLE_1)
	s_and_b32 vcc_lo, exec_lo, s34
	s_cbranch_vccz .LBB126_1770
; %bb.1767:
	s_cmp_eq_u32 s1, 11
	s_cbranch_scc0 .LBB126_1769
; %bb.1768:
	s_wait_loadcnt 0x0
	global_load_u8 v6, v[8:9], off
	s_mov_b32 s88, 0
	s_mov_b32 s31, -1
	v_mov_b32_e32 v7, s88
	s_wait_loadcnt 0x0
	v_cmp_ne_u16_e32 vcc_lo, 0, v6
	v_cndmask_b32_e64 v6, 0, 1, vcc_lo
	s_branch .LBB126_1770
.LBB126_1769:
	s_mov_b32 s88, -1
                                        ; implicit-def: $vgpr6_vgpr7
.LBB126_1770:
	s_mov_b32 s1, 0
.LBB126_1771:
	s_delay_alu instid0(SALU_CYCLE_1)
	s_and_b32 vcc_lo, exec_lo, s1
	s_cbranch_vccz .LBB126_1820
; %bb.1772:
	s_and_b32 s0, 0xffff, s0
	s_delay_alu instid0(SALU_CYCLE_1)
	s_cmp_lt_i32 s0, 5
	s_cbranch_scc1 .LBB126_1777
; %bb.1773:
	s_cmp_lt_i32 s0, 8
	s_cbranch_scc1 .LBB126_1778
; %bb.1774:
	;; [unrolled: 3-line block ×3, first 2 shown]
	s_cmp_gt_i32 s0, 9
	s_cbranch_scc0 .LBB126_1780
; %bb.1776:
	s_wait_loadcnt 0x0
	global_load_b64 v[6:7], v[8:9], off
	s_mov_b32 s1, 0
	s_wait_loadcnt 0x0
	v_trunc_f64_e32 v[6:7], v[6:7]
	s_delay_alu instid0(VALU_DEP_1) | instskip(NEXT) | instid1(VALU_DEP_1)
	v_ldexp_f64 v[10:11], v[6:7], 0xffffffe0
	v_floor_f64_e32 v[10:11], v[10:11]
	s_delay_alu instid0(VALU_DEP_1) | instskip(SKIP_1) | instid1(VALU_DEP_2)
	v_fmamk_f64 v[12:13], v[10:11], 0xc1f00000, v[6:7]
	v_cvt_i32_f64_e32 v7, v[10:11]
	v_cvt_u32_f64_e32 v6, v[12:13]
	s_branch .LBB126_1781
.LBB126_1777:
	s_mov_b32 s1, -1
                                        ; implicit-def: $vgpr6_vgpr7
	s_branch .LBB126_1799
.LBB126_1778:
	s_mov_b32 s1, -1
                                        ; implicit-def: $vgpr6_vgpr7
	s_branch .LBB126_1787
.LBB126_1779:
	s_mov_b32 s1, -1
                                        ; implicit-def: $vgpr6_vgpr7
	s_branch .LBB126_1784
.LBB126_1780:
	s_mov_b32 s1, -1
                                        ; implicit-def: $vgpr6_vgpr7
.LBB126_1781:
	s_delay_alu instid0(SALU_CYCLE_1)
	s_and_not1_b32 vcc_lo, exec_lo, s1
	s_cbranch_vccnz .LBB126_1783
; %bb.1782:
	s_wait_loadcnt 0x0
	global_load_b32 v6, v[8:9], off
	s_wait_loadcnt 0x0
	v_trunc_f32_e32 v6, v6
	s_delay_alu instid0(VALU_DEP_1) | instskip(NEXT) | instid1(VALU_DEP_1)
	v_mul_f32_e64 v7, 0x2f800000, |v6|
	v_floor_f32_e32 v7, v7
	s_delay_alu instid0(VALU_DEP_1) | instskip(SKIP_2) | instid1(VALU_DEP_3)
	v_fma_f32 v10, 0xcf800000, v7, |v6|
	v_ashrrev_i32_e32 v6, 31, v6
	v_cvt_u32_f32_e32 v11, v7
	v_cvt_u32_f32_e32 v10, v10
	s_delay_alu instid0(VALU_DEP_2) | instskip(NEXT) | instid1(VALU_DEP_2)
	v_dual_mov_b32 v7, v6 :: v_dual_bitop2_b32 v11, v11, v6 bitop3:0x14
	v_xor_b32_e32 v10, v10, v6
	s_delay_alu instid0(VALU_DEP_1)
	v_sub_nc_u64_e32 v[6:7], v[10:11], v[6:7]
.LBB126_1783:
	s_mov_b32 s1, 0
.LBB126_1784:
	s_delay_alu instid0(SALU_CYCLE_1)
	s_and_not1_b32 vcc_lo, exec_lo, s1
	s_cbranch_vccnz .LBB126_1786
; %bb.1785:
	s_wait_loadcnt 0x0
	global_load_b32 v6, v[8:9], off
	s_wait_loadcnt 0x0
	v_cvt_f32_f16_e32 v6, v6
	s_delay_alu instid0(VALU_DEP_1) | instskip(NEXT) | instid1(VALU_DEP_1)
	v_cvt_i32_f32_e32 v6, v6
	v_ashrrev_i32_e32 v7, 31, v6
.LBB126_1786:
	s_mov_b32 s1, 0
.LBB126_1787:
	s_delay_alu instid0(SALU_CYCLE_1)
	s_and_not1_b32 vcc_lo, exec_lo, s1
	s_cbranch_vccnz .LBB126_1798
; %bb.1788:
	s_cmp_lt_i32 s0, 6
	s_cbranch_scc1 .LBB126_1791
; %bb.1789:
	s_cmp_gt_i32 s0, 6
	s_cbranch_scc0 .LBB126_1792
; %bb.1790:
	s_wait_loadcnt 0x0
	global_load_b64 v[6:7], v[8:9], off
	s_mov_b32 s1, 0
	s_wait_loadcnt 0x0
	v_trunc_f64_e32 v[6:7], v[6:7]
	s_delay_alu instid0(VALU_DEP_1) | instskip(NEXT) | instid1(VALU_DEP_1)
	v_ldexp_f64 v[10:11], v[6:7], 0xffffffe0
	v_floor_f64_e32 v[10:11], v[10:11]
	s_delay_alu instid0(VALU_DEP_1) | instskip(SKIP_1) | instid1(VALU_DEP_2)
	v_fmamk_f64 v[12:13], v[10:11], 0xc1f00000, v[6:7]
	v_cvt_i32_f64_e32 v7, v[10:11]
	v_cvt_u32_f64_e32 v6, v[12:13]
	s_branch .LBB126_1793
.LBB126_1791:
	s_mov_b32 s1, -1
                                        ; implicit-def: $vgpr6_vgpr7
	s_branch .LBB126_1796
.LBB126_1792:
	s_mov_b32 s1, -1
                                        ; implicit-def: $vgpr6_vgpr7
.LBB126_1793:
	s_delay_alu instid0(SALU_CYCLE_1)
	s_and_not1_b32 vcc_lo, exec_lo, s1
	s_cbranch_vccnz .LBB126_1795
; %bb.1794:
	s_wait_loadcnt 0x0
	global_load_b32 v6, v[8:9], off
	s_wait_loadcnt 0x0
	v_trunc_f32_e32 v6, v6
	s_delay_alu instid0(VALU_DEP_1) | instskip(NEXT) | instid1(VALU_DEP_1)
	v_mul_f32_e64 v7, 0x2f800000, |v6|
	v_floor_f32_e32 v7, v7
	s_delay_alu instid0(VALU_DEP_1) | instskip(SKIP_2) | instid1(VALU_DEP_3)
	v_fma_f32 v10, 0xcf800000, v7, |v6|
	v_ashrrev_i32_e32 v6, 31, v6
	v_cvt_u32_f32_e32 v11, v7
	v_cvt_u32_f32_e32 v10, v10
	s_delay_alu instid0(VALU_DEP_2) | instskip(NEXT) | instid1(VALU_DEP_2)
	v_dual_mov_b32 v7, v6 :: v_dual_bitop2_b32 v11, v11, v6 bitop3:0x14
	v_xor_b32_e32 v10, v10, v6
	s_delay_alu instid0(VALU_DEP_1)
	v_sub_nc_u64_e32 v[6:7], v[10:11], v[6:7]
.LBB126_1795:
	s_mov_b32 s1, 0
.LBB126_1796:
	s_delay_alu instid0(SALU_CYCLE_1)
	s_and_not1_b32 vcc_lo, exec_lo, s1
	s_cbranch_vccnz .LBB126_1798
; %bb.1797:
	s_wait_loadcnt 0x0
	global_load_u16 v6, v[8:9], off
	s_wait_loadcnt 0x0
	v_cvt_f32_f16_e32 v6, v6
	s_delay_alu instid0(VALU_DEP_1) | instskip(NEXT) | instid1(VALU_DEP_1)
	v_cvt_i32_f32_e32 v6, v6
	v_ashrrev_i32_e32 v7, 31, v6
.LBB126_1798:
	s_mov_b32 s1, 0
.LBB126_1799:
	s_delay_alu instid0(SALU_CYCLE_1)
	s_and_not1_b32 vcc_lo, exec_lo, s1
	s_cbranch_vccnz .LBB126_1819
; %bb.1800:
	s_cmp_lt_i32 s0, 2
	s_cbranch_scc1 .LBB126_1804
; %bb.1801:
	s_cmp_lt_i32 s0, 3
	s_cbranch_scc1 .LBB126_1805
; %bb.1802:
	s_cmp_gt_i32 s0, 3
	s_cbranch_scc0 .LBB126_1806
; %bb.1803:
	s_wait_loadcnt 0x0
	global_load_b64 v[6:7], v[8:9], off
	s_mov_b32 s1, 0
	s_branch .LBB126_1807
.LBB126_1804:
	s_mov_b32 s1, -1
                                        ; implicit-def: $vgpr6_vgpr7
	s_branch .LBB126_1813
.LBB126_1805:
	s_mov_b32 s1, -1
                                        ; implicit-def: $vgpr6_vgpr7
	s_branch .LBB126_1810
.LBB126_1806:
	s_mov_b32 s1, -1
                                        ; implicit-def: $vgpr6_vgpr7
.LBB126_1807:
	s_delay_alu instid0(SALU_CYCLE_1)
	s_and_not1_b32 vcc_lo, exec_lo, s1
	s_cbranch_vccnz .LBB126_1809
; %bb.1808:
	s_wait_loadcnt 0x0
	global_load_b32 v6, v[8:9], off
	s_wait_loadcnt 0x0
	v_ashrrev_i32_e32 v7, 31, v6
.LBB126_1809:
	s_mov_b32 s1, 0
.LBB126_1810:
	s_delay_alu instid0(SALU_CYCLE_1)
	s_and_not1_b32 vcc_lo, exec_lo, s1
	s_cbranch_vccnz .LBB126_1812
; %bb.1811:
	s_wait_loadcnt 0x0
	global_load_u16 v6, v[8:9], off
	s_wait_loadcnt 0x0
	v_bfe_i32 v6, v6, 0, 16
	s_delay_alu instid0(VALU_DEP_1)
	v_ashrrev_i32_e32 v7, 31, v6
.LBB126_1812:
	s_mov_b32 s1, 0
.LBB126_1813:
	s_delay_alu instid0(SALU_CYCLE_1)
	s_and_not1_b32 vcc_lo, exec_lo, s1
	s_cbranch_vccnz .LBB126_1819
; %bb.1814:
	s_cmp_gt_i32 s0, 0
	s_mov_b32 s0, 0
	s_cbranch_scc0 .LBB126_1816
; %bb.1815:
	s_wait_loadcnt 0x0
	global_load_i8 v6, v[8:9], off
	s_wait_loadcnt 0x0
	v_bfe_i32 v6, v6, 0, 16
	s_delay_alu instid0(VALU_DEP_1)
	v_ashrrev_i32_e32 v7, 31, v6
	s_branch .LBB126_1817
.LBB126_1816:
	s_mov_b32 s0, -1
                                        ; implicit-def: $vgpr6_vgpr7
.LBB126_1817:
	s_delay_alu instid0(SALU_CYCLE_1)
	s_and_not1_b32 vcc_lo, exec_lo, s0
	s_cbranch_vccnz .LBB126_1819
; %bb.1818:
	s_wait_loadcnt 0x0
	global_load_u8 v6, v[8:9], off
	s_mov_b32 s0, 0
	s_delay_alu instid0(SALU_CYCLE_1)
	v_mov_b32_e32 v7, s0
	s_wait_loadcnt 0x0
	v_and_b32_e32 v6, 0xffff, v6
.LBB126_1819:
	s_mov_b32 s31, -1
.LBB126_1820:
	s_delay_alu instid0(SALU_CYCLE_1)
	s_and_not1_b32 vcc_lo, exec_lo, s31
	s_cbranch_vccnz .LBB126_1828
; %bb.1821:
	s_wait_xcnt 0x0
	v_mul_lo_u32 v8, v22, s3
	s_and_b32 s0, s29, 0xff
	s_delay_alu instid0(SALU_CYCLE_1) | instskip(NEXT) | instid1(VALU_DEP_1)
	s_cmp_lt_i32 s0, 11
	v_ashrrev_i32_e32 v9, 31, v8
	s_delay_alu instid0(VALU_DEP_1)
	v_add_nc_u64_e32 v[8:9], s[14:15], v[8:9]
	s_cbranch_scc1 .LBB126_1829
; %bb.1822:
	s_and_b32 s1, 0xffff, s0
	s_delay_alu instid0(SALU_CYCLE_1)
	s_cmp_gt_i32 s1, 25
	s_cbranch_scc0 .LBB126_1830
; %bb.1823:
	s_cmp_gt_i32 s1, 28
	s_cbranch_scc0 .LBB126_1831
; %bb.1824:
	;; [unrolled: 3-line block ×4, first 2 shown]
	s_cmp_eq_u32 s1, 46
	s_mov_b32 s34, 0
	s_cbranch_scc0 .LBB126_1921
; %bb.1827:
	global_load_b32 v10, v[8:9], off
	s_mov_b32 s31, -1
	s_mov_b32 s89, 0
	s_wait_loadcnt 0x0
	v_lshlrev_b32_e32 v10, 16, v10
	s_delay_alu instid0(VALU_DEP_1) | instskip(NEXT) | instid1(VALU_DEP_1)
	v_trunc_f32_e32 v10, v10
	v_mul_f32_e64 v11, 0x2f800000, |v10|
	s_delay_alu instid0(VALU_DEP_1) | instskip(NEXT) | instid1(VALU_DEP_1)
	v_floor_f32_e32 v11, v11
	v_fma_f32 v12, 0xcf800000, v11, |v10|
	v_ashrrev_i32_e32 v10, 31, v10
	v_cvt_u32_f32_e32 v13, v11
	s_delay_alu instid0(VALU_DEP_3) | instskip(NEXT) | instid1(VALU_DEP_2)
	v_cvt_u32_f32_e32 v12, v12
	v_dual_mov_b32 v11, v10 :: v_dual_bitop2_b32 v13, v13, v10 bitop3:0x14
	s_delay_alu instid0(VALU_DEP_2) | instskip(NEXT) | instid1(VALU_DEP_1)
	v_xor_b32_e32 v12, v12, v10
	v_sub_nc_u64_e32 v[10:11], v[12:13], v[10:11]
	s_branch .LBB126_1923
.LBB126_1828:
	s_mov_b32 s0, 0
	s_mov_b32 s1, s80
	s_mov_b32 s31, s81
	s_mov_b32 s34, s82
	s_mov_b32 s44, s78
	s_mov_b32 s35, s79
	s_mov_b32 s89, s76
	s_branch .LBB126_2045
.LBB126_1829:
	s_mov_b32 s1, -1
	s_mov_b32 s31, 0
	s_mov_b32 s89, s76
                                        ; implicit-def: $vgpr10_vgpr11
	s_branch .LBB126_1984
.LBB126_1830:
	s_mov_b32 s34, -1
	s_mov_b32 s31, 0
	s_mov_b32 s89, s76
                                        ; implicit-def: $vgpr10_vgpr11
	s_branch .LBB126_1950
.LBB126_1831:
	s_mov_b32 s34, -1
	s_mov_b32 s31, 0
	s_mov_b32 s89, s76
                                        ; implicit-def: $vgpr10_vgpr11
	s_branch .LBB126_1933
.LBB126_1832:
	s_mov_b32 s34, -1
	s_mov_b32 s31, 0
	s_mov_b32 s89, s76
                                        ; implicit-def: $vgpr10_vgpr11
	s_branch .LBB126_1928
.LBB126_1833:
	s_mov_b32 s34, -1
	s_mov_b32 s31, 0
	s_mov_b32 s89, s76
	s_branch .LBB126_1922
.LBB126_1834:
	s_mov_b32 s45, -1
	s_mov_b32 s31, 0
	s_mov_b32 s44, 0
.LBB126_1835:
	s_and_b32 vcc_lo, exec_lo, s45
	s_cbranch_vccz .LBB126_1838
; %bb.1836:
	s_cmp_eq_u32 s35, 44
	s_mov_b32 s31, -1
	s_cbranch_scc0 .LBB126_1838
; %bb.1837:
	s_wait_xcnt 0x0
	v_mov_b32_e32 v2, 0
	s_mov_b32 s44, -1
	s_mov_b32 s31, 0
	s_mov_b32 s45, 0
	global_store_b8 v[0:1], v2, off
	s_branch .LBB126_1839
.LBB126_1838:
	s_mov_b32 s45, 0
.LBB126_1839:
	s_delay_alu instid0(SALU_CYCLE_1)
	s_and_b32 vcc_lo, exec_lo, s45
	s_cbranch_vccz .LBB126_1842
; %bb.1840:
	s_cmp_eq_u32 s35, 29
	s_mov_b32 s31, -1
	s_cbranch_scc0 .LBB126_1842
; %bb.1841:
	s_wait_xcnt 0x0
	v_mov_b64_e32 v[2:3], 0
	s_mov_b32 s44, -1
	s_mov_b32 s31, 0
	s_mov_b32 s45, 0
	global_store_b64 v[0:1], v[2:3], off
	s_branch .LBB126_1843
.LBB126_1842:
	s_mov_b32 s45, 0
.LBB126_1843:
	s_delay_alu instid0(SALU_CYCLE_1)
	s_and_b32 vcc_lo, exec_lo, s45
	s_cbranch_vccz .LBB126_1853
; %bb.1844:
	s_cmp_lt_i32 s35, 27
	s_mov_b32 s44, -1
	s_cbranch_scc1 .LBB126_1850
; %bb.1845:
	s_cmp_gt_i32 s35, 27
	s_cbranch_scc0 .LBB126_1847
; %bb.1846:
	s_wait_xcnt 0x0
	v_mov_b32_e32 v2, 0
	s_mov_b32 s44, 0
	global_store_b32 v[0:1], v2, off
.LBB126_1847:
	s_and_not1_b32 vcc_lo, exec_lo, s44
	s_cbranch_vccnz .LBB126_1849
; %bb.1848:
	s_wait_xcnt 0x0
	v_mov_b32_e32 v2, 0
	global_store_b16 v[0:1], v2, off
.LBB126_1849:
	s_mov_b32 s44, 0
.LBB126_1850:
	s_delay_alu instid0(SALU_CYCLE_1)
	s_and_not1_b32 vcc_lo, exec_lo, s44
	s_cbranch_vccnz .LBB126_1852
; %bb.1851:
	s_wait_xcnt 0x0
	v_mov_b32_e32 v2, 0
	global_store_b8 v[0:1], v2, off
.LBB126_1852:
	s_mov_b32 s44, -1
.LBB126_1853:
	s_mov_b32 s45, 0
.LBB126_1854:
	s_delay_alu instid0(SALU_CYCLE_1)
	s_and_b32 vcc_lo, exec_lo, s45
	s_cbranch_vccz .LBB126_1873
; %bb.1855:
	s_cmp_gt_i32 s35, 22
	s_mov_b32 s45, -1
	s_cbranch_scc0 .LBB126_1865
; %bb.1856:
	s_cmp_lt_i32 s35, 24
	s_mov_b32 s44, -1
	s_cbranch_scc1 .LBB126_1862
; %bb.1857:
	s_cmp_gt_i32 s35, 24
	s_cbranch_scc0 .LBB126_1859
; %bb.1858:
	s_wait_xcnt 0x0
	v_mov_b32_e32 v2, 0
	s_mov_b32 s44, 0
	global_store_b8 v[0:1], v2, off
.LBB126_1859:
	s_and_not1_b32 vcc_lo, exec_lo, s44
	s_cbranch_vccnz .LBB126_1861
; %bb.1860:
	s_wait_xcnt 0x0
	v_mov_b32_e32 v2, 0
	global_store_b8 v[0:1], v2, off
.LBB126_1861:
	s_mov_b32 s44, 0
.LBB126_1862:
	s_delay_alu instid0(SALU_CYCLE_1)
	s_and_not1_b32 vcc_lo, exec_lo, s44
	s_cbranch_vccnz .LBB126_1864
; %bb.1863:
	s_wait_xcnt 0x0
	v_mov_b32_e32 v2, 0
	global_store_b8 v[0:1], v2, off
.LBB126_1864:
	s_mov_b32 s45, 0
	s_mov_b32 s44, -1
.LBB126_1865:
	s_and_not1_b32 vcc_lo, exec_lo, s45
	s_cbranch_vccnz .LBB126_1873
; %bb.1866:
	s_cmp_gt_i32 s35, 14
	s_mov_b32 s45, -1
	s_cbranch_scc0 .LBB126_1870
; %bb.1867:
	s_cmp_eq_u32 s35, 15
	s_mov_b32 s31, -1
	s_cbranch_scc0 .LBB126_1869
; %bb.1868:
	s_wait_xcnt 0x0
	v_mov_b32_e32 v2, 0
	s_mov_b32 s44, -1
	s_mov_b32 s31, 0
	global_store_b16 v[0:1], v2, off
.LBB126_1869:
	s_mov_b32 s45, 0
.LBB126_1870:
	s_delay_alu instid0(SALU_CYCLE_1)
	s_and_b32 vcc_lo, exec_lo, s45
	s_cbranch_vccz .LBB126_1873
; %bb.1871:
	s_cmp_eq_u32 s35, 11
	s_mov_b32 s31, -1
	s_cbranch_scc0 .LBB126_1873
; %bb.1872:
	s_wait_xcnt 0x0
	v_mov_b32_e32 v2, 0
	s_mov_b32 s44, -1
	s_mov_b32 s31, 0
	global_store_b8 v[0:1], v2, off
.LBB126_1873:
	s_mov_b32 s35, 0
.LBB126_1874:
	s_delay_alu instid0(SALU_CYCLE_1)
	s_and_b32 vcc_lo, exec_lo, s35
	s_cbranch_vccz .LBB126_1913
; %bb.1875:
	s_and_b32 s34, 0xffff, s34
	s_mov_b32 s35, -1
	s_cmp_lt_i32 s34, 5
	s_cbranch_scc1 .LBB126_1896
; %bb.1876:
	s_cmp_lt_i32 s34, 8
	s_cbranch_scc1 .LBB126_1886
; %bb.1877:
	;; [unrolled: 3-line block ×3, first 2 shown]
	s_cmp_gt_i32 s34, 9
	s_cbranch_scc0 .LBB126_1880
; %bb.1879:
	s_wait_xcnt 0x0
	v_mov_b32_e32 v2, 0
	s_mov_b32 s35, 0
	s_delay_alu instid0(VALU_DEP_1)
	v_dual_mov_b32 v3, v2 :: v_dual_mov_b32 v4, v2
	v_mov_b32_e32 v5, v2
	global_store_b128 v[0:1], v[2:5], off
.LBB126_1880:
	s_and_not1_b32 vcc_lo, exec_lo, s35
	s_cbranch_vccnz .LBB126_1882
; %bb.1881:
	s_wait_xcnt 0x0
	v_mov_b64_e32 v[2:3], 0
	global_store_b64 v[0:1], v[2:3], off
.LBB126_1882:
	s_mov_b32 s35, 0
.LBB126_1883:
	s_delay_alu instid0(SALU_CYCLE_1)
	s_and_not1_b32 vcc_lo, exec_lo, s35
	s_cbranch_vccnz .LBB126_1885
; %bb.1884:
	s_wait_xcnt 0x0
	v_mov_b32_e32 v2, 0
	global_store_b32 v[0:1], v2, off
.LBB126_1885:
	s_mov_b32 s35, 0
.LBB126_1886:
	s_delay_alu instid0(SALU_CYCLE_1)
	s_and_not1_b32 vcc_lo, exec_lo, s35
	s_cbranch_vccnz .LBB126_1895
; %bb.1887:
	s_cmp_lt_i32 s34, 6
	s_mov_b32 s35, -1
	s_cbranch_scc1 .LBB126_1893
; %bb.1888:
	s_cmp_gt_i32 s34, 6
	s_cbranch_scc0 .LBB126_1890
; %bb.1889:
	s_wait_xcnt 0x0
	v_mov_b64_e32 v[2:3], 0
	s_mov_b32 s35, 0
	global_store_b64 v[0:1], v[2:3], off
.LBB126_1890:
	s_and_not1_b32 vcc_lo, exec_lo, s35
	s_cbranch_vccnz .LBB126_1892
; %bb.1891:
	s_wait_xcnt 0x0
	v_mov_b32_e32 v2, 0
	global_store_b32 v[0:1], v2, off
.LBB126_1892:
	s_mov_b32 s35, 0
.LBB126_1893:
	s_delay_alu instid0(SALU_CYCLE_1)
	s_and_not1_b32 vcc_lo, exec_lo, s35
	s_cbranch_vccnz .LBB126_1895
; %bb.1894:
	s_wait_xcnt 0x0
	v_mov_b32_e32 v2, 0
	global_store_b16 v[0:1], v2, off
.LBB126_1895:
	s_mov_b32 s35, 0
.LBB126_1896:
	s_delay_alu instid0(SALU_CYCLE_1)
	s_and_not1_b32 vcc_lo, exec_lo, s35
	s_cbranch_vccnz .LBB126_1912
; %bb.1897:
	s_cmp_lt_i32 s34, 2
	s_mov_b32 s35, -1
	s_cbranch_scc1 .LBB126_1907
; %bb.1898:
	s_cmp_lt_i32 s34, 3
	s_cbranch_scc1 .LBB126_1904
; %bb.1899:
	s_cmp_gt_i32 s34, 3
	s_cbranch_scc0 .LBB126_1901
; %bb.1900:
	s_wait_xcnt 0x0
	v_mov_b64_e32 v[2:3], 0
	s_mov_b32 s35, 0
	global_store_b64 v[0:1], v[2:3], off
.LBB126_1901:
	s_and_not1_b32 vcc_lo, exec_lo, s35
	s_cbranch_vccnz .LBB126_1903
; %bb.1902:
	s_wait_xcnt 0x0
	v_mov_b32_e32 v2, 0
	global_store_b32 v[0:1], v2, off
.LBB126_1903:
	s_mov_b32 s35, 0
.LBB126_1904:
	s_delay_alu instid0(SALU_CYCLE_1)
	s_and_not1_b32 vcc_lo, exec_lo, s35
	s_cbranch_vccnz .LBB126_1906
; %bb.1905:
	s_wait_xcnt 0x0
	v_mov_b32_e32 v2, 0
	global_store_b16 v[0:1], v2, off
.LBB126_1906:
	s_mov_b32 s35, 0
.LBB126_1907:
	s_delay_alu instid0(SALU_CYCLE_1)
	s_and_not1_b32 vcc_lo, exec_lo, s35
	s_cbranch_vccnz .LBB126_1912
; %bb.1908:
	s_cmp_gt_i32 s34, 0
	s_mov_b32 s34, -1
	s_cbranch_scc0 .LBB126_1910
; %bb.1909:
	s_wait_xcnt 0x0
	v_mov_b32_e32 v2, 0
	s_mov_b32 s34, 0
	global_store_b8 v[0:1], v2, off
.LBB126_1910:
	s_and_not1_b32 vcc_lo, exec_lo, s34
	s_cbranch_vccnz .LBB126_1912
; %bb.1911:
	s_wait_xcnt 0x0
	v_mov_b32_e32 v2, 0
	global_store_b8 v[0:1], v2, off
.LBB126_1912:
	s_mov_b32 s44, -1
.LBB126_1913:
	s_delay_alu instid0(SALU_CYCLE_1)
	s_and_not1_b32 vcc_lo, exec_lo, s44
	s_cbranch_vccnz .LBB126_1915
; %bb.1914:
	v_add_nc_u32_e32 v22, 0x80, v22
	s_mov_b32 s35, -1
	s_branch .LBB126_1916
.LBB126_1915:
	s_mov_b32 s35, 0
                                        ; implicit-def: $vgpr22
.LBB126_1916:
	s_and_b32 s34, s31, exec_lo
	s_and_not1_b32 s0, s0, exec_lo
	s_and_b32 s31, s35, exec_lo
.LBB126_1917:
	s_wait_xcnt 0x0
	s_or_b32 exec_lo, exec_lo, s1
	s_delay_alu instid0(SALU_CYCLE_1)
	s_and_b32 s34, s34, exec_lo
	s_and_b32 s0, s0, exec_lo
	s_xor_b32 s1, exec_lo, -1
	s_and_b32 s31, s31, exec_lo
.LBB126_1918:
	s_or_b32 exec_lo, exec_lo, s64
	s_delay_alu instid0(SALU_CYCLE_1)
	s_and_b32 s44, s34, exec_lo
	s_and_b32 s35, s0, exec_lo
	;; [unrolled: 1-line block ×3, first 2 shown]
	s_xor_b32 s1, exec_lo, -1
	s_and_b32 s0, s31, exec_lo
.LBB126_1919:
	s_or_b32 exec_lo, exec_lo, s63
	s_delay_alu instid0(SALU_CYCLE_1)
	s_and_b32 s44, s44, exec_lo
	s_and_b32 s35, s35, exec_lo
	;; [unrolled: 1-line block ×4, first 2 shown]
	s_xor_b32 s1, exec_lo, -1
	s_and_b32 s0, s0, exec_lo
	s_or_b32 exec_lo, exec_lo, s61
	s_branch .LBB126_629
.LBB126_1920:
	s_mov_b32 s45, -1
	s_mov_b32 s44, 0
	s_mov_b32 s31, s61
	s_branch .LBB126_3512
.LBB126_1921:
	s_mov_b32 s89, -1
	s_mov_b32 s31, 0
.LBB126_1922:
                                        ; implicit-def: $vgpr10_vgpr11
.LBB126_1923:
	s_and_b32 vcc_lo, exec_lo, s34
	s_cbranch_vccz .LBB126_1927
; %bb.1924:
	s_cmp_eq_u32 s1, 44
	s_cbranch_scc0 .LBB126_1926
; %bb.1925:
	global_load_u8 v14, v[8:9], off
	s_mov_b32 s89, 0
	s_mov_b32 s31, -1
	s_wait_loadcnt 0x0
	v_cmp_ne_u32_e32 vcc_lo, 0, v14
	v_lshlrev_b32_e32 v10, 23, v14
	s_delay_alu instid0(VALU_DEP_1) | instskip(NEXT) | instid1(VALU_DEP_1)
	v_trunc_f32_e32 v10, v10
	v_mul_f32_e64 v11, 0x2f800000, |v10|
	s_delay_alu instid0(VALU_DEP_1) | instskip(NEXT) | instid1(VALU_DEP_1)
	v_floor_f32_e32 v11, v11
	v_fma_f32 v12, 0xcf800000, v11, |v10|
	v_ashrrev_i32_e32 v10, 31, v10
	v_cvt_u32_f32_e32 v13, v11
	s_delay_alu instid0(VALU_DEP_3) | instskip(NEXT) | instid1(VALU_DEP_2)
	v_cvt_u32_f32_e32 v12, v12
	v_dual_mov_b32 v11, v10 :: v_dual_bitop2_b32 v13, v13, v10 bitop3:0x14
	s_delay_alu instid0(VALU_DEP_2) | instskip(NEXT) | instid1(VALU_DEP_1)
	v_xor_b32_e32 v12, v12, v10
	v_sub_nc_u64_e32 v[10:11], v[12:13], v[10:11]
	s_delay_alu instid0(VALU_DEP_1)
	v_dual_cndmask_b32 v11, 0, v11 :: v_dual_cndmask_b32 v10, 0, v10
	s_branch .LBB126_1927
.LBB126_1926:
	s_mov_b32 s89, -1
                                        ; implicit-def: $vgpr10_vgpr11
.LBB126_1927:
	s_mov_b32 s34, 0
.LBB126_1928:
	s_delay_alu instid0(SALU_CYCLE_1)
	s_and_b32 vcc_lo, exec_lo, s34
	s_cbranch_vccz .LBB126_1932
; %bb.1929:
	s_cmp_eq_u32 s1, 29
	s_cbranch_scc0 .LBB126_1931
; %bb.1930:
	global_load_b64 v[10:11], v[8:9], off
	s_mov_b32 s31, -1
	s_mov_b32 s89, 0
	s_branch .LBB126_1932
.LBB126_1931:
	s_mov_b32 s89, -1
                                        ; implicit-def: $vgpr10_vgpr11
.LBB126_1932:
	s_mov_b32 s34, 0
.LBB126_1933:
	s_delay_alu instid0(SALU_CYCLE_1)
	s_and_b32 vcc_lo, exec_lo, s34
	s_cbranch_vccz .LBB126_1949
; %bb.1934:
	s_cmp_lt_i32 s1, 27
	s_cbranch_scc1 .LBB126_1937
; %bb.1935:
	s_cmp_gt_i32 s1, 27
	s_cbranch_scc0 .LBB126_1938
; %bb.1936:
	s_wait_loadcnt 0x0
	global_load_b32 v10, v[8:9], off
	v_mov_b32_e32 v11, 0
	s_mov_b32 s31, 0
	s_branch .LBB126_1939
.LBB126_1937:
	s_mov_b32 s31, -1
                                        ; implicit-def: $vgpr10_vgpr11
	s_branch .LBB126_1942
.LBB126_1938:
	s_mov_b32 s31, -1
                                        ; implicit-def: $vgpr10_vgpr11
.LBB126_1939:
	s_delay_alu instid0(SALU_CYCLE_1)
	s_and_not1_b32 vcc_lo, exec_lo, s31
	s_cbranch_vccnz .LBB126_1941
; %bb.1940:
	s_wait_loadcnt 0x0
	global_load_u16 v10, v[8:9], off
	s_mov_b32 s31, 0
	s_delay_alu instid0(SALU_CYCLE_1)
	v_mov_b32_e32 v11, s31
	s_wait_loadcnt 0x0
	v_and_b32_e32 v10, 0xffff, v10
.LBB126_1941:
	s_mov_b32 s31, 0
.LBB126_1942:
	s_delay_alu instid0(SALU_CYCLE_1)
	s_and_not1_b32 vcc_lo, exec_lo, s31
	s_cbranch_vccnz .LBB126_1948
; %bb.1943:
	global_load_u8 v12, v[8:9], off
	s_mov_b32 s34, 0
	s_mov_b32 s31, exec_lo
	s_wait_loadcnt 0x0
	v_cmpx_lt_i16_e32 0x7f, v12
	s_xor_b32 s31, exec_lo, s31
	s_cbranch_execz .LBB126_1960
; %bb.1944:
	v_cmp_ne_u16_e32 vcc_lo, 0x80, v12
	s_and_b32 s34, vcc_lo, exec_lo
	s_and_not1_saveexec_b32 s31, s31
	s_cbranch_execnz .LBB126_1961
.LBB126_1945:
	s_or_b32 exec_lo, exec_lo, s31
	v_mov_b64_e32 v[10:11], 0
	s_and_saveexec_b32 s31, s34
	s_cbranch_execz .LBB126_1947
.LBB126_1946:
	v_and_b32_e32 v10, 0xffff, v12
	s_delay_alu instid0(VALU_DEP_1) | instskip(SKIP_1) | instid1(VALU_DEP_2)
	v_and_b32_e32 v11, 7, v10
	v_bfe_u32 v15, v10, 3, 4
	v_clz_i32_u32_e32 v13, v11
	s_delay_alu instid0(VALU_DEP_2) | instskip(NEXT) | instid1(VALU_DEP_2)
	v_cmp_eq_u32_e32 vcc_lo, 0, v15
	v_min_u32_e32 v13, 32, v13
	s_delay_alu instid0(VALU_DEP_1) | instskip(NEXT) | instid1(VALU_DEP_1)
	v_subrev_nc_u32_e32 v14, 28, v13
	v_dual_lshlrev_b32 v10, v14, v10 :: v_dual_sub_nc_u32 v13, 29, v13
	s_delay_alu instid0(VALU_DEP_1) | instskip(NEXT) | instid1(VALU_DEP_2)
	v_dual_lshlrev_b32 v12, 24, v12 :: v_dual_bitop2_b32 v10, 7, v10 bitop3:0x40
	v_cndmask_b32_e32 v13, v15, v13, vcc_lo
	s_delay_alu instid0(VALU_DEP_2) | instskip(NEXT) | instid1(VALU_DEP_3)
	v_cndmask_b32_e32 v10, v11, v10, vcc_lo
	v_and_b32_e32 v11, 0x80000000, v12
	s_delay_alu instid0(VALU_DEP_3) | instskip(NEXT) | instid1(VALU_DEP_3)
	v_lshl_add_u32 v12, v13, 23, 0x3b800000
	v_lshlrev_b32_e32 v10, 20, v10
	s_delay_alu instid0(VALU_DEP_1) | instskip(NEXT) | instid1(VALU_DEP_1)
	v_or3_b32 v10, v11, v12, v10
	v_trunc_f32_e32 v10, v10
	s_delay_alu instid0(VALU_DEP_1) | instskip(NEXT) | instid1(VALU_DEP_1)
	v_mul_f32_e64 v11, 0x2f800000, |v10|
	v_floor_f32_e32 v11, v11
	s_delay_alu instid0(VALU_DEP_1) | instskip(SKIP_2) | instid1(VALU_DEP_3)
	v_fma_f32 v12, 0xcf800000, v11, |v10|
	v_ashrrev_i32_e32 v10, 31, v10
	v_cvt_u32_f32_e32 v13, v11
	v_cvt_u32_f32_e32 v12, v12
	s_delay_alu instid0(VALU_DEP_2) | instskip(NEXT) | instid1(VALU_DEP_2)
	v_dual_mov_b32 v11, v10 :: v_dual_bitop2_b32 v13, v13, v10 bitop3:0x14
	v_xor_b32_e32 v12, v12, v10
	s_delay_alu instid0(VALU_DEP_1)
	v_sub_nc_u64_e32 v[10:11], v[12:13], v[10:11]
.LBB126_1947:
	s_or_b32 exec_lo, exec_lo, s31
.LBB126_1948:
	s_mov_b32 s31, -1
.LBB126_1949:
	s_mov_b32 s34, 0
.LBB126_1950:
	s_delay_alu instid0(SALU_CYCLE_1)
	s_and_b32 vcc_lo, exec_lo, s34
	s_cbranch_vccz .LBB126_1983
; %bb.1951:
	s_cmp_gt_i32 s1, 22
	s_cbranch_scc0 .LBB126_1959
; %bb.1952:
	s_cmp_lt_i32 s1, 24
	s_cbranch_scc1 .LBB126_1962
; %bb.1953:
	s_cmp_gt_i32 s1, 24
	s_cbranch_scc0 .LBB126_1963
; %bb.1954:
	global_load_u8 v12, v[8:9], off
	s_mov_b32 s34, 0
	s_mov_b32 s31, exec_lo
	s_wait_loadcnt 0x0
	v_cmpx_lt_i16_e32 0x7f, v12
	s_xor_b32 s31, exec_lo, s31
	s_cbranch_execz .LBB126_1975
; %bb.1955:
	v_cmp_ne_u16_e32 vcc_lo, 0x80, v12
	s_and_b32 s34, vcc_lo, exec_lo
	s_and_not1_saveexec_b32 s31, s31
	s_cbranch_execnz .LBB126_1976
.LBB126_1956:
	s_or_b32 exec_lo, exec_lo, s31
	v_mov_b64_e32 v[10:11], 0
	s_and_saveexec_b32 s31, s34
	s_cbranch_execz .LBB126_1958
.LBB126_1957:
	v_and_b32_e32 v10, 0xffff, v12
	s_delay_alu instid0(VALU_DEP_1) | instskip(SKIP_1) | instid1(VALU_DEP_2)
	v_and_b32_e32 v11, 3, v10
	v_bfe_u32 v15, v10, 2, 5
	v_clz_i32_u32_e32 v13, v11
	s_delay_alu instid0(VALU_DEP_2) | instskip(NEXT) | instid1(VALU_DEP_2)
	v_cmp_eq_u32_e32 vcc_lo, 0, v15
	v_min_u32_e32 v13, 32, v13
	s_delay_alu instid0(VALU_DEP_1) | instskip(NEXT) | instid1(VALU_DEP_1)
	v_subrev_nc_u32_e32 v14, 29, v13
	v_dual_lshlrev_b32 v10, v14, v10 :: v_dual_sub_nc_u32 v13, 30, v13
	s_delay_alu instid0(VALU_DEP_1) | instskip(NEXT) | instid1(VALU_DEP_2)
	v_dual_lshlrev_b32 v12, 24, v12 :: v_dual_bitop2_b32 v10, 3, v10 bitop3:0x40
	v_cndmask_b32_e32 v13, v15, v13, vcc_lo
	s_delay_alu instid0(VALU_DEP_2) | instskip(NEXT) | instid1(VALU_DEP_3)
	v_cndmask_b32_e32 v10, v11, v10, vcc_lo
	v_and_b32_e32 v11, 0x80000000, v12
	s_delay_alu instid0(VALU_DEP_3) | instskip(NEXT) | instid1(VALU_DEP_3)
	v_lshl_add_u32 v12, v13, 23, 0x37800000
	v_lshlrev_b32_e32 v10, 21, v10
	s_delay_alu instid0(VALU_DEP_1) | instskip(NEXT) | instid1(VALU_DEP_1)
	v_or3_b32 v10, v11, v12, v10
	v_trunc_f32_e32 v10, v10
	s_delay_alu instid0(VALU_DEP_1) | instskip(NEXT) | instid1(VALU_DEP_1)
	v_mul_f32_e64 v11, 0x2f800000, |v10|
	v_floor_f32_e32 v11, v11
	s_delay_alu instid0(VALU_DEP_1) | instskip(SKIP_2) | instid1(VALU_DEP_3)
	v_fma_f32 v12, 0xcf800000, v11, |v10|
	v_ashrrev_i32_e32 v10, 31, v10
	v_cvt_u32_f32_e32 v13, v11
	v_cvt_u32_f32_e32 v12, v12
	s_delay_alu instid0(VALU_DEP_2) | instskip(NEXT) | instid1(VALU_DEP_2)
	v_dual_mov_b32 v11, v10 :: v_dual_bitop2_b32 v13, v13, v10 bitop3:0x14
	v_xor_b32_e32 v12, v12, v10
	s_delay_alu instid0(VALU_DEP_1)
	v_sub_nc_u64_e32 v[10:11], v[12:13], v[10:11]
.LBB126_1958:
	s_or_b32 exec_lo, exec_lo, s31
	s_mov_b32 s31, 0
	s_branch .LBB126_1964
.LBB126_1959:
	s_mov_b32 s34, -1
                                        ; implicit-def: $vgpr10_vgpr11
	s_branch .LBB126_1970
.LBB126_1960:
	s_and_not1_saveexec_b32 s31, s31
	s_cbranch_execz .LBB126_1945
.LBB126_1961:
	v_cmp_ne_u16_e32 vcc_lo, 0, v12
	s_and_not1_b32 s34, s34, exec_lo
	s_and_b32 s35, vcc_lo, exec_lo
	s_delay_alu instid0(SALU_CYCLE_1)
	s_or_b32 s34, s34, s35
	s_or_b32 exec_lo, exec_lo, s31
	v_mov_b64_e32 v[10:11], 0
	s_and_saveexec_b32 s31, s34
	s_cbranch_execnz .LBB126_1946
	s_branch .LBB126_1947
.LBB126_1962:
	s_mov_b32 s31, -1
                                        ; implicit-def: $vgpr10_vgpr11
	s_branch .LBB126_1967
.LBB126_1963:
	s_mov_b32 s31, -1
                                        ; implicit-def: $vgpr10_vgpr11
.LBB126_1964:
	s_delay_alu instid0(SALU_CYCLE_1)
	s_and_b32 vcc_lo, exec_lo, s31
	s_cbranch_vccz .LBB126_1966
; %bb.1965:
	s_wait_loadcnt 0x0
	global_load_u8 v10, v[8:9], off
	s_wait_loadcnt 0x0
	v_lshlrev_b32_e32 v10, 24, v10
	s_delay_alu instid0(VALU_DEP_1) | instskip(NEXT) | instid1(VALU_DEP_1)
	v_and_b32_e32 v11, 0x7f000000, v10
	v_clz_i32_u32_e32 v12, v11
	v_cmp_ne_u32_e32 vcc_lo, 0, v11
	v_add_nc_u32_e32 v14, 0x1000000, v11
	s_delay_alu instid0(VALU_DEP_3) | instskip(NEXT) | instid1(VALU_DEP_1)
	v_min_u32_e32 v12, 32, v12
	v_sub_nc_u32_e64 v12, v12, 4 clamp
	s_delay_alu instid0(VALU_DEP_1) | instskip(NEXT) | instid1(VALU_DEP_1)
	v_dual_lshlrev_b32 v13, v12, v11 :: v_dual_lshlrev_b32 v12, 23, v12
	v_lshrrev_b32_e32 v13, 4, v13
	s_delay_alu instid0(VALU_DEP_1) | instskip(NEXT) | instid1(VALU_DEP_1)
	v_dual_sub_nc_u32 v12, v13, v12 :: v_dual_ashrrev_i32 v13, 8, v14
	v_add_nc_u32_e32 v12, 0x3c000000, v12
	s_delay_alu instid0(VALU_DEP_1) | instskip(NEXT) | instid1(VALU_DEP_1)
	v_and_or_b32 v12, 0x7f800000, v13, v12
	v_cndmask_b32_e32 v11, 0, v12, vcc_lo
	s_delay_alu instid0(VALU_DEP_1) | instskip(NEXT) | instid1(VALU_DEP_1)
	v_and_or_b32 v10, 0x80000000, v10, v11
	v_trunc_f32_e32 v10, v10
	s_delay_alu instid0(VALU_DEP_1) | instskip(NEXT) | instid1(VALU_DEP_1)
	v_mul_f32_e64 v11, 0x2f800000, |v10|
	v_floor_f32_e32 v11, v11
	s_delay_alu instid0(VALU_DEP_1) | instskip(SKIP_2) | instid1(VALU_DEP_3)
	v_fma_f32 v12, 0xcf800000, v11, |v10|
	v_ashrrev_i32_e32 v10, 31, v10
	v_cvt_u32_f32_e32 v13, v11
	v_cvt_u32_f32_e32 v12, v12
	s_delay_alu instid0(VALU_DEP_2) | instskip(NEXT) | instid1(VALU_DEP_2)
	v_dual_mov_b32 v11, v10 :: v_dual_bitop2_b32 v13, v13, v10 bitop3:0x14
	v_xor_b32_e32 v12, v12, v10
	s_delay_alu instid0(VALU_DEP_1)
	v_sub_nc_u64_e32 v[10:11], v[12:13], v[10:11]
.LBB126_1966:
	s_mov_b32 s31, 0
.LBB126_1967:
	s_delay_alu instid0(SALU_CYCLE_1)
	s_and_not1_b32 vcc_lo, exec_lo, s31
	s_cbranch_vccnz .LBB126_1969
; %bb.1968:
	s_wait_loadcnt 0x0
	global_load_u8 v10, v[8:9], off
	s_wait_loadcnt 0x0
	v_lshlrev_b32_e32 v11, 25, v10
	v_lshlrev_b16 v10, 8, v10
	s_delay_alu instid0(VALU_DEP_1) | instskip(SKIP_1) | instid1(VALU_DEP_2)
	v_and_or_b32 v13, 0x7f00, v10, 0.5
	v_bfe_i32 v10, v10, 0, 16
	v_dual_add_f32 v13, -0.5, v13 :: v_dual_lshrrev_b32 v12, 4, v11
	v_cmp_gt_u32_e32 vcc_lo, 0x8000000, v11
	s_delay_alu instid0(VALU_DEP_2) | instskip(NEXT) | instid1(VALU_DEP_1)
	v_or_b32_e32 v12, 0x70000000, v12
	v_mul_f32_e32 v12, 0x7800000, v12
	s_delay_alu instid0(VALU_DEP_1) | instskip(NEXT) | instid1(VALU_DEP_1)
	v_cndmask_b32_e32 v11, v12, v13, vcc_lo
	v_and_or_b32 v10, 0x80000000, v10, v11
	s_delay_alu instid0(VALU_DEP_1) | instskip(NEXT) | instid1(VALU_DEP_1)
	v_trunc_f32_e32 v10, v10
	v_mul_f32_e64 v11, 0x2f800000, |v10|
	s_delay_alu instid0(VALU_DEP_1) | instskip(NEXT) | instid1(VALU_DEP_1)
	v_floor_f32_e32 v11, v11
	v_fma_f32 v12, 0xcf800000, v11, |v10|
	v_ashrrev_i32_e32 v10, 31, v10
	v_cvt_u32_f32_e32 v13, v11
	s_delay_alu instid0(VALU_DEP_3) | instskip(NEXT) | instid1(VALU_DEP_2)
	v_cvt_u32_f32_e32 v12, v12
	v_dual_mov_b32 v11, v10 :: v_dual_bitop2_b32 v13, v13, v10 bitop3:0x14
	s_delay_alu instid0(VALU_DEP_2) | instskip(NEXT) | instid1(VALU_DEP_1)
	v_xor_b32_e32 v12, v12, v10
	v_sub_nc_u64_e32 v[10:11], v[12:13], v[10:11]
.LBB126_1969:
	s_mov_b32 s34, 0
	s_mov_b32 s31, -1
.LBB126_1970:
	s_and_not1_b32 vcc_lo, exec_lo, s34
	s_cbranch_vccnz .LBB126_1983
; %bb.1971:
	s_cmp_gt_i32 s1, 14
	s_cbranch_scc0 .LBB126_1974
; %bb.1972:
	s_cmp_eq_u32 s1, 15
	s_cbranch_scc0 .LBB126_1977
; %bb.1973:
	s_wait_loadcnt 0x0
	global_load_u16 v10, v[8:9], off
	s_mov_b32 s31, -1
	s_mov_b32 s89, 0
	s_wait_loadcnt 0x0
	v_lshlrev_b32_e32 v10, 16, v10
	s_delay_alu instid0(VALU_DEP_1) | instskip(NEXT) | instid1(VALU_DEP_1)
	v_trunc_f32_e32 v10, v10
	v_mul_f32_e64 v11, 0x2f800000, |v10|
	s_delay_alu instid0(VALU_DEP_1) | instskip(NEXT) | instid1(VALU_DEP_1)
	v_floor_f32_e32 v11, v11
	v_fma_f32 v12, 0xcf800000, v11, |v10|
	v_ashrrev_i32_e32 v10, 31, v10
	v_cvt_u32_f32_e32 v13, v11
	s_delay_alu instid0(VALU_DEP_3) | instskip(NEXT) | instid1(VALU_DEP_2)
	v_cvt_u32_f32_e32 v12, v12
	v_dual_mov_b32 v11, v10 :: v_dual_bitop2_b32 v13, v13, v10 bitop3:0x14
	s_delay_alu instid0(VALU_DEP_2) | instskip(NEXT) | instid1(VALU_DEP_1)
	v_xor_b32_e32 v12, v12, v10
	v_sub_nc_u64_e32 v[10:11], v[12:13], v[10:11]
	s_branch .LBB126_1978
.LBB126_1974:
	s_mov_b32 s34, -1
                                        ; implicit-def: $vgpr10_vgpr11
	s_branch .LBB126_1979
.LBB126_1975:
	s_and_not1_saveexec_b32 s31, s31
	s_cbranch_execz .LBB126_1956
.LBB126_1976:
	v_cmp_ne_u16_e32 vcc_lo, 0, v12
	s_and_not1_b32 s34, s34, exec_lo
	s_and_b32 s35, vcc_lo, exec_lo
	s_delay_alu instid0(SALU_CYCLE_1)
	s_or_b32 s34, s34, s35
	s_or_b32 exec_lo, exec_lo, s31
	v_mov_b64_e32 v[10:11], 0
	s_and_saveexec_b32 s31, s34
	s_cbranch_execnz .LBB126_1957
	s_branch .LBB126_1958
.LBB126_1977:
	s_mov_b32 s89, -1
                                        ; implicit-def: $vgpr10_vgpr11
.LBB126_1978:
	s_mov_b32 s34, 0
.LBB126_1979:
	s_delay_alu instid0(SALU_CYCLE_1)
	s_and_b32 vcc_lo, exec_lo, s34
	s_cbranch_vccz .LBB126_1983
; %bb.1980:
	s_cmp_eq_u32 s1, 11
	s_cbranch_scc0 .LBB126_1982
; %bb.1981:
	s_wait_loadcnt 0x0
	global_load_u8 v10, v[8:9], off
	s_mov_b32 s89, 0
	s_mov_b32 s31, -1
	v_mov_b32_e32 v11, s89
	s_wait_loadcnt 0x0
	v_cmp_ne_u16_e32 vcc_lo, 0, v10
	v_cndmask_b32_e64 v10, 0, 1, vcc_lo
	s_branch .LBB126_1983
.LBB126_1982:
	s_mov_b32 s89, -1
                                        ; implicit-def: $vgpr10_vgpr11
.LBB126_1983:
	s_mov_b32 s1, 0
.LBB126_1984:
	s_delay_alu instid0(SALU_CYCLE_1)
	s_and_b32 vcc_lo, exec_lo, s1
	s_cbranch_vccz .LBB126_2033
; %bb.1985:
	s_and_b32 s0, 0xffff, s0
	s_delay_alu instid0(SALU_CYCLE_1)
	s_cmp_lt_i32 s0, 5
	s_cbranch_scc1 .LBB126_1990
; %bb.1986:
	s_cmp_lt_i32 s0, 8
	s_cbranch_scc1 .LBB126_1991
; %bb.1987:
	;; [unrolled: 3-line block ×3, first 2 shown]
	s_cmp_gt_i32 s0, 9
	s_cbranch_scc0 .LBB126_1993
; %bb.1989:
	s_wait_loadcnt 0x0
	global_load_b64 v[10:11], v[8:9], off
	s_mov_b32 s1, 0
	s_wait_loadcnt 0x0
	v_trunc_f64_e32 v[10:11], v[10:11]
	s_delay_alu instid0(VALU_DEP_1) | instskip(NEXT) | instid1(VALU_DEP_1)
	v_ldexp_f64 v[12:13], v[10:11], 0xffffffe0
	v_floor_f64_e32 v[12:13], v[12:13]
	s_delay_alu instid0(VALU_DEP_1) | instskip(SKIP_1) | instid1(VALU_DEP_2)
	v_fmamk_f64 v[14:15], v[12:13], 0xc1f00000, v[10:11]
	v_cvt_i32_f64_e32 v11, v[12:13]
	v_cvt_u32_f64_e32 v10, v[14:15]
	s_branch .LBB126_1994
.LBB126_1990:
	s_mov_b32 s1, -1
                                        ; implicit-def: $vgpr10_vgpr11
	s_branch .LBB126_2012
.LBB126_1991:
	s_mov_b32 s1, -1
                                        ; implicit-def: $vgpr10_vgpr11
	s_branch .LBB126_2000
.LBB126_1992:
	s_mov_b32 s1, -1
                                        ; implicit-def: $vgpr10_vgpr11
	s_branch .LBB126_1997
.LBB126_1993:
	s_mov_b32 s1, -1
                                        ; implicit-def: $vgpr10_vgpr11
.LBB126_1994:
	s_delay_alu instid0(SALU_CYCLE_1)
	s_and_not1_b32 vcc_lo, exec_lo, s1
	s_cbranch_vccnz .LBB126_1996
; %bb.1995:
	s_wait_loadcnt 0x0
	global_load_b32 v10, v[8:9], off
	s_wait_loadcnt 0x0
	v_trunc_f32_e32 v10, v10
	s_delay_alu instid0(VALU_DEP_1) | instskip(NEXT) | instid1(VALU_DEP_1)
	v_mul_f32_e64 v11, 0x2f800000, |v10|
	v_floor_f32_e32 v11, v11
	s_delay_alu instid0(VALU_DEP_1) | instskip(SKIP_2) | instid1(VALU_DEP_3)
	v_fma_f32 v12, 0xcf800000, v11, |v10|
	v_ashrrev_i32_e32 v10, 31, v10
	v_cvt_u32_f32_e32 v13, v11
	v_cvt_u32_f32_e32 v12, v12
	s_delay_alu instid0(VALU_DEP_2) | instskip(NEXT) | instid1(VALU_DEP_2)
	v_dual_mov_b32 v11, v10 :: v_dual_bitop2_b32 v13, v13, v10 bitop3:0x14
	v_xor_b32_e32 v12, v12, v10
	s_delay_alu instid0(VALU_DEP_1)
	v_sub_nc_u64_e32 v[10:11], v[12:13], v[10:11]
.LBB126_1996:
	s_mov_b32 s1, 0
.LBB126_1997:
	s_delay_alu instid0(SALU_CYCLE_1)
	s_and_not1_b32 vcc_lo, exec_lo, s1
	s_cbranch_vccnz .LBB126_1999
; %bb.1998:
	s_wait_loadcnt 0x0
	global_load_b32 v10, v[8:9], off
	s_wait_loadcnt 0x0
	v_cvt_f32_f16_e32 v10, v10
	s_delay_alu instid0(VALU_DEP_1) | instskip(NEXT) | instid1(VALU_DEP_1)
	v_cvt_i32_f32_e32 v10, v10
	v_ashrrev_i32_e32 v11, 31, v10
.LBB126_1999:
	s_mov_b32 s1, 0
.LBB126_2000:
	s_delay_alu instid0(SALU_CYCLE_1)
	s_and_not1_b32 vcc_lo, exec_lo, s1
	s_cbranch_vccnz .LBB126_2011
; %bb.2001:
	s_cmp_lt_i32 s0, 6
	s_cbranch_scc1 .LBB126_2004
; %bb.2002:
	s_cmp_gt_i32 s0, 6
	s_cbranch_scc0 .LBB126_2005
; %bb.2003:
	s_wait_loadcnt 0x0
	global_load_b64 v[10:11], v[8:9], off
	s_mov_b32 s1, 0
	s_wait_loadcnt 0x0
	v_trunc_f64_e32 v[10:11], v[10:11]
	s_delay_alu instid0(VALU_DEP_1) | instskip(NEXT) | instid1(VALU_DEP_1)
	v_ldexp_f64 v[12:13], v[10:11], 0xffffffe0
	v_floor_f64_e32 v[12:13], v[12:13]
	s_delay_alu instid0(VALU_DEP_1) | instskip(SKIP_1) | instid1(VALU_DEP_2)
	v_fmamk_f64 v[14:15], v[12:13], 0xc1f00000, v[10:11]
	v_cvt_i32_f64_e32 v11, v[12:13]
	v_cvt_u32_f64_e32 v10, v[14:15]
	s_branch .LBB126_2006
.LBB126_2004:
	s_mov_b32 s1, -1
                                        ; implicit-def: $vgpr10_vgpr11
	s_branch .LBB126_2009
.LBB126_2005:
	s_mov_b32 s1, -1
                                        ; implicit-def: $vgpr10_vgpr11
.LBB126_2006:
	s_delay_alu instid0(SALU_CYCLE_1)
	s_and_not1_b32 vcc_lo, exec_lo, s1
	s_cbranch_vccnz .LBB126_2008
; %bb.2007:
	s_wait_loadcnt 0x0
	global_load_b32 v10, v[8:9], off
	s_wait_loadcnt 0x0
	v_trunc_f32_e32 v10, v10
	s_delay_alu instid0(VALU_DEP_1) | instskip(NEXT) | instid1(VALU_DEP_1)
	v_mul_f32_e64 v11, 0x2f800000, |v10|
	v_floor_f32_e32 v11, v11
	s_delay_alu instid0(VALU_DEP_1) | instskip(SKIP_2) | instid1(VALU_DEP_3)
	v_fma_f32 v12, 0xcf800000, v11, |v10|
	v_ashrrev_i32_e32 v10, 31, v10
	v_cvt_u32_f32_e32 v13, v11
	v_cvt_u32_f32_e32 v12, v12
	s_delay_alu instid0(VALU_DEP_2) | instskip(NEXT) | instid1(VALU_DEP_2)
	v_dual_mov_b32 v11, v10 :: v_dual_bitop2_b32 v13, v13, v10 bitop3:0x14
	v_xor_b32_e32 v12, v12, v10
	s_delay_alu instid0(VALU_DEP_1)
	v_sub_nc_u64_e32 v[10:11], v[12:13], v[10:11]
.LBB126_2008:
	s_mov_b32 s1, 0
.LBB126_2009:
	s_delay_alu instid0(SALU_CYCLE_1)
	s_and_not1_b32 vcc_lo, exec_lo, s1
	s_cbranch_vccnz .LBB126_2011
; %bb.2010:
	s_wait_loadcnt 0x0
	global_load_u16 v10, v[8:9], off
	s_wait_loadcnt 0x0
	v_cvt_f32_f16_e32 v10, v10
	s_delay_alu instid0(VALU_DEP_1) | instskip(NEXT) | instid1(VALU_DEP_1)
	v_cvt_i32_f32_e32 v10, v10
	v_ashrrev_i32_e32 v11, 31, v10
.LBB126_2011:
	s_mov_b32 s1, 0
.LBB126_2012:
	s_delay_alu instid0(SALU_CYCLE_1)
	s_and_not1_b32 vcc_lo, exec_lo, s1
	s_cbranch_vccnz .LBB126_2032
; %bb.2013:
	s_cmp_lt_i32 s0, 2
	s_cbranch_scc1 .LBB126_2017
; %bb.2014:
	s_cmp_lt_i32 s0, 3
	s_cbranch_scc1 .LBB126_2018
; %bb.2015:
	s_cmp_gt_i32 s0, 3
	s_cbranch_scc0 .LBB126_2019
; %bb.2016:
	s_wait_loadcnt 0x0
	global_load_b64 v[10:11], v[8:9], off
	s_mov_b32 s1, 0
	s_branch .LBB126_2020
.LBB126_2017:
	s_mov_b32 s1, -1
                                        ; implicit-def: $vgpr10_vgpr11
	s_branch .LBB126_2026
.LBB126_2018:
	s_mov_b32 s1, -1
                                        ; implicit-def: $vgpr10_vgpr11
	s_branch .LBB126_2023
.LBB126_2019:
	s_mov_b32 s1, -1
                                        ; implicit-def: $vgpr10_vgpr11
.LBB126_2020:
	s_delay_alu instid0(SALU_CYCLE_1)
	s_and_not1_b32 vcc_lo, exec_lo, s1
	s_cbranch_vccnz .LBB126_2022
; %bb.2021:
	s_wait_loadcnt 0x0
	global_load_b32 v10, v[8:9], off
	s_wait_loadcnt 0x0
	v_ashrrev_i32_e32 v11, 31, v10
.LBB126_2022:
	s_mov_b32 s1, 0
.LBB126_2023:
	s_delay_alu instid0(SALU_CYCLE_1)
	s_and_not1_b32 vcc_lo, exec_lo, s1
	s_cbranch_vccnz .LBB126_2025
; %bb.2024:
	s_wait_loadcnt 0x0
	global_load_u16 v10, v[8:9], off
	s_wait_loadcnt 0x0
	v_bfe_i32 v10, v10, 0, 16
	s_delay_alu instid0(VALU_DEP_1)
	v_ashrrev_i32_e32 v11, 31, v10
.LBB126_2025:
	s_mov_b32 s1, 0
.LBB126_2026:
	s_delay_alu instid0(SALU_CYCLE_1)
	s_and_not1_b32 vcc_lo, exec_lo, s1
	s_cbranch_vccnz .LBB126_2032
; %bb.2027:
	s_cmp_gt_i32 s0, 0
	s_mov_b32 s0, 0
	s_cbranch_scc0 .LBB126_2029
; %bb.2028:
	s_wait_loadcnt 0x0
	global_load_i8 v10, v[8:9], off
	s_wait_loadcnt 0x0
	v_bfe_i32 v10, v10, 0, 16
	s_delay_alu instid0(VALU_DEP_1)
	v_ashrrev_i32_e32 v11, 31, v10
	s_branch .LBB126_2030
.LBB126_2029:
	s_mov_b32 s0, -1
                                        ; implicit-def: $vgpr10_vgpr11
.LBB126_2030:
	s_delay_alu instid0(SALU_CYCLE_1)
	s_and_not1_b32 vcc_lo, exec_lo, s0
	s_cbranch_vccnz .LBB126_2032
; %bb.2031:
	global_load_u8 v8, v[8:9], off
	s_mov_b32 s0, 0
	s_wait_loadcnt 0x1
	v_mov_b32_e32 v11, s0
	s_wait_loadcnt 0x0
	v_and_b32_e32 v10, 0xffff, v8
.LBB126_2032:
	s_mov_b32 s31, -1
.LBB126_2033:
	s_delay_alu instid0(SALU_CYCLE_1)
	s_and_not1_b32 vcc_lo, exec_lo, s31
	s_cbranch_vccnz .LBB126_2044
; %bb.2034:
	s_wait_loadcnt 0x0
	v_cmp_eq_u64_e32 vcc_lo, s[36:37], v[0:1]
	s_mov_b32 s0, 0
	s_mov_b32 s35, -1
	s_mov_b32 s44, s78
	s_mov_b32 s34, s82
	;; [unrolled: 1-line block ×4, first 2 shown]
	s_and_b32 s45, s60, vcc_lo
	s_wait_xcnt 0x0
	s_and_saveexec_b32 s90, s45
	s_cbranch_execz .LBB126_4195
; %bb.2035:
	v_cmp_eq_u64_e32 vcc_lo, s[40:41], v[2:3]
	s_mov_b32 s34, -1
	s_mov_b32 s35, s82
	s_mov_b32 s31, s81
	;; [unrolled: 1-line block ×3, first 2 shown]
	s_and_b32 s1, s59, vcc_lo
	s_delay_alu instid0(SALU_CYCLE_1)
	s_and_saveexec_b32 s91, s1
	s_cbranch_execz .LBB126_3681
; %bb.2036:
	v_sub_nc_u64_e32 v[0:1], v[6:7], v[4:5]
	s_mov_b32 s1, 0
	s_mov_b32 s31, -1
	s_mov_b32 s35, s80
	s_delay_alu instid0(VALU_DEP_1) | instskip(SKIP_4) | instid1(SALU_CYCLE_1)
	v_cmp_le_i64_e32 vcc_lo, s[36:37], v[0:1]
	v_cmp_ge_i64_e64 s0, s[38:39], v[0:1]
	s_and_b32 s34, vcc_lo, s0
	s_mov_b32 s0, s81
	s_and_b32 s34, s58, s34
	s_and_saveexec_b32 s92, s34
	s_cbranch_execz .LBB126_3680
; %bb.2037:
	v_cmp_lt_i64_e64 s0, s[40:41], 1
	v_mov_b64_e32 v[0:1], 0
	s_xor_b32 s1, s57, -1
	s_delay_alu instid0(SALU_CYCLE_1) | instskip(NEXT) | instid1(SALU_CYCLE_1)
	s_or_b32 s0, s1, s0
	s_and_b32 vcc_lo, exec_lo, s0
	s_cbranch_vccnz .LBB126_2060
; %bb.2038:
	v_mul_u64_e32 v[8:9], s[40:41], v[10:11]
	s_mov_b32 s1, 0
	v_mov_b64_e32 v[0:1], 0
	s_mov_b32 s31, s1
	v_mov_b32_e32 v2, 0
	s_lshl_b64 s[46:47], s[30:31], 3
	s_mov_b64 s[34:35], 0xffffffff
	s_add_nc_u64 s[44:45], s[20:21], s[46:47]
	s_add_nc_u64 s[46:47], s[22:23], s[46:47]
	s_mov_b32 s31, s42
	s_branch .LBB126_2040
.LBB126_2039:                           ;   in Loop: Header=BB126_2040 Depth=1
	s_or_b32 exec_lo, exec_lo, s0
	global_load_b64 v[12:13], v2, s[46:47]
	v_mul_u64_e32 v[14:15], s[48:49], v[10:11]
	s_add_co_i32 s31, s31, -1
	s_add_nc_u64 s[44:45], s[44:45], -8
	s_cmp_lg_u32 s31, 0
	s_wait_xcnt 0x0
	s_add_nc_u64 s[46:47], s[46:47], -8
	s_delay_alu instid0(VALU_DEP_1) | instskip(SKIP_1) | instid1(VALU_DEP_1)
	v_sub_nc_u64_e32 v[8:9], v[8:9], v[14:15]
	s_wait_loadcnt 0x0
	v_mad_nc_u64_u32 v[0:1], v8, v12, v[0:1]
	s_delay_alu instid0(VALU_DEP_1) | instskip(NEXT) | instid1(VALU_DEP_1)
	v_mad_u32 v1, v9, v12, v1
	v_mad_u32 v1, v8, v13, v1
	v_mov_b64_e32 v[8:9], v[10:11]
	s_cbranch_scc0 .LBB126_2060
.LBB126_2040:                           ; =>This Inner Loop Header: Depth=1
	global_load_b64 v[10:11], v2, s[44:45]
	s_mov_b32 s0, exec_lo
	s_wait_loadcnt 0x0
	v_or_b32_e32 v3, v9, v11
	v_readfirstlane_b32 s48, v10
	v_readfirstlane_b32 s49, v11
                                        ; implicit-def: $vgpr10_vgpr11
	s_wait_xcnt 0x0
	s_delay_alu instid0(VALU_DEP_3)
	v_cmpx_ne_u64_e32 0, v[2:3]
	s_xor_b32 s93, exec_lo, s0
	s_cbranch_execz .LBB126_2042
; %bb.2041:                             ;   in Loop: Header=BB126_2040 Depth=1
	s_ashr_i32 s50, s49, 31
	v_dual_mov_b32 v15, v2 :: v_dual_ashrrev_i32 v10, 31, v9
	s_mov_b32 s51, s50
	v_mov_b32_e32 v25, v2
	s_add_nc_u64 s[52:53], s[48:49], s[50:51]
	s_delay_alu instid0(VALU_DEP_2) | instskip(SKIP_1) | instid1(SALU_CYCLE_1)
	v_mov_b32_e32 v11, v10
	s_xor_b64 s[52:53], s[52:53], s[50:51]
	s_cvt_f32_u32 s0, s52
	s_cvt_f32_u32 s51, s53
	s_sub_nc_u64 s[96:97], 0, s[52:53]
	v_add_nc_u64_e32 v[12:13], v[8:9], v[10:11]
	v_mov_b32_e32 v19, v2
	s_fmamk_f32 s0, s51, 0x4f800000, s0
	s_delay_alu instid0(SALU_CYCLE_3) | instskip(NEXT) | instid1(VALU_DEP_2)
	v_s_rcp_f32 s0, s0
	v_xor_b32_e32 v14, v12, v10
	s_delay_alu instid0(VALU_DEP_3) | instskip(NEXT) | instid1(TRANS32_DEP_1)
	v_xor_b32_e32 v18, v13, v10
	s_mul_f32 s0, s0, 0x5f7ffffc
	s_delay_alu instid0(SALU_CYCLE_3) | instskip(NEXT) | instid1(SALU_CYCLE_3)
	s_mul_f32 s51, s0, 0x2f800000
	s_trunc_f32 s51, s51
	s_delay_alu instid0(SALU_CYCLE_3) | instskip(SKIP_1) | instid1(SALU_CYCLE_2)
	s_fmamk_f32 s0, s51, 0xcf800000, s0
	s_cvt_u32_f32 s95, s51
	s_cvt_u32_f32 s94, s0
	s_delay_alu instid0(SALU_CYCLE_3) | instskip(NEXT) | instid1(SALU_CYCLE_1)
	s_mul_u64 s[98:99], s[96:97], s[94:95]
	s_mul_hi_u32 s101, s94, s99
	s_mul_i32 s100, s94, s99
	s_mul_hi_u32 s0, s94, s98
	s_mul_i32 s104, s95, s98
	s_add_nc_u64 s[100:101], s[0:1], s[100:101]
	s_mul_hi_u32 s51, s95, s98
	s_mul_hi_u32 vcc_lo, s95, s99
	s_add_co_u32 s0, s100, s104
	s_add_co_ci_u32 s0, s101, s51
	s_mul_i32 s98, s95, s99
	s_add_co_ci_u32 s99, vcc_lo, 0
	s_delay_alu instid0(SALU_CYCLE_1) | instskip(NEXT) | instid1(SALU_CYCLE_1)
	s_add_nc_u64 s[98:99], s[0:1], s[98:99]
	s_add_co_u32 s94, s94, s98
	s_cselect_b32 s0, -1, 0
	s_delay_alu instid0(SALU_CYCLE_1) | instskip(SKIP_1) | instid1(SALU_CYCLE_1)
	s_cmp_lg_u32 s0, 0
	s_add_co_ci_u32 s95, s95, s99
	s_mul_u64 s[96:97], s[96:97], s[94:95]
	s_delay_alu instid0(SALU_CYCLE_1)
	s_mul_hi_u32 s99, s94, s97
	s_mul_i32 s98, s94, s97
	s_mul_hi_u32 s0, s94, s96
	s_mul_i32 s100, s95, s96
	s_add_nc_u64 s[98:99], s[0:1], s[98:99]
	s_mul_hi_u32 s51, s95, s96
	s_mul_hi_u32 s101, s95, s97
	s_add_co_u32 s0, s98, s100
	s_add_co_ci_u32 s0, s99, s51
	s_mul_i32 s96, s95, s97
	s_add_co_ci_u32 s97, s101, 0
	s_delay_alu instid0(SALU_CYCLE_1) | instskip(NEXT) | instid1(SALU_CYCLE_1)
	s_add_nc_u64 s[96:97], s[0:1], s[96:97]
	s_add_co_u32 s94, s94, s96
	s_cselect_b32 s0, -1, 0
	v_mul_hi_u32 v24, v14, s94
	s_cmp_lg_u32 s0, 0
	s_add_co_ci_u32 s0, s95, s97
	s_and_b64 s[96:97], s[94:95], s[34:35]
	v_mul_u64_e32 v[16:17], s[0:1], v[14:15]
	v_mul_u64_e32 v[12:13], s[96:97], v[18:19]
	;; [unrolled: 1-line block ×3, first 2 shown]
	s_delay_alu instid0(VALU_DEP_3) | instskip(NEXT) | instid1(VALU_DEP_1)
	v_add_nc_u64_e32 v[16:17], v[24:25], v[16:17]
	v_add_co_u32 v3, vcc_lo, v16, v12
	s_delay_alu instid0(VALU_DEP_2) | instskip(NEXT) | instid1(VALU_DEP_4)
	v_add_co_ci_u32_e32 v24, vcc_lo, v17, v13, vcc_lo
	v_add_co_ci_u32_e32 v21, vcc_lo, 0, v21, vcc_lo
	s_delay_alu instid0(VALU_DEP_1) | instskip(NEXT) | instid1(VALU_DEP_1)
	v_add_nc_u64_e32 v[12:13], v[24:25], v[20:21]
	v_mul_u64_e32 v[16:17], s[52:53], v[12:13]
	s_delay_alu instid0(VALU_DEP_1) | instskip(NEXT) | instid1(VALU_DEP_2)
	v_sub_nc_u32_e32 v3, v18, v17
	v_sub_co_u32 v11, vcc_lo, v14, v16
	s_delay_alu instid0(VALU_DEP_1) | instskip(NEXT) | instid1(VALU_DEP_3)
	v_sub_co_ci_u32_e64 v18, null, v18, v17, vcc_lo
	v_subrev_co_ci_u32_e64 v3, null, s53, v3, vcc_lo
	s_delay_alu instid0(VALU_DEP_3) | instskip(SKIP_1) | instid1(VALU_DEP_3)
	v_sub_co_u32 v14, s0, v11, s52
	v_add_nc_u64_e32 v[16:17], 1, v[12:13]
	v_subrev_co_ci_u32_e64 v3, null, 0, v3, s0
	s_delay_alu instid0(VALU_DEP_3) | instskip(SKIP_1) | instid1(VALU_DEP_3)
	v_cmp_le_u32_e32 vcc_lo, s52, v14
	v_cndmask_b32_e64 v14, 0, -1, vcc_lo
	v_cmp_le_u32_e32 vcc_lo, s53, v3
	v_cndmask_b32_e64 v15, 0, -1, vcc_lo
	;; [unrolled: 2-line block ×4, first 2 shown]
	v_cmp_eq_u32_e32 vcc_lo, s53, v3
	v_cndmask_b32_e32 v3, v15, v14, vcc_lo
	v_cmp_eq_u32_e32 vcc_lo, s53, v18
	v_add_nc_u64_e32 v[14:15], 2, v[12:13]
	v_cndmask_b32_e32 v11, v19, v11, vcc_lo
	s_delay_alu instid0(VALU_DEP_4) | instskip(NEXT) | instid1(VALU_DEP_2)
	v_cmp_ne_u32_e32 vcc_lo, 0, v3
	v_cmp_ne_u32_e64 s0, 0, v11
	s_delay_alu instid0(VALU_DEP_4) | instskip(NEXT) | instid1(VALU_DEP_1)
	v_dual_cndmask_b32 v3, v17, v15, vcc_lo :: v_dual_cndmask_b32 v11, v16, v14, vcc_lo
	v_dual_cndmask_b32 v3, v13, v3, s0 :: v_dual_bitop2_b32 v10, s50, v10 bitop3:0x14
	s_delay_alu instid0(VALU_DEP_1) | instskip(NEXT) | instid1(VALU_DEP_2)
	v_dual_cndmask_b32 v12, v12, v11, s0 :: v_dual_mov_b32 v11, v10
	v_xor_b32_e32 v13, v3, v10
	s_delay_alu instid0(VALU_DEP_2) | instskip(NEXT) | instid1(VALU_DEP_1)
	v_xor_b32_e32 v12, v12, v10
	v_sub_nc_u64_e32 v[10:11], v[12:13], v[10:11]
.LBB126_2042:                           ;   in Loop: Header=BB126_2040 Depth=1
	s_and_not1_saveexec_b32 s0, s93
	s_cbranch_execz .LBB126_2039
; %bb.2043:                             ;   in Loop: Header=BB126_2040 Depth=1
	v_cvt_f32_u32_e32 v3, s48
	s_sub_co_i32 s50, 0, s48
	s_delay_alu instid0(VALU_DEP_1) | instskip(SKIP_1) | instid1(TRANS32_DEP_1)
	v_rcp_iflag_f32_e32 v3, v3
	v_nop
	v_mul_f32_e32 v3, 0x4f7ffffe, v3
	s_delay_alu instid0(VALU_DEP_1) | instskip(NEXT) | instid1(VALU_DEP_1)
	v_cvt_u32_f32_e32 v3, v3
	v_mul_lo_u32 v10, s50, v3
	s_delay_alu instid0(VALU_DEP_1) | instskip(NEXT) | instid1(VALU_DEP_1)
	v_mul_hi_u32 v10, v3, v10
	v_add_nc_u32_e32 v3, v3, v10
	s_delay_alu instid0(VALU_DEP_1) | instskip(NEXT) | instid1(VALU_DEP_1)
	v_mul_hi_u32 v3, v8, v3
	v_mul_lo_u32 v10, v3, s48
	s_delay_alu instid0(VALU_DEP_1) | instskip(NEXT) | instid1(VALU_DEP_1)
	v_dual_add_nc_u32 v11, 1, v3 :: v_dual_sub_nc_u32 v10, v8, v10
	v_subrev_nc_u32_e32 v12, s48, v10
	v_cmp_le_u32_e32 vcc_lo, s48, v10
	s_delay_alu instid0(VALU_DEP_2) | instskip(NEXT) | instid1(VALU_DEP_1)
	v_dual_cndmask_b32 v10, v10, v12 :: v_dual_cndmask_b32 v3, v3, v11
	v_cmp_le_u32_e32 vcc_lo, s48, v10
	s_delay_alu instid0(VALU_DEP_2) | instskip(NEXT) | instid1(VALU_DEP_1)
	v_add_nc_u32_e32 v11, 1, v3
	v_dual_cndmask_b32 v10, v3, v11 :: v_dual_mov_b32 v11, v2
	s_branch .LBB126_2039
.LBB126_2044:
	s_mov_b32 s0, 0
	s_mov_b32 s1, s80
	;; [unrolled: 1-line block ×6, first 2 shown]
.LBB126_2045:
                                        ; implicit-def: $vgpr22
.LBB126_2046:
	s_and_not1_b32 s45, s80, exec_lo
	s_and_b32 s1, s1, exec_lo
	s_and_not1_b32 s46, s81, exec_lo
	s_and_b32 s31, s31, exec_lo
	s_or_b32 s49, s45, s1
	s_or_b32 s46, s46, s31
	s_and_not1_b32 s1, s82, exec_lo
	s_and_b32 s31, s34, exec_lo
	s_and_not1_b32 s34, s78, exec_lo
	s_and_b32 s44, s44, exec_lo
	s_or_b32 s48, s1, s31
	s_or_b32 s44, s34, s44
	;; [unrolled: 6-line block ×5, first 2 shown]
	s_or_not1_b32 s85, s0, exec_lo
.LBB126_2047:
	s_wait_xcnt 0x0
	s_or_b32 exec_lo, exec_lo, s84
	s_mov_b32 s51, 0
	s_mov_b32 s52, 0
	;; [unrolled: 1-line block ×3, first 2 shown]
                                        ; implicit-def: $sgpr0
                                        ; implicit-def: $vgpr2_vgpr3
                                        ; implicit-def: $vgpr0_vgpr1
	s_and_saveexec_b32 s50, s85
	s_cbranch_execz .LBB126_2138
; %bb.2048:
	v_cmp_gt_i32_e32 vcc_lo, s62, v22
	s_mov_b32 s62, 0
	s_mov_b32 s84, s1
	;; [unrolled: 1-line block ×3, first 2 shown]
                                        ; implicit-def: $sgpr0
                                        ; implicit-def: $vgpr2_vgpr3
                                        ; implicit-def: $vgpr0_vgpr1
	s_and_saveexec_b32 s51, vcc_lo
	s_cbranch_execz .LBB126_2137
; %bb.2049:
	s_wait_loadcnt 0x0
	v_mul_lo_u32 v0, v22, s17
	s_and_b32 s0, s54, 0xff
	s_delay_alu instid0(SALU_CYCLE_1) | instskip(NEXT) | instid1(VALU_DEP_1)
	s_cmp_lt_i32 s0, 11
	v_ashrrev_i32_e32 v1, 31, v0
	s_delay_alu instid0(VALU_DEP_1)
	v_add_nc_u64_e32 v[2:3], s[6:7], v[0:1]
	s_cbranch_scc1 .LBB126_2056
; %bb.2050:
	s_and_b32 s52, 0xffff, s0
	s_delay_alu instid0(SALU_CYCLE_1)
	s_cmp_gt_i32 s52, 25
	s_cbranch_scc0 .LBB126_2057
; %bb.2051:
	s_cmp_gt_i32 s52, 28
	s_cbranch_scc0 .LBB126_2058
; %bb.2052:
	;; [unrolled: 3-line block ×4, first 2 shown]
	s_cmp_eq_u32 s52, 46
	s_cbranch_scc0 .LBB126_2075
; %bb.2055:
	global_load_b32 v0, v[2:3], off
	s_mov_b32 s84, -1
	s_wait_loadcnt 0x0
	v_lshlrev_b32_e32 v0, 16, v0
	s_delay_alu instid0(VALU_DEP_1) | instskip(NEXT) | instid1(VALU_DEP_1)
	v_trunc_f32_e32 v0, v0
	v_mul_f32_e64 v1, 0x2f800000, |v0|
	s_delay_alu instid0(VALU_DEP_1) | instskip(NEXT) | instid1(VALU_DEP_1)
	v_floor_f32_e32 v1, v1
	v_fma_f32 v4, 0xcf800000, v1, |v0|
	v_ashrrev_i32_e32 v0, 31, v0
	v_cvt_u32_f32_e32 v5, v1
	s_delay_alu instid0(VALU_DEP_3) | instskip(NEXT) | instid1(VALU_DEP_2)
	v_cvt_u32_f32_e32 v4, v4
	v_dual_mov_b32 v1, v0 :: v_dual_bitop2_b32 v5, v5, v0 bitop3:0x14
	s_delay_alu instid0(VALU_DEP_2) | instskip(NEXT) | instid1(VALU_DEP_1)
	v_xor_b32_e32 v4, v4, v0
	v_sub_nc_u64_e32 v[0:1], v[4:5], v[0:1]
	s_branch .LBB126_2077
.LBB126_2056:
	s_mov_b32 s52, -1
	s_mov_b32 s84, 0
	s_mov_b32 s53, s1
                                        ; implicit-def: $vgpr0_vgpr1
	s_branch .LBB126_2136
.LBB126_2057:
	s_mov_b32 s85, -1
	s_mov_b32 s84, 0
	s_mov_b32 s53, s1
                                        ; implicit-def: $vgpr0_vgpr1
	s_branch .LBB126_2104
.LBB126_2058:
	s_mov_b32 s85, -1
	s_mov_b32 s84, 0
	s_mov_b32 s53, s1
                                        ; implicit-def: $vgpr0_vgpr1
	s_branch .LBB126_2087
.LBB126_2059:
	s_mov_b32 s85, -1
	s_mov_b32 s84, 0
	s_mov_b32 s53, s1
                                        ; implicit-def: $vgpr0_vgpr1
	s_branch .LBB126_2082
.LBB126_2060:
	s_mov_b32 s35, -1
	s_mov_b32 s0, s81
	s_mov_b32 s1, exec_lo
	v_cmpx_gt_i64_e64 v[6:7], v[4:5]
	s_cbranch_execz .LBB126_2067
; %bb.2061:
	s_delay_alu instid0(VALU_DEP_2) | instskip(SKIP_2) | instid1(VALU_DEP_1)
	v_lshlrev_b64_e32 v[0:1], 3, v[0:1]
	s_mov_b32 s0, 0
	s_xor_b32 s34, s56, -1
                                        ; implicit-def: $sgpr31
                                        ; implicit-def: $sgpr44
                                        ; implicit-def: $sgpr35
	v_lshl_add_u64 v[2:3], v[4:5], 3, v[0:1]
	v_add_nc_u64_e32 v[4:5], s[24:25], v[0:1]
	s_delay_alu instid0(VALU_DEP_2) | instskip(NEXT) | instid1(VALU_DEP_1)
	v_add_nc_u64_e32 v[2:3], s[24:25], v[2:3]
	v_add_nc_u64_e32 v[0:1], 8, v[2:3]
	s_delay_alu instid0(VALU_DEP_3)
	v_lshl_add_u64 v[2:3], v[6:7], 3, v[4:5]
	s_branch .LBB126_2063
.LBB126_2062:                           ;   in Loop: Header=BB126_2063 Depth=1
	s_or_b32 exec_lo, exec_lo, s45
	s_delay_alu instid0(SALU_CYCLE_1) | instskip(NEXT) | instid1(SALU_CYCLE_1)
	s_and_b32 s45, exec_lo, s44
	s_or_b32 s0, s45, s0
	s_and_not1_b32 s31, s31, exec_lo
	s_and_b32 s45, s35, exec_lo
	s_delay_alu instid0(SALU_CYCLE_1)
	s_or_b32 s31, s31, s45
	s_and_not1_b32 exec_lo, exec_lo, s0
	s_cbranch_execz .LBB126_2066
.LBB126_2063:                           ; =>This Inner Loop Header: Depth=1
	s_or_b32 s35, s35, exec_lo
	s_or_b32 s44, s44, exec_lo
	s_mov_b32 s45, exec_lo
	s_delay_alu instid0(VALU_DEP_2)
	v_cmpx_lt_u64_e64 v[0:1], v[2:3]
	s_cbranch_execz .LBB126_2062
; %bb.2064:                             ;   in Loop: Header=BB126_2063 Depth=1
	global_load_b128 v[4:7], v[0:1], off offset:-8
	s_wait_xcnt 0x0
	v_add_nc_u64_e32 v[0:1], 8, v[0:1]
	s_and_not1_b32 s44, s44, exec_lo
	s_and_not1_b32 s35, s35, exec_lo
	s_wait_loadcnt 0x0
	v_cmp_ge_i64_e32 vcc_lo, v[4:5], v[6:7]
	s_or_b32 s46, s34, vcc_lo
	s_delay_alu instid0(SALU_CYCLE_1) | instskip(NEXT) | instid1(SALU_CYCLE_1)
	s_and_b32 s46, s46, exec_lo
	s_or_b32 s44, s44, s46
	s_branch .LBB126_2062
.LBB126_2065:
	s_mov_b32 s85, -1
	s_mov_b32 s84, 0
	s_mov_b32 s53, s1
	s_branch .LBB126_2076
.LBB126_2066:
	s_or_b32 exec_lo, exec_lo, s0
	s_delay_alu instid0(SALU_CYCLE_1)
	s_or_b32 s0, s81, exec_lo
	s_or_not1_b32 s35, s31, exec_lo
.LBB126_2067:
	s_or_b32 exec_lo, exec_lo, s1
	s_mov_b32 s34, 0
	s_mov_b32 s31, s80
	s_and_saveexec_b32 s1, s35
	s_cbranch_execz .LBB126_3679
; %bb.2068:
	v_mul_lo_u32 v0, v22, s16
	s_and_b32 s34, s26, 0xff
	s_delay_alu instid0(SALU_CYCLE_1) | instskip(NEXT) | instid1(VALU_DEP_1)
	s_cmp_lt_i32 s34, 11
	v_ashrrev_i32_e32 v1, 31, v0
	s_delay_alu instid0(VALU_DEP_1)
	v_add_nc_u64_e32 v[0:1], s[4:5], v[0:1]
	s_cbranch_scc1 .LBB126_3501
; %bb.2069:
	s_and_b32 s35, 0xffff, s34
	s_delay_alu instid0(SALU_CYCLE_1)
	s_cmp_gt_i32 s35, 25
	s_cbranch_scc0 .LBB126_3503
; %bb.2070:
	s_cmp_gt_i32 s35, 28
	s_cbranch_scc0 .LBB126_3505
; %bb.2071:
	;; [unrolled: 3-line block ×4, first 2 shown]
	s_mov_b32 s45, 0
	s_mov_b32 s31, -1
	s_cmp_eq_u32 s35, 46
	s_mov_b32 s44, 0
	s_cbranch_scc0 .LBB126_3597
; %bb.2074:
	v_mov_b32_e32 v2, 0
	s_mov_b32 s44, -1
	s_mov_b32 s31, 0
	global_store_b32 v[0:1], v2, off
	s_branch .LBB126_3597
.LBB126_2075:
	s_mov_b32 s53, -1
	s_mov_b32 s84, 0
.LBB126_2076:
                                        ; implicit-def: $vgpr0_vgpr1
.LBB126_2077:
	s_and_b32 vcc_lo, exec_lo, s85
	s_cbranch_vccz .LBB126_2081
; %bb.2078:
	s_cmp_eq_u32 s52, 44
	s_cbranch_scc0 .LBB126_2080
; %bb.2079:
	global_load_u8 v6, v[2:3], off
	s_mov_b32 s53, 0
	s_mov_b32 s84, -1
	s_wait_loadcnt 0x0
	v_cmp_ne_u32_e32 vcc_lo, 0, v6
	v_lshlrev_b32_e32 v0, 23, v6
	s_delay_alu instid0(VALU_DEP_1) | instskip(NEXT) | instid1(VALU_DEP_1)
	v_trunc_f32_e32 v0, v0
	v_mul_f32_e64 v1, 0x2f800000, |v0|
	s_delay_alu instid0(VALU_DEP_1) | instskip(NEXT) | instid1(VALU_DEP_1)
	v_floor_f32_e32 v1, v1
	v_fma_f32 v4, 0xcf800000, v1, |v0|
	v_ashrrev_i32_e32 v0, 31, v0
	v_cvt_u32_f32_e32 v5, v1
	s_delay_alu instid0(VALU_DEP_3) | instskip(NEXT) | instid1(VALU_DEP_2)
	v_cvt_u32_f32_e32 v4, v4
	v_dual_mov_b32 v1, v0 :: v_dual_bitop2_b32 v5, v5, v0 bitop3:0x14
	s_delay_alu instid0(VALU_DEP_2) | instskip(NEXT) | instid1(VALU_DEP_1)
	v_xor_b32_e32 v4, v4, v0
	v_sub_nc_u64_e32 v[0:1], v[4:5], v[0:1]
	s_delay_alu instid0(VALU_DEP_1)
	v_dual_cndmask_b32 v1, 0, v1 :: v_dual_cndmask_b32 v0, 0, v0
	s_branch .LBB126_2081
.LBB126_2080:
	s_mov_b32 s53, -1
                                        ; implicit-def: $vgpr0_vgpr1
.LBB126_2081:
	s_mov_b32 s85, 0
.LBB126_2082:
	s_delay_alu instid0(SALU_CYCLE_1)
	s_and_b32 vcc_lo, exec_lo, s85
	s_cbranch_vccz .LBB126_2086
; %bb.2083:
	s_cmp_eq_u32 s52, 29
	s_cbranch_scc0 .LBB126_2085
; %bb.2084:
	global_load_b64 v[0:1], v[2:3], off
	s_mov_b32 s53, 0
	s_mov_b32 s84, -1
	s_branch .LBB126_2086
.LBB126_2085:
	s_mov_b32 s53, -1
                                        ; implicit-def: $vgpr0_vgpr1
.LBB126_2086:
	s_mov_b32 s85, 0
.LBB126_2087:
	s_delay_alu instid0(SALU_CYCLE_1)
	s_and_b32 vcc_lo, exec_lo, s85
	s_cbranch_vccz .LBB126_2103
; %bb.2088:
	s_cmp_lt_i32 s52, 27
	s_cbranch_scc1 .LBB126_2091
; %bb.2089:
	s_cmp_gt_i32 s52, 27
	s_cbranch_scc0 .LBB126_2092
; %bb.2090:
	s_wait_loadcnt 0x0
	global_load_b32 v0, v[2:3], off
	v_mov_b32_e32 v1, 0
	s_mov_b32 s84, 0
	s_branch .LBB126_2093
.LBB126_2091:
	s_mov_b32 s84, -1
                                        ; implicit-def: $vgpr0_vgpr1
	s_branch .LBB126_2096
.LBB126_2092:
	s_mov_b32 s84, -1
                                        ; implicit-def: $vgpr0_vgpr1
.LBB126_2093:
	s_delay_alu instid0(SALU_CYCLE_1)
	s_and_not1_b32 vcc_lo, exec_lo, s84
	s_cbranch_vccnz .LBB126_2095
; %bb.2094:
	s_wait_loadcnt 0x0
	global_load_u16 v0, v[2:3], off
	s_mov_b32 s84, 0
	s_delay_alu instid0(SALU_CYCLE_1)
	v_mov_b32_e32 v1, s84
	s_wait_loadcnt 0x0
	v_and_b32_e32 v0, 0xffff, v0
.LBB126_2095:
	s_mov_b32 s84, 0
.LBB126_2096:
	s_delay_alu instid0(SALU_CYCLE_1)
	s_and_not1_b32 vcc_lo, exec_lo, s84
	s_cbranch_vccnz .LBB126_2102
; %bb.2097:
	global_load_u8 v4, v[2:3], off
	s_mov_b32 s85, 0
	s_mov_b32 s84, exec_lo
	s_wait_loadcnt 0x0
	v_cmpx_lt_i16_e32 0x7f, v4
	s_xor_b32 s84, exec_lo, s84
	s_cbranch_execz .LBB126_2114
; %bb.2098:
	v_cmp_ne_u16_e32 vcc_lo, 0x80, v4
	s_and_b32 s85, vcc_lo, exec_lo
	s_and_not1_saveexec_b32 s84, s84
	s_cbranch_execnz .LBB126_2115
.LBB126_2099:
	s_or_b32 exec_lo, exec_lo, s84
	v_mov_b64_e32 v[0:1], 0
	s_and_saveexec_b32 s84, s85
	s_cbranch_execz .LBB126_2101
.LBB126_2100:
	v_and_b32_e32 v0, 0xffff, v4
	s_delay_alu instid0(VALU_DEP_1) | instskip(SKIP_1) | instid1(VALU_DEP_2)
	v_and_b32_e32 v1, 7, v0
	v_bfe_u32 v7, v0, 3, 4
	v_clz_i32_u32_e32 v5, v1
	s_delay_alu instid0(VALU_DEP_2) | instskip(NEXT) | instid1(VALU_DEP_2)
	v_cmp_eq_u32_e32 vcc_lo, 0, v7
	v_min_u32_e32 v5, 32, v5
	s_delay_alu instid0(VALU_DEP_1) | instskip(NEXT) | instid1(VALU_DEP_1)
	v_subrev_nc_u32_e32 v6, 28, v5
	v_dual_lshlrev_b32 v0, v6, v0 :: v_dual_sub_nc_u32 v5, 29, v5
	s_delay_alu instid0(VALU_DEP_1) | instskip(NEXT) | instid1(VALU_DEP_2)
	v_and_b32_e32 v0, 7, v0
	v_dual_cndmask_b32 v5, v7, v5 :: v_dual_lshlrev_b32 v4, 24, v4
	s_delay_alu instid0(VALU_DEP_2) | instskip(NEXT) | instid1(VALU_DEP_2)
	v_cndmask_b32_e32 v0, v1, v0, vcc_lo
	v_and_b32_e32 v1, 0x80000000, v4
	s_delay_alu instid0(VALU_DEP_3) | instskip(NEXT) | instid1(VALU_DEP_3)
	v_lshl_add_u32 v4, v5, 23, 0x3b800000
	v_lshlrev_b32_e32 v0, 20, v0
	s_delay_alu instid0(VALU_DEP_1) | instskip(NEXT) | instid1(VALU_DEP_1)
	v_or3_b32 v0, v1, v4, v0
	v_trunc_f32_e32 v0, v0
	s_delay_alu instid0(VALU_DEP_1) | instskip(NEXT) | instid1(VALU_DEP_1)
	v_mul_f32_e64 v1, 0x2f800000, |v0|
	v_floor_f32_e32 v1, v1
	s_delay_alu instid0(VALU_DEP_1) | instskip(SKIP_2) | instid1(VALU_DEP_3)
	v_fma_f32 v4, 0xcf800000, v1, |v0|
	v_ashrrev_i32_e32 v0, 31, v0
	v_cvt_u32_f32_e32 v5, v1
	v_cvt_u32_f32_e32 v4, v4
	s_delay_alu instid0(VALU_DEP_2) | instskip(NEXT) | instid1(VALU_DEP_2)
	v_dual_mov_b32 v1, v0 :: v_dual_bitop2_b32 v5, v5, v0 bitop3:0x14
	v_xor_b32_e32 v4, v4, v0
	s_delay_alu instid0(VALU_DEP_1)
	v_sub_nc_u64_e32 v[0:1], v[4:5], v[0:1]
.LBB126_2101:
	s_or_b32 exec_lo, exec_lo, s84
.LBB126_2102:
	s_mov_b32 s84, -1
.LBB126_2103:
	s_mov_b32 s85, 0
.LBB126_2104:
	s_delay_alu instid0(SALU_CYCLE_1)
	s_and_b32 vcc_lo, exec_lo, s85
	s_cbranch_vccz .LBB126_2135
; %bb.2105:
	s_cmp_gt_i32 s52, 22
	s_cbranch_scc0 .LBB126_2113
; %bb.2106:
	s_cmp_lt_i32 s52, 24
	s_cbranch_scc1 .LBB126_2116
; %bb.2107:
	s_cmp_gt_i32 s52, 24
	s_cbranch_scc0 .LBB126_2117
; %bb.2108:
	global_load_u8 v4, v[2:3], off
	s_mov_b32 s84, 0
	s_mov_b32 s62, exec_lo
	s_wait_loadcnt 0x0
	v_cmpx_lt_i16_e32 0x7f, v4
	s_xor_b32 s62, exec_lo, s62
	s_cbranch_execz .LBB126_2129
; %bb.2109:
	v_cmp_ne_u16_e32 vcc_lo, 0x80, v4
	s_and_b32 s84, vcc_lo, exec_lo
	s_and_not1_saveexec_b32 s62, s62
	s_cbranch_execnz .LBB126_2130
.LBB126_2110:
	s_or_b32 exec_lo, exec_lo, s62
	v_mov_b64_e32 v[0:1], 0
	s_and_saveexec_b32 s62, s84
	s_cbranch_execz .LBB126_2112
.LBB126_2111:
	v_and_b32_e32 v0, 0xffff, v4
	s_delay_alu instid0(VALU_DEP_1) | instskip(SKIP_1) | instid1(VALU_DEP_2)
	v_and_b32_e32 v1, 3, v0
	v_bfe_u32 v7, v0, 2, 5
	v_clz_i32_u32_e32 v5, v1
	s_delay_alu instid0(VALU_DEP_2) | instskip(NEXT) | instid1(VALU_DEP_2)
	v_cmp_eq_u32_e32 vcc_lo, 0, v7
	v_min_u32_e32 v5, 32, v5
	s_delay_alu instid0(VALU_DEP_1) | instskip(NEXT) | instid1(VALU_DEP_1)
	v_subrev_nc_u32_e32 v6, 29, v5
	v_dual_lshlrev_b32 v0, v6, v0 :: v_dual_sub_nc_u32 v5, 30, v5
	s_delay_alu instid0(VALU_DEP_1) | instskip(NEXT) | instid1(VALU_DEP_2)
	v_and_b32_e32 v0, 3, v0
	v_dual_cndmask_b32 v5, v7, v5 :: v_dual_lshlrev_b32 v4, 24, v4
	s_delay_alu instid0(VALU_DEP_2) | instskip(NEXT) | instid1(VALU_DEP_2)
	v_cndmask_b32_e32 v0, v1, v0, vcc_lo
	v_and_b32_e32 v1, 0x80000000, v4
	s_delay_alu instid0(VALU_DEP_3) | instskip(NEXT) | instid1(VALU_DEP_3)
	v_lshl_add_u32 v4, v5, 23, 0x37800000
	v_lshlrev_b32_e32 v0, 21, v0
	s_delay_alu instid0(VALU_DEP_1) | instskip(NEXT) | instid1(VALU_DEP_1)
	v_or3_b32 v0, v1, v4, v0
	v_trunc_f32_e32 v0, v0
	s_delay_alu instid0(VALU_DEP_1) | instskip(NEXT) | instid1(VALU_DEP_1)
	v_mul_f32_e64 v1, 0x2f800000, |v0|
	v_floor_f32_e32 v1, v1
	s_delay_alu instid0(VALU_DEP_1) | instskip(SKIP_2) | instid1(VALU_DEP_3)
	v_fma_f32 v4, 0xcf800000, v1, |v0|
	v_ashrrev_i32_e32 v0, 31, v0
	v_cvt_u32_f32_e32 v5, v1
	v_cvt_u32_f32_e32 v4, v4
	s_delay_alu instid0(VALU_DEP_2) | instskip(NEXT) | instid1(VALU_DEP_2)
	v_dual_mov_b32 v1, v0 :: v_dual_bitop2_b32 v5, v5, v0 bitop3:0x14
	v_xor_b32_e32 v4, v4, v0
	s_delay_alu instid0(VALU_DEP_1)
	v_sub_nc_u64_e32 v[0:1], v[4:5], v[0:1]
.LBB126_2112:
	s_or_b32 exec_lo, exec_lo, s62
	s_mov_b32 s62, 0
	s_branch .LBB126_2118
.LBB126_2113:
	s_mov_b32 s62, -1
                                        ; implicit-def: $vgpr0_vgpr1
	s_branch .LBB126_2124
.LBB126_2114:
	s_and_not1_saveexec_b32 s84, s84
	s_cbranch_execz .LBB126_2099
.LBB126_2115:
	v_cmp_ne_u16_e32 vcc_lo, 0, v4
	s_and_not1_b32 s85, s85, exec_lo
	s_and_b32 s86, vcc_lo, exec_lo
	s_delay_alu instid0(SALU_CYCLE_1)
	s_or_b32 s85, s85, s86
	s_or_b32 exec_lo, exec_lo, s84
	v_mov_b64_e32 v[0:1], 0
	s_and_saveexec_b32 s84, s85
	s_cbranch_execnz .LBB126_2100
	s_branch .LBB126_2101
.LBB126_2116:
	s_mov_b32 s62, -1
                                        ; implicit-def: $vgpr0_vgpr1
	s_branch .LBB126_2121
.LBB126_2117:
	s_mov_b32 s62, -1
                                        ; implicit-def: $vgpr0_vgpr1
.LBB126_2118:
	s_delay_alu instid0(SALU_CYCLE_1)
	s_and_b32 vcc_lo, exec_lo, s62
	s_cbranch_vccz .LBB126_2120
; %bb.2119:
	s_wait_loadcnt 0x0
	global_load_u8 v0, v[2:3], off
	s_wait_loadcnt 0x0
	v_lshlrev_b32_e32 v0, 24, v0
	s_delay_alu instid0(VALU_DEP_1) | instskip(NEXT) | instid1(VALU_DEP_1)
	v_and_b32_e32 v1, 0x7f000000, v0
	v_clz_i32_u32_e32 v4, v1
	v_cmp_ne_u32_e32 vcc_lo, 0, v1
	v_add_nc_u32_e32 v6, 0x1000000, v1
	s_delay_alu instid0(VALU_DEP_3) | instskip(NEXT) | instid1(VALU_DEP_1)
	v_min_u32_e32 v4, 32, v4
	v_sub_nc_u32_e64 v4, v4, 4 clamp
	s_delay_alu instid0(VALU_DEP_1) | instskip(NEXT) | instid1(VALU_DEP_1)
	v_dual_lshlrev_b32 v5, v4, v1 :: v_dual_lshlrev_b32 v4, 23, v4
	v_lshrrev_b32_e32 v5, 4, v5
	s_delay_alu instid0(VALU_DEP_1) | instskip(NEXT) | instid1(VALU_DEP_1)
	v_dual_sub_nc_u32 v4, v5, v4 :: v_dual_ashrrev_i32 v5, 8, v6
	v_add_nc_u32_e32 v4, 0x3c000000, v4
	s_delay_alu instid0(VALU_DEP_1) | instskip(NEXT) | instid1(VALU_DEP_1)
	v_and_or_b32 v4, 0x7f800000, v5, v4
	v_cndmask_b32_e32 v1, 0, v4, vcc_lo
	s_delay_alu instid0(VALU_DEP_1) | instskip(NEXT) | instid1(VALU_DEP_1)
	v_and_or_b32 v0, 0x80000000, v0, v1
	v_trunc_f32_e32 v0, v0
	s_delay_alu instid0(VALU_DEP_1) | instskip(NEXT) | instid1(VALU_DEP_1)
	v_mul_f32_e64 v1, 0x2f800000, |v0|
	v_floor_f32_e32 v1, v1
	s_delay_alu instid0(VALU_DEP_1) | instskip(SKIP_2) | instid1(VALU_DEP_3)
	v_fma_f32 v4, 0xcf800000, v1, |v0|
	v_ashrrev_i32_e32 v0, 31, v0
	v_cvt_u32_f32_e32 v5, v1
	v_cvt_u32_f32_e32 v4, v4
	s_delay_alu instid0(VALU_DEP_2) | instskip(NEXT) | instid1(VALU_DEP_2)
	v_dual_mov_b32 v1, v0 :: v_dual_bitop2_b32 v5, v5, v0 bitop3:0x14
	v_xor_b32_e32 v4, v4, v0
	s_delay_alu instid0(VALU_DEP_1)
	v_sub_nc_u64_e32 v[0:1], v[4:5], v[0:1]
.LBB126_2120:
	s_mov_b32 s62, 0
.LBB126_2121:
	s_delay_alu instid0(SALU_CYCLE_1)
	s_and_not1_b32 vcc_lo, exec_lo, s62
	s_cbranch_vccnz .LBB126_2123
; %bb.2122:
	s_wait_loadcnt 0x0
	global_load_u8 v0, v[2:3], off
	s_wait_loadcnt 0x0
	v_lshlrev_b32_e32 v1, 25, v0
	v_lshlrev_b16 v0, 8, v0
	s_delay_alu instid0(VALU_DEP_1) | instskip(SKIP_1) | instid1(VALU_DEP_2)
	v_and_or_b32 v5, 0x7f00, v0, 0.5
	v_bfe_i32 v0, v0, 0, 16
	v_add_f32_e32 v5, -0.5, v5
	v_lshrrev_b32_e32 v4, 4, v1
	v_cmp_gt_u32_e32 vcc_lo, 0x8000000, v1
	s_delay_alu instid0(VALU_DEP_2) | instskip(NEXT) | instid1(VALU_DEP_1)
	v_or_b32_e32 v4, 0x70000000, v4
	v_mul_f32_e32 v4, 0x7800000, v4
	s_delay_alu instid0(VALU_DEP_1) | instskip(NEXT) | instid1(VALU_DEP_1)
	v_cndmask_b32_e32 v1, v4, v5, vcc_lo
	v_and_or_b32 v0, 0x80000000, v0, v1
	s_delay_alu instid0(VALU_DEP_1) | instskip(NEXT) | instid1(VALU_DEP_1)
	v_trunc_f32_e32 v0, v0
	v_mul_f32_e64 v1, 0x2f800000, |v0|
	s_delay_alu instid0(VALU_DEP_1) | instskip(NEXT) | instid1(VALU_DEP_1)
	v_floor_f32_e32 v1, v1
	v_fma_f32 v4, 0xcf800000, v1, |v0|
	v_ashrrev_i32_e32 v0, 31, v0
	v_cvt_u32_f32_e32 v5, v1
	s_delay_alu instid0(VALU_DEP_3) | instskip(NEXT) | instid1(VALU_DEP_2)
	v_cvt_u32_f32_e32 v4, v4
	v_dual_mov_b32 v1, v0 :: v_dual_bitop2_b32 v5, v5, v0 bitop3:0x14
	s_delay_alu instid0(VALU_DEP_2) | instskip(NEXT) | instid1(VALU_DEP_1)
	v_xor_b32_e32 v4, v4, v0
	v_sub_nc_u64_e32 v[0:1], v[4:5], v[0:1]
.LBB126_2123:
	s_mov_b32 s62, 0
	s_mov_b32 s84, -1
.LBB126_2124:
	s_and_not1_b32 vcc_lo, exec_lo, s62
	s_mov_b32 s62, 0
	s_cbranch_vccnz .LBB126_2135
; %bb.2125:
	s_cmp_gt_i32 s52, 14
	s_cbranch_scc0 .LBB126_2128
; %bb.2126:
	s_cmp_eq_u32 s52, 15
	s_cbranch_scc0 .LBB126_2131
; %bb.2127:
	s_wait_loadcnt 0x0
	global_load_u16 v0, v[2:3], off
	s_mov_b32 s53, 0
	s_mov_b32 s84, -1
	s_wait_loadcnt 0x0
	v_lshlrev_b32_e32 v0, 16, v0
	s_delay_alu instid0(VALU_DEP_1) | instskip(NEXT) | instid1(VALU_DEP_1)
	v_trunc_f32_e32 v0, v0
	v_mul_f32_e64 v1, 0x2f800000, |v0|
	s_delay_alu instid0(VALU_DEP_1) | instskip(NEXT) | instid1(VALU_DEP_1)
	v_floor_f32_e32 v1, v1
	v_fma_f32 v4, 0xcf800000, v1, |v0|
	v_ashrrev_i32_e32 v0, 31, v0
	v_cvt_u32_f32_e32 v5, v1
	s_delay_alu instid0(VALU_DEP_3) | instskip(NEXT) | instid1(VALU_DEP_2)
	v_cvt_u32_f32_e32 v4, v4
	v_dual_mov_b32 v1, v0 :: v_dual_bitop2_b32 v5, v5, v0 bitop3:0x14
	s_delay_alu instid0(VALU_DEP_2) | instskip(NEXT) | instid1(VALU_DEP_1)
	v_xor_b32_e32 v4, v4, v0
	v_sub_nc_u64_e32 v[0:1], v[4:5], v[0:1]
	s_branch .LBB126_2133
.LBB126_2128:
	s_mov_b32 s62, -1
	s_branch .LBB126_2132
.LBB126_2129:
	s_and_not1_saveexec_b32 s62, s62
	s_cbranch_execz .LBB126_2110
.LBB126_2130:
	v_cmp_ne_u16_e32 vcc_lo, 0, v4
	s_and_not1_b32 s84, s84, exec_lo
	s_and_b32 s85, vcc_lo, exec_lo
	s_delay_alu instid0(SALU_CYCLE_1)
	s_or_b32 s84, s84, s85
	s_or_b32 exec_lo, exec_lo, s62
	v_mov_b64_e32 v[0:1], 0
	s_and_saveexec_b32 s62, s84
	s_cbranch_execnz .LBB126_2111
	s_branch .LBB126_2112
.LBB126_2131:
	s_mov_b32 s53, -1
.LBB126_2132:
                                        ; implicit-def: $vgpr0_vgpr1
.LBB126_2133:
	s_and_b32 vcc_lo, exec_lo, s62
	s_mov_b32 s62, 0
	s_cbranch_vccz .LBB126_2135
; %bb.2134:
	s_cmp_lg_u32 s52, 11
	s_mov_b32 s62, -1
	s_cselect_b32 s52, -1, 0
	s_and_not1_b32 s53, s53, exec_lo
	s_and_b32 s52, s52, exec_lo
	s_delay_alu instid0(SALU_CYCLE_1)
	s_or_b32 s53, s53, s52
.LBB126_2135:
	s_mov_b32 s52, 0
.LBB126_2136:
	s_and_b32 s85, s84, exec_lo
	s_and_not1_b32 s84, s1, exec_lo
	s_and_b32 s53, s53, exec_lo
	s_and_b32 s52, s52, exec_lo
	;; [unrolled: 1-line block ×3, first 2 shown]
	s_or_b32 s84, s84, s53
.LBB126_2137:
	s_wait_xcnt 0x0
	s_or_b32 exec_lo, exec_lo, s51
	s_delay_alu instid0(SALU_CYCLE_1)
	s_and_not1_b32 s1, s1, exec_lo
	s_and_b32 s84, s84, exec_lo
	s_and_b32 s53, s85, exec_lo
	;; [unrolled: 1-line block ×4, first 2 shown]
	s_or_b32 s1, s1, s84
.LBB126_2138:
	s_or_b32 exec_lo, exec_lo, s50
	s_delay_alu instid0(SALU_CYCLE_1)
	s_and_not1_b32 s50, s80, exec_lo
	s_and_b32 s49, s49, exec_lo
	s_and_b32 s46, s46, exec_lo
	s_or_b32 s80, s50, s49
	s_and_not1_b32 s49, s81, exec_lo
	s_and_b32 s44, s44, exec_lo
	s_or_b32 s81, s49, s46
	s_and_not1_b32 s46, s78, exec_lo
	;; [unrolled: 3-line block ×3, first 2 shown]
	s_and_not1_b32 s50, s82, exec_lo
	s_and_b32 s48, s48, exec_lo
	s_or_b32 s76, s44, s34
	s_and_not1_b32 s44, s75, exec_lo
	s_and_b32 s35, s35, exec_lo
	s_or_b32 s82, s50, s48
	s_and_not1_b32 s48, s79, exec_lo
	s_and_b32 s47, s47, exec_lo
	s_and_not1_b32 s46, s77, exec_lo
	s_and_b32 s45, s45, exec_lo
	s_and_not1_b32 s34, s74, exec_lo
	s_and_b32 s31, s31, exec_lo
	s_or_b32 s75, s44, s35
	s_and_not1_b32 s35, s73, exec_lo
	s_and_b32 s44, s1, exec_lo
	s_or_b32 s79, s48, s47
	s_or_b32 s77, s46, s45
	;; [unrolled: 1-line block ×3, first 2 shown]
	s_and_b32 s34, s53, exec_lo
	s_and_b32 s31, s52, exec_lo
	;; [unrolled: 1-line block ×3, first 2 shown]
	s_or_b32 s73, s35, s44
.LBB126_2139:
	s_or_b32 exec_lo, exec_lo, s83
	s_delay_alu instid0(SALU_CYCLE_1)
	s_and_not1_b32 s35, s61, exec_lo
	s_and_b32 s44, s80, exec_lo
	s_and_not1_b32 s45, s64, exec_lo
	s_or_b32 s61, s35, s44
	s_and_not1_b32 s35, s63, exec_lo
	s_and_b32 s44, s81, exec_lo
	s_and_b32 s46, s82, exec_lo
	s_or_b32 s63, s35, s44
	s_and_not1_b32 s35, s65, exec_lo
	s_and_b32 s44, s78, exec_lo
	s_or_b32 s64, s45, s46
	s_and_not1_b32 s45, s66, exec_lo
	;; [unrolled: 3-line block ×6, first 2 shown]
	s_and_b32 s46, s75, exec_lo
	s_or_b32 s69, s35, s44
	s_and_b32 s35, s31, exec_lo
	s_and_not1_b32 s31, s71, exec_lo
	s_and_b32 s44, s73, exec_lo
	s_or_b32 s70, s45, s46
	s_and_b32 s34, s34, exec_lo
	s_and_b32 s73, s1, exec_lo
	s_or_b32 s71, s31, s44
	s_or_b32 exec_lo, exec_lo, s72
	s_mov_b32 s1, 0
	s_and_saveexec_b32 s31, s71
	s_cbranch_execz .LBB126_640
.LBB126_2140:
	s_mov_b32 s1, exec_lo
	s_and_not1_b32 s73, s73, exec_lo
	s_trap 2
	s_or_b32 exec_lo, exec_lo, s31
	s_and_saveexec_b32 s31, s73
	s_delay_alu instid0(SALU_CYCLE_1)
	s_xor_b32 s31, exec_lo, s31
	s_cbranch_execnz .LBB126_641
.LBB126_2141:
	s_or_b32 exec_lo, exec_lo, s31
	s_and_saveexec_b32 s31, s35
	s_cbranch_execz .LBB126_2187
.LBB126_2142:
	s_sext_i32_i16 s35, s0
	s_delay_alu instid0(SALU_CYCLE_1)
	s_cmp_lt_i32 s35, 5
	s_cbranch_scc1 .LBB126_2147
; %bb.2143:
	s_cmp_lt_i32 s35, 8
	s_cbranch_scc1 .LBB126_2148
; %bb.2144:
	;; [unrolled: 3-line block ×3, first 2 shown]
	s_cmp_gt_i32 s35, 9
	s_cbranch_scc0 .LBB126_2150
; %bb.2146:
	s_wait_loadcnt 0x0
	global_load_b64 v[0:1], v[2:3], off
	s_mov_b32 s35, 0
	s_wait_loadcnt 0x0
	v_trunc_f64_e32 v[0:1], v[0:1]
	s_delay_alu instid0(VALU_DEP_1) | instskip(NEXT) | instid1(VALU_DEP_1)
	v_ldexp_f64 v[4:5], v[0:1], 0xffffffe0
	v_floor_f64_e32 v[4:5], v[4:5]
	s_delay_alu instid0(VALU_DEP_1) | instskip(SKIP_1) | instid1(VALU_DEP_2)
	v_fmamk_f64 v[6:7], v[4:5], 0xc1f00000, v[0:1]
	v_cvt_i32_f64_e32 v1, v[4:5]
	v_cvt_u32_f64_e32 v0, v[6:7]
	s_branch .LBB126_2151
.LBB126_2147:
                                        ; implicit-def: $vgpr0_vgpr1
	s_branch .LBB126_2168
.LBB126_2148:
                                        ; implicit-def: $vgpr0_vgpr1
	s_branch .LBB126_2157
.LBB126_2149:
	s_mov_b32 s35, -1
                                        ; implicit-def: $vgpr0_vgpr1
	s_branch .LBB126_2154
.LBB126_2150:
	s_mov_b32 s35, -1
                                        ; implicit-def: $vgpr0_vgpr1
.LBB126_2151:
	s_delay_alu instid0(SALU_CYCLE_1)
	s_and_not1_b32 vcc_lo, exec_lo, s35
	s_cbranch_vccnz .LBB126_2153
; %bb.2152:
	s_wait_loadcnt 0x0
	global_load_b32 v0, v[2:3], off
	s_wait_loadcnt 0x0
	v_trunc_f32_e32 v0, v0
	s_delay_alu instid0(VALU_DEP_1) | instskip(NEXT) | instid1(VALU_DEP_1)
	v_mul_f32_e64 v1, 0x2f800000, |v0|
	v_floor_f32_e32 v1, v1
	s_delay_alu instid0(VALU_DEP_1) | instskip(SKIP_2) | instid1(VALU_DEP_3)
	v_fma_f32 v4, 0xcf800000, v1, |v0|
	v_ashrrev_i32_e32 v0, 31, v0
	v_cvt_u32_f32_e32 v5, v1
	v_cvt_u32_f32_e32 v4, v4
	s_delay_alu instid0(VALU_DEP_2) | instskip(NEXT) | instid1(VALU_DEP_2)
	v_dual_mov_b32 v1, v0 :: v_dual_bitop2_b32 v5, v5, v0 bitop3:0x14
	v_xor_b32_e32 v4, v4, v0
	s_delay_alu instid0(VALU_DEP_1)
	v_sub_nc_u64_e32 v[0:1], v[4:5], v[0:1]
.LBB126_2153:
	s_mov_b32 s35, 0
.LBB126_2154:
	s_delay_alu instid0(SALU_CYCLE_1)
	s_and_not1_b32 vcc_lo, exec_lo, s35
	s_cbranch_vccnz .LBB126_2156
; %bb.2155:
	s_wait_loadcnt 0x0
	global_load_b32 v0, v[2:3], off
	s_wait_loadcnt 0x0
	v_cvt_f32_f16_e32 v0, v0
	s_delay_alu instid0(VALU_DEP_1) | instskip(NEXT) | instid1(VALU_DEP_1)
	v_cvt_i32_f32_e32 v0, v0
	v_ashrrev_i32_e32 v1, 31, v0
.LBB126_2156:
	s_cbranch_execnz .LBB126_2167
.LBB126_2157:
	s_sext_i32_i16 s35, s0
	s_delay_alu instid0(SALU_CYCLE_1)
	s_cmp_lt_i32 s35, 6
	s_cbranch_scc1 .LBB126_2160
; %bb.2158:
	s_cmp_gt_i32 s35, 6
	s_cbranch_scc0 .LBB126_2161
; %bb.2159:
	s_wait_loadcnt 0x0
	global_load_b64 v[0:1], v[2:3], off
	s_mov_b32 s35, 0
	s_wait_loadcnt 0x0
	v_trunc_f64_e32 v[0:1], v[0:1]
	s_delay_alu instid0(VALU_DEP_1) | instskip(NEXT) | instid1(VALU_DEP_1)
	v_ldexp_f64 v[4:5], v[0:1], 0xffffffe0
	v_floor_f64_e32 v[4:5], v[4:5]
	s_delay_alu instid0(VALU_DEP_1) | instskip(SKIP_1) | instid1(VALU_DEP_2)
	v_fmamk_f64 v[6:7], v[4:5], 0xc1f00000, v[0:1]
	v_cvt_i32_f64_e32 v1, v[4:5]
	v_cvt_u32_f64_e32 v0, v[6:7]
	s_branch .LBB126_2162
.LBB126_2160:
	s_mov_b32 s35, -1
                                        ; implicit-def: $vgpr0_vgpr1
	s_branch .LBB126_2165
.LBB126_2161:
	s_mov_b32 s35, -1
                                        ; implicit-def: $vgpr0_vgpr1
.LBB126_2162:
	s_delay_alu instid0(SALU_CYCLE_1)
	s_and_not1_b32 vcc_lo, exec_lo, s35
	s_cbranch_vccnz .LBB126_2164
; %bb.2163:
	s_wait_loadcnt 0x0
	global_load_b32 v0, v[2:3], off
	s_wait_loadcnt 0x0
	v_trunc_f32_e32 v0, v0
	s_delay_alu instid0(VALU_DEP_1) | instskip(NEXT) | instid1(VALU_DEP_1)
	v_mul_f32_e64 v1, 0x2f800000, |v0|
	v_floor_f32_e32 v1, v1
	s_delay_alu instid0(VALU_DEP_1) | instskip(SKIP_2) | instid1(VALU_DEP_3)
	v_fma_f32 v4, 0xcf800000, v1, |v0|
	v_ashrrev_i32_e32 v0, 31, v0
	v_cvt_u32_f32_e32 v5, v1
	v_cvt_u32_f32_e32 v4, v4
	s_delay_alu instid0(VALU_DEP_2) | instskip(NEXT) | instid1(VALU_DEP_2)
	v_dual_mov_b32 v1, v0 :: v_dual_bitop2_b32 v5, v5, v0 bitop3:0x14
	v_xor_b32_e32 v4, v4, v0
	s_delay_alu instid0(VALU_DEP_1)
	v_sub_nc_u64_e32 v[0:1], v[4:5], v[0:1]
.LBB126_2164:
	s_mov_b32 s35, 0
.LBB126_2165:
	s_delay_alu instid0(SALU_CYCLE_1)
	s_and_not1_b32 vcc_lo, exec_lo, s35
	s_cbranch_vccnz .LBB126_2167
; %bb.2166:
	s_wait_loadcnt 0x0
	global_load_u16 v0, v[2:3], off
	s_wait_loadcnt 0x0
	v_cvt_f32_f16_e32 v0, v0
	s_delay_alu instid0(VALU_DEP_1) | instskip(NEXT) | instid1(VALU_DEP_1)
	v_cvt_i32_f32_e32 v0, v0
	v_ashrrev_i32_e32 v1, 31, v0
.LBB126_2167:
	s_cbranch_execnz .LBB126_2186
.LBB126_2168:
	s_sext_i32_i16 s35, s0
	s_delay_alu instid0(SALU_CYCLE_1)
	s_cmp_lt_i32 s35, 2
	s_cbranch_scc1 .LBB126_2172
; %bb.2169:
	s_cmp_lt_i32 s35, 3
	s_cbranch_scc1 .LBB126_2173
; %bb.2170:
	s_cmp_gt_i32 s35, 3
	s_cbranch_scc0 .LBB126_2174
; %bb.2171:
	s_wait_loadcnt 0x0
	global_load_b64 v[0:1], v[2:3], off
	s_mov_b32 s35, 0
	s_branch .LBB126_2175
.LBB126_2172:
                                        ; implicit-def: $vgpr0_vgpr1
	s_branch .LBB126_2181
.LBB126_2173:
	s_mov_b32 s35, -1
                                        ; implicit-def: $vgpr0_vgpr1
	s_branch .LBB126_2178
.LBB126_2174:
	s_mov_b32 s35, -1
                                        ; implicit-def: $vgpr0_vgpr1
.LBB126_2175:
	s_delay_alu instid0(SALU_CYCLE_1)
	s_and_not1_b32 vcc_lo, exec_lo, s35
	s_cbranch_vccnz .LBB126_2177
; %bb.2176:
	s_wait_loadcnt 0x0
	global_load_b32 v0, v[2:3], off
	s_wait_loadcnt 0x0
	v_ashrrev_i32_e32 v1, 31, v0
.LBB126_2177:
	s_mov_b32 s35, 0
.LBB126_2178:
	s_delay_alu instid0(SALU_CYCLE_1)
	s_and_not1_b32 vcc_lo, exec_lo, s35
	s_cbranch_vccnz .LBB126_2180
; %bb.2179:
	s_wait_loadcnt 0x0
	global_load_u16 v0, v[2:3], off
	s_wait_loadcnt 0x0
	v_bfe_i32 v0, v0, 0, 16
	s_delay_alu instid0(VALU_DEP_1)
	v_ashrrev_i32_e32 v1, 31, v0
.LBB126_2180:
	s_cbranch_execnz .LBB126_2186
.LBB126_2181:
	s_sext_i32_i16 s0, s0
	s_delay_alu instid0(SALU_CYCLE_1)
	s_cmp_gt_i32 s0, 0
	s_mov_b32 s0, 0
	s_cbranch_scc0 .LBB126_2183
; %bb.2182:
	s_wait_loadcnt 0x0
	global_load_i8 v0, v[2:3], off
	s_wait_loadcnt 0x0
	v_bfe_i32 v0, v0, 0, 16
	s_delay_alu instid0(VALU_DEP_1)
	v_ashrrev_i32_e32 v1, 31, v0
	s_branch .LBB126_2184
.LBB126_2183:
	s_mov_b32 s0, -1
                                        ; implicit-def: $vgpr0_vgpr1
.LBB126_2184:
	s_delay_alu instid0(SALU_CYCLE_1)
	s_and_not1_b32 vcc_lo, exec_lo, s0
	s_cbranch_vccnz .LBB126_2186
; %bb.2185:
	s_wait_loadcnt 0x0
	global_load_u8 v0, v[2:3], off
	s_mov_b32 s0, 0
	s_delay_alu instid0(SALU_CYCLE_1)
	v_mov_b32_e32 v1, s0
	s_wait_loadcnt 0x0
	v_and_b32_e32 v0, 0xffff, v0
.LBB126_2186:
	s_or_b32 s34, s34, exec_lo
.LBB126_2187:
	s_wait_xcnt 0x0
	s_or_b32 exec_lo, exec_lo, s31
	s_mov_b32 s35, 0
	s_mov_b32 s46, 0
	;; [unrolled: 1-line block ×3, first 2 shown]
                                        ; implicit-def: $sgpr0
                                        ; implicit-def: $vgpr4_vgpr5
                                        ; implicit-def: $vgpr2_vgpr3
	s_and_saveexec_b32 s31, s34
	s_cbranch_execz .LBB126_2195
; %bb.2188:
	s_wait_loadcnt 0x0
	v_mul_lo_u32 v2, v22, s18
	s_and_b32 s0, s33, 0xff
	s_delay_alu instid0(SALU_CYCLE_1) | instskip(NEXT) | instid1(VALU_DEP_1)
	s_cmp_lt_i32 s0, 11
	v_ashrrev_i32_e32 v3, 31, v2
	s_delay_alu instid0(VALU_DEP_1)
	v_add_nc_u64_e32 v[4:5], s[8:9], v[2:3]
	s_cbranch_scc1 .LBB126_2198
; %bb.2189:
	s_and_b32 s34, 0xffff, s0
	s_mov_b32 s45, 0
	s_cmp_gt_i32 s34, 25
	s_cbranch_scc0 .LBB126_2199
; %bb.2190:
	s_cmp_gt_i32 s34, 28
	s_cbranch_scc0 .LBB126_2200
; %bb.2191:
	;; [unrolled: 3-line block ×4, first 2 shown]
	s_cmp_eq_u32 s34, 46
	s_cbranch_scc0 .LBB126_2203
; %bb.2194:
	global_load_b32 v2, v[4:5], off
	s_mov_b32 s44, -1
	s_wait_loadcnt 0x0
	v_lshlrev_b32_e32 v2, 16, v2
	s_delay_alu instid0(VALU_DEP_1) | instskip(NEXT) | instid1(VALU_DEP_1)
	v_trunc_f32_e32 v2, v2
	v_mul_f32_e64 v3, 0x2f800000, |v2|
	s_delay_alu instid0(VALU_DEP_1) | instskip(NEXT) | instid1(VALU_DEP_1)
	v_floor_f32_e32 v3, v3
	v_fma_f32 v6, 0xcf800000, v3, |v2|
	v_ashrrev_i32_e32 v2, 31, v2
	v_cvt_u32_f32_e32 v7, v3
	s_delay_alu instid0(VALU_DEP_3) | instskip(NEXT) | instid1(VALU_DEP_2)
	v_cvt_u32_f32_e32 v6, v6
	v_dual_mov_b32 v3, v2 :: v_dual_bitop2_b32 v7, v7, v2 bitop3:0x14
	s_delay_alu instid0(VALU_DEP_2) | instskip(NEXT) | instid1(VALU_DEP_1)
	v_xor_b32_e32 v6, v6, v2
	v_sub_nc_u64_e32 v[2:3], v[6:7], v[2:3]
	s_branch .LBB126_2205
.LBB126_2195:
	s_or_b32 exec_lo, exec_lo, s31
	s_and_saveexec_b32 s31, s70
	s_cbranch_execnz .LBB126_2264
.LBB126_2196:
	s_or_b32 exec_lo, exec_lo, s31
	s_and_saveexec_b32 s31, s35
	s_delay_alu instid0(SALU_CYCLE_1)
	s_xor_b32 s31, exec_lo, s31
	s_cbranch_execz .LBB126_2265
.LBB126_2197:
	s_wait_loadcnt 0x0
	global_load_u8 v2, v[4:5], off
	s_mov_b32 s34, 0
	s_or_b32 s44, s44, exec_lo
	v_mov_b32_e32 v3, s34
	s_wait_loadcnt 0x0
	v_cmp_ne_u16_e32 vcc_lo, 0, v2
	v_cndmask_b32_e64 v2, 0, 1, vcc_lo
	s_wait_xcnt 0x0
	s_or_b32 exec_lo, exec_lo, s31
	s_and_saveexec_b32 s31, s46
	s_cbranch_execz .LBB126_2311
	s_branch .LBB126_2266
.LBB126_2198:
	s_mov_b32 s34, -1
	s_mov_b32 s45, 0
	s_mov_b32 s35, s70
                                        ; implicit-def: $vgpr2_vgpr3
	s_branch .LBB126_2263
.LBB126_2199:
	s_mov_b32 s35, s70
                                        ; implicit-def: $vgpr2_vgpr3
	s_cbranch_execnz .LBB126_2232
	s_branch .LBB126_2262
.LBB126_2200:
	s_mov_b32 s46, -1
	s_mov_b32 s35, s70
                                        ; implicit-def: $vgpr2_vgpr3
	s_branch .LBB126_2215
.LBB126_2201:
	s_mov_b32 s46, -1
	s_mov_b32 s35, s70
                                        ; implicit-def: $vgpr2_vgpr3
	s_branch .LBB126_2210
.LBB126_2202:
	s_mov_b32 s46, -1
	s_mov_b32 s35, s70
	s_branch .LBB126_2204
.LBB126_2203:
	s_mov_b32 s35, -1
.LBB126_2204:
                                        ; implicit-def: $vgpr2_vgpr3
.LBB126_2205:
	s_and_b32 vcc_lo, exec_lo, s46
	s_cbranch_vccz .LBB126_2209
; %bb.2206:
	s_cmp_eq_u32 s34, 44
	s_cbranch_scc0 .LBB126_2208
; %bb.2207:
	global_load_u8 v8, v[4:5], off
	s_mov_b32 s35, 0
	s_mov_b32 s44, -1
	s_wait_loadcnt 0x0
	v_cmp_ne_u32_e32 vcc_lo, 0, v8
	v_lshlrev_b32_e32 v2, 23, v8
	s_delay_alu instid0(VALU_DEP_1) | instskip(NEXT) | instid1(VALU_DEP_1)
	v_trunc_f32_e32 v2, v2
	v_mul_f32_e64 v3, 0x2f800000, |v2|
	s_delay_alu instid0(VALU_DEP_1) | instskip(NEXT) | instid1(VALU_DEP_1)
	v_floor_f32_e32 v3, v3
	v_fma_f32 v6, 0xcf800000, v3, |v2|
	v_ashrrev_i32_e32 v2, 31, v2
	v_cvt_u32_f32_e32 v7, v3
	s_delay_alu instid0(VALU_DEP_3) | instskip(NEXT) | instid1(VALU_DEP_2)
	v_cvt_u32_f32_e32 v6, v6
	v_dual_mov_b32 v3, v2 :: v_dual_bitop2_b32 v7, v7, v2 bitop3:0x14
	s_delay_alu instid0(VALU_DEP_2) | instskip(NEXT) | instid1(VALU_DEP_1)
	v_xor_b32_e32 v6, v6, v2
	v_sub_nc_u64_e32 v[2:3], v[6:7], v[2:3]
	s_delay_alu instid0(VALU_DEP_1)
	v_dual_cndmask_b32 v3, 0, v3 :: v_dual_cndmask_b32 v2, 0, v2
	s_branch .LBB126_2209
.LBB126_2208:
	s_mov_b32 s35, -1
                                        ; implicit-def: $vgpr2_vgpr3
.LBB126_2209:
	s_mov_b32 s46, 0
.LBB126_2210:
	s_delay_alu instid0(SALU_CYCLE_1)
	s_and_b32 vcc_lo, exec_lo, s46
	s_cbranch_vccz .LBB126_2214
; %bb.2211:
	s_cmp_eq_u32 s34, 29
	s_cbranch_scc0 .LBB126_2213
; %bb.2212:
	global_load_b64 v[2:3], v[4:5], off
	s_mov_b32 s35, 0
	s_mov_b32 s44, -1
	s_branch .LBB126_2214
.LBB126_2213:
	s_mov_b32 s35, -1
                                        ; implicit-def: $vgpr2_vgpr3
.LBB126_2214:
	s_mov_b32 s46, 0
.LBB126_2215:
	s_delay_alu instid0(SALU_CYCLE_1)
	s_and_b32 vcc_lo, exec_lo, s46
	s_cbranch_vccz .LBB126_2231
; %bb.2216:
	s_cmp_lt_i32 s34, 27
	s_cbranch_scc1 .LBB126_2219
; %bb.2217:
	s_cmp_gt_i32 s34, 27
	s_cbranch_scc0 .LBB126_2220
; %bb.2218:
	s_wait_loadcnt 0x0
	global_load_b32 v2, v[4:5], off
	v_mov_b32_e32 v3, 0
	s_mov_b32 s44, 0
	s_branch .LBB126_2221
.LBB126_2219:
	s_mov_b32 s44, -1
                                        ; implicit-def: $vgpr2_vgpr3
	s_branch .LBB126_2224
.LBB126_2220:
	s_mov_b32 s44, -1
                                        ; implicit-def: $vgpr2_vgpr3
.LBB126_2221:
	s_delay_alu instid0(SALU_CYCLE_1)
	s_and_not1_b32 vcc_lo, exec_lo, s44
	s_cbranch_vccnz .LBB126_2223
; %bb.2222:
	s_wait_loadcnt 0x0
	global_load_u16 v2, v[4:5], off
	s_mov_b32 s44, 0
	s_delay_alu instid0(SALU_CYCLE_1)
	v_mov_b32_e32 v3, s44
	s_wait_loadcnt 0x0
	v_and_b32_e32 v2, 0xffff, v2
.LBB126_2223:
	s_mov_b32 s44, 0
.LBB126_2224:
	s_delay_alu instid0(SALU_CYCLE_1)
	s_and_not1_b32 vcc_lo, exec_lo, s44
	s_cbranch_vccnz .LBB126_2230
; %bb.2225:
	global_load_u8 v6, v[4:5], off
	s_mov_b32 s46, 0
	s_mov_b32 s44, exec_lo
	s_wait_loadcnt 0x0
	v_cmpx_lt_i16_e32 0x7f, v6
	s_xor_b32 s44, exec_lo, s44
	s_cbranch_execz .LBB126_2241
; %bb.2226:
	v_cmp_ne_u16_e32 vcc_lo, 0x80, v6
	s_and_b32 s46, vcc_lo, exec_lo
	s_and_not1_saveexec_b32 s44, s44
	s_cbranch_execnz .LBB126_2242
.LBB126_2227:
	s_or_b32 exec_lo, exec_lo, s44
	v_mov_b64_e32 v[2:3], 0
	s_and_saveexec_b32 s44, s46
	s_cbranch_execz .LBB126_2229
.LBB126_2228:
	v_and_b32_e32 v2, 0xffff, v6
	s_delay_alu instid0(VALU_DEP_1) | instskip(SKIP_1) | instid1(VALU_DEP_2)
	v_and_b32_e32 v3, 7, v2
	v_bfe_u32 v9, v2, 3, 4
	v_clz_i32_u32_e32 v7, v3
	s_delay_alu instid0(VALU_DEP_2) | instskip(NEXT) | instid1(VALU_DEP_2)
	v_cmp_eq_u32_e32 vcc_lo, 0, v9
	v_min_u32_e32 v7, 32, v7
	s_delay_alu instid0(VALU_DEP_1) | instskip(NEXT) | instid1(VALU_DEP_1)
	v_subrev_nc_u32_e32 v8, 28, v7
	v_dual_lshlrev_b32 v2, v8, v2 :: v_dual_sub_nc_u32 v7, 29, v7
	s_delay_alu instid0(VALU_DEP_1) | instskip(NEXT) | instid1(VALU_DEP_2)
	v_and_b32_e32 v2, 7, v2
	v_dual_cndmask_b32 v7, v9, v7 :: v_dual_lshlrev_b32 v6, 24, v6
	s_delay_alu instid0(VALU_DEP_2) | instskip(NEXT) | instid1(VALU_DEP_2)
	v_cndmask_b32_e32 v2, v3, v2, vcc_lo
	v_and_b32_e32 v3, 0x80000000, v6
	s_delay_alu instid0(VALU_DEP_3) | instskip(NEXT) | instid1(VALU_DEP_3)
	v_lshl_add_u32 v6, v7, 23, 0x3b800000
	v_lshlrev_b32_e32 v2, 20, v2
	s_delay_alu instid0(VALU_DEP_1) | instskip(NEXT) | instid1(VALU_DEP_1)
	v_or3_b32 v2, v3, v6, v2
	v_trunc_f32_e32 v2, v2
	s_delay_alu instid0(VALU_DEP_1) | instskip(NEXT) | instid1(VALU_DEP_1)
	v_mul_f32_e64 v3, 0x2f800000, |v2|
	v_floor_f32_e32 v3, v3
	s_delay_alu instid0(VALU_DEP_1) | instskip(SKIP_2) | instid1(VALU_DEP_3)
	v_fma_f32 v6, 0xcf800000, v3, |v2|
	v_ashrrev_i32_e32 v2, 31, v2
	v_cvt_u32_f32_e32 v7, v3
	v_cvt_u32_f32_e32 v6, v6
	s_delay_alu instid0(VALU_DEP_2) | instskip(NEXT) | instid1(VALU_DEP_2)
	v_dual_mov_b32 v3, v2 :: v_dual_bitop2_b32 v7, v7, v2 bitop3:0x14
	v_xor_b32_e32 v6, v6, v2
	s_delay_alu instid0(VALU_DEP_1)
	v_sub_nc_u64_e32 v[2:3], v[6:7], v[2:3]
.LBB126_2229:
	s_or_b32 exec_lo, exec_lo, s44
.LBB126_2230:
	s_mov_b32 s44, -1
.LBB126_2231:
	s_branch .LBB126_2262
.LBB126_2232:
	s_cmp_gt_i32 s34, 22
	s_cbranch_scc0 .LBB126_2240
; %bb.2233:
	s_cmp_lt_i32 s34, 24
	s_cbranch_scc1 .LBB126_2243
; %bb.2234:
	s_cmp_gt_i32 s34, 24
	s_cbranch_scc0 .LBB126_2244
; %bb.2235:
	global_load_u8 v6, v[4:5], off
	s_mov_b32 s44, exec_lo
	s_wait_loadcnt 0x0
	v_cmpx_lt_i16_e32 0x7f, v6
	s_xor_b32 s44, exec_lo, s44
	s_cbranch_execz .LBB126_2256
; %bb.2236:
	v_cmp_ne_u16_e32 vcc_lo, 0x80, v6
	s_and_b32 s45, vcc_lo, exec_lo
	s_and_not1_saveexec_b32 s44, s44
	s_cbranch_execnz .LBB126_2257
.LBB126_2237:
	s_or_b32 exec_lo, exec_lo, s44
	v_mov_b64_e32 v[2:3], 0
	s_and_saveexec_b32 s44, s45
	s_cbranch_execz .LBB126_2239
.LBB126_2238:
	v_and_b32_e32 v2, 0xffff, v6
	s_delay_alu instid0(VALU_DEP_1) | instskip(SKIP_1) | instid1(VALU_DEP_2)
	v_and_b32_e32 v3, 3, v2
	v_bfe_u32 v9, v2, 2, 5
	v_clz_i32_u32_e32 v7, v3
	s_delay_alu instid0(VALU_DEP_2) | instskip(NEXT) | instid1(VALU_DEP_2)
	v_cmp_eq_u32_e32 vcc_lo, 0, v9
	v_min_u32_e32 v7, 32, v7
	s_delay_alu instid0(VALU_DEP_1) | instskip(NEXT) | instid1(VALU_DEP_1)
	v_subrev_nc_u32_e32 v8, 29, v7
	v_dual_lshlrev_b32 v2, v8, v2 :: v_dual_sub_nc_u32 v7, 30, v7
	s_delay_alu instid0(VALU_DEP_1) | instskip(NEXT) | instid1(VALU_DEP_2)
	v_and_b32_e32 v2, 3, v2
	v_dual_cndmask_b32 v7, v9, v7 :: v_dual_lshlrev_b32 v6, 24, v6
	s_delay_alu instid0(VALU_DEP_2) | instskip(NEXT) | instid1(VALU_DEP_2)
	v_cndmask_b32_e32 v2, v3, v2, vcc_lo
	v_and_b32_e32 v3, 0x80000000, v6
	s_delay_alu instid0(VALU_DEP_3) | instskip(NEXT) | instid1(VALU_DEP_3)
	v_lshl_add_u32 v6, v7, 23, 0x37800000
	v_lshlrev_b32_e32 v2, 21, v2
	s_delay_alu instid0(VALU_DEP_1) | instskip(NEXT) | instid1(VALU_DEP_1)
	v_or3_b32 v2, v3, v6, v2
	v_trunc_f32_e32 v2, v2
	s_delay_alu instid0(VALU_DEP_1) | instskip(NEXT) | instid1(VALU_DEP_1)
	v_mul_f32_e64 v3, 0x2f800000, |v2|
	v_floor_f32_e32 v3, v3
	s_delay_alu instid0(VALU_DEP_1) | instskip(SKIP_2) | instid1(VALU_DEP_3)
	v_fma_f32 v6, 0xcf800000, v3, |v2|
	v_ashrrev_i32_e32 v2, 31, v2
	v_cvt_u32_f32_e32 v7, v3
	v_cvt_u32_f32_e32 v6, v6
	s_delay_alu instid0(VALU_DEP_2) | instskip(NEXT) | instid1(VALU_DEP_2)
	v_dual_mov_b32 v3, v2 :: v_dual_bitop2_b32 v7, v7, v2 bitop3:0x14
	v_xor_b32_e32 v6, v6, v2
	s_delay_alu instid0(VALU_DEP_1)
	v_sub_nc_u64_e32 v[2:3], v[6:7], v[2:3]
.LBB126_2239:
	s_or_b32 exec_lo, exec_lo, s44
	s_mov_b32 s44, 0
	s_branch .LBB126_2245
.LBB126_2240:
	s_mov_b32 s45, -1
                                        ; implicit-def: $vgpr2_vgpr3
	s_branch .LBB126_2251
.LBB126_2241:
	s_and_not1_saveexec_b32 s44, s44
	s_cbranch_execz .LBB126_2227
.LBB126_2242:
	v_cmp_ne_u16_e32 vcc_lo, 0, v6
	s_and_not1_b32 s46, s46, exec_lo
	s_and_b32 s47, vcc_lo, exec_lo
	s_delay_alu instid0(SALU_CYCLE_1)
	s_or_b32 s46, s46, s47
	s_or_b32 exec_lo, exec_lo, s44
	v_mov_b64_e32 v[2:3], 0
	s_and_saveexec_b32 s44, s46
	s_cbranch_execnz .LBB126_2228
	s_branch .LBB126_2229
.LBB126_2243:
	s_mov_b32 s44, -1
                                        ; implicit-def: $vgpr2_vgpr3
	s_branch .LBB126_2248
.LBB126_2244:
	s_mov_b32 s44, -1
                                        ; implicit-def: $vgpr2_vgpr3
.LBB126_2245:
	s_delay_alu instid0(SALU_CYCLE_1)
	s_and_b32 vcc_lo, exec_lo, s44
	s_cbranch_vccz .LBB126_2247
; %bb.2246:
	s_wait_loadcnt 0x0
	global_load_u8 v2, v[4:5], off
	s_wait_loadcnt 0x0
	v_lshlrev_b32_e32 v2, 24, v2
	s_delay_alu instid0(VALU_DEP_1) | instskip(NEXT) | instid1(VALU_DEP_1)
	v_and_b32_e32 v3, 0x7f000000, v2
	v_clz_i32_u32_e32 v6, v3
	v_cmp_ne_u32_e32 vcc_lo, 0, v3
	v_add_nc_u32_e32 v8, 0x1000000, v3
	s_delay_alu instid0(VALU_DEP_3) | instskip(NEXT) | instid1(VALU_DEP_1)
	v_min_u32_e32 v6, 32, v6
	v_sub_nc_u32_e64 v6, v6, 4 clamp
	s_delay_alu instid0(VALU_DEP_1) | instskip(NEXT) | instid1(VALU_DEP_1)
	v_dual_lshlrev_b32 v7, v6, v3 :: v_dual_lshlrev_b32 v6, 23, v6
	v_lshrrev_b32_e32 v7, 4, v7
	s_delay_alu instid0(VALU_DEP_1) | instskip(NEXT) | instid1(VALU_DEP_1)
	v_dual_sub_nc_u32 v6, v7, v6 :: v_dual_ashrrev_i32 v7, 8, v8
	v_add_nc_u32_e32 v6, 0x3c000000, v6
	s_delay_alu instid0(VALU_DEP_1) | instskip(NEXT) | instid1(VALU_DEP_1)
	v_and_or_b32 v6, 0x7f800000, v7, v6
	v_cndmask_b32_e32 v3, 0, v6, vcc_lo
	s_delay_alu instid0(VALU_DEP_1) | instskip(NEXT) | instid1(VALU_DEP_1)
	v_and_or_b32 v2, 0x80000000, v2, v3
	v_trunc_f32_e32 v2, v2
	s_delay_alu instid0(VALU_DEP_1) | instskip(NEXT) | instid1(VALU_DEP_1)
	v_mul_f32_e64 v3, 0x2f800000, |v2|
	v_floor_f32_e32 v3, v3
	s_delay_alu instid0(VALU_DEP_1) | instskip(SKIP_2) | instid1(VALU_DEP_3)
	v_fma_f32 v6, 0xcf800000, v3, |v2|
	v_ashrrev_i32_e32 v2, 31, v2
	v_cvt_u32_f32_e32 v7, v3
	v_cvt_u32_f32_e32 v6, v6
	s_delay_alu instid0(VALU_DEP_2) | instskip(NEXT) | instid1(VALU_DEP_2)
	v_dual_mov_b32 v3, v2 :: v_dual_bitop2_b32 v7, v7, v2 bitop3:0x14
	v_xor_b32_e32 v6, v6, v2
	s_delay_alu instid0(VALU_DEP_1)
	v_sub_nc_u64_e32 v[2:3], v[6:7], v[2:3]
.LBB126_2247:
	s_mov_b32 s44, 0
.LBB126_2248:
	s_delay_alu instid0(SALU_CYCLE_1)
	s_and_not1_b32 vcc_lo, exec_lo, s44
	s_cbranch_vccnz .LBB126_2250
; %bb.2249:
	s_wait_loadcnt 0x0
	global_load_u8 v2, v[4:5], off
	s_wait_loadcnt 0x0
	v_lshlrev_b32_e32 v3, 25, v2
	v_lshlrev_b16 v2, 8, v2
	s_delay_alu instid0(VALU_DEP_1) | instskip(SKIP_1) | instid1(VALU_DEP_2)
	v_and_or_b32 v7, 0x7f00, v2, 0.5
	v_bfe_i32 v2, v2, 0, 16
	v_add_f32_e32 v7, -0.5, v7
	v_lshrrev_b32_e32 v6, 4, v3
	v_cmp_gt_u32_e32 vcc_lo, 0x8000000, v3
	s_delay_alu instid0(VALU_DEP_2) | instskip(NEXT) | instid1(VALU_DEP_1)
	v_or_b32_e32 v6, 0x70000000, v6
	v_mul_f32_e32 v6, 0x7800000, v6
	s_delay_alu instid0(VALU_DEP_1) | instskip(NEXT) | instid1(VALU_DEP_1)
	v_cndmask_b32_e32 v3, v6, v7, vcc_lo
	v_and_or_b32 v2, 0x80000000, v2, v3
	s_delay_alu instid0(VALU_DEP_1) | instskip(NEXT) | instid1(VALU_DEP_1)
	v_trunc_f32_e32 v2, v2
	v_mul_f32_e64 v3, 0x2f800000, |v2|
	s_delay_alu instid0(VALU_DEP_1) | instskip(NEXT) | instid1(VALU_DEP_1)
	v_floor_f32_e32 v3, v3
	v_fma_f32 v6, 0xcf800000, v3, |v2|
	v_ashrrev_i32_e32 v2, 31, v2
	v_cvt_u32_f32_e32 v7, v3
	s_delay_alu instid0(VALU_DEP_3) | instskip(NEXT) | instid1(VALU_DEP_2)
	v_cvt_u32_f32_e32 v6, v6
	v_dual_mov_b32 v3, v2 :: v_dual_bitop2_b32 v7, v7, v2 bitop3:0x14
	s_delay_alu instid0(VALU_DEP_2) | instskip(NEXT) | instid1(VALU_DEP_1)
	v_xor_b32_e32 v6, v6, v2
	v_sub_nc_u64_e32 v[2:3], v[6:7], v[2:3]
.LBB126_2250:
	s_mov_b32 s45, 0
	s_mov_b32 s44, -1
.LBB126_2251:
	s_and_not1_b32 vcc_lo, exec_lo, s45
	s_mov_b32 s45, 0
	s_cbranch_vccnz .LBB126_2262
; %bb.2252:
	s_cmp_gt_i32 s34, 14
	s_cbranch_scc0 .LBB126_2255
; %bb.2253:
	s_cmp_eq_u32 s34, 15
	s_cbranch_scc0 .LBB126_2258
; %bb.2254:
	s_wait_loadcnt 0x0
	global_load_u16 v2, v[4:5], off
	s_mov_b32 s35, 0
	s_mov_b32 s44, -1
	s_wait_loadcnt 0x0
	v_lshlrev_b32_e32 v2, 16, v2
	s_delay_alu instid0(VALU_DEP_1) | instskip(NEXT) | instid1(VALU_DEP_1)
	v_trunc_f32_e32 v2, v2
	v_mul_f32_e64 v3, 0x2f800000, |v2|
	s_delay_alu instid0(VALU_DEP_1) | instskip(NEXT) | instid1(VALU_DEP_1)
	v_floor_f32_e32 v3, v3
	v_fma_f32 v6, 0xcf800000, v3, |v2|
	v_ashrrev_i32_e32 v2, 31, v2
	v_cvt_u32_f32_e32 v7, v3
	s_delay_alu instid0(VALU_DEP_3) | instskip(NEXT) | instid1(VALU_DEP_2)
	v_cvt_u32_f32_e32 v6, v6
	v_dual_mov_b32 v3, v2 :: v_dual_bitop2_b32 v7, v7, v2 bitop3:0x14
	s_delay_alu instid0(VALU_DEP_2) | instskip(NEXT) | instid1(VALU_DEP_1)
	v_xor_b32_e32 v6, v6, v2
	v_sub_nc_u64_e32 v[2:3], v[6:7], v[2:3]
	s_branch .LBB126_2260
.LBB126_2255:
	s_mov_b32 s45, -1
	s_branch .LBB126_2259
.LBB126_2256:
	s_and_not1_saveexec_b32 s44, s44
	s_cbranch_execz .LBB126_2237
.LBB126_2257:
	v_cmp_ne_u16_e32 vcc_lo, 0, v6
	s_and_not1_b32 s45, s45, exec_lo
	s_and_b32 s46, vcc_lo, exec_lo
	s_delay_alu instid0(SALU_CYCLE_1)
	s_or_b32 s45, s45, s46
	s_or_b32 exec_lo, exec_lo, s44
	v_mov_b64_e32 v[2:3], 0
	s_and_saveexec_b32 s44, s45
	s_cbranch_execnz .LBB126_2238
	s_branch .LBB126_2239
.LBB126_2258:
	s_mov_b32 s35, -1
.LBB126_2259:
                                        ; implicit-def: $vgpr2_vgpr3
.LBB126_2260:
	s_and_b32 vcc_lo, exec_lo, s45
	s_mov_b32 s45, 0
	s_cbranch_vccz .LBB126_2262
; %bb.2261:
	s_cmp_lg_u32 s34, 11
	s_mov_b32 s45, -1
	s_cselect_b32 s34, -1, 0
	s_and_not1_b32 s35, s35, exec_lo
	s_and_b32 s34, s34, exec_lo
	s_delay_alu instid0(SALU_CYCLE_1)
	s_or_b32 s35, s35, s34
.LBB126_2262:
	s_mov_b32 s34, 0
.LBB126_2263:
	s_delay_alu instid0(SALU_CYCLE_1)
	s_and_b32 s46, s34, exec_lo
	s_and_not1_b32 s34, s70, exec_lo
	s_and_b32 s47, s35, exec_lo
	s_and_b32 s44, s44, exec_lo
	;; [unrolled: 1-line block ×3, first 2 shown]
	s_or_b32 s70, s34, s47
	s_wait_xcnt 0x0
	s_or_b32 exec_lo, exec_lo, s31
	s_and_saveexec_b32 s31, s70
	s_cbranch_execz .LBB126_2196
.LBB126_2264:
	s_or_b32 s1, s1, exec_lo
	s_and_not1_b32 s35, s35, exec_lo
	s_trap 2
	s_or_b32 exec_lo, exec_lo, s31
	s_and_saveexec_b32 s31, s35
	s_delay_alu instid0(SALU_CYCLE_1)
	s_xor_b32 s31, exec_lo, s31
	s_cbranch_execnz .LBB126_2197
.LBB126_2265:
	s_or_b32 exec_lo, exec_lo, s31
	s_and_saveexec_b32 s31, s46
	s_cbranch_execz .LBB126_2311
.LBB126_2266:
	s_sext_i32_i16 s34, s0
	s_delay_alu instid0(SALU_CYCLE_1)
	s_cmp_lt_i32 s34, 5
	s_cbranch_scc1 .LBB126_2271
; %bb.2267:
	s_cmp_lt_i32 s34, 8
	s_cbranch_scc1 .LBB126_2272
; %bb.2268:
	;; [unrolled: 3-line block ×3, first 2 shown]
	s_cmp_gt_i32 s34, 9
	s_cbranch_scc0 .LBB126_2274
; %bb.2270:
	s_wait_loadcnt 0x0
	global_load_b64 v[2:3], v[4:5], off
	s_mov_b32 s34, 0
	s_wait_loadcnt 0x0
	v_trunc_f64_e32 v[2:3], v[2:3]
	s_delay_alu instid0(VALU_DEP_1) | instskip(NEXT) | instid1(VALU_DEP_1)
	v_ldexp_f64 v[6:7], v[2:3], 0xffffffe0
	v_floor_f64_e32 v[6:7], v[6:7]
	s_delay_alu instid0(VALU_DEP_1) | instskip(SKIP_1) | instid1(VALU_DEP_2)
	v_fmamk_f64 v[8:9], v[6:7], 0xc1f00000, v[2:3]
	v_cvt_i32_f64_e32 v3, v[6:7]
	v_cvt_u32_f64_e32 v2, v[8:9]
	s_branch .LBB126_2275
.LBB126_2271:
                                        ; implicit-def: $vgpr2_vgpr3
	s_branch .LBB126_2292
.LBB126_2272:
                                        ; implicit-def: $vgpr2_vgpr3
	s_branch .LBB126_2281
.LBB126_2273:
	s_mov_b32 s34, -1
                                        ; implicit-def: $vgpr2_vgpr3
	s_branch .LBB126_2278
.LBB126_2274:
	s_mov_b32 s34, -1
                                        ; implicit-def: $vgpr2_vgpr3
.LBB126_2275:
	s_delay_alu instid0(SALU_CYCLE_1)
	s_and_not1_b32 vcc_lo, exec_lo, s34
	s_cbranch_vccnz .LBB126_2277
; %bb.2276:
	s_wait_loadcnt 0x0
	global_load_b32 v2, v[4:5], off
	s_wait_loadcnt 0x0
	v_trunc_f32_e32 v2, v2
	s_delay_alu instid0(VALU_DEP_1) | instskip(NEXT) | instid1(VALU_DEP_1)
	v_mul_f32_e64 v3, 0x2f800000, |v2|
	v_floor_f32_e32 v3, v3
	s_delay_alu instid0(VALU_DEP_1) | instskip(SKIP_2) | instid1(VALU_DEP_3)
	v_fma_f32 v6, 0xcf800000, v3, |v2|
	v_ashrrev_i32_e32 v2, 31, v2
	v_cvt_u32_f32_e32 v7, v3
	v_cvt_u32_f32_e32 v6, v6
	s_delay_alu instid0(VALU_DEP_2) | instskip(NEXT) | instid1(VALU_DEP_2)
	v_dual_mov_b32 v3, v2 :: v_dual_bitop2_b32 v7, v7, v2 bitop3:0x14
	v_xor_b32_e32 v6, v6, v2
	s_delay_alu instid0(VALU_DEP_1)
	v_sub_nc_u64_e32 v[2:3], v[6:7], v[2:3]
.LBB126_2277:
	s_mov_b32 s34, 0
.LBB126_2278:
	s_delay_alu instid0(SALU_CYCLE_1)
	s_and_not1_b32 vcc_lo, exec_lo, s34
	s_cbranch_vccnz .LBB126_2280
; %bb.2279:
	s_wait_loadcnt 0x0
	global_load_b32 v2, v[4:5], off
	s_wait_loadcnt 0x0
	v_cvt_f32_f16_e32 v2, v2
	s_delay_alu instid0(VALU_DEP_1) | instskip(NEXT) | instid1(VALU_DEP_1)
	v_cvt_i32_f32_e32 v2, v2
	v_ashrrev_i32_e32 v3, 31, v2
.LBB126_2280:
	s_cbranch_execnz .LBB126_2291
.LBB126_2281:
	s_sext_i32_i16 s34, s0
	s_delay_alu instid0(SALU_CYCLE_1)
	s_cmp_lt_i32 s34, 6
	s_cbranch_scc1 .LBB126_2284
; %bb.2282:
	s_cmp_gt_i32 s34, 6
	s_cbranch_scc0 .LBB126_2285
; %bb.2283:
	s_wait_loadcnt 0x0
	global_load_b64 v[2:3], v[4:5], off
	s_mov_b32 s34, 0
	s_wait_loadcnt 0x0
	v_trunc_f64_e32 v[2:3], v[2:3]
	s_delay_alu instid0(VALU_DEP_1) | instskip(NEXT) | instid1(VALU_DEP_1)
	v_ldexp_f64 v[6:7], v[2:3], 0xffffffe0
	v_floor_f64_e32 v[6:7], v[6:7]
	s_delay_alu instid0(VALU_DEP_1) | instskip(SKIP_1) | instid1(VALU_DEP_2)
	v_fmamk_f64 v[8:9], v[6:7], 0xc1f00000, v[2:3]
	v_cvt_i32_f64_e32 v3, v[6:7]
	v_cvt_u32_f64_e32 v2, v[8:9]
	s_branch .LBB126_2286
.LBB126_2284:
	s_mov_b32 s34, -1
                                        ; implicit-def: $vgpr2_vgpr3
	s_branch .LBB126_2289
.LBB126_2285:
	s_mov_b32 s34, -1
                                        ; implicit-def: $vgpr2_vgpr3
.LBB126_2286:
	s_delay_alu instid0(SALU_CYCLE_1)
	s_and_not1_b32 vcc_lo, exec_lo, s34
	s_cbranch_vccnz .LBB126_2288
; %bb.2287:
	s_wait_loadcnt 0x0
	global_load_b32 v2, v[4:5], off
	s_wait_loadcnt 0x0
	v_trunc_f32_e32 v2, v2
	s_delay_alu instid0(VALU_DEP_1) | instskip(NEXT) | instid1(VALU_DEP_1)
	v_mul_f32_e64 v3, 0x2f800000, |v2|
	v_floor_f32_e32 v3, v3
	s_delay_alu instid0(VALU_DEP_1) | instskip(SKIP_2) | instid1(VALU_DEP_3)
	v_fma_f32 v6, 0xcf800000, v3, |v2|
	v_ashrrev_i32_e32 v2, 31, v2
	v_cvt_u32_f32_e32 v7, v3
	v_cvt_u32_f32_e32 v6, v6
	s_delay_alu instid0(VALU_DEP_2) | instskip(NEXT) | instid1(VALU_DEP_2)
	v_dual_mov_b32 v3, v2 :: v_dual_bitop2_b32 v7, v7, v2 bitop3:0x14
	v_xor_b32_e32 v6, v6, v2
	s_delay_alu instid0(VALU_DEP_1)
	v_sub_nc_u64_e32 v[2:3], v[6:7], v[2:3]
.LBB126_2288:
	s_mov_b32 s34, 0
.LBB126_2289:
	s_delay_alu instid0(SALU_CYCLE_1)
	s_and_not1_b32 vcc_lo, exec_lo, s34
	s_cbranch_vccnz .LBB126_2291
; %bb.2290:
	s_wait_loadcnt 0x0
	global_load_u16 v2, v[4:5], off
	s_wait_loadcnt 0x0
	v_cvt_f32_f16_e32 v2, v2
	s_delay_alu instid0(VALU_DEP_1) | instskip(NEXT) | instid1(VALU_DEP_1)
	v_cvt_i32_f32_e32 v2, v2
	v_ashrrev_i32_e32 v3, 31, v2
.LBB126_2291:
	s_cbranch_execnz .LBB126_2310
.LBB126_2292:
	s_sext_i32_i16 s34, s0
	s_delay_alu instid0(SALU_CYCLE_1)
	s_cmp_lt_i32 s34, 2
	s_cbranch_scc1 .LBB126_2296
; %bb.2293:
	s_cmp_lt_i32 s34, 3
	s_cbranch_scc1 .LBB126_2297
; %bb.2294:
	s_cmp_gt_i32 s34, 3
	s_cbranch_scc0 .LBB126_2298
; %bb.2295:
	s_wait_loadcnt 0x0
	global_load_b64 v[2:3], v[4:5], off
	s_mov_b32 s34, 0
	s_branch .LBB126_2299
.LBB126_2296:
                                        ; implicit-def: $vgpr2_vgpr3
	s_branch .LBB126_2305
.LBB126_2297:
	s_mov_b32 s34, -1
                                        ; implicit-def: $vgpr2_vgpr3
	s_branch .LBB126_2302
.LBB126_2298:
	s_mov_b32 s34, -1
                                        ; implicit-def: $vgpr2_vgpr3
.LBB126_2299:
	s_delay_alu instid0(SALU_CYCLE_1)
	s_and_not1_b32 vcc_lo, exec_lo, s34
	s_cbranch_vccnz .LBB126_2301
; %bb.2300:
	s_wait_loadcnt 0x0
	global_load_b32 v2, v[4:5], off
	s_wait_loadcnt 0x0
	v_ashrrev_i32_e32 v3, 31, v2
.LBB126_2301:
	s_mov_b32 s34, 0
.LBB126_2302:
	s_delay_alu instid0(SALU_CYCLE_1)
	s_and_not1_b32 vcc_lo, exec_lo, s34
	s_cbranch_vccnz .LBB126_2304
; %bb.2303:
	s_wait_loadcnt 0x0
	global_load_u16 v2, v[4:5], off
	s_wait_loadcnt 0x0
	v_bfe_i32 v2, v2, 0, 16
	s_delay_alu instid0(VALU_DEP_1)
	v_ashrrev_i32_e32 v3, 31, v2
.LBB126_2304:
	s_cbranch_execnz .LBB126_2310
.LBB126_2305:
	s_sext_i32_i16 s0, s0
	s_delay_alu instid0(SALU_CYCLE_1)
	s_cmp_gt_i32 s0, 0
	s_mov_b32 s0, 0
	s_cbranch_scc0 .LBB126_2307
; %bb.2306:
	s_wait_loadcnt 0x0
	global_load_i8 v2, v[4:5], off
	s_wait_loadcnt 0x0
	v_bfe_i32 v2, v2, 0, 16
	s_delay_alu instid0(VALU_DEP_1)
	v_ashrrev_i32_e32 v3, 31, v2
	s_branch .LBB126_2308
.LBB126_2307:
	s_mov_b32 s0, -1
                                        ; implicit-def: $vgpr2_vgpr3
.LBB126_2308:
	s_delay_alu instid0(SALU_CYCLE_1)
	s_and_not1_b32 vcc_lo, exec_lo, s0
	s_cbranch_vccnz .LBB126_2310
; %bb.2309:
	s_wait_loadcnt 0x0
	global_load_u8 v2, v[4:5], off
	s_mov_b32 s0, 0
	s_delay_alu instid0(SALU_CYCLE_1)
	v_mov_b32_e32 v3, s0
	s_wait_loadcnt 0x0
	v_and_b32_e32 v2, 0xffff, v2
.LBB126_2310:
	s_or_b32 s44, s44, exec_lo
.LBB126_2311:
	s_wait_xcnt 0x0
	s_or_b32 exec_lo, exec_lo, s31
	s_mov_b32 s35, 0
	s_mov_b32 s45, 0
	;; [unrolled: 1-line block ×3, first 2 shown]
                                        ; implicit-def: $sgpr0
                                        ; implicit-def: $vgpr6_vgpr7
                                        ; implicit-def: $vgpr4_vgpr5
	s_and_saveexec_b32 s31, s44
	s_cbranch_execz .LBB126_2319
; %bb.2312:
	s_wait_loadcnt 0x0
	v_mul_lo_u32 v4, v22, s19
	s_and_b32 s0, s28, 0xff
	s_delay_alu instid0(SALU_CYCLE_1) | instskip(NEXT) | instid1(VALU_DEP_1)
	s_cmp_lt_i32 s0, 11
	v_ashrrev_i32_e32 v5, 31, v4
	s_delay_alu instid0(VALU_DEP_1)
	v_add_nc_u64_e32 v[6:7], s[10:11], v[4:5]
	s_cbranch_scc1 .LBB126_2322
; %bb.2313:
	s_and_b32 s34, 0xffff, s0
	s_mov_b32 s44, 0
	s_cmp_gt_i32 s34, 25
	s_cbranch_scc0 .LBB126_2323
; %bb.2314:
	s_cmp_gt_i32 s34, 28
	s_cbranch_scc0 .LBB126_2324
; %bb.2315:
	;; [unrolled: 3-line block ×4, first 2 shown]
	s_cmp_eq_u32 s34, 46
	s_mov_b32 s46, 0
	s_cbranch_scc0 .LBB126_2327
; %bb.2318:
	global_load_b32 v4, v[6:7], off
	s_mov_b32 s45, -1
	s_wait_loadcnt 0x0
	v_lshlrev_b32_e32 v4, 16, v4
	s_delay_alu instid0(VALU_DEP_1) | instskip(NEXT) | instid1(VALU_DEP_1)
	v_trunc_f32_e32 v4, v4
	v_mul_f32_e64 v5, 0x2f800000, |v4|
	s_delay_alu instid0(VALU_DEP_1) | instskip(NEXT) | instid1(VALU_DEP_1)
	v_floor_f32_e32 v5, v5
	v_fma_f32 v8, 0xcf800000, v5, |v4|
	v_ashrrev_i32_e32 v4, 31, v4
	v_cvt_u32_f32_e32 v9, v5
	s_delay_alu instid0(VALU_DEP_3) | instskip(NEXT) | instid1(VALU_DEP_2)
	v_cvt_u32_f32_e32 v8, v8
	v_dual_mov_b32 v5, v4 :: v_dual_bitop2_b32 v9, v9, v4 bitop3:0x14
	s_delay_alu instid0(VALU_DEP_2) | instskip(NEXT) | instid1(VALU_DEP_1)
	v_xor_b32_e32 v8, v8, v4
	v_sub_nc_u64_e32 v[4:5], v[8:9], v[4:5]
	s_branch .LBB126_2329
.LBB126_2319:
	s_or_b32 exec_lo, exec_lo, s31
	s_and_saveexec_b32 s31, s69
	s_cbranch_execnz .LBB126_2388
.LBB126_2320:
	s_or_b32 exec_lo, exec_lo, s31
	s_and_saveexec_b32 s31, s35
	s_delay_alu instid0(SALU_CYCLE_1)
	s_xor_b32 s31, exec_lo, s31
	s_cbranch_execz .LBB126_2389
.LBB126_2321:
	s_wait_loadcnt 0x0
	global_load_u8 v4, v[6:7], off
	s_mov_b32 s35, 0
	s_or_b32 s34, s34, exec_lo
	v_mov_b32_e32 v5, s35
	s_wait_loadcnt 0x0
	v_cmp_ne_u16_e32 vcc_lo, 0, v4
	v_cndmask_b32_e64 v4, 0, 1, vcc_lo
	s_wait_xcnt 0x0
	s_or_b32 exec_lo, exec_lo, s31
	s_and_saveexec_b32 s31, s45
	s_cbranch_execz .LBB126_2435
	s_branch .LBB126_2390
.LBB126_2322:
	s_mov_b32 s46, -1
	s_mov_b32 s44, 0
	s_mov_b32 s35, s69
                                        ; implicit-def: $vgpr4_vgpr5
	s_branch .LBB126_2387
.LBB126_2323:
	s_mov_b32 s35, s69
                                        ; implicit-def: $vgpr4_vgpr5
	s_cbranch_execnz .LBB126_2356
	s_branch .LBB126_2386
.LBB126_2324:
	s_mov_b32 s46, -1
	s_mov_b32 s35, s69
                                        ; implicit-def: $vgpr4_vgpr5
	s_branch .LBB126_2339
.LBB126_2325:
	s_mov_b32 s46, -1
	s_mov_b32 s35, s69
                                        ; implicit-def: $vgpr4_vgpr5
	s_branch .LBB126_2334
.LBB126_2326:
	s_mov_b32 s46, -1
	s_mov_b32 s35, s69
	s_branch .LBB126_2328
.LBB126_2327:
	s_mov_b32 s35, -1
.LBB126_2328:
                                        ; implicit-def: $vgpr4_vgpr5
.LBB126_2329:
	s_and_b32 vcc_lo, exec_lo, s46
	s_cbranch_vccz .LBB126_2333
; %bb.2330:
	s_cmp_eq_u32 s34, 44
	s_cbranch_scc0 .LBB126_2332
; %bb.2331:
	global_load_u8 v10, v[6:7], off
	s_mov_b32 s35, 0
	s_mov_b32 s45, -1
	s_wait_loadcnt 0x0
	v_cmp_ne_u32_e32 vcc_lo, 0, v10
	v_lshlrev_b32_e32 v4, 23, v10
	s_delay_alu instid0(VALU_DEP_1) | instskip(NEXT) | instid1(VALU_DEP_1)
	v_trunc_f32_e32 v4, v4
	v_mul_f32_e64 v5, 0x2f800000, |v4|
	s_delay_alu instid0(VALU_DEP_1) | instskip(NEXT) | instid1(VALU_DEP_1)
	v_floor_f32_e32 v5, v5
	v_fma_f32 v8, 0xcf800000, v5, |v4|
	v_ashrrev_i32_e32 v4, 31, v4
	v_cvt_u32_f32_e32 v9, v5
	s_delay_alu instid0(VALU_DEP_3) | instskip(NEXT) | instid1(VALU_DEP_2)
	v_cvt_u32_f32_e32 v8, v8
	v_dual_mov_b32 v5, v4 :: v_dual_bitop2_b32 v9, v9, v4 bitop3:0x14
	s_delay_alu instid0(VALU_DEP_2) | instskip(NEXT) | instid1(VALU_DEP_1)
	v_xor_b32_e32 v8, v8, v4
	v_sub_nc_u64_e32 v[4:5], v[8:9], v[4:5]
	s_delay_alu instid0(VALU_DEP_1)
	v_dual_cndmask_b32 v5, 0, v5 :: v_dual_cndmask_b32 v4, 0, v4
	s_branch .LBB126_2333
.LBB126_2332:
	s_mov_b32 s35, -1
                                        ; implicit-def: $vgpr4_vgpr5
.LBB126_2333:
	s_mov_b32 s46, 0
.LBB126_2334:
	s_delay_alu instid0(SALU_CYCLE_1)
	s_and_b32 vcc_lo, exec_lo, s46
	s_cbranch_vccz .LBB126_2338
; %bb.2335:
	s_cmp_eq_u32 s34, 29
	s_cbranch_scc0 .LBB126_2337
; %bb.2336:
	global_load_b64 v[4:5], v[6:7], off
	s_mov_b32 s35, 0
	s_mov_b32 s45, -1
	s_branch .LBB126_2338
.LBB126_2337:
	s_mov_b32 s35, -1
                                        ; implicit-def: $vgpr4_vgpr5
.LBB126_2338:
	s_mov_b32 s46, 0
.LBB126_2339:
	s_delay_alu instid0(SALU_CYCLE_1)
	s_and_b32 vcc_lo, exec_lo, s46
	s_cbranch_vccz .LBB126_2355
; %bb.2340:
	s_cmp_lt_i32 s34, 27
	s_cbranch_scc1 .LBB126_2343
; %bb.2341:
	s_cmp_gt_i32 s34, 27
	s_cbranch_scc0 .LBB126_2344
; %bb.2342:
	s_wait_loadcnt 0x0
	global_load_b32 v4, v[6:7], off
	v_mov_b32_e32 v5, 0
	s_mov_b32 s45, 0
	s_branch .LBB126_2345
.LBB126_2343:
	s_mov_b32 s45, -1
                                        ; implicit-def: $vgpr4_vgpr5
	s_branch .LBB126_2348
.LBB126_2344:
	s_mov_b32 s45, -1
                                        ; implicit-def: $vgpr4_vgpr5
.LBB126_2345:
	s_delay_alu instid0(SALU_CYCLE_1)
	s_and_not1_b32 vcc_lo, exec_lo, s45
	s_cbranch_vccnz .LBB126_2347
; %bb.2346:
	s_wait_loadcnt 0x0
	global_load_u16 v4, v[6:7], off
	s_mov_b32 s45, 0
	s_delay_alu instid0(SALU_CYCLE_1)
	v_mov_b32_e32 v5, s45
	s_wait_loadcnt 0x0
	v_and_b32_e32 v4, 0xffff, v4
.LBB126_2347:
	s_mov_b32 s45, 0
.LBB126_2348:
	s_delay_alu instid0(SALU_CYCLE_1)
	s_and_not1_b32 vcc_lo, exec_lo, s45
	s_cbranch_vccnz .LBB126_2354
; %bb.2349:
	global_load_u8 v8, v[6:7], off
	s_mov_b32 s46, 0
	s_mov_b32 s45, exec_lo
	s_wait_loadcnt 0x0
	v_cmpx_lt_i16_e32 0x7f, v8
	s_xor_b32 s45, exec_lo, s45
	s_cbranch_execz .LBB126_2365
; %bb.2350:
	v_cmp_ne_u16_e32 vcc_lo, 0x80, v8
	s_and_b32 s46, vcc_lo, exec_lo
	s_and_not1_saveexec_b32 s45, s45
	s_cbranch_execnz .LBB126_2366
.LBB126_2351:
	s_or_b32 exec_lo, exec_lo, s45
	v_mov_b64_e32 v[4:5], 0
	s_and_saveexec_b32 s45, s46
	s_cbranch_execz .LBB126_2353
.LBB126_2352:
	v_and_b32_e32 v4, 0xffff, v8
	s_delay_alu instid0(VALU_DEP_1) | instskip(SKIP_1) | instid1(VALU_DEP_2)
	v_and_b32_e32 v5, 7, v4
	v_bfe_u32 v11, v4, 3, 4
	v_clz_i32_u32_e32 v9, v5
	s_delay_alu instid0(VALU_DEP_2) | instskip(NEXT) | instid1(VALU_DEP_2)
	v_cmp_eq_u32_e32 vcc_lo, 0, v11
	v_min_u32_e32 v9, 32, v9
	s_delay_alu instid0(VALU_DEP_1) | instskip(NEXT) | instid1(VALU_DEP_1)
	v_subrev_nc_u32_e32 v10, 28, v9
	v_dual_lshlrev_b32 v4, v10, v4 :: v_dual_sub_nc_u32 v9, 29, v9
	s_delay_alu instid0(VALU_DEP_1) | instskip(NEXT) | instid1(VALU_DEP_2)
	v_and_b32_e32 v4, 7, v4
	v_dual_cndmask_b32 v9, v11, v9 :: v_dual_lshlrev_b32 v8, 24, v8
	s_delay_alu instid0(VALU_DEP_2) | instskip(NEXT) | instid1(VALU_DEP_2)
	v_cndmask_b32_e32 v4, v5, v4, vcc_lo
	v_and_b32_e32 v5, 0x80000000, v8
	s_delay_alu instid0(VALU_DEP_3) | instskip(NEXT) | instid1(VALU_DEP_3)
	v_lshl_add_u32 v8, v9, 23, 0x3b800000
	v_lshlrev_b32_e32 v4, 20, v4
	s_delay_alu instid0(VALU_DEP_1) | instskip(NEXT) | instid1(VALU_DEP_1)
	v_or3_b32 v4, v5, v8, v4
	v_trunc_f32_e32 v4, v4
	s_delay_alu instid0(VALU_DEP_1) | instskip(NEXT) | instid1(VALU_DEP_1)
	v_mul_f32_e64 v5, 0x2f800000, |v4|
	v_floor_f32_e32 v5, v5
	s_delay_alu instid0(VALU_DEP_1) | instskip(SKIP_2) | instid1(VALU_DEP_3)
	v_fma_f32 v8, 0xcf800000, v5, |v4|
	v_ashrrev_i32_e32 v4, 31, v4
	v_cvt_u32_f32_e32 v9, v5
	v_cvt_u32_f32_e32 v8, v8
	s_delay_alu instid0(VALU_DEP_2) | instskip(NEXT) | instid1(VALU_DEP_2)
	v_dual_mov_b32 v5, v4 :: v_dual_bitop2_b32 v9, v9, v4 bitop3:0x14
	v_xor_b32_e32 v8, v8, v4
	s_delay_alu instid0(VALU_DEP_1)
	v_sub_nc_u64_e32 v[4:5], v[8:9], v[4:5]
.LBB126_2353:
	s_or_b32 exec_lo, exec_lo, s45
.LBB126_2354:
	s_mov_b32 s45, -1
.LBB126_2355:
	s_branch .LBB126_2386
.LBB126_2356:
	s_cmp_gt_i32 s34, 22
	s_cbranch_scc0 .LBB126_2364
; %bb.2357:
	s_cmp_lt_i32 s34, 24
	s_cbranch_scc1 .LBB126_2367
; %bb.2358:
	s_cmp_gt_i32 s34, 24
	s_cbranch_scc0 .LBB126_2368
; %bb.2359:
	global_load_u8 v8, v[6:7], off
	s_mov_b32 s45, 0
	s_mov_b32 s44, exec_lo
	s_wait_loadcnt 0x0
	v_cmpx_lt_i16_e32 0x7f, v8
	s_xor_b32 s44, exec_lo, s44
	s_cbranch_execz .LBB126_2380
; %bb.2360:
	v_cmp_ne_u16_e32 vcc_lo, 0x80, v8
	s_and_b32 s45, vcc_lo, exec_lo
	s_and_not1_saveexec_b32 s44, s44
	s_cbranch_execnz .LBB126_2381
.LBB126_2361:
	s_or_b32 exec_lo, exec_lo, s44
	v_mov_b64_e32 v[4:5], 0
	s_and_saveexec_b32 s44, s45
	s_cbranch_execz .LBB126_2363
.LBB126_2362:
	v_and_b32_e32 v4, 0xffff, v8
	s_delay_alu instid0(VALU_DEP_1) | instskip(SKIP_1) | instid1(VALU_DEP_2)
	v_and_b32_e32 v5, 3, v4
	v_bfe_u32 v11, v4, 2, 5
	v_clz_i32_u32_e32 v9, v5
	s_delay_alu instid0(VALU_DEP_2) | instskip(NEXT) | instid1(VALU_DEP_2)
	v_cmp_eq_u32_e32 vcc_lo, 0, v11
	v_min_u32_e32 v9, 32, v9
	s_delay_alu instid0(VALU_DEP_1) | instskip(NEXT) | instid1(VALU_DEP_1)
	v_subrev_nc_u32_e32 v10, 29, v9
	v_dual_lshlrev_b32 v4, v10, v4 :: v_dual_sub_nc_u32 v9, 30, v9
	s_delay_alu instid0(VALU_DEP_1) | instskip(NEXT) | instid1(VALU_DEP_2)
	v_and_b32_e32 v4, 3, v4
	v_dual_cndmask_b32 v9, v11, v9 :: v_dual_lshlrev_b32 v8, 24, v8
	s_delay_alu instid0(VALU_DEP_2) | instskip(NEXT) | instid1(VALU_DEP_2)
	v_cndmask_b32_e32 v4, v5, v4, vcc_lo
	v_and_b32_e32 v5, 0x80000000, v8
	s_delay_alu instid0(VALU_DEP_3) | instskip(NEXT) | instid1(VALU_DEP_3)
	v_lshl_add_u32 v8, v9, 23, 0x37800000
	v_lshlrev_b32_e32 v4, 21, v4
	s_delay_alu instid0(VALU_DEP_1) | instskip(NEXT) | instid1(VALU_DEP_1)
	v_or3_b32 v4, v5, v8, v4
	v_trunc_f32_e32 v4, v4
	s_delay_alu instid0(VALU_DEP_1) | instskip(NEXT) | instid1(VALU_DEP_1)
	v_mul_f32_e64 v5, 0x2f800000, |v4|
	v_floor_f32_e32 v5, v5
	s_delay_alu instid0(VALU_DEP_1) | instskip(SKIP_2) | instid1(VALU_DEP_3)
	v_fma_f32 v8, 0xcf800000, v5, |v4|
	v_ashrrev_i32_e32 v4, 31, v4
	v_cvt_u32_f32_e32 v9, v5
	v_cvt_u32_f32_e32 v8, v8
	s_delay_alu instid0(VALU_DEP_2) | instskip(NEXT) | instid1(VALU_DEP_2)
	v_dual_mov_b32 v5, v4 :: v_dual_bitop2_b32 v9, v9, v4 bitop3:0x14
	v_xor_b32_e32 v8, v8, v4
	s_delay_alu instid0(VALU_DEP_1)
	v_sub_nc_u64_e32 v[4:5], v[8:9], v[4:5]
.LBB126_2363:
	s_or_b32 exec_lo, exec_lo, s44
	s_mov_b32 s44, 0
	s_branch .LBB126_2369
.LBB126_2364:
	s_mov_b32 s44, -1
                                        ; implicit-def: $vgpr4_vgpr5
	s_branch .LBB126_2375
.LBB126_2365:
	s_and_not1_saveexec_b32 s45, s45
	s_cbranch_execz .LBB126_2351
.LBB126_2366:
	v_cmp_ne_u16_e32 vcc_lo, 0, v8
	s_and_not1_b32 s46, s46, exec_lo
	s_and_b32 s47, vcc_lo, exec_lo
	s_delay_alu instid0(SALU_CYCLE_1)
	s_or_b32 s46, s46, s47
	s_or_b32 exec_lo, exec_lo, s45
	v_mov_b64_e32 v[4:5], 0
	s_and_saveexec_b32 s45, s46
	s_cbranch_execnz .LBB126_2352
	s_branch .LBB126_2353
.LBB126_2367:
	s_mov_b32 s44, -1
                                        ; implicit-def: $vgpr4_vgpr5
	s_branch .LBB126_2372
.LBB126_2368:
	s_mov_b32 s44, -1
                                        ; implicit-def: $vgpr4_vgpr5
.LBB126_2369:
	s_delay_alu instid0(SALU_CYCLE_1)
	s_and_b32 vcc_lo, exec_lo, s44
	s_cbranch_vccz .LBB126_2371
; %bb.2370:
	s_wait_loadcnt 0x0
	global_load_u8 v4, v[6:7], off
	s_wait_loadcnt 0x0
	v_lshlrev_b32_e32 v4, 24, v4
	s_delay_alu instid0(VALU_DEP_1) | instskip(NEXT) | instid1(VALU_DEP_1)
	v_and_b32_e32 v5, 0x7f000000, v4
	v_clz_i32_u32_e32 v8, v5
	v_cmp_ne_u32_e32 vcc_lo, 0, v5
	v_add_nc_u32_e32 v10, 0x1000000, v5
	s_delay_alu instid0(VALU_DEP_3) | instskip(NEXT) | instid1(VALU_DEP_1)
	v_min_u32_e32 v8, 32, v8
	v_sub_nc_u32_e64 v8, v8, 4 clamp
	s_delay_alu instid0(VALU_DEP_1) | instskip(NEXT) | instid1(VALU_DEP_1)
	v_dual_lshlrev_b32 v9, v8, v5 :: v_dual_lshlrev_b32 v8, 23, v8
	v_lshrrev_b32_e32 v9, 4, v9
	s_delay_alu instid0(VALU_DEP_1) | instskip(NEXT) | instid1(VALU_DEP_1)
	v_dual_sub_nc_u32 v8, v9, v8 :: v_dual_ashrrev_i32 v9, 8, v10
	v_add_nc_u32_e32 v8, 0x3c000000, v8
	s_delay_alu instid0(VALU_DEP_1) | instskip(NEXT) | instid1(VALU_DEP_1)
	v_and_or_b32 v8, 0x7f800000, v9, v8
	v_cndmask_b32_e32 v5, 0, v8, vcc_lo
	s_delay_alu instid0(VALU_DEP_1) | instskip(NEXT) | instid1(VALU_DEP_1)
	v_and_or_b32 v4, 0x80000000, v4, v5
	v_trunc_f32_e32 v4, v4
	s_delay_alu instid0(VALU_DEP_1) | instskip(NEXT) | instid1(VALU_DEP_1)
	v_mul_f32_e64 v5, 0x2f800000, |v4|
	v_floor_f32_e32 v5, v5
	s_delay_alu instid0(VALU_DEP_1) | instskip(SKIP_2) | instid1(VALU_DEP_3)
	v_fma_f32 v8, 0xcf800000, v5, |v4|
	v_ashrrev_i32_e32 v4, 31, v4
	v_cvt_u32_f32_e32 v9, v5
	v_cvt_u32_f32_e32 v8, v8
	s_delay_alu instid0(VALU_DEP_2) | instskip(NEXT) | instid1(VALU_DEP_2)
	v_dual_mov_b32 v5, v4 :: v_dual_bitop2_b32 v9, v9, v4 bitop3:0x14
	v_xor_b32_e32 v8, v8, v4
	s_delay_alu instid0(VALU_DEP_1)
	v_sub_nc_u64_e32 v[4:5], v[8:9], v[4:5]
.LBB126_2371:
	s_mov_b32 s44, 0
.LBB126_2372:
	s_delay_alu instid0(SALU_CYCLE_1)
	s_and_not1_b32 vcc_lo, exec_lo, s44
	s_cbranch_vccnz .LBB126_2374
; %bb.2373:
	s_wait_loadcnt 0x0
	global_load_u8 v4, v[6:7], off
	s_wait_loadcnt 0x0
	v_lshlrev_b32_e32 v5, 25, v4
	v_lshlrev_b16 v4, 8, v4
	s_delay_alu instid0(VALU_DEP_1) | instskip(SKIP_1) | instid1(VALU_DEP_2)
	v_and_or_b32 v9, 0x7f00, v4, 0.5
	v_bfe_i32 v4, v4, 0, 16
	v_add_f32_e32 v9, -0.5, v9
	v_lshrrev_b32_e32 v8, 4, v5
	v_cmp_gt_u32_e32 vcc_lo, 0x8000000, v5
	s_delay_alu instid0(VALU_DEP_2) | instskip(NEXT) | instid1(VALU_DEP_1)
	v_or_b32_e32 v8, 0x70000000, v8
	v_mul_f32_e32 v8, 0x7800000, v8
	s_delay_alu instid0(VALU_DEP_1) | instskip(NEXT) | instid1(VALU_DEP_1)
	v_cndmask_b32_e32 v5, v8, v9, vcc_lo
	v_and_or_b32 v4, 0x80000000, v4, v5
	s_delay_alu instid0(VALU_DEP_1) | instskip(NEXT) | instid1(VALU_DEP_1)
	v_trunc_f32_e32 v4, v4
	v_mul_f32_e64 v5, 0x2f800000, |v4|
	s_delay_alu instid0(VALU_DEP_1) | instskip(NEXT) | instid1(VALU_DEP_1)
	v_floor_f32_e32 v5, v5
	v_fma_f32 v8, 0xcf800000, v5, |v4|
	v_ashrrev_i32_e32 v4, 31, v4
	v_cvt_u32_f32_e32 v9, v5
	s_delay_alu instid0(VALU_DEP_3) | instskip(NEXT) | instid1(VALU_DEP_2)
	v_cvt_u32_f32_e32 v8, v8
	v_dual_mov_b32 v5, v4 :: v_dual_bitop2_b32 v9, v9, v4 bitop3:0x14
	s_delay_alu instid0(VALU_DEP_2) | instskip(NEXT) | instid1(VALU_DEP_1)
	v_xor_b32_e32 v8, v8, v4
	v_sub_nc_u64_e32 v[4:5], v[8:9], v[4:5]
.LBB126_2374:
	s_mov_b32 s44, 0
	s_mov_b32 s45, -1
.LBB126_2375:
	s_and_not1_b32 vcc_lo, exec_lo, s44
	s_mov_b32 s44, 0
	s_cbranch_vccnz .LBB126_2386
; %bb.2376:
	s_cmp_gt_i32 s34, 14
	s_cbranch_scc0 .LBB126_2379
; %bb.2377:
	s_cmp_eq_u32 s34, 15
	s_cbranch_scc0 .LBB126_2382
; %bb.2378:
	s_wait_loadcnt 0x0
	global_load_u16 v4, v[6:7], off
	s_mov_b32 s35, 0
	s_mov_b32 s45, -1
	s_wait_loadcnt 0x0
	v_lshlrev_b32_e32 v4, 16, v4
	s_delay_alu instid0(VALU_DEP_1) | instskip(NEXT) | instid1(VALU_DEP_1)
	v_trunc_f32_e32 v4, v4
	v_mul_f32_e64 v5, 0x2f800000, |v4|
	s_delay_alu instid0(VALU_DEP_1) | instskip(NEXT) | instid1(VALU_DEP_1)
	v_floor_f32_e32 v5, v5
	v_fma_f32 v8, 0xcf800000, v5, |v4|
	v_ashrrev_i32_e32 v4, 31, v4
	v_cvt_u32_f32_e32 v9, v5
	s_delay_alu instid0(VALU_DEP_3) | instskip(NEXT) | instid1(VALU_DEP_2)
	v_cvt_u32_f32_e32 v8, v8
	v_dual_mov_b32 v5, v4 :: v_dual_bitop2_b32 v9, v9, v4 bitop3:0x14
	s_delay_alu instid0(VALU_DEP_2) | instskip(NEXT) | instid1(VALU_DEP_1)
	v_xor_b32_e32 v8, v8, v4
	v_sub_nc_u64_e32 v[4:5], v[8:9], v[4:5]
	s_branch .LBB126_2384
.LBB126_2379:
	s_mov_b32 s44, -1
	s_branch .LBB126_2383
.LBB126_2380:
	s_and_not1_saveexec_b32 s44, s44
	s_cbranch_execz .LBB126_2361
.LBB126_2381:
	v_cmp_ne_u16_e32 vcc_lo, 0, v8
	s_and_not1_b32 s45, s45, exec_lo
	s_and_b32 s46, vcc_lo, exec_lo
	s_delay_alu instid0(SALU_CYCLE_1)
	s_or_b32 s45, s45, s46
	s_or_b32 exec_lo, exec_lo, s44
	v_mov_b64_e32 v[4:5], 0
	s_and_saveexec_b32 s44, s45
	s_cbranch_execnz .LBB126_2362
	s_branch .LBB126_2363
.LBB126_2382:
	s_mov_b32 s35, -1
.LBB126_2383:
                                        ; implicit-def: $vgpr4_vgpr5
.LBB126_2384:
	s_and_b32 vcc_lo, exec_lo, s44
	s_mov_b32 s44, 0
	s_cbranch_vccz .LBB126_2386
; %bb.2385:
	s_cmp_lg_u32 s34, 11
	s_mov_b32 s44, -1
	s_cselect_b32 s34, -1, 0
	s_and_not1_b32 s35, s35, exec_lo
	s_and_b32 s34, s34, exec_lo
	s_delay_alu instid0(SALU_CYCLE_1)
	s_or_b32 s35, s35, s34
.LBB126_2386:
	s_mov_b32 s46, 0
.LBB126_2387:
	s_and_b32 s34, s45, exec_lo
	s_and_b32 s45, s46, exec_lo
	s_and_not1_b32 s46, s69, exec_lo
	s_and_b32 s47, s35, exec_lo
	s_and_b32 s35, s44, exec_lo
	s_or_b32 s69, s46, s47
	s_wait_xcnt 0x0
	s_or_b32 exec_lo, exec_lo, s31
	s_and_saveexec_b32 s31, s69
	s_cbranch_execz .LBB126_2320
.LBB126_2388:
	s_or_b32 s1, s1, exec_lo
	s_and_not1_b32 s35, s35, exec_lo
	s_trap 2
	s_or_b32 exec_lo, exec_lo, s31
	s_and_saveexec_b32 s31, s35
	s_delay_alu instid0(SALU_CYCLE_1)
	s_xor_b32 s31, exec_lo, s31
	s_cbranch_execnz .LBB126_2321
.LBB126_2389:
	s_or_b32 exec_lo, exec_lo, s31
	s_and_saveexec_b32 s31, s45
	s_cbranch_execz .LBB126_2435
.LBB126_2390:
	s_sext_i32_i16 s35, s0
	s_delay_alu instid0(SALU_CYCLE_1)
	s_cmp_lt_i32 s35, 5
	s_cbranch_scc1 .LBB126_2395
; %bb.2391:
	s_cmp_lt_i32 s35, 8
	s_cbranch_scc1 .LBB126_2396
; %bb.2392:
	;; [unrolled: 3-line block ×3, first 2 shown]
	s_cmp_gt_i32 s35, 9
	s_cbranch_scc0 .LBB126_2398
; %bb.2394:
	s_wait_loadcnt 0x0
	global_load_b64 v[4:5], v[6:7], off
	s_mov_b32 s35, 0
	s_wait_loadcnt 0x0
	v_trunc_f64_e32 v[4:5], v[4:5]
	s_delay_alu instid0(VALU_DEP_1) | instskip(NEXT) | instid1(VALU_DEP_1)
	v_ldexp_f64 v[8:9], v[4:5], 0xffffffe0
	v_floor_f64_e32 v[8:9], v[8:9]
	s_delay_alu instid0(VALU_DEP_1) | instskip(SKIP_1) | instid1(VALU_DEP_2)
	v_fmamk_f64 v[10:11], v[8:9], 0xc1f00000, v[4:5]
	v_cvt_i32_f64_e32 v5, v[8:9]
	v_cvt_u32_f64_e32 v4, v[10:11]
	s_branch .LBB126_2399
.LBB126_2395:
                                        ; implicit-def: $vgpr4_vgpr5
	s_branch .LBB126_2416
.LBB126_2396:
                                        ; implicit-def: $vgpr4_vgpr5
	s_branch .LBB126_2405
.LBB126_2397:
	s_mov_b32 s35, -1
                                        ; implicit-def: $vgpr4_vgpr5
	s_branch .LBB126_2402
.LBB126_2398:
	s_mov_b32 s35, -1
                                        ; implicit-def: $vgpr4_vgpr5
.LBB126_2399:
	s_delay_alu instid0(SALU_CYCLE_1)
	s_and_not1_b32 vcc_lo, exec_lo, s35
	s_cbranch_vccnz .LBB126_2401
; %bb.2400:
	s_wait_loadcnt 0x0
	global_load_b32 v4, v[6:7], off
	s_wait_loadcnt 0x0
	v_trunc_f32_e32 v4, v4
	s_delay_alu instid0(VALU_DEP_1) | instskip(NEXT) | instid1(VALU_DEP_1)
	v_mul_f32_e64 v5, 0x2f800000, |v4|
	v_floor_f32_e32 v5, v5
	s_delay_alu instid0(VALU_DEP_1) | instskip(SKIP_2) | instid1(VALU_DEP_3)
	v_fma_f32 v8, 0xcf800000, v5, |v4|
	v_ashrrev_i32_e32 v4, 31, v4
	v_cvt_u32_f32_e32 v9, v5
	v_cvt_u32_f32_e32 v8, v8
	s_delay_alu instid0(VALU_DEP_2) | instskip(NEXT) | instid1(VALU_DEP_2)
	v_dual_mov_b32 v5, v4 :: v_dual_bitop2_b32 v9, v9, v4 bitop3:0x14
	v_xor_b32_e32 v8, v8, v4
	s_delay_alu instid0(VALU_DEP_1)
	v_sub_nc_u64_e32 v[4:5], v[8:9], v[4:5]
.LBB126_2401:
	s_mov_b32 s35, 0
.LBB126_2402:
	s_delay_alu instid0(SALU_CYCLE_1)
	s_and_not1_b32 vcc_lo, exec_lo, s35
	s_cbranch_vccnz .LBB126_2404
; %bb.2403:
	s_wait_loadcnt 0x0
	global_load_b32 v4, v[6:7], off
	s_wait_loadcnt 0x0
	v_cvt_f32_f16_e32 v4, v4
	s_delay_alu instid0(VALU_DEP_1) | instskip(NEXT) | instid1(VALU_DEP_1)
	v_cvt_i32_f32_e32 v4, v4
	v_ashrrev_i32_e32 v5, 31, v4
.LBB126_2404:
	s_cbranch_execnz .LBB126_2415
.LBB126_2405:
	s_sext_i32_i16 s35, s0
	s_delay_alu instid0(SALU_CYCLE_1)
	s_cmp_lt_i32 s35, 6
	s_cbranch_scc1 .LBB126_2408
; %bb.2406:
	s_cmp_gt_i32 s35, 6
	s_cbranch_scc0 .LBB126_2409
; %bb.2407:
	s_wait_loadcnt 0x0
	global_load_b64 v[4:5], v[6:7], off
	s_mov_b32 s35, 0
	s_wait_loadcnt 0x0
	v_trunc_f64_e32 v[4:5], v[4:5]
	s_delay_alu instid0(VALU_DEP_1) | instskip(NEXT) | instid1(VALU_DEP_1)
	v_ldexp_f64 v[8:9], v[4:5], 0xffffffe0
	v_floor_f64_e32 v[8:9], v[8:9]
	s_delay_alu instid0(VALU_DEP_1) | instskip(SKIP_1) | instid1(VALU_DEP_2)
	v_fmamk_f64 v[10:11], v[8:9], 0xc1f00000, v[4:5]
	v_cvt_i32_f64_e32 v5, v[8:9]
	v_cvt_u32_f64_e32 v4, v[10:11]
	s_branch .LBB126_2410
.LBB126_2408:
	s_mov_b32 s35, -1
                                        ; implicit-def: $vgpr4_vgpr5
	s_branch .LBB126_2413
.LBB126_2409:
	s_mov_b32 s35, -1
                                        ; implicit-def: $vgpr4_vgpr5
.LBB126_2410:
	s_delay_alu instid0(SALU_CYCLE_1)
	s_and_not1_b32 vcc_lo, exec_lo, s35
	s_cbranch_vccnz .LBB126_2412
; %bb.2411:
	s_wait_loadcnt 0x0
	global_load_b32 v4, v[6:7], off
	s_wait_loadcnt 0x0
	v_trunc_f32_e32 v4, v4
	s_delay_alu instid0(VALU_DEP_1) | instskip(NEXT) | instid1(VALU_DEP_1)
	v_mul_f32_e64 v5, 0x2f800000, |v4|
	v_floor_f32_e32 v5, v5
	s_delay_alu instid0(VALU_DEP_1) | instskip(SKIP_2) | instid1(VALU_DEP_3)
	v_fma_f32 v8, 0xcf800000, v5, |v4|
	v_ashrrev_i32_e32 v4, 31, v4
	v_cvt_u32_f32_e32 v9, v5
	v_cvt_u32_f32_e32 v8, v8
	s_delay_alu instid0(VALU_DEP_2) | instskip(NEXT) | instid1(VALU_DEP_2)
	v_dual_mov_b32 v5, v4 :: v_dual_bitop2_b32 v9, v9, v4 bitop3:0x14
	v_xor_b32_e32 v8, v8, v4
	s_delay_alu instid0(VALU_DEP_1)
	v_sub_nc_u64_e32 v[4:5], v[8:9], v[4:5]
.LBB126_2412:
	s_mov_b32 s35, 0
.LBB126_2413:
	s_delay_alu instid0(SALU_CYCLE_1)
	s_and_not1_b32 vcc_lo, exec_lo, s35
	s_cbranch_vccnz .LBB126_2415
; %bb.2414:
	s_wait_loadcnt 0x0
	global_load_u16 v4, v[6:7], off
	s_wait_loadcnt 0x0
	v_cvt_f32_f16_e32 v4, v4
	s_delay_alu instid0(VALU_DEP_1) | instskip(NEXT) | instid1(VALU_DEP_1)
	v_cvt_i32_f32_e32 v4, v4
	v_ashrrev_i32_e32 v5, 31, v4
.LBB126_2415:
	s_cbranch_execnz .LBB126_2434
.LBB126_2416:
	s_sext_i32_i16 s35, s0
	s_delay_alu instid0(SALU_CYCLE_1)
	s_cmp_lt_i32 s35, 2
	s_cbranch_scc1 .LBB126_2420
; %bb.2417:
	s_cmp_lt_i32 s35, 3
	s_cbranch_scc1 .LBB126_2421
; %bb.2418:
	s_cmp_gt_i32 s35, 3
	s_cbranch_scc0 .LBB126_2422
; %bb.2419:
	s_wait_loadcnt 0x0
	global_load_b64 v[4:5], v[6:7], off
	s_mov_b32 s35, 0
	s_branch .LBB126_2423
.LBB126_2420:
                                        ; implicit-def: $vgpr4_vgpr5
	s_branch .LBB126_2429
.LBB126_2421:
	s_mov_b32 s35, -1
                                        ; implicit-def: $vgpr4_vgpr5
	s_branch .LBB126_2426
.LBB126_2422:
	s_mov_b32 s35, -1
                                        ; implicit-def: $vgpr4_vgpr5
.LBB126_2423:
	s_delay_alu instid0(SALU_CYCLE_1)
	s_and_not1_b32 vcc_lo, exec_lo, s35
	s_cbranch_vccnz .LBB126_2425
; %bb.2424:
	s_wait_loadcnt 0x0
	global_load_b32 v4, v[6:7], off
	s_wait_loadcnt 0x0
	v_ashrrev_i32_e32 v5, 31, v4
.LBB126_2425:
	s_mov_b32 s35, 0
.LBB126_2426:
	s_delay_alu instid0(SALU_CYCLE_1)
	s_and_not1_b32 vcc_lo, exec_lo, s35
	s_cbranch_vccnz .LBB126_2428
; %bb.2427:
	s_wait_loadcnt 0x0
	global_load_u16 v4, v[6:7], off
	s_wait_loadcnt 0x0
	v_bfe_i32 v4, v4, 0, 16
	s_delay_alu instid0(VALU_DEP_1)
	v_ashrrev_i32_e32 v5, 31, v4
.LBB126_2428:
	s_cbranch_execnz .LBB126_2434
.LBB126_2429:
	s_sext_i32_i16 s0, s0
	s_delay_alu instid0(SALU_CYCLE_1)
	s_cmp_gt_i32 s0, 0
	s_mov_b32 s0, 0
	s_cbranch_scc0 .LBB126_2431
; %bb.2430:
	s_wait_loadcnt 0x0
	global_load_i8 v4, v[6:7], off
	s_wait_loadcnt 0x0
	v_bfe_i32 v4, v4, 0, 16
	s_delay_alu instid0(VALU_DEP_1)
	v_ashrrev_i32_e32 v5, 31, v4
	s_branch .LBB126_2432
.LBB126_2431:
	s_mov_b32 s0, -1
                                        ; implicit-def: $vgpr4_vgpr5
.LBB126_2432:
	s_delay_alu instid0(SALU_CYCLE_1)
	s_and_not1_b32 vcc_lo, exec_lo, s0
	s_cbranch_vccnz .LBB126_2434
; %bb.2433:
	s_wait_loadcnt 0x0
	global_load_u8 v4, v[6:7], off
	s_mov_b32 s0, 0
	s_delay_alu instid0(SALU_CYCLE_1)
	v_mov_b32_e32 v5, s0
	s_wait_loadcnt 0x0
	v_and_b32_e32 v4, 0xffff, v4
.LBB126_2434:
	s_or_b32 s34, s34, exec_lo
.LBB126_2435:
	s_wait_xcnt 0x0
	s_or_b32 exec_lo, exec_lo, s31
	s_mov_b32 s35, 0
	s_mov_b32 s46, 0
	;; [unrolled: 1-line block ×3, first 2 shown]
                                        ; implicit-def: $sgpr0
                                        ; implicit-def: $vgpr8_vgpr9
                                        ; implicit-def: $vgpr6_vgpr7
	s_and_saveexec_b32 s31, s34
	s_cbranch_execz .LBB126_2443
; %bb.2436:
	s_wait_loadcnt 0x0
	v_mul_lo_u32 v6, v22, s2
	s_and_b32 s0, s27, 0xff
	s_delay_alu instid0(SALU_CYCLE_1) | instskip(NEXT) | instid1(VALU_DEP_1)
	s_cmp_lt_i32 s0, 11
	v_ashrrev_i32_e32 v7, 31, v6
	s_delay_alu instid0(VALU_DEP_1)
	v_add_nc_u64_e32 v[8:9], s[12:13], v[6:7]
	s_cbranch_scc1 .LBB126_2446
; %bb.2437:
	s_and_b32 s34, 0xffff, s0
	s_mov_b32 s45, 0
	s_cmp_gt_i32 s34, 25
	s_cbranch_scc0 .LBB126_2447
; %bb.2438:
	s_cmp_gt_i32 s34, 28
	s_cbranch_scc0 .LBB126_2448
; %bb.2439:
	;; [unrolled: 3-line block ×4, first 2 shown]
	s_cmp_eq_u32 s34, 46
	s_cbranch_scc0 .LBB126_2451
; %bb.2442:
	global_load_b32 v6, v[8:9], off
	s_mov_b32 s44, -1
	s_wait_loadcnt 0x0
	v_lshlrev_b32_e32 v6, 16, v6
	s_delay_alu instid0(VALU_DEP_1) | instskip(NEXT) | instid1(VALU_DEP_1)
	v_trunc_f32_e32 v6, v6
	v_mul_f32_e64 v7, 0x2f800000, |v6|
	s_delay_alu instid0(VALU_DEP_1) | instskip(NEXT) | instid1(VALU_DEP_1)
	v_floor_f32_e32 v7, v7
	v_fma_f32 v10, 0xcf800000, v7, |v6|
	v_ashrrev_i32_e32 v6, 31, v6
	v_cvt_u32_f32_e32 v11, v7
	s_delay_alu instid0(VALU_DEP_3) | instskip(NEXT) | instid1(VALU_DEP_2)
	v_cvt_u32_f32_e32 v10, v10
	v_dual_mov_b32 v7, v6 :: v_dual_bitop2_b32 v11, v11, v6 bitop3:0x14
	s_delay_alu instid0(VALU_DEP_2) | instskip(NEXT) | instid1(VALU_DEP_1)
	v_xor_b32_e32 v10, v10, v6
	v_sub_nc_u64_e32 v[6:7], v[10:11], v[6:7]
	s_branch .LBB126_2453
.LBB126_2443:
	s_or_b32 exec_lo, exec_lo, s31
	s_and_saveexec_b32 s31, s68
	s_cbranch_execnz .LBB126_2512
.LBB126_2444:
	s_or_b32 exec_lo, exec_lo, s31
	s_and_saveexec_b32 s31, s35
	s_delay_alu instid0(SALU_CYCLE_1)
	s_xor_b32 s31, exec_lo, s31
	s_cbranch_execz .LBB126_2513
.LBB126_2445:
	s_wait_loadcnt 0x0
	global_load_u8 v6, v[8:9], off
	s_mov_b32 s34, 0
	s_or_b32 s44, s44, exec_lo
	v_mov_b32_e32 v7, s34
	s_wait_loadcnt 0x0
	v_cmp_ne_u16_e32 vcc_lo, 0, v6
	v_cndmask_b32_e64 v6, 0, 1, vcc_lo
	s_wait_xcnt 0x0
	s_or_b32 exec_lo, exec_lo, s31
	s_and_saveexec_b32 s31, s46
	s_cbranch_execz .LBB126_2559
	s_branch .LBB126_2514
.LBB126_2446:
	s_mov_b32 s34, -1
	s_mov_b32 s45, 0
	s_mov_b32 s35, s68
                                        ; implicit-def: $vgpr6_vgpr7
	s_branch .LBB126_2511
.LBB126_2447:
	s_mov_b32 s35, s68
                                        ; implicit-def: $vgpr6_vgpr7
	s_cbranch_execnz .LBB126_2480
	s_branch .LBB126_2510
.LBB126_2448:
	s_mov_b32 s46, -1
	s_mov_b32 s35, s68
                                        ; implicit-def: $vgpr6_vgpr7
	s_branch .LBB126_2463
.LBB126_2449:
	s_mov_b32 s46, -1
	s_mov_b32 s35, s68
                                        ; implicit-def: $vgpr6_vgpr7
	s_branch .LBB126_2458
.LBB126_2450:
	s_mov_b32 s46, -1
	s_mov_b32 s35, s68
	s_branch .LBB126_2452
.LBB126_2451:
	s_mov_b32 s35, -1
.LBB126_2452:
                                        ; implicit-def: $vgpr6_vgpr7
.LBB126_2453:
	s_and_b32 vcc_lo, exec_lo, s46
	s_cbranch_vccz .LBB126_2457
; %bb.2454:
	s_cmp_eq_u32 s34, 44
	s_cbranch_scc0 .LBB126_2456
; %bb.2455:
	global_load_u8 v12, v[8:9], off
	s_mov_b32 s35, 0
	s_mov_b32 s44, -1
	s_wait_loadcnt 0x0
	v_cmp_ne_u32_e32 vcc_lo, 0, v12
	v_lshlrev_b32_e32 v6, 23, v12
	s_delay_alu instid0(VALU_DEP_1) | instskip(NEXT) | instid1(VALU_DEP_1)
	v_trunc_f32_e32 v6, v6
	v_mul_f32_e64 v7, 0x2f800000, |v6|
	s_delay_alu instid0(VALU_DEP_1) | instskip(NEXT) | instid1(VALU_DEP_1)
	v_floor_f32_e32 v7, v7
	v_fma_f32 v10, 0xcf800000, v7, |v6|
	v_ashrrev_i32_e32 v6, 31, v6
	v_cvt_u32_f32_e32 v11, v7
	s_delay_alu instid0(VALU_DEP_3) | instskip(NEXT) | instid1(VALU_DEP_2)
	v_cvt_u32_f32_e32 v10, v10
	v_dual_mov_b32 v7, v6 :: v_dual_bitop2_b32 v11, v11, v6 bitop3:0x14
	s_delay_alu instid0(VALU_DEP_2) | instskip(NEXT) | instid1(VALU_DEP_1)
	v_xor_b32_e32 v10, v10, v6
	v_sub_nc_u64_e32 v[6:7], v[10:11], v[6:7]
	s_delay_alu instid0(VALU_DEP_1)
	v_dual_cndmask_b32 v7, 0, v7 :: v_dual_cndmask_b32 v6, 0, v6
	s_branch .LBB126_2457
.LBB126_2456:
	s_mov_b32 s35, -1
                                        ; implicit-def: $vgpr6_vgpr7
.LBB126_2457:
	s_mov_b32 s46, 0
.LBB126_2458:
	s_delay_alu instid0(SALU_CYCLE_1)
	s_and_b32 vcc_lo, exec_lo, s46
	s_cbranch_vccz .LBB126_2462
; %bb.2459:
	s_cmp_eq_u32 s34, 29
	s_cbranch_scc0 .LBB126_2461
; %bb.2460:
	global_load_b64 v[6:7], v[8:9], off
	s_mov_b32 s35, 0
	s_mov_b32 s44, -1
	s_branch .LBB126_2462
.LBB126_2461:
	s_mov_b32 s35, -1
                                        ; implicit-def: $vgpr6_vgpr7
.LBB126_2462:
	s_mov_b32 s46, 0
.LBB126_2463:
	s_delay_alu instid0(SALU_CYCLE_1)
	s_and_b32 vcc_lo, exec_lo, s46
	s_cbranch_vccz .LBB126_2479
; %bb.2464:
	s_cmp_lt_i32 s34, 27
	s_cbranch_scc1 .LBB126_2467
; %bb.2465:
	s_cmp_gt_i32 s34, 27
	s_cbranch_scc0 .LBB126_2468
; %bb.2466:
	s_wait_loadcnt 0x0
	global_load_b32 v6, v[8:9], off
	v_mov_b32_e32 v7, 0
	s_mov_b32 s44, 0
	s_branch .LBB126_2469
.LBB126_2467:
	s_mov_b32 s44, -1
                                        ; implicit-def: $vgpr6_vgpr7
	s_branch .LBB126_2472
.LBB126_2468:
	s_mov_b32 s44, -1
                                        ; implicit-def: $vgpr6_vgpr7
.LBB126_2469:
	s_delay_alu instid0(SALU_CYCLE_1)
	s_and_not1_b32 vcc_lo, exec_lo, s44
	s_cbranch_vccnz .LBB126_2471
; %bb.2470:
	s_wait_loadcnt 0x0
	global_load_u16 v6, v[8:9], off
	s_mov_b32 s44, 0
	s_delay_alu instid0(SALU_CYCLE_1)
	v_mov_b32_e32 v7, s44
	s_wait_loadcnt 0x0
	v_and_b32_e32 v6, 0xffff, v6
.LBB126_2471:
	s_mov_b32 s44, 0
.LBB126_2472:
	s_delay_alu instid0(SALU_CYCLE_1)
	s_and_not1_b32 vcc_lo, exec_lo, s44
	s_cbranch_vccnz .LBB126_2478
; %bb.2473:
	global_load_u8 v10, v[8:9], off
	s_mov_b32 s46, 0
	s_mov_b32 s44, exec_lo
	s_wait_loadcnt 0x0
	v_cmpx_lt_i16_e32 0x7f, v10
	s_xor_b32 s44, exec_lo, s44
	s_cbranch_execz .LBB126_2489
; %bb.2474:
	v_cmp_ne_u16_e32 vcc_lo, 0x80, v10
	s_and_b32 s46, vcc_lo, exec_lo
	s_and_not1_saveexec_b32 s44, s44
	s_cbranch_execnz .LBB126_2490
.LBB126_2475:
	s_or_b32 exec_lo, exec_lo, s44
	v_mov_b64_e32 v[6:7], 0
	s_and_saveexec_b32 s44, s46
	s_cbranch_execz .LBB126_2477
.LBB126_2476:
	v_and_b32_e32 v6, 0xffff, v10
	s_delay_alu instid0(VALU_DEP_1) | instskip(SKIP_1) | instid1(VALU_DEP_2)
	v_and_b32_e32 v7, 7, v6
	v_bfe_u32 v13, v6, 3, 4
	v_clz_i32_u32_e32 v11, v7
	s_delay_alu instid0(VALU_DEP_2) | instskip(NEXT) | instid1(VALU_DEP_2)
	v_cmp_eq_u32_e32 vcc_lo, 0, v13
	v_min_u32_e32 v11, 32, v11
	s_delay_alu instid0(VALU_DEP_1) | instskip(NEXT) | instid1(VALU_DEP_1)
	v_subrev_nc_u32_e32 v12, 28, v11
	v_dual_lshlrev_b32 v6, v12, v6 :: v_dual_sub_nc_u32 v11, 29, v11
	s_delay_alu instid0(VALU_DEP_1) | instskip(NEXT) | instid1(VALU_DEP_2)
	v_and_b32_e32 v6, 7, v6
	v_dual_cndmask_b32 v11, v13, v11 :: v_dual_lshlrev_b32 v10, 24, v10
	s_delay_alu instid0(VALU_DEP_2) | instskip(NEXT) | instid1(VALU_DEP_2)
	v_cndmask_b32_e32 v6, v7, v6, vcc_lo
	v_and_b32_e32 v7, 0x80000000, v10
	s_delay_alu instid0(VALU_DEP_3) | instskip(NEXT) | instid1(VALU_DEP_3)
	v_lshl_add_u32 v10, v11, 23, 0x3b800000
	v_lshlrev_b32_e32 v6, 20, v6
	s_delay_alu instid0(VALU_DEP_1) | instskip(NEXT) | instid1(VALU_DEP_1)
	v_or3_b32 v6, v7, v10, v6
	v_trunc_f32_e32 v6, v6
	s_delay_alu instid0(VALU_DEP_1) | instskip(NEXT) | instid1(VALU_DEP_1)
	v_mul_f32_e64 v7, 0x2f800000, |v6|
	v_floor_f32_e32 v7, v7
	s_delay_alu instid0(VALU_DEP_1) | instskip(SKIP_2) | instid1(VALU_DEP_3)
	v_fma_f32 v10, 0xcf800000, v7, |v6|
	v_ashrrev_i32_e32 v6, 31, v6
	v_cvt_u32_f32_e32 v11, v7
	v_cvt_u32_f32_e32 v10, v10
	s_delay_alu instid0(VALU_DEP_2) | instskip(NEXT) | instid1(VALU_DEP_2)
	v_dual_mov_b32 v7, v6 :: v_dual_bitop2_b32 v11, v11, v6 bitop3:0x14
	v_xor_b32_e32 v10, v10, v6
	s_delay_alu instid0(VALU_DEP_1)
	v_sub_nc_u64_e32 v[6:7], v[10:11], v[6:7]
.LBB126_2477:
	s_or_b32 exec_lo, exec_lo, s44
.LBB126_2478:
	s_mov_b32 s44, -1
.LBB126_2479:
	s_branch .LBB126_2510
.LBB126_2480:
	s_cmp_gt_i32 s34, 22
	s_cbranch_scc0 .LBB126_2488
; %bb.2481:
	s_cmp_lt_i32 s34, 24
	s_cbranch_scc1 .LBB126_2491
; %bb.2482:
	s_cmp_gt_i32 s34, 24
	s_cbranch_scc0 .LBB126_2492
; %bb.2483:
	global_load_u8 v10, v[8:9], off
	s_mov_b32 s44, exec_lo
	s_wait_loadcnt 0x0
	v_cmpx_lt_i16_e32 0x7f, v10
	s_xor_b32 s44, exec_lo, s44
	s_cbranch_execz .LBB126_2504
; %bb.2484:
	v_cmp_ne_u16_e32 vcc_lo, 0x80, v10
	s_and_b32 s45, vcc_lo, exec_lo
	s_and_not1_saveexec_b32 s44, s44
	s_cbranch_execnz .LBB126_2505
.LBB126_2485:
	s_or_b32 exec_lo, exec_lo, s44
	v_mov_b64_e32 v[6:7], 0
	s_and_saveexec_b32 s44, s45
	s_cbranch_execz .LBB126_2487
.LBB126_2486:
	v_and_b32_e32 v6, 0xffff, v10
	s_delay_alu instid0(VALU_DEP_1) | instskip(SKIP_1) | instid1(VALU_DEP_2)
	v_and_b32_e32 v7, 3, v6
	v_bfe_u32 v13, v6, 2, 5
	v_clz_i32_u32_e32 v11, v7
	s_delay_alu instid0(VALU_DEP_2) | instskip(NEXT) | instid1(VALU_DEP_2)
	v_cmp_eq_u32_e32 vcc_lo, 0, v13
	v_min_u32_e32 v11, 32, v11
	s_delay_alu instid0(VALU_DEP_1) | instskip(NEXT) | instid1(VALU_DEP_1)
	v_subrev_nc_u32_e32 v12, 29, v11
	v_dual_lshlrev_b32 v6, v12, v6 :: v_dual_sub_nc_u32 v11, 30, v11
	s_delay_alu instid0(VALU_DEP_1) | instskip(NEXT) | instid1(VALU_DEP_2)
	v_and_b32_e32 v6, 3, v6
	v_dual_cndmask_b32 v11, v13, v11 :: v_dual_lshlrev_b32 v10, 24, v10
	s_delay_alu instid0(VALU_DEP_2) | instskip(NEXT) | instid1(VALU_DEP_2)
	v_cndmask_b32_e32 v6, v7, v6, vcc_lo
	v_and_b32_e32 v7, 0x80000000, v10
	s_delay_alu instid0(VALU_DEP_3) | instskip(NEXT) | instid1(VALU_DEP_3)
	v_lshl_add_u32 v10, v11, 23, 0x37800000
	v_lshlrev_b32_e32 v6, 21, v6
	s_delay_alu instid0(VALU_DEP_1) | instskip(NEXT) | instid1(VALU_DEP_1)
	v_or3_b32 v6, v7, v10, v6
	v_trunc_f32_e32 v6, v6
	s_delay_alu instid0(VALU_DEP_1) | instskip(NEXT) | instid1(VALU_DEP_1)
	v_mul_f32_e64 v7, 0x2f800000, |v6|
	v_floor_f32_e32 v7, v7
	s_delay_alu instid0(VALU_DEP_1) | instskip(SKIP_2) | instid1(VALU_DEP_3)
	v_fma_f32 v10, 0xcf800000, v7, |v6|
	v_ashrrev_i32_e32 v6, 31, v6
	v_cvt_u32_f32_e32 v11, v7
	v_cvt_u32_f32_e32 v10, v10
	s_delay_alu instid0(VALU_DEP_2) | instskip(NEXT) | instid1(VALU_DEP_2)
	v_dual_mov_b32 v7, v6 :: v_dual_bitop2_b32 v11, v11, v6 bitop3:0x14
	v_xor_b32_e32 v10, v10, v6
	s_delay_alu instid0(VALU_DEP_1)
	v_sub_nc_u64_e32 v[6:7], v[10:11], v[6:7]
.LBB126_2487:
	s_or_b32 exec_lo, exec_lo, s44
	s_mov_b32 s44, 0
	s_branch .LBB126_2493
.LBB126_2488:
	s_mov_b32 s45, -1
                                        ; implicit-def: $vgpr6_vgpr7
	s_branch .LBB126_2499
.LBB126_2489:
	s_and_not1_saveexec_b32 s44, s44
	s_cbranch_execz .LBB126_2475
.LBB126_2490:
	v_cmp_ne_u16_e32 vcc_lo, 0, v10
	s_and_not1_b32 s46, s46, exec_lo
	s_and_b32 s47, vcc_lo, exec_lo
	s_delay_alu instid0(SALU_CYCLE_1)
	s_or_b32 s46, s46, s47
	s_or_b32 exec_lo, exec_lo, s44
	v_mov_b64_e32 v[6:7], 0
	s_and_saveexec_b32 s44, s46
	s_cbranch_execnz .LBB126_2476
	s_branch .LBB126_2477
.LBB126_2491:
	s_mov_b32 s44, -1
                                        ; implicit-def: $vgpr6_vgpr7
	s_branch .LBB126_2496
.LBB126_2492:
	s_mov_b32 s44, -1
                                        ; implicit-def: $vgpr6_vgpr7
.LBB126_2493:
	s_delay_alu instid0(SALU_CYCLE_1)
	s_and_b32 vcc_lo, exec_lo, s44
	s_cbranch_vccz .LBB126_2495
; %bb.2494:
	s_wait_loadcnt 0x0
	global_load_u8 v6, v[8:9], off
	s_wait_loadcnt 0x0
	v_lshlrev_b32_e32 v6, 24, v6
	s_delay_alu instid0(VALU_DEP_1) | instskip(NEXT) | instid1(VALU_DEP_1)
	v_and_b32_e32 v7, 0x7f000000, v6
	v_clz_i32_u32_e32 v10, v7
	v_cmp_ne_u32_e32 vcc_lo, 0, v7
	v_add_nc_u32_e32 v12, 0x1000000, v7
	s_delay_alu instid0(VALU_DEP_3) | instskip(NEXT) | instid1(VALU_DEP_1)
	v_min_u32_e32 v10, 32, v10
	v_sub_nc_u32_e64 v10, v10, 4 clamp
	s_delay_alu instid0(VALU_DEP_1) | instskip(NEXT) | instid1(VALU_DEP_1)
	v_dual_lshlrev_b32 v11, v10, v7 :: v_dual_lshlrev_b32 v10, 23, v10
	v_lshrrev_b32_e32 v11, 4, v11
	s_delay_alu instid0(VALU_DEP_1) | instskip(NEXT) | instid1(VALU_DEP_1)
	v_dual_sub_nc_u32 v10, v11, v10 :: v_dual_ashrrev_i32 v11, 8, v12
	v_add_nc_u32_e32 v10, 0x3c000000, v10
	s_delay_alu instid0(VALU_DEP_1) | instskip(NEXT) | instid1(VALU_DEP_1)
	v_and_or_b32 v10, 0x7f800000, v11, v10
	v_cndmask_b32_e32 v7, 0, v10, vcc_lo
	s_delay_alu instid0(VALU_DEP_1) | instskip(NEXT) | instid1(VALU_DEP_1)
	v_and_or_b32 v6, 0x80000000, v6, v7
	v_trunc_f32_e32 v6, v6
	s_delay_alu instid0(VALU_DEP_1) | instskip(NEXT) | instid1(VALU_DEP_1)
	v_mul_f32_e64 v7, 0x2f800000, |v6|
	v_floor_f32_e32 v7, v7
	s_delay_alu instid0(VALU_DEP_1) | instskip(SKIP_2) | instid1(VALU_DEP_3)
	v_fma_f32 v10, 0xcf800000, v7, |v6|
	v_ashrrev_i32_e32 v6, 31, v6
	v_cvt_u32_f32_e32 v11, v7
	v_cvt_u32_f32_e32 v10, v10
	s_delay_alu instid0(VALU_DEP_2) | instskip(NEXT) | instid1(VALU_DEP_2)
	v_dual_mov_b32 v7, v6 :: v_dual_bitop2_b32 v11, v11, v6 bitop3:0x14
	v_xor_b32_e32 v10, v10, v6
	s_delay_alu instid0(VALU_DEP_1)
	v_sub_nc_u64_e32 v[6:7], v[10:11], v[6:7]
.LBB126_2495:
	s_mov_b32 s44, 0
.LBB126_2496:
	s_delay_alu instid0(SALU_CYCLE_1)
	s_and_not1_b32 vcc_lo, exec_lo, s44
	s_cbranch_vccnz .LBB126_2498
; %bb.2497:
	s_wait_loadcnt 0x0
	global_load_u8 v6, v[8:9], off
	s_wait_loadcnt 0x0
	v_lshlrev_b32_e32 v7, 25, v6
	v_lshlrev_b16 v6, 8, v6
	s_delay_alu instid0(VALU_DEP_1) | instskip(SKIP_1) | instid1(VALU_DEP_2)
	v_and_or_b32 v11, 0x7f00, v6, 0.5
	v_bfe_i32 v6, v6, 0, 16
	v_add_f32_e32 v11, -0.5, v11
	v_lshrrev_b32_e32 v10, 4, v7
	v_cmp_gt_u32_e32 vcc_lo, 0x8000000, v7
	s_delay_alu instid0(VALU_DEP_2) | instskip(NEXT) | instid1(VALU_DEP_1)
	v_or_b32_e32 v10, 0x70000000, v10
	v_mul_f32_e32 v10, 0x7800000, v10
	s_delay_alu instid0(VALU_DEP_1) | instskip(NEXT) | instid1(VALU_DEP_1)
	v_cndmask_b32_e32 v7, v10, v11, vcc_lo
	v_and_or_b32 v6, 0x80000000, v6, v7
	s_delay_alu instid0(VALU_DEP_1) | instskip(NEXT) | instid1(VALU_DEP_1)
	v_trunc_f32_e32 v6, v6
	v_mul_f32_e64 v7, 0x2f800000, |v6|
	s_delay_alu instid0(VALU_DEP_1) | instskip(NEXT) | instid1(VALU_DEP_1)
	v_floor_f32_e32 v7, v7
	v_fma_f32 v10, 0xcf800000, v7, |v6|
	v_ashrrev_i32_e32 v6, 31, v6
	v_cvt_u32_f32_e32 v11, v7
	s_delay_alu instid0(VALU_DEP_3) | instskip(NEXT) | instid1(VALU_DEP_2)
	v_cvt_u32_f32_e32 v10, v10
	v_dual_mov_b32 v7, v6 :: v_dual_bitop2_b32 v11, v11, v6 bitop3:0x14
	s_delay_alu instid0(VALU_DEP_2) | instskip(NEXT) | instid1(VALU_DEP_1)
	v_xor_b32_e32 v10, v10, v6
	v_sub_nc_u64_e32 v[6:7], v[10:11], v[6:7]
.LBB126_2498:
	s_mov_b32 s45, 0
	s_mov_b32 s44, -1
.LBB126_2499:
	s_and_not1_b32 vcc_lo, exec_lo, s45
	s_mov_b32 s45, 0
	s_cbranch_vccnz .LBB126_2510
; %bb.2500:
	s_cmp_gt_i32 s34, 14
	s_cbranch_scc0 .LBB126_2503
; %bb.2501:
	s_cmp_eq_u32 s34, 15
	s_cbranch_scc0 .LBB126_2506
; %bb.2502:
	s_wait_loadcnt 0x0
	global_load_u16 v6, v[8:9], off
	s_mov_b32 s35, 0
	s_mov_b32 s44, -1
	s_wait_loadcnt 0x0
	v_lshlrev_b32_e32 v6, 16, v6
	s_delay_alu instid0(VALU_DEP_1) | instskip(NEXT) | instid1(VALU_DEP_1)
	v_trunc_f32_e32 v6, v6
	v_mul_f32_e64 v7, 0x2f800000, |v6|
	s_delay_alu instid0(VALU_DEP_1) | instskip(NEXT) | instid1(VALU_DEP_1)
	v_floor_f32_e32 v7, v7
	v_fma_f32 v10, 0xcf800000, v7, |v6|
	v_ashrrev_i32_e32 v6, 31, v6
	v_cvt_u32_f32_e32 v11, v7
	s_delay_alu instid0(VALU_DEP_3) | instskip(NEXT) | instid1(VALU_DEP_2)
	v_cvt_u32_f32_e32 v10, v10
	v_dual_mov_b32 v7, v6 :: v_dual_bitop2_b32 v11, v11, v6 bitop3:0x14
	s_delay_alu instid0(VALU_DEP_2) | instskip(NEXT) | instid1(VALU_DEP_1)
	v_xor_b32_e32 v10, v10, v6
	v_sub_nc_u64_e32 v[6:7], v[10:11], v[6:7]
	s_branch .LBB126_2508
.LBB126_2503:
	s_mov_b32 s45, -1
	s_branch .LBB126_2507
.LBB126_2504:
	s_and_not1_saveexec_b32 s44, s44
	s_cbranch_execz .LBB126_2485
.LBB126_2505:
	v_cmp_ne_u16_e32 vcc_lo, 0, v10
	s_and_not1_b32 s45, s45, exec_lo
	s_and_b32 s46, vcc_lo, exec_lo
	s_delay_alu instid0(SALU_CYCLE_1)
	s_or_b32 s45, s45, s46
	s_or_b32 exec_lo, exec_lo, s44
	v_mov_b64_e32 v[6:7], 0
	s_and_saveexec_b32 s44, s45
	s_cbranch_execnz .LBB126_2486
	s_branch .LBB126_2487
.LBB126_2506:
	s_mov_b32 s35, -1
.LBB126_2507:
                                        ; implicit-def: $vgpr6_vgpr7
.LBB126_2508:
	s_and_b32 vcc_lo, exec_lo, s45
	s_mov_b32 s45, 0
	s_cbranch_vccz .LBB126_2510
; %bb.2509:
	s_cmp_lg_u32 s34, 11
	s_mov_b32 s45, -1
	s_cselect_b32 s34, -1, 0
	s_and_not1_b32 s35, s35, exec_lo
	s_and_b32 s34, s34, exec_lo
	s_delay_alu instid0(SALU_CYCLE_1)
	s_or_b32 s35, s35, s34
.LBB126_2510:
	s_mov_b32 s34, 0
.LBB126_2511:
	s_delay_alu instid0(SALU_CYCLE_1)
	s_and_b32 s46, s34, exec_lo
	s_and_not1_b32 s34, s68, exec_lo
	s_and_b32 s47, s35, exec_lo
	s_and_b32 s44, s44, exec_lo
	;; [unrolled: 1-line block ×3, first 2 shown]
	s_or_b32 s68, s34, s47
	s_wait_xcnt 0x0
	s_or_b32 exec_lo, exec_lo, s31
	s_and_saveexec_b32 s31, s68
	s_cbranch_execz .LBB126_2444
.LBB126_2512:
	s_or_b32 s1, s1, exec_lo
	s_and_not1_b32 s35, s35, exec_lo
	s_trap 2
	s_or_b32 exec_lo, exec_lo, s31
	s_and_saveexec_b32 s31, s35
	s_delay_alu instid0(SALU_CYCLE_1)
	s_xor_b32 s31, exec_lo, s31
	s_cbranch_execnz .LBB126_2445
.LBB126_2513:
	s_or_b32 exec_lo, exec_lo, s31
	s_and_saveexec_b32 s31, s46
	s_cbranch_execz .LBB126_2559
.LBB126_2514:
	s_sext_i32_i16 s34, s0
	s_delay_alu instid0(SALU_CYCLE_1)
	s_cmp_lt_i32 s34, 5
	s_cbranch_scc1 .LBB126_2519
; %bb.2515:
	s_cmp_lt_i32 s34, 8
	s_cbranch_scc1 .LBB126_2520
; %bb.2516:
	;; [unrolled: 3-line block ×3, first 2 shown]
	s_cmp_gt_i32 s34, 9
	s_cbranch_scc0 .LBB126_2522
; %bb.2518:
	s_wait_loadcnt 0x0
	global_load_b64 v[6:7], v[8:9], off
	s_mov_b32 s34, 0
	s_wait_loadcnt 0x0
	v_trunc_f64_e32 v[6:7], v[6:7]
	s_delay_alu instid0(VALU_DEP_1) | instskip(NEXT) | instid1(VALU_DEP_1)
	v_ldexp_f64 v[10:11], v[6:7], 0xffffffe0
	v_floor_f64_e32 v[10:11], v[10:11]
	s_delay_alu instid0(VALU_DEP_1) | instskip(SKIP_1) | instid1(VALU_DEP_2)
	v_fmamk_f64 v[12:13], v[10:11], 0xc1f00000, v[6:7]
	v_cvt_i32_f64_e32 v7, v[10:11]
	v_cvt_u32_f64_e32 v6, v[12:13]
	s_branch .LBB126_2523
.LBB126_2519:
                                        ; implicit-def: $vgpr6_vgpr7
	s_branch .LBB126_2540
.LBB126_2520:
                                        ; implicit-def: $vgpr6_vgpr7
	s_branch .LBB126_2529
.LBB126_2521:
	s_mov_b32 s34, -1
                                        ; implicit-def: $vgpr6_vgpr7
	s_branch .LBB126_2526
.LBB126_2522:
	s_mov_b32 s34, -1
                                        ; implicit-def: $vgpr6_vgpr7
.LBB126_2523:
	s_delay_alu instid0(SALU_CYCLE_1)
	s_and_not1_b32 vcc_lo, exec_lo, s34
	s_cbranch_vccnz .LBB126_2525
; %bb.2524:
	s_wait_loadcnt 0x0
	global_load_b32 v6, v[8:9], off
	s_wait_loadcnt 0x0
	v_trunc_f32_e32 v6, v6
	s_delay_alu instid0(VALU_DEP_1) | instskip(NEXT) | instid1(VALU_DEP_1)
	v_mul_f32_e64 v7, 0x2f800000, |v6|
	v_floor_f32_e32 v7, v7
	s_delay_alu instid0(VALU_DEP_1) | instskip(SKIP_2) | instid1(VALU_DEP_3)
	v_fma_f32 v10, 0xcf800000, v7, |v6|
	v_ashrrev_i32_e32 v6, 31, v6
	v_cvt_u32_f32_e32 v11, v7
	v_cvt_u32_f32_e32 v10, v10
	s_delay_alu instid0(VALU_DEP_2) | instskip(NEXT) | instid1(VALU_DEP_2)
	v_dual_mov_b32 v7, v6 :: v_dual_bitop2_b32 v11, v11, v6 bitop3:0x14
	v_xor_b32_e32 v10, v10, v6
	s_delay_alu instid0(VALU_DEP_1)
	v_sub_nc_u64_e32 v[6:7], v[10:11], v[6:7]
.LBB126_2525:
	s_mov_b32 s34, 0
.LBB126_2526:
	s_delay_alu instid0(SALU_CYCLE_1)
	s_and_not1_b32 vcc_lo, exec_lo, s34
	s_cbranch_vccnz .LBB126_2528
; %bb.2527:
	s_wait_loadcnt 0x0
	global_load_b32 v6, v[8:9], off
	s_wait_loadcnt 0x0
	v_cvt_f32_f16_e32 v6, v6
	s_delay_alu instid0(VALU_DEP_1) | instskip(NEXT) | instid1(VALU_DEP_1)
	v_cvt_i32_f32_e32 v6, v6
	v_ashrrev_i32_e32 v7, 31, v6
.LBB126_2528:
	s_cbranch_execnz .LBB126_2539
.LBB126_2529:
	s_sext_i32_i16 s34, s0
	s_delay_alu instid0(SALU_CYCLE_1)
	s_cmp_lt_i32 s34, 6
	s_cbranch_scc1 .LBB126_2532
; %bb.2530:
	s_cmp_gt_i32 s34, 6
	s_cbranch_scc0 .LBB126_2533
; %bb.2531:
	s_wait_loadcnt 0x0
	global_load_b64 v[6:7], v[8:9], off
	s_mov_b32 s34, 0
	s_wait_loadcnt 0x0
	v_trunc_f64_e32 v[6:7], v[6:7]
	s_delay_alu instid0(VALU_DEP_1) | instskip(NEXT) | instid1(VALU_DEP_1)
	v_ldexp_f64 v[10:11], v[6:7], 0xffffffe0
	v_floor_f64_e32 v[10:11], v[10:11]
	s_delay_alu instid0(VALU_DEP_1) | instskip(SKIP_1) | instid1(VALU_DEP_2)
	v_fmamk_f64 v[12:13], v[10:11], 0xc1f00000, v[6:7]
	v_cvt_i32_f64_e32 v7, v[10:11]
	v_cvt_u32_f64_e32 v6, v[12:13]
	s_branch .LBB126_2534
.LBB126_2532:
	s_mov_b32 s34, -1
                                        ; implicit-def: $vgpr6_vgpr7
	s_branch .LBB126_2537
.LBB126_2533:
	s_mov_b32 s34, -1
                                        ; implicit-def: $vgpr6_vgpr7
.LBB126_2534:
	s_delay_alu instid0(SALU_CYCLE_1)
	s_and_not1_b32 vcc_lo, exec_lo, s34
	s_cbranch_vccnz .LBB126_2536
; %bb.2535:
	s_wait_loadcnt 0x0
	global_load_b32 v6, v[8:9], off
	s_wait_loadcnt 0x0
	v_trunc_f32_e32 v6, v6
	s_delay_alu instid0(VALU_DEP_1) | instskip(NEXT) | instid1(VALU_DEP_1)
	v_mul_f32_e64 v7, 0x2f800000, |v6|
	v_floor_f32_e32 v7, v7
	s_delay_alu instid0(VALU_DEP_1) | instskip(SKIP_2) | instid1(VALU_DEP_3)
	v_fma_f32 v10, 0xcf800000, v7, |v6|
	v_ashrrev_i32_e32 v6, 31, v6
	v_cvt_u32_f32_e32 v11, v7
	v_cvt_u32_f32_e32 v10, v10
	s_delay_alu instid0(VALU_DEP_2) | instskip(NEXT) | instid1(VALU_DEP_2)
	v_dual_mov_b32 v7, v6 :: v_dual_bitop2_b32 v11, v11, v6 bitop3:0x14
	v_xor_b32_e32 v10, v10, v6
	s_delay_alu instid0(VALU_DEP_1)
	v_sub_nc_u64_e32 v[6:7], v[10:11], v[6:7]
.LBB126_2536:
	s_mov_b32 s34, 0
.LBB126_2537:
	s_delay_alu instid0(SALU_CYCLE_1)
	s_and_not1_b32 vcc_lo, exec_lo, s34
	s_cbranch_vccnz .LBB126_2539
; %bb.2538:
	s_wait_loadcnt 0x0
	global_load_u16 v6, v[8:9], off
	s_wait_loadcnt 0x0
	v_cvt_f32_f16_e32 v6, v6
	s_delay_alu instid0(VALU_DEP_1) | instskip(NEXT) | instid1(VALU_DEP_1)
	v_cvt_i32_f32_e32 v6, v6
	v_ashrrev_i32_e32 v7, 31, v6
.LBB126_2539:
	s_cbranch_execnz .LBB126_2558
.LBB126_2540:
	s_sext_i32_i16 s34, s0
	s_delay_alu instid0(SALU_CYCLE_1)
	s_cmp_lt_i32 s34, 2
	s_cbranch_scc1 .LBB126_2544
; %bb.2541:
	s_cmp_lt_i32 s34, 3
	s_cbranch_scc1 .LBB126_2545
; %bb.2542:
	s_cmp_gt_i32 s34, 3
	s_cbranch_scc0 .LBB126_2546
; %bb.2543:
	s_wait_loadcnt 0x0
	global_load_b64 v[6:7], v[8:9], off
	s_mov_b32 s34, 0
	s_branch .LBB126_2547
.LBB126_2544:
                                        ; implicit-def: $vgpr6_vgpr7
	s_branch .LBB126_2553
.LBB126_2545:
	s_mov_b32 s34, -1
                                        ; implicit-def: $vgpr6_vgpr7
	s_branch .LBB126_2550
.LBB126_2546:
	s_mov_b32 s34, -1
                                        ; implicit-def: $vgpr6_vgpr7
.LBB126_2547:
	s_delay_alu instid0(SALU_CYCLE_1)
	s_and_not1_b32 vcc_lo, exec_lo, s34
	s_cbranch_vccnz .LBB126_2549
; %bb.2548:
	s_wait_loadcnt 0x0
	global_load_b32 v6, v[8:9], off
	s_wait_loadcnt 0x0
	v_ashrrev_i32_e32 v7, 31, v6
.LBB126_2549:
	s_mov_b32 s34, 0
.LBB126_2550:
	s_delay_alu instid0(SALU_CYCLE_1)
	s_and_not1_b32 vcc_lo, exec_lo, s34
	s_cbranch_vccnz .LBB126_2552
; %bb.2551:
	s_wait_loadcnt 0x0
	global_load_u16 v6, v[8:9], off
	s_wait_loadcnt 0x0
	v_bfe_i32 v6, v6, 0, 16
	s_delay_alu instid0(VALU_DEP_1)
	v_ashrrev_i32_e32 v7, 31, v6
.LBB126_2552:
	s_cbranch_execnz .LBB126_2558
.LBB126_2553:
	s_sext_i32_i16 s0, s0
	s_delay_alu instid0(SALU_CYCLE_1)
	s_cmp_gt_i32 s0, 0
	s_mov_b32 s0, 0
	s_cbranch_scc0 .LBB126_2555
; %bb.2554:
	s_wait_loadcnt 0x0
	global_load_i8 v6, v[8:9], off
	s_wait_loadcnt 0x0
	v_bfe_i32 v6, v6, 0, 16
	s_delay_alu instid0(VALU_DEP_1)
	v_ashrrev_i32_e32 v7, 31, v6
	s_branch .LBB126_2556
.LBB126_2555:
	s_mov_b32 s0, -1
                                        ; implicit-def: $vgpr6_vgpr7
.LBB126_2556:
	s_delay_alu instid0(SALU_CYCLE_1)
	s_and_not1_b32 vcc_lo, exec_lo, s0
	s_cbranch_vccnz .LBB126_2558
; %bb.2557:
	s_wait_loadcnt 0x0
	global_load_u8 v6, v[8:9], off
	s_mov_b32 s0, 0
	s_delay_alu instid0(SALU_CYCLE_1)
	v_mov_b32_e32 v7, s0
	s_wait_loadcnt 0x0
	v_and_b32_e32 v6, 0xffff, v6
.LBB126_2558:
	s_or_b32 s44, s44, exec_lo
.LBB126_2559:
	s_wait_xcnt 0x0
	s_or_b32 exec_lo, exec_lo, s31
	s_mov_b32 s35, 0
	s_mov_b32 s45, 0
	;; [unrolled: 1-line block ×3, first 2 shown]
                                        ; implicit-def: $sgpr0
                                        ; implicit-def: $vgpr8_vgpr9
                                        ; implicit-def: $vgpr10_vgpr11
	s_and_saveexec_b32 s31, s44
	s_cbranch_execz .LBB126_2567
; %bb.2560:
	v_mul_lo_u32 v8, v22, s3
	s_and_b32 s0, s29, 0xff
	s_delay_alu instid0(SALU_CYCLE_1) | instskip(NEXT) | instid1(VALU_DEP_1)
	s_cmp_lt_i32 s0, 11
	v_ashrrev_i32_e32 v9, 31, v8
	s_delay_alu instid0(VALU_DEP_1)
	v_add_nc_u64_e32 v[8:9], s[14:15], v[8:9]
	s_cbranch_scc1 .LBB126_2570
; %bb.2561:
	s_and_b32 s34, 0xffff, s0
	s_mov_b32 s44, 0
	s_cmp_gt_i32 s34, 25
	s_cbranch_scc0 .LBB126_2571
; %bb.2562:
	s_cmp_gt_i32 s34, 28
	s_cbranch_scc0 .LBB126_2572
; %bb.2563:
	;; [unrolled: 3-line block ×4, first 2 shown]
	s_cmp_eq_u32 s34, 46
	s_mov_b32 s46, 0
	s_cbranch_scc0 .LBB126_2575
; %bb.2566:
	s_wait_loadcnt 0x0
	global_load_b32 v10, v[8:9], off
	s_mov_b32 s45, -1
	s_wait_loadcnt 0x0
	v_lshlrev_b32_e32 v10, 16, v10
	s_delay_alu instid0(VALU_DEP_1) | instskip(NEXT) | instid1(VALU_DEP_1)
	v_trunc_f32_e32 v10, v10
	v_mul_f32_e64 v11, 0x2f800000, |v10|
	s_delay_alu instid0(VALU_DEP_1) | instskip(NEXT) | instid1(VALU_DEP_1)
	v_floor_f32_e32 v11, v11
	v_fma_f32 v12, 0xcf800000, v11, |v10|
	v_ashrrev_i32_e32 v10, 31, v10
	v_cvt_u32_f32_e32 v13, v11
	s_delay_alu instid0(VALU_DEP_3) | instskip(NEXT) | instid1(VALU_DEP_2)
	v_cvt_u32_f32_e32 v12, v12
	v_dual_mov_b32 v11, v10 :: v_dual_bitop2_b32 v13, v13, v10 bitop3:0x14
	s_delay_alu instid0(VALU_DEP_2) | instskip(NEXT) | instid1(VALU_DEP_1)
	v_xor_b32_e32 v12, v12, v10
	v_sub_nc_u64_e32 v[10:11], v[12:13], v[10:11]
	s_branch .LBB126_2577
.LBB126_2567:
	s_or_b32 exec_lo, exec_lo, s31
	s_and_saveexec_b32 s31, s67
	s_cbranch_execnz .LBB126_2636
.LBB126_2568:
	s_or_b32 exec_lo, exec_lo, s31
	s_and_saveexec_b32 s31, s35
	s_delay_alu instid0(SALU_CYCLE_1)
	s_xor_b32 s31, exec_lo, s31
	s_cbranch_execz .LBB126_2637
.LBB126_2569:
	s_wait_loadcnt 0x0
	global_load_u8 v10, v[8:9], off
	s_mov_b32 s35, 0
	s_or_b32 s34, s34, exec_lo
	v_mov_b32_e32 v11, s35
	s_wait_loadcnt 0x0
	v_cmp_ne_u16_e32 vcc_lo, 0, v10
	v_cndmask_b32_e64 v10, 0, 1, vcc_lo
	s_wait_xcnt 0x0
	s_or_b32 exec_lo, exec_lo, s31
	s_and_saveexec_b32 s31, s45
	s_cbranch_execz .LBB126_2683
	s_branch .LBB126_2638
.LBB126_2570:
	s_mov_b32 s46, -1
	s_mov_b32 s44, 0
	s_mov_b32 s35, s67
                                        ; implicit-def: $vgpr10_vgpr11
	s_branch .LBB126_2635
.LBB126_2571:
	s_mov_b32 s35, s67
                                        ; implicit-def: $vgpr10_vgpr11
	s_cbranch_execnz .LBB126_2604
	s_branch .LBB126_2634
.LBB126_2572:
	s_mov_b32 s46, -1
	s_mov_b32 s35, s67
                                        ; implicit-def: $vgpr10_vgpr11
	s_branch .LBB126_2587
.LBB126_2573:
	s_mov_b32 s46, -1
	s_mov_b32 s35, s67
                                        ; implicit-def: $vgpr10_vgpr11
	s_branch .LBB126_2582
.LBB126_2574:
	s_mov_b32 s46, -1
	s_mov_b32 s35, s67
	s_branch .LBB126_2576
.LBB126_2575:
	s_mov_b32 s35, -1
.LBB126_2576:
                                        ; implicit-def: $vgpr10_vgpr11
.LBB126_2577:
	s_and_b32 vcc_lo, exec_lo, s46
	s_cbranch_vccz .LBB126_2581
; %bb.2578:
	s_cmp_eq_u32 s34, 44
	s_cbranch_scc0 .LBB126_2580
; %bb.2579:
	global_load_u8 v14, v[8:9], off
	s_mov_b32 s35, 0
	s_mov_b32 s45, -1
	s_wait_loadcnt 0x0
	v_cmp_ne_u32_e32 vcc_lo, 0, v14
	v_lshlrev_b32_e32 v10, 23, v14
	s_delay_alu instid0(VALU_DEP_1) | instskip(NEXT) | instid1(VALU_DEP_1)
	v_trunc_f32_e32 v10, v10
	v_mul_f32_e64 v11, 0x2f800000, |v10|
	s_delay_alu instid0(VALU_DEP_1) | instskip(NEXT) | instid1(VALU_DEP_1)
	v_floor_f32_e32 v11, v11
	v_fma_f32 v12, 0xcf800000, v11, |v10|
	v_ashrrev_i32_e32 v10, 31, v10
	v_cvt_u32_f32_e32 v13, v11
	s_delay_alu instid0(VALU_DEP_3) | instskip(NEXT) | instid1(VALU_DEP_2)
	v_cvt_u32_f32_e32 v12, v12
	v_dual_mov_b32 v11, v10 :: v_dual_bitop2_b32 v13, v13, v10 bitop3:0x14
	s_delay_alu instid0(VALU_DEP_2) | instskip(NEXT) | instid1(VALU_DEP_1)
	v_xor_b32_e32 v12, v12, v10
	v_sub_nc_u64_e32 v[10:11], v[12:13], v[10:11]
	s_delay_alu instid0(VALU_DEP_1)
	v_dual_cndmask_b32 v11, 0, v11 :: v_dual_cndmask_b32 v10, 0, v10
	s_branch .LBB126_2581
.LBB126_2580:
	s_mov_b32 s35, -1
                                        ; implicit-def: $vgpr10_vgpr11
.LBB126_2581:
	s_mov_b32 s46, 0
.LBB126_2582:
	s_delay_alu instid0(SALU_CYCLE_1)
	s_and_b32 vcc_lo, exec_lo, s46
	s_cbranch_vccz .LBB126_2586
; %bb.2583:
	s_cmp_eq_u32 s34, 29
	s_cbranch_scc0 .LBB126_2585
; %bb.2584:
	s_wait_loadcnt 0x0
	global_load_b64 v[10:11], v[8:9], off
	s_mov_b32 s35, 0
	s_mov_b32 s45, -1
	s_branch .LBB126_2586
.LBB126_2585:
	s_mov_b32 s35, -1
                                        ; implicit-def: $vgpr10_vgpr11
.LBB126_2586:
	s_mov_b32 s46, 0
.LBB126_2587:
	s_delay_alu instid0(SALU_CYCLE_1)
	s_and_b32 vcc_lo, exec_lo, s46
	s_cbranch_vccz .LBB126_2603
; %bb.2588:
	s_cmp_lt_i32 s34, 27
	s_cbranch_scc1 .LBB126_2591
; %bb.2589:
	s_cmp_gt_i32 s34, 27
	s_cbranch_scc0 .LBB126_2592
; %bb.2590:
	s_wait_loadcnt 0x0
	global_load_b32 v10, v[8:9], off
	v_mov_b32_e32 v11, 0
	s_mov_b32 s45, 0
	s_branch .LBB126_2593
.LBB126_2591:
	s_mov_b32 s45, -1
                                        ; implicit-def: $vgpr10_vgpr11
	s_branch .LBB126_2596
.LBB126_2592:
	s_mov_b32 s45, -1
                                        ; implicit-def: $vgpr10_vgpr11
.LBB126_2593:
	s_delay_alu instid0(SALU_CYCLE_1)
	s_and_not1_b32 vcc_lo, exec_lo, s45
	s_cbranch_vccnz .LBB126_2595
; %bb.2594:
	s_wait_loadcnt 0x0
	global_load_u16 v10, v[8:9], off
	s_mov_b32 s45, 0
	s_delay_alu instid0(SALU_CYCLE_1)
	v_mov_b32_e32 v11, s45
	s_wait_loadcnt 0x0
	v_and_b32_e32 v10, 0xffff, v10
.LBB126_2595:
	s_mov_b32 s45, 0
.LBB126_2596:
	s_delay_alu instid0(SALU_CYCLE_1)
	s_and_not1_b32 vcc_lo, exec_lo, s45
	s_cbranch_vccnz .LBB126_2602
; %bb.2597:
	global_load_u8 v12, v[8:9], off
	s_mov_b32 s46, 0
	s_mov_b32 s45, exec_lo
	s_wait_loadcnt 0x0
	v_cmpx_lt_i16_e32 0x7f, v12
	s_xor_b32 s45, exec_lo, s45
	s_cbranch_execz .LBB126_2613
; %bb.2598:
	v_cmp_ne_u16_e32 vcc_lo, 0x80, v12
	s_and_b32 s46, vcc_lo, exec_lo
	s_and_not1_saveexec_b32 s45, s45
	s_cbranch_execnz .LBB126_2614
.LBB126_2599:
	s_or_b32 exec_lo, exec_lo, s45
	v_mov_b64_e32 v[10:11], 0
	s_and_saveexec_b32 s45, s46
	s_cbranch_execz .LBB126_2601
.LBB126_2600:
	v_and_b32_e32 v10, 0xffff, v12
	s_delay_alu instid0(VALU_DEP_1) | instskip(SKIP_1) | instid1(VALU_DEP_2)
	v_and_b32_e32 v11, 7, v10
	v_bfe_u32 v15, v10, 3, 4
	v_clz_i32_u32_e32 v13, v11
	s_delay_alu instid0(VALU_DEP_2) | instskip(NEXT) | instid1(VALU_DEP_2)
	v_cmp_eq_u32_e32 vcc_lo, 0, v15
	v_min_u32_e32 v13, 32, v13
	s_delay_alu instid0(VALU_DEP_1) | instskip(NEXT) | instid1(VALU_DEP_1)
	v_subrev_nc_u32_e32 v14, 28, v13
	v_dual_lshlrev_b32 v10, v14, v10 :: v_dual_sub_nc_u32 v13, 29, v13
	s_delay_alu instid0(VALU_DEP_1) | instskip(NEXT) | instid1(VALU_DEP_2)
	v_dual_lshlrev_b32 v12, 24, v12 :: v_dual_bitop2_b32 v10, 7, v10 bitop3:0x40
	v_cndmask_b32_e32 v13, v15, v13, vcc_lo
	s_delay_alu instid0(VALU_DEP_2) | instskip(NEXT) | instid1(VALU_DEP_3)
	v_cndmask_b32_e32 v10, v11, v10, vcc_lo
	v_and_b32_e32 v11, 0x80000000, v12
	s_delay_alu instid0(VALU_DEP_3) | instskip(NEXT) | instid1(VALU_DEP_3)
	v_lshl_add_u32 v12, v13, 23, 0x3b800000
	v_lshlrev_b32_e32 v10, 20, v10
	s_delay_alu instid0(VALU_DEP_1) | instskip(NEXT) | instid1(VALU_DEP_1)
	v_or3_b32 v10, v11, v12, v10
	v_trunc_f32_e32 v10, v10
	s_delay_alu instid0(VALU_DEP_1) | instskip(NEXT) | instid1(VALU_DEP_1)
	v_mul_f32_e64 v11, 0x2f800000, |v10|
	v_floor_f32_e32 v11, v11
	s_delay_alu instid0(VALU_DEP_1) | instskip(SKIP_2) | instid1(VALU_DEP_3)
	v_fma_f32 v12, 0xcf800000, v11, |v10|
	v_ashrrev_i32_e32 v10, 31, v10
	v_cvt_u32_f32_e32 v13, v11
	v_cvt_u32_f32_e32 v12, v12
	s_delay_alu instid0(VALU_DEP_2) | instskip(NEXT) | instid1(VALU_DEP_2)
	v_dual_mov_b32 v11, v10 :: v_dual_bitop2_b32 v13, v13, v10 bitop3:0x14
	v_xor_b32_e32 v12, v12, v10
	s_delay_alu instid0(VALU_DEP_1)
	v_sub_nc_u64_e32 v[10:11], v[12:13], v[10:11]
.LBB126_2601:
	s_or_b32 exec_lo, exec_lo, s45
.LBB126_2602:
	s_mov_b32 s45, -1
.LBB126_2603:
	s_branch .LBB126_2634
.LBB126_2604:
	s_cmp_gt_i32 s34, 22
	s_cbranch_scc0 .LBB126_2612
; %bb.2605:
	s_cmp_lt_i32 s34, 24
	s_cbranch_scc1 .LBB126_2615
; %bb.2606:
	s_cmp_gt_i32 s34, 24
	s_cbranch_scc0 .LBB126_2616
; %bb.2607:
	global_load_u8 v12, v[8:9], off
	s_mov_b32 s45, 0
	s_mov_b32 s44, exec_lo
	s_wait_loadcnt 0x0
	v_cmpx_lt_i16_e32 0x7f, v12
	s_xor_b32 s44, exec_lo, s44
	s_cbranch_execz .LBB126_2628
; %bb.2608:
	v_cmp_ne_u16_e32 vcc_lo, 0x80, v12
	s_and_b32 s45, vcc_lo, exec_lo
	s_and_not1_saveexec_b32 s44, s44
	s_cbranch_execnz .LBB126_2629
.LBB126_2609:
	s_or_b32 exec_lo, exec_lo, s44
	v_mov_b64_e32 v[10:11], 0
	s_and_saveexec_b32 s44, s45
	s_cbranch_execz .LBB126_2611
.LBB126_2610:
	v_and_b32_e32 v10, 0xffff, v12
	s_delay_alu instid0(VALU_DEP_1) | instskip(SKIP_1) | instid1(VALU_DEP_2)
	v_and_b32_e32 v11, 3, v10
	v_bfe_u32 v15, v10, 2, 5
	v_clz_i32_u32_e32 v13, v11
	s_delay_alu instid0(VALU_DEP_2) | instskip(NEXT) | instid1(VALU_DEP_2)
	v_cmp_eq_u32_e32 vcc_lo, 0, v15
	v_min_u32_e32 v13, 32, v13
	s_delay_alu instid0(VALU_DEP_1) | instskip(NEXT) | instid1(VALU_DEP_1)
	v_subrev_nc_u32_e32 v14, 29, v13
	v_dual_lshlrev_b32 v10, v14, v10 :: v_dual_sub_nc_u32 v13, 30, v13
	s_delay_alu instid0(VALU_DEP_1) | instskip(NEXT) | instid1(VALU_DEP_2)
	v_dual_lshlrev_b32 v12, 24, v12 :: v_dual_bitop2_b32 v10, 3, v10 bitop3:0x40
	v_cndmask_b32_e32 v13, v15, v13, vcc_lo
	s_delay_alu instid0(VALU_DEP_2) | instskip(NEXT) | instid1(VALU_DEP_3)
	v_cndmask_b32_e32 v10, v11, v10, vcc_lo
	v_and_b32_e32 v11, 0x80000000, v12
	s_delay_alu instid0(VALU_DEP_3) | instskip(NEXT) | instid1(VALU_DEP_3)
	v_lshl_add_u32 v12, v13, 23, 0x37800000
	v_lshlrev_b32_e32 v10, 21, v10
	s_delay_alu instid0(VALU_DEP_1) | instskip(NEXT) | instid1(VALU_DEP_1)
	v_or3_b32 v10, v11, v12, v10
	v_trunc_f32_e32 v10, v10
	s_delay_alu instid0(VALU_DEP_1) | instskip(NEXT) | instid1(VALU_DEP_1)
	v_mul_f32_e64 v11, 0x2f800000, |v10|
	v_floor_f32_e32 v11, v11
	s_delay_alu instid0(VALU_DEP_1) | instskip(SKIP_2) | instid1(VALU_DEP_3)
	v_fma_f32 v12, 0xcf800000, v11, |v10|
	v_ashrrev_i32_e32 v10, 31, v10
	v_cvt_u32_f32_e32 v13, v11
	v_cvt_u32_f32_e32 v12, v12
	s_delay_alu instid0(VALU_DEP_2) | instskip(NEXT) | instid1(VALU_DEP_2)
	v_dual_mov_b32 v11, v10 :: v_dual_bitop2_b32 v13, v13, v10 bitop3:0x14
	v_xor_b32_e32 v12, v12, v10
	s_delay_alu instid0(VALU_DEP_1)
	v_sub_nc_u64_e32 v[10:11], v[12:13], v[10:11]
.LBB126_2611:
	s_or_b32 exec_lo, exec_lo, s44
	s_mov_b32 s44, 0
	s_branch .LBB126_2617
.LBB126_2612:
	s_mov_b32 s44, -1
                                        ; implicit-def: $vgpr10_vgpr11
	s_branch .LBB126_2623
.LBB126_2613:
	s_and_not1_saveexec_b32 s45, s45
	s_cbranch_execz .LBB126_2599
.LBB126_2614:
	v_cmp_ne_u16_e32 vcc_lo, 0, v12
	s_and_not1_b32 s46, s46, exec_lo
	s_and_b32 s47, vcc_lo, exec_lo
	s_delay_alu instid0(SALU_CYCLE_1)
	s_or_b32 s46, s46, s47
	s_or_b32 exec_lo, exec_lo, s45
	v_mov_b64_e32 v[10:11], 0
	s_and_saveexec_b32 s45, s46
	s_cbranch_execnz .LBB126_2600
	s_branch .LBB126_2601
.LBB126_2615:
	s_mov_b32 s44, -1
                                        ; implicit-def: $vgpr10_vgpr11
	s_branch .LBB126_2620
.LBB126_2616:
	s_mov_b32 s44, -1
                                        ; implicit-def: $vgpr10_vgpr11
.LBB126_2617:
	s_delay_alu instid0(SALU_CYCLE_1)
	s_and_b32 vcc_lo, exec_lo, s44
	s_cbranch_vccz .LBB126_2619
; %bb.2618:
	s_wait_loadcnt 0x0
	global_load_u8 v10, v[8:9], off
	s_wait_loadcnt 0x0
	v_lshlrev_b32_e32 v10, 24, v10
	s_delay_alu instid0(VALU_DEP_1) | instskip(NEXT) | instid1(VALU_DEP_1)
	v_and_b32_e32 v11, 0x7f000000, v10
	v_clz_i32_u32_e32 v12, v11
	v_cmp_ne_u32_e32 vcc_lo, 0, v11
	v_add_nc_u32_e32 v14, 0x1000000, v11
	s_delay_alu instid0(VALU_DEP_3) | instskip(NEXT) | instid1(VALU_DEP_1)
	v_min_u32_e32 v12, 32, v12
	v_sub_nc_u32_e64 v12, v12, 4 clamp
	s_delay_alu instid0(VALU_DEP_1) | instskip(NEXT) | instid1(VALU_DEP_1)
	v_dual_lshlrev_b32 v13, v12, v11 :: v_dual_lshlrev_b32 v12, 23, v12
	v_lshrrev_b32_e32 v13, 4, v13
	s_delay_alu instid0(VALU_DEP_1) | instskip(NEXT) | instid1(VALU_DEP_1)
	v_dual_sub_nc_u32 v12, v13, v12 :: v_dual_ashrrev_i32 v13, 8, v14
	v_add_nc_u32_e32 v12, 0x3c000000, v12
	s_delay_alu instid0(VALU_DEP_1) | instskip(NEXT) | instid1(VALU_DEP_1)
	v_and_or_b32 v12, 0x7f800000, v13, v12
	v_cndmask_b32_e32 v11, 0, v12, vcc_lo
	s_delay_alu instid0(VALU_DEP_1) | instskip(NEXT) | instid1(VALU_DEP_1)
	v_and_or_b32 v10, 0x80000000, v10, v11
	v_trunc_f32_e32 v10, v10
	s_delay_alu instid0(VALU_DEP_1) | instskip(NEXT) | instid1(VALU_DEP_1)
	v_mul_f32_e64 v11, 0x2f800000, |v10|
	v_floor_f32_e32 v11, v11
	s_delay_alu instid0(VALU_DEP_1) | instskip(SKIP_2) | instid1(VALU_DEP_3)
	v_fma_f32 v12, 0xcf800000, v11, |v10|
	v_ashrrev_i32_e32 v10, 31, v10
	v_cvt_u32_f32_e32 v13, v11
	v_cvt_u32_f32_e32 v12, v12
	s_delay_alu instid0(VALU_DEP_2) | instskip(NEXT) | instid1(VALU_DEP_2)
	v_dual_mov_b32 v11, v10 :: v_dual_bitop2_b32 v13, v13, v10 bitop3:0x14
	v_xor_b32_e32 v12, v12, v10
	s_delay_alu instid0(VALU_DEP_1)
	v_sub_nc_u64_e32 v[10:11], v[12:13], v[10:11]
.LBB126_2619:
	s_mov_b32 s44, 0
.LBB126_2620:
	s_delay_alu instid0(SALU_CYCLE_1)
	s_and_not1_b32 vcc_lo, exec_lo, s44
	s_cbranch_vccnz .LBB126_2622
; %bb.2621:
	s_wait_loadcnt 0x0
	global_load_u8 v10, v[8:9], off
	s_wait_loadcnt 0x0
	v_lshlrev_b32_e32 v11, 25, v10
	v_lshlrev_b16 v10, 8, v10
	s_delay_alu instid0(VALU_DEP_1) | instskip(SKIP_1) | instid1(VALU_DEP_2)
	v_and_or_b32 v13, 0x7f00, v10, 0.5
	v_bfe_i32 v10, v10, 0, 16
	v_dual_add_f32 v13, -0.5, v13 :: v_dual_lshrrev_b32 v12, 4, v11
	v_cmp_gt_u32_e32 vcc_lo, 0x8000000, v11
	s_delay_alu instid0(VALU_DEP_2) | instskip(NEXT) | instid1(VALU_DEP_1)
	v_or_b32_e32 v12, 0x70000000, v12
	v_mul_f32_e32 v12, 0x7800000, v12
	s_delay_alu instid0(VALU_DEP_1) | instskip(NEXT) | instid1(VALU_DEP_1)
	v_cndmask_b32_e32 v11, v12, v13, vcc_lo
	v_and_or_b32 v10, 0x80000000, v10, v11
	s_delay_alu instid0(VALU_DEP_1) | instskip(NEXT) | instid1(VALU_DEP_1)
	v_trunc_f32_e32 v10, v10
	v_mul_f32_e64 v11, 0x2f800000, |v10|
	s_delay_alu instid0(VALU_DEP_1) | instskip(NEXT) | instid1(VALU_DEP_1)
	v_floor_f32_e32 v11, v11
	v_fma_f32 v12, 0xcf800000, v11, |v10|
	v_ashrrev_i32_e32 v10, 31, v10
	v_cvt_u32_f32_e32 v13, v11
	s_delay_alu instid0(VALU_DEP_3) | instskip(NEXT) | instid1(VALU_DEP_2)
	v_cvt_u32_f32_e32 v12, v12
	v_dual_mov_b32 v11, v10 :: v_dual_bitop2_b32 v13, v13, v10 bitop3:0x14
	s_delay_alu instid0(VALU_DEP_2) | instskip(NEXT) | instid1(VALU_DEP_1)
	v_xor_b32_e32 v12, v12, v10
	v_sub_nc_u64_e32 v[10:11], v[12:13], v[10:11]
.LBB126_2622:
	s_mov_b32 s44, 0
	s_mov_b32 s45, -1
.LBB126_2623:
	s_and_not1_b32 vcc_lo, exec_lo, s44
	s_mov_b32 s44, 0
	s_cbranch_vccnz .LBB126_2634
; %bb.2624:
	s_cmp_gt_i32 s34, 14
	s_cbranch_scc0 .LBB126_2627
; %bb.2625:
	s_cmp_eq_u32 s34, 15
	s_cbranch_scc0 .LBB126_2630
; %bb.2626:
	s_wait_loadcnt 0x0
	global_load_u16 v10, v[8:9], off
	s_mov_b32 s35, 0
	s_mov_b32 s45, -1
	s_wait_loadcnt 0x0
	v_lshlrev_b32_e32 v10, 16, v10
	s_delay_alu instid0(VALU_DEP_1) | instskip(NEXT) | instid1(VALU_DEP_1)
	v_trunc_f32_e32 v10, v10
	v_mul_f32_e64 v11, 0x2f800000, |v10|
	s_delay_alu instid0(VALU_DEP_1) | instskip(NEXT) | instid1(VALU_DEP_1)
	v_floor_f32_e32 v11, v11
	v_fma_f32 v12, 0xcf800000, v11, |v10|
	v_ashrrev_i32_e32 v10, 31, v10
	v_cvt_u32_f32_e32 v13, v11
	s_delay_alu instid0(VALU_DEP_3) | instskip(NEXT) | instid1(VALU_DEP_2)
	v_cvt_u32_f32_e32 v12, v12
	v_dual_mov_b32 v11, v10 :: v_dual_bitop2_b32 v13, v13, v10 bitop3:0x14
	s_delay_alu instid0(VALU_DEP_2) | instskip(NEXT) | instid1(VALU_DEP_1)
	v_xor_b32_e32 v12, v12, v10
	v_sub_nc_u64_e32 v[10:11], v[12:13], v[10:11]
	s_branch .LBB126_2632
.LBB126_2627:
	s_mov_b32 s44, -1
	s_branch .LBB126_2631
.LBB126_2628:
	s_and_not1_saveexec_b32 s44, s44
	s_cbranch_execz .LBB126_2609
.LBB126_2629:
	v_cmp_ne_u16_e32 vcc_lo, 0, v12
	s_and_not1_b32 s45, s45, exec_lo
	s_and_b32 s46, vcc_lo, exec_lo
	s_delay_alu instid0(SALU_CYCLE_1)
	s_or_b32 s45, s45, s46
	s_or_b32 exec_lo, exec_lo, s44
	v_mov_b64_e32 v[10:11], 0
	s_and_saveexec_b32 s44, s45
	s_cbranch_execnz .LBB126_2610
	s_branch .LBB126_2611
.LBB126_2630:
	s_mov_b32 s35, -1
.LBB126_2631:
                                        ; implicit-def: $vgpr10_vgpr11
.LBB126_2632:
	s_and_b32 vcc_lo, exec_lo, s44
	s_mov_b32 s44, 0
	s_cbranch_vccz .LBB126_2634
; %bb.2633:
	s_cmp_lg_u32 s34, 11
	s_mov_b32 s44, -1
	s_cselect_b32 s34, -1, 0
	s_and_not1_b32 s35, s35, exec_lo
	s_and_b32 s34, s34, exec_lo
	s_delay_alu instid0(SALU_CYCLE_1)
	s_or_b32 s35, s35, s34
.LBB126_2634:
	s_mov_b32 s46, 0
.LBB126_2635:
	s_and_b32 s34, s45, exec_lo
	s_and_b32 s45, s46, exec_lo
	s_and_not1_b32 s46, s67, exec_lo
	s_and_b32 s47, s35, exec_lo
	s_and_b32 s35, s44, exec_lo
	s_or_b32 s67, s46, s47
	s_wait_xcnt 0x0
	s_or_b32 exec_lo, exec_lo, s31
	s_and_saveexec_b32 s31, s67
	s_cbranch_execz .LBB126_2568
.LBB126_2636:
	s_or_b32 s1, s1, exec_lo
	s_and_not1_b32 s35, s35, exec_lo
	s_trap 2
	s_or_b32 exec_lo, exec_lo, s31
	s_and_saveexec_b32 s31, s35
	s_delay_alu instid0(SALU_CYCLE_1)
	s_xor_b32 s31, exec_lo, s31
	s_cbranch_execnz .LBB126_2569
.LBB126_2637:
	s_or_b32 exec_lo, exec_lo, s31
	s_and_saveexec_b32 s31, s45
	s_cbranch_execz .LBB126_2683
.LBB126_2638:
	s_sext_i32_i16 s35, s0
	s_delay_alu instid0(SALU_CYCLE_1)
	s_cmp_lt_i32 s35, 5
	s_cbranch_scc1 .LBB126_2643
; %bb.2639:
	s_cmp_lt_i32 s35, 8
	s_cbranch_scc1 .LBB126_2644
; %bb.2640:
	;; [unrolled: 3-line block ×3, first 2 shown]
	s_cmp_gt_i32 s35, 9
	s_cbranch_scc0 .LBB126_2646
; %bb.2642:
	s_wait_loadcnt 0x0
	global_load_b64 v[10:11], v[8:9], off
	s_mov_b32 s35, 0
	s_wait_loadcnt 0x0
	v_trunc_f64_e32 v[10:11], v[10:11]
	s_delay_alu instid0(VALU_DEP_1) | instskip(NEXT) | instid1(VALU_DEP_1)
	v_ldexp_f64 v[12:13], v[10:11], 0xffffffe0
	v_floor_f64_e32 v[12:13], v[12:13]
	s_delay_alu instid0(VALU_DEP_1) | instskip(SKIP_1) | instid1(VALU_DEP_2)
	v_fmamk_f64 v[14:15], v[12:13], 0xc1f00000, v[10:11]
	v_cvt_i32_f64_e32 v11, v[12:13]
	v_cvt_u32_f64_e32 v10, v[14:15]
	s_branch .LBB126_2647
.LBB126_2643:
                                        ; implicit-def: $vgpr10_vgpr11
	s_branch .LBB126_2664
.LBB126_2644:
                                        ; implicit-def: $vgpr10_vgpr11
	s_branch .LBB126_2653
.LBB126_2645:
	s_mov_b32 s35, -1
                                        ; implicit-def: $vgpr10_vgpr11
	s_branch .LBB126_2650
.LBB126_2646:
	s_mov_b32 s35, -1
                                        ; implicit-def: $vgpr10_vgpr11
.LBB126_2647:
	s_delay_alu instid0(SALU_CYCLE_1)
	s_and_not1_b32 vcc_lo, exec_lo, s35
	s_cbranch_vccnz .LBB126_2649
; %bb.2648:
	s_wait_loadcnt 0x0
	global_load_b32 v10, v[8:9], off
	s_wait_loadcnt 0x0
	v_trunc_f32_e32 v10, v10
	s_delay_alu instid0(VALU_DEP_1) | instskip(NEXT) | instid1(VALU_DEP_1)
	v_mul_f32_e64 v11, 0x2f800000, |v10|
	v_floor_f32_e32 v11, v11
	s_delay_alu instid0(VALU_DEP_1) | instskip(SKIP_2) | instid1(VALU_DEP_3)
	v_fma_f32 v12, 0xcf800000, v11, |v10|
	v_ashrrev_i32_e32 v10, 31, v10
	v_cvt_u32_f32_e32 v13, v11
	v_cvt_u32_f32_e32 v12, v12
	s_delay_alu instid0(VALU_DEP_2) | instskip(NEXT) | instid1(VALU_DEP_2)
	v_dual_mov_b32 v11, v10 :: v_dual_bitop2_b32 v13, v13, v10 bitop3:0x14
	v_xor_b32_e32 v12, v12, v10
	s_delay_alu instid0(VALU_DEP_1)
	v_sub_nc_u64_e32 v[10:11], v[12:13], v[10:11]
.LBB126_2649:
	s_mov_b32 s35, 0
.LBB126_2650:
	s_delay_alu instid0(SALU_CYCLE_1)
	s_and_not1_b32 vcc_lo, exec_lo, s35
	s_cbranch_vccnz .LBB126_2652
; %bb.2651:
	s_wait_loadcnt 0x0
	global_load_b32 v10, v[8:9], off
	s_wait_loadcnt 0x0
	v_cvt_f32_f16_e32 v10, v10
	s_delay_alu instid0(VALU_DEP_1) | instskip(NEXT) | instid1(VALU_DEP_1)
	v_cvt_i32_f32_e32 v10, v10
	v_ashrrev_i32_e32 v11, 31, v10
.LBB126_2652:
	s_cbranch_execnz .LBB126_2663
.LBB126_2653:
	s_sext_i32_i16 s35, s0
	s_delay_alu instid0(SALU_CYCLE_1)
	s_cmp_lt_i32 s35, 6
	s_cbranch_scc1 .LBB126_2656
; %bb.2654:
	s_cmp_gt_i32 s35, 6
	s_cbranch_scc0 .LBB126_2657
; %bb.2655:
	s_wait_loadcnt 0x0
	global_load_b64 v[10:11], v[8:9], off
	s_mov_b32 s35, 0
	s_wait_loadcnt 0x0
	v_trunc_f64_e32 v[10:11], v[10:11]
	s_delay_alu instid0(VALU_DEP_1) | instskip(NEXT) | instid1(VALU_DEP_1)
	v_ldexp_f64 v[12:13], v[10:11], 0xffffffe0
	v_floor_f64_e32 v[12:13], v[12:13]
	s_delay_alu instid0(VALU_DEP_1) | instskip(SKIP_1) | instid1(VALU_DEP_2)
	v_fmamk_f64 v[14:15], v[12:13], 0xc1f00000, v[10:11]
	v_cvt_i32_f64_e32 v11, v[12:13]
	v_cvt_u32_f64_e32 v10, v[14:15]
	s_branch .LBB126_2658
.LBB126_2656:
	s_mov_b32 s35, -1
                                        ; implicit-def: $vgpr10_vgpr11
	s_branch .LBB126_2661
.LBB126_2657:
	s_mov_b32 s35, -1
                                        ; implicit-def: $vgpr10_vgpr11
.LBB126_2658:
	s_delay_alu instid0(SALU_CYCLE_1)
	s_and_not1_b32 vcc_lo, exec_lo, s35
	s_cbranch_vccnz .LBB126_2660
; %bb.2659:
	s_wait_loadcnt 0x0
	global_load_b32 v10, v[8:9], off
	s_wait_loadcnt 0x0
	v_trunc_f32_e32 v10, v10
	s_delay_alu instid0(VALU_DEP_1) | instskip(NEXT) | instid1(VALU_DEP_1)
	v_mul_f32_e64 v11, 0x2f800000, |v10|
	v_floor_f32_e32 v11, v11
	s_delay_alu instid0(VALU_DEP_1) | instskip(SKIP_2) | instid1(VALU_DEP_3)
	v_fma_f32 v12, 0xcf800000, v11, |v10|
	v_ashrrev_i32_e32 v10, 31, v10
	v_cvt_u32_f32_e32 v13, v11
	v_cvt_u32_f32_e32 v12, v12
	s_delay_alu instid0(VALU_DEP_2) | instskip(NEXT) | instid1(VALU_DEP_2)
	v_dual_mov_b32 v11, v10 :: v_dual_bitop2_b32 v13, v13, v10 bitop3:0x14
	v_xor_b32_e32 v12, v12, v10
	s_delay_alu instid0(VALU_DEP_1)
	v_sub_nc_u64_e32 v[10:11], v[12:13], v[10:11]
.LBB126_2660:
	s_mov_b32 s35, 0
.LBB126_2661:
	s_delay_alu instid0(SALU_CYCLE_1)
	s_and_not1_b32 vcc_lo, exec_lo, s35
	s_cbranch_vccnz .LBB126_2663
; %bb.2662:
	s_wait_loadcnt 0x0
	global_load_u16 v10, v[8:9], off
	s_wait_loadcnt 0x0
	v_cvt_f32_f16_e32 v10, v10
	s_delay_alu instid0(VALU_DEP_1) | instskip(NEXT) | instid1(VALU_DEP_1)
	v_cvt_i32_f32_e32 v10, v10
	v_ashrrev_i32_e32 v11, 31, v10
.LBB126_2663:
	s_cbranch_execnz .LBB126_2682
.LBB126_2664:
	s_sext_i32_i16 s35, s0
	s_delay_alu instid0(SALU_CYCLE_1)
	s_cmp_lt_i32 s35, 2
	s_cbranch_scc1 .LBB126_2668
; %bb.2665:
	s_cmp_lt_i32 s35, 3
	s_cbranch_scc1 .LBB126_2669
; %bb.2666:
	s_cmp_gt_i32 s35, 3
	s_cbranch_scc0 .LBB126_2670
; %bb.2667:
	s_wait_loadcnt 0x0
	global_load_b64 v[10:11], v[8:9], off
	s_mov_b32 s35, 0
	s_branch .LBB126_2671
.LBB126_2668:
                                        ; implicit-def: $vgpr10_vgpr11
	s_branch .LBB126_2677
.LBB126_2669:
	s_mov_b32 s35, -1
                                        ; implicit-def: $vgpr10_vgpr11
	s_branch .LBB126_2674
.LBB126_2670:
	s_mov_b32 s35, -1
                                        ; implicit-def: $vgpr10_vgpr11
.LBB126_2671:
	s_delay_alu instid0(SALU_CYCLE_1)
	s_and_not1_b32 vcc_lo, exec_lo, s35
	s_cbranch_vccnz .LBB126_2673
; %bb.2672:
	s_wait_loadcnt 0x0
	global_load_b32 v10, v[8:9], off
	s_wait_loadcnt 0x0
	v_ashrrev_i32_e32 v11, 31, v10
.LBB126_2673:
	s_mov_b32 s35, 0
.LBB126_2674:
	s_delay_alu instid0(SALU_CYCLE_1)
	s_and_not1_b32 vcc_lo, exec_lo, s35
	s_cbranch_vccnz .LBB126_2676
; %bb.2675:
	s_wait_loadcnt 0x0
	global_load_u16 v10, v[8:9], off
	s_wait_loadcnt 0x0
	v_bfe_i32 v10, v10, 0, 16
	s_delay_alu instid0(VALU_DEP_1)
	v_ashrrev_i32_e32 v11, 31, v10
.LBB126_2676:
	s_cbranch_execnz .LBB126_2682
.LBB126_2677:
	s_sext_i32_i16 s0, s0
	s_delay_alu instid0(SALU_CYCLE_1)
	s_cmp_gt_i32 s0, 0
	s_mov_b32 s0, 0
	s_cbranch_scc0 .LBB126_2679
; %bb.2678:
	s_wait_loadcnt 0x0
	global_load_i8 v10, v[8:9], off
	s_wait_loadcnt 0x0
	v_bfe_i32 v10, v10, 0, 16
	s_delay_alu instid0(VALU_DEP_1)
	v_ashrrev_i32_e32 v11, 31, v10
	s_branch .LBB126_2680
.LBB126_2679:
	s_mov_b32 s0, -1
                                        ; implicit-def: $vgpr10_vgpr11
.LBB126_2680:
	s_delay_alu instid0(SALU_CYCLE_1)
	s_and_not1_b32 vcc_lo, exec_lo, s0
	s_cbranch_vccnz .LBB126_2682
; %bb.2681:
	global_load_u8 v8, v[8:9], off
	s_mov_b32 s0, 0
	s_wait_loadcnt 0x1
	v_mov_b32_e32 v11, s0
	s_wait_loadcnt 0x0
	v_and_b32_e32 v10, 0xffff, v8
.LBB126_2682:
	s_or_b32 s34, s34, exec_lo
.LBB126_2683:
	s_wait_xcnt 0x0
	s_or_b32 exec_lo, exec_lo, s31
	s_mov_b32 s0, 0
	s_and_saveexec_b32 s31, s34
	s_delay_alu instid0(SALU_CYCLE_1)
	s_xor_b32 s31, exec_lo, s31
	s_cbranch_execz .LBB126_2685
; %bb.2684:
	s_wait_loadcnt 0x0
	v_cmp_ne_u64_e32 vcc_lo, s[36:37], v[0:1]
	s_xor_b32 s34, s60, -1
	s_and_not1_b32 s35, s66, exec_lo
	s_mov_b32 s0, exec_lo
	s_or_b32 s34, s34, vcc_lo
	s_delay_alu instid0(SALU_CYCLE_1) | instskip(NEXT) | instid1(SALU_CYCLE_1)
	s_and_b32 s34, s34, exec_lo
	s_or_b32 s66, s35, s34
.LBB126_2685:
	s_or_b32 exec_lo, exec_lo, s31
	s_and_saveexec_b32 s31, s66
	s_cbranch_execnz .LBB126_2722
.LBB126_2686:
	s_or_b32 exec_lo, exec_lo, s31
	s_mov_b32 s34, 0
	s_and_saveexec_b32 s31, s0
	s_delay_alu instid0(SALU_CYCLE_1)
	s_xor_b32 s0, exec_lo, s31
	s_cbranch_execz .LBB126_2688
; %bb.2687:
	s_wait_loadcnt 0x0
	v_cmp_ne_u64_e32 vcc_lo, s[40:41], v[2:3]
	s_xor_b32 s31, s59, -1
	s_and_not1_b32 s35, s65, exec_lo
	s_mov_b32 s34, exec_lo
	s_or_b32 s31, s31, vcc_lo
	s_delay_alu instid0(SALU_CYCLE_1) | instskip(NEXT) | instid1(SALU_CYCLE_1)
	s_and_b32 s31, s31, exec_lo
	s_or_b32 s65, s35, s31
.LBB126_2688:
	s_or_b32 exec_lo, exec_lo, s0
	s_and_saveexec_b32 s0, s65
	s_cbranch_execnz .LBB126_2723
.LBB126_2689:
	s_or_b32 exec_lo, exec_lo, s0
	s_mov_b32 s31, 0
	s_and_saveexec_b32 s0, s34
	s_delay_alu instid0(SALU_CYCLE_1)
	s_xor_b32 s34, exec_lo, s0
	s_cbranch_execz .LBB126_2701
; %bb.2690:
	s_wait_loadcnt 0x0
	v_sub_nc_u64_e32 v[0:1], v[6:7], v[4:5]
	s_and_not1_b32 s35, s64, exec_lo
	s_mov_b32 s31, exec_lo
	s_delay_alu instid0(VALU_DEP_1) | instskip(SKIP_2) | instid1(SALU_CYCLE_1)
	v_cmp_le_i64_e32 vcc_lo, s[36:37], v[0:1]
	v_cmp_ge_i64_e64 s0, s[38:39], v[0:1]
	s_and_b32 s0, vcc_lo, s0
	s_and_b32 s0, s58, s0
	s_delay_alu instid0(SALU_CYCLE_1) | instskip(NEXT) | instid1(SALU_CYCLE_1)
	s_xor_b32 s0, s0, -1
	s_and_b32 s0, s0, exec_lo
	s_delay_alu instid0(SALU_CYCLE_1)
	s_or_b32 s64, s35, s0
	s_or_b32 exec_lo, exec_lo, s34
	s_and_saveexec_b32 s0, s64
	s_cbranch_execz .LBB126_2702
.LBB126_2691:
	s_or_b32 s1, s1, exec_lo
	s_and_not1_b32 s31, s31, exec_lo
	s_trap 2
	s_or_b32 exec_lo, exec_lo, s0
	s_mov_b32 s35, 0
	s_and_saveexec_b32 s58, s31
	s_cbranch_execnz .LBB126_2703
.LBB126_2692:
	s_or_b32 exec_lo, exec_lo, s58
	s_and_saveexec_b32 s0, s63
	s_cbranch_execnz .LBB126_2721
.LBB126_2693:
	s_or_b32 exec_lo, exec_lo, s0
	s_mov_b32 s31, 0
	s_mov_b32 s34, 0
                                        ; implicit-def: $sgpr0
                                        ; implicit-def: $vgpr0_vgpr1
	s_and_saveexec_b32 s30, s35
	s_cbranch_execz .LBB126_2710
; %bb.2694:
	s_wait_loadcnt 0x0
	v_mul_lo_u32 v0, v22, s16
	s_and_b32 s0, s26, 0xff
	s_delay_alu instid0(SALU_CYCLE_1) | instskip(NEXT) | instid1(VALU_DEP_1)
	s_cmp_lt_i32 s0, 11
	v_ashrrev_i32_e32 v1, 31, v0
	s_delay_alu instid0(VALU_DEP_1)
	v_add_nc_u64_e32 v[0:1], s[4:5], v[0:1]
	s_cbranch_scc1 .LBB126_2718
; %bb.2695:
	s_and_b32 s34, 0xffff, s0
	s_mov_b32 s35, -1
	s_cmp_gt_i32 s34, 25
	s_mov_b32 s31, s61
	s_cbranch_scc0 .LBB126_2743
; %bb.2696:
	s_cmp_gt_i32 s34, 28
	s_mov_b32 s31, s61
	s_cbranch_scc0 .LBB126_2733
; %bb.2697:
	;; [unrolled: 4-line block ×4, first 2 shown]
	s_cmp_eq_u32 s34, 46
	s_mov_b32 s31, -1
	s_cbranch_scc0 .LBB126_2724
; %bb.2700:
	v_mov_b32_e32 v2, 0
	s_mov_b32 s31, 0
	s_mov_b32 s35, 0
	global_store_b32 v[0:1], v2, off
	s_branch .LBB126_2725
.LBB126_2701:
	s_or_b32 exec_lo, exec_lo, s34
	s_and_saveexec_b32 s0, s64
	s_cbranch_execnz .LBB126_2691
.LBB126_2702:
	s_or_b32 exec_lo, exec_lo, s0
	s_mov_b32 s35, 0
	s_and_saveexec_b32 s58, s31
	s_cbranch_execz .LBB126_2692
.LBB126_2703:
	v_cmp_lt_i64_e64 s0, s[40:41], 1
	s_wait_loadcnt 0x0
	v_mov_b64_e32 v[0:1], 0
	s_xor_b32 s31, s57, -1
	s_delay_alu instid0(SALU_CYCLE_1) | instskip(NEXT) | instid1(SALU_CYCLE_1)
	s_or_b32 s0, s31, s0
	s_and_b32 vcc_lo, exec_lo, s0
	s_cbranch_vccnz .LBB126_2713
; %bb.2704:
	v_mul_u64_e32 v[8:9], s[40:41], v[10:11]
	v_mov_b64_e32 v[0:1], 0
	s_mov_b32 s31, 0
	v_mov_b32_e32 v2, 0
	s_lshl_b64 s[46:47], s[30:31], 3
	s_mov_b64 s[34:35], 0xffffffff
	s_add_nc_u64 s[44:45], s[20:21], s[46:47]
	s_add_nc_u64 s[46:47], s[22:23], s[46:47]
	s_mov_b32 s57, s42
	s_branch .LBB126_2706
.LBB126_2705:                           ;   in Loop: Header=BB126_2706 Depth=1
	s_or_b32 exec_lo, exec_lo, s0
	global_load_b64 v[12:13], v2, s[46:47]
	v_mul_u64_e32 v[14:15], s[48:49], v[10:11]
	s_add_co_i32 s57, s57, -1
	s_add_nc_u64 s[44:45], s[44:45], -8
	s_cmp_lg_u32 s57, 0
	s_wait_xcnt 0x0
	s_add_nc_u64 s[46:47], s[46:47], -8
	s_delay_alu instid0(VALU_DEP_1) | instskip(SKIP_1) | instid1(VALU_DEP_1)
	v_sub_nc_u64_e32 v[8:9], v[8:9], v[14:15]
	s_wait_loadcnt 0x0
	v_mad_nc_u64_u32 v[0:1], v8, v12, v[0:1]
	s_delay_alu instid0(VALU_DEP_1) | instskip(NEXT) | instid1(VALU_DEP_1)
	v_mad_u32 v1, v9, v12, v1
	v_mad_u32 v1, v8, v13, v1
	v_mov_b64_e32 v[8:9], v[10:11]
	s_cbranch_scc0 .LBB126_2713
.LBB126_2706:                           ; =>This Inner Loop Header: Depth=1
	global_load_b64 v[10:11], v2, s[44:45]
	s_mov_b32 s0, exec_lo
	s_wait_loadcnt 0x0
	v_or_b32_e32 v3, v9, v11
	v_readfirstlane_b32 s48, v10
	v_readfirstlane_b32 s49, v11
                                        ; implicit-def: $vgpr10_vgpr11
	s_wait_xcnt 0x0
	s_delay_alu instid0(VALU_DEP_3)
	v_cmpx_ne_u64_e32 0, v[2:3]
	s_xor_b32 s59, exec_lo, s0
	s_cbranch_execz .LBB126_2708
; %bb.2707:                             ;   in Loop: Header=BB126_2706 Depth=1
	s_ashr_i32 s50, s49, 31
	v_dual_mov_b32 v15, v2 :: v_dual_ashrrev_i32 v10, 31, v9
	s_mov_b32 s51, s50
	v_mov_b32_e32 v25, v2
	s_add_nc_u64 s[52:53], s[48:49], s[50:51]
	s_delay_alu instid0(VALU_DEP_2) | instskip(SKIP_1) | instid1(SALU_CYCLE_1)
	v_mov_b32_e32 v11, v10
	s_xor_b64 s[52:53], s[52:53], s[50:51]
	s_cvt_f32_u32 s0, s52
	s_cvt_f32_u32 s30, s53
	s_sub_nc_u64 s[66:67], 0, s[52:53]
	v_add_nc_u64_e32 v[12:13], v[8:9], v[10:11]
	v_mov_b32_e32 v19, v2
	s_fmamk_f32 s0, s30, 0x4f800000, s0
	s_delay_alu instid0(SALU_CYCLE_3) | instskip(NEXT) | instid1(VALU_DEP_2)
	v_s_rcp_f32 s0, s0
	v_xor_b32_e32 v14, v12, v10
	s_delay_alu instid0(VALU_DEP_3) | instskip(NEXT) | instid1(TRANS32_DEP_1)
	v_xor_b32_e32 v18, v13, v10
	s_mul_f32 s0, s0, 0x5f7ffffc
	s_delay_alu instid0(SALU_CYCLE_3) | instskip(NEXT) | instid1(SALU_CYCLE_3)
	s_mul_f32 s30, s0, 0x2f800000
	s_trunc_f32 s30, s30
	s_delay_alu instid0(SALU_CYCLE_3) | instskip(SKIP_1) | instid1(SALU_CYCLE_2)
	s_fmamk_f32 s0, s30, 0xcf800000, s0
	s_cvt_u32_f32 s65, s30
	s_cvt_u32_f32 s64, s0
	s_delay_alu instid0(SALU_CYCLE_3) | instskip(NEXT) | instid1(SALU_CYCLE_1)
	s_mul_u64 s[68:69], s[66:67], s[64:65]
	s_mul_hi_u32 s71, s64, s69
	s_mul_i32 s70, s64, s69
	s_mul_hi_u32 s30, s64, s68
	s_mul_i32 s51, s65, s68
	s_add_nc_u64 s[70:71], s[30:31], s[70:71]
	s_mul_hi_u32 s0, s65, s68
	s_mul_hi_u32 s60, s65, s69
	s_add_co_u32 s30, s70, s51
	s_add_co_ci_u32 s30, s71, s0
	s_mul_i32 s68, s65, s69
	s_add_co_ci_u32 s69, s60, 0
	s_delay_alu instid0(SALU_CYCLE_1) | instskip(NEXT) | instid1(SALU_CYCLE_1)
	s_add_nc_u64 s[68:69], s[30:31], s[68:69]
	s_add_co_u32 s64, s64, s68
	s_cselect_b32 s0, -1, 0
	s_delay_alu instid0(SALU_CYCLE_1) | instskip(SKIP_1) | instid1(SALU_CYCLE_1)
	s_cmp_lg_u32 s0, 0
	s_add_co_ci_u32 s65, s65, s69
	s_mul_u64 s[66:67], s[66:67], s[64:65]
	s_delay_alu instid0(SALU_CYCLE_1)
	s_mul_hi_u32 s69, s64, s67
	s_mul_i32 s68, s64, s67
	s_mul_hi_u32 s30, s64, s66
	s_mul_i32 s51, s65, s66
	s_add_nc_u64 s[68:69], s[30:31], s[68:69]
	s_mul_hi_u32 s0, s65, s66
	s_mul_hi_u32 s60, s65, s67
	s_add_co_u32 s30, s68, s51
	s_add_co_ci_u32 s30, s69, s0
	s_mul_i32 s66, s65, s67
	s_add_co_ci_u32 s67, s60, 0
	s_delay_alu instid0(SALU_CYCLE_1) | instskip(NEXT) | instid1(SALU_CYCLE_1)
	s_add_nc_u64 s[66:67], s[30:31], s[66:67]
	s_add_co_u32 s0, s64, s66
	s_cselect_b32 s30, -1, 0
	v_mul_hi_u32 v24, v14, s0
	s_cmp_lg_u32 s30, 0
	s_add_co_ci_u32 s30, s65, s67
	s_and_b64 s[64:65], s[0:1], s[34:35]
	v_mul_u64_e32 v[16:17], s[30:31], v[14:15]
	v_mul_u64_e32 v[12:13], s[64:65], v[18:19]
	;; [unrolled: 1-line block ×3, first 2 shown]
	s_delay_alu instid0(VALU_DEP_3) | instskip(NEXT) | instid1(VALU_DEP_1)
	v_add_nc_u64_e32 v[16:17], v[24:25], v[16:17]
	v_add_co_u32 v3, vcc_lo, v16, v12
	s_delay_alu instid0(VALU_DEP_2) | instskip(NEXT) | instid1(VALU_DEP_4)
	v_add_co_ci_u32_e32 v24, vcc_lo, v17, v13, vcc_lo
	v_add_co_ci_u32_e32 v21, vcc_lo, 0, v21, vcc_lo
	s_delay_alu instid0(VALU_DEP_1) | instskip(NEXT) | instid1(VALU_DEP_1)
	v_add_nc_u64_e32 v[12:13], v[24:25], v[20:21]
	v_mul_u64_e32 v[16:17], s[52:53], v[12:13]
	s_delay_alu instid0(VALU_DEP_1) | instskip(NEXT) | instid1(VALU_DEP_2)
	v_sub_nc_u32_e32 v3, v18, v17
	v_sub_co_u32 v11, vcc_lo, v14, v16
	s_delay_alu instid0(VALU_DEP_1) | instskip(NEXT) | instid1(VALU_DEP_3)
	v_sub_co_ci_u32_e64 v18, null, v18, v17, vcc_lo
	v_subrev_co_ci_u32_e64 v3, null, s53, v3, vcc_lo
	s_delay_alu instid0(VALU_DEP_3) | instskip(SKIP_1) | instid1(VALU_DEP_3)
	v_sub_co_u32 v14, s0, v11, s52
	v_add_nc_u64_e32 v[16:17], 1, v[12:13]
	v_subrev_co_ci_u32_e64 v3, null, 0, v3, s0
	s_delay_alu instid0(VALU_DEP_3) | instskip(SKIP_1) | instid1(VALU_DEP_3)
	v_cmp_le_u32_e32 vcc_lo, s52, v14
	v_cndmask_b32_e64 v14, 0, -1, vcc_lo
	v_cmp_le_u32_e32 vcc_lo, s53, v3
	v_cndmask_b32_e64 v15, 0, -1, vcc_lo
	;; [unrolled: 2-line block ×4, first 2 shown]
	v_cmp_eq_u32_e32 vcc_lo, s53, v3
	v_cndmask_b32_e32 v3, v15, v14, vcc_lo
	v_cmp_eq_u32_e32 vcc_lo, s53, v18
	v_add_nc_u64_e32 v[14:15], 2, v[12:13]
	v_cndmask_b32_e32 v11, v19, v11, vcc_lo
	s_delay_alu instid0(VALU_DEP_4) | instskip(NEXT) | instid1(VALU_DEP_2)
	v_cmp_ne_u32_e32 vcc_lo, 0, v3
	v_cmp_ne_u32_e64 s0, 0, v11
	s_delay_alu instid0(VALU_DEP_4) | instskip(NEXT) | instid1(VALU_DEP_1)
	v_dual_cndmask_b32 v3, v17, v15, vcc_lo :: v_dual_cndmask_b32 v11, v16, v14, vcc_lo
	v_dual_cndmask_b32 v3, v13, v3, s0 :: v_dual_bitop2_b32 v10, s50, v10 bitop3:0x14
	s_delay_alu instid0(VALU_DEP_1) | instskip(NEXT) | instid1(VALU_DEP_2)
	v_dual_cndmask_b32 v12, v12, v11, s0 :: v_dual_mov_b32 v11, v10
	v_xor_b32_e32 v13, v3, v10
	s_delay_alu instid0(VALU_DEP_2) | instskip(NEXT) | instid1(VALU_DEP_1)
	v_xor_b32_e32 v12, v12, v10
	v_sub_nc_u64_e32 v[10:11], v[12:13], v[10:11]
.LBB126_2708:                           ;   in Loop: Header=BB126_2706 Depth=1
	s_and_not1_saveexec_b32 s0, s59
	s_cbranch_execz .LBB126_2705
; %bb.2709:                             ;   in Loop: Header=BB126_2706 Depth=1
	v_cvt_f32_u32_e32 v3, s48
	s_sub_co_i32 s30, 0, s48
	s_delay_alu instid0(VALU_DEP_1) | instskip(SKIP_1) | instid1(TRANS32_DEP_1)
	v_rcp_iflag_f32_e32 v3, v3
	v_nop
	v_mul_f32_e32 v3, 0x4f7ffffe, v3
	s_delay_alu instid0(VALU_DEP_1) | instskip(NEXT) | instid1(VALU_DEP_1)
	v_cvt_u32_f32_e32 v3, v3
	v_mul_lo_u32 v10, s30, v3
	s_delay_alu instid0(VALU_DEP_1) | instskip(NEXT) | instid1(VALU_DEP_1)
	v_mul_hi_u32 v10, v3, v10
	v_add_nc_u32_e32 v3, v3, v10
	s_delay_alu instid0(VALU_DEP_1) | instskip(NEXT) | instid1(VALU_DEP_1)
	v_mul_hi_u32 v3, v8, v3
	v_mul_lo_u32 v10, v3, s48
	s_delay_alu instid0(VALU_DEP_1) | instskip(NEXT) | instid1(VALU_DEP_1)
	v_dual_add_nc_u32 v11, 1, v3 :: v_dual_sub_nc_u32 v10, v8, v10
	v_subrev_nc_u32_e32 v12, s48, v10
	v_cmp_le_u32_e32 vcc_lo, s48, v10
	s_delay_alu instid0(VALU_DEP_2) | instskip(NEXT) | instid1(VALU_DEP_1)
	v_dual_cndmask_b32 v10, v10, v12 :: v_dual_cndmask_b32 v3, v3, v11
	v_cmp_le_u32_e32 vcc_lo, s48, v10
	s_delay_alu instid0(VALU_DEP_2) | instskip(NEXT) | instid1(VALU_DEP_1)
	v_add_nc_u32_e32 v11, 1, v3
	v_dual_cndmask_b32 v10, v3, v11 :: v_dual_mov_b32 v11, v2
	s_branch .LBB126_2705
.LBB126_2710:
	s_or_b32 exec_lo, exec_lo, s30
	s_and_saveexec_b32 s30, s61
	s_cbranch_execnz .LBB126_2763
.LBB126_2711:
	s_or_b32 exec_lo, exec_lo, s30
	s_and_saveexec_b32 s30, s31
	s_delay_alu instid0(SALU_CYCLE_1)
	s_xor_b32 s30, exec_lo, s30
	s_cbranch_execz .LBB126_2764
.LBB126_2712:
	s_wait_loadcnt 0x0
	v_mov_b32_e32 v2, 0
	global_store_b8 v[0:1], v2, off
	s_wait_xcnt 0x0
	s_or_b32 exec_lo, exec_lo, s30
	s_and_saveexec_b32 s30, s34
	s_delay_alu instid0(SALU_CYCLE_1)
	s_xor_b32 s30, exec_lo, s30
	s_cbranch_execz .LBB126_2802
	s_branch .LBB126_2765
.LBB126_2713:
	s_mov_b32 s30, s63
	s_mov_b32 s0, exec_lo
	v_cmpx_gt_i64_e64 v[6:7], v[4:5]
	s_cbranch_execz .LBB126_2720
; %bb.2714:
	s_delay_alu instid0(VALU_DEP_2) | instskip(SKIP_2) | instid1(VALU_DEP_1)
	v_lshlrev_b64_e32 v[0:1], 3, v[0:1]
	s_mov_b32 s30, 0
	s_xor_b32 s34, s56, -1
                                        ; implicit-def: $sgpr31
                                        ; implicit-def: $sgpr44
                                        ; implicit-def: $sgpr35
	v_lshl_add_u64 v[2:3], v[4:5], 3, v[0:1]
	v_add_nc_u64_e32 v[4:5], s[24:25], v[0:1]
	s_delay_alu instid0(VALU_DEP_2) | instskip(NEXT) | instid1(VALU_DEP_1)
	v_add_nc_u64_e32 v[2:3], s[24:25], v[2:3]
	v_add_nc_u64_e32 v[0:1], 8, v[2:3]
	s_delay_alu instid0(VALU_DEP_3)
	v_lshl_add_u64 v[2:3], v[6:7], 3, v[4:5]
	s_branch .LBB126_2716
.LBB126_2715:                           ;   in Loop: Header=BB126_2716 Depth=1
	s_or_b32 exec_lo, exec_lo, s45
	s_xor_b32 s45, s35, -1
	s_and_b32 s46, exec_lo, s44
	s_delay_alu instid0(SALU_CYCLE_1) | instskip(SKIP_2) | instid1(SALU_CYCLE_1)
	s_or_b32 s30, s46, s30
	s_and_not1_b32 s31, s31, exec_lo
	s_and_b32 s45, s45, exec_lo
	s_or_b32 s31, s31, s45
	s_and_not1_b32 exec_lo, exec_lo, s30
	s_cbranch_execz .LBB126_2719
.LBB126_2716:                           ; =>This Inner Loop Header: Depth=1
	s_or_b32 s35, s35, exec_lo
	s_or_b32 s44, s44, exec_lo
	s_mov_b32 s45, exec_lo
	s_delay_alu instid0(VALU_DEP_2)
	v_cmpx_lt_u64_e64 v[0:1], v[2:3]
	s_cbranch_execz .LBB126_2715
; %bb.2717:                             ;   in Loop: Header=BB126_2716 Depth=1
	global_load_b128 v[4:7], v[0:1], off offset:-8
	s_wait_xcnt 0x0
	v_add_nc_u64_e32 v[0:1], 8, v[0:1]
	s_and_not1_b32 s44, s44, exec_lo
	s_and_not1_b32 s35, s35, exec_lo
	s_wait_loadcnt 0x0
	v_cmp_ge_i64_e32 vcc_lo, v[4:5], v[6:7]
	s_or_b32 s46, s34, vcc_lo
	s_delay_alu instid0(SALU_CYCLE_1) | instskip(NEXT) | instid1(SALU_CYCLE_1)
	s_and_b32 s46, s46, exec_lo
	s_or_b32 s44, s44, s46
	s_branch .LBB126_2715
.LBB126_2718:
	s_mov_b32 s44, 0
	s_mov_b32 s35, -1
	s_mov_b32 s31, s61
	s_branch .LBB126_2762
.LBB126_2719:
	s_or_b32 exec_lo, exec_lo, s30
	s_delay_alu instid0(SALU_CYCLE_1) | instskip(SKIP_1) | instid1(SALU_CYCLE_1)
	s_and_not1_b32 s30, s63, exec_lo
	s_and_b32 s31, s31, exec_lo
	s_or_b32 s30, s30, s31
.LBB126_2720:
	s_or_b32 exec_lo, exec_lo, s0
	s_delay_alu instid0(SALU_CYCLE_1)
	s_and_not1_b32 s0, s63, exec_lo
	s_and_b32 s30, s30, exec_lo
	s_mov_b32 s35, exec_lo
	s_or_b32 s63, s0, s30
	s_or_b32 exec_lo, exec_lo, s58
	s_and_saveexec_b32 s0, s63
	s_cbranch_execz .LBB126_2693
.LBB126_2721:
	s_or_b32 s1, s1, exec_lo
	s_and_not1_b32 s35, s35, exec_lo
	s_trap 2
	s_branch .LBB126_2693
.LBB126_2722:
	s_or_b32 s1, s1, exec_lo
	s_and_not1_b32 s0, s0, exec_lo
	s_trap 2
	s_branch .LBB126_2686
.LBB126_2723:
	s_or_b32 s1, s1, exec_lo
	s_and_not1_b32 s34, s34, exec_lo
	s_trap 2
	s_branch .LBB126_2689
.LBB126_2724:
	s_mov_b32 s35, 0
.LBB126_2725:
	s_delay_alu instid0(SALU_CYCLE_1)
	s_and_b32 vcc_lo, exec_lo, s35
	s_cbranch_vccz .LBB126_2728
; %bb.2726:
	s_cmp_eq_u32 s34, 44
	s_mov_b32 s31, -1
	s_cbranch_scc0 .LBB126_2728
; %bb.2727:
	s_wait_xcnt 0x0
	v_mov_b32_e32 v2, 0
	s_mov_b32 s31, 0
	s_mov_b32 s35, 0
	global_store_b8 v[0:1], v2, off
	s_branch .LBB126_2729
.LBB126_2728:
	s_mov_b32 s35, 0
.LBB126_2729:
	s_delay_alu instid0(SALU_CYCLE_1)
	s_and_b32 vcc_lo, exec_lo, s35
	s_cbranch_vccz .LBB126_2732
; %bb.2730:
	s_cmp_eq_u32 s34, 29
	s_mov_b32 s31, -1
	s_cbranch_scc0 .LBB126_2732
; %bb.2731:
	s_wait_xcnt 0x0
	v_mov_b64_e32 v[2:3], 0
	s_mov_b32 s31, 0
	s_mov_b32 s35, 0
	global_store_b64 v[0:1], v[2:3], off
	s_branch .LBB126_2733
.LBB126_2732:
	s_mov_b32 s35, 0
.LBB126_2733:
	s_delay_alu instid0(SALU_CYCLE_1)
	s_and_b32 vcc_lo, exec_lo, s35
	s_cbranch_vccz .LBB126_2742
; %bb.2734:
	s_cmp_lt_i32 s34, 27
	s_mov_b32 s35, -1
	s_cbranch_scc1 .LBB126_2740
; %bb.2735:
	s_cmp_gt_i32 s34, 27
	s_cbranch_scc0 .LBB126_2737
; %bb.2736:
	s_wait_xcnt 0x0
	v_mov_b32_e32 v2, 0
	s_mov_b32 s35, 0
	global_store_b32 v[0:1], v2, off
.LBB126_2737:
	s_and_not1_b32 vcc_lo, exec_lo, s35
	s_cbranch_vccnz .LBB126_2739
; %bb.2738:
	s_wait_xcnt 0x0
	v_mov_b32_e32 v2, 0
	global_store_b16 v[0:1], v2, off
.LBB126_2739:
	s_mov_b32 s35, 0
.LBB126_2740:
	s_delay_alu instid0(SALU_CYCLE_1)
	s_and_not1_b32 vcc_lo, exec_lo, s35
	s_cbranch_vccnz .LBB126_2742
; %bb.2741:
	s_wait_xcnt 0x0
	v_mov_b32_e32 v2, 0
	global_store_b8 v[0:1], v2, off
.LBB126_2742:
	s_mov_b32 s35, 0
.LBB126_2743:
	s_delay_alu instid0(SALU_CYCLE_1)
	s_and_b32 vcc_lo, exec_lo, s35
	s_mov_b32 s35, 0
	s_cbranch_vccz .LBB126_2761
; %bb.2744:
	s_cmp_gt_i32 s34, 22
	s_mov_b32 s44, -1
	s_cbranch_scc0 .LBB126_2754
; %bb.2745:
	s_cmp_lt_i32 s34, 24
	s_cbranch_scc1 .LBB126_2751
; %bb.2746:
	s_cmp_gt_i32 s34, 24
	s_cbranch_scc0 .LBB126_2748
; %bb.2747:
	s_wait_xcnt 0x0
	v_mov_b32_e32 v2, 0
	s_mov_b32 s44, 0
	global_store_b8 v[0:1], v2, off
.LBB126_2748:
	s_and_not1_b32 vcc_lo, exec_lo, s44
	s_cbranch_vccnz .LBB126_2750
; %bb.2749:
	s_wait_xcnt 0x0
	v_mov_b32_e32 v2, 0
	global_store_b8 v[0:1], v2, off
.LBB126_2750:
	s_mov_b32 s44, 0
.LBB126_2751:
	s_delay_alu instid0(SALU_CYCLE_1)
	s_and_not1_b32 vcc_lo, exec_lo, s44
	s_cbranch_vccnz .LBB126_2753
; %bb.2752:
	s_wait_xcnt 0x0
	v_mov_b32_e32 v2, 0
	global_store_b8 v[0:1], v2, off
.LBB126_2753:
	s_mov_b32 s44, 0
.LBB126_2754:
	s_delay_alu instid0(SALU_CYCLE_1)
	s_and_not1_b32 vcc_lo, exec_lo, s44
	s_mov_b32 s44, 0
	s_cbranch_vccnz .LBB126_2762
; %bb.2755:
	s_cmp_gt_i32 s34, 14
	s_mov_b32 s44, -1
	s_cbranch_scc0 .LBB126_2759
; %bb.2756:
	s_cmp_eq_u32 s34, 15
	s_mov_b32 s31, -1
	s_cbranch_scc0 .LBB126_2758
; %bb.2757:
	s_wait_xcnt 0x0
	v_mov_b32_e32 v2, 0
	s_mov_b32 s31, 0
	global_store_b16 v[0:1], v2, off
.LBB126_2758:
	s_mov_b32 s44, 0
.LBB126_2759:
	s_delay_alu instid0(SALU_CYCLE_1)
	s_and_b32 vcc_lo, exec_lo, s44
	s_mov_b32 s44, 0
	s_cbranch_vccz .LBB126_2762
; %bb.2760:
	s_cmp_lg_u32 s34, 11
	s_mov_b32 s44, -1
	s_cselect_b32 s34, -1, 0
	s_and_not1_b32 s31, s31, exec_lo
	s_and_b32 s34, s34, exec_lo
	s_delay_alu instid0(SALU_CYCLE_1)
	s_or_b32 s31, s31, s34
	s_branch .LBB126_2762
.LBB126_2761:
	s_mov_b32 s44, 0
.LBB126_2762:
	s_and_b32 s34, s35, exec_lo
	s_and_not1_b32 s35, s61, exec_lo
	s_and_b32 s45, s31, exec_lo
	s_and_b32 s31, s44, exec_lo
	s_or_b32 s61, s35, s45
	s_wait_xcnt 0x0
	s_or_b32 exec_lo, exec_lo, s30
	s_and_saveexec_b32 s30, s61
	s_cbranch_execz .LBB126_2711
.LBB126_2763:
	s_or_b32 s1, s1, exec_lo
	s_and_not1_b32 s31, s31, exec_lo
	s_trap 2
	s_or_b32 exec_lo, exec_lo, s30
	s_and_saveexec_b32 s30, s31
	s_delay_alu instid0(SALU_CYCLE_1)
	s_xor_b32 s30, exec_lo, s30
	s_cbranch_execnz .LBB126_2712
.LBB126_2764:
	s_or_b32 exec_lo, exec_lo, s30
	s_and_saveexec_b32 s30, s34
	s_delay_alu instid0(SALU_CYCLE_1)
	s_xor_b32 s30, exec_lo, s30
	s_cbranch_execz .LBB126_2802
.LBB126_2765:
	s_sext_i32_i16 s34, s0
	s_mov_b32 s31, -1
	s_cmp_lt_i32 s34, 5
	s_cbranch_scc1 .LBB126_2786
; %bb.2766:
	s_cmp_lt_i32 s34, 8
	s_cbranch_scc1 .LBB126_2776
; %bb.2767:
	;; [unrolled: 3-line block ×3, first 2 shown]
	s_cmp_gt_i32 s34, 9
	s_cbranch_scc0 .LBB126_2770
; %bb.2769:
	s_wait_loadcnt 0x0
	v_mov_b32_e32 v2, 0
	s_mov_b32 s31, 0
	s_delay_alu instid0(VALU_DEP_1)
	v_dual_mov_b32 v3, v2 :: v_dual_mov_b32 v4, v2
	v_mov_b32_e32 v5, v2
	global_store_b128 v[0:1], v[2:5], off
.LBB126_2770:
	s_and_not1_b32 vcc_lo, exec_lo, s31
	s_cbranch_vccnz .LBB126_2772
; %bb.2771:
	s_wait_loadcnt 0x0
	v_mov_b64_e32 v[2:3], 0
	global_store_b64 v[0:1], v[2:3], off
.LBB126_2772:
	s_mov_b32 s31, 0
.LBB126_2773:
	s_delay_alu instid0(SALU_CYCLE_1)
	s_and_not1_b32 vcc_lo, exec_lo, s31
	s_cbranch_vccnz .LBB126_2775
; %bb.2774:
	s_wait_loadcnt 0x0
	v_mov_b32_e32 v2, 0
	global_store_b32 v[0:1], v2, off
.LBB126_2775:
	s_mov_b32 s31, 0
.LBB126_2776:
	s_delay_alu instid0(SALU_CYCLE_1)
	s_and_not1_b32 vcc_lo, exec_lo, s31
	s_cbranch_vccnz .LBB126_2785
; %bb.2777:
	s_sext_i32_i16 s34, s0
	s_mov_b32 s31, -1
	s_cmp_lt_i32 s34, 6
	s_cbranch_scc1 .LBB126_2783
; %bb.2778:
	s_cmp_gt_i32 s34, 6
	s_cbranch_scc0 .LBB126_2780
; %bb.2779:
	s_wait_loadcnt 0x0
	v_mov_b64_e32 v[2:3], 0
	s_mov_b32 s31, 0
	global_store_b64 v[0:1], v[2:3], off
.LBB126_2780:
	s_and_not1_b32 vcc_lo, exec_lo, s31
	s_cbranch_vccnz .LBB126_2782
; %bb.2781:
	s_wait_loadcnt 0x0
	v_mov_b32_e32 v2, 0
	global_store_b32 v[0:1], v2, off
.LBB126_2782:
	s_mov_b32 s31, 0
.LBB126_2783:
	s_delay_alu instid0(SALU_CYCLE_1)
	s_and_not1_b32 vcc_lo, exec_lo, s31
	s_cbranch_vccnz .LBB126_2785
; %bb.2784:
	s_wait_loadcnt 0x0
	v_mov_b32_e32 v2, 0
	global_store_b16 v[0:1], v2, off
.LBB126_2785:
	s_mov_b32 s31, 0
.LBB126_2786:
	s_delay_alu instid0(SALU_CYCLE_1)
	s_and_not1_b32 vcc_lo, exec_lo, s31
	s_cbranch_vccnz .LBB126_2802
; %bb.2787:
	s_sext_i32_i16 s34, s0
	s_mov_b32 s31, -1
	s_cmp_lt_i32 s34, 2
	s_cbranch_scc1 .LBB126_2797
; %bb.2788:
	s_cmp_lt_i32 s34, 3
	s_cbranch_scc1 .LBB126_2794
; %bb.2789:
	s_cmp_gt_i32 s34, 3
	s_cbranch_scc0 .LBB126_2791
; %bb.2790:
	s_wait_loadcnt 0x0
	v_mov_b64_e32 v[2:3], 0
	s_mov_b32 s31, 0
	global_store_b64 v[0:1], v[2:3], off
.LBB126_2791:
	s_and_not1_b32 vcc_lo, exec_lo, s31
	s_cbranch_vccnz .LBB126_2793
; %bb.2792:
	s_wait_loadcnt 0x0
	v_mov_b32_e32 v2, 0
	global_store_b32 v[0:1], v2, off
.LBB126_2793:
	s_mov_b32 s31, 0
.LBB126_2794:
	s_delay_alu instid0(SALU_CYCLE_1)
	s_and_not1_b32 vcc_lo, exec_lo, s31
	s_cbranch_vccnz .LBB126_2796
; %bb.2795:
	s_wait_loadcnt 0x0
	v_mov_b32_e32 v2, 0
	global_store_b16 v[0:1], v2, off
.LBB126_2796:
	s_mov_b32 s31, 0
.LBB126_2797:
	s_delay_alu instid0(SALU_CYCLE_1)
	s_and_not1_b32 vcc_lo, exec_lo, s31
	s_cbranch_vccnz .LBB126_2802
; %bb.2798:
	s_sext_i32_i16 s0, s0
	s_delay_alu instid0(SALU_CYCLE_1)
	s_cmp_gt_i32 s0, 0
	s_mov_b32 s0, -1
	s_cbranch_scc0 .LBB126_2800
; %bb.2799:
	s_wait_loadcnt 0x0
	v_mov_b32_e32 v2, 0
	s_mov_b32 s0, 0
	global_store_b8 v[0:1], v2, off
.LBB126_2800:
	s_and_not1_b32 vcc_lo, exec_lo, s0
	s_cbranch_vccnz .LBB126_2802
; %bb.2801:
	s_wait_loadcnt 0x0
	v_mov_b32_e32 v2, 0
	global_store_b8 v[0:1], v2, off
.LBB126_2802:
	s_wait_xcnt 0x0
	s_or_b32 exec_lo, exec_lo, s30
	s_delay_alu instid0(SALU_CYCLE_1)
	s_and_b32 s52, s1, exec_lo
                                        ; implicit-def: $vgpr22
.LBB126_2803:
	s_or_saveexec_b32 s53, s55
	s_mov_b32 s30, 0
                                        ; implicit-def: $sgpr0
                                        ; implicit-def: $vgpr10_vgpr11
	s_xor_b32 exec_lo, exec_lo, s53
	s_cbranch_execz .LBB126_3436
; %bb.2804:
	s_wait_loadcnt 0x0
	v_mul_lo_u32 v0, s17, v22
	s_and_b32 s57, s54, 0xff
	s_delay_alu instid0(SALU_CYCLE_1) | instskip(NEXT) | instid1(VALU_DEP_1)
	s_cmp_lt_i32 s57, 11
	v_ashrrev_i32_e32 v1, 31, v0
	s_delay_alu instid0(VALU_DEP_1)
	v_add_nc_u64_e32 v[2:3], s[6:7], v[0:1]
	s_cbranch_scc1 .LBB126_2811
; %bb.2805:
	s_and_b32 s0, 0xffff, s57
	s_delay_alu instid0(SALU_CYCLE_1)
	s_cmp_gt_i32 s0, 25
	s_cbranch_scc0 .LBB126_2813
; %bb.2806:
	s_cmp_gt_i32 s0, 28
	s_cbranch_scc0 .LBB126_2814
; %bb.2807:
	;; [unrolled: 3-line block ×4, first 2 shown]
	s_cmp_eq_u32 s0, 46
	s_mov_b32 s34, 0
	s_cbranch_scc0 .LBB126_2817
; %bb.2810:
	global_load_b32 v1, v[2:3], off
	s_mov_b32 s1, 0
	s_mov_b32 s31, -1
	s_wait_loadcnt 0x0
	v_lshlrev_b32_e32 v1, 16, v1
	s_delay_alu instid0(VALU_DEP_1) | instskip(NEXT) | instid1(VALU_DEP_1)
	v_trunc_f32_e32 v1, v1
	v_mul_f32_e64 v4, 0x2f800000, |v1|
	s_delay_alu instid0(VALU_DEP_1) | instskip(SKIP_1) | instid1(VALU_DEP_2)
	v_floor_f32_e32 v5, v4
	v_ashrrev_i32_e32 v4, 31, v1
	v_fma_f32 v6, 0xcf800000, v5, |v1|
	v_cvt_u32_f32_e32 v1, v5
	s_delay_alu instid0(VALU_DEP_3) | instskip(NEXT) | instid1(VALU_DEP_3)
	v_mov_b32_e32 v5, v4
	v_cvt_u32_f32_e32 v6, v6
	s_delay_alu instid0(VALU_DEP_3) | instskip(NEXT) | instid1(VALU_DEP_2)
	v_xor_b32_e32 v7, v1, v4
	v_xor_b32_e32 v6, v6, v4
	s_delay_alu instid0(VALU_DEP_1)
	v_sub_nc_u64_e32 v[10:11], v[6:7], v[4:5]
	s_branch .LBB126_2819
.LBB126_2811:
	s_mov_b32 s31, 0
	s_mov_b32 s43, s52
                                        ; implicit-def: $vgpr10_vgpr11
	s_cbranch_execnz .LBB126_2877
.LBB126_2812:
	s_and_not1_b32 vcc_lo, exec_lo, s31
	s_cbranch_vccz .LBB126_2922
	s_branch .LBB126_3434
.LBB126_2813:
	s_mov_b32 s31, 0
	s_mov_b32 s1, 0
                                        ; implicit-def: $vgpr10_vgpr11
	s_cbranch_execnz .LBB126_2844
	s_branch .LBB126_2873
.LBB126_2814:
	s_mov_b32 s31, 0
	s_mov_b32 s1, 0
                                        ; implicit-def: $vgpr10_vgpr11
	s_cbranch_execz .LBB126_2843
	s_branch .LBB126_2828
.LBB126_2815:
	s_mov_b32 s31, 0
	s_mov_b32 s1, 0
                                        ; implicit-def: $vgpr10_vgpr11
	s_cbranch_execnz .LBB126_2824
	s_branch .LBB126_2827
.LBB126_2816:
	s_mov_b32 s34, -1
	s_mov_b32 s31, 0
	s_mov_b32 s1, 0
	s_branch .LBB126_2818
.LBB126_2817:
	s_mov_b32 s1, -1
	s_mov_b32 s31, 0
.LBB126_2818:
                                        ; implicit-def: $vgpr10_vgpr11
.LBB126_2819:
	s_and_b32 vcc_lo, exec_lo, s34
	s_cbranch_vccz .LBB126_2822
; %bb.2820:
	s_cmp_eq_u32 s0, 44
	s_cbranch_scc0 .LBB126_2823
; %bb.2821:
	global_load_u8 v1, v[2:3], off
	s_mov_b32 s1, 0
	s_mov_b32 s31, -1
	s_wait_loadcnt 0x0
	v_lshlrev_b32_e32 v4, 23, v1
	v_cmp_ne_u32_e32 vcc_lo, 0, v1
	s_delay_alu instid0(VALU_DEP_2) | instskip(NEXT) | instid1(VALU_DEP_1)
	v_trunc_f32_e32 v4, v4
	v_mul_f32_e64 v5, 0x2f800000, |v4|
	s_delay_alu instid0(VALU_DEP_1) | instskip(NEXT) | instid1(VALU_DEP_1)
	v_floor_f32_e32 v5, v5
	v_fma_f32 v6, 0xcf800000, v5, |v4|
	v_ashrrev_i32_e32 v4, 31, v4
	v_cvt_u32_f32_e32 v7, v5
	s_delay_alu instid0(VALU_DEP_3) | instskip(NEXT) | instid1(VALU_DEP_2)
	v_cvt_u32_f32_e32 v6, v6
	v_dual_mov_b32 v5, v4 :: v_dual_bitop2_b32 v7, v7, v4 bitop3:0x14
	s_delay_alu instid0(VALU_DEP_2) | instskip(NEXT) | instid1(VALU_DEP_1)
	v_xor_b32_e32 v6, v6, v4
	v_sub_nc_u64_e32 v[4:5], v[6:7], v[4:5]
	s_delay_alu instid0(VALU_DEP_1)
	v_dual_cndmask_b32 v11, 0, v5 :: v_dual_cndmask_b32 v10, 0, v4
.LBB126_2822:
	s_branch .LBB126_2827
.LBB126_2823:
	s_mov_b32 s1, -1
                                        ; implicit-def: $vgpr10_vgpr11
	s_branch .LBB126_2827
.LBB126_2824:
	s_cmp_eq_u32 s0, 29
	s_cbranch_scc0 .LBB126_2826
; %bb.2825:
	global_load_b64 v[10:11], v[2:3], off
	s_mov_b32 s1, 0
	s_mov_b32 s31, -1
	s_branch .LBB126_2827
.LBB126_2826:
	s_mov_b32 s1, -1
                                        ; implicit-def: $vgpr10_vgpr11
.LBB126_2827:
	s_branch .LBB126_2843
.LBB126_2828:
	s_cmp_lt_i32 s0, 27
	s_cbranch_scc1 .LBB126_2831
; %bb.2829:
	s_cmp_gt_i32 s0, 27
	s_cbranch_scc0 .LBB126_2832
; %bb.2830:
	s_wait_loadcnt 0x0
	global_load_b32 v10, v[2:3], off
	v_mov_b32_e32 v11, 0
	s_mov_b32 s31, 0
	s_branch .LBB126_2833
.LBB126_2831:
	s_mov_b32 s31, -1
                                        ; implicit-def: $vgpr10_vgpr11
	s_branch .LBB126_2836
.LBB126_2832:
	s_mov_b32 s31, -1
                                        ; implicit-def: $vgpr10_vgpr11
.LBB126_2833:
	s_delay_alu instid0(SALU_CYCLE_1)
	s_and_not1_b32 vcc_lo, exec_lo, s31
	s_cbranch_vccnz .LBB126_2835
; %bb.2834:
	global_load_u16 v1, v[2:3], off
	s_mov_b32 s31, 0
	s_wait_loadcnt 0x1
	v_mov_b32_e32 v11, s31
	s_wait_loadcnt 0x0
	v_and_b32_e32 v10, 0xffff, v1
.LBB126_2835:
	s_mov_b32 s31, 0
.LBB126_2836:
	s_delay_alu instid0(SALU_CYCLE_1)
	s_and_not1_b32 vcc_lo, exec_lo, s31
	s_cbranch_vccnz .LBB126_2842
; %bb.2837:
	global_load_u8 v1, v[2:3], off
	s_mov_b32 s34, 0
	s_mov_b32 s31, exec_lo
	s_wait_loadcnt 0x0
	v_cmpx_lt_i16_e32 0x7f, v1
	s_xor_b32 s31, exec_lo, s31
	s_cbranch_execz .LBB126_2853
; %bb.2838:
	v_cmp_ne_u16_e32 vcc_lo, 0x80, v1
	s_and_b32 s34, vcc_lo, exec_lo
	s_and_not1_saveexec_b32 s31, s31
	s_cbranch_execnz .LBB126_2854
.LBB126_2839:
	s_or_b32 exec_lo, exec_lo, s31
	v_mov_b64_e32 v[10:11], 0
	s_and_saveexec_b32 s31, s34
	s_cbranch_execz .LBB126_2841
.LBB126_2840:
	v_and_b32_e32 v4, 0xffff, v1
	s_delay_alu instid0(VALU_DEP_1) | instskip(SKIP_1) | instid1(VALU_DEP_2)
	v_and_b32_e32 v5, 7, v4
	v_bfe_u32 v8, v4, 3, 4
	v_clz_i32_u32_e32 v6, v5
	s_delay_alu instid0(VALU_DEP_2) | instskip(NEXT) | instid1(VALU_DEP_2)
	v_cmp_eq_u32_e32 vcc_lo, 0, v8
	v_min_u32_e32 v6, 32, v6
	s_delay_alu instid0(VALU_DEP_1) | instskip(NEXT) | instid1(VALU_DEP_1)
	v_subrev_nc_u32_e32 v7, 28, v6
	v_dual_lshlrev_b32 v4, v7, v4 :: v_dual_sub_nc_u32 v6, 29, v6
	s_delay_alu instid0(VALU_DEP_1) | instskip(NEXT) | instid1(VALU_DEP_1)
	v_dual_lshlrev_b32 v1, 24, v1 :: v_dual_bitop2_b32 v4, 7, v4 bitop3:0x40
	v_dual_cndmask_b32 v6, v8, v6, vcc_lo :: v_dual_cndmask_b32 v4, v5, v4, vcc_lo
	s_delay_alu instid0(VALU_DEP_2) | instskip(NEXT) | instid1(VALU_DEP_2)
	v_and_b32_e32 v1, 0x80000000, v1
	v_lshl_add_u32 v5, v6, 23, 0x3b800000
	s_delay_alu instid0(VALU_DEP_3) | instskip(NEXT) | instid1(VALU_DEP_1)
	v_lshlrev_b32_e32 v4, 20, v4
	v_or3_b32 v1, v1, v5, v4
	s_delay_alu instid0(VALU_DEP_1) | instskip(NEXT) | instid1(VALU_DEP_1)
	v_trunc_f32_e32 v1, v1
	v_mul_f32_e64 v4, 0x2f800000, |v1|
	s_delay_alu instid0(VALU_DEP_1) | instskip(SKIP_1) | instid1(VALU_DEP_2)
	v_floor_f32_e32 v5, v4
	v_ashrrev_i32_e32 v4, 31, v1
	v_fma_f32 v6, 0xcf800000, v5, |v1|
	v_cvt_u32_f32_e32 v1, v5
	s_delay_alu instid0(VALU_DEP_3) | instskip(NEXT) | instid1(VALU_DEP_3)
	v_mov_b32_e32 v5, v4
	v_cvt_u32_f32_e32 v6, v6
	s_delay_alu instid0(VALU_DEP_3) | instskip(NEXT) | instid1(VALU_DEP_2)
	v_xor_b32_e32 v7, v1, v4
	v_xor_b32_e32 v6, v6, v4
	s_delay_alu instid0(VALU_DEP_1)
	v_sub_nc_u64_e32 v[10:11], v[6:7], v[4:5]
.LBB126_2841:
	s_or_b32 exec_lo, exec_lo, s31
.LBB126_2842:
	s_mov_b32 s31, -1
.LBB126_2843:
	s_branch .LBB126_2873
.LBB126_2844:
	s_cmp_gt_i32 s0, 22
	s_cbranch_scc0 .LBB126_2852
; %bb.2845:
	s_cmp_lt_i32 s0, 24
	s_cbranch_scc1 .LBB126_2855
; %bb.2846:
	s_cmp_gt_i32 s0, 24
	s_cbranch_scc0 .LBB126_2856
; %bb.2847:
	global_load_u8 v1, v[2:3], off
	s_mov_b32 s31, 0
	s_mov_b32 s30, exec_lo
	s_wait_loadcnt 0x0
	v_cmpx_lt_i16_e32 0x7f, v1
	s_xor_b32 s30, exec_lo, s30
	s_cbranch_execz .LBB126_2867
; %bb.2848:
	v_cmp_ne_u16_e32 vcc_lo, 0x80, v1
	s_and_b32 s31, vcc_lo, exec_lo
	s_and_not1_saveexec_b32 s30, s30
	s_cbranch_execnz .LBB126_2868
.LBB126_2849:
	s_or_b32 exec_lo, exec_lo, s30
	v_mov_b64_e32 v[10:11], 0
	s_and_saveexec_b32 s30, s31
	s_cbranch_execz .LBB126_2851
.LBB126_2850:
	v_and_b32_e32 v4, 0xffff, v1
	s_delay_alu instid0(VALU_DEP_1) | instskip(SKIP_1) | instid1(VALU_DEP_2)
	v_and_b32_e32 v5, 3, v4
	v_bfe_u32 v8, v4, 2, 5
	v_clz_i32_u32_e32 v6, v5
	s_delay_alu instid0(VALU_DEP_2) | instskip(NEXT) | instid1(VALU_DEP_2)
	v_cmp_eq_u32_e32 vcc_lo, 0, v8
	v_min_u32_e32 v6, 32, v6
	s_delay_alu instid0(VALU_DEP_1) | instskip(NEXT) | instid1(VALU_DEP_1)
	v_subrev_nc_u32_e32 v7, 29, v6
	v_dual_lshlrev_b32 v4, v7, v4 :: v_dual_sub_nc_u32 v6, 30, v6
	s_delay_alu instid0(VALU_DEP_1) | instskip(NEXT) | instid1(VALU_DEP_1)
	v_dual_lshlrev_b32 v1, 24, v1 :: v_dual_bitop2_b32 v4, 3, v4 bitop3:0x40
	v_dual_cndmask_b32 v6, v8, v6, vcc_lo :: v_dual_cndmask_b32 v4, v5, v4, vcc_lo
	s_delay_alu instid0(VALU_DEP_2) | instskip(NEXT) | instid1(VALU_DEP_2)
	v_and_b32_e32 v1, 0x80000000, v1
	v_lshl_add_u32 v5, v6, 23, 0x37800000
	s_delay_alu instid0(VALU_DEP_3) | instskip(NEXT) | instid1(VALU_DEP_1)
	v_lshlrev_b32_e32 v4, 21, v4
	v_or3_b32 v1, v1, v5, v4
	s_delay_alu instid0(VALU_DEP_1) | instskip(NEXT) | instid1(VALU_DEP_1)
	v_trunc_f32_e32 v1, v1
	v_mul_f32_e64 v4, 0x2f800000, |v1|
	s_delay_alu instid0(VALU_DEP_1) | instskip(SKIP_1) | instid1(VALU_DEP_2)
	v_floor_f32_e32 v5, v4
	v_ashrrev_i32_e32 v4, 31, v1
	v_fma_f32 v6, 0xcf800000, v5, |v1|
	v_cvt_u32_f32_e32 v1, v5
	s_delay_alu instid0(VALU_DEP_3) | instskip(NEXT) | instid1(VALU_DEP_3)
	v_mov_b32_e32 v5, v4
	v_cvt_u32_f32_e32 v6, v6
	s_delay_alu instid0(VALU_DEP_3) | instskip(NEXT) | instid1(VALU_DEP_2)
	v_xor_b32_e32 v7, v1, v4
	v_xor_b32_e32 v6, v6, v4
	s_delay_alu instid0(VALU_DEP_1)
	v_sub_nc_u64_e32 v[10:11], v[6:7], v[4:5]
.LBB126_2851:
	s_or_b32 exec_lo, exec_lo, s30
	s_mov_b32 s30, 0
	s_branch .LBB126_2857
.LBB126_2852:
                                        ; implicit-def: $vgpr10_vgpr11
	s_mov_b32 s30, 0
	s_branch .LBB126_2863
.LBB126_2853:
	s_and_not1_saveexec_b32 s31, s31
	s_cbranch_execz .LBB126_2839
.LBB126_2854:
	v_cmp_ne_u16_e32 vcc_lo, 0, v1
	s_and_not1_b32 s34, s34, exec_lo
	s_and_b32 s35, vcc_lo, exec_lo
	s_delay_alu instid0(SALU_CYCLE_1)
	s_or_b32 s34, s34, s35
	s_or_b32 exec_lo, exec_lo, s31
	v_mov_b64_e32 v[10:11], 0
	s_and_saveexec_b32 s31, s34
	s_cbranch_execnz .LBB126_2840
	s_branch .LBB126_2841
.LBB126_2855:
	s_mov_b32 s30, -1
                                        ; implicit-def: $vgpr10_vgpr11
	s_branch .LBB126_2860
.LBB126_2856:
	s_mov_b32 s30, -1
                                        ; implicit-def: $vgpr10_vgpr11
.LBB126_2857:
	s_delay_alu instid0(SALU_CYCLE_1)
	s_and_b32 vcc_lo, exec_lo, s30
	s_cbranch_vccz .LBB126_2859
; %bb.2858:
	global_load_u8 v1, v[2:3], off
	s_wait_loadcnt 0x0
	v_lshlrev_b32_e32 v1, 24, v1
	s_delay_alu instid0(VALU_DEP_1) | instskip(NEXT) | instid1(VALU_DEP_1)
	v_and_b32_e32 v4, 0x7f000000, v1
	v_clz_i32_u32_e32 v5, v4
	v_cmp_ne_u32_e32 vcc_lo, 0, v4
	v_add_nc_u32_e32 v7, 0x1000000, v4
	s_delay_alu instid0(VALU_DEP_3) | instskip(NEXT) | instid1(VALU_DEP_1)
	v_min_u32_e32 v5, 32, v5
	v_sub_nc_u32_e64 v5, v5, 4 clamp
	s_delay_alu instid0(VALU_DEP_1) | instskip(NEXT) | instid1(VALU_DEP_1)
	v_dual_lshlrev_b32 v6, v5, v4 :: v_dual_lshlrev_b32 v5, 23, v5
	v_lshrrev_b32_e32 v6, 4, v6
	s_delay_alu instid0(VALU_DEP_1) | instskip(NEXT) | instid1(VALU_DEP_1)
	v_dual_sub_nc_u32 v5, v6, v5 :: v_dual_ashrrev_i32 v6, 8, v7
	v_add_nc_u32_e32 v5, 0x3c000000, v5
	s_delay_alu instid0(VALU_DEP_1) | instskip(NEXT) | instid1(VALU_DEP_1)
	v_and_or_b32 v5, 0x7f800000, v6, v5
	v_cndmask_b32_e32 v4, 0, v5, vcc_lo
	s_delay_alu instid0(VALU_DEP_1) | instskip(NEXT) | instid1(VALU_DEP_1)
	v_and_or_b32 v1, 0x80000000, v1, v4
	v_trunc_f32_e32 v1, v1
	s_delay_alu instid0(VALU_DEP_1) | instskip(NEXT) | instid1(VALU_DEP_1)
	v_mul_f32_e64 v4, 0x2f800000, |v1|
	v_floor_f32_e32 v5, v4
	v_ashrrev_i32_e32 v4, 31, v1
	s_delay_alu instid0(VALU_DEP_2) | instskip(SKIP_1) | instid1(VALU_DEP_3)
	v_fma_f32 v6, 0xcf800000, v5, |v1|
	v_cvt_u32_f32_e32 v1, v5
	v_mov_b32_e32 v5, v4
	s_delay_alu instid0(VALU_DEP_3) | instskip(NEXT) | instid1(VALU_DEP_3)
	v_cvt_u32_f32_e32 v6, v6
	v_xor_b32_e32 v7, v1, v4
	s_delay_alu instid0(VALU_DEP_2) | instskip(NEXT) | instid1(VALU_DEP_1)
	v_xor_b32_e32 v6, v6, v4
	v_sub_nc_u64_e32 v[10:11], v[6:7], v[4:5]
.LBB126_2859:
	s_mov_b32 s30, 0
.LBB126_2860:
	s_delay_alu instid0(SALU_CYCLE_1)
	s_and_not1_b32 vcc_lo, exec_lo, s30
	s_cbranch_vccnz .LBB126_2862
; %bb.2861:
	global_load_u8 v1, v[2:3], off
	s_wait_loadcnt 0x0
	v_lshlrev_b32_e32 v4, 25, v1
	v_lshlrev_b16 v1, 8, v1
	s_delay_alu instid0(VALU_DEP_1) | instskip(SKIP_1) | instid1(VALU_DEP_2)
	v_and_or_b32 v6, 0x7f00, v1, 0.5
	v_bfe_i32 v1, v1, 0, 16
	v_dual_add_f32 v6, -0.5, v6 :: v_dual_lshrrev_b32 v5, 4, v4
	v_cmp_gt_u32_e32 vcc_lo, 0x8000000, v4
	s_delay_alu instid0(VALU_DEP_2) | instskip(NEXT) | instid1(VALU_DEP_1)
	v_or_b32_e32 v5, 0x70000000, v5
	v_mul_f32_e32 v5, 0x7800000, v5
	s_delay_alu instid0(VALU_DEP_1) | instskip(NEXT) | instid1(VALU_DEP_1)
	v_cndmask_b32_e32 v4, v5, v6, vcc_lo
	v_and_or_b32 v1, 0x80000000, v1, v4
	s_delay_alu instid0(VALU_DEP_1) | instskip(NEXT) | instid1(VALU_DEP_1)
	v_trunc_f32_e32 v1, v1
	v_mul_f32_e64 v4, 0x2f800000, |v1|
	s_delay_alu instid0(VALU_DEP_1) | instskip(SKIP_1) | instid1(VALU_DEP_2)
	v_floor_f32_e32 v5, v4
	v_ashrrev_i32_e32 v4, 31, v1
	v_fma_f32 v6, 0xcf800000, v5, |v1|
	v_cvt_u32_f32_e32 v1, v5
	s_delay_alu instid0(VALU_DEP_3) | instskip(NEXT) | instid1(VALU_DEP_3)
	v_mov_b32_e32 v5, v4
	v_cvt_u32_f32_e32 v6, v6
	s_delay_alu instid0(VALU_DEP_3) | instskip(NEXT) | instid1(VALU_DEP_2)
	v_xor_b32_e32 v7, v1, v4
	v_xor_b32_e32 v6, v6, v4
	s_delay_alu instid0(VALU_DEP_1)
	v_sub_nc_u64_e32 v[10:11], v[6:7], v[4:5]
.LBB126_2862:
	s_mov_b32 s31, -1
	s_mov_b32 s30, 0
	s_cbranch_execnz .LBB126_2873
.LBB126_2863:
	s_cmp_gt_i32 s0, 14
	s_cbranch_scc0 .LBB126_2866
; %bb.2864:
	s_cmp_eq_u32 s0, 15
	s_cbranch_scc0 .LBB126_2869
; %bb.2865:
	global_load_u16 v1, v[2:3], off
	s_mov_b32 s1, 0
	s_mov_b32 s31, -1
	s_wait_loadcnt 0x0
	v_lshlrev_b32_e32 v1, 16, v1
	s_delay_alu instid0(VALU_DEP_1) | instskip(NEXT) | instid1(VALU_DEP_1)
	v_trunc_f32_e32 v1, v1
	v_mul_f32_e64 v4, 0x2f800000, |v1|
	s_delay_alu instid0(VALU_DEP_1) | instskip(SKIP_1) | instid1(VALU_DEP_2)
	v_floor_f32_e32 v5, v4
	v_ashrrev_i32_e32 v4, 31, v1
	v_fma_f32 v6, 0xcf800000, v5, |v1|
	v_cvt_u32_f32_e32 v1, v5
	s_delay_alu instid0(VALU_DEP_3) | instskip(NEXT) | instid1(VALU_DEP_3)
	v_mov_b32_e32 v5, v4
	v_cvt_u32_f32_e32 v6, v6
	s_delay_alu instid0(VALU_DEP_3) | instskip(NEXT) | instid1(VALU_DEP_2)
	v_xor_b32_e32 v7, v1, v4
	v_xor_b32_e32 v6, v6, v4
	s_delay_alu instid0(VALU_DEP_1)
	v_sub_nc_u64_e32 v[10:11], v[6:7], v[4:5]
	s_branch .LBB126_2871
.LBB126_2866:
	s_mov_b32 s30, -1
	s_branch .LBB126_2870
.LBB126_2867:
	s_and_not1_saveexec_b32 s30, s30
	s_cbranch_execz .LBB126_2849
.LBB126_2868:
	v_cmp_ne_u16_e32 vcc_lo, 0, v1
	s_and_not1_b32 s31, s31, exec_lo
	s_and_b32 s34, vcc_lo, exec_lo
	s_delay_alu instid0(SALU_CYCLE_1)
	s_or_b32 s31, s31, s34
	s_or_b32 exec_lo, exec_lo, s30
	v_mov_b64_e32 v[10:11], 0
	s_and_saveexec_b32 s30, s31
	s_cbranch_execnz .LBB126_2850
	s_branch .LBB126_2851
.LBB126_2869:
	s_mov_b32 s1, -1
.LBB126_2870:
                                        ; implicit-def: $vgpr10_vgpr11
.LBB126_2871:
	s_and_b32 vcc_lo, exec_lo, s30
	s_mov_b32 s30, 0
	s_cbranch_vccz .LBB126_2873
; %bb.2872:
	s_cmp_lg_u32 s0, 11
	s_mov_b32 s30, -1
	s_cselect_b32 s1, -1, 0
.LBB126_2873:
	s_delay_alu instid0(SALU_CYCLE_1)
	s_and_b32 vcc_lo, exec_lo, s1
	s_mov_b32 s43, s52
	s_cbranch_vccnz .LBB126_2934
; %bb.2874:
	s_and_not1_b32 vcc_lo, exec_lo, s30
	s_cbranch_vccnz .LBB126_2876
.LBB126_2875:
	global_load_u8 v1, v[2:3], off
	s_mov_b32 s0, 0
	s_mov_b32 s31, -1
	s_wait_loadcnt 0x1
	v_mov_b32_e32 v11, s0
	s_wait_loadcnt 0x0
	v_cmp_ne_u16_e32 vcc_lo, 0, v1
	v_cndmask_b32_e64 v10, 0, 1, vcc_lo
.LBB126_2876:
	s_branch .LBB126_2812
.LBB126_2877:
	s_and_b32 s0, 0xffff, s57
	s_delay_alu instid0(SALU_CYCLE_1)
	s_cmp_lt_i32 s0, 5
	s_cbranch_scc1 .LBB126_2882
; %bb.2878:
	s_cmp_lt_i32 s0, 8
	s_cbranch_scc1 .LBB126_2883
; %bb.2879:
	;; [unrolled: 3-line block ×3, first 2 shown]
	s_cmp_gt_i32 s0, 9
	s_cbranch_scc0 .LBB126_2885
; %bb.2881:
	global_load_b64 v[4:5], v[2:3], off
	s_mov_b32 s1, 0
	s_wait_loadcnt 0x0
	v_trunc_f64_e32 v[4:5], v[4:5]
	s_delay_alu instid0(VALU_DEP_1) | instskip(NEXT) | instid1(VALU_DEP_1)
	v_ldexp_f64 v[6:7], v[4:5], 0xffffffe0
	v_floor_f64_e32 v[6:7], v[6:7]
	s_delay_alu instid0(VALU_DEP_1) | instskip(SKIP_1) | instid1(VALU_DEP_2)
	v_fmamk_f64 v[4:5], v[6:7], 0xc1f00000, v[4:5]
	v_cvt_i32_f64_e32 v11, v[6:7]
	v_cvt_u32_f64_e32 v10, v[4:5]
	s_branch .LBB126_2886
.LBB126_2882:
                                        ; implicit-def: $vgpr10_vgpr11
	s_branch .LBB126_2903
.LBB126_2883:
                                        ; implicit-def: $vgpr10_vgpr11
	s_branch .LBB126_2892
.LBB126_2884:
	s_mov_b32 s1, -1
                                        ; implicit-def: $vgpr10_vgpr11
	s_branch .LBB126_2889
.LBB126_2885:
	s_mov_b32 s1, -1
                                        ; implicit-def: $vgpr10_vgpr11
.LBB126_2886:
	s_delay_alu instid0(SALU_CYCLE_1)
	s_and_not1_b32 vcc_lo, exec_lo, s1
	s_cbranch_vccnz .LBB126_2888
; %bb.2887:
	global_load_b32 v1, v[2:3], off
	s_wait_loadcnt 0x0
	v_trunc_f32_e32 v1, v1
	s_delay_alu instid0(VALU_DEP_1) | instskip(NEXT) | instid1(VALU_DEP_1)
	v_mul_f32_e64 v4, 0x2f800000, |v1|
	v_floor_f32_e32 v5, v4
	v_ashrrev_i32_e32 v4, 31, v1
	s_delay_alu instid0(VALU_DEP_2) | instskip(SKIP_1) | instid1(VALU_DEP_3)
	v_fma_f32 v6, 0xcf800000, v5, |v1|
	v_cvt_u32_f32_e32 v1, v5
	v_mov_b32_e32 v5, v4
	s_delay_alu instid0(VALU_DEP_3) | instskip(NEXT) | instid1(VALU_DEP_3)
	v_cvt_u32_f32_e32 v6, v6
	v_xor_b32_e32 v7, v1, v4
	s_delay_alu instid0(VALU_DEP_2) | instskip(NEXT) | instid1(VALU_DEP_1)
	v_xor_b32_e32 v6, v6, v4
	v_sub_nc_u64_e32 v[10:11], v[6:7], v[4:5]
.LBB126_2888:
	s_mov_b32 s1, 0
.LBB126_2889:
	s_delay_alu instid0(SALU_CYCLE_1)
	s_and_not1_b32 vcc_lo, exec_lo, s1
	s_cbranch_vccnz .LBB126_2891
; %bb.2890:
	global_load_b32 v1, v[2:3], off
	s_wait_loadcnt 0x0
	v_cvt_f32_f16_e32 v1, v1
	s_delay_alu instid0(VALU_DEP_1) | instskip(NEXT) | instid1(VALU_DEP_1)
	v_cvt_i32_f32_e32 v10, v1
	v_ashrrev_i32_e32 v11, 31, v10
.LBB126_2891:
	s_cbranch_execnz .LBB126_2902
.LBB126_2892:
	s_cmp_lt_i32 s0, 6
	s_cbranch_scc1 .LBB126_2895
; %bb.2893:
	s_cmp_gt_i32 s0, 6
	s_cbranch_scc0 .LBB126_2896
; %bb.2894:
	global_load_b64 v[4:5], v[2:3], off
	s_mov_b32 s1, 0
	s_wait_loadcnt 0x0
	v_trunc_f64_e32 v[4:5], v[4:5]
	s_delay_alu instid0(VALU_DEP_1) | instskip(NEXT) | instid1(VALU_DEP_1)
	v_ldexp_f64 v[6:7], v[4:5], 0xffffffe0
	v_floor_f64_e32 v[6:7], v[6:7]
	s_delay_alu instid0(VALU_DEP_1) | instskip(SKIP_1) | instid1(VALU_DEP_2)
	v_fmamk_f64 v[4:5], v[6:7], 0xc1f00000, v[4:5]
	v_cvt_i32_f64_e32 v11, v[6:7]
	v_cvt_u32_f64_e32 v10, v[4:5]
	s_branch .LBB126_2897
.LBB126_2895:
	s_mov_b32 s1, -1
                                        ; implicit-def: $vgpr10_vgpr11
	s_branch .LBB126_2900
.LBB126_2896:
	s_mov_b32 s1, -1
                                        ; implicit-def: $vgpr10_vgpr11
.LBB126_2897:
	s_delay_alu instid0(SALU_CYCLE_1)
	s_and_not1_b32 vcc_lo, exec_lo, s1
	s_cbranch_vccnz .LBB126_2899
; %bb.2898:
	global_load_b32 v1, v[2:3], off
	s_wait_loadcnt 0x0
	v_trunc_f32_e32 v1, v1
	s_delay_alu instid0(VALU_DEP_1) | instskip(NEXT) | instid1(VALU_DEP_1)
	v_mul_f32_e64 v4, 0x2f800000, |v1|
	v_floor_f32_e32 v5, v4
	v_ashrrev_i32_e32 v4, 31, v1
	s_delay_alu instid0(VALU_DEP_2) | instskip(SKIP_1) | instid1(VALU_DEP_3)
	v_fma_f32 v6, 0xcf800000, v5, |v1|
	v_cvt_u32_f32_e32 v1, v5
	v_mov_b32_e32 v5, v4
	s_delay_alu instid0(VALU_DEP_3) | instskip(NEXT) | instid1(VALU_DEP_3)
	v_cvt_u32_f32_e32 v6, v6
	v_xor_b32_e32 v7, v1, v4
	s_delay_alu instid0(VALU_DEP_2) | instskip(NEXT) | instid1(VALU_DEP_1)
	v_xor_b32_e32 v6, v6, v4
	v_sub_nc_u64_e32 v[10:11], v[6:7], v[4:5]
.LBB126_2899:
	s_mov_b32 s1, 0
.LBB126_2900:
	s_delay_alu instid0(SALU_CYCLE_1)
	s_and_not1_b32 vcc_lo, exec_lo, s1
	s_cbranch_vccnz .LBB126_2902
; %bb.2901:
	global_load_u16 v1, v[2:3], off
	s_wait_loadcnt 0x0
	v_cvt_f32_f16_e32 v1, v1
	s_delay_alu instid0(VALU_DEP_1) | instskip(NEXT) | instid1(VALU_DEP_1)
	v_cvt_i32_f32_e32 v10, v1
	v_ashrrev_i32_e32 v11, 31, v10
.LBB126_2902:
	s_cbranch_execnz .LBB126_2921
.LBB126_2903:
	s_cmp_lt_i32 s0, 2
	s_cbranch_scc1 .LBB126_2907
; %bb.2904:
	s_cmp_lt_i32 s0, 3
	s_cbranch_scc1 .LBB126_2908
; %bb.2905:
	s_cmp_gt_i32 s0, 3
	s_cbranch_scc0 .LBB126_2909
; %bb.2906:
	s_wait_loadcnt 0x0
	global_load_b64 v[10:11], v[2:3], off
	s_mov_b32 s1, 0
	s_branch .LBB126_2910
.LBB126_2907:
                                        ; implicit-def: $vgpr10_vgpr11
	s_branch .LBB126_2916
.LBB126_2908:
	s_mov_b32 s1, -1
                                        ; implicit-def: $vgpr10_vgpr11
	s_branch .LBB126_2913
.LBB126_2909:
	s_mov_b32 s1, -1
                                        ; implicit-def: $vgpr10_vgpr11
.LBB126_2910:
	s_delay_alu instid0(SALU_CYCLE_1)
	s_and_not1_b32 vcc_lo, exec_lo, s1
	s_cbranch_vccnz .LBB126_2912
; %bb.2911:
	s_wait_loadcnt 0x0
	global_load_b32 v10, v[2:3], off
	s_wait_loadcnt 0x0
	v_ashrrev_i32_e32 v11, 31, v10
.LBB126_2912:
	s_mov_b32 s1, 0
.LBB126_2913:
	s_delay_alu instid0(SALU_CYCLE_1)
	s_and_not1_b32 vcc_lo, exec_lo, s1
	s_cbranch_vccnz .LBB126_2915
; %bb.2914:
	global_load_u16 v1, v[2:3], off
	s_wait_loadcnt 0x0
	v_bfe_i32 v10, v1, 0, 16
	s_delay_alu instid0(VALU_DEP_1)
	v_ashrrev_i32_e32 v11, 31, v10
.LBB126_2915:
	s_cbranch_execnz .LBB126_2921
.LBB126_2916:
	s_cmp_gt_i32 s0, 0
	s_mov_b32 s0, 0
	s_cbranch_scc0 .LBB126_2918
; %bb.2917:
	global_load_i8 v1, v[2:3], off
	s_wait_loadcnt 0x0
	v_bfe_i32 v10, v1, 0, 16
	s_delay_alu instid0(VALU_DEP_1)
	v_ashrrev_i32_e32 v11, 31, v10
	s_branch .LBB126_2919
.LBB126_2918:
	s_mov_b32 s0, -1
                                        ; implicit-def: $vgpr10_vgpr11
.LBB126_2919:
	s_delay_alu instid0(SALU_CYCLE_1)
	s_and_not1_b32 vcc_lo, exec_lo, s0
	s_cbranch_vccnz .LBB126_2921
; %bb.2920:
	global_load_u8 v1, v[2:3], off
	s_mov_b32 s0, 0
	s_wait_loadcnt 0x1
	v_mov_b32_e32 v11, s0
	s_wait_loadcnt 0x0
	v_and_b32_e32 v10, 0xffff, v1
.LBB126_2921:
.LBB126_2922:
	s_wait_xcnt 0x0
	v_mul_lo_u32 v2, s18, v22
	s_and_b32 s58, s33, 0xff
	s_delay_alu instid0(SALU_CYCLE_1) | instskip(NEXT) | instid1(VALU_DEP_1)
	s_cmp_lt_i32 s58, 11
	v_ashrrev_i32_e32 v3, 31, v2
	s_delay_alu instid0(VALU_DEP_1)
	v_add_nc_u64_e32 v[4:5], s[8:9], v[2:3]
	s_cbranch_scc1 .LBB126_2929
; %bb.2923:
	s_and_b32 s0, 0xffff, s58
	s_mov_b32 s30, 0
	s_cmp_gt_i32 s0, 25
	s_cbranch_scc0 .LBB126_2931
; %bb.2924:
	s_cmp_gt_i32 s0, 28
	s_cbranch_scc0 .LBB126_2932
; %bb.2925:
	;; [unrolled: 3-line block ×4, first 2 shown]
	s_cmp_eq_u32 s0, 46
	s_mov_b32 s33, 0
	s_cbranch_scc0 .LBB126_2936
; %bb.2928:
	global_load_b32 v1, v[4:5], off
	s_mov_b32 s1, 0
	s_mov_b32 s31, -1
	s_wait_loadcnt 0x0
	v_lshlrev_b32_e32 v1, 16, v1
	s_delay_alu instid0(VALU_DEP_1) | instskip(NEXT) | instid1(VALU_DEP_1)
	v_trunc_f32_e32 v1, v1
	v_mul_f32_e64 v3, 0x2f800000, |v1|
	v_ashrrev_i32_e32 v6, 31, v1
	s_delay_alu instid0(VALU_DEP_2) | instskip(NEXT) | instid1(VALU_DEP_1)
	v_floor_f32_e32 v3, v3
	v_fma_f32 v7, 0xcf800000, v3, |v1|
	v_cvt_u32_f32_e32 v1, v3
	s_delay_alu instid0(VALU_DEP_2) | instskip(NEXT) | instid1(VALU_DEP_2)
	v_cvt_u32_f32_e32 v3, v7
	v_dual_mov_b32 v7, v6 :: v_dual_bitop2_b32 v9, v1, v6 bitop3:0x14
	s_delay_alu instid0(VALU_DEP_2) | instskip(NEXT) | instid1(VALU_DEP_1)
	v_xor_b32_e32 v8, v3, v6
	v_sub_nc_u64_e32 v[12:13], v[8:9], v[6:7]
	s_branch .LBB126_2938
.LBB126_2929:
	s_mov_b32 s31, 0
                                        ; implicit-def: $vgpr12_vgpr13
	s_cbranch_execnz .LBB126_2999
.LBB126_2930:
	s_and_not1_b32 vcc_lo, exec_lo, s31
	s_cbranch_vccnz .LBB126_3434
	s_branch .LBB126_3046
.LBB126_2931:
	s_mov_b32 s31, 0
	s_mov_b32 s1, 0
                                        ; implicit-def: $vgpr12_vgpr13
	s_cbranch_execnz .LBB126_2965
	s_branch .LBB126_2995
.LBB126_2932:
	s_mov_b32 s33, -1
	s_mov_b32 s31, 0
	s_mov_b32 s1, 0
                                        ; implicit-def: $vgpr12_vgpr13
	s_branch .LBB126_2948
.LBB126_2933:
	s_mov_b32 s33, -1
	s_mov_b32 s31, 0
	s_mov_b32 s1, 0
                                        ; implicit-def: $vgpr12_vgpr13
	s_branch .LBB126_2943
.LBB126_2934:
	s_or_b32 s43, s52, exec_lo
	s_trap 2
	s_cbranch_execz .LBB126_2875
	s_branch .LBB126_2876
.LBB126_2935:
	s_mov_b32 s33, -1
	s_mov_b32 s31, 0
	s_mov_b32 s1, 0
	s_branch .LBB126_2937
.LBB126_2936:
	s_mov_b32 s1, -1
	s_mov_b32 s31, 0
.LBB126_2937:
                                        ; implicit-def: $vgpr12_vgpr13
.LBB126_2938:
	s_and_b32 vcc_lo, exec_lo, s33
	s_cbranch_vccz .LBB126_2942
; %bb.2939:
	s_cmp_eq_u32 s0, 44
	s_cbranch_scc0 .LBB126_2941
; %bb.2940:
	global_load_u8 v1, v[4:5], off
	s_mov_b32 s1, 0
	s_mov_b32 s31, -1
	s_wait_loadcnt 0x0
	v_lshlrev_b32_e32 v3, 23, v1
	v_cmp_ne_u32_e32 vcc_lo, 0, v1
	s_delay_alu instid0(VALU_DEP_2) | instskip(NEXT) | instid1(VALU_DEP_1)
	v_trunc_f32_e32 v3, v3
	v_mul_f32_e64 v6, 0x2f800000, |v3|
	s_delay_alu instid0(VALU_DEP_1) | instskip(SKIP_1) | instid1(VALU_DEP_2)
	v_floor_f32_e32 v7, v6
	v_ashrrev_i32_e32 v6, 31, v3
	v_fma_f32 v8, 0xcf800000, v7, |v3|
	v_cvt_u32_f32_e32 v3, v7
	s_delay_alu instid0(VALU_DEP_3) | instskip(NEXT) | instid1(VALU_DEP_3)
	v_mov_b32_e32 v7, v6
	v_cvt_u32_f32_e32 v8, v8
	s_delay_alu instid0(VALU_DEP_3) | instskip(NEXT) | instid1(VALU_DEP_2)
	v_xor_b32_e32 v9, v3, v6
	v_xor_b32_e32 v8, v8, v6
	s_delay_alu instid0(VALU_DEP_1) | instskip(NEXT) | instid1(VALU_DEP_1)
	v_sub_nc_u64_e32 v[6:7], v[8:9], v[6:7]
	v_dual_cndmask_b32 v13, 0, v7 :: v_dual_cndmask_b32 v12, 0, v6
	s_branch .LBB126_2942
.LBB126_2941:
	s_mov_b32 s1, -1
                                        ; implicit-def: $vgpr12_vgpr13
.LBB126_2942:
	s_mov_b32 s33, 0
.LBB126_2943:
	s_delay_alu instid0(SALU_CYCLE_1)
	s_and_b32 vcc_lo, exec_lo, s33
	s_cbranch_vccz .LBB126_2947
; %bb.2944:
	s_cmp_eq_u32 s0, 29
	s_cbranch_scc0 .LBB126_2946
; %bb.2945:
	global_load_b64 v[12:13], v[4:5], off
	s_mov_b32 s1, 0
	s_mov_b32 s31, -1
	s_branch .LBB126_2947
.LBB126_2946:
	s_mov_b32 s1, -1
                                        ; implicit-def: $vgpr12_vgpr13
.LBB126_2947:
	s_mov_b32 s33, 0
.LBB126_2948:
	s_delay_alu instid0(SALU_CYCLE_1)
	s_and_b32 vcc_lo, exec_lo, s33
	s_cbranch_vccz .LBB126_2964
; %bb.2949:
	s_cmp_lt_i32 s0, 27
	s_cbranch_scc1 .LBB126_2952
; %bb.2950:
	s_cmp_gt_i32 s0, 27
	s_cbranch_scc0 .LBB126_2953
; %bb.2951:
	s_wait_loadcnt 0x0
	global_load_b32 v12, v[4:5], off
	v_mov_b32_e32 v13, 0
	s_mov_b32 s31, 0
	s_branch .LBB126_2954
.LBB126_2952:
	s_mov_b32 s31, -1
                                        ; implicit-def: $vgpr12_vgpr13
	s_branch .LBB126_2957
.LBB126_2953:
	s_mov_b32 s31, -1
                                        ; implicit-def: $vgpr12_vgpr13
.LBB126_2954:
	s_delay_alu instid0(SALU_CYCLE_1)
	s_and_not1_b32 vcc_lo, exec_lo, s31
	s_cbranch_vccnz .LBB126_2956
; %bb.2955:
	global_load_u16 v1, v[4:5], off
	s_mov_b32 s31, 0
	s_wait_loadcnt 0x1
	v_mov_b32_e32 v13, s31
	s_wait_loadcnt 0x0
	v_and_b32_e32 v12, 0xffff, v1
.LBB126_2956:
	s_mov_b32 s31, 0
.LBB126_2957:
	s_delay_alu instid0(SALU_CYCLE_1)
	s_and_not1_b32 vcc_lo, exec_lo, s31
	s_cbranch_vccnz .LBB126_2963
; %bb.2958:
	global_load_u8 v1, v[4:5], off
	s_mov_b32 s33, 0
	s_mov_b32 s31, exec_lo
	s_wait_loadcnt 0x0
	v_cmpx_lt_i16_e32 0x7f, v1
	s_xor_b32 s31, exec_lo, s31
	s_cbranch_execz .LBB126_2974
; %bb.2959:
	v_cmp_ne_u16_e32 vcc_lo, 0x80, v1
	s_and_b32 s33, vcc_lo, exec_lo
	s_and_not1_saveexec_b32 s31, s31
	s_cbranch_execnz .LBB126_2975
.LBB126_2960:
	s_or_b32 exec_lo, exec_lo, s31
	v_mov_b64_e32 v[12:13], 0
	s_and_saveexec_b32 s31, s33
	s_cbranch_execz .LBB126_2962
.LBB126_2961:
	v_and_b32_e32 v3, 0xffff, v1
	s_delay_alu instid0(VALU_DEP_1) | instskip(SKIP_1) | instid1(VALU_DEP_2)
	v_dual_lshlrev_b32 v1, 24, v1 :: v_dual_bitop2_b32 v6, 7, v3 bitop3:0x40
	v_bfe_u32 v9, v3, 3, 4
	v_and_b32_e32 v1, 0x80000000, v1
	s_delay_alu instid0(VALU_DEP_3) | instskip(NEXT) | instid1(VALU_DEP_3)
	v_clz_i32_u32_e32 v7, v6
	v_cmp_eq_u32_e32 vcc_lo, 0, v9
	s_delay_alu instid0(VALU_DEP_2) | instskip(NEXT) | instid1(VALU_DEP_1)
	v_min_u32_e32 v7, 32, v7
	v_subrev_nc_u32_e32 v8, 28, v7
	v_sub_nc_u32_e32 v7, 29, v7
	s_delay_alu instid0(VALU_DEP_2) | instskip(NEXT) | instid1(VALU_DEP_2)
	v_lshlrev_b32_e32 v3, v8, v3
	v_cndmask_b32_e32 v7, v9, v7, vcc_lo
	s_delay_alu instid0(VALU_DEP_2) | instskip(NEXT) | instid1(VALU_DEP_1)
	v_and_b32_e32 v3, 7, v3
	v_cndmask_b32_e32 v3, v6, v3, vcc_lo
	s_delay_alu instid0(VALU_DEP_3) | instskip(NEXT) | instid1(VALU_DEP_2)
	v_lshl_add_u32 v6, v7, 23, 0x3b800000
	v_lshlrev_b32_e32 v3, 20, v3
	s_delay_alu instid0(VALU_DEP_1) | instskip(NEXT) | instid1(VALU_DEP_1)
	v_or3_b32 v1, v1, v6, v3
	v_trunc_f32_e32 v1, v1
	s_delay_alu instid0(VALU_DEP_1) | instskip(SKIP_1) | instid1(VALU_DEP_2)
	v_mul_f32_e64 v3, 0x2f800000, |v1|
	v_ashrrev_i32_e32 v6, 31, v1
	v_floor_f32_e32 v3, v3
	s_delay_alu instid0(VALU_DEP_1) | instskip(SKIP_1) | instid1(VALU_DEP_2)
	v_fma_f32 v7, 0xcf800000, v3, |v1|
	v_cvt_u32_f32_e32 v1, v3
	v_cvt_u32_f32_e32 v3, v7
	s_delay_alu instid0(VALU_DEP_2) | instskip(NEXT) | instid1(VALU_DEP_2)
	v_dual_mov_b32 v7, v6 :: v_dual_bitop2_b32 v9, v1, v6 bitop3:0x14
	v_xor_b32_e32 v8, v3, v6
	s_delay_alu instid0(VALU_DEP_1)
	v_sub_nc_u64_e32 v[12:13], v[8:9], v[6:7]
.LBB126_2962:
	s_or_b32 exec_lo, exec_lo, s31
.LBB126_2963:
	s_mov_b32 s31, -1
.LBB126_2964:
	s_branch .LBB126_2995
.LBB126_2965:
	s_cmp_gt_i32 s0, 22
	s_cbranch_scc0 .LBB126_2973
; %bb.2966:
	s_cmp_lt_i32 s0, 24
	s_cbranch_scc1 .LBB126_2976
; %bb.2967:
	s_cmp_gt_i32 s0, 24
	s_cbranch_scc0 .LBB126_2977
; %bb.2968:
	global_load_u8 v1, v[4:5], off
	s_mov_b32 s31, 0
	s_mov_b32 s30, exec_lo
	s_wait_loadcnt 0x0
	v_cmpx_lt_i16_e32 0x7f, v1
	s_xor_b32 s30, exec_lo, s30
	s_cbranch_execz .LBB126_2989
; %bb.2969:
	v_cmp_ne_u16_e32 vcc_lo, 0x80, v1
	s_and_b32 s31, vcc_lo, exec_lo
	s_and_not1_saveexec_b32 s30, s30
	s_cbranch_execnz .LBB126_2990
.LBB126_2970:
	s_or_b32 exec_lo, exec_lo, s30
	v_mov_b64_e32 v[12:13], 0
	s_and_saveexec_b32 s30, s31
	s_cbranch_execz .LBB126_2972
.LBB126_2971:
	v_and_b32_e32 v3, 0xffff, v1
	s_delay_alu instid0(VALU_DEP_1) | instskip(SKIP_1) | instid1(VALU_DEP_2)
	v_dual_lshlrev_b32 v1, 24, v1 :: v_dual_bitop2_b32 v6, 3, v3 bitop3:0x40
	v_bfe_u32 v9, v3, 2, 5
	v_and_b32_e32 v1, 0x80000000, v1
	s_delay_alu instid0(VALU_DEP_3) | instskip(NEXT) | instid1(VALU_DEP_3)
	v_clz_i32_u32_e32 v7, v6
	v_cmp_eq_u32_e32 vcc_lo, 0, v9
	s_delay_alu instid0(VALU_DEP_2) | instskip(NEXT) | instid1(VALU_DEP_1)
	v_min_u32_e32 v7, 32, v7
	v_subrev_nc_u32_e32 v8, 29, v7
	v_sub_nc_u32_e32 v7, 30, v7
	s_delay_alu instid0(VALU_DEP_2) | instskip(NEXT) | instid1(VALU_DEP_2)
	v_lshlrev_b32_e32 v3, v8, v3
	v_cndmask_b32_e32 v7, v9, v7, vcc_lo
	s_delay_alu instid0(VALU_DEP_2) | instskip(NEXT) | instid1(VALU_DEP_1)
	v_and_b32_e32 v3, 3, v3
	v_cndmask_b32_e32 v3, v6, v3, vcc_lo
	s_delay_alu instid0(VALU_DEP_3) | instskip(NEXT) | instid1(VALU_DEP_2)
	v_lshl_add_u32 v6, v7, 23, 0x37800000
	v_lshlrev_b32_e32 v3, 21, v3
	s_delay_alu instid0(VALU_DEP_1) | instskip(NEXT) | instid1(VALU_DEP_1)
	v_or3_b32 v1, v1, v6, v3
	v_trunc_f32_e32 v1, v1
	s_delay_alu instid0(VALU_DEP_1) | instskip(SKIP_1) | instid1(VALU_DEP_2)
	v_mul_f32_e64 v3, 0x2f800000, |v1|
	v_ashrrev_i32_e32 v6, 31, v1
	v_floor_f32_e32 v3, v3
	s_delay_alu instid0(VALU_DEP_1) | instskip(SKIP_1) | instid1(VALU_DEP_2)
	v_fma_f32 v7, 0xcf800000, v3, |v1|
	v_cvt_u32_f32_e32 v1, v3
	v_cvt_u32_f32_e32 v3, v7
	s_delay_alu instid0(VALU_DEP_2) | instskip(NEXT) | instid1(VALU_DEP_2)
	v_dual_mov_b32 v7, v6 :: v_dual_bitop2_b32 v9, v1, v6 bitop3:0x14
	v_xor_b32_e32 v8, v3, v6
	s_delay_alu instid0(VALU_DEP_1)
	v_sub_nc_u64_e32 v[12:13], v[8:9], v[6:7]
.LBB126_2972:
	s_or_b32 exec_lo, exec_lo, s30
	s_mov_b32 s30, 0
	s_branch .LBB126_2978
.LBB126_2973:
	s_mov_b32 s30, -1
                                        ; implicit-def: $vgpr12_vgpr13
	s_branch .LBB126_2984
.LBB126_2974:
	s_and_not1_saveexec_b32 s31, s31
	s_cbranch_execz .LBB126_2960
.LBB126_2975:
	v_cmp_ne_u16_e32 vcc_lo, 0, v1
	s_and_not1_b32 s33, s33, exec_lo
	s_and_b32 s34, vcc_lo, exec_lo
	s_delay_alu instid0(SALU_CYCLE_1)
	s_or_b32 s33, s33, s34
	s_or_b32 exec_lo, exec_lo, s31
	v_mov_b64_e32 v[12:13], 0
	s_and_saveexec_b32 s31, s33
	s_cbranch_execnz .LBB126_2961
	s_branch .LBB126_2962
.LBB126_2976:
	s_mov_b32 s30, -1
                                        ; implicit-def: $vgpr12_vgpr13
	s_branch .LBB126_2981
.LBB126_2977:
	s_mov_b32 s30, -1
                                        ; implicit-def: $vgpr12_vgpr13
.LBB126_2978:
	s_delay_alu instid0(SALU_CYCLE_1)
	s_and_b32 vcc_lo, exec_lo, s30
	s_cbranch_vccz .LBB126_2980
; %bb.2979:
	global_load_u8 v1, v[4:5], off
	s_wait_loadcnt 0x0
	v_lshlrev_b32_e32 v1, 24, v1
	s_delay_alu instid0(VALU_DEP_1) | instskip(NEXT) | instid1(VALU_DEP_1)
	v_and_b32_e32 v3, 0x7f000000, v1
	v_clz_i32_u32_e32 v6, v3
	v_cmp_ne_u32_e32 vcc_lo, 0, v3
	v_add_nc_u32_e32 v8, 0x1000000, v3
	s_delay_alu instid0(VALU_DEP_3) | instskip(NEXT) | instid1(VALU_DEP_1)
	v_min_u32_e32 v6, 32, v6
	v_sub_nc_u32_e64 v6, v6, 4 clamp
	s_delay_alu instid0(VALU_DEP_1) | instskip(NEXT) | instid1(VALU_DEP_1)
	v_dual_lshlrev_b32 v7, v6, v3 :: v_dual_lshlrev_b32 v6, 23, v6
	v_lshrrev_b32_e32 v7, 4, v7
	s_delay_alu instid0(VALU_DEP_1) | instskip(NEXT) | instid1(VALU_DEP_1)
	v_dual_sub_nc_u32 v6, v7, v6 :: v_dual_ashrrev_i32 v7, 8, v8
	v_add_nc_u32_e32 v6, 0x3c000000, v6
	s_delay_alu instid0(VALU_DEP_1) | instskip(NEXT) | instid1(VALU_DEP_1)
	v_and_or_b32 v6, 0x7f800000, v7, v6
	v_cndmask_b32_e32 v3, 0, v6, vcc_lo
	s_delay_alu instid0(VALU_DEP_1) | instskip(NEXT) | instid1(VALU_DEP_1)
	v_and_or_b32 v1, 0x80000000, v1, v3
	v_trunc_f32_e32 v1, v1
	s_delay_alu instid0(VALU_DEP_1) | instskip(SKIP_1) | instid1(VALU_DEP_2)
	v_mul_f32_e64 v3, 0x2f800000, |v1|
	v_ashrrev_i32_e32 v6, 31, v1
	v_floor_f32_e32 v3, v3
	s_delay_alu instid0(VALU_DEP_1) | instskip(SKIP_1) | instid1(VALU_DEP_2)
	v_fma_f32 v7, 0xcf800000, v3, |v1|
	v_cvt_u32_f32_e32 v1, v3
	v_cvt_u32_f32_e32 v3, v7
	s_delay_alu instid0(VALU_DEP_2) | instskip(NEXT) | instid1(VALU_DEP_2)
	v_dual_mov_b32 v7, v6 :: v_dual_bitop2_b32 v9, v1, v6 bitop3:0x14
	v_xor_b32_e32 v8, v3, v6
	s_delay_alu instid0(VALU_DEP_1)
	v_sub_nc_u64_e32 v[12:13], v[8:9], v[6:7]
.LBB126_2980:
	s_mov_b32 s30, 0
.LBB126_2981:
	s_delay_alu instid0(SALU_CYCLE_1)
	s_and_not1_b32 vcc_lo, exec_lo, s30
	s_cbranch_vccnz .LBB126_2983
; %bb.2982:
	global_load_u8 v1, v[4:5], off
	s_wait_loadcnt 0x0
	v_lshlrev_b32_e32 v3, 25, v1
	v_lshlrev_b16 v1, 8, v1
	s_delay_alu instid0(VALU_DEP_1) | instskip(SKIP_1) | instid1(VALU_DEP_2)
	v_and_or_b32 v7, 0x7f00, v1, 0.5
	v_bfe_i32 v1, v1, 0, 16
	v_add_f32_e32 v7, -0.5, v7
	v_lshrrev_b32_e32 v6, 4, v3
	v_cmp_gt_u32_e32 vcc_lo, 0x8000000, v3
	s_delay_alu instid0(VALU_DEP_2) | instskip(NEXT) | instid1(VALU_DEP_1)
	v_or_b32_e32 v6, 0x70000000, v6
	v_mul_f32_e32 v6, 0x7800000, v6
	s_delay_alu instid0(VALU_DEP_1) | instskip(NEXT) | instid1(VALU_DEP_1)
	v_cndmask_b32_e32 v3, v6, v7, vcc_lo
	v_and_or_b32 v1, 0x80000000, v1, v3
	s_delay_alu instid0(VALU_DEP_1) | instskip(NEXT) | instid1(VALU_DEP_1)
	v_trunc_f32_e32 v1, v1
	v_mul_f32_e64 v3, 0x2f800000, |v1|
	v_ashrrev_i32_e32 v6, 31, v1
	s_delay_alu instid0(VALU_DEP_2) | instskip(NEXT) | instid1(VALU_DEP_1)
	v_floor_f32_e32 v3, v3
	v_fma_f32 v7, 0xcf800000, v3, |v1|
	v_cvt_u32_f32_e32 v1, v3
	s_delay_alu instid0(VALU_DEP_2) | instskip(NEXT) | instid1(VALU_DEP_2)
	v_cvt_u32_f32_e32 v3, v7
	v_dual_mov_b32 v7, v6 :: v_dual_bitop2_b32 v9, v1, v6 bitop3:0x14
	s_delay_alu instid0(VALU_DEP_2) | instskip(NEXT) | instid1(VALU_DEP_1)
	v_xor_b32_e32 v8, v3, v6
	v_sub_nc_u64_e32 v[12:13], v[8:9], v[6:7]
.LBB126_2983:
	s_mov_b32 s30, 0
	s_mov_b32 s31, -1
.LBB126_2984:
	s_and_not1_b32 vcc_lo, exec_lo, s30
	s_mov_b32 s30, 0
	s_cbranch_vccnz .LBB126_2995
; %bb.2985:
	s_cmp_gt_i32 s0, 14
	s_cbranch_scc0 .LBB126_2988
; %bb.2986:
	s_cmp_eq_u32 s0, 15
	s_cbranch_scc0 .LBB126_2991
; %bb.2987:
	global_load_u16 v1, v[4:5], off
	s_mov_b32 s1, 0
	s_mov_b32 s31, -1
	s_wait_loadcnt 0x0
	v_lshlrev_b32_e32 v1, 16, v1
	s_delay_alu instid0(VALU_DEP_1) | instskip(NEXT) | instid1(VALU_DEP_1)
	v_trunc_f32_e32 v1, v1
	v_mul_f32_e64 v3, 0x2f800000, |v1|
	v_ashrrev_i32_e32 v6, 31, v1
	s_delay_alu instid0(VALU_DEP_2) | instskip(NEXT) | instid1(VALU_DEP_1)
	v_floor_f32_e32 v3, v3
	v_fma_f32 v7, 0xcf800000, v3, |v1|
	v_cvt_u32_f32_e32 v1, v3
	s_delay_alu instid0(VALU_DEP_2) | instskip(NEXT) | instid1(VALU_DEP_2)
	v_cvt_u32_f32_e32 v3, v7
	v_dual_mov_b32 v7, v6 :: v_dual_bitop2_b32 v9, v1, v6 bitop3:0x14
	s_delay_alu instid0(VALU_DEP_2) | instskip(NEXT) | instid1(VALU_DEP_1)
	v_xor_b32_e32 v8, v3, v6
	v_sub_nc_u64_e32 v[12:13], v[8:9], v[6:7]
	s_branch .LBB126_2993
.LBB126_2988:
	s_mov_b32 s30, -1
	s_branch .LBB126_2992
.LBB126_2989:
	s_and_not1_saveexec_b32 s30, s30
	s_cbranch_execz .LBB126_2970
.LBB126_2990:
	v_cmp_ne_u16_e32 vcc_lo, 0, v1
	s_and_not1_b32 s31, s31, exec_lo
	s_and_b32 s33, vcc_lo, exec_lo
	s_delay_alu instid0(SALU_CYCLE_1)
	s_or_b32 s31, s31, s33
	s_or_b32 exec_lo, exec_lo, s30
	v_mov_b64_e32 v[12:13], 0
	s_and_saveexec_b32 s30, s31
	s_cbranch_execnz .LBB126_2971
	s_branch .LBB126_2972
.LBB126_2991:
	s_mov_b32 s1, -1
.LBB126_2992:
                                        ; implicit-def: $vgpr12_vgpr13
.LBB126_2993:
	s_and_b32 vcc_lo, exec_lo, s30
	s_mov_b32 s30, 0
	s_cbranch_vccz .LBB126_2995
; %bb.2994:
	s_cmp_lg_u32 s0, 11
	s_mov_b32 s30, -1
	s_cselect_b32 s1, -1, 0
.LBB126_2995:
	s_delay_alu instid0(SALU_CYCLE_1)
	s_and_b32 vcc_lo, exec_lo, s1
	s_cbranch_vccnz .LBB126_3058
; %bb.2996:
	s_and_not1_b32 vcc_lo, exec_lo, s30
	s_cbranch_vccnz .LBB126_2998
.LBB126_2997:
	global_load_u8 v1, v[4:5], off
	s_mov_b32 s0, 0
	s_mov_b32 s31, -1
	s_wait_loadcnt 0x1
	v_mov_b32_e32 v13, s0
	s_wait_loadcnt 0x0
	v_cmp_ne_u16_e32 vcc_lo, 0, v1
	v_cndmask_b32_e64 v12, 0, 1, vcc_lo
.LBB126_2998:
	s_branch .LBB126_2930
.LBB126_2999:
	s_and_b32 s0, 0xffff, s58
	s_delay_alu instid0(SALU_CYCLE_1)
	s_cmp_lt_i32 s0, 5
	s_cbranch_scc1 .LBB126_3004
; %bb.3000:
	s_cmp_lt_i32 s0, 8
	s_cbranch_scc1 .LBB126_3005
; %bb.3001:
	;; [unrolled: 3-line block ×3, first 2 shown]
	s_cmp_gt_i32 s0, 9
	s_cbranch_scc0 .LBB126_3007
; %bb.3003:
	global_load_b64 v[6:7], v[4:5], off
	s_mov_b32 s1, 0
	s_wait_loadcnt 0x0
	v_trunc_f64_e32 v[6:7], v[6:7]
	s_delay_alu instid0(VALU_DEP_1) | instskip(NEXT) | instid1(VALU_DEP_1)
	v_ldexp_f64 v[8:9], v[6:7], 0xffffffe0
	v_floor_f64_e32 v[8:9], v[8:9]
	s_delay_alu instid0(VALU_DEP_1) | instskip(SKIP_1) | instid1(VALU_DEP_2)
	v_fmamk_f64 v[6:7], v[8:9], 0xc1f00000, v[6:7]
	v_cvt_i32_f64_e32 v13, v[8:9]
	v_cvt_u32_f64_e32 v12, v[6:7]
	s_branch .LBB126_3008
.LBB126_3004:
                                        ; implicit-def: $vgpr12_vgpr13
	s_branch .LBB126_3026
.LBB126_3005:
	s_mov_b32 s1, -1
                                        ; implicit-def: $vgpr12_vgpr13
	s_branch .LBB126_3014
.LBB126_3006:
	s_mov_b32 s1, -1
                                        ; implicit-def: $vgpr12_vgpr13
	s_branch .LBB126_3011
.LBB126_3007:
	s_mov_b32 s1, -1
                                        ; implicit-def: $vgpr12_vgpr13
.LBB126_3008:
	s_delay_alu instid0(SALU_CYCLE_1)
	s_and_not1_b32 vcc_lo, exec_lo, s1
	s_cbranch_vccnz .LBB126_3010
; %bb.3009:
	global_load_b32 v1, v[4:5], off
	s_wait_loadcnt 0x0
	v_trunc_f32_e32 v1, v1
	s_delay_alu instid0(VALU_DEP_1) | instskip(SKIP_1) | instid1(VALU_DEP_2)
	v_mul_f32_e64 v3, 0x2f800000, |v1|
	v_ashrrev_i32_e32 v6, 31, v1
	v_floor_f32_e32 v3, v3
	s_delay_alu instid0(VALU_DEP_1) | instskip(SKIP_1) | instid1(VALU_DEP_2)
	v_fma_f32 v7, 0xcf800000, v3, |v1|
	v_cvt_u32_f32_e32 v1, v3
	v_cvt_u32_f32_e32 v3, v7
	s_delay_alu instid0(VALU_DEP_2) | instskip(NEXT) | instid1(VALU_DEP_2)
	v_dual_mov_b32 v7, v6 :: v_dual_bitop2_b32 v9, v1, v6 bitop3:0x14
	v_xor_b32_e32 v8, v3, v6
	s_delay_alu instid0(VALU_DEP_1)
	v_sub_nc_u64_e32 v[12:13], v[8:9], v[6:7]
.LBB126_3010:
	s_mov_b32 s1, 0
.LBB126_3011:
	s_delay_alu instid0(SALU_CYCLE_1)
	s_and_not1_b32 vcc_lo, exec_lo, s1
	s_cbranch_vccnz .LBB126_3013
; %bb.3012:
	global_load_b32 v1, v[4:5], off
	s_wait_loadcnt 0x0
	v_cvt_f32_f16_e32 v1, v1
	s_delay_alu instid0(VALU_DEP_1) | instskip(NEXT) | instid1(VALU_DEP_1)
	v_cvt_i32_f32_e32 v12, v1
	v_ashrrev_i32_e32 v13, 31, v12
.LBB126_3013:
	s_mov_b32 s1, 0
.LBB126_3014:
	s_delay_alu instid0(SALU_CYCLE_1)
	s_and_not1_b32 vcc_lo, exec_lo, s1
	s_cbranch_vccnz .LBB126_3025
; %bb.3015:
	s_cmp_lt_i32 s0, 6
	s_cbranch_scc1 .LBB126_3018
; %bb.3016:
	s_cmp_gt_i32 s0, 6
	s_cbranch_scc0 .LBB126_3019
; %bb.3017:
	global_load_b64 v[6:7], v[4:5], off
	s_mov_b32 s1, 0
	s_wait_loadcnt 0x0
	v_trunc_f64_e32 v[6:7], v[6:7]
	s_delay_alu instid0(VALU_DEP_1) | instskip(NEXT) | instid1(VALU_DEP_1)
	v_ldexp_f64 v[8:9], v[6:7], 0xffffffe0
	v_floor_f64_e32 v[8:9], v[8:9]
	s_delay_alu instid0(VALU_DEP_1) | instskip(SKIP_1) | instid1(VALU_DEP_2)
	v_fmamk_f64 v[6:7], v[8:9], 0xc1f00000, v[6:7]
	v_cvt_i32_f64_e32 v13, v[8:9]
	v_cvt_u32_f64_e32 v12, v[6:7]
	s_branch .LBB126_3020
.LBB126_3018:
	s_mov_b32 s1, -1
                                        ; implicit-def: $vgpr12_vgpr13
	s_branch .LBB126_3023
.LBB126_3019:
	s_mov_b32 s1, -1
                                        ; implicit-def: $vgpr12_vgpr13
.LBB126_3020:
	s_delay_alu instid0(SALU_CYCLE_1)
	s_and_not1_b32 vcc_lo, exec_lo, s1
	s_cbranch_vccnz .LBB126_3022
; %bb.3021:
	global_load_b32 v1, v[4:5], off
	s_wait_loadcnt 0x0
	v_trunc_f32_e32 v1, v1
	s_delay_alu instid0(VALU_DEP_1) | instskip(SKIP_1) | instid1(VALU_DEP_2)
	v_mul_f32_e64 v3, 0x2f800000, |v1|
	v_ashrrev_i32_e32 v6, 31, v1
	v_floor_f32_e32 v3, v3
	s_delay_alu instid0(VALU_DEP_1) | instskip(SKIP_1) | instid1(VALU_DEP_2)
	v_fma_f32 v7, 0xcf800000, v3, |v1|
	v_cvt_u32_f32_e32 v1, v3
	v_cvt_u32_f32_e32 v3, v7
	s_delay_alu instid0(VALU_DEP_2) | instskip(NEXT) | instid1(VALU_DEP_2)
	v_dual_mov_b32 v7, v6 :: v_dual_bitop2_b32 v9, v1, v6 bitop3:0x14
	v_xor_b32_e32 v8, v3, v6
	s_delay_alu instid0(VALU_DEP_1)
	v_sub_nc_u64_e32 v[12:13], v[8:9], v[6:7]
.LBB126_3022:
	s_mov_b32 s1, 0
.LBB126_3023:
	s_delay_alu instid0(SALU_CYCLE_1)
	s_and_not1_b32 vcc_lo, exec_lo, s1
	s_cbranch_vccnz .LBB126_3025
; %bb.3024:
	global_load_u16 v1, v[4:5], off
	s_wait_loadcnt 0x0
	v_cvt_f32_f16_e32 v1, v1
	s_delay_alu instid0(VALU_DEP_1) | instskip(NEXT) | instid1(VALU_DEP_1)
	v_cvt_i32_f32_e32 v12, v1
	v_ashrrev_i32_e32 v13, 31, v12
.LBB126_3025:
	s_cbranch_execnz .LBB126_3045
.LBB126_3026:
	s_cmp_lt_i32 s0, 2
	s_cbranch_scc1 .LBB126_3030
; %bb.3027:
	s_cmp_lt_i32 s0, 3
	s_cbranch_scc1 .LBB126_3031
; %bb.3028:
	s_cmp_gt_i32 s0, 3
	s_cbranch_scc0 .LBB126_3032
; %bb.3029:
	s_wait_loadcnt 0x0
	global_load_b64 v[12:13], v[4:5], off
	s_mov_b32 s1, 0
	s_branch .LBB126_3033
.LBB126_3030:
	s_mov_b32 s1, -1
                                        ; implicit-def: $vgpr12_vgpr13
	s_branch .LBB126_3039
.LBB126_3031:
	s_mov_b32 s1, -1
                                        ; implicit-def: $vgpr12_vgpr13
	s_branch .LBB126_3036
.LBB126_3032:
	s_mov_b32 s1, -1
                                        ; implicit-def: $vgpr12_vgpr13
.LBB126_3033:
	s_delay_alu instid0(SALU_CYCLE_1)
	s_and_not1_b32 vcc_lo, exec_lo, s1
	s_cbranch_vccnz .LBB126_3035
; %bb.3034:
	s_wait_loadcnt 0x0
	global_load_b32 v12, v[4:5], off
	s_wait_loadcnt 0x0
	v_ashrrev_i32_e32 v13, 31, v12
.LBB126_3035:
	s_mov_b32 s1, 0
.LBB126_3036:
	s_delay_alu instid0(SALU_CYCLE_1)
	s_and_not1_b32 vcc_lo, exec_lo, s1
	s_cbranch_vccnz .LBB126_3038
; %bb.3037:
	global_load_u16 v1, v[4:5], off
	s_wait_loadcnt 0x0
	v_bfe_i32 v12, v1, 0, 16
	s_delay_alu instid0(VALU_DEP_1)
	v_ashrrev_i32_e32 v13, 31, v12
.LBB126_3038:
	s_mov_b32 s1, 0
.LBB126_3039:
	s_delay_alu instid0(SALU_CYCLE_1)
	s_and_not1_b32 vcc_lo, exec_lo, s1
	s_cbranch_vccnz .LBB126_3045
; %bb.3040:
	s_cmp_gt_i32 s0, 0
	s_mov_b32 s0, 0
	s_cbranch_scc0 .LBB126_3042
; %bb.3041:
	global_load_i8 v1, v[4:5], off
	s_wait_loadcnt 0x0
	v_bfe_i32 v12, v1, 0, 16
	s_delay_alu instid0(VALU_DEP_1)
	v_ashrrev_i32_e32 v13, 31, v12
	s_branch .LBB126_3043
.LBB126_3042:
	s_mov_b32 s0, -1
                                        ; implicit-def: $vgpr12_vgpr13
.LBB126_3043:
	s_delay_alu instid0(SALU_CYCLE_1)
	s_and_not1_b32 vcc_lo, exec_lo, s0
	s_cbranch_vccnz .LBB126_3045
; %bb.3044:
	global_load_u8 v1, v[4:5], off
	s_mov_b32 s0, 0
	s_wait_loadcnt 0x1
	v_mov_b32_e32 v13, s0
	s_wait_loadcnt 0x0
	v_and_b32_e32 v12, 0xffff, v1
.LBB126_3045:
.LBB126_3046:
	s_wait_xcnt 0x0
	v_mul_lo_u32 v4, s19, v22
	s_and_b32 s59, s28, 0xff
	s_delay_alu instid0(SALU_CYCLE_1) | instskip(NEXT) | instid1(VALU_DEP_1)
	s_cmp_lt_i32 s59, 11
	v_ashrrev_i32_e32 v5, 31, v4
	s_delay_alu instid0(VALU_DEP_1)
	v_add_nc_u64_e32 v[6:7], s[10:11], v[4:5]
	s_cbranch_scc1 .LBB126_3053
; %bb.3047:
	s_and_b32 s0, 0xffff, s59
	s_mov_b32 s28, 0
	s_cmp_gt_i32 s0, 25
	s_cbranch_scc0 .LBB126_3055
; %bb.3048:
	s_cmp_gt_i32 s0, 28
	s_cbranch_scc0 .LBB126_3056
; %bb.3049:
	;; [unrolled: 3-line block ×4, first 2 shown]
	s_cmp_eq_u32 s0, 46
	s_mov_b32 s31, 0
	s_cbranch_scc0 .LBB126_3060
; %bb.3052:
	global_load_b32 v1, v[6:7], off
	s_mov_b32 s1, 0
	s_mov_b32 s30, -1
	s_wait_loadcnt 0x0
	v_lshlrev_b32_e32 v1, 16, v1
	s_delay_alu instid0(VALU_DEP_1) | instskip(NEXT) | instid1(VALU_DEP_1)
	v_trunc_f32_e32 v1, v1
	v_mul_f32_e64 v3, 0x2f800000, |v1|
	v_ashrrev_i32_e32 v8, 31, v1
	s_delay_alu instid0(VALU_DEP_2) | instskip(NEXT) | instid1(VALU_DEP_2)
	v_floor_f32_e32 v3, v3
	v_mov_b32_e32 v9, v8
	s_delay_alu instid0(VALU_DEP_2) | instskip(SKIP_1) | instid1(VALU_DEP_2)
	v_fma_f32 v5, 0xcf800000, v3, |v1|
	v_cvt_u32_f32_e32 v1, v3
	v_cvt_u32_f32_e32 v3, v5
	s_delay_alu instid0(VALU_DEP_2) | instskip(NEXT) | instid1(VALU_DEP_2)
	v_xor_b32_e32 v15, v1, v8
	v_xor_b32_e32 v14, v3, v8
	s_delay_alu instid0(VALU_DEP_1)
	v_sub_nc_u64_e32 v[14:15], v[14:15], v[8:9]
	s_branch .LBB126_3062
.LBB126_3053:
	s_mov_b32 s30, 0
                                        ; implicit-def: $vgpr14_vgpr15
	s_cbranch_execnz .LBB126_3124
.LBB126_3054:
	s_and_not1_b32 vcc_lo, exec_lo, s30
	s_cbranch_vccnz .LBB126_3434
	s_branch .LBB126_3172
.LBB126_3055:
	s_mov_b32 s31, -1
	s_mov_b32 s30, 0
	s_mov_b32 s1, 0
                                        ; implicit-def: $vgpr14_vgpr15
	s_branch .LBB126_3089
.LBB126_3056:
	s_mov_b32 s31, -1
	s_mov_b32 s30, 0
	s_mov_b32 s1, 0
                                        ; implicit-def: $vgpr14_vgpr15
	s_branch .LBB126_3072
.LBB126_3057:
	s_mov_b32 s31, -1
	s_mov_b32 s30, 0
	s_mov_b32 s1, 0
                                        ; implicit-def: $vgpr14_vgpr15
	s_branch .LBB126_3067
.LBB126_3058:
	s_or_b32 s43, s43, exec_lo
	s_trap 2
	s_cbranch_execz .LBB126_2997
	s_branch .LBB126_2998
.LBB126_3059:
	s_mov_b32 s31, -1
	s_mov_b32 s30, 0
	s_mov_b32 s1, 0
	s_branch .LBB126_3061
.LBB126_3060:
	s_mov_b32 s1, -1
	s_mov_b32 s30, 0
.LBB126_3061:
                                        ; implicit-def: $vgpr14_vgpr15
.LBB126_3062:
	s_and_b32 vcc_lo, exec_lo, s31
	s_cbranch_vccz .LBB126_3066
; %bb.3063:
	s_cmp_eq_u32 s0, 44
	s_cbranch_scc0 .LBB126_3065
; %bb.3064:
	global_load_u8 v1, v[6:7], off
	s_mov_b32 s1, 0
	s_mov_b32 s30, -1
	s_wait_loadcnt 0x0
	v_lshlrev_b32_e32 v3, 23, v1
	v_cmp_ne_u32_e32 vcc_lo, 0, v1
	s_delay_alu instid0(VALU_DEP_2) | instskip(NEXT) | instid1(VALU_DEP_1)
	v_trunc_f32_e32 v3, v3
	v_mul_f32_e64 v5, 0x2f800000, |v3|
	v_ashrrev_i32_e32 v8, 31, v3
	s_delay_alu instid0(VALU_DEP_2) | instskip(NEXT) | instid1(VALU_DEP_1)
	v_floor_f32_e32 v5, v5
	v_fma_f32 v9, 0xcf800000, v5, |v3|
	v_cvt_u32_f32_e32 v3, v5
	s_delay_alu instid0(VALU_DEP_2) | instskip(NEXT) | instid1(VALU_DEP_2)
	v_cvt_u32_f32_e32 v5, v9
	v_dual_mov_b32 v9, v8 :: v_dual_bitop2_b32 v15, v3, v8 bitop3:0x14
	s_delay_alu instid0(VALU_DEP_2) | instskip(NEXT) | instid1(VALU_DEP_1)
	v_xor_b32_e32 v14, v5, v8
	v_sub_nc_u64_e32 v[8:9], v[14:15], v[8:9]
	s_delay_alu instid0(VALU_DEP_1)
	v_dual_cndmask_b32 v15, 0, v9 :: v_dual_cndmask_b32 v14, 0, v8
	s_branch .LBB126_3066
.LBB126_3065:
	s_mov_b32 s1, -1
                                        ; implicit-def: $vgpr14_vgpr15
.LBB126_3066:
	s_mov_b32 s31, 0
.LBB126_3067:
	s_delay_alu instid0(SALU_CYCLE_1)
	s_and_b32 vcc_lo, exec_lo, s31
	s_cbranch_vccz .LBB126_3071
; %bb.3068:
	s_cmp_eq_u32 s0, 29
	s_cbranch_scc0 .LBB126_3070
; %bb.3069:
	global_load_b64 v[14:15], v[6:7], off
	s_mov_b32 s1, 0
	s_mov_b32 s30, -1
	s_branch .LBB126_3071
.LBB126_3070:
	s_mov_b32 s1, -1
                                        ; implicit-def: $vgpr14_vgpr15
.LBB126_3071:
	s_mov_b32 s31, 0
.LBB126_3072:
	s_delay_alu instid0(SALU_CYCLE_1)
	s_and_b32 vcc_lo, exec_lo, s31
	s_cbranch_vccz .LBB126_3088
; %bb.3073:
	s_cmp_lt_i32 s0, 27
	s_cbranch_scc1 .LBB126_3076
; %bb.3074:
	s_cmp_gt_i32 s0, 27
	s_cbranch_scc0 .LBB126_3077
; %bb.3075:
	s_wait_loadcnt 0x0
	global_load_b32 v14, v[6:7], off
	v_mov_b32_e32 v15, 0
	s_mov_b32 s30, 0
	s_branch .LBB126_3078
.LBB126_3076:
	s_mov_b32 s30, -1
                                        ; implicit-def: $vgpr14_vgpr15
	s_branch .LBB126_3081
.LBB126_3077:
	s_mov_b32 s30, -1
                                        ; implicit-def: $vgpr14_vgpr15
.LBB126_3078:
	s_delay_alu instid0(SALU_CYCLE_1)
	s_and_not1_b32 vcc_lo, exec_lo, s30
	s_cbranch_vccnz .LBB126_3080
; %bb.3079:
	global_load_u16 v1, v[6:7], off
	s_mov_b32 s30, 0
	s_wait_loadcnt 0x1
	v_mov_b32_e32 v15, s30
	s_wait_loadcnt 0x0
	v_and_b32_e32 v14, 0xffff, v1
.LBB126_3080:
	s_mov_b32 s30, 0
.LBB126_3081:
	s_delay_alu instid0(SALU_CYCLE_1)
	s_and_not1_b32 vcc_lo, exec_lo, s30
	s_cbranch_vccnz .LBB126_3087
; %bb.3082:
	global_load_u8 v1, v[6:7], off
	s_mov_b32 s31, 0
	s_mov_b32 s30, exec_lo
	s_wait_loadcnt 0x0
	v_cmpx_lt_i16_e32 0x7f, v1
	s_xor_b32 s30, exec_lo, s30
	s_cbranch_execz .LBB126_3099
; %bb.3083:
	v_cmp_ne_u16_e32 vcc_lo, 0x80, v1
	s_and_b32 s31, vcc_lo, exec_lo
	s_and_not1_saveexec_b32 s30, s30
	s_cbranch_execnz .LBB126_3100
.LBB126_3084:
	s_or_b32 exec_lo, exec_lo, s30
	v_mov_b64_e32 v[14:15], 0
	s_and_saveexec_b32 s30, s31
	s_cbranch_execz .LBB126_3086
.LBB126_3085:
	v_and_b32_e32 v3, 0xffff, v1
	s_delay_alu instid0(VALU_DEP_1) | instskip(SKIP_1) | instid1(VALU_DEP_2)
	v_and_b32_e32 v5, 7, v3
	v_bfe_u32 v14, v3, 3, 4
	v_clz_i32_u32_e32 v8, v5
	s_delay_alu instid0(VALU_DEP_2) | instskip(NEXT) | instid1(VALU_DEP_2)
	v_cmp_eq_u32_e32 vcc_lo, 0, v14
	v_min_u32_e32 v8, 32, v8
	s_delay_alu instid0(VALU_DEP_1) | instskip(NEXT) | instid1(VALU_DEP_1)
	v_subrev_nc_u32_e32 v9, 28, v8
	v_dual_lshlrev_b32 v3, v9, v3 :: v_dual_sub_nc_u32 v8, 29, v8
	s_delay_alu instid0(VALU_DEP_1) | instskip(NEXT) | instid1(VALU_DEP_1)
	v_dual_lshlrev_b32 v1, 24, v1 :: v_dual_bitop2_b32 v3, 7, v3 bitop3:0x40
	v_dual_cndmask_b32 v8, v14, v8 :: v_dual_cndmask_b32 v3, v5, v3
	s_delay_alu instid0(VALU_DEP_2) | instskip(NEXT) | instid1(VALU_DEP_2)
	v_and_b32_e32 v1, 0x80000000, v1
	v_lshl_add_u32 v5, v8, 23, 0x3b800000
	s_delay_alu instid0(VALU_DEP_3) | instskip(NEXT) | instid1(VALU_DEP_1)
	v_lshlrev_b32_e32 v3, 20, v3
	v_or3_b32 v1, v1, v5, v3
	s_delay_alu instid0(VALU_DEP_1) | instskip(NEXT) | instid1(VALU_DEP_1)
	v_trunc_f32_e32 v1, v1
	v_mul_f32_e64 v3, 0x2f800000, |v1|
	v_ashrrev_i32_e32 v8, 31, v1
	s_delay_alu instid0(VALU_DEP_2) | instskip(NEXT) | instid1(VALU_DEP_2)
	v_floor_f32_e32 v3, v3
	v_mov_b32_e32 v9, v8
	s_delay_alu instid0(VALU_DEP_2) | instskip(SKIP_1) | instid1(VALU_DEP_2)
	v_fma_f32 v5, 0xcf800000, v3, |v1|
	v_cvt_u32_f32_e32 v1, v3
	v_cvt_u32_f32_e32 v3, v5
	s_delay_alu instid0(VALU_DEP_2) | instskip(NEXT) | instid1(VALU_DEP_2)
	v_xor_b32_e32 v15, v1, v8
	v_xor_b32_e32 v14, v3, v8
	s_delay_alu instid0(VALU_DEP_1)
	v_sub_nc_u64_e32 v[14:15], v[14:15], v[8:9]
.LBB126_3086:
	s_or_b32 exec_lo, exec_lo, s30
.LBB126_3087:
	s_mov_b32 s30, -1
.LBB126_3088:
	s_mov_b32 s31, 0
.LBB126_3089:
	s_delay_alu instid0(SALU_CYCLE_1)
	s_and_b32 vcc_lo, exec_lo, s31
	s_cbranch_vccz .LBB126_3120
; %bb.3090:
	s_cmp_gt_i32 s0, 22
	s_cbranch_scc0 .LBB126_3098
; %bb.3091:
	s_cmp_lt_i32 s0, 24
	s_cbranch_scc1 .LBB126_3101
; %bb.3092:
	s_cmp_gt_i32 s0, 24
	s_cbranch_scc0 .LBB126_3102
; %bb.3093:
	global_load_u8 v1, v[6:7], off
	s_mov_b32 s30, 0
	s_mov_b32 s28, exec_lo
	s_wait_loadcnt 0x0
	v_cmpx_lt_i16_e32 0x7f, v1
	s_xor_b32 s28, exec_lo, s28
	s_cbranch_execz .LBB126_3114
; %bb.3094:
	v_cmp_ne_u16_e32 vcc_lo, 0x80, v1
	s_and_b32 s30, vcc_lo, exec_lo
	s_and_not1_saveexec_b32 s28, s28
	s_cbranch_execnz .LBB126_3115
.LBB126_3095:
	s_or_b32 exec_lo, exec_lo, s28
	v_mov_b64_e32 v[14:15], 0
	s_and_saveexec_b32 s28, s30
	s_cbranch_execz .LBB126_3097
.LBB126_3096:
	v_and_b32_e32 v3, 0xffff, v1
	s_delay_alu instid0(VALU_DEP_1) | instskip(SKIP_1) | instid1(VALU_DEP_2)
	v_and_b32_e32 v5, 3, v3
	v_bfe_u32 v14, v3, 2, 5
	v_clz_i32_u32_e32 v8, v5
	s_delay_alu instid0(VALU_DEP_2) | instskip(NEXT) | instid1(VALU_DEP_2)
	v_cmp_eq_u32_e32 vcc_lo, 0, v14
	v_min_u32_e32 v8, 32, v8
	s_delay_alu instid0(VALU_DEP_1) | instskip(NEXT) | instid1(VALU_DEP_1)
	v_subrev_nc_u32_e32 v9, 29, v8
	v_dual_lshlrev_b32 v3, v9, v3 :: v_dual_sub_nc_u32 v8, 30, v8
	s_delay_alu instid0(VALU_DEP_1) | instskip(NEXT) | instid1(VALU_DEP_1)
	v_dual_lshlrev_b32 v1, 24, v1 :: v_dual_bitop2_b32 v3, 3, v3 bitop3:0x40
	v_dual_cndmask_b32 v8, v14, v8 :: v_dual_cndmask_b32 v3, v5, v3
	s_delay_alu instid0(VALU_DEP_2) | instskip(NEXT) | instid1(VALU_DEP_2)
	v_and_b32_e32 v1, 0x80000000, v1
	v_lshl_add_u32 v5, v8, 23, 0x37800000
	s_delay_alu instid0(VALU_DEP_3) | instskip(NEXT) | instid1(VALU_DEP_1)
	v_lshlrev_b32_e32 v3, 21, v3
	v_or3_b32 v1, v1, v5, v3
	s_delay_alu instid0(VALU_DEP_1) | instskip(NEXT) | instid1(VALU_DEP_1)
	v_trunc_f32_e32 v1, v1
	v_mul_f32_e64 v3, 0x2f800000, |v1|
	v_ashrrev_i32_e32 v8, 31, v1
	s_delay_alu instid0(VALU_DEP_2) | instskip(NEXT) | instid1(VALU_DEP_2)
	v_floor_f32_e32 v3, v3
	v_mov_b32_e32 v9, v8
	s_delay_alu instid0(VALU_DEP_2) | instskip(SKIP_1) | instid1(VALU_DEP_2)
	v_fma_f32 v5, 0xcf800000, v3, |v1|
	v_cvt_u32_f32_e32 v1, v3
	v_cvt_u32_f32_e32 v3, v5
	s_delay_alu instid0(VALU_DEP_2) | instskip(NEXT) | instid1(VALU_DEP_2)
	v_xor_b32_e32 v15, v1, v8
	v_xor_b32_e32 v14, v3, v8
	s_delay_alu instid0(VALU_DEP_1)
	v_sub_nc_u64_e32 v[14:15], v[14:15], v[8:9]
.LBB126_3097:
	s_or_b32 exec_lo, exec_lo, s28
	s_mov_b32 s28, 0
	s_branch .LBB126_3103
.LBB126_3098:
	s_mov_b32 s28, -1
                                        ; implicit-def: $vgpr14_vgpr15
	s_branch .LBB126_3109
.LBB126_3099:
	s_and_not1_saveexec_b32 s30, s30
	s_cbranch_execz .LBB126_3084
.LBB126_3100:
	v_cmp_ne_u16_e32 vcc_lo, 0, v1
	s_and_not1_b32 s31, s31, exec_lo
	s_and_b32 s33, vcc_lo, exec_lo
	s_delay_alu instid0(SALU_CYCLE_1)
	s_or_b32 s31, s31, s33
	s_or_b32 exec_lo, exec_lo, s30
	v_mov_b64_e32 v[14:15], 0
	s_and_saveexec_b32 s30, s31
	s_cbranch_execnz .LBB126_3085
	s_branch .LBB126_3086
.LBB126_3101:
	s_mov_b32 s28, -1
                                        ; implicit-def: $vgpr14_vgpr15
	s_branch .LBB126_3106
.LBB126_3102:
	s_mov_b32 s28, -1
                                        ; implicit-def: $vgpr14_vgpr15
.LBB126_3103:
	s_delay_alu instid0(SALU_CYCLE_1)
	s_and_b32 vcc_lo, exec_lo, s28
	s_cbranch_vccz .LBB126_3105
; %bb.3104:
	global_load_u8 v1, v[6:7], off
	s_wait_loadcnt 0x0
	v_lshlrev_b32_e32 v1, 24, v1
	s_delay_alu instid0(VALU_DEP_1) | instskip(NEXT) | instid1(VALU_DEP_1)
	v_and_b32_e32 v3, 0x7f000000, v1
	v_clz_i32_u32_e32 v5, v3
	v_add_nc_u32_e32 v9, 0x1000000, v3
	v_cmp_ne_u32_e32 vcc_lo, 0, v3
	s_delay_alu instid0(VALU_DEP_3) | instskip(NEXT) | instid1(VALU_DEP_1)
	v_min_u32_e32 v5, 32, v5
	v_sub_nc_u32_e64 v5, v5, 4 clamp
	s_delay_alu instid0(VALU_DEP_1) | instskip(NEXT) | instid1(VALU_DEP_1)
	v_dual_lshlrev_b32 v8, v5, v3 :: v_dual_lshlrev_b32 v5, 23, v5
	v_lshrrev_b32_e32 v8, 4, v8
	s_delay_alu instid0(VALU_DEP_1) | instskip(SKIP_1) | instid1(VALU_DEP_2)
	v_sub_nc_u32_e32 v5, v8, v5
	v_ashrrev_i32_e32 v8, 8, v9
	v_add_nc_u32_e32 v5, 0x3c000000, v5
	s_delay_alu instid0(VALU_DEP_1) | instskip(NEXT) | instid1(VALU_DEP_1)
	v_and_or_b32 v5, 0x7f800000, v8, v5
	v_cndmask_b32_e32 v3, 0, v5, vcc_lo
	s_delay_alu instid0(VALU_DEP_1) | instskip(NEXT) | instid1(VALU_DEP_1)
	v_and_or_b32 v1, 0x80000000, v1, v3
	v_trunc_f32_e32 v1, v1
	s_delay_alu instid0(VALU_DEP_1) | instskip(SKIP_1) | instid1(VALU_DEP_2)
	v_mul_f32_e64 v3, 0x2f800000, |v1|
	v_ashrrev_i32_e32 v8, 31, v1
	v_floor_f32_e32 v3, v3
	s_delay_alu instid0(VALU_DEP_2) | instskip(NEXT) | instid1(VALU_DEP_2)
	v_mov_b32_e32 v9, v8
	v_fma_f32 v5, 0xcf800000, v3, |v1|
	v_cvt_u32_f32_e32 v1, v3
	s_delay_alu instid0(VALU_DEP_2) | instskip(NEXT) | instid1(VALU_DEP_2)
	v_cvt_u32_f32_e32 v3, v5
	v_xor_b32_e32 v15, v1, v8
	s_delay_alu instid0(VALU_DEP_2) | instskip(NEXT) | instid1(VALU_DEP_1)
	v_xor_b32_e32 v14, v3, v8
	v_sub_nc_u64_e32 v[14:15], v[14:15], v[8:9]
.LBB126_3105:
	s_mov_b32 s28, 0
.LBB126_3106:
	s_delay_alu instid0(SALU_CYCLE_1)
	s_and_not1_b32 vcc_lo, exec_lo, s28
	s_cbranch_vccnz .LBB126_3108
; %bb.3107:
	global_load_u8 v1, v[6:7], off
	s_wait_loadcnt 0x0
	v_lshlrev_b32_e32 v3, 25, v1
	v_lshlrev_b16 v1, 8, v1
	s_delay_alu instid0(VALU_DEP_1) | instskip(SKIP_1) | instid1(VALU_DEP_2)
	v_and_or_b32 v8, 0x7f00, v1, 0.5
	v_bfe_i32 v1, v1, 0, 16
	v_dual_add_f32 v8, -0.5, v8 :: v_dual_lshrrev_b32 v5, 4, v3
	v_cmp_gt_u32_e32 vcc_lo, 0x8000000, v3
	s_delay_alu instid0(VALU_DEP_2) | instskip(NEXT) | instid1(VALU_DEP_1)
	v_or_b32_e32 v5, 0x70000000, v5
	v_mul_f32_e32 v5, 0x7800000, v5
	s_delay_alu instid0(VALU_DEP_1) | instskip(NEXT) | instid1(VALU_DEP_1)
	v_cndmask_b32_e32 v3, v5, v8, vcc_lo
	v_and_or_b32 v1, 0x80000000, v1, v3
	s_delay_alu instid0(VALU_DEP_1) | instskip(NEXT) | instid1(VALU_DEP_1)
	v_trunc_f32_e32 v1, v1
	v_mul_f32_e64 v3, 0x2f800000, |v1|
	v_ashrrev_i32_e32 v8, 31, v1
	s_delay_alu instid0(VALU_DEP_2) | instskip(NEXT) | instid1(VALU_DEP_2)
	v_floor_f32_e32 v3, v3
	v_mov_b32_e32 v9, v8
	s_delay_alu instid0(VALU_DEP_2) | instskip(SKIP_1) | instid1(VALU_DEP_2)
	v_fma_f32 v5, 0xcf800000, v3, |v1|
	v_cvt_u32_f32_e32 v1, v3
	v_cvt_u32_f32_e32 v3, v5
	s_delay_alu instid0(VALU_DEP_2) | instskip(NEXT) | instid1(VALU_DEP_2)
	v_xor_b32_e32 v15, v1, v8
	v_xor_b32_e32 v14, v3, v8
	s_delay_alu instid0(VALU_DEP_1)
	v_sub_nc_u64_e32 v[14:15], v[14:15], v[8:9]
.LBB126_3108:
	s_mov_b32 s28, 0
	s_mov_b32 s30, -1
.LBB126_3109:
	s_and_not1_b32 vcc_lo, exec_lo, s28
	s_mov_b32 s28, 0
	s_cbranch_vccnz .LBB126_3120
; %bb.3110:
	s_cmp_gt_i32 s0, 14
	s_cbranch_scc0 .LBB126_3113
; %bb.3111:
	s_cmp_eq_u32 s0, 15
	s_cbranch_scc0 .LBB126_3116
; %bb.3112:
	global_load_u16 v1, v[6:7], off
	s_mov_b32 s1, 0
	s_mov_b32 s30, -1
	s_wait_loadcnt 0x0
	v_lshlrev_b32_e32 v1, 16, v1
	s_delay_alu instid0(VALU_DEP_1) | instskip(NEXT) | instid1(VALU_DEP_1)
	v_trunc_f32_e32 v1, v1
	v_mul_f32_e64 v3, 0x2f800000, |v1|
	v_ashrrev_i32_e32 v8, 31, v1
	s_delay_alu instid0(VALU_DEP_2) | instskip(NEXT) | instid1(VALU_DEP_2)
	v_floor_f32_e32 v3, v3
	v_mov_b32_e32 v9, v8
	s_delay_alu instid0(VALU_DEP_2) | instskip(SKIP_1) | instid1(VALU_DEP_2)
	v_fma_f32 v5, 0xcf800000, v3, |v1|
	v_cvt_u32_f32_e32 v1, v3
	v_cvt_u32_f32_e32 v3, v5
	s_delay_alu instid0(VALU_DEP_2) | instskip(NEXT) | instid1(VALU_DEP_2)
	v_xor_b32_e32 v15, v1, v8
	v_xor_b32_e32 v14, v3, v8
	s_delay_alu instid0(VALU_DEP_1)
	v_sub_nc_u64_e32 v[14:15], v[14:15], v[8:9]
	s_branch .LBB126_3118
.LBB126_3113:
	s_mov_b32 s28, -1
	s_branch .LBB126_3117
.LBB126_3114:
	s_and_not1_saveexec_b32 s28, s28
	s_cbranch_execz .LBB126_3095
.LBB126_3115:
	v_cmp_ne_u16_e32 vcc_lo, 0, v1
	s_and_not1_b32 s30, s30, exec_lo
	s_and_b32 s31, vcc_lo, exec_lo
	s_delay_alu instid0(SALU_CYCLE_1)
	s_or_b32 s30, s30, s31
	s_or_b32 exec_lo, exec_lo, s28
	v_mov_b64_e32 v[14:15], 0
	s_and_saveexec_b32 s28, s30
	s_cbranch_execnz .LBB126_3096
	s_branch .LBB126_3097
.LBB126_3116:
	s_mov_b32 s1, -1
.LBB126_3117:
                                        ; implicit-def: $vgpr14_vgpr15
.LBB126_3118:
	s_and_b32 vcc_lo, exec_lo, s28
	s_mov_b32 s28, 0
	s_cbranch_vccz .LBB126_3120
; %bb.3119:
	s_cmp_lg_u32 s0, 11
	s_mov_b32 s28, -1
	s_cselect_b32 s1, -1, 0
.LBB126_3120:
	s_delay_alu instid0(SALU_CYCLE_1)
	s_and_b32 vcc_lo, exec_lo, s1
	s_cbranch_vccnz .LBB126_3183
; %bb.3121:
	s_and_not1_b32 vcc_lo, exec_lo, s28
	s_cbranch_vccnz .LBB126_3123
.LBB126_3122:
	global_load_u8 v1, v[6:7], off
	s_mov_b32 s0, 0
	s_mov_b32 s30, -1
	s_wait_loadcnt 0x1
	v_mov_b32_e32 v15, s0
	s_wait_loadcnt 0x0
	v_cmp_ne_u16_e32 vcc_lo, 0, v1
	v_cndmask_b32_e64 v14, 0, 1, vcc_lo
.LBB126_3123:
	s_branch .LBB126_3054
.LBB126_3124:
	s_and_b32 s0, 0xffff, s59
	s_delay_alu instid0(SALU_CYCLE_1)
	s_cmp_lt_i32 s0, 5
	s_cbranch_scc1 .LBB126_3129
; %bb.3125:
	s_cmp_lt_i32 s0, 8
	s_cbranch_scc1 .LBB126_3130
; %bb.3126:
	s_cmp_lt_i32 s0, 9
	s_cbranch_scc1 .LBB126_3131
; %bb.3127:
	s_cmp_gt_i32 s0, 9
	s_cbranch_scc0 .LBB126_3132
; %bb.3128:
	global_load_b64 v[8:9], v[6:7], off
	s_mov_b32 s1, 0
	s_wait_loadcnt 0x0
	v_trunc_f64_e32 v[8:9], v[8:9]
	s_delay_alu instid0(VALU_DEP_1) | instskip(NEXT) | instid1(VALU_DEP_1)
	v_ldexp_f64 v[14:15], v[8:9], 0xffffffe0
	v_floor_f64_e32 v[14:15], v[14:15]
	s_delay_alu instid0(VALU_DEP_1) | instskip(SKIP_1) | instid1(VALU_DEP_2)
	v_fmamk_f64 v[8:9], v[14:15], 0xc1f00000, v[8:9]
	v_cvt_i32_f64_e32 v15, v[14:15]
	v_cvt_u32_f64_e32 v14, v[8:9]
	s_branch .LBB126_3133
.LBB126_3129:
	s_mov_b32 s1, -1
                                        ; implicit-def: $vgpr14_vgpr15
	s_branch .LBB126_3151
.LBB126_3130:
	s_mov_b32 s1, -1
                                        ; implicit-def: $vgpr14_vgpr15
	s_branch .LBB126_3139
.LBB126_3131:
	s_mov_b32 s1, -1
                                        ; implicit-def: $vgpr14_vgpr15
	s_branch .LBB126_3136
.LBB126_3132:
	s_mov_b32 s1, -1
                                        ; implicit-def: $vgpr14_vgpr15
.LBB126_3133:
	s_delay_alu instid0(SALU_CYCLE_1)
	s_and_not1_b32 vcc_lo, exec_lo, s1
	s_cbranch_vccnz .LBB126_3135
; %bb.3134:
	global_load_b32 v1, v[6:7], off
	s_wait_loadcnt 0x0
	v_trunc_f32_e32 v1, v1
	s_delay_alu instid0(VALU_DEP_1) | instskip(SKIP_1) | instid1(VALU_DEP_2)
	v_mul_f32_e64 v3, 0x2f800000, |v1|
	v_ashrrev_i32_e32 v8, 31, v1
	v_floor_f32_e32 v3, v3
	s_delay_alu instid0(VALU_DEP_1) | instskip(SKIP_1) | instid1(VALU_DEP_4)
	v_fma_f32 v5, 0xcf800000, v3, |v1|
	v_cvt_u32_f32_e32 v1, v3
	v_mov_b32_e32 v9, v8
	s_delay_alu instid0(VALU_DEP_3) | instskip(NEXT) | instid1(VALU_DEP_3)
	v_cvt_u32_f32_e32 v3, v5
	v_xor_b32_e32 v15, v1, v8
	s_delay_alu instid0(VALU_DEP_2) | instskip(NEXT) | instid1(VALU_DEP_1)
	v_xor_b32_e32 v14, v3, v8
	v_sub_nc_u64_e32 v[14:15], v[14:15], v[8:9]
.LBB126_3135:
	s_mov_b32 s1, 0
.LBB126_3136:
	s_delay_alu instid0(SALU_CYCLE_1)
	s_and_not1_b32 vcc_lo, exec_lo, s1
	s_cbranch_vccnz .LBB126_3138
; %bb.3137:
	global_load_b32 v1, v[6:7], off
	s_wait_loadcnt 0x0
	v_cvt_f32_f16_e32 v1, v1
	s_delay_alu instid0(VALU_DEP_1) | instskip(NEXT) | instid1(VALU_DEP_1)
	v_cvt_i32_f32_e32 v14, v1
	v_ashrrev_i32_e32 v15, 31, v14
.LBB126_3138:
	s_mov_b32 s1, 0
.LBB126_3139:
	s_delay_alu instid0(SALU_CYCLE_1)
	s_and_not1_b32 vcc_lo, exec_lo, s1
	s_cbranch_vccnz .LBB126_3150
; %bb.3140:
	s_cmp_lt_i32 s0, 6
	s_cbranch_scc1 .LBB126_3143
; %bb.3141:
	s_cmp_gt_i32 s0, 6
	s_cbranch_scc0 .LBB126_3144
; %bb.3142:
	global_load_b64 v[8:9], v[6:7], off
	s_mov_b32 s1, 0
	s_wait_loadcnt 0x0
	v_trunc_f64_e32 v[8:9], v[8:9]
	s_delay_alu instid0(VALU_DEP_1) | instskip(NEXT) | instid1(VALU_DEP_1)
	v_ldexp_f64 v[14:15], v[8:9], 0xffffffe0
	v_floor_f64_e32 v[14:15], v[14:15]
	s_delay_alu instid0(VALU_DEP_1) | instskip(SKIP_1) | instid1(VALU_DEP_2)
	v_fmamk_f64 v[8:9], v[14:15], 0xc1f00000, v[8:9]
	v_cvt_i32_f64_e32 v15, v[14:15]
	v_cvt_u32_f64_e32 v14, v[8:9]
	s_branch .LBB126_3145
.LBB126_3143:
	s_mov_b32 s1, -1
                                        ; implicit-def: $vgpr14_vgpr15
	s_branch .LBB126_3148
.LBB126_3144:
	s_mov_b32 s1, -1
                                        ; implicit-def: $vgpr14_vgpr15
.LBB126_3145:
	s_delay_alu instid0(SALU_CYCLE_1)
	s_and_not1_b32 vcc_lo, exec_lo, s1
	s_cbranch_vccnz .LBB126_3147
; %bb.3146:
	global_load_b32 v1, v[6:7], off
	s_wait_loadcnt 0x0
	v_trunc_f32_e32 v1, v1
	s_delay_alu instid0(VALU_DEP_1) | instskip(SKIP_1) | instid1(VALU_DEP_2)
	v_mul_f32_e64 v3, 0x2f800000, |v1|
	v_ashrrev_i32_e32 v8, 31, v1
	v_floor_f32_e32 v3, v3
	s_delay_alu instid0(VALU_DEP_1) | instskip(SKIP_1) | instid1(VALU_DEP_4)
	v_fma_f32 v5, 0xcf800000, v3, |v1|
	v_cvt_u32_f32_e32 v1, v3
	v_mov_b32_e32 v9, v8
	s_delay_alu instid0(VALU_DEP_3) | instskip(NEXT) | instid1(VALU_DEP_3)
	v_cvt_u32_f32_e32 v3, v5
	v_xor_b32_e32 v15, v1, v8
	s_delay_alu instid0(VALU_DEP_2) | instskip(NEXT) | instid1(VALU_DEP_1)
	v_xor_b32_e32 v14, v3, v8
	v_sub_nc_u64_e32 v[14:15], v[14:15], v[8:9]
.LBB126_3147:
	s_mov_b32 s1, 0
.LBB126_3148:
	s_delay_alu instid0(SALU_CYCLE_1)
	s_and_not1_b32 vcc_lo, exec_lo, s1
	s_cbranch_vccnz .LBB126_3150
; %bb.3149:
	global_load_u16 v1, v[6:7], off
	s_wait_loadcnt 0x0
	v_cvt_f32_f16_e32 v1, v1
	s_delay_alu instid0(VALU_DEP_1) | instskip(NEXT) | instid1(VALU_DEP_1)
	v_cvt_i32_f32_e32 v14, v1
	v_ashrrev_i32_e32 v15, 31, v14
.LBB126_3150:
	s_mov_b32 s1, 0
.LBB126_3151:
	s_delay_alu instid0(SALU_CYCLE_1)
	s_and_not1_b32 vcc_lo, exec_lo, s1
	s_cbranch_vccnz .LBB126_3171
; %bb.3152:
	s_cmp_lt_i32 s0, 2
	s_cbranch_scc1 .LBB126_3156
; %bb.3153:
	s_cmp_lt_i32 s0, 3
	s_cbranch_scc1 .LBB126_3157
; %bb.3154:
	s_cmp_gt_i32 s0, 3
	s_cbranch_scc0 .LBB126_3158
; %bb.3155:
	s_wait_loadcnt 0x0
	global_load_b64 v[14:15], v[6:7], off
	s_mov_b32 s1, 0
	s_branch .LBB126_3159
.LBB126_3156:
	s_mov_b32 s1, -1
                                        ; implicit-def: $vgpr14_vgpr15
	s_branch .LBB126_3165
.LBB126_3157:
	s_mov_b32 s1, -1
                                        ; implicit-def: $vgpr14_vgpr15
	s_branch .LBB126_3162
.LBB126_3158:
	s_mov_b32 s1, -1
                                        ; implicit-def: $vgpr14_vgpr15
.LBB126_3159:
	s_delay_alu instid0(SALU_CYCLE_1)
	s_and_not1_b32 vcc_lo, exec_lo, s1
	s_cbranch_vccnz .LBB126_3161
; %bb.3160:
	s_wait_loadcnt 0x0
	global_load_b32 v14, v[6:7], off
	s_wait_loadcnt 0x0
	v_ashrrev_i32_e32 v15, 31, v14
.LBB126_3161:
	s_mov_b32 s1, 0
.LBB126_3162:
	s_delay_alu instid0(SALU_CYCLE_1)
	s_and_not1_b32 vcc_lo, exec_lo, s1
	s_cbranch_vccnz .LBB126_3164
; %bb.3163:
	global_load_u16 v1, v[6:7], off
	s_wait_loadcnt 0x0
	v_bfe_i32 v14, v1, 0, 16
	s_delay_alu instid0(VALU_DEP_1)
	v_ashrrev_i32_e32 v15, 31, v14
.LBB126_3164:
	s_mov_b32 s1, 0
.LBB126_3165:
	s_delay_alu instid0(SALU_CYCLE_1)
	s_and_not1_b32 vcc_lo, exec_lo, s1
	s_cbranch_vccnz .LBB126_3171
; %bb.3166:
	s_cmp_gt_i32 s0, 0
	s_mov_b32 s0, 0
	s_cbranch_scc0 .LBB126_3168
; %bb.3167:
	global_load_i8 v1, v[6:7], off
	s_wait_loadcnt 0x0
	v_bfe_i32 v14, v1, 0, 16
	s_delay_alu instid0(VALU_DEP_1)
	v_ashrrev_i32_e32 v15, 31, v14
	s_branch .LBB126_3169
.LBB126_3168:
	s_mov_b32 s0, -1
                                        ; implicit-def: $vgpr14_vgpr15
.LBB126_3169:
	s_delay_alu instid0(SALU_CYCLE_1)
	s_and_not1_b32 vcc_lo, exec_lo, s0
	s_cbranch_vccnz .LBB126_3171
; %bb.3170:
	global_load_u8 v1, v[6:7], off
	s_mov_b32 s0, 0
	s_wait_loadcnt 0x1
	v_mov_b32_e32 v15, s0
	s_wait_loadcnt 0x0
	v_and_b32_e32 v14, 0xffff, v1
.LBB126_3171:
.LBB126_3172:
	s_wait_xcnt 0x0
	v_mul_lo_u32 v6, s2, v22
	s_and_b32 s60, s27, 0xff
	s_delay_alu instid0(SALU_CYCLE_1) | instskip(NEXT) | instid1(VALU_DEP_1)
	s_cmp_lt_i32 s60, 11
	v_ashrrev_i32_e32 v7, 31, v6
	s_delay_alu instid0(VALU_DEP_1)
	v_add_nc_u64_e32 v[8:9], s[12:13], v[6:7]
	s_cbranch_scc1 .LBB126_3179
; %bb.3173:
	s_and_b32 s0, 0xffff, s60
	s_mov_b32 s27, 0
	s_cmp_gt_i32 s0, 25
	s_cbranch_scc0 .LBB126_3180
; %bb.3174:
	s_cmp_gt_i32 s0, 28
	s_cbranch_scc0 .LBB126_3181
; %bb.3175:
	;; [unrolled: 3-line block ×4, first 2 shown]
	s_cmp_eq_u32 s0, 46
	s_mov_b32 s30, 0
	s_cbranch_scc0 .LBB126_3185
; %bb.3178:
	global_load_b32 v1, v[8:9], off
	s_mov_b32 s1, 0
	s_mov_b32 s28, -1
	s_wait_loadcnt 0x0
	v_lshlrev_b32_e32 v1, 16, v1
	s_delay_alu instid0(VALU_DEP_1) | instskip(NEXT) | instid1(VALU_DEP_1)
	v_trunc_f32_e32 v1, v1
	v_mul_f32_e64 v3, 0x2f800000, |v1|
	v_ashrrev_i32_e32 v16, 31, v1
	s_delay_alu instid0(VALU_DEP_2) | instskip(NEXT) | instid1(VALU_DEP_2)
	v_floor_f32_e32 v3, v3
	v_mov_b32_e32 v17, v16
	s_delay_alu instid0(VALU_DEP_2) | instskip(SKIP_1) | instid1(VALU_DEP_2)
	v_fma_f32 v5, 0xcf800000, v3, |v1|
	v_cvt_u32_f32_e32 v1, v3
	v_cvt_u32_f32_e32 v3, v5
	s_delay_alu instid0(VALU_DEP_2) | instskip(NEXT) | instid1(VALU_DEP_2)
	v_xor_b32_e32 v19, v1, v16
	v_xor_b32_e32 v18, v3, v16
	s_delay_alu instid0(VALU_DEP_1)
	v_sub_nc_u64_e32 v[16:17], v[18:19], v[16:17]
	s_branch .LBB126_3187
.LBB126_3179:
	s_mov_b32 s0, -1
	s_mov_b32 s28, 0
                                        ; implicit-def: $vgpr16_vgpr17
	s_branch .LBB126_3249
.LBB126_3180:
	s_mov_b32 s30, -1
	s_mov_b32 s28, 0
	s_mov_b32 s1, 0
                                        ; implicit-def: $vgpr16_vgpr17
	s_branch .LBB126_3214
.LBB126_3181:
	s_mov_b32 s30, -1
	s_mov_b32 s28, 0
	s_mov_b32 s1, 0
                                        ; implicit-def: $vgpr16_vgpr17
	s_branch .LBB126_3197
.LBB126_3182:
	s_mov_b32 s30, -1
	s_mov_b32 s28, 0
	s_mov_b32 s1, 0
                                        ; implicit-def: $vgpr16_vgpr17
	s_branch .LBB126_3192
.LBB126_3183:
	s_or_b32 s43, s43, exec_lo
	s_trap 2
	s_cbranch_execz .LBB126_3122
	s_branch .LBB126_3123
.LBB126_3184:
	s_mov_b32 s30, -1
	s_mov_b32 s28, 0
	s_mov_b32 s1, 0
	s_branch .LBB126_3186
.LBB126_3185:
	s_mov_b32 s1, -1
	s_mov_b32 s28, 0
.LBB126_3186:
                                        ; implicit-def: $vgpr16_vgpr17
.LBB126_3187:
	s_and_b32 vcc_lo, exec_lo, s30
	s_cbranch_vccz .LBB126_3191
; %bb.3188:
	s_cmp_eq_u32 s0, 44
	s_cbranch_scc0 .LBB126_3190
; %bb.3189:
	global_load_u8 v1, v[8:9], off
	s_mov_b32 s1, 0
	s_mov_b32 s28, -1
	s_wait_loadcnt 0x0
	v_lshlrev_b32_e32 v3, 23, v1
	v_cmp_ne_u32_e32 vcc_lo, 0, v1
	s_delay_alu instid0(VALU_DEP_2) | instskip(NEXT) | instid1(VALU_DEP_1)
	v_trunc_f32_e32 v3, v3
	v_mul_f32_e64 v5, 0x2f800000, |v3|
	v_ashrrev_i32_e32 v16, 31, v3
	s_delay_alu instid0(VALU_DEP_2) | instskip(NEXT) | instid1(VALU_DEP_2)
	v_floor_f32_e32 v5, v5
	v_mov_b32_e32 v17, v16
	s_delay_alu instid0(VALU_DEP_2) | instskip(SKIP_1) | instid1(VALU_DEP_2)
	v_fma_f32 v7, 0xcf800000, v5, |v3|
	v_cvt_u32_f32_e32 v3, v5
	v_cvt_u32_f32_e32 v5, v7
	s_delay_alu instid0(VALU_DEP_2) | instskip(NEXT) | instid1(VALU_DEP_2)
	v_xor_b32_e32 v19, v3, v16
	v_xor_b32_e32 v18, v5, v16
	s_delay_alu instid0(VALU_DEP_1) | instskip(NEXT) | instid1(VALU_DEP_1)
	v_sub_nc_u64_e32 v[16:17], v[18:19], v[16:17]
	v_dual_cndmask_b32 v17, 0, v17 :: v_dual_cndmask_b32 v16, 0, v16
	s_branch .LBB126_3191
.LBB126_3190:
	s_mov_b32 s1, -1
                                        ; implicit-def: $vgpr16_vgpr17
.LBB126_3191:
	s_mov_b32 s30, 0
.LBB126_3192:
	s_delay_alu instid0(SALU_CYCLE_1)
	s_and_b32 vcc_lo, exec_lo, s30
	s_cbranch_vccz .LBB126_3196
; %bb.3193:
	s_cmp_eq_u32 s0, 29
	s_cbranch_scc0 .LBB126_3195
; %bb.3194:
	global_load_b64 v[16:17], v[8:9], off
	s_mov_b32 s1, 0
	s_mov_b32 s28, -1
	s_branch .LBB126_3196
.LBB126_3195:
	s_mov_b32 s1, -1
                                        ; implicit-def: $vgpr16_vgpr17
.LBB126_3196:
	s_mov_b32 s30, 0
.LBB126_3197:
	s_delay_alu instid0(SALU_CYCLE_1)
	s_and_b32 vcc_lo, exec_lo, s30
	s_cbranch_vccz .LBB126_3213
; %bb.3198:
	s_cmp_lt_i32 s0, 27
	s_cbranch_scc1 .LBB126_3201
; %bb.3199:
	s_cmp_gt_i32 s0, 27
	s_cbranch_scc0 .LBB126_3202
; %bb.3200:
	s_wait_loadcnt 0x0
	global_load_b32 v16, v[8:9], off
	v_mov_b32_e32 v17, 0
	s_mov_b32 s28, 0
	s_branch .LBB126_3203
.LBB126_3201:
	s_mov_b32 s28, -1
                                        ; implicit-def: $vgpr16_vgpr17
	s_branch .LBB126_3206
.LBB126_3202:
	s_mov_b32 s28, -1
                                        ; implicit-def: $vgpr16_vgpr17
.LBB126_3203:
	s_delay_alu instid0(SALU_CYCLE_1)
	s_and_not1_b32 vcc_lo, exec_lo, s28
	s_cbranch_vccnz .LBB126_3205
; %bb.3204:
	global_load_u16 v1, v[8:9], off
	s_mov_b32 s28, 0
	s_wait_loadcnt 0x1
	v_mov_b32_e32 v17, s28
	s_wait_loadcnt 0x0
	v_and_b32_e32 v16, 0xffff, v1
.LBB126_3205:
	s_mov_b32 s28, 0
.LBB126_3206:
	s_delay_alu instid0(SALU_CYCLE_1)
	s_and_not1_b32 vcc_lo, exec_lo, s28
	s_cbranch_vccnz .LBB126_3212
; %bb.3207:
	global_load_u8 v1, v[8:9], off
	s_mov_b32 s30, 0
	s_mov_b32 s28, exec_lo
	s_wait_loadcnt 0x0
	v_cmpx_lt_i16_e32 0x7f, v1
	s_xor_b32 s28, exec_lo, s28
	s_cbranch_execz .LBB126_3224
; %bb.3208:
	v_cmp_ne_u16_e32 vcc_lo, 0x80, v1
	s_and_b32 s30, vcc_lo, exec_lo
	s_and_not1_saveexec_b32 s28, s28
	s_cbranch_execnz .LBB126_3225
.LBB126_3209:
	s_or_b32 exec_lo, exec_lo, s28
	v_mov_b64_e32 v[16:17], 0
	s_and_saveexec_b32 s28, s30
	s_cbranch_execz .LBB126_3211
.LBB126_3210:
	v_and_b32_e32 v3, 0xffff, v1
	s_delay_alu instid0(VALU_DEP_1) | instskip(SKIP_1) | instid1(VALU_DEP_2)
	v_dual_lshlrev_b32 v1, 24, v1 :: v_dual_bitop2_b32 v5, 7, v3 bitop3:0x40
	v_bfe_u32 v17, v3, 3, 4
	v_and_b32_e32 v1, 0x80000000, v1
	s_delay_alu instid0(VALU_DEP_3) | instskip(NEXT) | instid1(VALU_DEP_3)
	v_clz_i32_u32_e32 v7, v5
	v_cmp_eq_u32_e32 vcc_lo, 0, v17
	s_delay_alu instid0(VALU_DEP_2) | instskip(NEXT) | instid1(VALU_DEP_1)
	v_min_u32_e32 v7, 32, v7
	v_subrev_nc_u32_e32 v16, 28, v7
	v_sub_nc_u32_e32 v7, 29, v7
	s_delay_alu instid0(VALU_DEP_2) | instskip(NEXT) | instid1(VALU_DEP_2)
	v_lshlrev_b32_e32 v3, v16, v3
	v_cndmask_b32_e32 v7, v17, v7, vcc_lo
	s_delay_alu instid0(VALU_DEP_2) | instskip(NEXT) | instid1(VALU_DEP_1)
	v_and_b32_e32 v3, 7, v3
	v_cndmask_b32_e32 v3, v5, v3, vcc_lo
	s_delay_alu instid0(VALU_DEP_3) | instskip(NEXT) | instid1(VALU_DEP_2)
	v_lshl_add_u32 v5, v7, 23, 0x3b800000
	v_lshlrev_b32_e32 v3, 20, v3
	s_delay_alu instid0(VALU_DEP_1) | instskip(NEXT) | instid1(VALU_DEP_1)
	v_or3_b32 v1, v1, v5, v3
	v_trunc_f32_e32 v1, v1
	s_delay_alu instid0(VALU_DEP_1) | instskip(SKIP_1) | instid1(VALU_DEP_2)
	v_mul_f32_e64 v3, 0x2f800000, |v1|
	v_ashrrev_i32_e32 v16, 31, v1
	v_floor_f32_e32 v3, v3
	s_delay_alu instid0(VALU_DEP_2) | instskip(NEXT) | instid1(VALU_DEP_2)
	v_mov_b32_e32 v17, v16
	v_fma_f32 v5, 0xcf800000, v3, |v1|
	v_cvt_u32_f32_e32 v1, v3
	s_delay_alu instid0(VALU_DEP_2) | instskip(NEXT) | instid1(VALU_DEP_2)
	v_cvt_u32_f32_e32 v3, v5
	v_xor_b32_e32 v19, v1, v16
	s_delay_alu instid0(VALU_DEP_2) | instskip(NEXT) | instid1(VALU_DEP_1)
	v_xor_b32_e32 v18, v3, v16
	v_sub_nc_u64_e32 v[16:17], v[18:19], v[16:17]
.LBB126_3211:
	s_or_b32 exec_lo, exec_lo, s28
.LBB126_3212:
	s_mov_b32 s28, -1
.LBB126_3213:
	s_mov_b32 s30, 0
.LBB126_3214:
	s_delay_alu instid0(SALU_CYCLE_1)
	s_and_b32 vcc_lo, exec_lo, s30
	s_cbranch_vccz .LBB126_3245
; %bb.3215:
	s_cmp_gt_i32 s0, 22
	s_cbranch_scc0 .LBB126_3223
; %bb.3216:
	s_cmp_lt_i32 s0, 24
	s_cbranch_scc1 .LBB126_3226
; %bb.3217:
	s_cmp_gt_i32 s0, 24
	s_cbranch_scc0 .LBB126_3227
; %bb.3218:
	global_load_u8 v1, v[8:9], off
	s_mov_b32 s28, 0
	s_mov_b32 s27, exec_lo
	s_wait_loadcnt 0x0
	v_cmpx_lt_i16_e32 0x7f, v1
	s_xor_b32 s27, exec_lo, s27
	s_cbranch_execz .LBB126_3239
; %bb.3219:
	v_cmp_ne_u16_e32 vcc_lo, 0x80, v1
	s_and_b32 s28, vcc_lo, exec_lo
	s_and_not1_saveexec_b32 s27, s27
	s_cbranch_execnz .LBB126_3240
.LBB126_3220:
	s_or_b32 exec_lo, exec_lo, s27
	v_mov_b64_e32 v[16:17], 0
	s_and_saveexec_b32 s27, s28
	s_cbranch_execz .LBB126_3222
.LBB126_3221:
	v_and_b32_e32 v3, 0xffff, v1
	s_delay_alu instid0(VALU_DEP_1) | instskip(SKIP_1) | instid1(VALU_DEP_2)
	v_dual_lshlrev_b32 v1, 24, v1 :: v_dual_bitop2_b32 v5, 3, v3 bitop3:0x40
	v_bfe_u32 v17, v3, 2, 5
	v_and_b32_e32 v1, 0x80000000, v1
	s_delay_alu instid0(VALU_DEP_3) | instskip(NEXT) | instid1(VALU_DEP_3)
	v_clz_i32_u32_e32 v7, v5
	v_cmp_eq_u32_e32 vcc_lo, 0, v17
	s_delay_alu instid0(VALU_DEP_2) | instskip(NEXT) | instid1(VALU_DEP_1)
	v_min_u32_e32 v7, 32, v7
	v_subrev_nc_u32_e32 v16, 29, v7
	v_sub_nc_u32_e32 v7, 30, v7
	s_delay_alu instid0(VALU_DEP_2) | instskip(NEXT) | instid1(VALU_DEP_2)
	v_lshlrev_b32_e32 v3, v16, v3
	v_cndmask_b32_e32 v7, v17, v7, vcc_lo
	s_delay_alu instid0(VALU_DEP_2) | instskip(NEXT) | instid1(VALU_DEP_1)
	v_and_b32_e32 v3, 3, v3
	v_cndmask_b32_e32 v3, v5, v3, vcc_lo
	s_delay_alu instid0(VALU_DEP_3) | instskip(NEXT) | instid1(VALU_DEP_2)
	v_lshl_add_u32 v5, v7, 23, 0x37800000
	v_lshlrev_b32_e32 v3, 21, v3
	s_delay_alu instid0(VALU_DEP_1) | instskip(NEXT) | instid1(VALU_DEP_1)
	v_or3_b32 v1, v1, v5, v3
	v_trunc_f32_e32 v1, v1
	s_delay_alu instid0(VALU_DEP_1) | instskip(SKIP_1) | instid1(VALU_DEP_2)
	v_mul_f32_e64 v3, 0x2f800000, |v1|
	v_ashrrev_i32_e32 v16, 31, v1
	v_floor_f32_e32 v3, v3
	s_delay_alu instid0(VALU_DEP_2) | instskip(NEXT) | instid1(VALU_DEP_2)
	v_mov_b32_e32 v17, v16
	v_fma_f32 v5, 0xcf800000, v3, |v1|
	v_cvt_u32_f32_e32 v1, v3
	s_delay_alu instid0(VALU_DEP_2) | instskip(NEXT) | instid1(VALU_DEP_2)
	v_cvt_u32_f32_e32 v3, v5
	v_xor_b32_e32 v19, v1, v16
	s_delay_alu instid0(VALU_DEP_2) | instskip(NEXT) | instid1(VALU_DEP_1)
	v_xor_b32_e32 v18, v3, v16
	v_sub_nc_u64_e32 v[16:17], v[18:19], v[16:17]
.LBB126_3222:
	s_or_b32 exec_lo, exec_lo, s27
	s_mov_b32 s27, 0
	s_branch .LBB126_3228
.LBB126_3223:
	s_mov_b32 s27, -1
                                        ; implicit-def: $vgpr16_vgpr17
	s_branch .LBB126_3234
.LBB126_3224:
	s_and_not1_saveexec_b32 s28, s28
	s_cbranch_execz .LBB126_3209
.LBB126_3225:
	v_cmp_ne_u16_e32 vcc_lo, 0, v1
	s_and_not1_b32 s30, s30, exec_lo
	s_and_b32 s31, vcc_lo, exec_lo
	s_delay_alu instid0(SALU_CYCLE_1)
	s_or_b32 s30, s30, s31
	s_or_b32 exec_lo, exec_lo, s28
	v_mov_b64_e32 v[16:17], 0
	s_and_saveexec_b32 s28, s30
	s_cbranch_execnz .LBB126_3210
	s_branch .LBB126_3211
.LBB126_3226:
	s_mov_b32 s27, -1
                                        ; implicit-def: $vgpr16_vgpr17
	s_branch .LBB126_3231
.LBB126_3227:
	s_mov_b32 s27, -1
                                        ; implicit-def: $vgpr16_vgpr17
.LBB126_3228:
	s_delay_alu instid0(SALU_CYCLE_1)
	s_and_b32 vcc_lo, exec_lo, s27
	s_cbranch_vccz .LBB126_3230
; %bb.3229:
	global_load_u8 v1, v[8:9], off
	s_wait_loadcnt 0x0
	v_lshlrev_b32_e32 v1, 24, v1
	s_delay_alu instid0(VALU_DEP_1) | instskip(NEXT) | instid1(VALU_DEP_1)
	v_and_b32_e32 v3, 0x7f000000, v1
	v_clz_i32_u32_e32 v5, v3
	v_cmp_ne_u32_e32 vcc_lo, 0, v3
	v_add_nc_u32_e32 v16, 0x1000000, v3
	s_delay_alu instid0(VALU_DEP_3) | instskip(NEXT) | instid1(VALU_DEP_1)
	v_min_u32_e32 v5, 32, v5
	v_sub_nc_u32_e64 v5, v5, 4 clamp
	s_delay_alu instid0(VALU_DEP_1) | instskip(NEXT) | instid1(VALU_DEP_1)
	v_dual_lshlrev_b32 v7, v5, v3 :: v_dual_lshlrev_b32 v5, 23, v5
	v_lshrrev_b32_e32 v7, 4, v7
	s_delay_alu instid0(VALU_DEP_1) | instskip(NEXT) | instid1(VALU_DEP_1)
	v_dual_sub_nc_u32 v5, v7, v5 :: v_dual_ashrrev_i32 v7, 8, v16
	v_add_nc_u32_e32 v5, 0x3c000000, v5
	s_delay_alu instid0(VALU_DEP_1) | instskip(NEXT) | instid1(VALU_DEP_1)
	v_and_or_b32 v5, 0x7f800000, v7, v5
	v_cndmask_b32_e32 v3, 0, v5, vcc_lo
	s_delay_alu instid0(VALU_DEP_1) | instskip(NEXT) | instid1(VALU_DEP_1)
	v_and_or_b32 v1, 0x80000000, v1, v3
	v_trunc_f32_e32 v1, v1
	s_delay_alu instid0(VALU_DEP_1) | instskip(SKIP_1) | instid1(VALU_DEP_2)
	v_mul_f32_e64 v3, 0x2f800000, |v1|
	v_ashrrev_i32_e32 v16, 31, v1
	v_floor_f32_e32 v3, v3
	s_delay_alu instid0(VALU_DEP_1) | instskip(SKIP_1) | instid1(VALU_DEP_4)
	v_fma_f32 v5, 0xcf800000, v3, |v1|
	v_cvt_u32_f32_e32 v1, v3
	v_mov_b32_e32 v17, v16
	s_delay_alu instid0(VALU_DEP_3) | instskip(NEXT) | instid1(VALU_DEP_3)
	v_cvt_u32_f32_e32 v3, v5
	v_xor_b32_e32 v19, v1, v16
	s_delay_alu instid0(VALU_DEP_2) | instskip(NEXT) | instid1(VALU_DEP_1)
	v_xor_b32_e32 v18, v3, v16
	v_sub_nc_u64_e32 v[16:17], v[18:19], v[16:17]
.LBB126_3230:
	s_mov_b32 s27, 0
.LBB126_3231:
	s_delay_alu instid0(SALU_CYCLE_1)
	s_and_not1_b32 vcc_lo, exec_lo, s27
	s_cbranch_vccnz .LBB126_3233
; %bb.3232:
	global_load_u8 v1, v[8:9], off
	s_wait_loadcnt 0x0
	v_lshlrev_b32_e32 v3, 25, v1
	v_lshlrev_b16 v1, 8, v1
	s_delay_alu instid0(VALU_DEP_1) | instskip(SKIP_1) | instid1(VALU_DEP_2)
	v_and_or_b32 v7, 0x7f00, v1, 0.5
	v_bfe_i32 v1, v1, 0, 16
	v_add_f32_e32 v7, -0.5, v7
	v_lshrrev_b32_e32 v5, 4, v3
	v_cmp_gt_u32_e32 vcc_lo, 0x8000000, v3
	s_delay_alu instid0(VALU_DEP_2) | instskip(NEXT) | instid1(VALU_DEP_1)
	v_or_b32_e32 v5, 0x70000000, v5
	v_mul_f32_e32 v5, 0x7800000, v5
	s_delay_alu instid0(VALU_DEP_1) | instskip(NEXT) | instid1(VALU_DEP_1)
	v_cndmask_b32_e32 v3, v5, v7, vcc_lo
	v_and_or_b32 v1, 0x80000000, v1, v3
	s_delay_alu instid0(VALU_DEP_1) | instskip(NEXT) | instid1(VALU_DEP_1)
	v_trunc_f32_e32 v1, v1
	v_mul_f32_e64 v3, 0x2f800000, |v1|
	v_ashrrev_i32_e32 v16, 31, v1
	s_delay_alu instid0(VALU_DEP_2) | instskip(NEXT) | instid1(VALU_DEP_2)
	v_floor_f32_e32 v3, v3
	v_mov_b32_e32 v17, v16
	s_delay_alu instid0(VALU_DEP_2) | instskip(SKIP_1) | instid1(VALU_DEP_2)
	v_fma_f32 v5, 0xcf800000, v3, |v1|
	v_cvt_u32_f32_e32 v1, v3
	v_cvt_u32_f32_e32 v3, v5
	s_delay_alu instid0(VALU_DEP_2) | instskip(NEXT) | instid1(VALU_DEP_2)
	v_xor_b32_e32 v19, v1, v16
	v_xor_b32_e32 v18, v3, v16
	s_delay_alu instid0(VALU_DEP_1)
	v_sub_nc_u64_e32 v[16:17], v[18:19], v[16:17]
.LBB126_3233:
	s_mov_b32 s27, 0
	s_mov_b32 s28, -1
.LBB126_3234:
	s_and_not1_b32 vcc_lo, exec_lo, s27
	s_mov_b32 s27, 0
	s_cbranch_vccnz .LBB126_3245
; %bb.3235:
	s_cmp_gt_i32 s0, 14
	s_cbranch_scc0 .LBB126_3238
; %bb.3236:
	s_cmp_eq_u32 s0, 15
	s_cbranch_scc0 .LBB126_3241
; %bb.3237:
	global_load_u16 v1, v[8:9], off
	s_mov_b32 s1, 0
	s_mov_b32 s28, -1
	s_wait_loadcnt 0x0
	v_lshlrev_b32_e32 v1, 16, v1
	s_delay_alu instid0(VALU_DEP_1) | instskip(NEXT) | instid1(VALU_DEP_1)
	v_trunc_f32_e32 v1, v1
	v_mul_f32_e64 v3, 0x2f800000, |v1|
	v_ashrrev_i32_e32 v16, 31, v1
	s_delay_alu instid0(VALU_DEP_2) | instskip(NEXT) | instid1(VALU_DEP_2)
	v_floor_f32_e32 v3, v3
	v_mov_b32_e32 v17, v16
	s_delay_alu instid0(VALU_DEP_2) | instskip(SKIP_1) | instid1(VALU_DEP_2)
	v_fma_f32 v5, 0xcf800000, v3, |v1|
	v_cvt_u32_f32_e32 v1, v3
	v_cvt_u32_f32_e32 v3, v5
	s_delay_alu instid0(VALU_DEP_2) | instskip(NEXT) | instid1(VALU_DEP_2)
	v_xor_b32_e32 v19, v1, v16
	v_xor_b32_e32 v18, v3, v16
	s_delay_alu instid0(VALU_DEP_1)
	v_sub_nc_u64_e32 v[16:17], v[18:19], v[16:17]
	s_branch .LBB126_3243
.LBB126_3238:
	s_mov_b32 s27, -1
	s_branch .LBB126_3242
.LBB126_3239:
	s_and_not1_saveexec_b32 s27, s27
	s_cbranch_execz .LBB126_3220
.LBB126_3240:
	v_cmp_ne_u16_e32 vcc_lo, 0, v1
	s_and_not1_b32 s28, s28, exec_lo
	s_and_b32 s30, vcc_lo, exec_lo
	s_delay_alu instid0(SALU_CYCLE_1)
	s_or_b32 s28, s28, s30
	s_or_b32 exec_lo, exec_lo, s27
	v_mov_b64_e32 v[16:17], 0
	s_and_saveexec_b32 s27, s28
	s_cbranch_execnz .LBB126_3221
	s_branch .LBB126_3222
.LBB126_3241:
	s_mov_b32 s1, -1
.LBB126_3242:
                                        ; implicit-def: $vgpr16_vgpr17
.LBB126_3243:
	s_and_b32 vcc_lo, exec_lo, s27
	s_mov_b32 s27, 0
	s_cbranch_vccz .LBB126_3245
; %bb.3244:
	s_cmp_lg_u32 s0, 11
	s_mov_b32 s27, -1
	s_cselect_b32 s1, -1, 0
.LBB126_3245:
	s_delay_alu instid0(SALU_CYCLE_1)
	s_and_b32 vcc_lo, exec_lo, s1
	s_cbranch_vccnz .LBB126_3310
; %bb.3246:
	s_and_not1_b32 vcc_lo, exec_lo, s27
	s_cbranch_vccnz .LBB126_3248
.LBB126_3247:
	global_load_u8 v1, v[8:9], off
	s_mov_b32 s0, 0
	s_mov_b32 s28, -1
	s_wait_loadcnt 0x1
	v_mov_b32_e32 v17, s0
	s_wait_loadcnt 0x0
	v_cmp_ne_u16_e32 vcc_lo, 0, v1
	v_cndmask_b32_e64 v16, 0, 1, vcc_lo
.LBB126_3248:
	s_mov_b32 s0, 0
.LBB126_3249:
	s_delay_alu instid0(SALU_CYCLE_1)
	s_and_b32 vcc_lo, exec_lo, s0
	s_cbranch_vccz .LBB126_3298
; %bb.3250:
	s_and_b32 s0, 0xffff, s60
	s_delay_alu instid0(SALU_CYCLE_1)
	s_cmp_lt_i32 s0, 5
	s_cbranch_scc1 .LBB126_3255
; %bb.3251:
	s_cmp_lt_i32 s0, 8
	s_cbranch_scc1 .LBB126_3256
; %bb.3252:
	;; [unrolled: 3-line block ×3, first 2 shown]
	s_cmp_gt_i32 s0, 9
	s_cbranch_scc0 .LBB126_3258
; %bb.3254:
	s_wait_loadcnt 0x0
	global_load_b64 v[16:17], v[8:9], off
	s_mov_b32 s1, 0
	s_wait_loadcnt 0x0
	v_trunc_f64_e32 v[16:17], v[16:17]
	s_delay_alu instid0(VALU_DEP_1) | instskip(NEXT) | instid1(VALU_DEP_1)
	v_ldexp_f64 v[18:19], v[16:17], 0xffffffe0
	v_floor_f64_e32 v[18:19], v[18:19]
	s_delay_alu instid0(VALU_DEP_1) | instskip(SKIP_1) | instid1(VALU_DEP_2)
	v_fmamk_f64 v[20:21], v[18:19], 0xc1f00000, v[16:17]
	v_cvt_i32_f64_e32 v17, v[18:19]
	v_cvt_u32_f64_e32 v16, v[20:21]
	s_branch .LBB126_3259
.LBB126_3255:
	s_mov_b32 s1, -1
                                        ; implicit-def: $vgpr16_vgpr17
	s_branch .LBB126_3277
.LBB126_3256:
	s_mov_b32 s1, -1
                                        ; implicit-def: $vgpr16_vgpr17
	s_branch .LBB126_3265
.LBB126_3257:
	s_mov_b32 s1, -1
                                        ; implicit-def: $vgpr16_vgpr17
	s_branch .LBB126_3262
.LBB126_3258:
	s_mov_b32 s1, -1
                                        ; implicit-def: $vgpr16_vgpr17
.LBB126_3259:
	s_delay_alu instid0(SALU_CYCLE_1)
	s_and_not1_b32 vcc_lo, exec_lo, s1
	s_cbranch_vccnz .LBB126_3261
; %bb.3260:
	global_load_b32 v1, v[8:9], off
	s_wait_loadcnt 0x0
	v_trunc_f32_e32 v1, v1
	s_delay_alu instid0(VALU_DEP_1) | instskip(SKIP_1) | instid1(VALU_DEP_2)
	v_mul_f32_e64 v3, 0x2f800000, |v1|
	v_ashrrev_i32_e32 v16, 31, v1
	v_floor_f32_e32 v3, v3
	s_delay_alu instid0(VALU_DEP_1) | instskip(SKIP_1) | instid1(VALU_DEP_4)
	v_fma_f32 v5, 0xcf800000, v3, |v1|
	v_cvt_u32_f32_e32 v1, v3
	v_mov_b32_e32 v17, v16
	s_delay_alu instid0(VALU_DEP_3) | instskip(NEXT) | instid1(VALU_DEP_3)
	v_cvt_u32_f32_e32 v3, v5
	v_xor_b32_e32 v19, v1, v16
	s_delay_alu instid0(VALU_DEP_2) | instskip(NEXT) | instid1(VALU_DEP_1)
	v_xor_b32_e32 v18, v3, v16
	v_sub_nc_u64_e32 v[16:17], v[18:19], v[16:17]
.LBB126_3261:
	s_mov_b32 s1, 0
.LBB126_3262:
	s_delay_alu instid0(SALU_CYCLE_1)
	s_and_not1_b32 vcc_lo, exec_lo, s1
	s_cbranch_vccnz .LBB126_3264
; %bb.3263:
	global_load_b32 v1, v[8:9], off
	s_wait_loadcnt 0x0
	v_cvt_f32_f16_e32 v1, v1
	s_delay_alu instid0(VALU_DEP_1) | instskip(NEXT) | instid1(VALU_DEP_1)
	v_cvt_i32_f32_e32 v16, v1
	v_ashrrev_i32_e32 v17, 31, v16
.LBB126_3264:
	s_mov_b32 s1, 0
.LBB126_3265:
	s_delay_alu instid0(SALU_CYCLE_1)
	s_and_not1_b32 vcc_lo, exec_lo, s1
	s_cbranch_vccnz .LBB126_3276
; %bb.3266:
	s_cmp_lt_i32 s0, 6
	s_cbranch_scc1 .LBB126_3269
; %bb.3267:
	s_cmp_gt_i32 s0, 6
	s_cbranch_scc0 .LBB126_3270
; %bb.3268:
	s_wait_loadcnt 0x0
	global_load_b64 v[16:17], v[8:9], off
	s_mov_b32 s1, 0
	s_wait_loadcnt 0x0
	v_trunc_f64_e32 v[16:17], v[16:17]
	s_delay_alu instid0(VALU_DEP_1) | instskip(NEXT) | instid1(VALU_DEP_1)
	v_ldexp_f64 v[18:19], v[16:17], 0xffffffe0
	v_floor_f64_e32 v[18:19], v[18:19]
	s_delay_alu instid0(VALU_DEP_1) | instskip(SKIP_1) | instid1(VALU_DEP_2)
	v_fmamk_f64 v[20:21], v[18:19], 0xc1f00000, v[16:17]
	v_cvt_i32_f64_e32 v17, v[18:19]
	v_cvt_u32_f64_e32 v16, v[20:21]
	s_branch .LBB126_3271
.LBB126_3269:
	s_mov_b32 s1, -1
                                        ; implicit-def: $vgpr16_vgpr17
	s_branch .LBB126_3274
.LBB126_3270:
	s_mov_b32 s1, -1
                                        ; implicit-def: $vgpr16_vgpr17
.LBB126_3271:
	s_delay_alu instid0(SALU_CYCLE_1)
	s_and_not1_b32 vcc_lo, exec_lo, s1
	s_cbranch_vccnz .LBB126_3273
; %bb.3272:
	global_load_b32 v1, v[8:9], off
	s_wait_loadcnt 0x0
	v_trunc_f32_e32 v1, v1
	s_delay_alu instid0(VALU_DEP_1) | instskip(SKIP_1) | instid1(VALU_DEP_2)
	v_mul_f32_e64 v3, 0x2f800000, |v1|
	v_ashrrev_i32_e32 v16, 31, v1
	v_floor_f32_e32 v3, v3
	s_delay_alu instid0(VALU_DEP_1) | instskip(SKIP_1) | instid1(VALU_DEP_4)
	v_fma_f32 v5, 0xcf800000, v3, |v1|
	v_cvt_u32_f32_e32 v1, v3
	v_mov_b32_e32 v17, v16
	s_delay_alu instid0(VALU_DEP_3) | instskip(NEXT) | instid1(VALU_DEP_3)
	v_cvt_u32_f32_e32 v3, v5
	v_xor_b32_e32 v19, v1, v16
	s_delay_alu instid0(VALU_DEP_2) | instskip(NEXT) | instid1(VALU_DEP_1)
	v_xor_b32_e32 v18, v3, v16
	v_sub_nc_u64_e32 v[16:17], v[18:19], v[16:17]
.LBB126_3273:
	s_mov_b32 s1, 0
.LBB126_3274:
	s_delay_alu instid0(SALU_CYCLE_1)
	s_and_not1_b32 vcc_lo, exec_lo, s1
	s_cbranch_vccnz .LBB126_3276
; %bb.3275:
	global_load_u16 v1, v[8:9], off
	s_wait_loadcnt 0x0
	v_cvt_f32_f16_e32 v1, v1
	s_delay_alu instid0(VALU_DEP_1) | instskip(NEXT) | instid1(VALU_DEP_1)
	v_cvt_i32_f32_e32 v16, v1
	v_ashrrev_i32_e32 v17, 31, v16
.LBB126_3276:
	s_mov_b32 s1, 0
.LBB126_3277:
	s_delay_alu instid0(SALU_CYCLE_1)
	s_and_not1_b32 vcc_lo, exec_lo, s1
	s_cbranch_vccnz .LBB126_3297
; %bb.3278:
	s_cmp_lt_i32 s0, 2
	s_cbranch_scc1 .LBB126_3282
; %bb.3279:
	s_cmp_lt_i32 s0, 3
	s_cbranch_scc1 .LBB126_3283
; %bb.3280:
	s_cmp_gt_i32 s0, 3
	s_cbranch_scc0 .LBB126_3284
; %bb.3281:
	s_wait_loadcnt 0x0
	global_load_b64 v[16:17], v[8:9], off
	s_mov_b32 s1, 0
	s_branch .LBB126_3285
.LBB126_3282:
	s_mov_b32 s1, -1
                                        ; implicit-def: $vgpr16_vgpr17
	s_branch .LBB126_3291
.LBB126_3283:
	s_mov_b32 s1, -1
                                        ; implicit-def: $vgpr16_vgpr17
	s_branch .LBB126_3288
.LBB126_3284:
	s_mov_b32 s1, -1
                                        ; implicit-def: $vgpr16_vgpr17
.LBB126_3285:
	s_delay_alu instid0(SALU_CYCLE_1)
	s_and_not1_b32 vcc_lo, exec_lo, s1
	s_cbranch_vccnz .LBB126_3287
; %bb.3286:
	s_wait_loadcnt 0x0
	global_load_b32 v16, v[8:9], off
	s_wait_loadcnt 0x0
	v_ashrrev_i32_e32 v17, 31, v16
.LBB126_3287:
	s_mov_b32 s1, 0
.LBB126_3288:
	s_delay_alu instid0(SALU_CYCLE_1)
	s_and_not1_b32 vcc_lo, exec_lo, s1
	s_cbranch_vccnz .LBB126_3290
; %bb.3289:
	global_load_u16 v1, v[8:9], off
	s_wait_loadcnt 0x0
	v_bfe_i32 v16, v1, 0, 16
	s_delay_alu instid0(VALU_DEP_1)
	v_ashrrev_i32_e32 v17, 31, v16
.LBB126_3290:
	s_mov_b32 s1, 0
.LBB126_3291:
	s_delay_alu instid0(SALU_CYCLE_1)
	s_and_not1_b32 vcc_lo, exec_lo, s1
	s_cbranch_vccnz .LBB126_3297
; %bb.3292:
	s_cmp_gt_i32 s0, 0
	s_mov_b32 s0, 0
	s_cbranch_scc0 .LBB126_3294
; %bb.3293:
	global_load_i8 v1, v[8:9], off
	s_wait_loadcnt 0x0
	v_bfe_i32 v16, v1, 0, 16
	s_delay_alu instid0(VALU_DEP_1)
	v_ashrrev_i32_e32 v17, 31, v16
	s_branch .LBB126_3295
.LBB126_3294:
	s_mov_b32 s0, -1
                                        ; implicit-def: $vgpr16_vgpr17
.LBB126_3295:
	s_delay_alu instid0(SALU_CYCLE_1)
	s_and_not1_b32 vcc_lo, exec_lo, s0
	s_cbranch_vccnz .LBB126_3297
; %bb.3296:
	global_load_u8 v1, v[8:9], off
	s_mov_b32 s0, 0
	s_wait_loadcnt 0x1
	v_mov_b32_e32 v17, s0
	s_wait_loadcnt 0x0
	v_and_b32_e32 v16, 0xffff, v1
.LBB126_3297:
	s_mov_b32 s28, -1
.LBB126_3298:
	s_delay_alu instid0(SALU_CYCLE_1)
	s_and_not1_b32 vcc_lo, exec_lo, s28
	s_cbranch_vccnz .LBB126_3434
; %bb.3299:
	s_wait_xcnt 0x0
	v_mul_lo_u32 v8, s3, v22
	s_and_b32 s61, s29, 0xff
	s_delay_alu instid0(SALU_CYCLE_1) | instskip(NEXT) | instid1(VALU_DEP_1)
	s_cmp_lt_i32 s61, 11
	v_ashrrev_i32_e32 v9, 31, v8
	s_delay_alu instid0(VALU_DEP_1)
	v_add_nc_u64_e32 v[18:19], s[14:15], v[8:9]
	s_cbranch_scc1 .LBB126_3306
; %bb.3300:
	s_and_b32 s0, 0xffff, s61
	s_mov_b32 s27, 0
	s_cmp_gt_i32 s0, 25
	s_cbranch_scc0 .LBB126_3307
; %bb.3301:
	s_cmp_gt_i32 s0, 28
	s_cbranch_scc0 .LBB126_3308
; %bb.3302:
	;; [unrolled: 3-line block ×4, first 2 shown]
	s_cmp_eq_u32 s0, 46
	s_mov_b32 s29, 0
	s_cbranch_scc0 .LBB126_3312
; %bb.3305:
	global_load_b32 v1, v[18:19], off
	s_mov_b32 s1, 0
	s_mov_b32 s28, -1
	s_wait_loadcnt 0x0
	v_lshlrev_b32_e32 v1, 16, v1
	s_delay_alu instid0(VALU_DEP_1) | instskip(NEXT) | instid1(VALU_DEP_1)
	v_trunc_f32_e32 v1, v1
	v_mul_f32_e64 v3, 0x2f800000, |v1|
	v_ashrrev_i32_e32 v20, 31, v1
	s_delay_alu instid0(VALU_DEP_2) | instskip(NEXT) | instid1(VALU_DEP_2)
	v_floor_f32_e32 v3, v3
	v_mov_b32_e32 v21, v20
	s_delay_alu instid0(VALU_DEP_2) | instskip(SKIP_1) | instid1(VALU_DEP_2)
	v_fma_f32 v5, 0xcf800000, v3, |v1|
	v_cvt_u32_f32_e32 v1, v3
	v_cvt_u32_f32_e32 v3, v5
	s_delay_alu instid0(VALU_DEP_2) | instskip(NEXT) | instid1(VALU_DEP_2)
	v_xor_b32_e32 v25, v1, v20
	v_xor_b32_e32 v24, v3, v20
	s_delay_alu instid0(VALU_DEP_1)
	v_sub_nc_u64_e32 v[20:21], v[24:25], v[20:21]
	s_branch .LBB126_3314
.LBB126_3306:
	s_mov_b32 s0, -1
	s_mov_b32 s28, 0
                                        ; implicit-def: $vgpr20_vgpr21
	s_branch .LBB126_3376
.LBB126_3307:
	s_mov_b32 s29, -1
	s_mov_b32 s28, 0
	s_mov_b32 s1, 0
                                        ; implicit-def: $vgpr20_vgpr21
	s_branch .LBB126_3341
.LBB126_3308:
	s_mov_b32 s29, -1
	s_mov_b32 s28, 0
	s_mov_b32 s1, 0
                                        ; implicit-def: $vgpr20_vgpr21
	s_branch .LBB126_3324
.LBB126_3309:
	s_mov_b32 s29, -1
	s_mov_b32 s28, 0
	s_mov_b32 s1, 0
                                        ; implicit-def: $vgpr20_vgpr21
	s_branch .LBB126_3319
.LBB126_3310:
	s_or_b32 s43, s43, exec_lo
	s_trap 2
	s_cbranch_execz .LBB126_3247
	s_branch .LBB126_3248
.LBB126_3311:
	s_mov_b32 s29, -1
	s_mov_b32 s28, 0
	s_mov_b32 s1, 0
	s_branch .LBB126_3313
.LBB126_3312:
	s_mov_b32 s1, -1
	s_mov_b32 s28, 0
.LBB126_3313:
                                        ; implicit-def: $vgpr20_vgpr21
.LBB126_3314:
	s_and_b32 vcc_lo, exec_lo, s29
	s_cbranch_vccz .LBB126_3318
; %bb.3315:
	s_cmp_eq_u32 s0, 44
	s_cbranch_scc0 .LBB126_3317
; %bb.3316:
	global_load_u8 v1, v[18:19], off
	s_mov_b32 s1, 0
	s_mov_b32 s28, -1
	s_wait_loadcnt 0x0
	v_lshlrev_b32_e32 v3, 23, v1
	v_cmp_ne_u32_e32 vcc_lo, 0, v1
	s_delay_alu instid0(VALU_DEP_2) | instskip(NEXT) | instid1(VALU_DEP_1)
	v_trunc_f32_e32 v3, v3
	v_mul_f32_e64 v5, 0x2f800000, |v3|
	v_ashrrev_i32_e32 v20, 31, v3
	s_delay_alu instid0(VALU_DEP_2) | instskip(NEXT) | instid1(VALU_DEP_2)
	v_floor_f32_e32 v5, v5
	v_mov_b32_e32 v21, v20
	s_delay_alu instid0(VALU_DEP_2) | instskip(SKIP_1) | instid1(VALU_DEP_2)
	v_fma_f32 v7, 0xcf800000, v5, |v3|
	v_cvt_u32_f32_e32 v3, v5
	v_cvt_u32_f32_e32 v5, v7
	s_delay_alu instid0(VALU_DEP_2) | instskip(NEXT) | instid1(VALU_DEP_2)
	v_xor_b32_e32 v25, v3, v20
	v_xor_b32_e32 v24, v5, v20
	s_delay_alu instid0(VALU_DEP_1) | instskip(NEXT) | instid1(VALU_DEP_1)
	v_sub_nc_u64_e32 v[20:21], v[24:25], v[20:21]
	v_dual_cndmask_b32 v21, 0, v21 :: v_dual_cndmask_b32 v20, 0, v20
	s_branch .LBB126_3318
.LBB126_3317:
	s_mov_b32 s1, -1
                                        ; implicit-def: $vgpr20_vgpr21
.LBB126_3318:
	s_mov_b32 s29, 0
.LBB126_3319:
	s_delay_alu instid0(SALU_CYCLE_1)
	s_and_b32 vcc_lo, exec_lo, s29
	s_cbranch_vccz .LBB126_3323
; %bb.3320:
	s_cmp_eq_u32 s0, 29
	s_cbranch_scc0 .LBB126_3322
; %bb.3321:
	global_load_b64 v[20:21], v[18:19], off
	s_mov_b32 s1, 0
	s_mov_b32 s28, -1
	s_branch .LBB126_3323
.LBB126_3322:
	s_mov_b32 s1, -1
                                        ; implicit-def: $vgpr20_vgpr21
.LBB126_3323:
	s_mov_b32 s29, 0
.LBB126_3324:
	s_delay_alu instid0(SALU_CYCLE_1)
	s_and_b32 vcc_lo, exec_lo, s29
	s_cbranch_vccz .LBB126_3340
; %bb.3325:
	s_cmp_lt_i32 s0, 27
	s_cbranch_scc1 .LBB126_3328
; %bb.3326:
	s_cmp_gt_i32 s0, 27
	s_cbranch_scc0 .LBB126_3329
; %bb.3327:
	s_wait_loadcnt 0x0
	global_load_b32 v20, v[18:19], off
	v_mov_b32_e32 v21, 0
	s_mov_b32 s28, 0
	s_branch .LBB126_3330
.LBB126_3328:
	s_mov_b32 s28, -1
                                        ; implicit-def: $vgpr20_vgpr21
	s_branch .LBB126_3333
.LBB126_3329:
	s_mov_b32 s28, -1
                                        ; implicit-def: $vgpr20_vgpr21
.LBB126_3330:
	s_delay_alu instid0(SALU_CYCLE_1)
	s_and_not1_b32 vcc_lo, exec_lo, s28
	s_cbranch_vccnz .LBB126_3332
; %bb.3331:
	global_load_u16 v1, v[18:19], off
	s_mov_b32 s28, 0
	s_wait_loadcnt 0x1
	v_mov_b32_e32 v21, s28
	s_wait_loadcnt 0x0
	v_and_b32_e32 v20, 0xffff, v1
.LBB126_3332:
	s_mov_b32 s28, 0
.LBB126_3333:
	s_delay_alu instid0(SALU_CYCLE_1)
	s_and_not1_b32 vcc_lo, exec_lo, s28
	s_cbranch_vccnz .LBB126_3339
; %bb.3334:
	global_load_u8 v1, v[18:19], off
	s_mov_b32 s29, 0
	s_mov_b32 s28, exec_lo
	s_wait_loadcnt 0x0
	v_cmpx_lt_i16_e32 0x7f, v1
	s_xor_b32 s28, exec_lo, s28
	s_cbranch_execz .LBB126_3351
; %bb.3335:
	v_cmp_ne_u16_e32 vcc_lo, 0x80, v1
	s_and_b32 s29, vcc_lo, exec_lo
	s_and_not1_saveexec_b32 s28, s28
	s_cbranch_execnz .LBB126_3352
.LBB126_3336:
	s_or_b32 exec_lo, exec_lo, s28
	v_mov_b64_e32 v[20:21], 0
	s_and_saveexec_b32 s28, s29
	s_cbranch_execz .LBB126_3338
.LBB126_3337:
	v_and_b32_e32 v3, 0xffff, v1
	s_delay_alu instid0(VALU_DEP_1) | instskip(SKIP_1) | instid1(VALU_DEP_2)
	v_dual_lshlrev_b32 v1, 24, v1 :: v_dual_bitop2_b32 v5, 7, v3 bitop3:0x40
	v_bfe_u32 v20, v3, 3, 4
	v_and_b32_e32 v1, 0x80000000, v1
	s_delay_alu instid0(VALU_DEP_3) | instskip(NEXT) | instid1(VALU_DEP_3)
	v_clz_i32_u32_e32 v7, v5
	v_cmp_eq_u32_e32 vcc_lo, 0, v20
	s_delay_alu instid0(VALU_DEP_2) | instskip(NEXT) | instid1(VALU_DEP_1)
	v_min_u32_e32 v7, 32, v7
	v_subrev_nc_u32_e32 v9, 28, v7
	v_sub_nc_u32_e32 v7, 29, v7
	s_delay_alu instid0(VALU_DEP_2) | instskip(NEXT) | instid1(VALU_DEP_2)
	v_lshlrev_b32_e32 v3, v9, v3
	v_cndmask_b32_e32 v7, v20, v7, vcc_lo
	s_delay_alu instid0(VALU_DEP_2) | instskip(NEXT) | instid1(VALU_DEP_1)
	v_and_b32_e32 v3, 7, v3
	v_cndmask_b32_e32 v3, v5, v3, vcc_lo
	s_delay_alu instid0(VALU_DEP_3) | instskip(NEXT) | instid1(VALU_DEP_2)
	v_lshl_add_u32 v5, v7, 23, 0x3b800000
	v_lshlrev_b32_e32 v3, 20, v3
	s_delay_alu instid0(VALU_DEP_1) | instskip(NEXT) | instid1(VALU_DEP_1)
	v_or3_b32 v1, v1, v5, v3
	v_trunc_f32_e32 v1, v1
	s_delay_alu instid0(VALU_DEP_1) | instskip(SKIP_1) | instid1(VALU_DEP_2)
	v_mul_f32_e64 v3, 0x2f800000, |v1|
	v_ashrrev_i32_e32 v20, 31, v1
	v_floor_f32_e32 v3, v3
	s_delay_alu instid0(VALU_DEP_2) | instskip(NEXT) | instid1(VALU_DEP_2)
	v_mov_b32_e32 v21, v20
	v_fma_f32 v5, 0xcf800000, v3, |v1|
	v_cvt_u32_f32_e32 v1, v3
	s_delay_alu instid0(VALU_DEP_2) | instskip(NEXT) | instid1(VALU_DEP_2)
	v_cvt_u32_f32_e32 v3, v5
	v_xor_b32_e32 v25, v1, v20
	s_delay_alu instid0(VALU_DEP_2) | instskip(NEXT) | instid1(VALU_DEP_1)
	v_xor_b32_e32 v24, v3, v20
	v_sub_nc_u64_e32 v[20:21], v[24:25], v[20:21]
.LBB126_3338:
	s_or_b32 exec_lo, exec_lo, s28
.LBB126_3339:
	s_mov_b32 s28, -1
.LBB126_3340:
	s_mov_b32 s29, 0
.LBB126_3341:
	s_delay_alu instid0(SALU_CYCLE_1)
	s_and_b32 vcc_lo, exec_lo, s29
	s_cbranch_vccz .LBB126_3372
; %bb.3342:
	s_cmp_gt_i32 s0, 22
	s_cbranch_scc0 .LBB126_3350
; %bb.3343:
	s_cmp_lt_i32 s0, 24
	s_cbranch_scc1 .LBB126_3353
; %bb.3344:
	s_cmp_gt_i32 s0, 24
	s_cbranch_scc0 .LBB126_3354
; %bb.3345:
	global_load_u8 v1, v[18:19], off
	s_mov_b32 s28, 0
	s_mov_b32 s27, exec_lo
	s_wait_loadcnt 0x0
	v_cmpx_lt_i16_e32 0x7f, v1
	s_xor_b32 s27, exec_lo, s27
	s_cbranch_execz .LBB126_3366
; %bb.3346:
	v_cmp_ne_u16_e32 vcc_lo, 0x80, v1
	s_and_b32 s28, vcc_lo, exec_lo
	s_and_not1_saveexec_b32 s27, s27
	s_cbranch_execnz .LBB126_3367
.LBB126_3347:
	s_or_b32 exec_lo, exec_lo, s27
	v_mov_b64_e32 v[20:21], 0
	s_and_saveexec_b32 s27, s28
	s_cbranch_execz .LBB126_3349
.LBB126_3348:
	v_and_b32_e32 v3, 0xffff, v1
	s_delay_alu instid0(VALU_DEP_1) | instskip(SKIP_1) | instid1(VALU_DEP_2)
	v_dual_lshlrev_b32 v1, 24, v1 :: v_dual_bitop2_b32 v5, 3, v3 bitop3:0x40
	v_bfe_u32 v20, v3, 2, 5
	v_and_b32_e32 v1, 0x80000000, v1
	s_delay_alu instid0(VALU_DEP_3) | instskip(NEXT) | instid1(VALU_DEP_3)
	v_clz_i32_u32_e32 v7, v5
	v_cmp_eq_u32_e32 vcc_lo, 0, v20
	s_delay_alu instid0(VALU_DEP_2) | instskip(NEXT) | instid1(VALU_DEP_1)
	v_min_u32_e32 v7, 32, v7
	v_subrev_nc_u32_e32 v9, 29, v7
	v_sub_nc_u32_e32 v7, 30, v7
	s_delay_alu instid0(VALU_DEP_2) | instskip(NEXT) | instid1(VALU_DEP_2)
	v_lshlrev_b32_e32 v3, v9, v3
	v_cndmask_b32_e32 v7, v20, v7, vcc_lo
	s_delay_alu instid0(VALU_DEP_2) | instskip(NEXT) | instid1(VALU_DEP_1)
	v_and_b32_e32 v3, 3, v3
	v_cndmask_b32_e32 v3, v5, v3, vcc_lo
	s_delay_alu instid0(VALU_DEP_3) | instskip(NEXT) | instid1(VALU_DEP_2)
	v_lshl_add_u32 v5, v7, 23, 0x37800000
	v_lshlrev_b32_e32 v3, 21, v3
	s_delay_alu instid0(VALU_DEP_1) | instskip(NEXT) | instid1(VALU_DEP_1)
	v_or3_b32 v1, v1, v5, v3
	v_trunc_f32_e32 v1, v1
	s_delay_alu instid0(VALU_DEP_1) | instskip(SKIP_1) | instid1(VALU_DEP_2)
	v_mul_f32_e64 v3, 0x2f800000, |v1|
	v_ashrrev_i32_e32 v20, 31, v1
	v_floor_f32_e32 v3, v3
	s_delay_alu instid0(VALU_DEP_2) | instskip(NEXT) | instid1(VALU_DEP_2)
	v_mov_b32_e32 v21, v20
	v_fma_f32 v5, 0xcf800000, v3, |v1|
	v_cvt_u32_f32_e32 v1, v3
	s_delay_alu instid0(VALU_DEP_2) | instskip(NEXT) | instid1(VALU_DEP_2)
	v_cvt_u32_f32_e32 v3, v5
	v_xor_b32_e32 v25, v1, v20
	s_delay_alu instid0(VALU_DEP_2) | instskip(NEXT) | instid1(VALU_DEP_1)
	v_xor_b32_e32 v24, v3, v20
	v_sub_nc_u64_e32 v[20:21], v[24:25], v[20:21]
.LBB126_3349:
	s_or_b32 exec_lo, exec_lo, s27
	s_mov_b32 s27, 0
	s_branch .LBB126_3355
.LBB126_3350:
	s_mov_b32 s27, -1
                                        ; implicit-def: $vgpr20_vgpr21
	s_branch .LBB126_3361
.LBB126_3351:
	s_and_not1_saveexec_b32 s28, s28
	s_cbranch_execz .LBB126_3336
.LBB126_3352:
	v_cmp_ne_u16_e32 vcc_lo, 0, v1
	s_and_not1_b32 s29, s29, exec_lo
	s_and_b32 s30, vcc_lo, exec_lo
	s_delay_alu instid0(SALU_CYCLE_1)
	s_or_b32 s29, s29, s30
	s_or_b32 exec_lo, exec_lo, s28
	v_mov_b64_e32 v[20:21], 0
	s_and_saveexec_b32 s28, s29
	s_cbranch_execnz .LBB126_3337
	s_branch .LBB126_3338
.LBB126_3353:
	s_mov_b32 s27, -1
                                        ; implicit-def: $vgpr20_vgpr21
	s_branch .LBB126_3358
.LBB126_3354:
	s_mov_b32 s27, -1
                                        ; implicit-def: $vgpr20_vgpr21
.LBB126_3355:
	s_delay_alu instid0(SALU_CYCLE_1)
	s_and_b32 vcc_lo, exec_lo, s27
	s_cbranch_vccz .LBB126_3357
; %bb.3356:
	global_load_u8 v1, v[18:19], off
	s_wait_loadcnt 0x0
	v_lshlrev_b32_e32 v1, 24, v1
	s_delay_alu instid0(VALU_DEP_1) | instskip(NEXT) | instid1(VALU_DEP_1)
	v_and_b32_e32 v3, 0x7f000000, v1
	v_clz_i32_u32_e32 v5, v3
	v_add_nc_u32_e32 v9, 0x1000000, v3
	v_cmp_ne_u32_e32 vcc_lo, 0, v3
	s_delay_alu instid0(VALU_DEP_3) | instskip(NEXT) | instid1(VALU_DEP_1)
	v_min_u32_e32 v5, 32, v5
	v_sub_nc_u32_e64 v5, v5, 4 clamp
	s_delay_alu instid0(VALU_DEP_1) | instskip(NEXT) | instid1(VALU_DEP_1)
	v_dual_lshlrev_b32 v7, v5, v3 :: v_dual_lshlrev_b32 v5, 23, v5
	v_lshrrev_b32_e32 v7, 4, v7
	s_delay_alu instid0(VALU_DEP_1) | instskip(SKIP_1) | instid1(VALU_DEP_2)
	v_sub_nc_u32_e32 v5, v7, v5
	v_ashrrev_i32_e32 v7, 8, v9
	v_add_nc_u32_e32 v5, 0x3c000000, v5
	s_delay_alu instid0(VALU_DEP_1) | instskip(NEXT) | instid1(VALU_DEP_1)
	v_and_or_b32 v5, 0x7f800000, v7, v5
	v_cndmask_b32_e32 v3, 0, v5, vcc_lo
	s_delay_alu instid0(VALU_DEP_1) | instskip(NEXT) | instid1(VALU_DEP_1)
	v_and_or_b32 v1, 0x80000000, v1, v3
	v_trunc_f32_e32 v1, v1
	s_delay_alu instid0(VALU_DEP_1) | instskip(SKIP_1) | instid1(VALU_DEP_2)
	v_mul_f32_e64 v3, 0x2f800000, |v1|
	v_ashrrev_i32_e32 v20, 31, v1
	v_floor_f32_e32 v3, v3
	s_delay_alu instid0(VALU_DEP_2) | instskip(NEXT) | instid1(VALU_DEP_2)
	v_mov_b32_e32 v21, v20
	v_fma_f32 v5, 0xcf800000, v3, |v1|
	v_cvt_u32_f32_e32 v1, v3
	s_delay_alu instid0(VALU_DEP_2) | instskip(NEXT) | instid1(VALU_DEP_2)
	v_cvt_u32_f32_e32 v3, v5
	v_xor_b32_e32 v25, v1, v20
	s_delay_alu instid0(VALU_DEP_2) | instskip(NEXT) | instid1(VALU_DEP_1)
	v_xor_b32_e32 v24, v3, v20
	v_sub_nc_u64_e32 v[20:21], v[24:25], v[20:21]
.LBB126_3357:
	s_mov_b32 s27, 0
.LBB126_3358:
	s_delay_alu instid0(SALU_CYCLE_1)
	s_and_not1_b32 vcc_lo, exec_lo, s27
	s_cbranch_vccnz .LBB126_3360
; %bb.3359:
	global_load_u8 v1, v[18:19], off
	s_wait_loadcnt 0x0
	v_lshlrev_b32_e32 v3, 25, v1
	v_lshlrev_b16 v1, 8, v1
	s_delay_alu instid0(VALU_DEP_1) | instskip(SKIP_1) | instid1(VALU_DEP_2)
	v_and_or_b32 v7, 0x7f00, v1, 0.5
	v_bfe_i32 v1, v1, 0, 16
	v_add_f32_e32 v7, -0.5, v7
	v_lshrrev_b32_e32 v5, 4, v3
	v_cmp_gt_u32_e32 vcc_lo, 0x8000000, v3
	s_delay_alu instid0(VALU_DEP_2) | instskip(NEXT) | instid1(VALU_DEP_1)
	v_or_b32_e32 v5, 0x70000000, v5
	v_mul_f32_e32 v5, 0x7800000, v5
	s_delay_alu instid0(VALU_DEP_1) | instskip(NEXT) | instid1(VALU_DEP_1)
	v_cndmask_b32_e32 v3, v5, v7, vcc_lo
	v_and_or_b32 v1, 0x80000000, v1, v3
	s_delay_alu instid0(VALU_DEP_1) | instskip(NEXT) | instid1(VALU_DEP_1)
	v_trunc_f32_e32 v1, v1
	v_mul_f32_e64 v3, 0x2f800000, |v1|
	v_ashrrev_i32_e32 v20, 31, v1
	s_delay_alu instid0(VALU_DEP_2) | instskip(NEXT) | instid1(VALU_DEP_2)
	v_floor_f32_e32 v3, v3
	v_mov_b32_e32 v21, v20
	s_delay_alu instid0(VALU_DEP_2) | instskip(SKIP_1) | instid1(VALU_DEP_2)
	v_fma_f32 v5, 0xcf800000, v3, |v1|
	v_cvt_u32_f32_e32 v1, v3
	v_cvt_u32_f32_e32 v3, v5
	s_delay_alu instid0(VALU_DEP_2) | instskip(NEXT) | instid1(VALU_DEP_2)
	v_xor_b32_e32 v25, v1, v20
	v_xor_b32_e32 v24, v3, v20
	s_delay_alu instid0(VALU_DEP_1)
	v_sub_nc_u64_e32 v[20:21], v[24:25], v[20:21]
.LBB126_3360:
	s_mov_b32 s27, 0
	s_mov_b32 s28, -1
.LBB126_3361:
	s_and_not1_b32 vcc_lo, exec_lo, s27
	s_mov_b32 s27, 0
	s_cbranch_vccnz .LBB126_3372
; %bb.3362:
	s_cmp_gt_i32 s0, 14
	s_cbranch_scc0 .LBB126_3365
; %bb.3363:
	s_cmp_eq_u32 s0, 15
	s_cbranch_scc0 .LBB126_3368
; %bb.3364:
	global_load_u16 v1, v[18:19], off
	s_mov_b32 s1, 0
	s_mov_b32 s28, -1
	s_wait_loadcnt 0x0
	v_lshlrev_b32_e32 v1, 16, v1
	s_delay_alu instid0(VALU_DEP_1) | instskip(NEXT) | instid1(VALU_DEP_1)
	v_trunc_f32_e32 v1, v1
	v_mul_f32_e64 v3, 0x2f800000, |v1|
	v_ashrrev_i32_e32 v20, 31, v1
	s_delay_alu instid0(VALU_DEP_2) | instskip(NEXT) | instid1(VALU_DEP_2)
	v_floor_f32_e32 v3, v3
	v_mov_b32_e32 v21, v20
	s_delay_alu instid0(VALU_DEP_2) | instskip(SKIP_1) | instid1(VALU_DEP_2)
	v_fma_f32 v5, 0xcf800000, v3, |v1|
	v_cvt_u32_f32_e32 v1, v3
	v_cvt_u32_f32_e32 v3, v5
	s_delay_alu instid0(VALU_DEP_2) | instskip(NEXT) | instid1(VALU_DEP_2)
	v_xor_b32_e32 v25, v1, v20
	v_xor_b32_e32 v24, v3, v20
	s_delay_alu instid0(VALU_DEP_1)
	v_sub_nc_u64_e32 v[20:21], v[24:25], v[20:21]
	s_branch .LBB126_3370
.LBB126_3365:
	s_mov_b32 s27, -1
	s_branch .LBB126_3369
.LBB126_3366:
	s_and_not1_saveexec_b32 s27, s27
	s_cbranch_execz .LBB126_3347
.LBB126_3367:
	v_cmp_ne_u16_e32 vcc_lo, 0, v1
	s_and_not1_b32 s28, s28, exec_lo
	s_and_b32 s29, vcc_lo, exec_lo
	s_delay_alu instid0(SALU_CYCLE_1)
	s_or_b32 s28, s28, s29
	s_or_b32 exec_lo, exec_lo, s27
	v_mov_b64_e32 v[20:21], 0
	s_and_saveexec_b32 s27, s28
	s_cbranch_execnz .LBB126_3348
	s_branch .LBB126_3349
.LBB126_3368:
	s_mov_b32 s1, -1
.LBB126_3369:
                                        ; implicit-def: $vgpr20_vgpr21
.LBB126_3370:
	s_and_b32 vcc_lo, exec_lo, s27
	s_mov_b32 s27, 0
	s_cbranch_vccz .LBB126_3372
; %bb.3371:
	s_cmp_lg_u32 s0, 11
	s_mov_b32 s27, -1
	s_cselect_b32 s1, -1, 0
.LBB126_3372:
	s_delay_alu instid0(SALU_CYCLE_1)
	s_and_b32 vcc_lo, exec_lo, s1
	s_cbranch_vccnz .LBB126_3499
; %bb.3373:
	s_and_not1_b32 vcc_lo, exec_lo, s27
	s_cbranch_vccnz .LBB126_3375
.LBB126_3374:
	global_load_u8 v1, v[18:19], off
	s_mov_b32 s0, 0
	s_mov_b32 s28, -1
	s_wait_loadcnt 0x1
	v_mov_b32_e32 v21, s0
	s_wait_loadcnt 0x0
	v_cmp_ne_u16_e32 vcc_lo, 0, v1
	v_cndmask_b32_e64 v20, 0, 1, vcc_lo
.LBB126_3375:
	s_mov_b32 s0, 0
.LBB126_3376:
	s_delay_alu instid0(SALU_CYCLE_1)
	s_and_b32 vcc_lo, exec_lo, s0
	s_cbranch_vccz .LBB126_3425
; %bb.3377:
	s_and_b32 s0, 0xffff, s61
	s_delay_alu instid0(SALU_CYCLE_1)
	s_cmp_lt_i32 s0, 5
	s_cbranch_scc1 .LBB126_3382
; %bb.3378:
	s_cmp_lt_i32 s0, 8
	s_cbranch_scc1 .LBB126_3383
; %bb.3379:
	s_cmp_lt_i32 s0, 9
	s_cbranch_scc1 .LBB126_3384
; %bb.3380:
	s_cmp_gt_i32 s0, 9
	s_cbranch_scc0 .LBB126_3385
; %bb.3381:
	s_wait_loadcnt 0x0
	global_load_b64 v[20:21], v[18:19], off
	s_mov_b32 s1, 0
	s_wait_loadcnt 0x0
	v_trunc_f64_e32 v[20:21], v[20:21]
	s_delay_alu instid0(VALU_DEP_1) | instskip(NEXT) | instid1(VALU_DEP_1)
	v_ldexp_f64 v[24:25], v[20:21], 0xffffffe0
	v_floor_f64_e32 v[24:25], v[24:25]
	s_delay_alu instid0(VALU_DEP_1) | instskip(SKIP_1) | instid1(VALU_DEP_2)
	v_fmamk_f64 v[26:27], v[24:25], 0xc1f00000, v[20:21]
	v_cvt_i32_f64_e32 v21, v[24:25]
	v_cvt_u32_f64_e32 v20, v[26:27]
	s_branch .LBB126_3386
.LBB126_3382:
	s_mov_b32 s1, -1
                                        ; implicit-def: $vgpr20_vgpr21
	s_branch .LBB126_3404
.LBB126_3383:
	s_mov_b32 s1, -1
                                        ; implicit-def: $vgpr20_vgpr21
	s_branch .LBB126_3392
.LBB126_3384:
	s_mov_b32 s1, -1
                                        ; implicit-def: $vgpr20_vgpr21
	s_branch .LBB126_3389
.LBB126_3385:
	s_mov_b32 s1, -1
                                        ; implicit-def: $vgpr20_vgpr21
.LBB126_3386:
	s_delay_alu instid0(SALU_CYCLE_1)
	s_and_not1_b32 vcc_lo, exec_lo, s1
	s_cbranch_vccnz .LBB126_3388
; %bb.3387:
	global_load_b32 v1, v[18:19], off
	s_wait_loadcnt 0x0
	v_trunc_f32_e32 v1, v1
	s_delay_alu instid0(VALU_DEP_1) | instskip(SKIP_1) | instid1(VALU_DEP_2)
	v_mul_f32_e64 v3, 0x2f800000, |v1|
	v_ashrrev_i32_e32 v20, 31, v1
	v_floor_f32_e32 v3, v3
	s_delay_alu instid0(VALU_DEP_1) | instskip(SKIP_1) | instid1(VALU_DEP_4)
	v_fma_f32 v5, 0xcf800000, v3, |v1|
	v_cvt_u32_f32_e32 v1, v3
	v_mov_b32_e32 v21, v20
	s_delay_alu instid0(VALU_DEP_3) | instskip(NEXT) | instid1(VALU_DEP_3)
	v_cvt_u32_f32_e32 v3, v5
	v_xor_b32_e32 v25, v1, v20
	s_delay_alu instid0(VALU_DEP_2) | instskip(NEXT) | instid1(VALU_DEP_1)
	v_xor_b32_e32 v24, v3, v20
	v_sub_nc_u64_e32 v[20:21], v[24:25], v[20:21]
.LBB126_3388:
	s_mov_b32 s1, 0
.LBB126_3389:
	s_delay_alu instid0(SALU_CYCLE_1)
	s_and_not1_b32 vcc_lo, exec_lo, s1
	s_cbranch_vccnz .LBB126_3391
; %bb.3390:
	global_load_b32 v1, v[18:19], off
	s_wait_loadcnt 0x0
	v_cvt_f32_f16_e32 v1, v1
	s_delay_alu instid0(VALU_DEP_1) | instskip(NEXT) | instid1(VALU_DEP_1)
	v_cvt_i32_f32_e32 v20, v1
	v_ashrrev_i32_e32 v21, 31, v20
.LBB126_3391:
	s_mov_b32 s1, 0
.LBB126_3392:
	s_delay_alu instid0(SALU_CYCLE_1)
	s_and_not1_b32 vcc_lo, exec_lo, s1
	s_cbranch_vccnz .LBB126_3403
; %bb.3393:
	s_cmp_lt_i32 s0, 6
	s_cbranch_scc1 .LBB126_3396
; %bb.3394:
	s_cmp_gt_i32 s0, 6
	s_cbranch_scc0 .LBB126_3397
; %bb.3395:
	s_wait_loadcnt 0x0
	global_load_b64 v[20:21], v[18:19], off
	s_mov_b32 s1, 0
	s_wait_loadcnt 0x0
	v_trunc_f64_e32 v[20:21], v[20:21]
	s_delay_alu instid0(VALU_DEP_1) | instskip(NEXT) | instid1(VALU_DEP_1)
	v_ldexp_f64 v[24:25], v[20:21], 0xffffffe0
	v_floor_f64_e32 v[24:25], v[24:25]
	s_delay_alu instid0(VALU_DEP_1) | instskip(SKIP_1) | instid1(VALU_DEP_2)
	v_fmamk_f64 v[26:27], v[24:25], 0xc1f00000, v[20:21]
	v_cvt_i32_f64_e32 v21, v[24:25]
	v_cvt_u32_f64_e32 v20, v[26:27]
	s_branch .LBB126_3398
.LBB126_3396:
	s_mov_b32 s1, -1
                                        ; implicit-def: $vgpr20_vgpr21
	s_branch .LBB126_3401
.LBB126_3397:
	s_mov_b32 s1, -1
                                        ; implicit-def: $vgpr20_vgpr21
.LBB126_3398:
	s_delay_alu instid0(SALU_CYCLE_1)
	s_and_not1_b32 vcc_lo, exec_lo, s1
	s_cbranch_vccnz .LBB126_3400
; %bb.3399:
	global_load_b32 v1, v[18:19], off
	s_wait_loadcnt 0x0
	v_trunc_f32_e32 v1, v1
	s_delay_alu instid0(VALU_DEP_1) | instskip(SKIP_1) | instid1(VALU_DEP_2)
	v_mul_f32_e64 v3, 0x2f800000, |v1|
	v_ashrrev_i32_e32 v20, 31, v1
	v_floor_f32_e32 v3, v3
	s_delay_alu instid0(VALU_DEP_1) | instskip(SKIP_1) | instid1(VALU_DEP_4)
	v_fma_f32 v5, 0xcf800000, v3, |v1|
	v_cvt_u32_f32_e32 v1, v3
	v_mov_b32_e32 v21, v20
	s_delay_alu instid0(VALU_DEP_3) | instskip(NEXT) | instid1(VALU_DEP_3)
	v_cvt_u32_f32_e32 v3, v5
	v_xor_b32_e32 v25, v1, v20
	s_delay_alu instid0(VALU_DEP_2) | instskip(NEXT) | instid1(VALU_DEP_1)
	v_xor_b32_e32 v24, v3, v20
	v_sub_nc_u64_e32 v[20:21], v[24:25], v[20:21]
.LBB126_3400:
	s_mov_b32 s1, 0
.LBB126_3401:
	s_delay_alu instid0(SALU_CYCLE_1)
	s_and_not1_b32 vcc_lo, exec_lo, s1
	s_cbranch_vccnz .LBB126_3403
; %bb.3402:
	global_load_u16 v1, v[18:19], off
	s_wait_loadcnt 0x0
	v_cvt_f32_f16_e32 v1, v1
	s_delay_alu instid0(VALU_DEP_1) | instskip(NEXT) | instid1(VALU_DEP_1)
	v_cvt_i32_f32_e32 v20, v1
	v_ashrrev_i32_e32 v21, 31, v20
.LBB126_3403:
	s_mov_b32 s1, 0
.LBB126_3404:
	s_delay_alu instid0(SALU_CYCLE_1)
	s_and_not1_b32 vcc_lo, exec_lo, s1
	s_cbranch_vccnz .LBB126_3424
; %bb.3405:
	s_cmp_lt_i32 s0, 2
	s_cbranch_scc1 .LBB126_3409
; %bb.3406:
	s_cmp_lt_i32 s0, 3
	s_cbranch_scc1 .LBB126_3410
; %bb.3407:
	s_cmp_gt_i32 s0, 3
	s_cbranch_scc0 .LBB126_3411
; %bb.3408:
	s_wait_loadcnt 0x0
	global_load_b64 v[20:21], v[18:19], off
	s_mov_b32 s1, 0
	s_branch .LBB126_3412
.LBB126_3409:
	s_mov_b32 s1, -1
                                        ; implicit-def: $vgpr20_vgpr21
	s_branch .LBB126_3418
.LBB126_3410:
	s_mov_b32 s1, -1
                                        ; implicit-def: $vgpr20_vgpr21
	s_branch .LBB126_3415
.LBB126_3411:
	s_mov_b32 s1, -1
                                        ; implicit-def: $vgpr20_vgpr21
.LBB126_3412:
	s_delay_alu instid0(SALU_CYCLE_1)
	s_and_not1_b32 vcc_lo, exec_lo, s1
	s_cbranch_vccnz .LBB126_3414
; %bb.3413:
	s_wait_loadcnt 0x0
	global_load_b32 v20, v[18:19], off
	s_wait_loadcnt 0x0
	v_ashrrev_i32_e32 v21, 31, v20
.LBB126_3414:
	s_mov_b32 s1, 0
.LBB126_3415:
	s_delay_alu instid0(SALU_CYCLE_1)
	s_and_not1_b32 vcc_lo, exec_lo, s1
	s_cbranch_vccnz .LBB126_3417
; %bb.3416:
	global_load_u16 v1, v[18:19], off
	s_wait_loadcnt 0x0
	v_bfe_i32 v20, v1, 0, 16
	s_delay_alu instid0(VALU_DEP_1)
	v_ashrrev_i32_e32 v21, 31, v20
.LBB126_3417:
	s_mov_b32 s1, 0
.LBB126_3418:
	s_delay_alu instid0(SALU_CYCLE_1)
	s_and_not1_b32 vcc_lo, exec_lo, s1
	s_cbranch_vccnz .LBB126_3424
; %bb.3419:
	s_cmp_gt_i32 s0, 0
	s_mov_b32 s0, 0
	s_cbranch_scc0 .LBB126_3421
; %bb.3420:
	global_load_i8 v1, v[18:19], off
	s_wait_loadcnt 0x0
	v_bfe_i32 v20, v1, 0, 16
	s_delay_alu instid0(VALU_DEP_1)
	v_ashrrev_i32_e32 v21, 31, v20
	s_branch .LBB126_3422
.LBB126_3421:
	s_mov_b32 s0, -1
                                        ; implicit-def: $vgpr20_vgpr21
.LBB126_3422:
	s_delay_alu instid0(SALU_CYCLE_1)
	s_and_not1_b32 vcc_lo, exec_lo, s0
	s_cbranch_vccnz .LBB126_3424
; %bb.3423:
	global_load_u8 v1, v[18:19], off
	s_mov_b32 s0, 0
	s_wait_loadcnt 0x1
	v_mov_b32_e32 v21, s0
	s_wait_loadcnt 0x0
	v_and_b32_e32 v20, 0xffff, v1
.LBB126_3424:
	s_mov_b32 s28, -1
.LBB126_3425:
	s_delay_alu instid0(SALU_CYCLE_1)
	s_and_not1_b32 vcc_lo, exec_lo, s28
	s_cbranch_vccnz .LBB126_3434
; %bb.3426:
	s_wait_loadcnt 0x0
	v_cmp_ne_u64_e32 vcc_lo, s[36:37], v[10:11]
	s_get_pc_i64 s[0:1]
	s_add_nc_u64 s[0:1], s[0:1], .str.6@rel64+4
	s_delay_alu instid0(SALU_CYCLE_1) | instskip(SKIP_1) | instid1(SALU_CYCLE_1)
	s_cmp_eq_u64 s[0:1], 0
	s_cselect_b32 s0, -1, 0
	s_or_b32 s0, s0, vcc_lo
	s_wait_xcnt 0x0
	s_and_saveexec_b32 s1, s0
	s_delay_alu instid0(SALU_CYCLE_1)
	s_xor_b32 s0, exec_lo, s1
	s_cbranch_execnz .LBB126_3809
.LBB126_3427:
	s_or_saveexec_b32 s27, s0
	s_mov_b32 s1, 0
	s_mov_b32 s28, 0
                                        ; implicit-def: $sgpr0
                                        ; implicit-def: $vgpr10_vgpr11
	s_xor_b32 exec_lo, exec_lo, s27
	s_cbranch_execz .LBB126_4323
; %bb.3428:
	v_cmp_ne_u64_e32 vcc_lo, s[40:41], v[12:13]
	s_get_pc_i64 s[0:1]
	s_add_nc_u64 s[0:1], s[0:1], .str.7@rel64+4
	s_mov_b32 s33, s43
	s_cmp_eq_u64 s[0:1], 0
	s_cselect_b32 s0, -1, 0
	s_delay_alu instid0(SALU_CYCLE_1) | instskip(NEXT) | instid1(SALU_CYCLE_1)
	s_or_b32 s0, s0, vcc_lo
	s_and_saveexec_b32 s1, s0
	s_delay_alu instid0(SALU_CYCLE_1)
	s_xor_b32 s0, exec_lo, s1
	s_cbranch_execnz .LBB126_3938
; %bb.3429:
	s_or_saveexec_b32 s54, s0
	s_mov_b32 s1, 0
                                        ; implicit-def: $sgpr0
                                        ; implicit-def: $vgpr10_vgpr11
	s_xor_b32 exec_lo, exec_lo, s54
	s_cbranch_execz .LBB126_4322
.LBB126_3430:
	v_sub_nc_u64_e32 v[10:11], v[16:17], v[14:15]
	s_get_pc_i64 s[28:29]
	s_add_nc_u64 s[28:29], s[28:29], .str.8@rel64+4
	s_mov_b32 s55, s33
	s_delay_alu instid0(VALU_DEP_1) | instskip(SKIP_4) | instid1(SALU_CYCLE_1)
	v_cmp_gt_i64_e32 vcc_lo, s[36:37], v[10:11]
	v_cmp_lt_i64_e64 s0, s[38:39], v[10:11]
	s_or_b32 s0, vcc_lo, s0
	s_cmp_eq_u64 s[28:29], 0
	s_cselect_b32 s1, -1, 0
	s_or_b32 s0, s1, s0
	s_delay_alu instid0(SALU_CYCLE_1) | instskip(NEXT) | instid1(SALU_CYCLE_1)
	s_and_saveexec_b32 s1, s0
	s_xor_b32 s0, exec_lo, s1
	s_cbranch_execnz .LBB126_4067
.LBB126_3431:
	s_or_saveexec_b32 s56, s0
	s_mov_b32 s1, 0
	s_mov_b32 s28, 0
                                        ; implicit-def: $sgpr0
                                        ; implicit-def: $vgpr10_vgpr11
	s_xor_b32 exec_lo, exec_lo, s56
	s_cbranch_execz .LBB126_4321
; %bb.3432:
	v_cmp_gt_i64_e64 s0, s[40:41], 0
	s_add_co_i32 s28, s42, -1
	v_mov_b64_e32 v[10:11], 0
	s_cmp_gt_i32 s28, -1
	s_cselect_b32 s1, -1, 0
	s_delay_alu instid0(SALU_CYCLE_1) | instskip(NEXT) | instid1(SALU_CYCLE_1)
	s_and_b32 s0, s1, s0
	v_cndmask_b32_e64 v23, 0, 1, s0
	s_delay_alu instid0(VALU_DEP_1)
	v_cmp_ne_u32_e32 vcc_lo, 1, v23
	s_cbranch_vccnz .LBB126_3484
; %bb.3433:
	v_mul_u64_e32 v[18:19], s[40:41], v[20:21]
	s_mov_b32 s1, 0
	v_mov_b64_e32 v[10:11], 0
	s_mov_b32 s29, s1
	v_mov_b32_e32 v12, 0
	s_lshl_b64 s[44:45], s[28:29], 3
	s_mov_b64 s[30:31], 0xffffffff
	s_add_nc_u64 s[34:35], s[20:21], s[44:45]
	s_add_nc_u64 s[44:45], s[22:23], s[44:45]
	s_mov_b32 s29, s42
	s_branch .LBB126_3480
.LBB126_3434:
	s_mov_b32 s1, 0
	s_mov_b32 s28, 0
                                        ; implicit-def: $sgpr0
                                        ; implicit-def: $vgpr10_vgpr11
.LBB126_3435:
	s_and_not1_b32 s2, s52, exec_lo
	s_and_b32 s3, s43, exec_lo
	s_and_b32 s30, s28, exec_lo
	;; [unrolled: 1-line block ×3, first 2 shown]
	s_or_b32 s52, s2, s3
.LBB126_3436:
	s_wait_xcnt 0x0
	s_or_b32 exec_lo, exec_lo, s53
	s_and_saveexec_b32 s1, s52
	s_cbranch_execz .LBB126_3439
; %bb.3437:
	; divergent unreachable
	s_or_b32 exec_lo, exec_lo, s1
	s_and_saveexec_b32 s1, s43
	s_delay_alu instid0(SALU_CYCLE_1)
	s_xor_b32 s1, exec_lo, s1
	s_cbranch_execnz .LBB126_3440
.LBB126_3438:
	s_or_b32 exec_lo, exec_lo, s1
	s_and_saveexec_b32 s1, s30
	s_cbranch_execnz .LBB126_3441
	s_branch .LBB126_3478
.LBB126_3439:
	s_or_b32 exec_lo, exec_lo, s1
	s_and_saveexec_b32 s1, s43
	s_delay_alu instid0(SALU_CYCLE_1)
	s_xor_b32 s1, exec_lo, s1
	s_cbranch_execz .LBB126_3438
.LBB126_3440:
	s_wait_loadcnt 0x0
	v_mov_b32_e32 v0, 0
	global_store_b8 v[10:11], v0, off
	s_wait_xcnt 0x0
	s_or_b32 exec_lo, exec_lo, s1
	s_and_saveexec_b32 s1, s30
	s_cbranch_execz .LBB126_3478
.LBB126_3441:
	s_sext_i32_i16 s2, s0
	s_mov_b32 s1, -1
	s_cmp_lt_i32 s2, 5
	s_cbranch_scc1 .LBB126_3462
; %bb.3442:
	s_cmp_lt_i32 s2, 8
	s_cbranch_scc1 .LBB126_3452
; %bb.3443:
	;; [unrolled: 3-line block ×3, first 2 shown]
	s_cmp_gt_i32 s2, 9
	s_cbranch_scc0 .LBB126_3446
; %bb.3445:
	s_wait_loadcnt 0x0
	v_mov_b32_e32 v0, 0
	s_mov_b32 s1, 0
	s_delay_alu instid0(VALU_DEP_1)
	v_dual_mov_b32 v1, v0 :: v_dual_mov_b32 v2, v0
	v_mov_b32_e32 v3, v0
	global_store_b128 v[10:11], v[0:3], off
.LBB126_3446:
	s_and_not1_b32 vcc_lo, exec_lo, s1
	s_cbranch_vccnz .LBB126_3448
; %bb.3447:
	s_wait_loadcnt 0x0
	v_mov_b64_e32 v[0:1], 0
	global_store_b64 v[10:11], v[0:1], off
.LBB126_3448:
	s_mov_b32 s1, 0
.LBB126_3449:
	s_delay_alu instid0(SALU_CYCLE_1)
	s_and_not1_b32 vcc_lo, exec_lo, s1
	s_cbranch_vccnz .LBB126_3451
; %bb.3450:
	s_wait_loadcnt 0x0
	v_mov_b32_e32 v0, 0
	global_store_b32 v[10:11], v0, off
.LBB126_3451:
	s_mov_b32 s1, 0
.LBB126_3452:
	s_delay_alu instid0(SALU_CYCLE_1)
	s_and_not1_b32 vcc_lo, exec_lo, s1
	s_cbranch_vccnz .LBB126_3461
; %bb.3453:
	s_sext_i32_i16 s2, s0
	s_mov_b32 s1, -1
	s_cmp_lt_i32 s2, 6
	s_cbranch_scc1 .LBB126_3459
; %bb.3454:
	s_cmp_gt_i32 s2, 6
	s_cbranch_scc0 .LBB126_3456
; %bb.3455:
	s_wait_loadcnt 0x0
	v_mov_b64_e32 v[0:1], 0
	s_mov_b32 s1, 0
	global_store_b64 v[10:11], v[0:1], off
.LBB126_3456:
	s_and_not1_b32 vcc_lo, exec_lo, s1
	s_cbranch_vccnz .LBB126_3458
; %bb.3457:
	s_wait_loadcnt 0x0
	v_mov_b32_e32 v0, 0
	global_store_b32 v[10:11], v0, off
.LBB126_3458:
	s_mov_b32 s1, 0
.LBB126_3459:
	s_delay_alu instid0(SALU_CYCLE_1)
	s_and_not1_b32 vcc_lo, exec_lo, s1
	s_cbranch_vccnz .LBB126_3461
; %bb.3460:
	s_wait_loadcnt 0x0
	v_mov_b32_e32 v0, 0
	global_store_b16 v[10:11], v0, off
.LBB126_3461:
	s_mov_b32 s1, 0
.LBB126_3462:
	s_delay_alu instid0(SALU_CYCLE_1)
	s_and_not1_b32 vcc_lo, exec_lo, s1
	s_cbranch_vccnz .LBB126_3478
; %bb.3463:
	s_sext_i32_i16 s2, s0
	s_mov_b32 s1, -1
	s_cmp_lt_i32 s2, 2
	s_cbranch_scc1 .LBB126_3473
; %bb.3464:
	s_cmp_lt_i32 s2, 3
	s_cbranch_scc1 .LBB126_3470
; %bb.3465:
	s_cmp_gt_i32 s2, 3
	s_cbranch_scc0 .LBB126_3467
; %bb.3466:
	s_wait_loadcnt 0x0
	v_mov_b64_e32 v[0:1], 0
	s_mov_b32 s1, 0
	global_store_b64 v[10:11], v[0:1], off
.LBB126_3467:
	s_and_not1_b32 vcc_lo, exec_lo, s1
	s_cbranch_vccnz .LBB126_3469
; %bb.3468:
	s_wait_loadcnt 0x0
	v_mov_b32_e32 v0, 0
	global_store_b32 v[10:11], v0, off
.LBB126_3469:
	s_mov_b32 s1, 0
.LBB126_3470:
	s_delay_alu instid0(SALU_CYCLE_1)
	s_and_not1_b32 vcc_lo, exec_lo, s1
	s_cbranch_vccnz .LBB126_3472
; %bb.3471:
	s_wait_loadcnt 0x0
	v_mov_b32_e32 v0, 0
	global_store_b16 v[10:11], v0, off
.LBB126_3472:
	s_mov_b32 s1, 0
.LBB126_3473:
	s_delay_alu instid0(SALU_CYCLE_1)
	s_and_not1_b32 vcc_lo, exec_lo, s1
	s_cbranch_vccnz .LBB126_3478
; %bb.3474:
	s_sext_i32_i16 s0, s0
	s_delay_alu instid0(SALU_CYCLE_1)
	s_cmp_gt_i32 s0, 0
	s_mov_b32 s0, -1
	s_cbranch_scc0 .LBB126_3476
; %bb.3475:
	s_wait_loadcnt 0x0
	v_mov_b32_e32 v0, 0
	s_mov_b32 s0, 0
	global_store_b8 v[10:11], v0, off
.LBB126_3476:
	s_and_not1_b32 vcc_lo, exec_lo, s0
	s_cbranch_vccnz .LBB126_3478
; %bb.3477:
	s_wait_loadcnt 0x0
	v_mov_b32_e32 v0, 0
	global_store_b8 v[10:11], v0, off
	s_endpgm
.LBB126_3478:
	s_endpgm
.LBB126_3479:                           ;   in Loop: Header=BB126_3480 Depth=1
	s_or_b32 exec_lo, exec_lo, s0
	global_load_b64 v[24:25], v12, s[44:45]
	v_mul_u64_e32 v[26:27], s[46:47], v[20:21]
	s_add_co_i32 s29, s29, -1
	s_add_nc_u64 s[34:35], s[34:35], -8
	s_cmp_eq_u32 s29, 0
	s_wait_xcnt 0x0
	s_add_nc_u64 s[44:45], s[44:45], -8
	s_delay_alu instid0(VALU_DEP_1) | instskip(SKIP_1) | instid1(VALU_DEP_1)
	v_sub_nc_u64_e32 v[18:19], v[18:19], v[26:27]
	s_wait_loadcnt 0x0
	v_mad_nc_u64_u32 v[10:11], v18, v24, v[10:11]
	s_delay_alu instid0(VALU_DEP_1) | instskip(NEXT) | instid1(VALU_DEP_1)
	v_mad_u32 v1, v19, v24, v11
	v_mad_u32 v11, v18, v25, v1
	v_mov_b64_e32 v[18:19], v[20:21]
	s_cbranch_scc1 .LBB126_3484
.LBB126_3480:                           ; =>This Inner Loop Header: Depth=1
	global_load_b64 v[20:21], v12, s[34:35]
	s_mov_b32 s0, exec_lo
	s_wait_loadcnt 0x0
	v_or_b32_e32 v13, v19, v21
	v_readfirstlane_b32 s46, v20
	v_readfirstlane_b32 s47, v21
                                        ; implicit-def: $vgpr20_vgpr21
	s_wait_xcnt 0x0
	s_delay_alu instid0(VALU_DEP_3)
	v_cmpx_ne_u64_e32 0, v[12:13]
	s_xor_b32 s62, exec_lo, s0
	s_cbranch_execz .LBB126_3482
; %bb.3481:                             ;   in Loop: Header=BB126_3480 Depth=1
	s_ashr_i32 s48, s47, 31
	v_dual_mov_b32 v27, v12 :: v_dual_ashrrev_i32 v20, 31, v19
	s_mov_b32 s49, s48
	v_mov_b32_e32 v31, v12
	s_add_nc_u64 s[50:51], s[46:47], s[48:49]
	s_delay_alu instid0(VALU_DEP_2)
	v_mov_b32_e32 v21, v20
	s_xor_b64 s[50:51], s[50:51], s[48:49]
	v_mov_b32_e32 v35, v12
	s_cvt_f32_u32 s0, s50
	s_cvt_f32_u32 s49, s51
	s_sub_nc_u64 s[66:67], 0, s[50:51]
	v_add_nc_u64_e32 v[24:25], v[18:19], v[20:21]
	s_delay_alu instid0(SALU_CYCLE_1) | instskip(NEXT) | instid1(SALU_CYCLE_3)
	s_fmamk_f32 s0, s49, 0x4f800000, s0
	v_s_rcp_f32 s0, s0
	s_delay_alu instid0(VALU_DEP_1) | instskip(NEXT) | instid1(VALU_DEP_2)
	v_xor_b32_e32 v30, v25, v20
	v_xor_b32_e32 v26, v24, v20
	;; [unrolled: 1-line block ×3, first 2 shown]
	s_delay_alu instid0(TRANS32_DEP_1) | instskip(NEXT) | instid1(VALU_DEP_1)
	s_mul_f32 s0, s0, 0x5f7ffffc
	v_mov_b32_e32 v21, v20
	s_delay_alu instid0(SALU_CYCLE_2) | instskip(NEXT) | instid1(SALU_CYCLE_3)
	s_mul_f32 s49, s0, 0x2f800000
	s_trunc_f32 s49, s49
	s_delay_alu instid0(SALU_CYCLE_3) | instskip(SKIP_1) | instid1(SALU_CYCLE_2)
	s_fmamk_f32 s0, s49, 0xcf800000, s0
	s_cvt_u32_f32 s65, s49
	s_cvt_u32_f32 s64, s0
	s_delay_alu instid0(SALU_CYCLE_3) | instskip(NEXT) | instid1(SALU_CYCLE_1)
	s_mul_u64 s[68:69], s[66:67], s[64:65]
	s_mul_hi_u32 s71, s64, s69
	s_mul_i32 s70, s64, s69
	s_mul_hi_u32 s0, s64, s68
	s_mul_i32 s63, s65, s68
	s_add_nc_u64 s[70:71], s[0:1], s[70:71]
	s_mul_hi_u32 s49, s65, s68
	s_mul_hi_u32 s72, s65, s69
	s_add_co_u32 s0, s70, s63
	s_add_co_ci_u32 s0, s71, s49
	s_mul_i32 s68, s65, s69
	s_add_co_ci_u32 s69, s72, 0
	s_delay_alu instid0(SALU_CYCLE_1) | instskip(NEXT) | instid1(SALU_CYCLE_1)
	s_add_nc_u64 s[68:69], s[0:1], s[68:69]
	s_add_co_u32 s64, s64, s68
	s_cselect_b32 s0, -1, 0
	s_delay_alu instid0(SALU_CYCLE_1) | instskip(SKIP_1) | instid1(SALU_CYCLE_1)
	s_cmp_lg_u32 s0, 0
	s_add_co_ci_u32 s65, s65, s69
	s_mul_u64 s[66:67], s[66:67], s[64:65]
	s_delay_alu instid0(SALU_CYCLE_1)
	s_mul_hi_u32 s69, s64, s67
	s_mul_i32 s68, s64, s67
	s_mul_hi_u32 s0, s64, s66
	s_mul_i32 s63, s65, s66
	s_add_nc_u64 s[68:69], s[0:1], s[68:69]
	s_mul_hi_u32 s49, s65, s66
	s_mul_hi_u32 s70, s65, s67
	s_add_co_u32 s0, s68, s63
	s_add_co_ci_u32 s0, s69, s49
	s_mul_i32 s66, s65, s67
	s_add_co_ci_u32 s67, s70, 0
	s_delay_alu instid0(SALU_CYCLE_1) | instskip(NEXT) | instid1(SALU_CYCLE_1)
	s_add_nc_u64 s[66:67], s[0:1], s[66:67]
	s_add_co_u32 s64, s64, s66
	s_cselect_b32 s0, -1, 0
	v_mul_hi_u32 v34, v26, s64
	s_cmp_lg_u32 s0, 0
	s_add_co_ci_u32 s0, s65, s67
	s_and_b64 s[66:67], s[64:65], s[30:31]
	v_mul_u64_e32 v[28:29], s[0:1], v[26:27]
	v_mul_u64_e32 v[24:25], s[66:67], v[30:31]
	;; [unrolled: 1-line block ×3, first 2 shown]
	s_delay_alu instid0(VALU_DEP_3) | instskip(NEXT) | instid1(VALU_DEP_1)
	v_add_nc_u64_e32 v[28:29], v[34:35], v[28:29]
	v_add_co_u32 v1, vcc_lo, v28, v24
	s_delay_alu instid0(VALU_DEP_2) | instskip(NEXT) | instid1(VALU_DEP_4)
	v_add_co_ci_u32_e32 v34, vcc_lo, v29, v25, vcc_lo
	v_add_co_ci_u32_e32 v33, vcc_lo, 0, v33, vcc_lo
	s_delay_alu instid0(VALU_DEP_1) | instskip(NEXT) | instid1(VALU_DEP_1)
	v_add_nc_u64_e32 v[24:25], v[34:35], v[32:33]
	v_mul_u64_e32 v[28:29], s[50:51], v[24:25]
	s_delay_alu instid0(VALU_DEP_1) | instskip(NEXT) | instid1(VALU_DEP_2)
	v_sub_nc_u32_e32 v1, v30, v29
	v_sub_co_u32 v3, vcc_lo, v26, v28
	s_delay_alu instid0(VALU_DEP_1) | instskip(NEXT) | instid1(VALU_DEP_3)
	v_sub_co_ci_u32_e64 v7, null, v30, v29, vcc_lo
	v_subrev_co_ci_u32_e64 v1, null, s51, v1, vcc_lo
	s_delay_alu instid0(VALU_DEP_3) | instskip(SKIP_1) | instid1(VALU_DEP_3)
	v_sub_co_u32 v5, s0, v3, s50
	v_add_nc_u64_e32 v[26:27], 2, v[24:25]
	v_subrev_co_ci_u32_e64 v1, null, 0, v1, s0
	s_delay_alu instid0(VALU_DEP_3) | instskip(SKIP_2) | instid1(VALU_DEP_4)
	v_cmp_le_u32_e32 vcc_lo, s50, v5
	v_add_nc_u64_e32 v[28:29], 1, v[24:25]
	v_cndmask_b32_e64 v5, 0, -1, vcc_lo
	v_cmp_le_u32_e32 vcc_lo, s51, v1
	v_cndmask_b32_e64 v9, 0, -1, vcc_lo
	v_cmp_le_u32_e32 vcc_lo, s50, v3
	;; [unrolled: 2-line block ×3, first 2 shown]
	v_cndmask_b32_e64 v13, 0, -1, vcc_lo
	v_cmp_eq_u32_e32 vcc_lo, s51, v1
	v_cndmask_b32_e32 v1, v9, v5, vcc_lo
	v_cmp_eq_u32_e32 vcc_lo, s51, v7
	s_delay_alu instid0(VALU_DEP_4) | instskip(NEXT) | instid1(VALU_DEP_3)
	v_cndmask_b32_e32 v3, v13, v3, vcc_lo
	v_cmp_ne_u32_e32 vcc_lo, 0, v1
	s_delay_alu instid0(VALU_DEP_2) | instskip(SKIP_1) | instid1(VALU_DEP_1)
	v_cmp_ne_u32_e64 s0, 0, v3
	v_dual_cndmask_b32 v1, v29, v27, vcc_lo :: v_dual_cndmask_b32 v3, v28, v26, vcc_lo
	v_dual_cndmask_b32 v1, v25, v1, s0 :: v_dual_cndmask_b32 v3, v24, v3, s0
	s_delay_alu instid0(VALU_DEP_1) | instskip(NEXT) | instid1(VALU_DEP_2)
	v_xor_b32_e32 v25, v1, v20
	v_xor_b32_e32 v24, v3, v20
	s_delay_alu instid0(VALU_DEP_1)
	v_sub_nc_u64_e32 v[20:21], v[24:25], v[20:21]
.LBB126_3482:                           ;   in Loop: Header=BB126_3480 Depth=1
	s_and_not1_saveexec_b32 s0, s62
	s_cbranch_execz .LBB126_3479
; %bb.3483:                             ;   in Loop: Header=BB126_3480 Depth=1
	v_cvt_f32_u32_e32 v1, s46
	s_sub_co_i32 s48, 0, s46
	v_mov_b32_e32 v21, v12
	s_delay_alu instid0(VALU_DEP_2) | instskip(SKIP_1) | instid1(TRANS32_DEP_1)
	v_rcp_iflag_f32_e32 v1, v1
	v_nop
	v_mul_f32_e32 v1, 0x4f7ffffe, v1
	s_delay_alu instid0(VALU_DEP_1) | instskip(NEXT) | instid1(VALU_DEP_1)
	v_cvt_u32_f32_e32 v1, v1
	v_mul_lo_u32 v3, s48, v1
	s_delay_alu instid0(VALU_DEP_1) | instskip(NEXT) | instid1(VALU_DEP_1)
	v_mul_hi_u32 v3, v1, v3
	v_add_nc_u32_e32 v1, v1, v3
	s_delay_alu instid0(VALU_DEP_1) | instskip(NEXT) | instid1(VALU_DEP_1)
	v_mul_hi_u32 v1, v18, v1
	v_mul_lo_u32 v3, v1, s46
	s_delay_alu instid0(VALU_DEP_1) | instskip(NEXT) | instid1(VALU_DEP_1)
	v_sub_nc_u32_e32 v3, v18, v3
	v_subrev_nc_u32_e32 v7, s46, v3
	v_cmp_le_u32_e32 vcc_lo, s46, v3
	s_delay_alu instid0(VALU_DEP_2) | instskip(NEXT) | instid1(VALU_DEP_1)
	v_dual_add_nc_u32 v5, 1, v1 :: v_dual_cndmask_b32 v3, v3, v7, vcc_lo
	v_cndmask_b32_e32 v1, v1, v5, vcc_lo
	s_delay_alu instid0(VALU_DEP_2) | instskip(NEXT) | instid1(VALU_DEP_2)
	v_cmp_le_u32_e32 vcc_lo, s46, v3
	v_add_nc_u32_e32 v5, 1, v1
	s_delay_alu instid0(VALU_DEP_1)
	v_cndmask_b32_e32 v20, v1, v5, vcc_lo
	s_branch .LBB126_3479
.LBB126_3484:
	s_get_pc_i64 s[0:1]
	s_add_nc_u64 s[0:1], s[0:1], .str.9@rel64+4
	s_mov_b32 s30, -1
	s_cmp_lg_u64 s[0:1], 0
	s_mov_b32 s48, s55
	s_cselect_b32 s50, -1, 0
	s_mov_b32 s0, exec_lo
	v_cmpx_gt_i64_e64 v[16:17], v[14:15]
	s_cbranch_execz .LBB126_3491
; %bb.3485:
	v_lshlrev_b64_e32 v[10:11], 3, v[10:11]
	s_mov_b32 s29, 0
	s_xor_b32 s30, s50, -1
                                        ; implicit-def: $sgpr1
                                        ; implicit-def: $sgpr34
                                        ; implicit-def: $sgpr31
	s_delay_alu instid0(VALU_DEP_1) | instskip(SKIP_1) | instid1(VALU_DEP_2)
	v_lshl_add_u64 v[12:13], v[14:15], 3, v[10:11]
	v_add_nc_u64_e32 v[14:15], s[24:25], v[10:11]
	v_add_nc_u64_e32 v[12:13], s[24:25], v[12:13]
	s_delay_alu instid0(VALU_DEP_1) | instskip(NEXT) | instid1(VALU_DEP_3)
	v_add_nc_u64_e32 v[10:11], 8, v[12:13]
	v_lshl_add_u64 v[12:13], v[16:17], 3, v[14:15]
	s_branch .LBB126_3487
.LBB126_3486:                           ;   in Loop: Header=BB126_3487 Depth=1
	s_or_b32 exec_lo, exec_lo, s35
	s_xor_b32 s35, s31, -1
	s_and_b32 s44, exec_lo, s34
	s_delay_alu instid0(SALU_CYCLE_1) | instskip(SKIP_2) | instid1(SALU_CYCLE_1)
	s_or_b32 s29, s44, s29
	s_and_not1_b32 s1, s1, exec_lo
	s_and_b32 s35, s35, exec_lo
	s_or_b32 s1, s1, s35
	s_and_not1_b32 exec_lo, exec_lo, s29
	s_cbranch_execz .LBB126_3489
.LBB126_3487:                           ; =>This Inner Loop Header: Depth=1
	s_or_b32 s31, s31, exec_lo
	s_or_b32 s34, s34, exec_lo
	s_mov_b32 s35, exec_lo
	s_delay_alu instid0(VALU_DEP_2)
	v_cmpx_lt_u64_e64 v[10:11], v[12:13]
	s_cbranch_execz .LBB126_3486
; %bb.3488:                             ;   in Loop: Header=BB126_3487 Depth=1
	global_load_b128 v[14:17], v[10:11], off offset:-8
	s_wait_xcnt 0x0
	v_add_nc_u64_e32 v[10:11], 8, v[10:11]
	s_and_not1_b32 s34, s34, exec_lo
	s_and_not1_b32 s31, s31, exec_lo
	s_wait_loadcnt 0x0
	v_cmp_ge_i64_e32 vcc_lo, v[14:15], v[16:17]
	s_or_b32 s44, s30, vcc_lo
	s_delay_alu instid0(SALU_CYCLE_1) | instskip(NEXT) | instid1(SALU_CYCLE_1)
	s_and_b32 s44, s44, exec_lo
	s_or_b32 s34, s34, s44
	s_branch .LBB126_3486
.LBB126_3489:
	s_or_b32 exec_lo, exec_lo, s29
	s_mov_b32 s29, -1
	s_mov_b32 s30, s55
	s_and_saveexec_b32 s31, s1
	s_delay_alu instid0(SALU_CYCLE_1)
	s_xor_b32 s1, exec_lo, s31
	s_cbranch_execnz .LBB126_3594
.LBB126_3490:
	s_or_b32 exec_lo, exec_lo, s1
	s_delay_alu instid0(SALU_CYCLE_1) | instskip(SKIP_1) | instid1(SALU_CYCLE_1)
	s_and_not1_b32 s1, s55, exec_lo
	s_and_b32 s30, s30, exec_lo
	s_or_b32 s48, s1, s30
	s_or_not1_b32 s30, s29, exec_lo
.LBB126_3491:
	s_or_b32 exec_lo, exec_lo, s0
	s_mov_b32 s1, 0
	s_mov_b32 s29, 0
                                        ; implicit-def: $sgpr0
                                        ; implicit-def: $vgpr10_vgpr11
	s_and_saveexec_b32 s49, s30
	s_cbranch_execz .LBB126_4320
; %bb.3492:
	s_lshl_b32 s69, s17, 7
	s_cmp_lt_i32 s57, 11
	v_add_nc_u32_e32 v0, s69, v0
	s_delay_alu instid0(VALU_DEP_1) | instskip(NEXT) | instid1(VALU_DEP_1)
	v_ashrrev_i32_e32 v1, 31, v0
	v_add_nc_u64_e32 v[12:13], s[6:7], v[0:1]
	s_cbranch_scc1 .LBB126_3500
; %bb.3493:
	s_and_b32 s0, 0xffff, s57
	s_delay_alu instid0(SALU_CYCLE_1)
	s_cmp_gt_i32 s0, 25
	s_cbranch_scc0 .LBB126_3502
; %bb.3494:
	s_cmp_gt_i32 s0, 28
	s_cbranch_scc0 .LBB126_3504
; %bb.3495:
	;; [unrolled: 3-line block ×4, first 2 shown]
	s_cmp_eq_u32 s0, 46
	s_mov_b32 s17, 0
	s_cbranch_scc0 .LBB126_3682
; %bb.3498:
	global_load_b32 v1, v[12:13], off
	s_mov_b32 s30, -1
	s_wait_loadcnt 0x0
	v_lshlrev_b32_e32 v1, 16, v1
	s_delay_alu instid0(VALU_DEP_1) | instskip(NEXT) | instid1(VALU_DEP_1)
	v_trunc_f32_e32 v1, v1
	v_mul_f32_e64 v3, 0x2f800000, |v1|
	v_ashrrev_i32_e32 v10, 31, v1
	s_delay_alu instid0(VALU_DEP_2) | instskip(NEXT) | instid1(VALU_DEP_2)
	v_floor_f32_e32 v3, v3
	v_mov_b32_e32 v11, v10
	s_delay_alu instid0(VALU_DEP_2) | instskip(SKIP_1) | instid1(VALU_DEP_2)
	v_fma_f32 v5, 0xcf800000, v3, |v1|
	v_cvt_u32_f32_e32 v1, v3
	v_cvt_u32_f32_e32 v3, v5
	s_delay_alu instid0(VALU_DEP_2) | instskip(NEXT) | instid1(VALU_DEP_2)
	v_xor_b32_e32 v15, v1, v10
	v_xor_b32_e32 v14, v3, v10
	s_delay_alu instid0(VALU_DEP_1)
	v_sub_nc_u64_e32 v[10:11], v[14:15], v[10:11]
	s_branch .LBB126_3684
.LBB126_3499:
	s_or_b32 s43, s43, exec_lo
	s_trap 2
	s_cbranch_execz .LBB126_3374
	s_branch .LBB126_3375
.LBB126_3500:
	s_mov_b32 s0, -1
	s_mov_b32 s30, 0
	s_mov_b32 s17, s48
                                        ; implicit-def: $vgpr10_vgpr11
	s_branch .LBB126_3746
.LBB126_3501:
	s_mov_b32 s35, -1
	s_mov_b32 s44, 0
	s_mov_b32 s31, s80
	s_branch .LBB126_3636
.LBB126_3502:
	s_mov_b32 s17, -1
	s_mov_b32 s30, 0
                                        ; implicit-def: $vgpr10_vgpr11
	s_branch .LBB126_3711
.LBB126_3503:
	s_mov_b32 s45, -1
	s_mov_b32 s44, 0
	s_mov_b32 s31, s80
	s_branch .LBB126_3616
.LBB126_3504:
	s_mov_b32 s17, -1
	s_mov_b32 s30, 0
                                        ; implicit-def: $vgpr10_vgpr11
	s_branch .LBB126_3694
.LBB126_3505:
	s_mov_b32 s45, -1
	s_mov_b32 s44, 0
	s_mov_b32 s31, s80
	s_branch .LBB126_3605
.LBB126_3506:
	s_mov_b32 s17, -1
	s_mov_b32 s30, 0
                                        ; implicit-def: $vgpr10_vgpr11
	s_branch .LBB126_3689
.LBB126_3507:
	s_mov_b32 s45, -1
	s_mov_b32 s44, 0
	s_mov_b32 s31, s61
.LBB126_3508:
	s_and_b32 vcc_lo, exec_lo, s45
	s_cbranch_vccz .LBB126_3511
; %bb.3509:
	s_cmp_eq_u32 s35, 44
	s_mov_b32 s31, -1
	s_cbranch_scc0 .LBB126_3511
; %bb.3510:
	s_wait_xcnt 0x0
	v_mov_b32_e32 v2, 0
	s_mov_b32 s44, -1
	s_mov_b32 s31, 0
	global_store_b8 v[0:1], v2, off
.LBB126_3511:
	s_mov_b32 s45, 0
.LBB126_3512:
	s_delay_alu instid0(SALU_CYCLE_1)
	s_and_b32 vcc_lo, exec_lo, s45
	s_cbranch_vccz .LBB126_3515
; %bb.3513:
	s_cmp_eq_u32 s35, 29
	s_mov_b32 s31, -1
	s_cbranch_scc0 .LBB126_3515
; %bb.3514:
	s_wait_xcnt 0x0
	v_mov_b64_e32 v[2:3], 0
	s_mov_b32 s44, -1
	s_mov_b32 s31, 0
	s_mov_b32 s45, 0
	global_store_b64 v[0:1], v[2:3], off
	s_branch .LBB126_3516
.LBB126_3515:
	s_mov_b32 s45, 0
.LBB126_3516:
	s_delay_alu instid0(SALU_CYCLE_1)
	s_and_b32 vcc_lo, exec_lo, s45
	s_cbranch_vccz .LBB126_3526
; %bb.3517:
	s_cmp_lt_i32 s35, 27
	s_mov_b32 s44, -1
	s_cbranch_scc1 .LBB126_3523
; %bb.3518:
	s_cmp_gt_i32 s35, 27
	s_cbranch_scc0 .LBB126_3520
; %bb.3519:
	s_wait_xcnt 0x0
	v_mov_b32_e32 v2, 0
	s_mov_b32 s44, 0
	global_store_b32 v[0:1], v2, off
.LBB126_3520:
	s_and_not1_b32 vcc_lo, exec_lo, s44
	s_cbranch_vccnz .LBB126_3522
; %bb.3521:
	s_wait_xcnt 0x0
	v_mov_b32_e32 v2, 0
	global_store_b16 v[0:1], v2, off
.LBB126_3522:
	s_mov_b32 s44, 0
.LBB126_3523:
	s_delay_alu instid0(SALU_CYCLE_1)
	s_and_not1_b32 vcc_lo, exec_lo, s44
	s_cbranch_vccnz .LBB126_3525
; %bb.3524:
	s_wait_xcnt 0x0
	v_mov_b32_e32 v2, 0
	global_store_b8 v[0:1], v2, off
.LBB126_3525:
	s_mov_b32 s44, -1
.LBB126_3526:
	s_mov_b32 s45, 0
.LBB126_3527:
	s_delay_alu instid0(SALU_CYCLE_1)
	s_and_b32 vcc_lo, exec_lo, s45
	s_cbranch_vccz .LBB126_3546
; %bb.3528:
	s_cmp_gt_i32 s35, 22
	s_mov_b32 s45, -1
	s_cbranch_scc0 .LBB126_3538
; %bb.3529:
	s_cmp_lt_i32 s35, 24
	s_mov_b32 s44, -1
	s_cbranch_scc1 .LBB126_3535
; %bb.3530:
	s_cmp_gt_i32 s35, 24
	s_cbranch_scc0 .LBB126_3532
; %bb.3531:
	s_wait_xcnt 0x0
	v_mov_b32_e32 v2, 0
	s_mov_b32 s44, 0
	global_store_b8 v[0:1], v2, off
.LBB126_3532:
	s_and_not1_b32 vcc_lo, exec_lo, s44
	s_cbranch_vccnz .LBB126_3534
; %bb.3533:
	s_wait_xcnt 0x0
	v_mov_b32_e32 v2, 0
	global_store_b8 v[0:1], v2, off
.LBB126_3534:
	s_mov_b32 s44, 0
.LBB126_3535:
	s_delay_alu instid0(SALU_CYCLE_1)
	s_and_not1_b32 vcc_lo, exec_lo, s44
	s_cbranch_vccnz .LBB126_3537
; %bb.3536:
	s_wait_xcnt 0x0
	v_mov_b32_e32 v2, 0
	global_store_b8 v[0:1], v2, off
.LBB126_3537:
	s_mov_b32 s45, 0
	s_mov_b32 s44, -1
.LBB126_3538:
	s_and_not1_b32 vcc_lo, exec_lo, s45
	s_cbranch_vccnz .LBB126_3546
; %bb.3539:
	s_cmp_gt_i32 s35, 14
	s_mov_b32 s45, -1
	s_cbranch_scc0 .LBB126_3543
; %bb.3540:
	s_cmp_eq_u32 s35, 15
	s_mov_b32 s31, -1
	s_cbranch_scc0 .LBB126_3542
; %bb.3541:
	s_wait_xcnt 0x0
	v_mov_b32_e32 v2, 0
	s_mov_b32 s44, -1
	s_mov_b32 s31, 0
	global_store_b16 v[0:1], v2, off
.LBB126_3542:
	s_mov_b32 s45, 0
.LBB126_3543:
	s_delay_alu instid0(SALU_CYCLE_1)
	s_and_b32 vcc_lo, exec_lo, s45
	s_cbranch_vccz .LBB126_3546
; %bb.3544:
	s_cmp_eq_u32 s35, 11
	s_mov_b32 s31, -1
	s_cbranch_scc0 .LBB126_3546
; %bb.3545:
	s_wait_xcnt 0x0
	v_mov_b32_e32 v2, 0
	s_mov_b32 s44, -1
	s_mov_b32 s31, 0
	global_store_b8 v[0:1], v2, off
.LBB126_3546:
	s_mov_b32 s35, 0
.LBB126_3547:
	s_delay_alu instid0(SALU_CYCLE_1)
	s_and_b32 vcc_lo, exec_lo, s35
	s_cbranch_vccz .LBB126_3586
; %bb.3548:
	s_and_b32 s34, 0xffff, s34
	s_mov_b32 s35, -1
	s_cmp_lt_i32 s34, 5
	s_cbranch_scc1 .LBB126_3569
; %bb.3549:
	s_cmp_lt_i32 s34, 8
	s_cbranch_scc1 .LBB126_3559
; %bb.3550:
	;; [unrolled: 3-line block ×3, first 2 shown]
	s_cmp_gt_i32 s34, 9
	s_cbranch_scc0 .LBB126_3553
; %bb.3552:
	s_wait_xcnt 0x0
	v_mov_b32_e32 v2, 0
	s_mov_b32 s35, 0
	s_delay_alu instid0(VALU_DEP_1)
	v_dual_mov_b32 v3, v2 :: v_dual_mov_b32 v4, v2
	v_mov_b32_e32 v5, v2
	global_store_b128 v[0:1], v[2:5], off
.LBB126_3553:
	s_and_not1_b32 vcc_lo, exec_lo, s35
	s_cbranch_vccnz .LBB126_3555
; %bb.3554:
	s_wait_xcnt 0x0
	v_mov_b64_e32 v[2:3], 0
	global_store_b64 v[0:1], v[2:3], off
.LBB126_3555:
	s_mov_b32 s35, 0
.LBB126_3556:
	s_delay_alu instid0(SALU_CYCLE_1)
	s_and_not1_b32 vcc_lo, exec_lo, s35
	s_cbranch_vccnz .LBB126_3558
; %bb.3557:
	s_wait_xcnt 0x0
	v_mov_b32_e32 v2, 0
	global_store_b32 v[0:1], v2, off
.LBB126_3558:
	s_mov_b32 s35, 0
.LBB126_3559:
	s_delay_alu instid0(SALU_CYCLE_1)
	s_and_not1_b32 vcc_lo, exec_lo, s35
	s_cbranch_vccnz .LBB126_3568
; %bb.3560:
	s_cmp_lt_i32 s34, 6
	s_mov_b32 s35, -1
	s_cbranch_scc1 .LBB126_3566
; %bb.3561:
	s_cmp_gt_i32 s34, 6
	s_cbranch_scc0 .LBB126_3563
; %bb.3562:
	s_wait_xcnt 0x0
	v_mov_b64_e32 v[2:3], 0
	s_mov_b32 s35, 0
	global_store_b64 v[0:1], v[2:3], off
.LBB126_3563:
	s_and_not1_b32 vcc_lo, exec_lo, s35
	s_cbranch_vccnz .LBB126_3565
; %bb.3564:
	s_wait_xcnt 0x0
	v_mov_b32_e32 v2, 0
	global_store_b32 v[0:1], v2, off
.LBB126_3565:
	s_mov_b32 s35, 0
.LBB126_3566:
	s_delay_alu instid0(SALU_CYCLE_1)
	s_and_not1_b32 vcc_lo, exec_lo, s35
	s_cbranch_vccnz .LBB126_3568
; %bb.3567:
	s_wait_xcnt 0x0
	v_mov_b32_e32 v2, 0
	global_store_b16 v[0:1], v2, off
.LBB126_3568:
	s_mov_b32 s35, 0
.LBB126_3569:
	s_delay_alu instid0(SALU_CYCLE_1)
	s_and_not1_b32 vcc_lo, exec_lo, s35
	s_cbranch_vccnz .LBB126_3585
; %bb.3570:
	s_cmp_lt_i32 s34, 2
	s_mov_b32 s35, -1
	s_cbranch_scc1 .LBB126_3580
; %bb.3571:
	s_cmp_lt_i32 s34, 3
	s_cbranch_scc1 .LBB126_3577
; %bb.3572:
	s_cmp_gt_i32 s34, 3
	s_cbranch_scc0 .LBB126_3574
; %bb.3573:
	s_wait_xcnt 0x0
	v_mov_b64_e32 v[2:3], 0
	s_mov_b32 s35, 0
	global_store_b64 v[0:1], v[2:3], off
.LBB126_3574:
	s_and_not1_b32 vcc_lo, exec_lo, s35
	s_cbranch_vccnz .LBB126_3576
; %bb.3575:
	s_wait_xcnt 0x0
	v_mov_b32_e32 v2, 0
	global_store_b32 v[0:1], v2, off
.LBB126_3576:
	s_mov_b32 s35, 0
.LBB126_3577:
	s_delay_alu instid0(SALU_CYCLE_1)
	s_and_not1_b32 vcc_lo, exec_lo, s35
	s_cbranch_vccnz .LBB126_3579
; %bb.3578:
	s_wait_xcnt 0x0
	v_mov_b32_e32 v2, 0
	global_store_b16 v[0:1], v2, off
.LBB126_3579:
	s_mov_b32 s35, 0
.LBB126_3580:
	s_delay_alu instid0(SALU_CYCLE_1)
	s_and_not1_b32 vcc_lo, exec_lo, s35
	s_cbranch_vccnz .LBB126_3585
; %bb.3581:
	s_cmp_gt_i32 s34, 0
	s_mov_b32 s34, -1
	s_cbranch_scc0 .LBB126_3583
; %bb.3582:
	s_wait_xcnt 0x0
	v_mov_b32_e32 v2, 0
	s_mov_b32 s34, 0
	global_store_b8 v[0:1], v2, off
.LBB126_3583:
	s_and_not1_b32 vcc_lo, exec_lo, s34
	s_cbranch_vccnz .LBB126_3585
; %bb.3584:
	s_wait_xcnt 0x0
	v_mov_b32_e32 v2, 0
	global_store_b8 v[0:1], v2, off
.LBB126_3585:
	s_mov_b32 s44, -1
.LBB126_3586:
	s_delay_alu instid0(SALU_CYCLE_1)
	s_and_not1_b32 vcc_lo, exec_lo, s44
	s_cbranch_vccnz .LBB126_3588
; %bb.3587:
	v_add_nc_u32_e32 v22, 0x80, v22
	s_mov_b32 s34, -1
	s_branch .LBB126_3589
.LBB126_3588:
	s_mov_b32 s34, 0
                                        ; implicit-def: $vgpr22
.LBB126_3589:
	s_and_not1_b32 s35, s61, exec_lo
	s_and_b32 s31, s31, exec_lo
	s_and_not1_b32 s0, s0, exec_lo
	s_or_b32 s31, s35, s31
	s_and_b32 s34, s34, exec_lo
.LBB126_3590:
	s_wait_xcnt 0x0
	s_or_b32 exec_lo, exec_lo, s1
	s_delay_alu instid0(SALU_CYCLE_1)
	s_and_not1_b32 s1, s61, exec_lo
	s_and_b32 s31, s31, exec_lo
	s_and_not1_b32 s44, s63, exec_lo
	s_and_b32 s0, s0, exec_lo
	s_or_b32 s35, s1, s31
	s_or_b32 s0, s44, s0
	s_xor_b32 s31, exec_lo, -1
	s_and_b32 s1, s34, exec_lo
.LBB126_3591:
	s_or_b32 exec_lo, exec_lo, s80
	s_delay_alu instid0(SALU_CYCLE_1)
	s_and_not1_b32 s34, s61, exec_lo
	s_and_b32 s35, s35, exec_lo
	s_and_b32 s0, s0, exec_lo
	s_or_b32 s44, s34, s35
	s_and_not1_b32 s34, s63, exec_lo
	s_and_not1_b32 s35, s64, exec_lo
	s_and_b32 s45, s31, exec_lo
	s_or_b32 s31, s34, s0
	s_or_b32 s35, s35, s45
	s_xor_b32 s34, exec_lo, -1
	s_and_b32 s0, s1, exec_lo
.LBB126_3592:
	s_or_b32 exec_lo, exec_lo, s79
	s_delay_alu instid0(SALU_CYCLE_1)
	s_and_not1_b32 s1, s61, exec_lo
	s_and_b32 s44, s44, exec_lo
	s_and_not1_b32 s45, s63, exec_lo
	s_and_b32 s31, s31, exec_lo
	s_or_b32 s1, s1, s44
	s_or_b32 s31, s45, s31
	s_and_not1_b32 s44, s64, exec_lo
	s_and_b32 s35, s35, exec_lo
	s_and_not1_b32 s45, s65, exec_lo
	s_and_b32 s46, s34, exec_lo
	s_or_b32 s34, s44, s35
	s_or_b32 s44, s45, s46
	s_xor_b32 s35, exec_lo, -1
	s_and_b32 s0, s0, exec_lo
	s_or_b32 exec_lo, exec_lo, s78
	s_branch .LBB126_1298
.LBB126_3593:
	s_mov_b32 s45, -1
	s_mov_b32 s44, 0
	s_mov_b32 s31, s80
	s_branch .LBB126_3601
.LBB126_3594:
	s_or_b32 s30, s55, exec_lo
	s_xor_b32 s29, exec_lo, -1
	s_trap 2
	s_branch .LBB126_3490
.LBB126_3595:
	s_mov_b32 s17, -1
	s_branch .LBB126_3683
.LBB126_3596:
	s_mov_b32 s45, -1
	s_mov_b32 s44, 0
	s_mov_b32 s31, s80
.LBB126_3597:
	s_and_b32 vcc_lo, exec_lo, s45
	s_cbranch_vccz .LBB126_3600
; %bb.3598:
	s_cmp_eq_u32 s35, 44
	s_mov_b32 s31, -1
	s_cbranch_scc0 .LBB126_3600
; %bb.3599:
	s_wait_xcnt 0x0
	v_mov_b32_e32 v2, 0
	s_mov_b32 s44, -1
	s_mov_b32 s31, 0
	global_store_b8 v[0:1], v2, off
.LBB126_3600:
	s_mov_b32 s45, 0
.LBB126_3601:
	s_delay_alu instid0(SALU_CYCLE_1)
	s_and_b32 vcc_lo, exec_lo, s45
	s_cbranch_vccz .LBB126_3604
; %bb.3602:
	s_cmp_eq_u32 s35, 29
	s_mov_b32 s31, -1
	s_cbranch_scc0 .LBB126_3604
; %bb.3603:
	s_wait_xcnt 0x0
	v_mov_b64_e32 v[2:3], 0
	s_mov_b32 s44, -1
	s_mov_b32 s31, 0
	s_mov_b32 s45, 0
	global_store_b64 v[0:1], v[2:3], off
	s_branch .LBB126_3605
.LBB126_3604:
	s_mov_b32 s45, 0
.LBB126_3605:
	s_delay_alu instid0(SALU_CYCLE_1)
	s_and_b32 vcc_lo, exec_lo, s45
	s_cbranch_vccz .LBB126_3615
; %bb.3606:
	s_cmp_lt_i32 s35, 27
	s_mov_b32 s44, -1
	s_cbranch_scc1 .LBB126_3612
; %bb.3607:
	s_cmp_gt_i32 s35, 27
	s_cbranch_scc0 .LBB126_3609
; %bb.3608:
	s_wait_xcnt 0x0
	v_mov_b32_e32 v2, 0
	s_mov_b32 s44, 0
	global_store_b32 v[0:1], v2, off
.LBB126_3609:
	s_and_not1_b32 vcc_lo, exec_lo, s44
	s_cbranch_vccnz .LBB126_3611
; %bb.3610:
	s_wait_xcnt 0x0
	v_mov_b32_e32 v2, 0
	global_store_b16 v[0:1], v2, off
.LBB126_3611:
	s_mov_b32 s44, 0
.LBB126_3612:
	s_delay_alu instid0(SALU_CYCLE_1)
	s_and_not1_b32 vcc_lo, exec_lo, s44
	s_cbranch_vccnz .LBB126_3614
; %bb.3613:
	s_wait_xcnt 0x0
	v_mov_b32_e32 v2, 0
	global_store_b8 v[0:1], v2, off
.LBB126_3614:
	s_mov_b32 s44, -1
.LBB126_3615:
	s_mov_b32 s45, 0
.LBB126_3616:
	s_delay_alu instid0(SALU_CYCLE_1)
	s_and_b32 vcc_lo, exec_lo, s45
	s_cbranch_vccz .LBB126_3635
; %bb.3617:
	s_cmp_gt_i32 s35, 22
	s_mov_b32 s45, -1
	s_cbranch_scc0 .LBB126_3627
; %bb.3618:
	s_cmp_lt_i32 s35, 24
	s_mov_b32 s44, -1
	s_cbranch_scc1 .LBB126_3624
; %bb.3619:
	s_cmp_gt_i32 s35, 24
	s_cbranch_scc0 .LBB126_3621
; %bb.3620:
	s_wait_xcnt 0x0
	v_mov_b32_e32 v2, 0
	s_mov_b32 s44, 0
	global_store_b8 v[0:1], v2, off
.LBB126_3621:
	s_and_not1_b32 vcc_lo, exec_lo, s44
	s_cbranch_vccnz .LBB126_3623
; %bb.3622:
	s_wait_xcnt 0x0
	v_mov_b32_e32 v2, 0
	global_store_b8 v[0:1], v2, off
.LBB126_3623:
	s_mov_b32 s44, 0
.LBB126_3624:
	s_delay_alu instid0(SALU_CYCLE_1)
	s_and_not1_b32 vcc_lo, exec_lo, s44
	s_cbranch_vccnz .LBB126_3626
; %bb.3625:
	s_wait_xcnt 0x0
	v_mov_b32_e32 v2, 0
	global_store_b8 v[0:1], v2, off
.LBB126_3626:
	s_mov_b32 s45, 0
	s_mov_b32 s44, -1
.LBB126_3627:
	s_and_not1_b32 vcc_lo, exec_lo, s45
	s_cbranch_vccnz .LBB126_3635
; %bb.3628:
	s_cmp_gt_i32 s35, 14
	s_mov_b32 s45, -1
	s_cbranch_scc0 .LBB126_3632
; %bb.3629:
	s_cmp_eq_u32 s35, 15
	s_mov_b32 s31, -1
	s_cbranch_scc0 .LBB126_3631
; %bb.3630:
	s_wait_xcnt 0x0
	v_mov_b32_e32 v2, 0
	s_mov_b32 s44, -1
	s_mov_b32 s31, 0
	global_store_b16 v[0:1], v2, off
.LBB126_3631:
	s_mov_b32 s45, 0
.LBB126_3632:
	s_delay_alu instid0(SALU_CYCLE_1)
	s_and_b32 vcc_lo, exec_lo, s45
	s_cbranch_vccz .LBB126_3635
; %bb.3633:
	s_cmp_eq_u32 s35, 11
	s_mov_b32 s31, -1
	s_cbranch_scc0 .LBB126_3635
; %bb.3634:
	s_wait_xcnt 0x0
	v_mov_b32_e32 v2, 0
	s_mov_b32 s44, -1
	s_mov_b32 s31, 0
	global_store_b8 v[0:1], v2, off
.LBB126_3635:
	s_mov_b32 s35, 0
.LBB126_3636:
	s_delay_alu instid0(SALU_CYCLE_1)
	s_and_b32 vcc_lo, exec_lo, s35
	s_cbranch_vccz .LBB126_3675
; %bb.3637:
	s_and_b32 s34, 0xffff, s34
	s_mov_b32 s35, -1
	s_cmp_lt_i32 s34, 5
	s_cbranch_scc1 .LBB126_3658
; %bb.3638:
	s_cmp_lt_i32 s34, 8
	s_cbranch_scc1 .LBB126_3648
; %bb.3639:
	;; [unrolled: 3-line block ×3, first 2 shown]
	s_cmp_gt_i32 s34, 9
	s_cbranch_scc0 .LBB126_3642
; %bb.3641:
	s_wait_xcnt 0x0
	v_mov_b32_e32 v2, 0
	s_mov_b32 s35, 0
	s_delay_alu instid0(VALU_DEP_1)
	v_dual_mov_b32 v3, v2 :: v_dual_mov_b32 v4, v2
	v_mov_b32_e32 v5, v2
	global_store_b128 v[0:1], v[2:5], off
.LBB126_3642:
	s_and_not1_b32 vcc_lo, exec_lo, s35
	s_cbranch_vccnz .LBB126_3644
; %bb.3643:
	s_wait_xcnt 0x0
	v_mov_b64_e32 v[2:3], 0
	global_store_b64 v[0:1], v[2:3], off
.LBB126_3644:
	s_mov_b32 s35, 0
.LBB126_3645:
	s_delay_alu instid0(SALU_CYCLE_1)
	s_and_not1_b32 vcc_lo, exec_lo, s35
	s_cbranch_vccnz .LBB126_3647
; %bb.3646:
	s_wait_xcnt 0x0
	v_mov_b32_e32 v2, 0
	global_store_b32 v[0:1], v2, off
.LBB126_3647:
	s_mov_b32 s35, 0
.LBB126_3648:
	s_delay_alu instid0(SALU_CYCLE_1)
	s_and_not1_b32 vcc_lo, exec_lo, s35
	s_cbranch_vccnz .LBB126_3657
; %bb.3649:
	s_cmp_lt_i32 s34, 6
	s_mov_b32 s35, -1
	s_cbranch_scc1 .LBB126_3655
; %bb.3650:
	s_cmp_gt_i32 s34, 6
	s_cbranch_scc0 .LBB126_3652
; %bb.3651:
	s_wait_xcnt 0x0
	v_mov_b64_e32 v[2:3], 0
	s_mov_b32 s35, 0
	global_store_b64 v[0:1], v[2:3], off
.LBB126_3652:
	s_and_not1_b32 vcc_lo, exec_lo, s35
	s_cbranch_vccnz .LBB126_3654
; %bb.3653:
	s_wait_xcnt 0x0
	v_mov_b32_e32 v2, 0
	global_store_b32 v[0:1], v2, off
.LBB126_3654:
	s_mov_b32 s35, 0
.LBB126_3655:
	s_delay_alu instid0(SALU_CYCLE_1)
	s_and_not1_b32 vcc_lo, exec_lo, s35
	s_cbranch_vccnz .LBB126_3657
; %bb.3656:
	s_wait_xcnt 0x0
	v_mov_b32_e32 v2, 0
	global_store_b16 v[0:1], v2, off
.LBB126_3657:
	s_mov_b32 s35, 0
.LBB126_3658:
	s_delay_alu instid0(SALU_CYCLE_1)
	s_and_not1_b32 vcc_lo, exec_lo, s35
	s_cbranch_vccnz .LBB126_3674
; %bb.3659:
	s_cmp_lt_i32 s34, 2
	s_mov_b32 s35, -1
	s_cbranch_scc1 .LBB126_3669
; %bb.3660:
	s_cmp_lt_i32 s34, 3
	s_cbranch_scc1 .LBB126_3666
; %bb.3661:
	s_cmp_gt_i32 s34, 3
	s_cbranch_scc0 .LBB126_3663
; %bb.3662:
	s_wait_xcnt 0x0
	v_mov_b64_e32 v[2:3], 0
	s_mov_b32 s35, 0
	global_store_b64 v[0:1], v[2:3], off
.LBB126_3663:
	s_and_not1_b32 vcc_lo, exec_lo, s35
	s_cbranch_vccnz .LBB126_3665
; %bb.3664:
	s_wait_xcnt 0x0
	v_mov_b32_e32 v2, 0
	global_store_b32 v[0:1], v2, off
.LBB126_3665:
	s_mov_b32 s35, 0
.LBB126_3666:
	s_delay_alu instid0(SALU_CYCLE_1)
	s_and_not1_b32 vcc_lo, exec_lo, s35
	s_cbranch_vccnz .LBB126_3668
; %bb.3667:
	s_wait_xcnt 0x0
	v_mov_b32_e32 v2, 0
	global_store_b16 v[0:1], v2, off
.LBB126_3668:
	s_mov_b32 s35, 0
.LBB126_3669:
	s_delay_alu instid0(SALU_CYCLE_1)
	s_and_not1_b32 vcc_lo, exec_lo, s35
	s_cbranch_vccnz .LBB126_3674
; %bb.3670:
	s_cmp_gt_i32 s34, 0
	s_mov_b32 s34, -1
	s_cbranch_scc0 .LBB126_3672
; %bb.3671:
	s_wait_xcnt 0x0
	v_mov_b32_e32 v2, 0
	s_mov_b32 s34, 0
	global_store_b8 v[0:1], v2, off
.LBB126_3672:
	s_and_not1_b32 vcc_lo, exec_lo, s34
	s_cbranch_vccnz .LBB126_3674
; %bb.3673:
	s_wait_xcnt 0x0
	v_mov_b32_e32 v2, 0
	global_store_b8 v[0:1], v2, off
.LBB126_3674:
	s_mov_b32 s44, -1
.LBB126_3675:
	s_delay_alu instid0(SALU_CYCLE_1)
	s_and_not1_b32 vcc_lo, exec_lo, s44
	s_cbranch_vccnz .LBB126_3677
; %bb.3676:
	v_add_nc_u32_e32 v22, 0x80, v22
	s_mov_b32 s34, -1
	s_branch .LBB126_3678
.LBB126_3677:
	s_mov_b32 s34, 0
                                        ; implicit-def: $vgpr22
.LBB126_3678:
	s_and_not1_b32 s35, s80, exec_lo
	s_and_b32 s31, s31, exec_lo
	s_and_not1_b32 s0, s0, exec_lo
	s_or_b32 s31, s35, s31
	s_and_b32 s34, s34, exec_lo
.LBB126_3679:
	s_wait_xcnt 0x0
	s_or_b32 exec_lo, exec_lo, s1
	s_delay_alu instid0(SALU_CYCLE_1)
	s_and_not1_b32 s1, s80, exec_lo
	s_and_b32 s31, s31, exec_lo
	s_and_not1_b32 s44, s81, exec_lo
	s_and_b32 s0, s0, exec_lo
	s_or_b32 s35, s1, s31
	s_or_b32 s0, s44, s0
	s_xor_b32 s31, exec_lo, -1
	s_and_b32 s1, s34, exec_lo
.LBB126_3680:
	s_or_b32 exec_lo, exec_lo, s92
	s_delay_alu instid0(SALU_CYCLE_1)
	s_and_not1_b32 s34, s80, exec_lo
	s_and_b32 s35, s35, exec_lo
	s_and_b32 s0, s0, exec_lo
	s_or_b32 s44, s34, s35
	s_and_not1_b32 s34, s81, exec_lo
	s_and_not1_b32 s35, s82, exec_lo
	s_and_b32 s45, s31, exec_lo
	s_or_b32 s31, s34, s0
	s_or_b32 s35, s35, s45
	s_xor_b32 s34, exec_lo, -1
	s_and_b32 s0, s1, exec_lo
.LBB126_3681:
	s_or_b32 exec_lo, exec_lo, s91
	s_delay_alu instid0(SALU_CYCLE_1)
	s_and_not1_b32 s1, s80, exec_lo
	s_and_b32 s44, s44, exec_lo
	s_and_not1_b32 s45, s81, exec_lo
	s_and_b32 s31, s31, exec_lo
	s_or_b32 s1, s1, s44
	s_or_b32 s31, s45, s31
	s_and_not1_b32 s44, s82, exec_lo
	s_and_b32 s35, s35, exec_lo
	s_and_not1_b32 s45, s78, exec_lo
	s_and_b32 s46, s34, exec_lo
	s_or_b32 s34, s44, s35
	s_or_b32 s44, s45, s46
	s_xor_b32 s35, exec_lo, -1
	s_and_b32 s0, s0, exec_lo
	s_or_b32 exec_lo, exec_lo, s90
	s_branch .LBB126_2046
.LBB126_3682:
	s_mov_b32 s1, -1
.LBB126_3683:
	s_mov_b32 s30, 0
                                        ; implicit-def: $vgpr10_vgpr11
.LBB126_3684:
	s_and_b32 vcc_lo, exec_lo, s17
	s_cbranch_vccz .LBB126_3688
; %bb.3685:
	s_cmp_eq_u32 s0, 44
	s_cbranch_scc0 .LBB126_3687
; %bb.3686:
	global_load_u8 v1, v[12:13], off
	s_mov_b32 s1, 0
	s_mov_b32 s30, -1
	s_wait_loadcnt 0x0
	v_lshlrev_b32_e32 v3, 23, v1
	v_cmp_ne_u32_e32 vcc_lo, 0, v1
	s_delay_alu instid0(VALU_DEP_2) | instskip(NEXT) | instid1(VALU_DEP_1)
	v_trunc_f32_e32 v3, v3
	v_mul_f32_e64 v5, 0x2f800000, |v3|
	v_ashrrev_i32_e32 v10, 31, v3
	s_delay_alu instid0(VALU_DEP_2) | instskip(NEXT) | instid1(VALU_DEP_2)
	v_floor_f32_e32 v5, v5
	v_mov_b32_e32 v11, v10
	s_delay_alu instid0(VALU_DEP_2) | instskip(SKIP_1) | instid1(VALU_DEP_2)
	v_fma_f32 v7, 0xcf800000, v5, |v3|
	v_cvt_u32_f32_e32 v3, v5
	v_cvt_u32_f32_e32 v5, v7
	s_delay_alu instid0(VALU_DEP_2) | instskip(NEXT) | instid1(VALU_DEP_2)
	v_xor_b32_e32 v15, v3, v10
	v_xor_b32_e32 v14, v5, v10
	s_delay_alu instid0(VALU_DEP_1) | instskip(NEXT) | instid1(VALU_DEP_1)
	v_sub_nc_u64_e32 v[10:11], v[14:15], v[10:11]
	v_dual_cndmask_b32 v11, 0, v11 :: v_dual_cndmask_b32 v10, 0, v10
	s_branch .LBB126_3688
.LBB126_3687:
	s_mov_b32 s1, -1
                                        ; implicit-def: $vgpr10_vgpr11
.LBB126_3688:
	s_mov_b32 s17, 0
.LBB126_3689:
	s_delay_alu instid0(SALU_CYCLE_1)
	s_and_b32 vcc_lo, exec_lo, s17
	s_cbranch_vccz .LBB126_3693
; %bb.3690:
	s_cmp_eq_u32 s0, 29
	s_cbranch_scc0 .LBB126_3692
; %bb.3691:
	global_load_b64 v[10:11], v[12:13], off
	s_mov_b32 s1, 0
	s_mov_b32 s30, -1
	s_branch .LBB126_3693
.LBB126_3692:
	s_mov_b32 s1, -1
                                        ; implicit-def: $vgpr10_vgpr11
.LBB126_3693:
	s_mov_b32 s17, 0
.LBB126_3694:
	s_delay_alu instid0(SALU_CYCLE_1)
	s_and_b32 vcc_lo, exec_lo, s17
	s_cbranch_vccz .LBB126_3710
; %bb.3695:
	s_cmp_lt_i32 s0, 27
	s_cbranch_scc1 .LBB126_3698
; %bb.3696:
	s_cmp_gt_i32 s0, 27
	s_cbranch_scc0 .LBB126_3699
; %bb.3697:
	s_wait_loadcnt 0x0
	global_load_b32 v10, v[12:13], off
	v_mov_b32_e32 v11, 0
	s_mov_b32 s17, 0
	s_branch .LBB126_3700
.LBB126_3698:
	s_mov_b32 s17, -1
                                        ; implicit-def: $vgpr10_vgpr11
	s_branch .LBB126_3703
.LBB126_3699:
	s_mov_b32 s17, -1
                                        ; implicit-def: $vgpr10_vgpr11
.LBB126_3700:
	s_delay_alu instid0(SALU_CYCLE_1)
	s_and_not1_b32 vcc_lo, exec_lo, s17
	s_cbranch_vccnz .LBB126_3702
; %bb.3701:
	global_load_u16 v1, v[12:13], off
	s_mov_b32 s17, 0
	s_wait_loadcnt 0x1
	v_mov_b32_e32 v11, s17
	s_wait_loadcnt 0x0
	v_and_b32_e32 v10, 0xffff, v1
.LBB126_3702:
	s_mov_b32 s17, 0
.LBB126_3703:
	s_delay_alu instid0(SALU_CYCLE_1)
	s_and_not1_b32 vcc_lo, exec_lo, s17
	s_cbranch_vccnz .LBB126_3709
; %bb.3704:
	global_load_u8 v1, v[12:13], off
	s_mov_b32 s30, 0
	s_mov_b32 s17, exec_lo
	s_wait_loadcnt 0x0
	v_cmpx_lt_i16_e32 0x7f, v1
	s_xor_b32 s17, exec_lo, s17
	s_cbranch_execz .LBB126_3721
; %bb.3705:
	v_cmp_ne_u16_e32 vcc_lo, 0x80, v1
	s_and_b32 s30, vcc_lo, exec_lo
	s_and_not1_saveexec_b32 s17, s17
	s_cbranch_execnz .LBB126_3722
.LBB126_3706:
	s_or_b32 exec_lo, exec_lo, s17
	v_mov_b64_e32 v[10:11], 0
	s_and_saveexec_b32 s17, s30
	s_cbranch_execz .LBB126_3708
.LBB126_3707:
	v_and_b32_e32 v3, 0xffff, v1
	s_delay_alu instid0(VALU_DEP_1) | instskip(SKIP_1) | instid1(VALU_DEP_2)
	v_dual_lshlrev_b32 v1, 24, v1 :: v_dual_bitop2_b32 v5, 7, v3 bitop3:0x40
	v_bfe_u32 v10, v3, 3, 4
	v_and_b32_e32 v1, 0x80000000, v1
	s_delay_alu instid0(VALU_DEP_3) | instskip(NEXT) | instid1(VALU_DEP_3)
	v_clz_i32_u32_e32 v7, v5
	v_cmp_eq_u32_e32 vcc_lo, 0, v10
	s_delay_alu instid0(VALU_DEP_2) | instskip(NEXT) | instid1(VALU_DEP_1)
	v_min_u32_e32 v7, 32, v7
	v_subrev_nc_u32_e32 v9, 28, v7
	v_sub_nc_u32_e32 v7, 29, v7
	s_delay_alu instid0(VALU_DEP_2) | instskip(NEXT) | instid1(VALU_DEP_2)
	v_lshlrev_b32_e32 v3, v9, v3
	v_cndmask_b32_e32 v7, v10, v7, vcc_lo
	s_delay_alu instid0(VALU_DEP_2) | instskip(NEXT) | instid1(VALU_DEP_1)
	v_and_b32_e32 v3, 7, v3
	v_cndmask_b32_e32 v3, v5, v3, vcc_lo
	s_delay_alu instid0(VALU_DEP_3) | instskip(NEXT) | instid1(VALU_DEP_2)
	v_lshl_add_u32 v5, v7, 23, 0x3b800000
	v_lshlrev_b32_e32 v3, 20, v3
	s_delay_alu instid0(VALU_DEP_1) | instskip(NEXT) | instid1(VALU_DEP_1)
	v_or3_b32 v1, v1, v5, v3
	v_trunc_f32_e32 v1, v1
	s_delay_alu instid0(VALU_DEP_1) | instskip(SKIP_1) | instid1(VALU_DEP_2)
	v_mul_f32_e64 v3, 0x2f800000, |v1|
	v_ashrrev_i32_e32 v10, 31, v1
	v_floor_f32_e32 v3, v3
	s_delay_alu instid0(VALU_DEP_2) | instskip(NEXT) | instid1(VALU_DEP_2)
	v_mov_b32_e32 v11, v10
	v_fma_f32 v5, 0xcf800000, v3, |v1|
	v_cvt_u32_f32_e32 v1, v3
	s_delay_alu instid0(VALU_DEP_2) | instskip(NEXT) | instid1(VALU_DEP_2)
	v_cvt_u32_f32_e32 v3, v5
	v_xor_b32_e32 v15, v1, v10
	s_delay_alu instid0(VALU_DEP_2) | instskip(NEXT) | instid1(VALU_DEP_1)
	v_xor_b32_e32 v14, v3, v10
	v_sub_nc_u64_e32 v[10:11], v[14:15], v[10:11]
.LBB126_3708:
	s_or_b32 exec_lo, exec_lo, s17
.LBB126_3709:
	s_mov_b32 s30, -1
.LBB126_3710:
	s_mov_b32 s17, 0
.LBB126_3711:
	s_delay_alu instid0(SALU_CYCLE_1)
	s_and_b32 vcc_lo, exec_lo, s17
	s_cbranch_vccz .LBB126_3742
; %bb.3712:
	s_cmp_gt_i32 s0, 22
	s_cbranch_scc0 .LBB126_3720
; %bb.3713:
	s_cmp_lt_i32 s0, 24
	s_cbranch_scc1 .LBB126_3723
; %bb.3714:
	s_cmp_gt_i32 s0, 24
	s_cbranch_scc0 .LBB126_3724
; %bb.3715:
	global_load_u8 v1, v[12:13], off
	s_mov_b32 s17, exec_lo
	s_wait_loadcnt 0x0
	v_cmpx_lt_i16_e32 0x7f, v1
	s_xor_b32 s17, exec_lo, s17
	s_cbranch_execz .LBB126_3736
; %bb.3716:
	v_cmp_ne_u16_e32 vcc_lo, 0x80, v1
	s_and_b32 s29, vcc_lo, exec_lo
	s_and_not1_saveexec_b32 s17, s17
	s_cbranch_execnz .LBB126_3737
.LBB126_3717:
	s_or_b32 exec_lo, exec_lo, s17
	v_mov_b64_e32 v[10:11], 0
	s_and_saveexec_b32 s17, s29
	s_cbranch_execz .LBB126_3719
.LBB126_3718:
	v_and_b32_e32 v3, 0xffff, v1
	s_delay_alu instid0(VALU_DEP_1) | instskip(SKIP_1) | instid1(VALU_DEP_2)
	v_dual_lshlrev_b32 v1, 24, v1 :: v_dual_bitop2_b32 v5, 3, v3 bitop3:0x40
	v_bfe_u32 v10, v3, 2, 5
	v_and_b32_e32 v1, 0x80000000, v1
	s_delay_alu instid0(VALU_DEP_3) | instskip(NEXT) | instid1(VALU_DEP_3)
	v_clz_i32_u32_e32 v7, v5
	v_cmp_eq_u32_e32 vcc_lo, 0, v10
	s_delay_alu instid0(VALU_DEP_2) | instskip(NEXT) | instid1(VALU_DEP_1)
	v_min_u32_e32 v7, 32, v7
	v_subrev_nc_u32_e32 v9, 29, v7
	v_sub_nc_u32_e32 v7, 30, v7
	s_delay_alu instid0(VALU_DEP_2) | instskip(NEXT) | instid1(VALU_DEP_2)
	v_lshlrev_b32_e32 v3, v9, v3
	v_cndmask_b32_e32 v7, v10, v7, vcc_lo
	s_delay_alu instid0(VALU_DEP_2) | instskip(NEXT) | instid1(VALU_DEP_1)
	v_and_b32_e32 v3, 3, v3
	v_cndmask_b32_e32 v3, v5, v3, vcc_lo
	s_delay_alu instid0(VALU_DEP_3) | instskip(NEXT) | instid1(VALU_DEP_2)
	v_lshl_add_u32 v5, v7, 23, 0x37800000
	v_lshlrev_b32_e32 v3, 21, v3
	s_delay_alu instid0(VALU_DEP_1) | instskip(NEXT) | instid1(VALU_DEP_1)
	v_or3_b32 v1, v1, v5, v3
	v_trunc_f32_e32 v1, v1
	s_delay_alu instid0(VALU_DEP_1) | instskip(SKIP_1) | instid1(VALU_DEP_2)
	v_mul_f32_e64 v3, 0x2f800000, |v1|
	v_ashrrev_i32_e32 v10, 31, v1
	v_floor_f32_e32 v3, v3
	s_delay_alu instid0(VALU_DEP_2) | instskip(NEXT) | instid1(VALU_DEP_2)
	v_mov_b32_e32 v11, v10
	v_fma_f32 v5, 0xcf800000, v3, |v1|
	v_cvt_u32_f32_e32 v1, v3
	s_delay_alu instid0(VALU_DEP_2) | instskip(NEXT) | instid1(VALU_DEP_2)
	v_cvt_u32_f32_e32 v3, v5
	v_xor_b32_e32 v15, v1, v10
	s_delay_alu instid0(VALU_DEP_2) | instskip(NEXT) | instid1(VALU_DEP_1)
	v_xor_b32_e32 v14, v3, v10
	v_sub_nc_u64_e32 v[10:11], v[14:15], v[10:11]
.LBB126_3719:
	s_or_b32 exec_lo, exec_lo, s17
	s_mov_b32 s17, 0
	s_branch .LBB126_3725
.LBB126_3720:
	s_mov_b32 s17, -1
                                        ; implicit-def: $vgpr10_vgpr11
	s_branch .LBB126_3731
.LBB126_3721:
	s_and_not1_saveexec_b32 s17, s17
	s_cbranch_execz .LBB126_3706
.LBB126_3722:
	v_cmp_ne_u16_e32 vcc_lo, 0, v1
	s_and_not1_b32 s30, s30, exec_lo
	s_and_b32 s31, vcc_lo, exec_lo
	s_delay_alu instid0(SALU_CYCLE_1)
	s_or_b32 s30, s30, s31
	s_or_b32 exec_lo, exec_lo, s17
	v_mov_b64_e32 v[10:11], 0
	s_and_saveexec_b32 s17, s30
	s_cbranch_execnz .LBB126_3707
	s_branch .LBB126_3708
.LBB126_3723:
	s_mov_b32 s17, -1
                                        ; implicit-def: $vgpr10_vgpr11
	s_branch .LBB126_3728
.LBB126_3724:
	s_mov_b32 s17, -1
                                        ; implicit-def: $vgpr10_vgpr11
.LBB126_3725:
	s_delay_alu instid0(SALU_CYCLE_1)
	s_and_b32 vcc_lo, exec_lo, s17
	s_cbranch_vccz .LBB126_3727
; %bb.3726:
	global_load_u8 v1, v[12:13], off
	s_wait_loadcnt 0x0
	v_lshlrev_b32_e32 v1, 24, v1
	s_delay_alu instid0(VALU_DEP_1) | instskip(NEXT) | instid1(VALU_DEP_1)
	v_and_b32_e32 v3, 0x7f000000, v1
	v_clz_i32_u32_e32 v5, v3
	v_add_nc_u32_e32 v9, 0x1000000, v3
	v_cmp_ne_u32_e32 vcc_lo, 0, v3
	s_delay_alu instid0(VALU_DEP_3) | instskip(NEXT) | instid1(VALU_DEP_1)
	v_min_u32_e32 v5, 32, v5
	v_sub_nc_u32_e64 v5, v5, 4 clamp
	s_delay_alu instid0(VALU_DEP_1) | instskip(NEXT) | instid1(VALU_DEP_1)
	v_dual_lshlrev_b32 v7, v5, v3 :: v_dual_lshlrev_b32 v5, 23, v5
	v_lshrrev_b32_e32 v7, 4, v7
	s_delay_alu instid0(VALU_DEP_1) | instskip(SKIP_1) | instid1(VALU_DEP_2)
	v_sub_nc_u32_e32 v5, v7, v5
	v_ashrrev_i32_e32 v7, 8, v9
	v_add_nc_u32_e32 v5, 0x3c000000, v5
	s_delay_alu instid0(VALU_DEP_1) | instskip(NEXT) | instid1(VALU_DEP_1)
	v_and_or_b32 v5, 0x7f800000, v7, v5
	v_cndmask_b32_e32 v3, 0, v5, vcc_lo
	s_delay_alu instid0(VALU_DEP_1) | instskip(NEXT) | instid1(VALU_DEP_1)
	v_and_or_b32 v1, 0x80000000, v1, v3
	v_trunc_f32_e32 v1, v1
	s_delay_alu instid0(VALU_DEP_1) | instskip(SKIP_1) | instid1(VALU_DEP_2)
	v_mul_f32_e64 v3, 0x2f800000, |v1|
	v_ashrrev_i32_e32 v10, 31, v1
	v_floor_f32_e32 v3, v3
	s_delay_alu instid0(VALU_DEP_2) | instskip(NEXT) | instid1(VALU_DEP_2)
	v_mov_b32_e32 v11, v10
	v_fma_f32 v5, 0xcf800000, v3, |v1|
	v_cvt_u32_f32_e32 v1, v3
	s_delay_alu instid0(VALU_DEP_2) | instskip(NEXT) | instid1(VALU_DEP_2)
	v_cvt_u32_f32_e32 v3, v5
	v_xor_b32_e32 v15, v1, v10
	s_delay_alu instid0(VALU_DEP_2) | instskip(NEXT) | instid1(VALU_DEP_1)
	v_xor_b32_e32 v14, v3, v10
	v_sub_nc_u64_e32 v[10:11], v[14:15], v[10:11]
.LBB126_3727:
	s_mov_b32 s17, 0
.LBB126_3728:
	s_delay_alu instid0(SALU_CYCLE_1)
	s_and_not1_b32 vcc_lo, exec_lo, s17
	s_cbranch_vccnz .LBB126_3730
; %bb.3729:
	global_load_u8 v1, v[12:13], off
	s_wait_loadcnt 0x0
	v_lshlrev_b32_e32 v3, 25, v1
	v_lshlrev_b16 v1, 8, v1
	s_delay_alu instid0(VALU_DEP_1) | instskip(SKIP_1) | instid1(VALU_DEP_2)
	v_and_or_b32 v7, 0x7f00, v1, 0.5
	v_bfe_i32 v1, v1, 0, 16
	v_add_f32_e32 v7, -0.5, v7
	v_lshrrev_b32_e32 v5, 4, v3
	v_cmp_gt_u32_e32 vcc_lo, 0x8000000, v3
	s_delay_alu instid0(VALU_DEP_2) | instskip(NEXT) | instid1(VALU_DEP_1)
	v_or_b32_e32 v5, 0x70000000, v5
	v_mul_f32_e32 v5, 0x7800000, v5
	s_delay_alu instid0(VALU_DEP_1) | instskip(NEXT) | instid1(VALU_DEP_1)
	v_cndmask_b32_e32 v3, v5, v7, vcc_lo
	v_and_or_b32 v1, 0x80000000, v1, v3
	s_delay_alu instid0(VALU_DEP_1) | instskip(NEXT) | instid1(VALU_DEP_1)
	v_trunc_f32_e32 v1, v1
	v_mul_f32_e64 v3, 0x2f800000, |v1|
	v_ashrrev_i32_e32 v10, 31, v1
	s_delay_alu instid0(VALU_DEP_2) | instskip(NEXT) | instid1(VALU_DEP_2)
	v_floor_f32_e32 v3, v3
	v_mov_b32_e32 v11, v10
	s_delay_alu instid0(VALU_DEP_2) | instskip(SKIP_1) | instid1(VALU_DEP_2)
	v_fma_f32 v5, 0xcf800000, v3, |v1|
	v_cvt_u32_f32_e32 v1, v3
	v_cvt_u32_f32_e32 v3, v5
	s_delay_alu instid0(VALU_DEP_2) | instskip(NEXT) | instid1(VALU_DEP_2)
	v_xor_b32_e32 v15, v1, v10
	v_xor_b32_e32 v14, v3, v10
	s_delay_alu instid0(VALU_DEP_1)
	v_sub_nc_u64_e32 v[10:11], v[14:15], v[10:11]
.LBB126_3730:
	s_mov_b32 s17, 0
	s_mov_b32 s30, -1
.LBB126_3731:
	s_and_not1_b32 vcc_lo, exec_lo, s17
	s_mov_b32 s29, 0
	s_cbranch_vccnz .LBB126_3742
; %bb.3732:
	s_cmp_gt_i32 s0, 14
	s_cbranch_scc0 .LBB126_3735
; %bb.3733:
	s_cmp_eq_u32 s0, 15
	s_cbranch_scc0 .LBB126_3738
; %bb.3734:
	global_load_u16 v1, v[12:13], off
	s_mov_b32 s1, 0
	s_mov_b32 s30, -1
	s_wait_loadcnt 0x0
	v_lshlrev_b32_e32 v1, 16, v1
	s_delay_alu instid0(VALU_DEP_1) | instskip(NEXT) | instid1(VALU_DEP_1)
	v_trunc_f32_e32 v1, v1
	v_mul_f32_e64 v3, 0x2f800000, |v1|
	v_ashrrev_i32_e32 v10, 31, v1
	s_delay_alu instid0(VALU_DEP_2) | instskip(NEXT) | instid1(VALU_DEP_2)
	v_floor_f32_e32 v3, v3
	v_mov_b32_e32 v11, v10
	s_delay_alu instid0(VALU_DEP_2) | instskip(SKIP_1) | instid1(VALU_DEP_2)
	v_fma_f32 v5, 0xcf800000, v3, |v1|
	v_cvt_u32_f32_e32 v1, v3
	v_cvt_u32_f32_e32 v3, v5
	s_delay_alu instid0(VALU_DEP_2) | instskip(NEXT) | instid1(VALU_DEP_2)
	v_xor_b32_e32 v15, v1, v10
	v_xor_b32_e32 v14, v3, v10
	s_delay_alu instid0(VALU_DEP_1)
	v_sub_nc_u64_e32 v[10:11], v[14:15], v[10:11]
	s_branch .LBB126_3739
.LBB126_3735:
	s_mov_b32 s17, -1
                                        ; implicit-def: $vgpr10_vgpr11
	s_branch .LBB126_3740
.LBB126_3736:
	s_and_not1_saveexec_b32 s17, s17
	s_cbranch_execz .LBB126_3717
.LBB126_3737:
	v_cmp_ne_u16_e32 vcc_lo, 0, v1
	s_and_not1_b32 s29, s29, exec_lo
	s_and_b32 s30, vcc_lo, exec_lo
	s_delay_alu instid0(SALU_CYCLE_1)
	s_or_b32 s29, s29, s30
	s_or_b32 exec_lo, exec_lo, s17
	v_mov_b64_e32 v[10:11], 0
	s_and_saveexec_b32 s17, s29
	s_cbranch_execnz .LBB126_3718
	s_branch .LBB126_3719
.LBB126_3738:
	s_mov_b32 s1, -1
                                        ; implicit-def: $vgpr10_vgpr11
.LBB126_3739:
	s_mov_b32 s17, 0
.LBB126_3740:
	s_delay_alu instid0(SALU_CYCLE_1)
	s_and_b32 vcc_lo, exec_lo, s17
	s_cbranch_vccz .LBB126_3742
; %bb.3741:
	s_cmp_lg_u32 s0, 11
	s_mov_b32 s29, -1
	s_cselect_b32 s1, -1, 0
.LBB126_3742:
	s_delay_alu instid0(SALU_CYCLE_1)
	s_and_b32 vcc_lo, exec_lo, s1
	s_mov_b32 s17, s48
	s_cbranch_vccnz .LBB126_3807
; %bb.3743:
	s_and_not1_b32 vcc_lo, exec_lo, s29
	s_cbranch_vccnz .LBB126_3745
.LBB126_3744:
	global_load_u8 v1, v[12:13], off
	s_mov_b32 s0, 0
	s_mov_b32 s30, -1
	s_wait_loadcnt 0x1
	v_mov_b32_e32 v11, s0
	s_wait_loadcnt 0x0
	v_cmp_ne_u16_e32 vcc_lo, 0, v1
	v_cndmask_b32_e64 v10, 0, 1, vcc_lo
.LBB126_3745:
	s_mov_b32 s0, 0
.LBB126_3746:
	s_delay_alu instid0(SALU_CYCLE_1)
	s_and_b32 vcc_lo, exec_lo, s0
	s_cbranch_vccz .LBB126_3795
; %bb.3747:
	s_and_b32 s0, 0xffff, s57
	s_delay_alu instid0(SALU_CYCLE_1)
	s_cmp_lt_i32 s0, 5
	s_cbranch_scc1 .LBB126_3752
; %bb.3748:
	s_cmp_lt_i32 s0, 8
	s_cbranch_scc1 .LBB126_3753
; %bb.3749:
	s_cmp_lt_i32 s0, 9
	s_cbranch_scc1 .LBB126_3754
; %bb.3750:
	s_cmp_gt_i32 s0, 9
	s_cbranch_scc0 .LBB126_3755
; %bb.3751:
	s_wait_loadcnt 0x0
	global_load_b64 v[10:11], v[12:13], off
	s_mov_b32 s1, 0
	s_wait_loadcnt 0x0
	v_trunc_f64_e32 v[10:11], v[10:11]
	s_delay_alu instid0(VALU_DEP_1) | instskip(NEXT) | instid1(VALU_DEP_1)
	v_ldexp_f64 v[14:15], v[10:11], 0xffffffe0
	v_floor_f64_e32 v[14:15], v[14:15]
	s_delay_alu instid0(VALU_DEP_1) | instskip(SKIP_1) | instid1(VALU_DEP_2)
	v_fmamk_f64 v[16:17], v[14:15], 0xc1f00000, v[10:11]
	v_cvt_i32_f64_e32 v11, v[14:15]
	v_cvt_u32_f64_e32 v10, v[16:17]
	s_branch .LBB126_3756
.LBB126_3752:
	s_mov_b32 s1, -1
                                        ; implicit-def: $vgpr10_vgpr11
	s_branch .LBB126_3774
.LBB126_3753:
	s_mov_b32 s1, -1
                                        ; implicit-def: $vgpr10_vgpr11
	s_branch .LBB126_3762
.LBB126_3754:
	s_mov_b32 s1, -1
                                        ; implicit-def: $vgpr10_vgpr11
	s_branch .LBB126_3759
.LBB126_3755:
	s_mov_b32 s1, -1
                                        ; implicit-def: $vgpr10_vgpr11
.LBB126_3756:
	s_delay_alu instid0(SALU_CYCLE_1)
	s_and_not1_b32 vcc_lo, exec_lo, s1
	s_cbranch_vccnz .LBB126_3758
; %bb.3757:
	global_load_b32 v1, v[12:13], off
	s_wait_loadcnt 0x0
	v_trunc_f32_e32 v1, v1
	s_delay_alu instid0(VALU_DEP_1) | instskip(SKIP_1) | instid1(VALU_DEP_2)
	v_mul_f32_e64 v3, 0x2f800000, |v1|
	v_ashrrev_i32_e32 v10, 31, v1
	v_floor_f32_e32 v3, v3
	s_delay_alu instid0(VALU_DEP_1) | instskip(SKIP_1) | instid1(VALU_DEP_4)
	v_fma_f32 v5, 0xcf800000, v3, |v1|
	v_cvt_u32_f32_e32 v1, v3
	v_mov_b32_e32 v11, v10
	s_delay_alu instid0(VALU_DEP_3) | instskip(NEXT) | instid1(VALU_DEP_3)
	v_cvt_u32_f32_e32 v3, v5
	v_xor_b32_e32 v15, v1, v10
	s_delay_alu instid0(VALU_DEP_2) | instskip(NEXT) | instid1(VALU_DEP_1)
	v_xor_b32_e32 v14, v3, v10
	v_sub_nc_u64_e32 v[10:11], v[14:15], v[10:11]
.LBB126_3758:
	s_mov_b32 s1, 0
.LBB126_3759:
	s_delay_alu instid0(SALU_CYCLE_1)
	s_and_not1_b32 vcc_lo, exec_lo, s1
	s_cbranch_vccnz .LBB126_3761
; %bb.3760:
	global_load_b32 v1, v[12:13], off
	s_wait_loadcnt 0x0
	v_cvt_f32_f16_e32 v1, v1
	s_delay_alu instid0(VALU_DEP_1) | instskip(NEXT) | instid1(VALU_DEP_1)
	v_cvt_i32_f32_e32 v10, v1
	v_ashrrev_i32_e32 v11, 31, v10
.LBB126_3761:
	s_mov_b32 s1, 0
.LBB126_3762:
	s_delay_alu instid0(SALU_CYCLE_1)
	s_and_not1_b32 vcc_lo, exec_lo, s1
	s_cbranch_vccnz .LBB126_3773
; %bb.3763:
	s_cmp_lt_i32 s0, 6
	s_cbranch_scc1 .LBB126_3766
; %bb.3764:
	s_cmp_gt_i32 s0, 6
	s_cbranch_scc0 .LBB126_3767
; %bb.3765:
	s_wait_loadcnt 0x0
	global_load_b64 v[10:11], v[12:13], off
	s_mov_b32 s1, 0
	s_wait_loadcnt 0x0
	v_trunc_f64_e32 v[10:11], v[10:11]
	s_delay_alu instid0(VALU_DEP_1) | instskip(NEXT) | instid1(VALU_DEP_1)
	v_ldexp_f64 v[14:15], v[10:11], 0xffffffe0
	v_floor_f64_e32 v[14:15], v[14:15]
	s_delay_alu instid0(VALU_DEP_1) | instskip(SKIP_1) | instid1(VALU_DEP_2)
	v_fmamk_f64 v[16:17], v[14:15], 0xc1f00000, v[10:11]
	v_cvt_i32_f64_e32 v11, v[14:15]
	v_cvt_u32_f64_e32 v10, v[16:17]
	s_branch .LBB126_3768
.LBB126_3766:
	s_mov_b32 s1, -1
                                        ; implicit-def: $vgpr10_vgpr11
	s_branch .LBB126_3771
.LBB126_3767:
	s_mov_b32 s1, -1
                                        ; implicit-def: $vgpr10_vgpr11
.LBB126_3768:
	s_delay_alu instid0(SALU_CYCLE_1)
	s_and_not1_b32 vcc_lo, exec_lo, s1
	s_cbranch_vccnz .LBB126_3770
; %bb.3769:
	global_load_b32 v1, v[12:13], off
	s_wait_loadcnt 0x0
	v_trunc_f32_e32 v1, v1
	s_delay_alu instid0(VALU_DEP_1) | instskip(SKIP_1) | instid1(VALU_DEP_2)
	v_mul_f32_e64 v3, 0x2f800000, |v1|
	v_ashrrev_i32_e32 v10, 31, v1
	v_floor_f32_e32 v3, v3
	s_delay_alu instid0(VALU_DEP_1) | instskip(SKIP_1) | instid1(VALU_DEP_4)
	v_fma_f32 v5, 0xcf800000, v3, |v1|
	v_cvt_u32_f32_e32 v1, v3
	v_mov_b32_e32 v11, v10
	s_delay_alu instid0(VALU_DEP_3) | instskip(NEXT) | instid1(VALU_DEP_3)
	v_cvt_u32_f32_e32 v3, v5
	v_xor_b32_e32 v15, v1, v10
	s_delay_alu instid0(VALU_DEP_2) | instskip(NEXT) | instid1(VALU_DEP_1)
	v_xor_b32_e32 v14, v3, v10
	v_sub_nc_u64_e32 v[10:11], v[14:15], v[10:11]
.LBB126_3770:
	s_mov_b32 s1, 0
.LBB126_3771:
	s_delay_alu instid0(SALU_CYCLE_1)
	s_and_not1_b32 vcc_lo, exec_lo, s1
	s_cbranch_vccnz .LBB126_3773
; %bb.3772:
	global_load_u16 v1, v[12:13], off
	s_wait_loadcnt 0x0
	v_cvt_f32_f16_e32 v1, v1
	s_delay_alu instid0(VALU_DEP_1) | instskip(NEXT) | instid1(VALU_DEP_1)
	v_cvt_i32_f32_e32 v10, v1
	v_ashrrev_i32_e32 v11, 31, v10
.LBB126_3773:
	s_mov_b32 s1, 0
.LBB126_3774:
	s_delay_alu instid0(SALU_CYCLE_1)
	s_and_not1_b32 vcc_lo, exec_lo, s1
	s_cbranch_vccnz .LBB126_3794
; %bb.3775:
	s_cmp_lt_i32 s0, 2
	s_cbranch_scc1 .LBB126_3779
; %bb.3776:
	s_cmp_lt_i32 s0, 3
	s_cbranch_scc1 .LBB126_3780
; %bb.3777:
	s_cmp_gt_i32 s0, 3
	s_cbranch_scc0 .LBB126_3781
; %bb.3778:
	s_wait_loadcnt 0x0
	global_load_b64 v[10:11], v[12:13], off
	s_mov_b32 s1, 0
	s_branch .LBB126_3782
.LBB126_3779:
	s_mov_b32 s1, -1
                                        ; implicit-def: $vgpr10_vgpr11
	s_branch .LBB126_3788
.LBB126_3780:
	s_mov_b32 s1, -1
                                        ; implicit-def: $vgpr10_vgpr11
	s_branch .LBB126_3785
.LBB126_3781:
	s_mov_b32 s1, -1
                                        ; implicit-def: $vgpr10_vgpr11
.LBB126_3782:
	s_delay_alu instid0(SALU_CYCLE_1)
	s_and_not1_b32 vcc_lo, exec_lo, s1
	s_cbranch_vccnz .LBB126_3784
; %bb.3783:
	s_wait_loadcnt 0x0
	global_load_b32 v10, v[12:13], off
	s_wait_loadcnt 0x0
	v_ashrrev_i32_e32 v11, 31, v10
.LBB126_3784:
	s_mov_b32 s1, 0
.LBB126_3785:
	s_delay_alu instid0(SALU_CYCLE_1)
	s_and_not1_b32 vcc_lo, exec_lo, s1
	s_cbranch_vccnz .LBB126_3787
; %bb.3786:
	global_load_u16 v1, v[12:13], off
	s_wait_loadcnt 0x0
	v_bfe_i32 v10, v1, 0, 16
	s_delay_alu instid0(VALU_DEP_1)
	v_ashrrev_i32_e32 v11, 31, v10
.LBB126_3787:
	s_mov_b32 s1, 0
.LBB126_3788:
	s_delay_alu instid0(SALU_CYCLE_1)
	s_and_not1_b32 vcc_lo, exec_lo, s1
	s_cbranch_vccnz .LBB126_3794
; %bb.3789:
	s_cmp_gt_i32 s0, 0
	s_mov_b32 s0, 0
	s_cbranch_scc0 .LBB126_3791
; %bb.3790:
	global_load_i8 v1, v[12:13], off
	s_wait_loadcnt 0x0
	v_bfe_i32 v10, v1, 0, 16
	s_delay_alu instid0(VALU_DEP_1)
	v_ashrrev_i32_e32 v11, 31, v10
	s_branch .LBB126_3792
.LBB126_3791:
	s_mov_b32 s0, -1
                                        ; implicit-def: $vgpr10_vgpr11
.LBB126_3792:
	s_delay_alu instid0(SALU_CYCLE_1)
	s_and_not1_b32 vcc_lo, exec_lo, s0
	s_cbranch_vccnz .LBB126_3794
; %bb.3793:
	global_load_u8 v1, v[12:13], off
	s_mov_b32 s0, 0
	s_wait_loadcnt 0x1
	v_mov_b32_e32 v11, s0
	s_wait_loadcnt 0x0
	v_and_b32_e32 v10, 0xffff, v1
.LBB126_3794:
	s_mov_b32 s30, -1
.LBB126_3795:
	s_delay_alu instid0(SALU_CYCLE_1)
	s_and_not1_b32 vcc_lo, exec_lo, s30
	s_cbranch_vccnz .LBB126_4318
; %bb.3796:
	s_lshl_b32 s70, s18, 7
	s_cmp_lt_i32 s58, 11
	v_add_nc_u32_e32 v2, s70, v2
	s_delay_alu instid0(VALU_DEP_1) | instskip(NEXT) | instid1(VALU_DEP_1)
	v_ashrrev_i32_e32 v3, 31, v2
	v_add_nc_u64_e32 v[14:15], s[8:9], v[2:3]
	s_cbranch_scc1 .LBB126_3803
; %bb.3797:
	s_and_b32 s0, 0xffff, s58
	s_mov_b32 s18, 0
	s_cmp_gt_i32 s0, 25
	s_cbranch_scc0 .LBB126_3804
; %bb.3798:
	s_cmp_gt_i32 s0, 28
	s_cbranch_scc0 .LBB126_3805
; %bb.3799:
	;; [unrolled: 3-line block ×4, first 2 shown]
	s_cmp_eq_u32 s0, 46
	s_mov_b32 s30, 0
	s_cbranch_scc0 .LBB126_3810
; %bb.3802:
	global_load_b32 v1, v[14:15], off
	s_mov_b32 s1, 0
	s_mov_b32 s29, -1
	s_wait_loadcnt 0x0
	v_lshlrev_b32_e32 v1, 16, v1
	s_delay_alu instid0(VALU_DEP_1) | instskip(NEXT) | instid1(VALU_DEP_1)
	v_trunc_f32_e32 v1, v1
	v_mul_f32_e64 v3, 0x2f800000, |v1|
	s_wait_xcnt 0x1
	v_ashrrev_i32_e32 v12, 31, v1
	s_delay_alu instid0(VALU_DEP_2) | instskip(NEXT) | instid1(VALU_DEP_2)
	v_floor_f32_e32 v3, v3
	v_mov_b32_e32 v13, v12
	s_delay_alu instid0(VALU_DEP_2) | instskip(SKIP_1) | instid1(VALU_DEP_2)
	v_fma_f32 v5, 0xcf800000, v3, |v1|
	v_cvt_u32_f32_e32 v1, v3
	v_cvt_u32_f32_e32 v3, v5
	s_delay_alu instid0(VALU_DEP_2) | instskip(NEXT) | instid1(VALU_DEP_2)
	v_xor_b32_e32 v17, v1, v12
	v_xor_b32_e32 v16, v3, v12
	s_delay_alu instid0(VALU_DEP_1)
	v_sub_nc_u64_e32 v[12:13], v[16:17], v[12:13]
	s_branch .LBB126_3812
.LBB126_3803:
	s_mov_b32 s0, -1
	s_mov_b32 s29, 0
                                        ; implicit-def: $vgpr12_vgpr13
	s_branch .LBB126_3874
.LBB126_3804:
	s_mov_b32 s30, -1
	s_mov_b32 s29, 0
	s_mov_b32 s1, 0
                                        ; implicit-def: $vgpr12_vgpr13
	s_branch .LBB126_3839
.LBB126_3805:
	s_mov_b32 s30, -1
	s_mov_b32 s29, 0
	s_mov_b32 s1, 0
                                        ; implicit-def: $vgpr12_vgpr13
	s_branch .LBB126_3822
.LBB126_3806:
	s_mov_b32 s30, -1
	s_mov_b32 s29, 0
	s_mov_b32 s1, 0
                                        ; implicit-def: $vgpr12_vgpr13
	s_branch .LBB126_3817
.LBB126_3807:
	s_or_b32 s17, s48, exec_lo
	s_trap 2
	s_cbranch_execz .LBB126_3744
	s_branch .LBB126_3745
.LBB126_3808:
	s_mov_b32 s30, -1
	s_mov_b32 s29, 0
	s_mov_b32 s1, 0
	s_branch .LBB126_3811
.LBB126_3809:
	s_or_b32 s43, s43, exec_lo
	s_trap 2
                                        ; implicit-def: $vgpr0
                                        ; implicit-def: $vgpr2
                                        ; implicit-def: $vgpr12_vgpr13
                                        ; implicit-def: $vgpr4
                                        ; implicit-def: $vgpr14_vgpr15
                                        ; implicit-def: $vgpr6
                                        ; implicit-def: $vgpr16_vgpr17
                                        ; implicit-def: $vgpr8
                                        ; implicit-def: $vgpr20_vgpr21
                                        ; implicit-def: $vgpr22
	s_branch .LBB126_3427
.LBB126_3810:
	s_mov_b32 s1, -1
	s_mov_b32 s29, 0
.LBB126_3811:
                                        ; implicit-def: $vgpr12_vgpr13
.LBB126_3812:
	s_and_b32 vcc_lo, exec_lo, s30
	s_cbranch_vccz .LBB126_3816
; %bb.3813:
	s_cmp_eq_u32 s0, 44
	s_cbranch_scc0 .LBB126_3815
; %bb.3814:
	global_load_u8 v1, v[14:15], off
	s_mov_b32 s1, 0
	s_mov_b32 s29, -1
	s_wait_loadcnt 0x0
	v_lshlrev_b32_e32 v3, 23, v1
	v_cmp_ne_u32_e32 vcc_lo, 0, v1
	s_delay_alu instid0(VALU_DEP_2) | instskip(NEXT) | instid1(VALU_DEP_1)
	v_trunc_f32_e32 v3, v3
	v_mul_f32_e64 v5, 0x2f800000, |v3|
	s_wait_xcnt 0x1
	v_ashrrev_i32_e32 v12, 31, v3
	s_delay_alu instid0(VALU_DEP_2) | instskip(NEXT) | instid1(VALU_DEP_2)
	v_floor_f32_e32 v5, v5
	v_mov_b32_e32 v13, v12
	s_delay_alu instid0(VALU_DEP_2) | instskip(SKIP_1) | instid1(VALU_DEP_2)
	v_fma_f32 v7, 0xcf800000, v5, |v3|
	v_cvt_u32_f32_e32 v3, v5
	v_cvt_u32_f32_e32 v5, v7
	s_delay_alu instid0(VALU_DEP_2) | instskip(NEXT) | instid1(VALU_DEP_2)
	v_xor_b32_e32 v17, v3, v12
	v_xor_b32_e32 v16, v5, v12
	s_delay_alu instid0(VALU_DEP_1) | instskip(NEXT) | instid1(VALU_DEP_1)
	v_sub_nc_u64_e32 v[12:13], v[16:17], v[12:13]
	v_dual_cndmask_b32 v13, 0, v13 :: v_dual_cndmask_b32 v12, 0, v12
	s_branch .LBB126_3816
.LBB126_3815:
	s_mov_b32 s1, -1
                                        ; implicit-def: $vgpr12_vgpr13
.LBB126_3816:
	s_mov_b32 s30, 0
.LBB126_3817:
	s_delay_alu instid0(SALU_CYCLE_1)
	s_and_b32 vcc_lo, exec_lo, s30
	s_cbranch_vccz .LBB126_3821
; %bb.3818:
	s_cmp_eq_u32 s0, 29
	s_cbranch_scc0 .LBB126_3820
; %bb.3819:
	global_load_b64 v[12:13], v[14:15], off
	s_mov_b32 s1, 0
	s_mov_b32 s29, -1
	s_branch .LBB126_3821
.LBB126_3820:
	s_mov_b32 s1, -1
                                        ; implicit-def: $vgpr12_vgpr13
.LBB126_3821:
	s_mov_b32 s30, 0
.LBB126_3822:
	s_delay_alu instid0(SALU_CYCLE_1)
	s_and_b32 vcc_lo, exec_lo, s30
	s_cbranch_vccz .LBB126_3838
; %bb.3823:
	s_cmp_lt_i32 s0, 27
	s_cbranch_scc1 .LBB126_3826
; %bb.3824:
	s_cmp_gt_i32 s0, 27
	s_cbranch_scc0 .LBB126_3827
; %bb.3825:
	s_wait_loadcnt 0x0
	global_load_b32 v12, v[14:15], off
	v_mov_b32_e32 v13, 0
	s_mov_b32 s29, 0
	s_branch .LBB126_3828
.LBB126_3826:
	s_mov_b32 s29, -1
                                        ; implicit-def: $vgpr12_vgpr13
	s_branch .LBB126_3831
.LBB126_3827:
	s_mov_b32 s29, -1
                                        ; implicit-def: $vgpr12_vgpr13
.LBB126_3828:
	s_delay_alu instid0(SALU_CYCLE_1)
	s_and_not1_b32 vcc_lo, exec_lo, s29
	s_cbranch_vccnz .LBB126_3830
; %bb.3829:
	global_load_u16 v1, v[14:15], off
	s_mov_b32 s29, 0
	s_wait_loadcnt 0x1
	s_wait_xcnt 0x1
	v_mov_b32_e32 v13, s29
	s_wait_loadcnt 0x0
	v_and_b32_e32 v12, 0xffff, v1
.LBB126_3830:
	s_mov_b32 s29, 0
.LBB126_3831:
	s_delay_alu instid0(SALU_CYCLE_1)
	s_and_not1_b32 vcc_lo, exec_lo, s29
	s_cbranch_vccnz .LBB126_3837
; %bb.3832:
	global_load_u8 v1, v[14:15], off
	s_mov_b32 s30, 0
	s_mov_b32 s29, exec_lo
	s_wait_loadcnt 0x0
	v_cmpx_lt_i16_e32 0x7f, v1
	s_xor_b32 s29, exec_lo, s29
	s_cbranch_execz .LBB126_3849
; %bb.3833:
	v_cmp_ne_u16_e32 vcc_lo, 0x80, v1
	s_and_b32 s30, vcc_lo, exec_lo
	s_and_not1_saveexec_b32 s29, s29
	s_cbranch_execnz .LBB126_3850
.LBB126_3834:
	s_or_b32 exec_lo, exec_lo, s29
	v_mov_b64_e32 v[12:13], 0
	s_and_saveexec_b32 s29, s30
	s_cbranch_execz .LBB126_3836
.LBB126_3835:
	v_and_b32_e32 v3, 0xffff, v1
	s_delay_alu instid0(VALU_DEP_1) | instskip(SKIP_1) | instid1(VALU_DEP_2)
	v_dual_lshlrev_b32 v1, 24, v1 :: v_dual_bitop2_b32 v5, 7, v3 bitop3:0x40
	v_bfe_u32 v12, v3, 3, 4
	v_and_b32_e32 v1, 0x80000000, v1
	s_delay_alu instid0(VALU_DEP_3) | instskip(NEXT) | instid1(VALU_DEP_3)
	v_clz_i32_u32_e32 v7, v5
	v_cmp_eq_u32_e32 vcc_lo, 0, v12
	s_delay_alu instid0(VALU_DEP_2) | instskip(NEXT) | instid1(VALU_DEP_1)
	v_min_u32_e32 v7, 32, v7
	v_subrev_nc_u32_e32 v9, 28, v7
	v_sub_nc_u32_e32 v7, 29, v7
	s_delay_alu instid0(VALU_DEP_2) | instskip(NEXT) | instid1(VALU_DEP_2)
	v_lshlrev_b32_e32 v3, v9, v3
	v_cndmask_b32_e32 v7, v12, v7, vcc_lo
	s_delay_alu instid0(VALU_DEP_2) | instskip(NEXT) | instid1(VALU_DEP_1)
	v_and_b32_e32 v3, 7, v3
	v_cndmask_b32_e32 v3, v5, v3, vcc_lo
	s_delay_alu instid0(VALU_DEP_3) | instskip(NEXT) | instid1(VALU_DEP_2)
	v_lshl_add_u32 v5, v7, 23, 0x3b800000
	v_lshlrev_b32_e32 v3, 20, v3
	s_delay_alu instid0(VALU_DEP_1) | instskip(NEXT) | instid1(VALU_DEP_1)
	v_or3_b32 v1, v1, v5, v3
	v_trunc_f32_e32 v1, v1
	s_delay_alu instid0(VALU_DEP_1) | instskip(SKIP_1) | instid1(VALU_DEP_2)
	v_mul_f32_e64 v3, 0x2f800000, |v1|
	v_ashrrev_i32_e32 v12, 31, v1
	v_floor_f32_e32 v3, v3
	s_delay_alu instid0(VALU_DEP_2) | instskip(NEXT) | instid1(VALU_DEP_2)
	v_mov_b32_e32 v13, v12
	v_fma_f32 v5, 0xcf800000, v3, |v1|
	v_cvt_u32_f32_e32 v1, v3
	s_delay_alu instid0(VALU_DEP_2) | instskip(NEXT) | instid1(VALU_DEP_2)
	v_cvt_u32_f32_e32 v3, v5
	v_xor_b32_e32 v17, v1, v12
	s_delay_alu instid0(VALU_DEP_2) | instskip(NEXT) | instid1(VALU_DEP_1)
	v_xor_b32_e32 v16, v3, v12
	v_sub_nc_u64_e32 v[12:13], v[16:17], v[12:13]
.LBB126_3836:
	s_or_b32 exec_lo, exec_lo, s29
.LBB126_3837:
	s_mov_b32 s29, -1
.LBB126_3838:
	s_mov_b32 s30, 0
.LBB126_3839:
	s_delay_alu instid0(SALU_CYCLE_1)
	s_and_b32 vcc_lo, exec_lo, s30
	s_cbranch_vccz .LBB126_3870
; %bb.3840:
	s_cmp_gt_i32 s0, 22
	s_cbranch_scc0 .LBB126_3848
; %bb.3841:
	s_cmp_lt_i32 s0, 24
	s_cbranch_scc1 .LBB126_3851
; %bb.3842:
	s_cmp_gt_i32 s0, 24
	s_cbranch_scc0 .LBB126_3852
; %bb.3843:
	global_load_u8 v1, v[14:15], off
	s_mov_b32 s29, 0
	s_mov_b32 s18, exec_lo
	s_wait_loadcnt 0x0
	v_cmpx_lt_i16_e32 0x7f, v1
	s_xor_b32 s18, exec_lo, s18
	s_cbranch_execz .LBB126_3864
; %bb.3844:
	v_cmp_ne_u16_e32 vcc_lo, 0x80, v1
	s_and_b32 s29, vcc_lo, exec_lo
	s_and_not1_saveexec_b32 s18, s18
	s_cbranch_execnz .LBB126_3865
.LBB126_3845:
	s_or_b32 exec_lo, exec_lo, s18
	v_mov_b64_e32 v[12:13], 0
	s_and_saveexec_b32 s18, s29
	s_cbranch_execz .LBB126_3847
.LBB126_3846:
	v_and_b32_e32 v3, 0xffff, v1
	s_delay_alu instid0(VALU_DEP_1) | instskip(SKIP_1) | instid1(VALU_DEP_2)
	v_dual_lshlrev_b32 v1, 24, v1 :: v_dual_bitop2_b32 v5, 3, v3 bitop3:0x40
	v_bfe_u32 v12, v3, 2, 5
	v_and_b32_e32 v1, 0x80000000, v1
	s_delay_alu instid0(VALU_DEP_3) | instskip(NEXT) | instid1(VALU_DEP_3)
	v_clz_i32_u32_e32 v7, v5
	v_cmp_eq_u32_e32 vcc_lo, 0, v12
	s_delay_alu instid0(VALU_DEP_2) | instskip(NEXT) | instid1(VALU_DEP_1)
	v_min_u32_e32 v7, 32, v7
	v_subrev_nc_u32_e32 v9, 29, v7
	v_sub_nc_u32_e32 v7, 30, v7
	s_delay_alu instid0(VALU_DEP_2) | instskip(NEXT) | instid1(VALU_DEP_2)
	v_lshlrev_b32_e32 v3, v9, v3
	v_cndmask_b32_e32 v7, v12, v7, vcc_lo
	s_delay_alu instid0(VALU_DEP_2) | instskip(NEXT) | instid1(VALU_DEP_1)
	v_and_b32_e32 v3, 3, v3
	v_cndmask_b32_e32 v3, v5, v3, vcc_lo
	s_delay_alu instid0(VALU_DEP_3) | instskip(NEXT) | instid1(VALU_DEP_2)
	v_lshl_add_u32 v5, v7, 23, 0x37800000
	v_lshlrev_b32_e32 v3, 21, v3
	s_delay_alu instid0(VALU_DEP_1) | instskip(NEXT) | instid1(VALU_DEP_1)
	v_or3_b32 v1, v1, v5, v3
	v_trunc_f32_e32 v1, v1
	s_delay_alu instid0(VALU_DEP_1) | instskip(SKIP_1) | instid1(VALU_DEP_2)
	v_mul_f32_e64 v3, 0x2f800000, |v1|
	v_ashrrev_i32_e32 v12, 31, v1
	v_floor_f32_e32 v3, v3
	s_delay_alu instid0(VALU_DEP_2) | instskip(NEXT) | instid1(VALU_DEP_2)
	v_mov_b32_e32 v13, v12
	v_fma_f32 v5, 0xcf800000, v3, |v1|
	v_cvt_u32_f32_e32 v1, v3
	s_delay_alu instid0(VALU_DEP_2) | instskip(NEXT) | instid1(VALU_DEP_2)
	v_cvt_u32_f32_e32 v3, v5
	v_xor_b32_e32 v17, v1, v12
	s_delay_alu instid0(VALU_DEP_2) | instskip(NEXT) | instid1(VALU_DEP_1)
	v_xor_b32_e32 v16, v3, v12
	v_sub_nc_u64_e32 v[12:13], v[16:17], v[12:13]
.LBB126_3847:
	s_or_b32 exec_lo, exec_lo, s18
	s_mov_b32 s18, 0
	s_branch .LBB126_3853
.LBB126_3848:
	s_mov_b32 s18, -1
                                        ; implicit-def: $vgpr12_vgpr13
	s_branch .LBB126_3859
.LBB126_3849:
	s_and_not1_saveexec_b32 s29, s29
	s_cbranch_execz .LBB126_3834
.LBB126_3850:
	v_cmp_ne_u16_e32 vcc_lo, 0, v1
	s_and_not1_b32 s30, s30, exec_lo
	s_and_b32 s31, vcc_lo, exec_lo
	s_delay_alu instid0(SALU_CYCLE_1)
	s_or_b32 s30, s30, s31
	s_or_b32 exec_lo, exec_lo, s29
	v_mov_b64_e32 v[12:13], 0
	s_and_saveexec_b32 s29, s30
	s_cbranch_execnz .LBB126_3835
	s_branch .LBB126_3836
.LBB126_3851:
	s_mov_b32 s18, -1
                                        ; implicit-def: $vgpr12_vgpr13
	s_branch .LBB126_3856
.LBB126_3852:
	s_mov_b32 s18, -1
                                        ; implicit-def: $vgpr12_vgpr13
.LBB126_3853:
	s_delay_alu instid0(SALU_CYCLE_1)
	s_and_b32 vcc_lo, exec_lo, s18
	s_cbranch_vccz .LBB126_3855
; %bb.3854:
	global_load_u8 v1, v[14:15], off
	s_wait_loadcnt 0x0
	v_lshlrev_b32_e32 v1, 24, v1
	s_delay_alu instid0(VALU_DEP_1) | instskip(NEXT) | instid1(VALU_DEP_1)
	v_and_b32_e32 v3, 0x7f000000, v1
	v_clz_i32_u32_e32 v5, v3
	v_add_nc_u32_e32 v9, 0x1000000, v3
	v_cmp_ne_u32_e32 vcc_lo, 0, v3
	s_delay_alu instid0(VALU_DEP_3) | instskip(NEXT) | instid1(VALU_DEP_1)
	v_min_u32_e32 v5, 32, v5
	v_sub_nc_u32_e64 v5, v5, 4 clamp
	s_delay_alu instid0(VALU_DEP_1) | instskip(NEXT) | instid1(VALU_DEP_1)
	v_dual_lshlrev_b32 v7, v5, v3 :: v_dual_lshlrev_b32 v5, 23, v5
	v_lshrrev_b32_e32 v7, 4, v7
	s_delay_alu instid0(VALU_DEP_1) | instskip(SKIP_1) | instid1(VALU_DEP_2)
	v_sub_nc_u32_e32 v5, v7, v5
	v_ashrrev_i32_e32 v7, 8, v9
	v_add_nc_u32_e32 v5, 0x3c000000, v5
	s_delay_alu instid0(VALU_DEP_1) | instskip(NEXT) | instid1(VALU_DEP_1)
	v_and_or_b32 v5, 0x7f800000, v7, v5
	v_cndmask_b32_e32 v3, 0, v5, vcc_lo
	s_delay_alu instid0(VALU_DEP_1) | instskip(NEXT) | instid1(VALU_DEP_1)
	v_and_or_b32 v1, 0x80000000, v1, v3
	v_trunc_f32_e32 v1, v1
	s_delay_alu instid0(VALU_DEP_1) | instskip(SKIP_2) | instid1(VALU_DEP_2)
	v_mul_f32_e64 v3, 0x2f800000, |v1|
	s_wait_xcnt 0x1
	v_ashrrev_i32_e32 v12, 31, v1
	v_floor_f32_e32 v3, v3
	s_delay_alu instid0(VALU_DEP_2) | instskip(NEXT) | instid1(VALU_DEP_2)
	v_mov_b32_e32 v13, v12
	v_fma_f32 v5, 0xcf800000, v3, |v1|
	v_cvt_u32_f32_e32 v1, v3
	s_delay_alu instid0(VALU_DEP_2) | instskip(NEXT) | instid1(VALU_DEP_2)
	v_cvt_u32_f32_e32 v3, v5
	v_xor_b32_e32 v17, v1, v12
	s_delay_alu instid0(VALU_DEP_2) | instskip(NEXT) | instid1(VALU_DEP_1)
	v_xor_b32_e32 v16, v3, v12
	v_sub_nc_u64_e32 v[12:13], v[16:17], v[12:13]
.LBB126_3855:
	s_mov_b32 s18, 0
.LBB126_3856:
	s_delay_alu instid0(SALU_CYCLE_1)
	s_and_not1_b32 vcc_lo, exec_lo, s18
	s_cbranch_vccnz .LBB126_3858
; %bb.3857:
	global_load_u8 v1, v[14:15], off
	s_wait_loadcnt 0x0
	v_lshlrev_b32_e32 v3, 25, v1
	v_lshlrev_b16 v1, 8, v1
	s_delay_alu instid0(VALU_DEP_1) | instskip(SKIP_1) | instid1(VALU_DEP_2)
	v_and_or_b32 v7, 0x7f00, v1, 0.5
	v_bfe_i32 v1, v1, 0, 16
	v_add_f32_e32 v7, -0.5, v7
	v_lshrrev_b32_e32 v5, 4, v3
	v_cmp_gt_u32_e32 vcc_lo, 0x8000000, v3
	s_delay_alu instid0(VALU_DEP_2) | instskip(NEXT) | instid1(VALU_DEP_1)
	v_or_b32_e32 v5, 0x70000000, v5
	v_mul_f32_e32 v5, 0x7800000, v5
	s_delay_alu instid0(VALU_DEP_1) | instskip(NEXT) | instid1(VALU_DEP_1)
	v_cndmask_b32_e32 v3, v5, v7, vcc_lo
	v_and_or_b32 v1, 0x80000000, v1, v3
	s_delay_alu instid0(VALU_DEP_1) | instskip(NEXT) | instid1(VALU_DEP_1)
	v_trunc_f32_e32 v1, v1
	v_mul_f32_e64 v3, 0x2f800000, |v1|
	s_wait_xcnt 0x1
	v_ashrrev_i32_e32 v12, 31, v1
	s_delay_alu instid0(VALU_DEP_2) | instskip(NEXT) | instid1(VALU_DEP_2)
	v_floor_f32_e32 v3, v3
	v_mov_b32_e32 v13, v12
	s_delay_alu instid0(VALU_DEP_2) | instskip(SKIP_1) | instid1(VALU_DEP_2)
	v_fma_f32 v5, 0xcf800000, v3, |v1|
	v_cvt_u32_f32_e32 v1, v3
	v_cvt_u32_f32_e32 v3, v5
	s_delay_alu instid0(VALU_DEP_2) | instskip(NEXT) | instid1(VALU_DEP_2)
	v_xor_b32_e32 v17, v1, v12
	v_xor_b32_e32 v16, v3, v12
	s_delay_alu instid0(VALU_DEP_1)
	v_sub_nc_u64_e32 v[12:13], v[16:17], v[12:13]
.LBB126_3858:
	s_mov_b32 s18, 0
	s_mov_b32 s29, -1
.LBB126_3859:
	s_and_not1_b32 vcc_lo, exec_lo, s18
	s_mov_b32 s18, 0
	s_cbranch_vccnz .LBB126_3870
; %bb.3860:
	s_cmp_gt_i32 s0, 14
	s_cbranch_scc0 .LBB126_3863
; %bb.3861:
	s_cmp_eq_u32 s0, 15
	s_cbranch_scc0 .LBB126_3866
; %bb.3862:
	global_load_u16 v1, v[14:15], off
	s_mov_b32 s1, 0
	s_mov_b32 s29, -1
	s_wait_loadcnt 0x0
	v_lshlrev_b32_e32 v1, 16, v1
	s_delay_alu instid0(VALU_DEP_1) | instskip(NEXT) | instid1(VALU_DEP_1)
	v_trunc_f32_e32 v1, v1
	v_mul_f32_e64 v3, 0x2f800000, |v1|
	s_wait_xcnt 0x1
	v_ashrrev_i32_e32 v12, 31, v1
	s_delay_alu instid0(VALU_DEP_2) | instskip(NEXT) | instid1(VALU_DEP_2)
	v_floor_f32_e32 v3, v3
	v_mov_b32_e32 v13, v12
	s_delay_alu instid0(VALU_DEP_2) | instskip(SKIP_1) | instid1(VALU_DEP_2)
	v_fma_f32 v5, 0xcf800000, v3, |v1|
	v_cvt_u32_f32_e32 v1, v3
	v_cvt_u32_f32_e32 v3, v5
	s_delay_alu instid0(VALU_DEP_2) | instskip(NEXT) | instid1(VALU_DEP_2)
	v_xor_b32_e32 v17, v1, v12
	v_xor_b32_e32 v16, v3, v12
	s_delay_alu instid0(VALU_DEP_1)
	v_sub_nc_u64_e32 v[12:13], v[16:17], v[12:13]
	s_branch .LBB126_3868
.LBB126_3863:
	s_mov_b32 s18, -1
	s_branch .LBB126_3867
.LBB126_3864:
	s_and_not1_saveexec_b32 s18, s18
	s_cbranch_execz .LBB126_3845
.LBB126_3865:
	v_cmp_ne_u16_e32 vcc_lo, 0, v1
	s_and_not1_b32 s29, s29, exec_lo
	s_and_b32 s30, vcc_lo, exec_lo
	s_delay_alu instid0(SALU_CYCLE_1)
	s_or_b32 s29, s29, s30
	s_or_b32 exec_lo, exec_lo, s18
	v_mov_b64_e32 v[12:13], 0
	s_and_saveexec_b32 s18, s29
	s_cbranch_execnz .LBB126_3846
	s_branch .LBB126_3847
.LBB126_3866:
	s_mov_b32 s1, -1
.LBB126_3867:
                                        ; implicit-def: $vgpr12_vgpr13
.LBB126_3868:
	s_and_b32 vcc_lo, exec_lo, s18
	s_mov_b32 s18, 0
	s_cbranch_vccz .LBB126_3870
; %bb.3869:
	s_cmp_lg_u32 s0, 11
	s_mov_b32 s18, -1
	s_cselect_b32 s1, -1, 0
.LBB126_3870:
	s_delay_alu instid0(SALU_CYCLE_1)
	s_and_b32 vcc_lo, exec_lo, s1
	s_cbranch_vccnz .LBB126_3935
; %bb.3871:
	s_and_not1_b32 vcc_lo, exec_lo, s18
	s_cbranch_vccnz .LBB126_3873
.LBB126_3872:
	global_load_u8 v1, v[14:15], off
	s_mov_b32 s0, 0
	s_mov_b32 s29, -1
	s_wait_loadcnt 0x1
	s_wait_xcnt 0x1
	v_mov_b32_e32 v13, s0
	s_wait_loadcnt 0x0
	v_cmp_ne_u16_e32 vcc_lo, 0, v1
	v_cndmask_b32_e64 v12, 0, 1, vcc_lo
.LBB126_3873:
	s_mov_b32 s0, 0
.LBB126_3874:
	s_delay_alu instid0(SALU_CYCLE_1)
	s_and_b32 vcc_lo, exec_lo, s0
	s_cbranch_vccz .LBB126_3923
; %bb.3875:
	s_and_b32 s0, 0xffff, s58
	s_delay_alu instid0(SALU_CYCLE_1)
	s_cmp_lt_i32 s0, 5
	s_cbranch_scc1 .LBB126_3880
; %bb.3876:
	s_cmp_lt_i32 s0, 8
	s_cbranch_scc1 .LBB126_3881
; %bb.3877:
	;; [unrolled: 3-line block ×3, first 2 shown]
	s_cmp_gt_i32 s0, 9
	s_cbranch_scc0 .LBB126_3883
; %bb.3879:
	s_wait_loadcnt 0x0
	global_load_b64 v[12:13], v[14:15], off
	s_mov_b32 s1, 0
	s_wait_loadcnt 0x0
	v_trunc_f64_e32 v[12:13], v[12:13]
	s_delay_alu instid0(VALU_DEP_1) | instskip(NEXT) | instid1(VALU_DEP_1)
	v_ldexp_f64 v[16:17], v[12:13], 0xffffffe0
	v_floor_f64_e32 v[16:17], v[16:17]
	s_delay_alu instid0(VALU_DEP_1) | instskip(SKIP_1) | instid1(VALU_DEP_2)
	v_fmamk_f64 v[18:19], v[16:17], 0xc1f00000, v[12:13]
	v_cvt_i32_f64_e32 v13, v[16:17]
	v_cvt_u32_f64_e32 v12, v[18:19]
	s_branch .LBB126_3884
.LBB126_3880:
	s_mov_b32 s1, -1
                                        ; implicit-def: $vgpr12_vgpr13
	s_branch .LBB126_3902
.LBB126_3881:
	s_mov_b32 s1, -1
                                        ; implicit-def: $vgpr12_vgpr13
	s_branch .LBB126_3890
.LBB126_3882:
	s_mov_b32 s1, -1
                                        ; implicit-def: $vgpr12_vgpr13
	s_branch .LBB126_3887
.LBB126_3883:
	s_mov_b32 s1, -1
                                        ; implicit-def: $vgpr12_vgpr13
.LBB126_3884:
	s_delay_alu instid0(SALU_CYCLE_1)
	s_and_not1_b32 vcc_lo, exec_lo, s1
	s_cbranch_vccnz .LBB126_3886
; %bb.3885:
	global_load_b32 v1, v[14:15], off
	s_wait_loadcnt 0x0
	v_trunc_f32_e32 v1, v1
	s_delay_alu instid0(VALU_DEP_1) | instskip(SKIP_2) | instid1(VALU_DEP_2)
	v_mul_f32_e64 v3, 0x2f800000, |v1|
	s_wait_xcnt 0x1
	v_ashrrev_i32_e32 v12, 31, v1
	v_floor_f32_e32 v3, v3
	s_delay_alu instid0(VALU_DEP_1) | instskip(SKIP_1) | instid1(VALU_DEP_4)
	v_fma_f32 v5, 0xcf800000, v3, |v1|
	v_cvt_u32_f32_e32 v1, v3
	v_mov_b32_e32 v13, v12
	s_delay_alu instid0(VALU_DEP_3) | instskip(NEXT) | instid1(VALU_DEP_3)
	v_cvt_u32_f32_e32 v3, v5
	v_xor_b32_e32 v17, v1, v12
	s_delay_alu instid0(VALU_DEP_2) | instskip(NEXT) | instid1(VALU_DEP_1)
	v_xor_b32_e32 v16, v3, v12
	v_sub_nc_u64_e32 v[12:13], v[16:17], v[12:13]
.LBB126_3886:
	s_mov_b32 s1, 0
.LBB126_3887:
	s_delay_alu instid0(SALU_CYCLE_1)
	s_and_not1_b32 vcc_lo, exec_lo, s1
	s_cbranch_vccnz .LBB126_3889
; %bb.3888:
	global_load_b32 v1, v[14:15], off
	s_wait_loadcnt 0x0
	v_cvt_f32_f16_e32 v1, v1
	s_wait_xcnt 0x1
	s_delay_alu instid0(VALU_DEP_1) | instskip(NEXT) | instid1(VALU_DEP_1)
	v_cvt_i32_f32_e32 v12, v1
	v_ashrrev_i32_e32 v13, 31, v12
.LBB126_3889:
	s_mov_b32 s1, 0
.LBB126_3890:
	s_delay_alu instid0(SALU_CYCLE_1)
	s_and_not1_b32 vcc_lo, exec_lo, s1
	s_cbranch_vccnz .LBB126_3901
; %bb.3891:
	s_cmp_lt_i32 s0, 6
	s_cbranch_scc1 .LBB126_3894
; %bb.3892:
	s_cmp_gt_i32 s0, 6
	s_cbranch_scc0 .LBB126_3895
; %bb.3893:
	s_wait_loadcnt 0x0
	global_load_b64 v[12:13], v[14:15], off
	s_mov_b32 s1, 0
	s_wait_loadcnt 0x0
	v_trunc_f64_e32 v[12:13], v[12:13]
	s_delay_alu instid0(VALU_DEP_1) | instskip(NEXT) | instid1(VALU_DEP_1)
	v_ldexp_f64 v[16:17], v[12:13], 0xffffffe0
	v_floor_f64_e32 v[16:17], v[16:17]
	s_delay_alu instid0(VALU_DEP_1) | instskip(SKIP_1) | instid1(VALU_DEP_2)
	v_fmamk_f64 v[18:19], v[16:17], 0xc1f00000, v[12:13]
	v_cvt_i32_f64_e32 v13, v[16:17]
	v_cvt_u32_f64_e32 v12, v[18:19]
	s_branch .LBB126_3896
.LBB126_3894:
	s_mov_b32 s1, -1
                                        ; implicit-def: $vgpr12_vgpr13
	s_branch .LBB126_3899
.LBB126_3895:
	s_mov_b32 s1, -1
                                        ; implicit-def: $vgpr12_vgpr13
.LBB126_3896:
	s_delay_alu instid0(SALU_CYCLE_1)
	s_and_not1_b32 vcc_lo, exec_lo, s1
	s_cbranch_vccnz .LBB126_3898
; %bb.3897:
	global_load_b32 v1, v[14:15], off
	s_wait_loadcnt 0x0
	v_trunc_f32_e32 v1, v1
	s_delay_alu instid0(VALU_DEP_1) | instskip(SKIP_2) | instid1(VALU_DEP_2)
	v_mul_f32_e64 v3, 0x2f800000, |v1|
	s_wait_xcnt 0x1
	v_ashrrev_i32_e32 v12, 31, v1
	v_floor_f32_e32 v3, v3
	s_delay_alu instid0(VALU_DEP_1) | instskip(SKIP_1) | instid1(VALU_DEP_4)
	v_fma_f32 v5, 0xcf800000, v3, |v1|
	v_cvt_u32_f32_e32 v1, v3
	v_mov_b32_e32 v13, v12
	s_delay_alu instid0(VALU_DEP_3) | instskip(NEXT) | instid1(VALU_DEP_3)
	v_cvt_u32_f32_e32 v3, v5
	v_xor_b32_e32 v17, v1, v12
	s_delay_alu instid0(VALU_DEP_2) | instskip(NEXT) | instid1(VALU_DEP_1)
	v_xor_b32_e32 v16, v3, v12
	v_sub_nc_u64_e32 v[12:13], v[16:17], v[12:13]
.LBB126_3898:
	s_mov_b32 s1, 0
.LBB126_3899:
	s_delay_alu instid0(SALU_CYCLE_1)
	s_and_not1_b32 vcc_lo, exec_lo, s1
	s_cbranch_vccnz .LBB126_3901
; %bb.3900:
	global_load_u16 v1, v[14:15], off
	s_wait_loadcnt 0x0
	v_cvt_f32_f16_e32 v1, v1
	s_wait_xcnt 0x1
	s_delay_alu instid0(VALU_DEP_1) | instskip(NEXT) | instid1(VALU_DEP_1)
	v_cvt_i32_f32_e32 v12, v1
	v_ashrrev_i32_e32 v13, 31, v12
.LBB126_3901:
	s_mov_b32 s1, 0
.LBB126_3902:
	s_delay_alu instid0(SALU_CYCLE_1)
	s_and_not1_b32 vcc_lo, exec_lo, s1
	s_cbranch_vccnz .LBB126_3922
; %bb.3903:
	s_cmp_lt_i32 s0, 2
	s_cbranch_scc1 .LBB126_3907
; %bb.3904:
	s_cmp_lt_i32 s0, 3
	s_cbranch_scc1 .LBB126_3908
; %bb.3905:
	s_cmp_gt_i32 s0, 3
	s_cbranch_scc0 .LBB126_3909
; %bb.3906:
	s_wait_loadcnt 0x0
	global_load_b64 v[12:13], v[14:15], off
	s_mov_b32 s1, 0
	s_branch .LBB126_3910
.LBB126_3907:
	s_mov_b32 s1, -1
                                        ; implicit-def: $vgpr12_vgpr13
	s_branch .LBB126_3916
.LBB126_3908:
	s_mov_b32 s1, -1
                                        ; implicit-def: $vgpr12_vgpr13
	s_branch .LBB126_3913
.LBB126_3909:
	s_mov_b32 s1, -1
                                        ; implicit-def: $vgpr12_vgpr13
.LBB126_3910:
	s_delay_alu instid0(SALU_CYCLE_1)
	s_and_not1_b32 vcc_lo, exec_lo, s1
	s_cbranch_vccnz .LBB126_3912
; %bb.3911:
	s_wait_loadcnt 0x0
	global_load_b32 v12, v[14:15], off
	s_wait_loadcnt 0x0
	v_ashrrev_i32_e32 v13, 31, v12
.LBB126_3912:
	s_mov_b32 s1, 0
.LBB126_3913:
	s_delay_alu instid0(SALU_CYCLE_1)
	s_and_not1_b32 vcc_lo, exec_lo, s1
	s_cbranch_vccnz .LBB126_3915
; %bb.3914:
	global_load_u16 v1, v[14:15], off
	s_wait_loadcnt 0x0
	s_wait_xcnt 0x1
	v_bfe_i32 v12, v1, 0, 16
	s_delay_alu instid0(VALU_DEP_1)
	v_ashrrev_i32_e32 v13, 31, v12
.LBB126_3915:
	s_mov_b32 s1, 0
.LBB126_3916:
	s_delay_alu instid0(SALU_CYCLE_1)
	s_and_not1_b32 vcc_lo, exec_lo, s1
	s_cbranch_vccnz .LBB126_3922
; %bb.3917:
	s_cmp_gt_i32 s0, 0
	s_mov_b32 s0, 0
	s_cbranch_scc0 .LBB126_3919
; %bb.3918:
	global_load_i8 v1, v[14:15], off
	s_wait_loadcnt 0x0
	s_wait_xcnt 0x1
	v_bfe_i32 v12, v1, 0, 16
	s_delay_alu instid0(VALU_DEP_1)
	v_ashrrev_i32_e32 v13, 31, v12
	s_branch .LBB126_3920
.LBB126_3919:
	s_mov_b32 s0, -1
                                        ; implicit-def: $vgpr12_vgpr13
.LBB126_3920:
	s_delay_alu instid0(SALU_CYCLE_1)
	s_and_not1_b32 vcc_lo, exec_lo, s0
	s_cbranch_vccnz .LBB126_3922
; %bb.3921:
	global_load_u8 v1, v[14:15], off
	s_mov_b32 s0, 0
	s_wait_loadcnt 0x1
	s_wait_xcnt 0x1
	v_mov_b32_e32 v13, s0
	s_wait_loadcnt 0x0
	v_and_b32_e32 v12, 0xffff, v1
.LBB126_3922:
	s_mov_b32 s29, -1
.LBB126_3923:
	s_delay_alu instid0(SALU_CYCLE_1)
	s_and_not1_b32 vcc_lo, exec_lo, s29
	s_cbranch_vccnz .LBB126_4318
; %bb.3924:
	s_lshl_b32 s71, s19, 7
	s_cmp_lt_i32 s59, 11
	v_add_nc_u32_e32 v4, s71, v4
	s_delay_alu instid0(VALU_DEP_1) | instskip(NEXT) | instid1(VALU_DEP_1)
	v_ashrrev_i32_e32 v5, 31, v4
	v_add_nc_u64_e32 v[16:17], s[10:11], v[4:5]
	s_cbranch_scc1 .LBB126_3931
; %bb.3925:
	s_and_b32 s0, 0xffff, s59
	s_mov_b32 s18, 0
	s_cmp_gt_i32 s0, 25
	s_cbranch_scc0 .LBB126_3932
; %bb.3926:
	s_cmp_gt_i32 s0, 28
	s_cbranch_scc0 .LBB126_3933
; %bb.3927:
	;; [unrolled: 3-line block ×4, first 2 shown]
	s_cmp_eq_u32 s0, 46
	s_mov_b32 s29, 0
	s_cbranch_scc0 .LBB126_3939
; %bb.3930:
	global_load_b32 v1, v[16:17], off
	s_mov_b32 s1, 0
	s_mov_b32 s19, -1
	s_wait_loadcnt 0x0
	v_lshlrev_b32_e32 v1, 16, v1
	s_delay_alu instid0(VALU_DEP_1) | instskip(NEXT) | instid1(VALU_DEP_1)
	v_trunc_f32_e32 v1, v1
	v_mul_f32_e64 v3, 0x2f800000, |v1|
	s_wait_xcnt 0x1
	v_ashrrev_i32_e32 v14, 31, v1
	s_delay_alu instid0(VALU_DEP_2) | instskip(NEXT) | instid1(VALU_DEP_2)
	v_floor_f32_e32 v3, v3
	v_mov_b32_e32 v15, v14
	s_delay_alu instid0(VALU_DEP_2) | instskip(SKIP_1) | instid1(VALU_DEP_2)
	v_fma_f32 v5, 0xcf800000, v3, |v1|
	v_cvt_u32_f32_e32 v1, v3
	v_cvt_u32_f32_e32 v3, v5
	s_delay_alu instid0(VALU_DEP_2) | instskip(NEXT) | instid1(VALU_DEP_2)
	v_xor_b32_e32 v19, v1, v14
	v_xor_b32_e32 v18, v3, v14
	s_delay_alu instid0(VALU_DEP_1)
	v_sub_nc_u64_e32 v[14:15], v[18:19], v[14:15]
	s_branch .LBB126_3941
.LBB126_3931:
	s_mov_b32 s0, -1
	s_mov_b32 s19, 0
                                        ; implicit-def: $vgpr14_vgpr15
	s_branch .LBB126_4003
.LBB126_3932:
	s_mov_b32 s29, -1
	s_mov_b32 s19, 0
	s_mov_b32 s1, 0
                                        ; implicit-def: $vgpr14_vgpr15
	s_branch .LBB126_3968
.LBB126_3933:
	s_mov_b32 s29, -1
	s_mov_b32 s19, 0
	s_mov_b32 s1, 0
                                        ; implicit-def: $vgpr14_vgpr15
	s_branch .LBB126_3951
.LBB126_3934:
	s_mov_b32 s29, -1
	s_mov_b32 s19, 0
	s_mov_b32 s1, 0
                                        ; implicit-def: $vgpr14_vgpr15
	s_branch .LBB126_3946
.LBB126_3935:
	s_or_b32 s17, s17, exec_lo
	s_trap 2
	s_cbranch_execz .LBB126_3872
	s_branch .LBB126_3873
.LBB126_3936:
	s_mov_b32 s29, -1
	s_mov_b32 s19, 0
	s_mov_b32 s1, 0
	s_branch .LBB126_3940
.LBB126_3937:
	s_or_b32 exec_lo, exec_lo, s61
	s_branch .LBB126_629
.LBB126_3938:
	s_or_b32 s33, s43, exec_lo
	s_trap 2
                                        ; implicit-def: $vgpr0
                                        ; implicit-def: $vgpr2
                                        ; implicit-def: $vgpr4
                                        ; implicit-def: $vgpr14_vgpr15
                                        ; implicit-def: $vgpr6
                                        ; implicit-def: $vgpr16_vgpr17
                                        ; implicit-def: $vgpr8
                                        ; implicit-def: $vgpr20_vgpr21
                                        ; implicit-def: $vgpr22
	s_or_saveexec_b32 s54, s0
	s_mov_b32 s1, 0
                                        ; implicit-def: $sgpr0
                                        ; implicit-def: $vgpr10_vgpr11
	s_xor_b32 exec_lo, exec_lo, s54
	s_cbranch_execz .LBB126_4322
	s_branch .LBB126_3430
.LBB126_3939:
	s_mov_b32 s1, -1
	s_mov_b32 s19, 0
.LBB126_3940:
                                        ; implicit-def: $vgpr14_vgpr15
.LBB126_3941:
	s_and_b32 vcc_lo, exec_lo, s29
	s_cbranch_vccz .LBB126_3945
; %bb.3942:
	s_cmp_eq_u32 s0, 44
	s_cbranch_scc0 .LBB126_3944
; %bb.3943:
	global_load_u8 v1, v[16:17], off
	s_mov_b32 s1, 0
	s_mov_b32 s19, -1
	s_wait_loadcnt 0x0
	v_lshlrev_b32_e32 v3, 23, v1
	v_cmp_ne_u32_e32 vcc_lo, 0, v1
	s_delay_alu instid0(VALU_DEP_2) | instskip(NEXT) | instid1(VALU_DEP_1)
	v_trunc_f32_e32 v3, v3
	v_mul_f32_e64 v5, 0x2f800000, |v3|
	s_wait_xcnt 0x1
	v_ashrrev_i32_e32 v14, 31, v3
	s_delay_alu instid0(VALU_DEP_2) | instskip(NEXT) | instid1(VALU_DEP_2)
	v_floor_f32_e32 v5, v5
	v_mov_b32_e32 v15, v14
	s_delay_alu instid0(VALU_DEP_2) | instskip(SKIP_1) | instid1(VALU_DEP_2)
	v_fma_f32 v7, 0xcf800000, v5, |v3|
	v_cvt_u32_f32_e32 v3, v5
	v_cvt_u32_f32_e32 v5, v7
	s_delay_alu instid0(VALU_DEP_2) | instskip(NEXT) | instid1(VALU_DEP_2)
	v_xor_b32_e32 v19, v3, v14
	v_xor_b32_e32 v18, v5, v14
	s_delay_alu instid0(VALU_DEP_1) | instskip(NEXT) | instid1(VALU_DEP_1)
	v_sub_nc_u64_e32 v[14:15], v[18:19], v[14:15]
	v_dual_cndmask_b32 v15, 0, v15 :: v_dual_cndmask_b32 v14, 0, v14
	s_branch .LBB126_3945
.LBB126_3944:
	s_mov_b32 s1, -1
                                        ; implicit-def: $vgpr14_vgpr15
.LBB126_3945:
	s_mov_b32 s29, 0
.LBB126_3946:
	s_delay_alu instid0(SALU_CYCLE_1)
	s_and_b32 vcc_lo, exec_lo, s29
	s_cbranch_vccz .LBB126_3950
; %bb.3947:
	s_cmp_eq_u32 s0, 29
	s_cbranch_scc0 .LBB126_3949
; %bb.3948:
	global_load_b64 v[14:15], v[16:17], off
	s_mov_b32 s1, 0
	s_mov_b32 s19, -1
	s_branch .LBB126_3950
.LBB126_3949:
	s_mov_b32 s1, -1
                                        ; implicit-def: $vgpr14_vgpr15
.LBB126_3950:
	s_mov_b32 s29, 0
.LBB126_3951:
	s_delay_alu instid0(SALU_CYCLE_1)
	s_and_b32 vcc_lo, exec_lo, s29
	s_cbranch_vccz .LBB126_3967
; %bb.3952:
	s_cmp_lt_i32 s0, 27
	s_cbranch_scc1 .LBB126_3955
; %bb.3953:
	s_cmp_gt_i32 s0, 27
	s_cbranch_scc0 .LBB126_3956
; %bb.3954:
	s_wait_loadcnt 0x0
	global_load_b32 v14, v[16:17], off
	v_mov_b32_e32 v15, 0
	s_mov_b32 s19, 0
	s_branch .LBB126_3957
.LBB126_3955:
	s_mov_b32 s19, -1
                                        ; implicit-def: $vgpr14_vgpr15
	s_branch .LBB126_3960
.LBB126_3956:
	s_mov_b32 s19, -1
                                        ; implicit-def: $vgpr14_vgpr15
.LBB126_3957:
	s_delay_alu instid0(SALU_CYCLE_1)
	s_and_not1_b32 vcc_lo, exec_lo, s19
	s_cbranch_vccnz .LBB126_3959
; %bb.3958:
	global_load_u16 v1, v[16:17], off
	s_mov_b32 s19, 0
	s_wait_loadcnt 0x1
	s_wait_xcnt 0x1
	v_mov_b32_e32 v15, s19
	s_wait_loadcnt 0x0
	v_and_b32_e32 v14, 0xffff, v1
.LBB126_3959:
	s_mov_b32 s19, 0
.LBB126_3960:
	s_delay_alu instid0(SALU_CYCLE_1)
	s_and_not1_b32 vcc_lo, exec_lo, s19
	s_cbranch_vccnz .LBB126_3966
; %bb.3961:
	global_load_u8 v1, v[16:17], off
	s_mov_b32 s29, 0
	s_mov_b32 s19, exec_lo
	s_wait_loadcnt 0x0
	v_cmpx_lt_i16_e32 0x7f, v1
	s_xor_b32 s19, exec_lo, s19
	s_cbranch_execz .LBB126_3978
; %bb.3962:
	v_cmp_ne_u16_e32 vcc_lo, 0x80, v1
	s_and_b32 s29, vcc_lo, exec_lo
	s_and_not1_saveexec_b32 s19, s19
	s_cbranch_execnz .LBB126_3979
.LBB126_3963:
	s_or_b32 exec_lo, exec_lo, s19
	v_mov_b64_e32 v[14:15], 0
	s_and_saveexec_b32 s19, s29
	s_cbranch_execz .LBB126_3965
.LBB126_3964:
	v_and_b32_e32 v3, 0xffff, v1
	s_delay_alu instid0(VALU_DEP_1) | instskip(SKIP_1) | instid1(VALU_DEP_2)
	v_dual_lshlrev_b32 v1, 24, v1 :: v_dual_bitop2_b32 v5, 7, v3 bitop3:0x40
	v_bfe_u32 v14, v3, 3, 4
	v_and_b32_e32 v1, 0x80000000, v1
	s_delay_alu instid0(VALU_DEP_3) | instskip(NEXT) | instid1(VALU_DEP_3)
	v_clz_i32_u32_e32 v7, v5
	v_cmp_eq_u32_e32 vcc_lo, 0, v14
	s_delay_alu instid0(VALU_DEP_2) | instskip(NEXT) | instid1(VALU_DEP_1)
	v_min_u32_e32 v7, 32, v7
	v_subrev_nc_u32_e32 v9, 28, v7
	v_sub_nc_u32_e32 v7, 29, v7
	s_delay_alu instid0(VALU_DEP_2) | instskip(NEXT) | instid1(VALU_DEP_2)
	v_lshlrev_b32_e32 v3, v9, v3
	v_cndmask_b32_e32 v7, v14, v7, vcc_lo
	s_delay_alu instid0(VALU_DEP_2) | instskip(NEXT) | instid1(VALU_DEP_1)
	v_and_b32_e32 v3, 7, v3
	v_cndmask_b32_e32 v3, v5, v3, vcc_lo
	s_delay_alu instid0(VALU_DEP_3) | instskip(NEXT) | instid1(VALU_DEP_2)
	v_lshl_add_u32 v5, v7, 23, 0x3b800000
	v_lshlrev_b32_e32 v3, 20, v3
	s_delay_alu instid0(VALU_DEP_1) | instskip(NEXT) | instid1(VALU_DEP_1)
	v_or3_b32 v1, v1, v5, v3
	v_trunc_f32_e32 v1, v1
	s_delay_alu instid0(VALU_DEP_1) | instskip(SKIP_1) | instid1(VALU_DEP_2)
	v_mul_f32_e64 v3, 0x2f800000, |v1|
	v_ashrrev_i32_e32 v14, 31, v1
	v_floor_f32_e32 v3, v3
	s_delay_alu instid0(VALU_DEP_2) | instskip(NEXT) | instid1(VALU_DEP_2)
	v_mov_b32_e32 v15, v14
	v_fma_f32 v5, 0xcf800000, v3, |v1|
	v_cvt_u32_f32_e32 v1, v3
	s_delay_alu instid0(VALU_DEP_2) | instskip(NEXT) | instid1(VALU_DEP_2)
	v_cvt_u32_f32_e32 v3, v5
	v_xor_b32_e32 v19, v1, v14
	s_delay_alu instid0(VALU_DEP_2) | instskip(NEXT) | instid1(VALU_DEP_1)
	v_xor_b32_e32 v18, v3, v14
	v_sub_nc_u64_e32 v[14:15], v[18:19], v[14:15]
.LBB126_3965:
	s_or_b32 exec_lo, exec_lo, s19
.LBB126_3966:
	s_mov_b32 s19, -1
.LBB126_3967:
	s_mov_b32 s29, 0
.LBB126_3968:
	s_delay_alu instid0(SALU_CYCLE_1)
	s_and_b32 vcc_lo, exec_lo, s29
	s_cbranch_vccz .LBB126_3999
; %bb.3969:
	s_cmp_gt_i32 s0, 22
	s_cbranch_scc0 .LBB126_3977
; %bb.3970:
	s_cmp_lt_i32 s0, 24
	s_cbranch_scc1 .LBB126_3980
; %bb.3971:
	s_cmp_gt_i32 s0, 24
	s_cbranch_scc0 .LBB126_3981
; %bb.3972:
	global_load_u8 v1, v[16:17], off
	s_mov_b32 s19, 0
	s_mov_b32 s18, exec_lo
	s_wait_loadcnt 0x0
	v_cmpx_lt_i16_e32 0x7f, v1
	s_xor_b32 s18, exec_lo, s18
	s_cbranch_execz .LBB126_3993
; %bb.3973:
	v_cmp_ne_u16_e32 vcc_lo, 0x80, v1
	s_and_b32 s19, vcc_lo, exec_lo
	s_and_not1_saveexec_b32 s18, s18
	s_cbranch_execnz .LBB126_3994
.LBB126_3974:
	s_or_b32 exec_lo, exec_lo, s18
	v_mov_b64_e32 v[14:15], 0
	s_and_saveexec_b32 s18, s19
	s_cbranch_execz .LBB126_3976
.LBB126_3975:
	v_and_b32_e32 v3, 0xffff, v1
	s_delay_alu instid0(VALU_DEP_1) | instskip(SKIP_1) | instid1(VALU_DEP_2)
	v_dual_lshlrev_b32 v1, 24, v1 :: v_dual_bitop2_b32 v5, 3, v3 bitop3:0x40
	v_bfe_u32 v14, v3, 2, 5
	v_and_b32_e32 v1, 0x80000000, v1
	s_delay_alu instid0(VALU_DEP_3) | instskip(NEXT) | instid1(VALU_DEP_3)
	v_clz_i32_u32_e32 v7, v5
	v_cmp_eq_u32_e32 vcc_lo, 0, v14
	s_delay_alu instid0(VALU_DEP_2) | instskip(NEXT) | instid1(VALU_DEP_1)
	v_min_u32_e32 v7, 32, v7
	v_subrev_nc_u32_e32 v9, 29, v7
	v_sub_nc_u32_e32 v7, 30, v7
	s_delay_alu instid0(VALU_DEP_2) | instskip(NEXT) | instid1(VALU_DEP_2)
	v_lshlrev_b32_e32 v3, v9, v3
	v_cndmask_b32_e32 v7, v14, v7, vcc_lo
	s_delay_alu instid0(VALU_DEP_2) | instskip(NEXT) | instid1(VALU_DEP_1)
	v_and_b32_e32 v3, 3, v3
	v_cndmask_b32_e32 v3, v5, v3, vcc_lo
	s_delay_alu instid0(VALU_DEP_3) | instskip(NEXT) | instid1(VALU_DEP_2)
	v_lshl_add_u32 v5, v7, 23, 0x37800000
	v_lshlrev_b32_e32 v3, 21, v3
	s_delay_alu instid0(VALU_DEP_1) | instskip(NEXT) | instid1(VALU_DEP_1)
	v_or3_b32 v1, v1, v5, v3
	v_trunc_f32_e32 v1, v1
	s_delay_alu instid0(VALU_DEP_1) | instskip(SKIP_1) | instid1(VALU_DEP_2)
	v_mul_f32_e64 v3, 0x2f800000, |v1|
	v_ashrrev_i32_e32 v14, 31, v1
	v_floor_f32_e32 v3, v3
	s_delay_alu instid0(VALU_DEP_2) | instskip(NEXT) | instid1(VALU_DEP_2)
	v_mov_b32_e32 v15, v14
	v_fma_f32 v5, 0xcf800000, v3, |v1|
	v_cvt_u32_f32_e32 v1, v3
	s_delay_alu instid0(VALU_DEP_2) | instskip(NEXT) | instid1(VALU_DEP_2)
	v_cvt_u32_f32_e32 v3, v5
	v_xor_b32_e32 v19, v1, v14
	s_delay_alu instid0(VALU_DEP_2) | instskip(NEXT) | instid1(VALU_DEP_1)
	v_xor_b32_e32 v18, v3, v14
	v_sub_nc_u64_e32 v[14:15], v[18:19], v[14:15]
.LBB126_3976:
	s_or_b32 exec_lo, exec_lo, s18
	s_mov_b32 s18, 0
	s_branch .LBB126_3982
.LBB126_3977:
	s_mov_b32 s18, -1
                                        ; implicit-def: $vgpr14_vgpr15
	s_branch .LBB126_3988
.LBB126_3978:
	s_and_not1_saveexec_b32 s19, s19
	s_cbranch_execz .LBB126_3963
.LBB126_3979:
	v_cmp_ne_u16_e32 vcc_lo, 0, v1
	s_and_not1_b32 s29, s29, exec_lo
	s_and_b32 s30, vcc_lo, exec_lo
	s_delay_alu instid0(SALU_CYCLE_1)
	s_or_b32 s29, s29, s30
	s_or_b32 exec_lo, exec_lo, s19
	v_mov_b64_e32 v[14:15], 0
	s_and_saveexec_b32 s19, s29
	s_cbranch_execnz .LBB126_3964
	s_branch .LBB126_3965
.LBB126_3980:
	s_mov_b32 s18, -1
                                        ; implicit-def: $vgpr14_vgpr15
	s_branch .LBB126_3985
.LBB126_3981:
	s_mov_b32 s18, -1
                                        ; implicit-def: $vgpr14_vgpr15
.LBB126_3982:
	s_delay_alu instid0(SALU_CYCLE_1)
	s_and_b32 vcc_lo, exec_lo, s18
	s_cbranch_vccz .LBB126_3984
; %bb.3983:
	global_load_u8 v1, v[16:17], off
	s_wait_loadcnt 0x0
	v_lshlrev_b32_e32 v1, 24, v1
	s_delay_alu instid0(VALU_DEP_1) | instskip(NEXT) | instid1(VALU_DEP_1)
	v_and_b32_e32 v3, 0x7f000000, v1
	v_clz_i32_u32_e32 v5, v3
	v_add_nc_u32_e32 v9, 0x1000000, v3
	v_cmp_ne_u32_e32 vcc_lo, 0, v3
	s_delay_alu instid0(VALU_DEP_3) | instskip(NEXT) | instid1(VALU_DEP_1)
	v_min_u32_e32 v5, 32, v5
	v_sub_nc_u32_e64 v5, v5, 4 clamp
	s_delay_alu instid0(VALU_DEP_1) | instskip(NEXT) | instid1(VALU_DEP_1)
	v_dual_lshlrev_b32 v7, v5, v3 :: v_dual_lshlrev_b32 v5, 23, v5
	v_lshrrev_b32_e32 v7, 4, v7
	s_delay_alu instid0(VALU_DEP_1) | instskip(SKIP_1) | instid1(VALU_DEP_2)
	v_sub_nc_u32_e32 v5, v7, v5
	v_ashrrev_i32_e32 v7, 8, v9
	v_add_nc_u32_e32 v5, 0x3c000000, v5
	s_delay_alu instid0(VALU_DEP_1) | instskip(NEXT) | instid1(VALU_DEP_1)
	v_and_or_b32 v5, 0x7f800000, v7, v5
	v_cndmask_b32_e32 v3, 0, v5, vcc_lo
	s_delay_alu instid0(VALU_DEP_1) | instskip(NEXT) | instid1(VALU_DEP_1)
	v_and_or_b32 v1, 0x80000000, v1, v3
	v_trunc_f32_e32 v1, v1
	s_delay_alu instid0(VALU_DEP_1) | instskip(SKIP_2) | instid1(VALU_DEP_2)
	v_mul_f32_e64 v3, 0x2f800000, |v1|
	s_wait_xcnt 0x1
	v_ashrrev_i32_e32 v14, 31, v1
	v_floor_f32_e32 v3, v3
	s_delay_alu instid0(VALU_DEP_2) | instskip(NEXT) | instid1(VALU_DEP_2)
	v_mov_b32_e32 v15, v14
	v_fma_f32 v5, 0xcf800000, v3, |v1|
	v_cvt_u32_f32_e32 v1, v3
	s_delay_alu instid0(VALU_DEP_2) | instskip(NEXT) | instid1(VALU_DEP_2)
	v_cvt_u32_f32_e32 v3, v5
	v_xor_b32_e32 v19, v1, v14
	s_delay_alu instid0(VALU_DEP_2) | instskip(NEXT) | instid1(VALU_DEP_1)
	v_xor_b32_e32 v18, v3, v14
	v_sub_nc_u64_e32 v[14:15], v[18:19], v[14:15]
.LBB126_3984:
	s_mov_b32 s18, 0
.LBB126_3985:
	s_delay_alu instid0(SALU_CYCLE_1)
	s_and_not1_b32 vcc_lo, exec_lo, s18
	s_cbranch_vccnz .LBB126_3987
; %bb.3986:
	global_load_u8 v1, v[16:17], off
	s_wait_loadcnt 0x0
	v_lshlrev_b32_e32 v3, 25, v1
	v_lshlrev_b16 v1, 8, v1
	s_delay_alu instid0(VALU_DEP_1) | instskip(SKIP_1) | instid1(VALU_DEP_2)
	v_and_or_b32 v7, 0x7f00, v1, 0.5
	v_bfe_i32 v1, v1, 0, 16
	v_add_f32_e32 v7, -0.5, v7
	v_lshrrev_b32_e32 v5, 4, v3
	v_cmp_gt_u32_e32 vcc_lo, 0x8000000, v3
	s_delay_alu instid0(VALU_DEP_2) | instskip(NEXT) | instid1(VALU_DEP_1)
	v_or_b32_e32 v5, 0x70000000, v5
	v_mul_f32_e32 v5, 0x7800000, v5
	s_delay_alu instid0(VALU_DEP_1) | instskip(NEXT) | instid1(VALU_DEP_1)
	v_cndmask_b32_e32 v3, v5, v7, vcc_lo
	v_and_or_b32 v1, 0x80000000, v1, v3
	s_delay_alu instid0(VALU_DEP_1) | instskip(NEXT) | instid1(VALU_DEP_1)
	v_trunc_f32_e32 v1, v1
	v_mul_f32_e64 v3, 0x2f800000, |v1|
	s_wait_xcnt 0x1
	v_ashrrev_i32_e32 v14, 31, v1
	s_delay_alu instid0(VALU_DEP_2) | instskip(NEXT) | instid1(VALU_DEP_2)
	v_floor_f32_e32 v3, v3
	v_mov_b32_e32 v15, v14
	s_delay_alu instid0(VALU_DEP_2) | instskip(SKIP_1) | instid1(VALU_DEP_2)
	v_fma_f32 v5, 0xcf800000, v3, |v1|
	v_cvt_u32_f32_e32 v1, v3
	v_cvt_u32_f32_e32 v3, v5
	s_delay_alu instid0(VALU_DEP_2) | instskip(NEXT) | instid1(VALU_DEP_2)
	v_xor_b32_e32 v19, v1, v14
	v_xor_b32_e32 v18, v3, v14
	s_delay_alu instid0(VALU_DEP_1)
	v_sub_nc_u64_e32 v[14:15], v[18:19], v[14:15]
.LBB126_3987:
	s_mov_b32 s18, 0
	s_mov_b32 s19, -1
.LBB126_3988:
	s_and_not1_b32 vcc_lo, exec_lo, s18
	s_mov_b32 s18, 0
	s_cbranch_vccnz .LBB126_3999
; %bb.3989:
	s_cmp_gt_i32 s0, 14
	s_cbranch_scc0 .LBB126_3992
; %bb.3990:
	s_cmp_eq_u32 s0, 15
	s_cbranch_scc0 .LBB126_3995
; %bb.3991:
	global_load_u16 v1, v[16:17], off
	s_mov_b32 s1, 0
	s_mov_b32 s19, -1
	s_wait_loadcnt 0x0
	v_lshlrev_b32_e32 v1, 16, v1
	s_delay_alu instid0(VALU_DEP_1) | instskip(NEXT) | instid1(VALU_DEP_1)
	v_trunc_f32_e32 v1, v1
	v_mul_f32_e64 v3, 0x2f800000, |v1|
	s_wait_xcnt 0x1
	v_ashrrev_i32_e32 v14, 31, v1
	s_delay_alu instid0(VALU_DEP_2) | instskip(NEXT) | instid1(VALU_DEP_2)
	v_floor_f32_e32 v3, v3
	v_mov_b32_e32 v15, v14
	s_delay_alu instid0(VALU_DEP_2) | instskip(SKIP_1) | instid1(VALU_DEP_2)
	v_fma_f32 v5, 0xcf800000, v3, |v1|
	v_cvt_u32_f32_e32 v1, v3
	v_cvt_u32_f32_e32 v3, v5
	s_delay_alu instid0(VALU_DEP_2) | instskip(NEXT) | instid1(VALU_DEP_2)
	v_xor_b32_e32 v19, v1, v14
	v_xor_b32_e32 v18, v3, v14
	s_delay_alu instid0(VALU_DEP_1)
	v_sub_nc_u64_e32 v[14:15], v[18:19], v[14:15]
	s_branch .LBB126_3997
.LBB126_3992:
	s_mov_b32 s18, -1
	s_branch .LBB126_3996
.LBB126_3993:
	s_and_not1_saveexec_b32 s18, s18
	s_cbranch_execz .LBB126_3974
.LBB126_3994:
	v_cmp_ne_u16_e32 vcc_lo, 0, v1
	s_and_not1_b32 s19, s19, exec_lo
	s_and_b32 s29, vcc_lo, exec_lo
	s_delay_alu instid0(SALU_CYCLE_1)
	s_or_b32 s19, s19, s29
	s_or_b32 exec_lo, exec_lo, s18
	v_mov_b64_e32 v[14:15], 0
	s_and_saveexec_b32 s18, s19
	s_cbranch_execnz .LBB126_3975
	s_branch .LBB126_3976
.LBB126_3995:
	s_mov_b32 s1, -1
.LBB126_3996:
                                        ; implicit-def: $vgpr14_vgpr15
.LBB126_3997:
	s_and_b32 vcc_lo, exec_lo, s18
	s_mov_b32 s18, 0
	s_cbranch_vccz .LBB126_3999
; %bb.3998:
	s_cmp_lg_u32 s0, 11
	s_mov_b32 s18, -1
	s_cselect_b32 s1, -1, 0
.LBB126_3999:
	s_delay_alu instid0(SALU_CYCLE_1)
	s_and_b32 vcc_lo, exec_lo, s1
	s_cbranch_vccnz .LBB126_4064
; %bb.4000:
	s_and_not1_b32 vcc_lo, exec_lo, s18
	s_cbranch_vccnz .LBB126_4002
.LBB126_4001:
	global_load_u8 v1, v[16:17], off
	s_mov_b32 s0, 0
	s_mov_b32 s19, -1
	s_wait_loadcnt 0x1
	s_wait_xcnt 0x1
	v_mov_b32_e32 v15, s0
	s_wait_loadcnt 0x0
	v_cmp_ne_u16_e32 vcc_lo, 0, v1
	v_cndmask_b32_e64 v14, 0, 1, vcc_lo
.LBB126_4002:
	s_mov_b32 s0, 0
.LBB126_4003:
	s_delay_alu instid0(SALU_CYCLE_1)
	s_and_b32 vcc_lo, exec_lo, s0
	s_cbranch_vccz .LBB126_4052
; %bb.4004:
	s_and_b32 s0, 0xffff, s59
	s_delay_alu instid0(SALU_CYCLE_1)
	s_cmp_lt_i32 s0, 5
	s_cbranch_scc1 .LBB126_4009
; %bb.4005:
	s_cmp_lt_i32 s0, 8
	s_cbranch_scc1 .LBB126_4010
; %bb.4006:
	;; [unrolled: 3-line block ×3, first 2 shown]
	s_cmp_gt_i32 s0, 9
	s_cbranch_scc0 .LBB126_4012
; %bb.4008:
	s_wait_loadcnt 0x0
	global_load_b64 v[14:15], v[16:17], off
	s_mov_b32 s1, 0
	s_wait_loadcnt 0x0
	v_trunc_f64_e32 v[14:15], v[14:15]
	s_delay_alu instid0(VALU_DEP_1) | instskip(NEXT) | instid1(VALU_DEP_1)
	v_ldexp_f64 v[18:19], v[14:15], 0xffffffe0
	v_floor_f64_e32 v[18:19], v[18:19]
	s_delay_alu instid0(VALU_DEP_1) | instskip(SKIP_1) | instid1(VALU_DEP_2)
	v_fmamk_f64 v[20:21], v[18:19], 0xc1f00000, v[14:15]
	v_cvt_i32_f64_e32 v15, v[18:19]
	v_cvt_u32_f64_e32 v14, v[20:21]
	s_branch .LBB126_4013
.LBB126_4009:
	s_mov_b32 s1, -1
                                        ; implicit-def: $vgpr14_vgpr15
	s_branch .LBB126_4031
.LBB126_4010:
	s_mov_b32 s1, -1
                                        ; implicit-def: $vgpr14_vgpr15
	s_branch .LBB126_4019
.LBB126_4011:
	s_mov_b32 s1, -1
                                        ; implicit-def: $vgpr14_vgpr15
	s_branch .LBB126_4016
.LBB126_4012:
	s_mov_b32 s1, -1
                                        ; implicit-def: $vgpr14_vgpr15
.LBB126_4013:
	s_delay_alu instid0(SALU_CYCLE_1)
	s_and_not1_b32 vcc_lo, exec_lo, s1
	s_cbranch_vccnz .LBB126_4015
; %bb.4014:
	global_load_b32 v1, v[16:17], off
	s_wait_loadcnt 0x0
	v_trunc_f32_e32 v1, v1
	s_delay_alu instid0(VALU_DEP_1) | instskip(SKIP_2) | instid1(VALU_DEP_2)
	v_mul_f32_e64 v3, 0x2f800000, |v1|
	s_wait_xcnt 0x1
	v_ashrrev_i32_e32 v14, 31, v1
	v_floor_f32_e32 v3, v3
	s_delay_alu instid0(VALU_DEP_1) | instskip(SKIP_1) | instid1(VALU_DEP_4)
	v_fma_f32 v5, 0xcf800000, v3, |v1|
	v_cvt_u32_f32_e32 v1, v3
	v_mov_b32_e32 v15, v14
	s_delay_alu instid0(VALU_DEP_3) | instskip(NEXT) | instid1(VALU_DEP_3)
	v_cvt_u32_f32_e32 v3, v5
	v_xor_b32_e32 v19, v1, v14
	s_delay_alu instid0(VALU_DEP_2) | instskip(NEXT) | instid1(VALU_DEP_1)
	v_xor_b32_e32 v18, v3, v14
	v_sub_nc_u64_e32 v[14:15], v[18:19], v[14:15]
.LBB126_4015:
	s_mov_b32 s1, 0
.LBB126_4016:
	s_delay_alu instid0(SALU_CYCLE_1)
	s_and_not1_b32 vcc_lo, exec_lo, s1
	s_cbranch_vccnz .LBB126_4018
; %bb.4017:
	global_load_b32 v1, v[16:17], off
	s_wait_loadcnt 0x0
	v_cvt_f32_f16_e32 v1, v1
	s_wait_xcnt 0x1
	s_delay_alu instid0(VALU_DEP_1) | instskip(NEXT) | instid1(VALU_DEP_1)
	v_cvt_i32_f32_e32 v14, v1
	v_ashrrev_i32_e32 v15, 31, v14
.LBB126_4018:
	s_mov_b32 s1, 0
.LBB126_4019:
	s_delay_alu instid0(SALU_CYCLE_1)
	s_and_not1_b32 vcc_lo, exec_lo, s1
	s_cbranch_vccnz .LBB126_4030
; %bb.4020:
	s_cmp_lt_i32 s0, 6
	s_cbranch_scc1 .LBB126_4023
; %bb.4021:
	s_cmp_gt_i32 s0, 6
	s_cbranch_scc0 .LBB126_4024
; %bb.4022:
	s_wait_loadcnt 0x0
	global_load_b64 v[14:15], v[16:17], off
	s_mov_b32 s1, 0
	s_wait_loadcnt 0x0
	v_trunc_f64_e32 v[14:15], v[14:15]
	s_delay_alu instid0(VALU_DEP_1) | instskip(NEXT) | instid1(VALU_DEP_1)
	v_ldexp_f64 v[18:19], v[14:15], 0xffffffe0
	v_floor_f64_e32 v[18:19], v[18:19]
	s_delay_alu instid0(VALU_DEP_1) | instskip(SKIP_1) | instid1(VALU_DEP_2)
	v_fmamk_f64 v[20:21], v[18:19], 0xc1f00000, v[14:15]
	v_cvt_i32_f64_e32 v15, v[18:19]
	v_cvt_u32_f64_e32 v14, v[20:21]
	s_branch .LBB126_4025
.LBB126_4023:
	s_mov_b32 s1, -1
                                        ; implicit-def: $vgpr14_vgpr15
	s_branch .LBB126_4028
.LBB126_4024:
	s_mov_b32 s1, -1
                                        ; implicit-def: $vgpr14_vgpr15
.LBB126_4025:
	s_delay_alu instid0(SALU_CYCLE_1)
	s_and_not1_b32 vcc_lo, exec_lo, s1
	s_cbranch_vccnz .LBB126_4027
; %bb.4026:
	global_load_b32 v1, v[16:17], off
	s_wait_loadcnt 0x0
	v_trunc_f32_e32 v1, v1
	s_delay_alu instid0(VALU_DEP_1) | instskip(SKIP_2) | instid1(VALU_DEP_2)
	v_mul_f32_e64 v3, 0x2f800000, |v1|
	s_wait_xcnt 0x1
	v_ashrrev_i32_e32 v14, 31, v1
	v_floor_f32_e32 v3, v3
	s_delay_alu instid0(VALU_DEP_1) | instskip(SKIP_1) | instid1(VALU_DEP_4)
	v_fma_f32 v5, 0xcf800000, v3, |v1|
	v_cvt_u32_f32_e32 v1, v3
	v_mov_b32_e32 v15, v14
	s_delay_alu instid0(VALU_DEP_3) | instskip(NEXT) | instid1(VALU_DEP_3)
	v_cvt_u32_f32_e32 v3, v5
	v_xor_b32_e32 v19, v1, v14
	s_delay_alu instid0(VALU_DEP_2) | instskip(NEXT) | instid1(VALU_DEP_1)
	v_xor_b32_e32 v18, v3, v14
	v_sub_nc_u64_e32 v[14:15], v[18:19], v[14:15]
.LBB126_4027:
	s_mov_b32 s1, 0
.LBB126_4028:
	s_delay_alu instid0(SALU_CYCLE_1)
	s_and_not1_b32 vcc_lo, exec_lo, s1
	s_cbranch_vccnz .LBB126_4030
; %bb.4029:
	global_load_u16 v1, v[16:17], off
	s_wait_loadcnt 0x0
	v_cvt_f32_f16_e32 v1, v1
	s_wait_xcnt 0x1
	s_delay_alu instid0(VALU_DEP_1) | instskip(NEXT) | instid1(VALU_DEP_1)
	v_cvt_i32_f32_e32 v14, v1
	v_ashrrev_i32_e32 v15, 31, v14
.LBB126_4030:
	s_mov_b32 s1, 0
.LBB126_4031:
	s_delay_alu instid0(SALU_CYCLE_1)
	s_and_not1_b32 vcc_lo, exec_lo, s1
	s_cbranch_vccnz .LBB126_4051
; %bb.4032:
	s_cmp_lt_i32 s0, 2
	s_cbranch_scc1 .LBB126_4036
; %bb.4033:
	s_cmp_lt_i32 s0, 3
	s_cbranch_scc1 .LBB126_4037
; %bb.4034:
	s_cmp_gt_i32 s0, 3
	s_cbranch_scc0 .LBB126_4038
; %bb.4035:
	s_wait_loadcnt 0x0
	global_load_b64 v[14:15], v[16:17], off
	s_mov_b32 s1, 0
	s_branch .LBB126_4039
.LBB126_4036:
	s_mov_b32 s1, -1
                                        ; implicit-def: $vgpr14_vgpr15
	s_branch .LBB126_4045
.LBB126_4037:
	s_mov_b32 s1, -1
                                        ; implicit-def: $vgpr14_vgpr15
	s_branch .LBB126_4042
.LBB126_4038:
	s_mov_b32 s1, -1
                                        ; implicit-def: $vgpr14_vgpr15
.LBB126_4039:
	s_delay_alu instid0(SALU_CYCLE_1)
	s_and_not1_b32 vcc_lo, exec_lo, s1
	s_cbranch_vccnz .LBB126_4041
; %bb.4040:
	s_wait_loadcnt 0x0
	global_load_b32 v14, v[16:17], off
	s_wait_loadcnt 0x0
	v_ashrrev_i32_e32 v15, 31, v14
.LBB126_4041:
	s_mov_b32 s1, 0
.LBB126_4042:
	s_delay_alu instid0(SALU_CYCLE_1)
	s_and_not1_b32 vcc_lo, exec_lo, s1
	s_cbranch_vccnz .LBB126_4044
; %bb.4043:
	global_load_u16 v1, v[16:17], off
	s_wait_loadcnt 0x0
	s_wait_xcnt 0x1
	v_bfe_i32 v14, v1, 0, 16
	s_delay_alu instid0(VALU_DEP_1)
	v_ashrrev_i32_e32 v15, 31, v14
.LBB126_4044:
	s_mov_b32 s1, 0
.LBB126_4045:
	s_delay_alu instid0(SALU_CYCLE_1)
	s_and_not1_b32 vcc_lo, exec_lo, s1
	s_cbranch_vccnz .LBB126_4051
; %bb.4046:
	s_cmp_gt_i32 s0, 0
	s_mov_b32 s0, 0
	s_cbranch_scc0 .LBB126_4048
; %bb.4047:
	global_load_i8 v1, v[16:17], off
	s_wait_loadcnt 0x0
	s_wait_xcnt 0x1
	v_bfe_i32 v14, v1, 0, 16
	s_delay_alu instid0(VALU_DEP_1)
	v_ashrrev_i32_e32 v15, 31, v14
	s_branch .LBB126_4049
.LBB126_4048:
	s_mov_b32 s0, -1
                                        ; implicit-def: $vgpr14_vgpr15
.LBB126_4049:
	s_delay_alu instid0(SALU_CYCLE_1)
	s_and_not1_b32 vcc_lo, exec_lo, s0
	s_cbranch_vccnz .LBB126_4051
; %bb.4050:
	global_load_u8 v1, v[16:17], off
	s_mov_b32 s0, 0
	s_wait_loadcnt 0x1
	s_wait_xcnt 0x1
	v_mov_b32_e32 v15, s0
	s_wait_loadcnt 0x0
	v_and_b32_e32 v14, 0xffff, v1
.LBB126_4051:
	s_mov_b32 s19, -1
.LBB126_4052:
	s_delay_alu instid0(SALU_CYCLE_1)
	s_and_not1_b32 vcc_lo, exec_lo, s19
	s_cbranch_vccnz .LBB126_4318
; %bb.4053:
	s_lshl_b32 s72, s2, 7
	s_cmp_lt_i32 s60, 11
	v_add_nc_u32_e32 v6, s72, v6
	s_delay_alu instid0(VALU_DEP_1) | instskip(NEXT) | instid1(VALU_DEP_1)
	v_ashrrev_i32_e32 v7, 31, v6
	v_add_nc_u64_e32 v[18:19], s[12:13], v[6:7]
	s_cbranch_scc1 .LBB126_4060
; %bb.4054:
	s_and_b32 s0, 0xffff, s60
	s_mov_b32 s2, 0
	s_cmp_gt_i32 s0, 25
	s_cbranch_scc0 .LBB126_4061
; %bb.4055:
	s_cmp_gt_i32 s0, 28
	s_cbranch_scc0 .LBB126_4062
; %bb.4056:
	s_cmp_gt_i32 s0, 43
	s_cbranch_scc0 .LBB126_4063
; %bb.4057:
	s_cmp_gt_i32 s0, 45
	s_cbranch_scc0 .LBB126_4065
; %bb.4058:
	s_cmp_eq_u32 s0, 46
	s_mov_b32 s19, 0
	s_cbranch_scc0 .LBB126_4068
; %bb.4059:
	global_load_b32 v1, v[18:19], off
	s_mov_b32 s1, 0
	s_mov_b32 s18, -1
	s_wait_loadcnt 0x0
	v_lshlrev_b32_e32 v1, 16, v1
	s_delay_alu instid0(VALU_DEP_1) | instskip(NEXT) | instid1(VALU_DEP_1)
	v_trunc_f32_e32 v1, v1
	v_mul_f32_e64 v3, 0x2f800000, |v1|
	s_wait_xcnt 0x1
	v_ashrrev_i32_e32 v16, 31, v1
	s_delay_alu instid0(VALU_DEP_2) | instskip(NEXT) | instid1(VALU_DEP_2)
	v_floor_f32_e32 v3, v3
	v_mov_b32_e32 v17, v16
	s_delay_alu instid0(VALU_DEP_2) | instskip(SKIP_1) | instid1(VALU_DEP_2)
	v_fma_f32 v5, 0xcf800000, v3, |v1|
	v_cvt_u32_f32_e32 v1, v3
	v_cvt_u32_f32_e32 v3, v5
	s_delay_alu instid0(VALU_DEP_2) | instskip(NEXT) | instid1(VALU_DEP_2)
	v_xor_b32_e32 v21, v1, v16
	v_xor_b32_e32 v20, v3, v16
	s_delay_alu instid0(VALU_DEP_1)
	v_sub_nc_u64_e32 v[16:17], v[20:21], v[16:17]
	s_branch .LBB126_4070
.LBB126_4060:
	s_mov_b32 s0, -1
	s_mov_b32 s18, 0
                                        ; implicit-def: $vgpr16_vgpr17
	s_branch .LBB126_4132
.LBB126_4061:
	s_mov_b32 s19, -1
	s_mov_b32 s18, 0
	s_mov_b32 s1, 0
                                        ; implicit-def: $vgpr16_vgpr17
	s_branch .LBB126_4097
.LBB126_4062:
	s_mov_b32 s19, -1
	s_mov_b32 s18, 0
	s_mov_b32 s1, 0
                                        ; implicit-def: $vgpr16_vgpr17
	s_branch .LBB126_4080
.LBB126_4063:
	s_mov_b32 s19, -1
	s_mov_b32 s18, 0
	s_mov_b32 s1, 0
                                        ; implicit-def: $vgpr16_vgpr17
	s_branch .LBB126_4075
.LBB126_4064:
	s_or_b32 s17, s17, exec_lo
	s_trap 2
	s_cbranch_execz .LBB126_4001
	s_branch .LBB126_4002
.LBB126_4065:
	s_mov_b32 s19, -1
	s_mov_b32 s18, 0
	s_mov_b32 s1, 0
	s_branch .LBB126_4069
.LBB126_4066:
	s_or_b32 exec_lo, exec_lo, s78
	s_branch .LBB126_1298
.LBB126_4067:
	s_or_b32 s55, s33, exec_lo
	s_trap 2
                                        ; implicit-def: $vgpr0
                                        ; implicit-def: $vgpr2
                                        ; implicit-def: $vgpr4
                                        ; implicit-def: $vgpr14_vgpr15
                                        ; implicit-def: $vgpr6
                                        ; implicit-def: $vgpr16_vgpr17
                                        ; implicit-def: $vgpr8
                                        ; implicit-def: $vgpr20_vgpr21
                                        ; implicit-def: $vgpr22
	s_branch .LBB126_3431
.LBB126_4068:
	s_mov_b32 s1, -1
	s_mov_b32 s18, 0
.LBB126_4069:
                                        ; implicit-def: $vgpr16_vgpr17
.LBB126_4070:
	s_and_b32 vcc_lo, exec_lo, s19
	s_cbranch_vccz .LBB126_4074
; %bb.4071:
	s_cmp_eq_u32 s0, 44
	s_cbranch_scc0 .LBB126_4073
; %bb.4072:
	global_load_u8 v1, v[18:19], off
	s_mov_b32 s1, 0
	s_mov_b32 s18, -1
	s_wait_loadcnt 0x0
	v_lshlrev_b32_e32 v3, 23, v1
	v_cmp_ne_u32_e32 vcc_lo, 0, v1
	s_delay_alu instid0(VALU_DEP_2) | instskip(NEXT) | instid1(VALU_DEP_1)
	v_trunc_f32_e32 v3, v3
	v_mul_f32_e64 v5, 0x2f800000, |v3|
	s_wait_xcnt 0x1
	v_ashrrev_i32_e32 v16, 31, v3
	s_delay_alu instid0(VALU_DEP_2) | instskip(NEXT) | instid1(VALU_DEP_2)
	v_floor_f32_e32 v5, v5
	v_mov_b32_e32 v17, v16
	s_delay_alu instid0(VALU_DEP_2) | instskip(SKIP_1) | instid1(VALU_DEP_2)
	v_fma_f32 v7, 0xcf800000, v5, |v3|
	v_cvt_u32_f32_e32 v3, v5
	v_cvt_u32_f32_e32 v5, v7
	s_delay_alu instid0(VALU_DEP_2) | instskip(NEXT) | instid1(VALU_DEP_2)
	v_xor_b32_e32 v21, v3, v16
	v_xor_b32_e32 v20, v5, v16
	s_delay_alu instid0(VALU_DEP_1) | instskip(NEXT) | instid1(VALU_DEP_1)
	v_sub_nc_u64_e32 v[16:17], v[20:21], v[16:17]
	v_dual_cndmask_b32 v17, 0, v17 :: v_dual_cndmask_b32 v16, 0, v16
	s_branch .LBB126_4074
.LBB126_4073:
	s_mov_b32 s1, -1
                                        ; implicit-def: $vgpr16_vgpr17
.LBB126_4074:
	s_mov_b32 s19, 0
.LBB126_4075:
	s_delay_alu instid0(SALU_CYCLE_1)
	s_and_b32 vcc_lo, exec_lo, s19
	s_cbranch_vccz .LBB126_4079
; %bb.4076:
	s_cmp_eq_u32 s0, 29
	s_cbranch_scc0 .LBB126_4078
; %bb.4077:
	global_load_b64 v[16:17], v[18:19], off
	s_mov_b32 s1, 0
	s_mov_b32 s18, -1
	s_branch .LBB126_4079
.LBB126_4078:
	s_mov_b32 s1, -1
                                        ; implicit-def: $vgpr16_vgpr17
.LBB126_4079:
	s_mov_b32 s19, 0
.LBB126_4080:
	s_delay_alu instid0(SALU_CYCLE_1)
	s_and_b32 vcc_lo, exec_lo, s19
	s_cbranch_vccz .LBB126_4096
; %bb.4081:
	s_cmp_lt_i32 s0, 27
	s_cbranch_scc1 .LBB126_4084
; %bb.4082:
	s_cmp_gt_i32 s0, 27
	s_cbranch_scc0 .LBB126_4085
; %bb.4083:
	s_wait_loadcnt 0x0
	global_load_b32 v16, v[18:19], off
	v_mov_b32_e32 v17, 0
	s_mov_b32 s18, 0
	s_branch .LBB126_4086
.LBB126_4084:
	s_mov_b32 s18, -1
                                        ; implicit-def: $vgpr16_vgpr17
	s_branch .LBB126_4089
.LBB126_4085:
	s_mov_b32 s18, -1
                                        ; implicit-def: $vgpr16_vgpr17
.LBB126_4086:
	s_delay_alu instid0(SALU_CYCLE_1)
	s_and_not1_b32 vcc_lo, exec_lo, s18
	s_cbranch_vccnz .LBB126_4088
; %bb.4087:
	global_load_u16 v1, v[18:19], off
	s_mov_b32 s18, 0
	s_wait_loadcnt 0x1
	s_wait_xcnt 0x1
	v_mov_b32_e32 v17, s18
	s_wait_loadcnt 0x0
	v_and_b32_e32 v16, 0xffff, v1
.LBB126_4088:
	s_mov_b32 s18, 0
.LBB126_4089:
	s_delay_alu instid0(SALU_CYCLE_1)
	s_and_not1_b32 vcc_lo, exec_lo, s18
	s_cbranch_vccnz .LBB126_4095
; %bb.4090:
	global_load_u8 v1, v[18:19], off
	s_mov_b32 s19, 0
	s_mov_b32 s18, exec_lo
	s_wait_loadcnt 0x0
	v_cmpx_lt_i16_e32 0x7f, v1
	s_xor_b32 s18, exec_lo, s18
	s_cbranch_execz .LBB126_4107
; %bb.4091:
	v_cmp_ne_u16_e32 vcc_lo, 0x80, v1
	s_and_b32 s19, vcc_lo, exec_lo
	s_and_not1_saveexec_b32 s18, s18
	s_cbranch_execnz .LBB126_4108
.LBB126_4092:
	s_or_b32 exec_lo, exec_lo, s18
	v_mov_b64_e32 v[16:17], 0
	s_and_saveexec_b32 s18, s19
	s_cbranch_execz .LBB126_4094
.LBB126_4093:
	v_and_b32_e32 v3, 0xffff, v1
	s_delay_alu instid0(VALU_DEP_1) | instskip(SKIP_1) | instid1(VALU_DEP_2)
	v_dual_lshlrev_b32 v1, 24, v1 :: v_dual_bitop2_b32 v5, 7, v3 bitop3:0x40
	v_bfe_u32 v16, v3, 3, 4
	v_and_b32_e32 v1, 0x80000000, v1
	s_delay_alu instid0(VALU_DEP_3) | instskip(NEXT) | instid1(VALU_DEP_3)
	v_clz_i32_u32_e32 v7, v5
	v_cmp_eq_u32_e32 vcc_lo, 0, v16
	s_delay_alu instid0(VALU_DEP_2) | instskip(NEXT) | instid1(VALU_DEP_1)
	v_min_u32_e32 v7, 32, v7
	v_subrev_nc_u32_e32 v9, 28, v7
	v_sub_nc_u32_e32 v7, 29, v7
	s_delay_alu instid0(VALU_DEP_2) | instskip(NEXT) | instid1(VALU_DEP_2)
	v_lshlrev_b32_e32 v3, v9, v3
	v_cndmask_b32_e32 v7, v16, v7, vcc_lo
	s_delay_alu instid0(VALU_DEP_2) | instskip(NEXT) | instid1(VALU_DEP_1)
	v_and_b32_e32 v3, 7, v3
	v_cndmask_b32_e32 v3, v5, v3, vcc_lo
	s_delay_alu instid0(VALU_DEP_3) | instskip(NEXT) | instid1(VALU_DEP_2)
	v_lshl_add_u32 v5, v7, 23, 0x3b800000
	v_lshlrev_b32_e32 v3, 20, v3
	s_delay_alu instid0(VALU_DEP_1) | instskip(NEXT) | instid1(VALU_DEP_1)
	v_or3_b32 v1, v1, v5, v3
	v_trunc_f32_e32 v1, v1
	s_delay_alu instid0(VALU_DEP_1) | instskip(SKIP_1) | instid1(VALU_DEP_2)
	v_mul_f32_e64 v3, 0x2f800000, |v1|
	v_ashrrev_i32_e32 v16, 31, v1
	v_floor_f32_e32 v3, v3
	s_delay_alu instid0(VALU_DEP_2) | instskip(NEXT) | instid1(VALU_DEP_2)
	v_mov_b32_e32 v17, v16
	v_fma_f32 v5, 0xcf800000, v3, |v1|
	v_cvt_u32_f32_e32 v1, v3
	s_delay_alu instid0(VALU_DEP_2) | instskip(NEXT) | instid1(VALU_DEP_2)
	v_cvt_u32_f32_e32 v3, v5
	v_xor_b32_e32 v21, v1, v16
	s_delay_alu instid0(VALU_DEP_2) | instskip(NEXT) | instid1(VALU_DEP_1)
	v_xor_b32_e32 v20, v3, v16
	v_sub_nc_u64_e32 v[16:17], v[20:21], v[16:17]
.LBB126_4094:
	s_or_b32 exec_lo, exec_lo, s18
.LBB126_4095:
	s_mov_b32 s18, -1
.LBB126_4096:
	s_mov_b32 s19, 0
.LBB126_4097:
	s_delay_alu instid0(SALU_CYCLE_1)
	s_and_b32 vcc_lo, exec_lo, s19
	s_cbranch_vccz .LBB126_4128
; %bb.4098:
	s_cmp_gt_i32 s0, 22
	s_cbranch_scc0 .LBB126_4106
; %bb.4099:
	s_cmp_lt_i32 s0, 24
	s_cbranch_scc1 .LBB126_4109
; %bb.4100:
	s_cmp_gt_i32 s0, 24
	s_cbranch_scc0 .LBB126_4110
; %bb.4101:
	global_load_u8 v1, v[18:19], off
	s_mov_b32 s18, 0
	s_mov_b32 s2, exec_lo
	s_wait_loadcnt 0x0
	v_cmpx_lt_i16_e32 0x7f, v1
	s_xor_b32 s2, exec_lo, s2
	s_cbranch_execz .LBB126_4122
; %bb.4102:
	v_cmp_ne_u16_e32 vcc_lo, 0x80, v1
	s_and_b32 s18, vcc_lo, exec_lo
	s_and_not1_saveexec_b32 s2, s2
	s_cbranch_execnz .LBB126_4123
.LBB126_4103:
	s_or_b32 exec_lo, exec_lo, s2
	v_mov_b64_e32 v[16:17], 0
	s_and_saveexec_b32 s2, s18
	s_cbranch_execz .LBB126_4105
.LBB126_4104:
	v_and_b32_e32 v3, 0xffff, v1
	s_delay_alu instid0(VALU_DEP_1) | instskip(SKIP_1) | instid1(VALU_DEP_2)
	v_dual_lshlrev_b32 v1, 24, v1 :: v_dual_bitop2_b32 v5, 3, v3 bitop3:0x40
	v_bfe_u32 v16, v3, 2, 5
	v_and_b32_e32 v1, 0x80000000, v1
	s_delay_alu instid0(VALU_DEP_3) | instskip(NEXT) | instid1(VALU_DEP_3)
	v_clz_i32_u32_e32 v7, v5
	v_cmp_eq_u32_e32 vcc_lo, 0, v16
	s_delay_alu instid0(VALU_DEP_2) | instskip(NEXT) | instid1(VALU_DEP_1)
	v_min_u32_e32 v7, 32, v7
	v_subrev_nc_u32_e32 v9, 29, v7
	v_sub_nc_u32_e32 v7, 30, v7
	s_delay_alu instid0(VALU_DEP_2) | instskip(NEXT) | instid1(VALU_DEP_2)
	v_lshlrev_b32_e32 v3, v9, v3
	v_cndmask_b32_e32 v7, v16, v7, vcc_lo
	s_delay_alu instid0(VALU_DEP_2) | instskip(NEXT) | instid1(VALU_DEP_1)
	v_and_b32_e32 v3, 3, v3
	v_cndmask_b32_e32 v3, v5, v3, vcc_lo
	s_delay_alu instid0(VALU_DEP_3) | instskip(NEXT) | instid1(VALU_DEP_2)
	v_lshl_add_u32 v5, v7, 23, 0x37800000
	v_lshlrev_b32_e32 v3, 21, v3
	s_delay_alu instid0(VALU_DEP_1) | instskip(NEXT) | instid1(VALU_DEP_1)
	v_or3_b32 v1, v1, v5, v3
	v_trunc_f32_e32 v1, v1
	s_delay_alu instid0(VALU_DEP_1) | instskip(SKIP_1) | instid1(VALU_DEP_2)
	v_mul_f32_e64 v3, 0x2f800000, |v1|
	v_ashrrev_i32_e32 v16, 31, v1
	v_floor_f32_e32 v3, v3
	s_delay_alu instid0(VALU_DEP_2) | instskip(NEXT) | instid1(VALU_DEP_2)
	v_mov_b32_e32 v17, v16
	v_fma_f32 v5, 0xcf800000, v3, |v1|
	v_cvt_u32_f32_e32 v1, v3
	s_delay_alu instid0(VALU_DEP_2) | instskip(NEXT) | instid1(VALU_DEP_2)
	v_cvt_u32_f32_e32 v3, v5
	v_xor_b32_e32 v21, v1, v16
	s_delay_alu instid0(VALU_DEP_2) | instskip(NEXT) | instid1(VALU_DEP_1)
	v_xor_b32_e32 v20, v3, v16
	v_sub_nc_u64_e32 v[16:17], v[20:21], v[16:17]
.LBB126_4105:
	s_or_b32 exec_lo, exec_lo, s2
	s_mov_b32 s2, 0
	s_branch .LBB126_4111
.LBB126_4106:
	s_mov_b32 s2, -1
                                        ; implicit-def: $vgpr16_vgpr17
	s_branch .LBB126_4117
.LBB126_4107:
	s_and_not1_saveexec_b32 s18, s18
	s_cbranch_execz .LBB126_4092
.LBB126_4108:
	v_cmp_ne_u16_e32 vcc_lo, 0, v1
	s_and_not1_b32 s19, s19, exec_lo
	s_and_b32 s29, vcc_lo, exec_lo
	s_delay_alu instid0(SALU_CYCLE_1)
	s_or_b32 s19, s19, s29
	s_or_b32 exec_lo, exec_lo, s18
	v_mov_b64_e32 v[16:17], 0
	s_and_saveexec_b32 s18, s19
	s_cbranch_execnz .LBB126_4093
	s_branch .LBB126_4094
.LBB126_4109:
	s_mov_b32 s2, -1
                                        ; implicit-def: $vgpr16_vgpr17
	s_branch .LBB126_4114
.LBB126_4110:
	s_mov_b32 s2, -1
                                        ; implicit-def: $vgpr16_vgpr17
.LBB126_4111:
	s_delay_alu instid0(SALU_CYCLE_1)
	s_and_b32 vcc_lo, exec_lo, s2
	s_cbranch_vccz .LBB126_4113
; %bb.4112:
	global_load_u8 v1, v[18:19], off
	s_wait_loadcnt 0x0
	v_lshlrev_b32_e32 v1, 24, v1
	s_delay_alu instid0(VALU_DEP_1) | instskip(NEXT) | instid1(VALU_DEP_1)
	v_and_b32_e32 v3, 0x7f000000, v1
	v_clz_i32_u32_e32 v5, v3
	v_add_nc_u32_e32 v9, 0x1000000, v3
	v_cmp_ne_u32_e32 vcc_lo, 0, v3
	s_delay_alu instid0(VALU_DEP_3) | instskip(NEXT) | instid1(VALU_DEP_1)
	v_min_u32_e32 v5, 32, v5
	v_sub_nc_u32_e64 v5, v5, 4 clamp
	s_delay_alu instid0(VALU_DEP_1) | instskip(NEXT) | instid1(VALU_DEP_1)
	v_dual_lshlrev_b32 v7, v5, v3 :: v_dual_lshlrev_b32 v5, 23, v5
	v_lshrrev_b32_e32 v7, 4, v7
	s_delay_alu instid0(VALU_DEP_1) | instskip(SKIP_1) | instid1(VALU_DEP_2)
	v_sub_nc_u32_e32 v5, v7, v5
	v_ashrrev_i32_e32 v7, 8, v9
	v_add_nc_u32_e32 v5, 0x3c000000, v5
	s_delay_alu instid0(VALU_DEP_1) | instskip(NEXT) | instid1(VALU_DEP_1)
	v_and_or_b32 v5, 0x7f800000, v7, v5
	v_cndmask_b32_e32 v3, 0, v5, vcc_lo
	s_delay_alu instid0(VALU_DEP_1) | instskip(NEXT) | instid1(VALU_DEP_1)
	v_and_or_b32 v1, 0x80000000, v1, v3
	v_trunc_f32_e32 v1, v1
	s_delay_alu instid0(VALU_DEP_1) | instskip(SKIP_2) | instid1(VALU_DEP_2)
	v_mul_f32_e64 v3, 0x2f800000, |v1|
	s_wait_xcnt 0x1
	v_ashrrev_i32_e32 v16, 31, v1
	v_floor_f32_e32 v3, v3
	s_delay_alu instid0(VALU_DEP_2) | instskip(NEXT) | instid1(VALU_DEP_2)
	v_mov_b32_e32 v17, v16
	v_fma_f32 v5, 0xcf800000, v3, |v1|
	v_cvt_u32_f32_e32 v1, v3
	s_delay_alu instid0(VALU_DEP_2) | instskip(NEXT) | instid1(VALU_DEP_2)
	v_cvt_u32_f32_e32 v3, v5
	v_xor_b32_e32 v21, v1, v16
	s_delay_alu instid0(VALU_DEP_2) | instskip(NEXT) | instid1(VALU_DEP_1)
	v_xor_b32_e32 v20, v3, v16
	v_sub_nc_u64_e32 v[16:17], v[20:21], v[16:17]
.LBB126_4113:
	s_mov_b32 s2, 0
.LBB126_4114:
	s_delay_alu instid0(SALU_CYCLE_1)
	s_and_not1_b32 vcc_lo, exec_lo, s2
	s_cbranch_vccnz .LBB126_4116
; %bb.4115:
	global_load_u8 v1, v[18:19], off
	s_wait_loadcnt 0x0
	v_lshlrev_b32_e32 v3, 25, v1
	v_lshlrev_b16 v1, 8, v1
	s_delay_alu instid0(VALU_DEP_1) | instskip(SKIP_1) | instid1(VALU_DEP_2)
	v_and_or_b32 v7, 0x7f00, v1, 0.5
	v_bfe_i32 v1, v1, 0, 16
	v_add_f32_e32 v7, -0.5, v7
	v_lshrrev_b32_e32 v5, 4, v3
	v_cmp_gt_u32_e32 vcc_lo, 0x8000000, v3
	s_delay_alu instid0(VALU_DEP_2) | instskip(NEXT) | instid1(VALU_DEP_1)
	v_or_b32_e32 v5, 0x70000000, v5
	v_mul_f32_e32 v5, 0x7800000, v5
	s_delay_alu instid0(VALU_DEP_1) | instskip(NEXT) | instid1(VALU_DEP_1)
	v_cndmask_b32_e32 v3, v5, v7, vcc_lo
	v_and_or_b32 v1, 0x80000000, v1, v3
	s_delay_alu instid0(VALU_DEP_1) | instskip(NEXT) | instid1(VALU_DEP_1)
	v_trunc_f32_e32 v1, v1
	v_mul_f32_e64 v3, 0x2f800000, |v1|
	s_wait_xcnt 0x1
	v_ashrrev_i32_e32 v16, 31, v1
	s_delay_alu instid0(VALU_DEP_2) | instskip(NEXT) | instid1(VALU_DEP_2)
	v_floor_f32_e32 v3, v3
	v_mov_b32_e32 v17, v16
	s_delay_alu instid0(VALU_DEP_2) | instskip(SKIP_1) | instid1(VALU_DEP_2)
	v_fma_f32 v5, 0xcf800000, v3, |v1|
	v_cvt_u32_f32_e32 v1, v3
	v_cvt_u32_f32_e32 v3, v5
	s_delay_alu instid0(VALU_DEP_2) | instskip(NEXT) | instid1(VALU_DEP_2)
	v_xor_b32_e32 v21, v1, v16
	v_xor_b32_e32 v20, v3, v16
	s_delay_alu instid0(VALU_DEP_1)
	v_sub_nc_u64_e32 v[16:17], v[20:21], v[16:17]
.LBB126_4116:
	s_mov_b32 s2, 0
	s_mov_b32 s18, -1
.LBB126_4117:
	s_and_not1_b32 vcc_lo, exec_lo, s2
	s_mov_b32 s2, 0
	s_cbranch_vccnz .LBB126_4128
; %bb.4118:
	s_cmp_gt_i32 s0, 14
	s_cbranch_scc0 .LBB126_4121
; %bb.4119:
	s_cmp_eq_u32 s0, 15
	s_cbranch_scc0 .LBB126_4124
; %bb.4120:
	global_load_u16 v1, v[18:19], off
	s_mov_b32 s1, 0
	s_mov_b32 s18, -1
	s_wait_loadcnt 0x0
	v_lshlrev_b32_e32 v1, 16, v1
	s_delay_alu instid0(VALU_DEP_1) | instskip(NEXT) | instid1(VALU_DEP_1)
	v_trunc_f32_e32 v1, v1
	v_mul_f32_e64 v3, 0x2f800000, |v1|
	s_wait_xcnt 0x1
	v_ashrrev_i32_e32 v16, 31, v1
	s_delay_alu instid0(VALU_DEP_2) | instskip(NEXT) | instid1(VALU_DEP_2)
	v_floor_f32_e32 v3, v3
	v_mov_b32_e32 v17, v16
	s_delay_alu instid0(VALU_DEP_2) | instskip(SKIP_1) | instid1(VALU_DEP_2)
	v_fma_f32 v5, 0xcf800000, v3, |v1|
	v_cvt_u32_f32_e32 v1, v3
	v_cvt_u32_f32_e32 v3, v5
	s_delay_alu instid0(VALU_DEP_2) | instskip(NEXT) | instid1(VALU_DEP_2)
	v_xor_b32_e32 v21, v1, v16
	v_xor_b32_e32 v20, v3, v16
	s_delay_alu instid0(VALU_DEP_1)
	v_sub_nc_u64_e32 v[16:17], v[20:21], v[16:17]
	s_branch .LBB126_4126
.LBB126_4121:
	s_mov_b32 s2, -1
	s_branch .LBB126_4125
.LBB126_4122:
	s_and_not1_saveexec_b32 s2, s2
	s_cbranch_execz .LBB126_4103
.LBB126_4123:
	v_cmp_ne_u16_e32 vcc_lo, 0, v1
	s_and_not1_b32 s18, s18, exec_lo
	s_and_b32 s19, vcc_lo, exec_lo
	s_delay_alu instid0(SALU_CYCLE_1)
	s_or_b32 s18, s18, s19
	s_or_b32 exec_lo, exec_lo, s2
	v_mov_b64_e32 v[16:17], 0
	s_and_saveexec_b32 s2, s18
	s_cbranch_execnz .LBB126_4104
	s_branch .LBB126_4105
.LBB126_4124:
	s_mov_b32 s1, -1
.LBB126_4125:
                                        ; implicit-def: $vgpr16_vgpr17
.LBB126_4126:
	s_and_b32 vcc_lo, exec_lo, s2
	s_mov_b32 s2, 0
	s_cbranch_vccz .LBB126_4128
; %bb.4127:
	s_cmp_lg_u32 s0, 11
	s_mov_b32 s2, -1
	s_cselect_b32 s1, -1, 0
.LBB126_4128:
	s_delay_alu instid0(SALU_CYCLE_1)
	s_and_b32 vcc_lo, exec_lo, s1
	s_cbranch_vccnz .LBB126_4193
; %bb.4129:
	s_and_not1_b32 vcc_lo, exec_lo, s2
	s_cbranch_vccnz .LBB126_4131
.LBB126_4130:
	global_load_u8 v1, v[18:19], off
	s_mov_b32 s0, 0
	s_mov_b32 s18, -1
	s_wait_loadcnt 0x1
	s_wait_xcnt 0x1
	v_mov_b32_e32 v17, s0
	s_wait_loadcnt 0x0
	v_cmp_ne_u16_e32 vcc_lo, 0, v1
	v_cndmask_b32_e64 v16, 0, 1, vcc_lo
.LBB126_4131:
	s_mov_b32 s0, 0
.LBB126_4132:
	s_delay_alu instid0(SALU_CYCLE_1)
	s_and_b32 vcc_lo, exec_lo, s0
	s_cbranch_vccz .LBB126_4181
; %bb.4133:
	s_and_b32 s0, 0xffff, s60
	s_delay_alu instid0(SALU_CYCLE_1)
	s_cmp_lt_i32 s0, 5
	s_cbranch_scc1 .LBB126_4138
; %bb.4134:
	s_cmp_lt_i32 s0, 8
	s_cbranch_scc1 .LBB126_4139
; %bb.4135:
	;; [unrolled: 3-line block ×3, first 2 shown]
	s_cmp_gt_i32 s0, 9
	s_cbranch_scc0 .LBB126_4141
; %bb.4137:
	s_wait_loadcnt 0x0
	global_load_b64 v[16:17], v[18:19], off
	s_mov_b32 s1, 0
	s_wait_loadcnt 0x0
	v_trunc_f64_e32 v[16:17], v[16:17]
	s_delay_alu instid0(VALU_DEP_1) | instskip(NEXT) | instid1(VALU_DEP_1)
	v_ldexp_f64 v[20:21], v[16:17], 0xffffffe0
	v_floor_f64_e32 v[20:21], v[20:21]
	s_delay_alu instid0(VALU_DEP_1) | instskip(SKIP_1) | instid1(VALU_DEP_2)
	v_fmamk_f64 v[24:25], v[20:21], 0xc1f00000, v[16:17]
	v_cvt_i32_f64_e32 v17, v[20:21]
	v_cvt_u32_f64_e32 v16, v[24:25]
	s_branch .LBB126_4142
.LBB126_4138:
	s_mov_b32 s1, -1
                                        ; implicit-def: $vgpr16_vgpr17
	s_branch .LBB126_4160
.LBB126_4139:
	s_mov_b32 s1, -1
                                        ; implicit-def: $vgpr16_vgpr17
	s_branch .LBB126_4148
.LBB126_4140:
	s_mov_b32 s1, -1
                                        ; implicit-def: $vgpr16_vgpr17
	s_branch .LBB126_4145
.LBB126_4141:
	s_mov_b32 s1, -1
                                        ; implicit-def: $vgpr16_vgpr17
.LBB126_4142:
	s_delay_alu instid0(SALU_CYCLE_1)
	s_and_not1_b32 vcc_lo, exec_lo, s1
	s_cbranch_vccnz .LBB126_4144
; %bb.4143:
	global_load_b32 v1, v[18:19], off
	s_wait_loadcnt 0x0
	v_trunc_f32_e32 v1, v1
	s_delay_alu instid0(VALU_DEP_1) | instskip(SKIP_2) | instid1(VALU_DEP_2)
	v_mul_f32_e64 v3, 0x2f800000, |v1|
	s_wait_xcnt 0x1
	v_ashrrev_i32_e32 v16, 31, v1
	v_floor_f32_e32 v3, v3
	s_delay_alu instid0(VALU_DEP_1) | instskip(SKIP_1) | instid1(VALU_DEP_4)
	v_fma_f32 v5, 0xcf800000, v3, |v1|
	v_cvt_u32_f32_e32 v1, v3
	v_mov_b32_e32 v17, v16
	s_delay_alu instid0(VALU_DEP_3) | instskip(NEXT) | instid1(VALU_DEP_3)
	v_cvt_u32_f32_e32 v3, v5
	v_xor_b32_e32 v21, v1, v16
	s_delay_alu instid0(VALU_DEP_2) | instskip(NEXT) | instid1(VALU_DEP_1)
	v_xor_b32_e32 v20, v3, v16
	v_sub_nc_u64_e32 v[16:17], v[20:21], v[16:17]
.LBB126_4144:
	s_mov_b32 s1, 0
.LBB126_4145:
	s_delay_alu instid0(SALU_CYCLE_1)
	s_and_not1_b32 vcc_lo, exec_lo, s1
	s_cbranch_vccnz .LBB126_4147
; %bb.4146:
	global_load_b32 v1, v[18:19], off
	s_wait_loadcnt 0x0
	v_cvt_f32_f16_e32 v1, v1
	s_wait_xcnt 0x1
	s_delay_alu instid0(VALU_DEP_1) | instskip(NEXT) | instid1(VALU_DEP_1)
	v_cvt_i32_f32_e32 v16, v1
	v_ashrrev_i32_e32 v17, 31, v16
.LBB126_4147:
	s_mov_b32 s1, 0
.LBB126_4148:
	s_delay_alu instid0(SALU_CYCLE_1)
	s_and_not1_b32 vcc_lo, exec_lo, s1
	s_cbranch_vccnz .LBB126_4159
; %bb.4149:
	s_cmp_lt_i32 s0, 6
	s_cbranch_scc1 .LBB126_4152
; %bb.4150:
	s_cmp_gt_i32 s0, 6
	s_cbranch_scc0 .LBB126_4153
; %bb.4151:
	s_wait_loadcnt 0x0
	global_load_b64 v[16:17], v[18:19], off
	s_mov_b32 s1, 0
	s_wait_loadcnt 0x0
	v_trunc_f64_e32 v[16:17], v[16:17]
	s_delay_alu instid0(VALU_DEP_1) | instskip(NEXT) | instid1(VALU_DEP_1)
	v_ldexp_f64 v[20:21], v[16:17], 0xffffffe0
	v_floor_f64_e32 v[20:21], v[20:21]
	s_delay_alu instid0(VALU_DEP_1) | instskip(SKIP_1) | instid1(VALU_DEP_2)
	v_fmamk_f64 v[24:25], v[20:21], 0xc1f00000, v[16:17]
	v_cvt_i32_f64_e32 v17, v[20:21]
	v_cvt_u32_f64_e32 v16, v[24:25]
	s_branch .LBB126_4154
.LBB126_4152:
	s_mov_b32 s1, -1
                                        ; implicit-def: $vgpr16_vgpr17
	s_branch .LBB126_4157
.LBB126_4153:
	s_mov_b32 s1, -1
                                        ; implicit-def: $vgpr16_vgpr17
.LBB126_4154:
	s_delay_alu instid0(SALU_CYCLE_1)
	s_and_not1_b32 vcc_lo, exec_lo, s1
	s_cbranch_vccnz .LBB126_4156
; %bb.4155:
	global_load_b32 v1, v[18:19], off
	s_wait_loadcnt 0x0
	v_trunc_f32_e32 v1, v1
	s_delay_alu instid0(VALU_DEP_1) | instskip(SKIP_2) | instid1(VALU_DEP_2)
	v_mul_f32_e64 v3, 0x2f800000, |v1|
	s_wait_xcnt 0x1
	v_ashrrev_i32_e32 v16, 31, v1
	v_floor_f32_e32 v3, v3
	s_delay_alu instid0(VALU_DEP_1) | instskip(SKIP_1) | instid1(VALU_DEP_4)
	v_fma_f32 v5, 0xcf800000, v3, |v1|
	v_cvt_u32_f32_e32 v1, v3
	v_mov_b32_e32 v17, v16
	s_delay_alu instid0(VALU_DEP_3) | instskip(NEXT) | instid1(VALU_DEP_3)
	v_cvt_u32_f32_e32 v3, v5
	v_xor_b32_e32 v21, v1, v16
	s_delay_alu instid0(VALU_DEP_2) | instskip(NEXT) | instid1(VALU_DEP_1)
	v_xor_b32_e32 v20, v3, v16
	v_sub_nc_u64_e32 v[16:17], v[20:21], v[16:17]
.LBB126_4156:
	s_mov_b32 s1, 0
.LBB126_4157:
	s_delay_alu instid0(SALU_CYCLE_1)
	s_and_not1_b32 vcc_lo, exec_lo, s1
	s_cbranch_vccnz .LBB126_4159
; %bb.4158:
	global_load_u16 v1, v[18:19], off
	s_wait_loadcnt 0x0
	v_cvt_f32_f16_e32 v1, v1
	s_wait_xcnt 0x1
	s_delay_alu instid0(VALU_DEP_1) | instskip(NEXT) | instid1(VALU_DEP_1)
	v_cvt_i32_f32_e32 v16, v1
	v_ashrrev_i32_e32 v17, 31, v16
.LBB126_4159:
	s_mov_b32 s1, 0
.LBB126_4160:
	s_delay_alu instid0(SALU_CYCLE_1)
	s_and_not1_b32 vcc_lo, exec_lo, s1
	s_cbranch_vccnz .LBB126_4180
; %bb.4161:
	s_cmp_lt_i32 s0, 2
	s_cbranch_scc1 .LBB126_4165
; %bb.4162:
	s_cmp_lt_i32 s0, 3
	s_cbranch_scc1 .LBB126_4166
; %bb.4163:
	s_cmp_gt_i32 s0, 3
	s_cbranch_scc0 .LBB126_4167
; %bb.4164:
	s_wait_loadcnt 0x0
	global_load_b64 v[16:17], v[18:19], off
	s_mov_b32 s1, 0
	s_branch .LBB126_4168
.LBB126_4165:
	s_mov_b32 s1, -1
                                        ; implicit-def: $vgpr16_vgpr17
	s_branch .LBB126_4174
.LBB126_4166:
	s_mov_b32 s1, -1
                                        ; implicit-def: $vgpr16_vgpr17
	s_branch .LBB126_4171
.LBB126_4167:
	s_mov_b32 s1, -1
                                        ; implicit-def: $vgpr16_vgpr17
.LBB126_4168:
	s_delay_alu instid0(SALU_CYCLE_1)
	s_and_not1_b32 vcc_lo, exec_lo, s1
	s_cbranch_vccnz .LBB126_4170
; %bb.4169:
	s_wait_loadcnt 0x0
	global_load_b32 v16, v[18:19], off
	s_wait_loadcnt 0x0
	v_ashrrev_i32_e32 v17, 31, v16
.LBB126_4170:
	s_mov_b32 s1, 0
.LBB126_4171:
	s_delay_alu instid0(SALU_CYCLE_1)
	s_and_not1_b32 vcc_lo, exec_lo, s1
	s_cbranch_vccnz .LBB126_4173
; %bb.4172:
	global_load_u16 v1, v[18:19], off
	s_wait_loadcnt 0x0
	s_wait_xcnt 0x1
	v_bfe_i32 v16, v1, 0, 16
	s_delay_alu instid0(VALU_DEP_1)
	v_ashrrev_i32_e32 v17, 31, v16
.LBB126_4173:
	s_mov_b32 s1, 0
.LBB126_4174:
	s_delay_alu instid0(SALU_CYCLE_1)
	s_and_not1_b32 vcc_lo, exec_lo, s1
	s_cbranch_vccnz .LBB126_4180
; %bb.4175:
	s_cmp_gt_i32 s0, 0
	s_mov_b32 s0, 0
	s_cbranch_scc0 .LBB126_4177
; %bb.4176:
	global_load_i8 v1, v[18:19], off
	s_wait_loadcnt 0x0
	s_wait_xcnt 0x1
	v_bfe_i32 v16, v1, 0, 16
	s_delay_alu instid0(VALU_DEP_1)
	v_ashrrev_i32_e32 v17, 31, v16
	s_branch .LBB126_4178
.LBB126_4177:
	s_mov_b32 s0, -1
                                        ; implicit-def: $vgpr16_vgpr17
.LBB126_4178:
	s_delay_alu instid0(SALU_CYCLE_1)
	s_and_not1_b32 vcc_lo, exec_lo, s0
	s_cbranch_vccnz .LBB126_4180
; %bb.4179:
	global_load_u8 v1, v[18:19], off
	s_mov_b32 s0, 0
	s_wait_loadcnt 0x1
	s_wait_xcnt 0x1
	v_mov_b32_e32 v17, s0
	s_wait_loadcnt 0x0
	v_and_b32_e32 v16, 0xffff, v1
.LBB126_4180:
	s_mov_b32 s18, -1
.LBB126_4181:
	s_delay_alu instid0(SALU_CYCLE_1)
	s_and_not1_b32 vcc_lo, exec_lo, s18
	s_cbranch_vccnz .LBB126_4318
; %bb.4182:
	s_lshl_b32 s73, s3, 7
	s_cmp_lt_i32 s61, 11
	v_add_nc_u32_e32 v8, s73, v8
	s_delay_alu instid0(VALU_DEP_1) | instskip(SKIP_1) | instid1(VALU_DEP_1)
	v_ashrrev_i32_e32 v9, 31, v8
	s_wait_xcnt 0x0
	v_add_nc_u64_e32 v[18:19], s[14:15], v[8:9]
	s_cbranch_scc1 .LBB126_4189
; %bb.4183:
	s_and_b32 s0, 0xffff, s61
	s_mov_b32 s2, 0
	s_cmp_gt_i32 s0, 25
	s_cbranch_scc0 .LBB126_4190
; %bb.4184:
	s_cmp_gt_i32 s0, 28
	s_cbranch_scc0 .LBB126_4191
; %bb.4185:
	;; [unrolled: 3-line block ×4, first 2 shown]
	s_cmp_eq_u32 s0, 46
	s_mov_b32 s18, 0
	s_cbranch_scc0 .LBB126_4196
; %bb.4188:
	global_load_b32 v1, v[18:19], off
	s_mov_b32 s1, 0
	s_mov_b32 s3, -1
	s_wait_loadcnt 0x0
	v_lshlrev_b32_e32 v1, 16, v1
	s_delay_alu instid0(VALU_DEP_1) | instskip(NEXT) | instid1(VALU_DEP_1)
	v_trunc_f32_e32 v1, v1
	v_mul_f32_e64 v3, 0x2f800000, |v1|
	v_ashrrev_i32_e32 v20, 31, v1
	s_delay_alu instid0(VALU_DEP_2) | instskip(NEXT) | instid1(VALU_DEP_2)
	v_floor_f32_e32 v3, v3
	v_mov_b32_e32 v21, v20
	s_delay_alu instid0(VALU_DEP_2) | instskip(SKIP_1) | instid1(VALU_DEP_2)
	v_fma_f32 v5, 0xcf800000, v3, |v1|
	v_cvt_u32_f32_e32 v1, v3
	v_cvt_u32_f32_e32 v3, v5
	s_delay_alu instid0(VALU_DEP_2) | instskip(NEXT) | instid1(VALU_DEP_2)
	v_xor_b32_e32 v25, v1, v20
	v_xor_b32_e32 v24, v3, v20
	s_delay_alu instid0(VALU_DEP_1)
	v_sub_nc_u64_e32 v[20:21], v[24:25], v[20:21]
	s_branch .LBB126_4198
.LBB126_4189:
	s_mov_b32 s0, -1
	s_mov_b32 s3, 0
                                        ; implicit-def: $vgpr20_vgpr21
	s_branch .LBB126_4260
.LBB126_4190:
	s_mov_b32 s18, -1
	s_mov_b32 s3, 0
	s_mov_b32 s1, 0
                                        ; implicit-def: $vgpr20_vgpr21
	s_branch .LBB126_4225
.LBB126_4191:
	s_mov_b32 s18, -1
	s_mov_b32 s3, 0
	s_mov_b32 s1, 0
                                        ; implicit-def: $vgpr20_vgpr21
	s_branch .LBB126_4208
.LBB126_4192:
	s_mov_b32 s18, -1
	s_mov_b32 s3, 0
	s_mov_b32 s1, 0
                                        ; implicit-def: $vgpr20_vgpr21
	s_branch .LBB126_4203
.LBB126_4193:
	s_or_b32 s17, s17, exec_lo
	s_trap 2
	s_cbranch_execz .LBB126_4130
	s_branch .LBB126_4131
.LBB126_4194:
	s_mov_b32 s18, -1
	s_mov_b32 s3, 0
	s_mov_b32 s1, 0
	s_branch .LBB126_4197
.LBB126_4195:
	s_or_b32 exec_lo, exec_lo, s90
	s_branch .LBB126_2046
.LBB126_4196:
	s_mov_b32 s1, -1
	s_mov_b32 s3, 0
.LBB126_4197:
                                        ; implicit-def: $vgpr20_vgpr21
.LBB126_4198:
	s_and_b32 vcc_lo, exec_lo, s18
	s_cbranch_vccz .LBB126_4202
; %bb.4199:
	s_cmp_eq_u32 s0, 44
	s_cbranch_scc0 .LBB126_4201
; %bb.4200:
	global_load_u8 v1, v[18:19], off
	s_mov_b32 s1, 0
	s_mov_b32 s3, -1
	s_wait_loadcnt 0x0
	v_lshlrev_b32_e32 v3, 23, v1
	v_cmp_ne_u32_e32 vcc_lo, 0, v1
	s_delay_alu instid0(VALU_DEP_2) | instskip(NEXT) | instid1(VALU_DEP_1)
	v_trunc_f32_e32 v3, v3
	v_mul_f32_e64 v5, 0x2f800000, |v3|
	v_ashrrev_i32_e32 v20, 31, v3
	s_delay_alu instid0(VALU_DEP_2) | instskip(NEXT) | instid1(VALU_DEP_2)
	v_floor_f32_e32 v5, v5
	v_mov_b32_e32 v21, v20
	s_delay_alu instid0(VALU_DEP_2) | instskip(SKIP_1) | instid1(VALU_DEP_2)
	v_fma_f32 v7, 0xcf800000, v5, |v3|
	v_cvt_u32_f32_e32 v3, v5
	v_cvt_u32_f32_e32 v5, v7
	s_delay_alu instid0(VALU_DEP_2) | instskip(NEXT) | instid1(VALU_DEP_2)
	v_xor_b32_e32 v25, v3, v20
	v_xor_b32_e32 v24, v5, v20
	s_delay_alu instid0(VALU_DEP_1) | instskip(NEXT) | instid1(VALU_DEP_1)
	v_sub_nc_u64_e32 v[20:21], v[24:25], v[20:21]
	v_dual_cndmask_b32 v21, 0, v21 :: v_dual_cndmask_b32 v20, 0, v20
	s_branch .LBB126_4202
.LBB126_4201:
	s_mov_b32 s1, -1
                                        ; implicit-def: $vgpr20_vgpr21
.LBB126_4202:
	s_mov_b32 s18, 0
.LBB126_4203:
	s_delay_alu instid0(SALU_CYCLE_1)
	s_and_b32 vcc_lo, exec_lo, s18
	s_cbranch_vccz .LBB126_4207
; %bb.4204:
	s_cmp_eq_u32 s0, 29
	s_cbranch_scc0 .LBB126_4206
; %bb.4205:
	global_load_b64 v[20:21], v[18:19], off
	s_mov_b32 s1, 0
	s_mov_b32 s3, -1
	s_branch .LBB126_4207
.LBB126_4206:
	s_mov_b32 s1, -1
                                        ; implicit-def: $vgpr20_vgpr21
.LBB126_4207:
	s_mov_b32 s18, 0
.LBB126_4208:
	s_delay_alu instid0(SALU_CYCLE_1)
	s_and_b32 vcc_lo, exec_lo, s18
	s_cbranch_vccz .LBB126_4224
; %bb.4209:
	s_cmp_lt_i32 s0, 27
	s_cbranch_scc1 .LBB126_4212
; %bb.4210:
	s_cmp_gt_i32 s0, 27
	s_cbranch_scc0 .LBB126_4213
; %bb.4211:
	s_wait_loadcnt 0x0
	global_load_b32 v20, v[18:19], off
	v_mov_b32_e32 v21, 0
	s_mov_b32 s3, 0
	s_branch .LBB126_4214
.LBB126_4212:
	s_mov_b32 s3, -1
                                        ; implicit-def: $vgpr20_vgpr21
	s_branch .LBB126_4217
.LBB126_4213:
	s_mov_b32 s3, -1
                                        ; implicit-def: $vgpr20_vgpr21
.LBB126_4214:
	s_delay_alu instid0(SALU_CYCLE_1)
	s_and_not1_b32 vcc_lo, exec_lo, s3
	s_cbranch_vccnz .LBB126_4216
; %bb.4215:
	global_load_u16 v1, v[18:19], off
	s_mov_b32 s3, 0
	s_wait_loadcnt 0x1
	v_mov_b32_e32 v21, s3
	s_wait_loadcnt 0x0
	v_and_b32_e32 v20, 0xffff, v1
.LBB126_4216:
	s_mov_b32 s3, 0
.LBB126_4217:
	s_delay_alu instid0(SALU_CYCLE_1)
	s_and_not1_b32 vcc_lo, exec_lo, s3
	s_cbranch_vccnz .LBB126_4223
; %bb.4218:
	global_load_u8 v1, v[18:19], off
	s_mov_b32 s18, 0
	s_mov_b32 s3, exec_lo
	s_wait_loadcnt 0x0
	v_cmpx_lt_i16_e32 0x7f, v1
	s_xor_b32 s3, exec_lo, s3
	s_cbranch_execz .LBB126_4235
; %bb.4219:
	v_cmp_ne_u16_e32 vcc_lo, 0x80, v1
	s_and_b32 s18, vcc_lo, exec_lo
	s_and_not1_saveexec_b32 s3, s3
	s_cbranch_execnz .LBB126_4236
.LBB126_4220:
	s_or_b32 exec_lo, exec_lo, s3
	v_mov_b64_e32 v[20:21], 0
	s_and_saveexec_b32 s3, s18
	s_cbranch_execz .LBB126_4222
.LBB126_4221:
	v_and_b32_e32 v3, 0xffff, v1
	s_delay_alu instid0(VALU_DEP_1) | instskip(SKIP_1) | instid1(VALU_DEP_2)
	v_dual_lshlrev_b32 v1, 24, v1 :: v_dual_bitop2_b32 v5, 7, v3 bitop3:0x40
	v_bfe_u32 v20, v3, 3, 4
	v_and_b32_e32 v1, 0x80000000, v1
	s_delay_alu instid0(VALU_DEP_3) | instskip(NEXT) | instid1(VALU_DEP_3)
	v_clz_i32_u32_e32 v7, v5
	v_cmp_eq_u32_e32 vcc_lo, 0, v20
	s_delay_alu instid0(VALU_DEP_2) | instskip(NEXT) | instid1(VALU_DEP_1)
	v_min_u32_e32 v7, 32, v7
	v_subrev_nc_u32_e32 v9, 28, v7
	v_sub_nc_u32_e32 v7, 29, v7
	s_delay_alu instid0(VALU_DEP_2) | instskip(NEXT) | instid1(VALU_DEP_2)
	v_lshlrev_b32_e32 v3, v9, v3
	v_cndmask_b32_e32 v7, v20, v7, vcc_lo
	s_delay_alu instid0(VALU_DEP_2) | instskip(NEXT) | instid1(VALU_DEP_1)
	v_and_b32_e32 v3, 7, v3
	v_cndmask_b32_e32 v3, v5, v3, vcc_lo
	s_delay_alu instid0(VALU_DEP_3) | instskip(NEXT) | instid1(VALU_DEP_2)
	v_lshl_add_u32 v5, v7, 23, 0x3b800000
	v_lshlrev_b32_e32 v3, 20, v3
	s_delay_alu instid0(VALU_DEP_1) | instskip(NEXT) | instid1(VALU_DEP_1)
	v_or3_b32 v1, v1, v5, v3
	v_trunc_f32_e32 v1, v1
	s_delay_alu instid0(VALU_DEP_1) | instskip(SKIP_1) | instid1(VALU_DEP_2)
	v_mul_f32_e64 v3, 0x2f800000, |v1|
	v_ashrrev_i32_e32 v20, 31, v1
	v_floor_f32_e32 v3, v3
	s_delay_alu instid0(VALU_DEP_2) | instskip(NEXT) | instid1(VALU_DEP_2)
	v_mov_b32_e32 v21, v20
	v_fma_f32 v5, 0xcf800000, v3, |v1|
	v_cvt_u32_f32_e32 v1, v3
	s_delay_alu instid0(VALU_DEP_2) | instskip(NEXT) | instid1(VALU_DEP_2)
	v_cvt_u32_f32_e32 v3, v5
	v_xor_b32_e32 v25, v1, v20
	s_delay_alu instid0(VALU_DEP_2) | instskip(NEXT) | instid1(VALU_DEP_1)
	v_xor_b32_e32 v24, v3, v20
	v_sub_nc_u64_e32 v[20:21], v[24:25], v[20:21]
.LBB126_4222:
	s_or_b32 exec_lo, exec_lo, s3
.LBB126_4223:
	s_mov_b32 s3, -1
.LBB126_4224:
	s_mov_b32 s18, 0
.LBB126_4225:
	s_delay_alu instid0(SALU_CYCLE_1)
	s_and_b32 vcc_lo, exec_lo, s18
	s_cbranch_vccz .LBB126_4256
; %bb.4226:
	s_cmp_gt_i32 s0, 22
	s_cbranch_scc0 .LBB126_4234
; %bb.4227:
	s_cmp_lt_i32 s0, 24
	s_cbranch_scc1 .LBB126_4237
; %bb.4228:
	s_cmp_gt_i32 s0, 24
	s_cbranch_scc0 .LBB126_4238
; %bb.4229:
	global_load_u8 v1, v[18:19], off
	s_mov_b32 s3, 0
	s_mov_b32 s2, exec_lo
	s_wait_loadcnt 0x0
	v_cmpx_lt_i16_e32 0x7f, v1
	s_xor_b32 s2, exec_lo, s2
	s_cbranch_execz .LBB126_4250
; %bb.4230:
	v_cmp_ne_u16_e32 vcc_lo, 0x80, v1
	s_and_b32 s3, vcc_lo, exec_lo
	s_and_not1_saveexec_b32 s2, s2
	s_cbranch_execnz .LBB126_4251
.LBB126_4231:
	s_or_b32 exec_lo, exec_lo, s2
	v_mov_b64_e32 v[20:21], 0
	s_and_saveexec_b32 s2, s3
	s_cbranch_execz .LBB126_4233
.LBB126_4232:
	v_and_b32_e32 v3, 0xffff, v1
	s_delay_alu instid0(VALU_DEP_1) | instskip(SKIP_1) | instid1(VALU_DEP_2)
	v_dual_lshlrev_b32 v1, 24, v1 :: v_dual_bitop2_b32 v5, 3, v3 bitop3:0x40
	v_bfe_u32 v20, v3, 2, 5
	v_and_b32_e32 v1, 0x80000000, v1
	s_delay_alu instid0(VALU_DEP_3) | instskip(NEXT) | instid1(VALU_DEP_3)
	v_clz_i32_u32_e32 v7, v5
	v_cmp_eq_u32_e32 vcc_lo, 0, v20
	s_delay_alu instid0(VALU_DEP_2) | instskip(NEXT) | instid1(VALU_DEP_1)
	v_min_u32_e32 v7, 32, v7
	v_subrev_nc_u32_e32 v9, 29, v7
	v_sub_nc_u32_e32 v7, 30, v7
	s_delay_alu instid0(VALU_DEP_2) | instskip(NEXT) | instid1(VALU_DEP_2)
	v_lshlrev_b32_e32 v3, v9, v3
	v_cndmask_b32_e32 v7, v20, v7, vcc_lo
	s_delay_alu instid0(VALU_DEP_2) | instskip(NEXT) | instid1(VALU_DEP_1)
	v_and_b32_e32 v3, 3, v3
	v_cndmask_b32_e32 v3, v5, v3, vcc_lo
	s_delay_alu instid0(VALU_DEP_3) | instskip(NEXT) | instid1(VALU_DEP_2)
	v_lshl_add_u32 v5, v7, 23, 0x37800000
	v_lshlrev_b32_e32 v3, 21, v3
	s_delay_alu instid0(VALU_DEP_1) | instskip(NEXT) | instid1(VALU_DEP_1)
	v_or3_b32 v1, v1, v5, v3
	v_trunc_f32_e32 v1, v1
	s_delay_alu instid0(VALU_DEP_1) | instskip(SKIP_1) | instid1(VALU_DEP_2)
	v_mul_f32_e64 v3, 0x2f800000, |v1|
	v_ashrrev_i32_e32 v20, 31, v1
	v_floor_f32_e32 v3, v3
	s_delay_alu instid0(VALU_DEP_2) | instskip(NEXT) | instid1(VALU_DEP_2)
	v_mov_b32_e32 v21, v20
	v_fma_f32 v5, 0xcf800000, v3, |v1|
	v_cvt_u32_f32_e32 v1, v3
	s_delay_alu instid0(VALU_DEP_2) | instskip(NEXT) | instid1(VALU_DEP_2)
	v_cvt_u32_f32_e32 v3, v5
	v_xor_b32_e32 v25, v1, v20
	s_delay_alu instid0(VALU_DEP_2) | instskip(NEXT) | instid1(VALU_DEP_1)
	v_xor_b32_e32 v24, v3, v20
	v_sub_nc_u64_e32 v[20:21], v[24:25], v[20:21]
.LBB126_4233:
	s_or_b32 exec_lo, exec_lo, s2
	s_mov_b32 s2, 0
	s_branch .LBB126_4239
.LBB126_4234:
	s_mov_b32 s2, -1
                                        ; implicit-def: $vgpr20_vgpr21
	s_branch .LBB126_4245
.LBB126_4235:
	s_and_not1_saveexec_b32 s3, s3
	s_cbranch_execz .LBB126_4220
.LBB126_4236:
	v_cmp_ne_u16_e32 vcc_lo, 0, v1
	s_and_not1_b32 s18, s18, exec_lo
	s_and_b32 s19, vcc_lo, exec_lo
	s_delay_alu instid0(SALU_CYCLE_1)
	s_or_b32 s18, s18, s19
	s_or_b32 exec_lo, exec_lo, s3
	v_mov_b64_e32 v[20:21], 0
	s_and_saveexec_b32 s3, s18
	s_cbranch_execnz .LBB126_4221
	s_branch .LBB126_4222
.LBB126_4237:
	s_mov_b32 s2, -1
                                        ; implicit-def: $vgpr20_vgpr21
	s_branch .LBB126_4242
.LBB126_4238:
	s_mov_b32 s2, -1
                                        ; implicit-def: $vgpr20_vgpr21
.LBB126_4239:
	s_delay_alu instid0(SALU_CYCLE_1)
	s_and_b32 vcc_lo, exec_lo, s2
	s_cbranch_vccz .LBB126_4241
; %bb.4240:
	global_load_u8 v1, v[18:19], off
	s_wait_loadcnt 0x0
	v_lshlrev_b32_e32 v1, 24, v1
	s_delay_alu instid0(VALU_DEP_1) | instskip(NEXT) | instid1(VALU_DEP_1)
	v_and_b32_e32 v3, 0x7f000000, v1
	v_clz_i32_u32_e32 v5, v3
	v_add_nc_u32_e32 v9, 0x1000000, v3
	v_cmp_ne_u32_e32 vcc_lo, 0, v3
	s_delay_alu instid0(VALU_DEP_3) | instskip(NEXT) | instid1(VALU_DEP_1)
	v_min_u32_e32 v5, 32, v5
	v_sub_nc_u32_e64 v5, v5, 4 clamp
	s_delay_alu instid0(VALU_DEP_1) | instskip(NEXT) | instid1(VALU_DEP_1)
	v_dual_lshlrev_b32 v7, v5, v3 :: v_dual_lshlrev_b32 v5, 23, v5
	v_lshrrev_b32_e32 v7, 4, v7
	s_delay_alu instid0(VALU_DEP_1) | instskip(SKIP_1) | instid1(VALU_DEP_2)
	v_sub_nc_u32_e32 v5, v7, v5
	v_ashrrev_i32_e32 v7, 8, v9
	v_add_nc_u32_e32 v5, 0x3c000000, v5
	s_delay_alu instid0(VALU_DEP_1) | instskip(NEXT) | instid1(VALU_DEP_1)
	v_and_or_b32 v5, 0x7f800000, v7, v5
	v_cndmask_b32_e32 v3, 0, v5, vcc_lo
	s_delay_alu instid0(VALU_DEP_1) | instskip(NEXT) | instid1(VALU_DEP_1)
	v_and_or_b32 v1, 0x80000000, v1, v3
	v_trunc_f32_e32 v1, v1
	s_delay_alu instid0(VALU_DEP_1) | instskip(SKIP_1) | instid1(VALU_DEP_2)
	v_mul_f32_e64 v3, 0x2f800000, |v1|
	v_ashrrev_i32_e32 v20, 31, v1
	v_floor_f32_e32 v3, v3
	s_delay_alu instid0(VALU_DEP_2) | instskip(NEXT) | instid1(VALU_DEP_2)
	v_mov_b32_e32 v21, v20
	v_fma_f32 v5, 0xcf800000, v3, |v1|
	v_cvt_u32_f32_e32 v1, v3
	s_delay_alu instid0(VALU_DEP_2) | instskip(NEXT) | instid1(VALU_DEP_2)
	v_cvt_u32_f32_e32 v3, v5
	v_xor_b32_e32 v25, v1, v20
	s_delay_alu instid0(VALU_DEP_2) | instskip(NEXT) | instid1(VALU_DEP_1)
	v_xor_b32_e32 v24, v3, v20
	v_sub_nc_u64_e32 v[20:21], v[24:25], v[20:21]
.LBB126_4241:
	s_mov_b32 s2, 0
.LBB126_4242:
	s_delay_alu instid0(SALU_CYCLE_1)
	s_and_not1_b32 vcc_lo, exec_lo, s2
	s_cbranch_vccnz .LBB126_4244
; %bb.4243:
	global_load_u8 v1, v[18:19], off
	s_wait_loadcnt 0x0
	v_lshlrev_b32_e32 v3, 25, v1
	v_lshlrev_b16 v1, 8, v1
	s_delay_alu instid0(VALU_DEP_1) | instskip(SKIP_1) | instid1(VALU_DEP_2)
	v_and_or_b32 v7, 0x7f00, v1, 0.5
	v_bfe_i32 v1, v1, 0, 16
	v_add_f32_e32 v7, -0.5, v7
	v_lshrrev_b32_e32 v5, 4, v3
	v_cmp_gt_u32_e32 vcc_lo, 0x8000000, v3
	s_delay_alu instid0(VALU_DEP_2) | instskip(NEXT) | instid1(VALU_DEP_1)
	v_or_b32_e32 v5, 0x70000000, v5
	v_mul_f32_e32 v5, 0x7800000, v5
	s_delay_alu instid0(VALU_DEP_1) | instskip(NEXT) | instid1(VALU_DEP_1)
	v_cndmask_b32_e32 v3, v5, v7, vcc_lo
	v_and_or_b32 v1, 0x80000000, v1, v3
	s_delay_alu instid0(VALU_DEP_1) | instskip(NEXT) | instid1(VALU_DEP_1)
	v_trunc_f32_e32 v1, v1
	v_mul_f32_e64 v3, 0x2f800000, |v1|
	v_ashrrev_i32_e32 v20, 31, v1
	s_delay_alu instid0(VALU_DEP_2) | instskip(NEXT) | instid1(VALU_DEP_2)
	v_floor_f32_e32 v3, v3
	v_mov_b32_e32 v21, v20
	s_delay_alu instid0(VALU_DEP_2) | instskip(SKIP_1) | instid1(VALU_DEP_2)
	v_fma_f32 v5, 0xcf800000, v3, |v1|
	v_cvt_u32_f32_e32 v1, v3
	v_cvt_u32_f32_e32 v3, v5
	s_delay_alu instid0(VALU_DEP_2) | instskip(NEXT) | instid1(VALU_DEP_2)
	v_xor_b32_e32 v25, v1, v20
	v_xor_b32_e32 v24, v3, v20
	s_delay_alu instid0(VALU_DEP_1)
	v_sub_nc_u64_e32 v[20:21], v[24:25], v[20:21]
.LBB126_4244:
	s_mov_b32 s2, 0
	s_mov_b32 s3, -1
.LBB126_4245:
	s_and_not1_b32 vcc_lo, exec_lo, s2
	s_mov_b32 s2, 0
	s_cbranch_vccnz .LBB126_4256
; %bb.4246:
	s_cmp_gt_i32 s0, 14
	s_cbranch_scc0 .LBB126_4249
; %bb.4247:
	s_cmp_eq_u32 s0, 15
	s_cbranch_scc0 .LBB126_4252
; %bb.4248:
	global_load_u16 v1, v[18:19], off
	s_mov_b32 s1, 0
	s_mov_b32 s3, -1
	s_wait_loadcnt 0x0
	v_lshlrev_b32_e32 v1, 16, v1
	s_delay_alu instid0(VALU_DEP_1) | instskip(NEXT) | instid1(VALU_DEP_1)
	v_trunc_f32_e32 v1, v1
	v_mul_f32_e64 v3, 0x2f800000, |v1|
	v_ashrrev_i32_e32 v20, 31, v1
	s_delay_alu instid0(VALU_DEP_2) | instskip(NEXT) | instid1(VALU_DEP_2)
	v_floor_f32_e32 v3, v3
	v_mov_b32_e32 v21, v20
	s_delay_alu instid0(VALU_DEP_2) | instskip(SKIP_1) | instid1(VALU_DEP_2)
	v_fma_f32 v5, 0xcf800000, v3, |v1|
	v_cvt_u32_f32_e32 v1, v3
	v_cvt_u32_f32_e32 v3, v5
	s_delay_alu instid0(VALU_DEP_2) | instskip(NEXT) | instid1(VALU_DEP_2)
	v_xor_b32_e32 v25, v1, v20
	v_xor_b32_e32 v24, v3, v20
	s_delay_alu instid0(VALU_DEP_1)
	v_sub_nc_u64_e32 v[20:21], v[24:25], v[20:21]
	s_branch .LBB126_4254
.LBB126_4249:
	s_mov_b32 s2, -1
	s_branch .LBB126_4253
.LBB126_4250:
	s_and_not1_saveexec_b32 s2, s2
	s_cbranch_execz .LBB126_4231
.LBB126_4251:
	v_cmp_ne_u16_e32 vcc_lo, 0, v1
	s_and_not1_b32 s3, s3, exec_lo
	s_and_b32 s18, vcc_lo, exec_lo
	s_delay_alu instid0(SALU_CYCLE_1)
	s_or_b32 s3, s3, s18
	s_or_b32 exec_lo, exec_lo, s2
	v_mov_b64_e32 v[20:21], 0
	s_and_saveexec_b32 s2, s3
	s_cbranch_execnz .LBB126_4232
	s_branch .LBB126_4233
.LBB126_4252:
	s_mov_b32 s1, -1
.LBB126_4253:
                                        ; implicit-def: $vgpr20_vgpr21
.LBB126_4254:
	s_and_b32 vcc_lo, exec_lo, s2
	s_mov_b32 s2, 0
	s_cbranch_vccz .LBB126_4256
; %bb.4255:
	s_cmp_lg_u32 s0, 11
	s_mov_b32 s2, -1
	s_cselect_b32 s1, -1, 0
.LBB126_4256:
	s_delay_alu instid0(SALU_CYCLE_1)
	s_and_b32 vcc_lo, exec_lo, s1
	s_cbranch_vccnz .LBB126_4344
; %bb.4257:
	s_and_not1_b32 vcc_lo, exec_lo, s2
	s_cbranch_vccnz .LBB126_4259
.LBB126_4258:
	global_load_u8 v1, v[18:19], off
	s_mov_b32 s0, 0
	s_mov_b32 s3, -1
	s_wait_loadcnt 0x1
	v_mov_b32_e32 v21, s0
	s_wait_loadcnt 0x0
	v_cmp_ne_u16_e32 vcc_lo, 0, v1
	v_cndmask_b32_e64 v20, 0, 1, vcc_lo
.LBB126_4259:
	s_mov_b32 s0, 0
.LBB126_4260:
	s_delay_alu instid0(SALU_CYCLE_1)
	s_and_b32 vcc_lo, exec_lo, s0
	s_cbranch_vccz .LBB126_4309
; %bb.4261:
	s_and_b32 s0, 0xffff, s61
	s_delay_alu instid0(SALU_CYCLE_1)
	s_cmp_lt_i32 s0, 5
	s_cbranch_scc1 .LBB126_4266
; %bb.4262:
	s_cmp_lt_i32 s0, 8
	s_cbranch_scc1 .LBB126_4267
; %bb.4263:
	;; [unrolled: 3-line block ×3, first 2 shown]
	s_cmp_gt_i32 s0, 9
	s_cbranch_scc0 .LBB126_4269
; %bb.4265:
	s_wait_loadcnt 0x0
	global_load_b64 v[20:21], v[18:19], off
	s_mov_b32 s1, 0
	s_wait_loadcnt 0x0
	v_trunc_f64_e32 v[20:21], v[20:21]
	s_delay_alu instid0(VALU_DEP_1) | instskip(NEXT) | instid1(VALU_DEP_1)
	v_ldexp_f64 v[24:25], v[20:21], 0xffffffe0
	v_floor_f64_e32 v[24:25], v[24:25]
	s_delay_alu instid0(VALU_DEP_1) | instskip(SKIP_1) | instid1(VALU_DEP_2)
	v_fmamk_f64 v[26:27], v[24:25], 0xc1f00000, v[20:21]
	v_cvt_i32_f64_e32 v21, v[24:25]
	v_cvt_u32_f64_e32 v20, v[26:27]
	s_branch .LBB126_4270
.LBB126_4266:
	s_mov_b32 s1, -1
                                        ; implicit-def: $vgpr20_vgpr21
	s_branch .LBB126_4288
.LBB126_4267:
	s_mov_b32 s1, -1
                                        ; implicit-def: $vgpr20_vgpr21
	s_branch .LBB126_4276
.LBB126_4268:
	s_mov_b32 s1, -1
                                        ; implicit-def: $vgpr20_vgpr21
	s_branch .LBB126_4273
.LBB126_4269:
	s_mov_b32 s1, -1
                                        ; implicit-def: $vgpr20_vgpr21
.LBB126_4270:
	s_delay_alu instid0(SALU_CYCLE_1)
	s_and_not1_b32 vcc_lo, exec_lo, s1
	s_cbranch_vccnz .LBB126_4272
; %bb.4271:
	global_load_b32 v1, v[18:19], off
	s_wait_loadcnt 0x0
	v_trunc_f32_e32 v1, v1
	s_delay_alu instid0(VALU_DEP_1) | instskip(SKIP_1) | instid1(VALU_DEP_2)
	v_mul_f32_e64 v3, 0x2f800000, |v1|
	v_ashrrev_i32_e32 v20, 31, v1
	v_floor_f32_e32 v3, v3
	s_delay_alu instid0(VALU_DEP_1) | instskip(SKIP_1) | instid1(VALU_DEP_4)
	v_fma_f32 v5, 0xcf800000, v3, |v1|
	v_cvt_u32_f32_e32 v1, v3
	v_mov_b32_e32 v21, v20
	s_delay_alu instid0(VALU_DEP_3) | instskip(NEXT) | instid1(VALU_DEP_3)
	v_cvt_u32_f32_e32 v3, v5
	v_xor_b32_e32 v25, v1, v20
	s_delay_alu instid0(VALU_DEP_2) | instskip(NEXT) | instid1(VALU_DEP_1)
	v_xor_b32_e32 v24, v3, v20
	v_sub_nc_u64_e32 v[20:21], v[24:25], v[20:21]
.LBB126_4272:
	s_mov_b32 s1, 0
.LBB126_4273:
	s_delay_alu instid0(SALU_CYCLE_1)
	s_and_not1_b32 vcc_lo, exec_lo, s1
	s_cbranch_vccnz .LBB126_4275
; %bb.4274:
	global_load_b32 v1, v[18:19], off
	s_wait_loadcnt 0x0
	v_cvt_f32_f16_e32 v1, v1
	s_delay_alu instid0(VALU_DEP_1) | instskip(NEXT) | instid1(VALU_DEP_1)
	v_cvt_i32_f32_e32 v20, v1
	v_ashrrev_i32_e32 v21, 31, v20
.LBB126_4275:
	s_mov_b32 s1, 0
.LBB126_4276:
	s_delay_alu instid0(SALU_CYCLE_1)
	s_and_not1_b32 vcc_lo, exec_lo, s1
	s_cbranch_vccnz .LBB126_4287
; %bb.4277:
	s_cmp_lt_i32 s0, 6
	s_cbranch_scc1 .LBB126_4280
; %bb.4278:
	s_cmp_gt_i32 s0, 6
	s_cbranch_scc0 .LBB126_4281
; %bb.4279:
	s_wait_loadcnt 0x0
	global_load_b64 v[20:21], v[18:19], off
	s_mov_b32 s1, 0
	s_wait_loadcnt 0x0
	v_trunc_f64_e32 v[20:21], v[20:21]
	s_delay_alu instid0(VALU_DEP_1) | instskip(NEXT) | instid1(VALU_DEP_1)
	v_ldexp_f64 v[24:25], v[20:21], 0xffffffe0
	v_floor_f64_e32 v[24:25], v[24:25]
	s_delay_alu instid0(VALU_DEP_1) | instskip(SKIP_1) | instid1(VALU_DEP_2)
	v_fmamk_f64 v[26:27], v[24:25], 0xc1f00000, v[20:21]
	v_cvt_i32_f64_e32 v21, v[24:25]
	v_cvt_u32_f64_e32 v20, v[26:27]
	s_branch .LBB126_4282
.LBB126_4280:
	s_mov_b32 s1, -1
                                        ; implicit-def: $vgpr20_vgpr21
	s_branch .LBB126_4285
.LBB126_4281:
	s_mov_b32 s1, -1
                                        ; implicit-def: $vgpr20_vgpr21
.LBB126_4282:
	s_delay_alu instid0(SALU_CYCLE_1)
	s_and_not1_b32 vcc_lo, exec_lo, s1
	s_cbranch_vccnz .LBB126_4284
; %bb.4283:
	global_load_b32 v1, v[18:19], off
	s_wait_loadcnt 0x0
	v_trunc_f32_e32 v1, v1
	s_delay_alu instid0(VALU_DEP_1) | instskip(SKIP_1) | instid1(VALU_DEP_2)
	v_mul_f32_e64 v3, 0x2f800000, |v1|
	v_ashrrev_i32_e32 v20, 31, v1
	v_floor_f32_e32 v3, v3
	s_delay_alu instid0(VALU_DEP_1) | instskip(SKIP_1) | instid1(VALU_DEP_4)
	v_fma_f32 v5, 0xcf800000, v3, |v1|
	v_cvt_u32_f32_e32 v1, v3
	v_mov_b32_e32 v21, v20
	s_delay_alu instid0(VALU_DEP_3) | instskip(NEXT) | instid1(VALU_DEP_3)
	v_cvt_u32_f32_e32 v3, v5
	v_xor_b32_e32 v25, v1, v20
	s_delay_alu instid0(VALU_DEP_2) | instskip(NEXT) | instid1(VALU_DEP_1)
	v_xor_b32_e32 v24, v3, v20
	v_sub_nc_u64_e32 v[20:21], v[24:25], v[20:21]
.LBB126_4284:
	s_mov_b32 s1, 0
.LBB126_4285:
	s_delay_alu instid0(SALU_CYCLE_1)
	s_and_not1_b32 vcc_lo, exec_lo, s1
	s_cbranch_vccnz .LBB126_4287
; %bb.4286:
	global_load_u16 v1, v[18:19], off
	s_wait_loadcnt 0x0
	v_cvt_f32_f16_e32 v1, v1
	s_delay_alu instid0(VALU_DEP_1) | instskip(NEXT) | instid1(VALU_DEP_1)
	v_cvt_i32_f32_e32 v20, v1
	v_ashrrev_i32_e32 v21, 31, v20
.LBB126_4287:
	s_mov_b32 s1, 0
.LBB126_4288:
	s_delay_alu instid0(SALU_CYCLE_1)
	s_and_not1_b32 vcc_lo, exec_lo, s1
	s_cbranch_vccnz .LBB126_4308
; %bb.4289:
	s_cmp_lt_i32 s0, 2
	s_cbranch_scc1 .LBB126_4293
; %bb.4290:
	s_cmp_lt_i32 s0, 3
	s_cbranch_scc1 .LBB126_4294
; %bb.4291:
	s_cmp_gt_i32 s0, 3
	s_cbranch_scc0 .LBB126_4295
; %bb.4292:
	s_wait_loadcnt 0x0
	global_load_b64 v[20:21], v[18:19], off
	s_mov_b32 s1, 0
	s_branch .LBB126_4296
.LBB126_4293:
	s_mov_b32 s1, -1
                                        ; implicit-def: $vgpr20_vgpr21
	s_branch .LBB126_4302
.LBB126_4294:
	s_mov_b32 s1, -1
                                        ; implicit-def: $vgpr20_vgpr21
	s_branch .LBB126_4299
.LBB126_4295:
	s_mov_b32 s1, -1
                                        ; implicit-def: $vgpr20_vgpr21
.LBB126_4296:
	s_delay_alu instid0(SALU_CYCLE_1)
	s_and_not1_b32 vcc_lo, exec_lo, s1
	s_cbranch_vccnz .LBB126_4298
; %bb.4297:
	s_wait_loadcnt 0x0
	global_load_b32 v20, v[18:19], off
	s_wait_loadcnt 0x0
	v_ashrrev_i32_e32 v21, 31, v20
.LBB126_4298:
	s_mov_b32 s1, 0
.LBB126_4299:
	s_delay_alu instid0(SALU_CYCLE_1)
	s_and_not1_b32 vcc_lo, exec_lo, s1
	s_cbranch_vccnz .LBB126_4301
; %bb.4300:
	global_load_u16 v1, v[18:19], off
	s_wait_loadcnt 0x0
	v_bfe_i32 v20, v1, 0, 16
	s_delay_alu instid0(VALU_DEP_1)
	v_ashrrev_i32_e32 v21, 31, v20
.LBB126_4301:
	s_mov_b32 s1, 0
.LBB126_4302:
	s_delay_alu instid0(SALU_CYCLE_1)
	s_and_not1_b32 vcc_lo, exec_lo, s1
	s_cbranch_vccnz .LBB126_4308
; %bb.4303:
	s_cmp_gt_i32 s0, 0
	s_mov_b32 s0, 0
	s_cbranch_scc0 .LBB126_4305
; %bb.4304:
	global_load_i8 v1, v[18:19], off
	s_wait_loadcnt 0x0
	v_bfe_i32 v20, v1, 0, 16
	s_delay_alu instid0(VALU_DEP_1)
	v_ashrrev_i32_e32 v21, 31, v20
	s_branch .LBB126_4306
.LBB126_4305:
	s_mov_b32 s0, -1
                                        ; implicit-def: $vgpr20_vgpr21
.LBB126_4306:
	s_delay_alu instid0(SALU_CYCLE_1)
	s_and_not1_b32 vcc_lo, exec_lo, s0
	s_cbranch_vccnz .LBB126_4308
; %bb.4307:
	global_load_u8 v1, v[18:19], off
	s_mov_b32 s0, 0
	s_wait_loadcnt 0x1
	v_mov_b32_e32 v21, s0
	s_wait_loadcnt 0x0
	v_and_b32_e32 v20, 0xffff, v1
.LBB126_4308:
	s_mov_b32 s3, -1
.LBB126_4309:
	s_delay_alu instid0(SALU_CYCLE_1)
	s_and_not1_b32 vcc_lo, exec_lo, s3
	s_cbranch_vccnz .LBB126_4318
; %bb.4310:
	s_mov_b32 s0, exec_lo
	s_wait_loadcnt 0x0
	v_cmpx_ne_u64_e64 s[36:37], v[10:11]
	s_xor_b32 s0, exec_lo, s0
	s_cbranch_execnz .LBB126_4478
.LBB126_4311:
	s_or_saveexec_b32 s51, s0
	s_mov_b32 s1, 0
	s_mov_b32 s2, 0
                                        ; implicit-def: $sgpr0
                                        ; implicit-def: $vgpr10_vgpr11
	s_xor_b32 exec_lo, exec_lo, s51
	s_cbranch_execz .LBB126_4989
; %bb.4312:
	s_mov_b32 s62, s17
	s_mov_b32 s0, exec_lo
	v_cmpx_ne_u64_e64 s[40:41], v[12:13]
	s_xor_b32 s0, exec_lo, s0
	s_cbranch_execnz .LBB126_4606
; %bb.4313:
	s_or_saveexec_b32 s63, s0
                                        ; implicit-def: $sgpr0
                                        ; implicit-def: $vgpr10_vgpr11
	s_delay_alu instid0(SALU_CYCLE_1)
	s_xor_b32 exec_lo, exec_lo, s63
	s_cbranch_execz .LBB126_4988
.LBB126_4314:
	v_sub_nc_u64_e32 v[10:11], v[16:17], v[14:15]
	s_mov_b32 s64, s62
	s_delay_alu instid0(VALU_DEP_1) | instskip(SKIP_2) | instid1(SALU_CYCLE_1)
	v_cmp_gt_i64_e32 vcc_lo, s[36:37], v[10:11]
	v_cmp_lt_i64_e64 s0, s[38:39], v[10:11]
	s_or_b32 s0, vcc_lo, s0
	s_and_saveexec_b32 s1, s0
	s_delay_alu instid0(SALU_CYCLE_1)
	s_xor_b32 s0, exec_lo, s1
	s_cbranch_execnz .LBB126_4734
; %bb.4315:
	s_or_saveexec_b32 s65, s0
	s_mov_b32 s1, 0
                                        ; implicit-def: $sgpr0
                                        ; implicit-def: $vgpr10_vgpr11
	s_xor_b32 exec_lo, exec_lo, s65
	s_cbranch_execz .LBB126_4987
.LBB126_4316:
	v_cmp_ne_u32_e32 vcc_lo, 1, v23
	v_mov_b64_e32 v[10:11], 0
	s_cbranch_vccnz .LBB126_4329
; %bb.4317:
	v_mul_u64_e32 v[18:19], s[40:41], v[20:21]
	v_mov_b64_e32 v[10:11], 0
	s_mov_b32 s29, s1
	v_mov_b32_e32 v12, 0
	s_lshl_b64 s[30:31], s[28:29], 3
	s_mov_b64 s[2:3], 0xffffffff
	s_add_nc_u64 s[18:19], s[20:21], s[30:31]
	s_add_nc_u64 s[30:31], s[22:23], s[30:31]
	s_mov_b32 s29, s42
	s_branch .LBB126_4325
.LBB126_4318:
	s_mov_b32 s1, 0
	s_mov_b32 s2, 0
                                        ; implicit-def: $sgpr0
                                        ; implicit-def: $vgpr10_vgpr11
.LBB126_4319:
	s_delay_alu instid0(SALU_CYCLE_1)
	s_and_b32 s29, s2, exec_lo
	s_and_not1_b32 s2, s48, exec_lo
	s_and_b32 s3, s17, exec_lo
	s_and_b32 s1, s1, exec_lo
	s_or_b32 s48, s2, s3
.LBB126_4320:
	s_wait_xcnt 0x0
	s_or_b32 exec_lo, exec_lo, s49
	s_delay_alu instid0(SALU_CYCLE_1)
	s_and_not1_b32 s2, s55, exec_lo
	s_and_b32 s3, s48, exec_lo
	s_and_b32 s28, s29, exec_lo
	;; [unrolled: 1-line block ×3, first 2 shown]
	s_or_b32 s55, s2, s3
.LBB126_4321:
	s_or_b32 exec_lo, exec_lo, s56
	s_delay_alu instid0(SALU_CYCLE_1)
	s_and_not1_b32 s2, s33, exec_lo
	s_and_b32 s3, s55, exec_lo
	s_and_b32 s28, s28, exec_lo
	;; [unrolled: 1-line block ×3, first 2 shown]
	s_or_b32 s33, s2, s3
.LBB126_4322:
	s_or_b32 exec_lo, exec_lo, s54
	s_delay_alu instid0(SALU_CYCLE_1)
	s_and_not1_b32 s2, s43, exec_lo
	s_and_b32 s3, s33, exec_lo
	s_and_b32 s28, s28, exec_lo
	;; [unrolled: 1-line block ×3, first 2 shown]
	s_or_b32 s43, s2, s3
.LBB126_4323:
	s_or_b32 exec_lo, exec_lo, s27
	s_branch .LBB126_3435
.LBB126_4324:                           ;   in Loop: Header=BB126_4325 Depth=1
	s_or_b32 exec_lo, exec_lo, s0
	global_load_b64 v[24:25], v12, s[30:31]
	v_mul_u64_e32 v[26:27], s[34:35], v[20:21]
	s_add_co_i32 s29, s29, -1
	s_add_nc_u64 s[18:19], s[18:19], -8
	s_cmp_eq_u32 s29, 0
	s_wait_xcnt 0x0
	s_add_nc_u64 s[30:31], s[30:31], -8
	s_delay_alu instid0(VALU_DEP_1) | instskip(SKIP_1) | instid1(VALU_DEP_1)
	v_sub_nc_u64_e32 v[18:19], v[18:19], v[26:27]
	s_wait_loadcnt 0x0
	v_mad_nc_u64_u32 v[10:11], v18, v24, v[10:11]
	s_delay_alu instid0(VALU_DEP_1) | instskip(NEXT) | instid1(VALU_DEP_1)
	v_mad_u32 v1, v19, v24, v11
	v_mad_u32 v11, v18, v25, v1
	v_mov_b64_e32 v[18:19], v[20:21]
	s_cbranch_scc1 .LBB126_4329
.LBB126_4325:                           ; =>This Inner Loop Header: Depth=1
	global_load_b64 v[20:21], v12, s[18:19]
	s_mov_b32 s0, exec_lo
	s_wait_loadcnt 0x0
	v_or_b32_e32 v13, v19, v21
	v_readfirstlane_b32 s34, v20
	v_readfirstlane_b32 s35, v21
                                        ; implicit-def: $vgpr20_vgpr21
	s_wait_xcnt 0x0
	s_delay_alu instid0(VALU_DEP_3)
	v_cmpx_ne_u64_e32 0, v[12:13]
	s_xor_b32 s66, exec_lo, s0
	s_cbranch_execz .LBB126_4327
; %bb.4326:                             ;   in Loop: Header=BB126_4325 Depth=1
	s_ashr_i32 s44, s35, 31
	v_dual_mov_b32 v27, v12 :: v_dual_ashrrev_i32 v20, 31, v19
	s_mov_b32 s45, s44
	v_mov_b32_e32 v31, v12
	s_add_nc_u64 s[46:47], s[34:35], s[44:45]
	s_delay_alu instid0(VALU_DEP_2)
	v_mov_b32_e32 v21, v20
	s_xor_b64 s[46:47], s[46:47], s[44:45]
	v_mov_b32_e32 v35, v12
	s_cvt_f32_u32 s0, s46
	s_cvt_f32_u32 s45, s47
	s_sub_nc_u64 s[76:77], 0, s[46:47]
	v_add_nc_u64_e32 v[24:25], v[18:19], v[20:21]
	s_delay_alu instid0(SALU_CYCLE_1) | instskip(NEXT) | instid1(SALU_CYCLE_3)
	s_fmamk_f32 s0, s45, 0x4f800000, s0
	v_s_rcp_f32 s0, s0
	s_delay_alu instid0(VALU_DEP_1) | instskip(NEXT) | instid1(VALU_DEP_2)
	v_xor_b32_e32 v30, v25, v20
	v_xor_b32_e32 v26, v24, v20
	;; [unrolled: 1-line block ×3, first 2 shown]
	s_delay_alu instid0(TRANS32_DEP_1) | instskip(NEXT) | instid1(VALU_DEP_1)
	s_mul_f32 s0, s0, 0x5f7ffffc
	v_mov_b32_e32 v21, v20
	s_delay_alu instid0(SALU_CYCLE_2) | instskip(NEXT) | instid1(SALU_CYCLE_3)
	s_mul_f32 s45, s0, 0x2f800000
	s_trunc_f32 s45, s45
	s_delay_alu instid0(SALU_CYCLE_3) | instskip(SKIP_1) | instid1(SALU_CYCLE_2)
	s_fmamk_f32 s0, s45, 0xcf800000, s0
	s_cvt_u32_f32 s75, s45
	s_cvt_u32_f32 s74, s0
	s_delay_alu instid0(SALU_CYCLE_3) | instskip(NEXT) | instid1(SALU_CYCLE_1)
	s_mul_u64 s[78:79], s[76:77], s[74:75]
	s_mul_hi_u32 s81, s74, s79
	s_mul_i32 s80, s74, s79
	s_mul_hi_u32 s0, s74, s78
	s_mul_i32 s67, s75, s78
	s_add_nc_u64 s[80:81], s[0:1], s[80:81]
	s_mul_hi_u32 s45, s75, s78
	s_mul_hi_u32 s68, s75, s79
	s_add_co_u32 s0, s80, s67
	s_add_co_ci_u32 s0, s81, s45
	s_mul_i32 s78, s75, s79
	s_add_co_ci_u32 s79, s68, 0
	s_delay_alu instid0(SALU_CYCLE_1) | instskip(NEXT) | instid1(SALU_CYCLE_1)
	s_add_nc_u64 s[78:79], s[0:1], s[78:79]
	s_add_co_u32 s74, s74, s78
	s_cselect_b32 s0, -1, 0
	s_delay_alu instid0(SALU_CYCLE_1) | instskip(SKIP_1) | instid1(SALU_CYCLE_1)
	s_cmp_lg_u32 s0, 0
	s_add_co_ci_u32 s75, s75, s79
	s_mul_u64 s[76:77], s[76:77], s[74:75]
	s_delay_alu instid0(SALU_CYCLE_1)
	s_mul_hi_u32 s79, s74, s77
	s_mul_i32 s78, s74, s77
	s_mul_hi_u32 s0, s74, s76
	s_mul_i32 s67, s75, s76
	s_add_nc_u64 s[78:79], s[0:1], s[78:79]
	s_mul_hi_u32 s45, s75, s76
	s_mul_hi_u32 s68, s75, s77
	s_add_co_u32 s0, s78, s67
	s_add_co_ci_u32 s0, s79, s45
	s_mul_i32 s76, s75, s77
	s_add_co_ci_u32 s77, s68, 0
	s_delay_alu instid0(SALU_CYCLE_1) | instskip(NEXT) | instid1(SALU_CYCLE_1)
	s_add_nc_u64 s[76:77], s[0:1], s[76:77]
	s_add_co_u32 s68, s74, s76
	s_cselect_b32 s0, -1, 0
	v_mul_hi_u32 v34, v26, s68
	s_cmp_lg_u32 s0, 0
	s_add_co_ci_u32 s0, s75, s77
	s_and_b64 s[74:75], s[68:69], s[2:3]
	v_mul_u64_e32 v[28:29], s[0:1], v[26:27]
	v_mul_u64_e32 v[24:25], s[74:75], v[30:31]
	;; [unrolled: 1-line block ×3, first 2 shown]
	s_delay_alu instid0(VALU_DEP_3) | instskip(NEXT) | instid1(VALU_DEP_1)
	v_add_nc_u64_e32 v[28:29], v[34:35], v[28:29]
	v_add_co_u32 v1, vcc_lo, v28, v24
	s_delay_alu instid0(VALU_DEP_2) | instskip(NEXT) | instid1(VALU_DEP_4)
	v_add_co_ci_u32_e32 v34, vcc_lo, v29, v25, vcc_lo
	v_add_co_ci_u32_e32 v33, vcc_lo, 0, v33, vcc_lo
	s_delay_alu instid0(VALU_DEP_1) | instskip(NEXT) | instid1(VALU_DEP_1)
	v_add_nc_u64_e32 v[24:25], v[34:35], v[32:33]
	v_mul_u64_e32 v[28:29], s[46:47], v[24:25]
	s_delay_alu instid0(VALU_DEP_1) | instskip(NEXT) | instid1(VALU_DEP_2)
	v_sub_nc_u32_e32 v1, v30, v29
	v_sub_co_u32 v3, vcc_lo, v26, v28
	s_delay_alu instid0(VALU_DEP_1) | instskip(NEXT) | instid1(VALU_DEP_3)
	v_sub_co_ci_u32_e64 v7, null, v30, v29, vcc_lo
	v_subrev_co_ci_u32_e64 v1, null, s47, v1, vcc_lo
	s_delay_alu instid0(VALU_DEP_3) | instskip(SKIP_1) | instid1(VALU_DEP_3)
	v_sub_co_u32 v5, s0, v3, s46
	v_add_nc_u64_e32 v[26:27], 2, v[24:25]
	v_subrev_co_ci_u32_e64 v1, null, 0, v1, s0
	s_delay_alu instid0(VALU_DEP_3) | instskip(SKIP_2) | instid1(VALU_DEP_4)
	v_cmp_le_u32_e32 vcc_lo, s46, v5
	v_add_nc_u64_e32 v[28:29], 1, v[24:25]
	v_cndmask_b32_e64 v5, 0, -1, vcc_lo
	v_cmp_le_u32_e32 vcc_lo, s47, v1
	v_cndmask_b32_e64 v9, 0, -1, vcc_lo
	v_cmp_le_u32_e32 vcc_lo, s46, v3
	;; [unrolled: 2-line block ×3, first 2 shown]
	v_cndmask_b32_e64 v13, 0, -1, vcc_lo
	v_cmp_eq_u32_e32 vcc_lo, s47, v1
	v_cndmask_b32_e32 v1, v9, v5, vcc_lo
	v_cmp_eq_u32_e32 vcc_lo, s47, v7
	s_delay_alu instid0(VALU_DEP_4) | instskip(NEXT) | instid1(VALU_DEP_3)
	v_cndmask_b32_e32 v3, v13, v3, vcc_lo
	v_cmp_ne_u32_e32 vcc_lo, 0, v1
	s_delay_alu instid0(VALU_DEP_2) | instskip(SKIP_1) | instid1(VALU_DEP_1)
	v_cmp_ne_u32_e64 s0, 0, v3
	v_dual_cndmask_b32 v1, v29, v27, vcc_lo :: v_dual_cndmask_b32 v3, v28, v26, vcc_lo
	v_dual_cndmask_b32 v1, v25, v1, s0 :: v_dual_cndmask_b32 v3, v24, v3, s0
	s_delay_alu instid0(VALU_DEP_1) | instskip(NEXT) | instid1(VALU_DEP_2)
	v_xor_b32_e32 v25, v1, v20
	v_xor_b32_e32 v24, v3, v20
	s_delay_alu instid0(VALU_DEP_1)
	v_sub_nc_u64_e32 v[20:21], v[24:25], v[20:21]
.LBB126_4327:                           ;   in Loop: Header=BB126_4325 Depth=1
	s_and_not1_saveexec_b32 s0, s66
	s_cbranch_execz .LBB126_4324
; %bb.4328:                             ;   in Loop: Header=BB126_4325 Depth=1
	v_cvt_f32_u32_e32 v1, s34
	s_sub_co_i32 s44, 0, s34
	v_mov_b32_e32 v21, v12
	s_delay_alu instid0(VALU_DEP_2) | instskip(SKIP_1) | instid1(TRANS32_DEP_1)
	v_rcp_iflag_f32_e32 v1, v1
	v_nop
	v_mul_f32_e32 v1, 0x4f7ffffe, v1
	s_delay_alu instid0(VALU_DEP_1) | instskip(NEXT) | instid1(VALU_DEP_1)
	v_cvt_u32_f32_e32 v1, v1
	v_mul_lo_u32 v3, s44, v1
	s_delay_alu instid0(VALU_DEP_1) | instskip(NEXT) | instid1(VALU_DEP_1)
	v_mul_hi_u32 v3, v1, v3
	v_add_nc_u32_e32 v1, v1, v3
	s_delay_alu instid0(VALU_DEP_1) | instskip(NEXT) | instid1(VALU_DEP_1)
	v_mul_hi_u32 v1, v18, v1
	v_mul_lo_u32 v3, v1, s34
	s_delay_alu instid0(VALU_DEP_1) | instskip(NEXT) | instid1(VALU_DEP_1)
	v_sub_nc_u32_e32 v3, v18, v3
	v_subrev_nc_u32_e32 v7, s34, v3
	v_cmp_le_u32_e32 vcc_lo, s34, v3
	s_delay_alu instid0(VALU_DEP_2) | instskip(NEXT) | instid1(VALU_DEP_1)
	v_dual_add_nc_u32 v5, 1, v1 :: v_dual_cndmask_b32 v3, v3, v7, vcc_lo
	v_cndmask_b32_e32 v1, v1, v5, vcc_lo
	s_delay_alu instid0(VALU_DEP_2) | instskip(NEXT) | instid1(VALU_DEP_2)
	v_cmp_le_u32_e32 vcc_lo, s34, v3
	v_add_nc_u32_e32 v5, 1, v1
	s_delay_alu instid0(VALU_DEP_1)
	v_cndmask_b32_e32 v20, v1, v5, vcc_lo
	s_branch .LBB126_4324
.LBB126_4329:
	s_mov_b32 s3, -1
	s_mov_b32 s66, s64
	s_mov_b32 s0, exec_lo
	v_cmpx_gt_i64_e64 v[16:17], v[14:15]
	s_cbranch_execz .LBB126_4336
; %bb.4330:
	s_delay_alu instid0(VALU_DEP_2) | instskip(SKIP_2) | instid1(VALU_DEP_1)
	v_lshlrev_b64_e32 v[10:11], 3, v[10:11]
	s_mov_b32 s2, 0
	s_xor_b32 s3, s50, -1
                                        ; implicit-def: $sgpr1
                                        ; implicit-def: $sgpr19
                                        ; implicit-def: $sgpr18
	v_lshl_add_u64 v[12:13], v[14:15], 3, v[10:11]
	v_add_nc_u64_e32 v[14:15], s[24:25], v[10:11]
	s_delay_alu instid0(VALU_DEP_2) | instskip(NEXT) | instid1(VALU_DEP_1)
	v_add_nc_u64_e32 v[12:13], s[24:25], v[12:13]
	v_add_nc_u64_e32 v[10:11], 8, v[12:13]
	s_delay_alu instid0(VALU_DEP_3)
	v_lshl_add_u64 v[12:13], v[16:17], 3, v[14:15]
	s_branch .LBB126_4332
.LBB126_4331:                           ;   in Loop: Header=BB126_4332 Depth=1
	s_or_b32 exec_lo, exec_lo, s29
	s_xor_b32 s29, s18, -1
	s_and_b32 s30, exec_lo, s19
	s_delay_alu instid0(SALU_CYCLE_1) | instskip(SKIP_2) | instid1(SALU_CYCLE_1)
	s_or_b32 s2, s30, s2
	s_and_not1_b32 s1, s1, exec_lo
	s_and_b32 s29, s29, exec_lo
	s_or_b32 s1, s1, s29
	s_and_not1_b32 exec_lo, exec_lo, s2
	s_cbranch_execz .LBB126_4334
.LBB126_4332:                           ; =>This Inner Loop Header: Depth=1
	s_or_b32 s18, s18, exec_lo
	s_or_b32 s19, s19, exec_lo
	s_mov_b32 s29, exec_lo
	s_delay_alu instid0(VALU_DEP_2)
	v_cmpx_lt_u64_e64 v[10:11], v[12:13]
	s_cbranch_execz .LBB126_4331
; %bb.4333:                             ;   in Loop: Header=BB126_4332 Depth=1
	global_load_b128 v[14:17], v[10:11], off offset:-8
	s_wait_xcnt 0x0
	v_add_nc_u64_e32 v[10:11], 8, v[10:11]
	s_and_not1_b32 s19, s19, exec_lo
	s_and_not1_b32 s18, s18, exec_lo
	s_wait_loadcnt 0x0
	v_cmp_ge_i64_e32 vcc_lo, v[14:15], v[16:17]
	s_or_b32 s30, s3, vcc_lo
	s_delay_alu instid0(SALU_CYCLE_1) | instskip(NEXT) | instid1(SALU_CYCLE_1)
	s_and_b32 s30, s30, exec_lo
	s_or_b32 s19, s19, s30
	s_branch .LBB126_4331
.LBB126_4334:
	s_or_b32 exec_lo, exec_lo, s2
	s_mov_b32 s2, -1
	s_mov_b32 s3, s64
	s_and_saveexec_b32 s18, s1
	s_delay_alu instid0(SALU_CYCLE_1)
	s_xor_b32 s1, exec_lo, s18
	s_cbranch_execnz .LBB126_4349
.LBB126_4335:
	s_or_b32 exec_lo, exec_lo, s1
	s_delay_alu instid0(SALU_CYCLE_1) | instskip(SKIP_1) | instid1(SALU_CYCLE_1)
	s_and_not1_b32 s1, s64, exec_lo
	s_and_b32 s3, s3, exec_lo
	s_or_b32 s66, s1, s3
	s_or_not1_b32 s3, s2, exec_lo
.LBB126_4336:
	s_or_b32 exec_lo, exec_lo, s0
	s_mov_b32 s1, 0
	s_mov_b32 s2, 0
                                        ; implicit-def: $sgpr0
                                        ; implicit-def: $vgpr10_vgpr11
	s_and_saveexec_b32 s67, s3
	s_cbranch_execz .LBB126_4986
; %bb.4337:
	v_add_nc_u32_e32 v0, s69, v0
	s_cmp_lt_i32 s57, 11
	s_delay_alu instid0(VALU_DEP_1) | instskip(NEXT) | instid1(VALU_DEP_1)
	v_ashrrev_i32_e32 v1, 31, v0
	v_add_nc_u64_e32 v[12:13], s[6:7], v[0:1]
	s_cbranch_scc1 .LBB126_4345
; %bb.4338:
	s_and_b32 s0, 0xffff, s57
	s_delay_alu instid0(SALU_CYCLE_1)
	s_cmp_gt_i32 s0, 25
	s_cbranch_scc0 .LBB126_4346
; %bb.4339:
	s_cmp_gt_i32 s0, 28
	s_cbranch_scc0 .LBB126_4347
; %bb.4340:
	;; [unrolled: 3-line block ×4, first 2 shown]
	s_cmp_eq_u32 s0, 46
	s_mov_b32 s18, 0
	s_cbranch_scc0 .LBB126_4351
; %bb.4343:
	global_load_b32 v1, v[12:13], off
	s_mov_b32 s3, -1
	s_wait_loadcnt 0x0
	v_lshlrev_b32_e32 v1, 16, v1
	s_delay_alu instid0(VALU_DEP_1) | instskip(NEXT) | instid1(VALU_DEP_1)
	v_trunc_f32_e32 v1, v1
	v_mul_f32_e64 v3, 0x2f800000, |v1|
	v_ashrrev_i32_e32 v10, 31, v1
	s_delay_alu instid0(VALU_DEP_2) | instskip(NEXT) | instid1(VALU_DEP_2)
	v_floor_f32_e32 v3, v3
	v_mov_b32_e32 v11, v10
	s_delay_alu instid0(VALU_DEP_2) | instskip(SKIP_1) | instid1(VALU_DEP_2)
	v_fma_f32 v5, 0xcf800000, v3, |v1|
	v_cvt_u32_f32_e32 v1, v3
	v_cvt_u32_f32_e32 v3, v5
	s_delay_alu instid0(VALU_DEP_2) | instskip(NEXT) | instid1(VALU_DEP_2)
	v_xor_b32_e32 v15, v1, v10
	v_xor_b32_e32 v14, v3, v10
	s_delay_alu instid0(VALU_DEP_1)
	v_sub_nc_u64_e32 v[10:11], v[14:15], v[10:11]
	s_branch .LBB126_4353
.LBB126_4344:
	s_or_b32 s17, s17, exec_lo
	s_trap 2
	s_cbranch_execz .LBB126_4258
	s_branch .LBB126_4259
.LBB126_4345:
	s_mov_b32 s0, -1
	s_mov_b32 s3, 0
	s_mov_b32 s68, s66
                                        ; implicit-def: $vgpr10_vgpr11
	s_branch .LBB126_4415
.LBB126_4346:
	s_mov_b32 s18, -1
	s_mov_b32 s3, 0
                                        ; implicit-def: $vgpr10_vgpr11
	s_branch .LBB126_4380
.LBB126_4347:
	s_mov_b32 s18, -1
	s_mov_b32 s3, 0
                                        ; implicit-def: $vgpr10_vgpr11
	s_branch .LBB126_4363
.LBB126_4348:
	s_mov_b32 s18, -1
	s_mov_b32 s3, 0
                                        ; implicit-def: $vgpr10_vgpr11
	s_branch .LBB126_4358
.LBB126_4349:
	s_or_b32 s3, s64, exec_lo
	s_xor_b32 s2, exec_lo, -1
	s_trap 2
	s_branch .LBB126_4335
.LBB126_4350:
	s_mov_b32 s18, -1
	s_branch .LBB126_4352
.LBB126_4351:
	s_mov_b32 s1, -1
.LBB126_4352:
	s_mov_b32 s3, 0
                                        ; implicit-def: $vgpr10_vgpr11
.LBB126_4353:
	s_and_b32 vcc_lo, exec_lo, s18
	s_cbranch_vccz .LBB126_4357
; %bb.4354:
	s_cmp_eq_u32 s0, 44
	s_cbranch_scc0 .LBB126_4356
; %bb.4355:
	global_load_u8 v1, v[12:13], off
	s_mov_b32 s1, 0
	s_mov_b32 s3, -1
	s_wait_loadcnt 0x0
	v_lshlrev_b32_e32 v3, 23, v1
	v_cmp_ne_u32_e32 vcc_lo, 0, v1
	s_delay_alu instid0(VALU_DEP_2) | instskip(NEXT) | instid1(VALU_DEP_1)
	v_trunc_f32_e32 v3, v3
	v_mul_f32_e64 v5, 0x2f800000, |v3|
	v_ashrrev_i32_e32 v10, 31, v3
	s_delay_alu instid0(VALU_DEP_2) | instskip(NEXT) | instid1(VALU_DEP_2)
	v_floor_f32_e32 v5, v5
	v_mov_b32_e32 v11, v10
	s_delay_alu instid0(VALU_DEP_2) | instskip(SKIP_1) | instid1(VALU_DEP_2)
	v_fma_f32 v7, 0xcf800000, v5, |v3|
	v_cvt_u32_f32_e32 v3, v5
	v_cvt_u32_f32_e32 v5, v7
	s_delay_alu instid0(VALU_DEP_2) | instskip(NEXT) | instid1(VALU_DEP_2)
	v_xor_b32_e32 v15, v3, v10
	v_xor_b32_e32 v14, v5, v10
	s_delay_alu instid0(VALU_DEP_1) | instskip(NEXT) | instid1(VALU_DEP_1)
	v_sub_nc_u64_e32 v[10:11], v[14:15], v[10:11]
	v_dual_cndmask_b32 v11, 0, v11 :: v_dual_cndmask_b32 v10, 0, v10
	s_branch .LBB126_4357
.LBB126_4356:
	s_mov_b32 s1, -1
                                        ; implicit-def: $vgpr10_vgpr11
.LBB126_4357:
	s_mov_b32 s18, 0
.LBB126_4358:
	s_delay_alu instid0(SALU_CYCLE_1)
	s_and_b32 vcc_lo, exec_lo, s18
	s_cbranch_vccz .LBB126_4362
; %bb.4359:
	s_cmp_eq_u32 s0, 29
	s_cbranch_scc0 .LBB126_4361
; %bb.4360:
	global_load_b64 v[10:11], v[12:13], off
	s_mov_b32 s1, 0
	s_mov_b32 s3, -1
	s_branch .LBB126_4362
.LBB126_4361:
	s_mov_b32 s1, -1
                                        ; implicit-def: $vgpr10_vgpr11
.LBB126_4362:
	s_mov_b32 s18, 0
.LBB126_4363:
	s_delay_alu instid0(SALU_CYCLE_1)
	s_and_b32 vcc_lo, exec_lo, s18
	s_cbranch_vccz .LBB126_4379
; %bb.4364:
	s_cmp_lt_i32 s0, 27
	s_cbranch_scc1 .LBB126_4367
; %bb.4365:
	s_cmp_gt_i32 s0, 27
	s_cbranch_scc0 .LBB126_4368
; %bb.4366:
	s_wait_loadcnt 0x0
	global_load_b32 v10, v[12:13], off
	v_mov_b32_e32 v11, 0
	s_mov_b32 s3, 0
	s_branch .LBB126_4369
.LBB126_4367:
	s_mov_b32 s3, -1
                                        ; implicit-def: $vgpr10_vgpr11
	s_branch .LBB126_4372
.LBB126_4368:
	s_mov_b32 s3, -1
                                        ; implicit-def: $vgpr10_vgpr11
.LBB126_4369:
	s_delay_alu instid0(SALU_CYCLE_1)
	s_and_not1_b32 vcc_lo, exec_lo, s3
	s_cbranch_vccnz .LBB126_4371
; %bb.4370:
	global_load_u16 v1, v[12:13], off
	s_mov_b32 s3, 0
	s_wait_loadcnt 0x1
	v_mov_b32_e32 v11, s3
	s_wait_loadcnt 0x0
	v_and_b32_e32 v10, 0xffff, v1
.LBB126_4371:
	s_mov_b32 s3, 0
.LBB126_4372:
	s_delay_alu instid0(SALU_CYCLE_1)
	s_and_not1_b32 vcc_lo, exec_lo, s3
	s_cbranch_vccnz .LBB126_4378
; %bb.4373:
	global_load_u8 v1, v[12:13], off
	s_mov_b32 s18, 0
	s_mov_b32 s3, exec_lo
	s_wait_loadcnt 0x0
	v_cmpx_lt_i16_e32 0x7f, v1
	s_xor_b32 s3, exec_lo, s3
	s_cbranch_execz .LBB126_4390
; %bb.4374:
	v_cmp_ne_u16_e32 vcc_lo, 0x80, v1
	s_and_b32 s18, vcc_lo, exec_lo
	s_and_not1_saveexec_b32 s3, s3
	s_cbranch_execnz .LBB126_4391
.LBB126_4375:
	s_or_b32 exec_lo, exec_lo, s3
	v_mov_b64_e32 v[10:11], 0
	s_and_saveexec_b32 s3, s18
	s_cbranch_execz .LBB126_4377
.LBB126_4376:
	v_and_b32_e32 v3, 0xffff, v1
	s_delay_alu instid0(VALU_DEP_1) | instskip(SKIP_1) | instid1(VALU_DEP_2)
	v_dual_lshlrev_b32 v1, 24, v1 :: v_dual_bitop2_b32 v5, 7, v3 bitop3:0x40
	v_bfe_u32 v10, v3, 3, 4
	v_and_b32_e32 v1, 0x80000000, v1
	s_delay_alu instid0(VALU_DEP_3) | instskip(NEXT) | instid1(VALU_DEP_3)
	v_clz_i32_u32_e32 v7, v5
	v_cmp_eq_u32_e32 vcc_lo, 0, v10
	s_delay_alu instid0(VALU_DEP_2) | instskip(NEXT) | instid1(VALU_DEP_1)
	v_min_u32_e32 v7, 32, v7
	v_subrev_nc_u32_e32 v9, 28, v7
	v_sub_nc_u32_e32 v7, 29, v7
	s_delay_alu instid0(VALU_DEP_2) | instskip(NEXT) | instid1(VALU_DEP_2)
	v_lshlrev_b32_e32 v3, v9, v3
	v_cndmask_b32_e32 v7, v10, v7, vcc_lo
	s_delay_alu instid0(VALU_DEP_2) | instskip(NEXT) | instid1(VALU_DEP_1)
	v_and_b32_e32 v3, 7, v3
	v_cndmask_b32_e32 v3, v5, v3, vcc_lo
	s_delay_alu instid0(VALU_DEP_3) | instskip(NEXT) | instid1(VALU_DEP_2)
	v_lshl_add_u32 v5, v7, 23, 0x3b800000
	v_lshlrev_b32_e32 v3, 20, v3
	s_delay_alu instid0(VALU_DEP_1) | instskip(NEXT) | instid1(VALU_DEP_1)
	v_or3_b32 v1, v1, v5, v3
	v_trunc_f32_e32 v1, v1
	s_delay_alu instid0(VALU_DEP_1) | instskip(SKIP_1) | instid1(VALU_DEP_2)
	v_mul_f32_e64 v3, 0x2f800000, |v1|
	v_ashrrev_i32_e32 v10, 31, v1
	v_floor_f32_e32 v3, v3
	s_delay_alu instid0(VALU_DEP_2) | instskip(NEXT) | instid1(VALU_DEP_2)
	v_mov_b32_e32 v11, v10
	v_fma_f32 v5, 0xcf800000, v3, |v1|
	v_cvt_u32_f32_e32 v1, v3
	s_delay_alu instid0(VALU_DEP_2) | instskip(NEXT) | instid1(VALU_DEP_2)
	v_cvt_u32_f32_e32 v3, v5
	v_xor_b32_e32 v15, v1, v10
	s_delay_alu instid0(VALU_DEP_2) | instskip(NEXT) | instid1(VALU_DEP_1)
	v_xor_b32_e32 v14, v3, v10
	v_sub_nc_u64_e32 v[10:11], v[14:15], v[10:11]
.LBB126_4377:
	s_or_b32 exec_lo, exec_lo, s3
.LBB126_4378:
	s_mov_b32 s3, -1
.LBB126_4379:
	s_mov_b32 s18, 0
.LBB126_4380:
	s_delay_alu instid0(SALU_CYCLE_1)
	s_and_b32 vcc_lo, exec_lo, s18
	s_cbranch_vccz .LBB126_4411
; %bb.4381:
	s_cmp_gt_i32 s0, 22
	s_cbranch_scc0 .LBB126_4389
; %bb.4382:
	s_cmp_lt_i32 s0, 24
	s_cbranch_scc1 .LBB126_4392
; %bb.4383:
	s_cmp_gt_i32 s0, 24
	s_cbranch_scc0 .LBB126_4393
; %bb.4384:
	global_load_u8 v1, v[12:13], off
	s_mov_b32 s3, 0
	s_mov_b32 s2, exec_lo
	s_wait_loadcnt 0x0
	v_cmpx_lt_i16_e32 0x7f, v1
	s_xor_b32 s2, exec_lo, s2
	s_cbranch_execz .LBB126_4405
; %bb.4385:
	v_cmp_ne_u16_e32 vcc_lo, 0x80, v1
	s_and_b32 s3, vcc_lo, exec_lo
	s_and_not1_saveexec_b32 s2, s2
	s_cbranch_execnz .LBB126_4406
.LBB126_4386:
	s_or_b32 exec_lo, exec_lo, s2
	v_mov_b64_e32 v[10:11], 0
	s_and_saveexec_b32 s2, s3
	s_cbranch_execz .LBB126_4388
.LBB126_4387:
	v_and_b32_e32 v3, 0xffff, v1
	s_delay_alu instid0(VALU_DEP_1) | instskip(SKIP_1) | instid1(VALU_DEP_2)
	v_dual_lshlrev_b32 v1, 24, v1 :: v_dual_bitop2_b32 v5, 3, v3 bitop3:0x40
	v_bfe_u32 v10, v3, 2, 5
	v_and_b32_e32 v1, 0x80000000, v1
	s_delay_alu instid0(VALU_DEP_3) | instskip(NEXT) | instid1(VALU_DEP_3)
	v_clz_i32_u32_e32 v7, v5
	v_cmp_eq_u32_e32 vcc_lo, 0, v10
	s_delay_alu instid0(VALU_DEP_2) | instskip(NEXT) | instid1(VALU_DEP_1)
	v_min_u32_e32 v7, 32, v7
	v_subrev_nc_u32_e32 v9, 29, v7
	v_sub_nc_u32_e32 v7, 30, v7
	s_delay_alu instid0(VALU_DEP_2) | instskip(NEXT) | instid1(VALU_DEP_2)
	v_lshlrev_b32_e32 v3, v9, v3
	v_cndmask_b32_e32 v7, v10, v7, vcc_lo
	s_delay_alu instid0(VALU_DEP_2) | instskip(NEXT) | instid1(VALU_DEP_1)
	v_and_b32_e32 v3, 3, v3
	v_cndmask_b32_e32 v3, v5, v3, vcc_lo
	s_delay_alu instid0(VALU_DEP_3) | instskip(NEXT) | instid1(VALU_DEP_2)
	v_lshl_add_u32 v5, v7, 23, 0x37800000
	v_lshlrev_b32_e32 v3, 21, v3
	s_delay_alu instid0(VALU_DEP_1) | instskip(NEXT) | instid1(VALU_DEP_1)
	v_or3_b32 v1, v1, v5, v3
	v_trunc_f32_e32 v1, v1
	s_delay_alu instid0(VALU_DEP_1) | instskip(SKIP_1) | instid1(VALU_DEP_2)
	v_mul_f32_e64 v3, 0x2f800000, |v1|
	v_ashrrev_i32_e32 v10, 31, v1
	v_floor_f32_e32 v3, v3
	s_delay_alu instid0(VALU_DEP_2) | instskip(NEXT) | instid1(VALU_DEP_2)
	v_mov_b32_e32 v11, v10
	v_fma_f32 v5, 0xcf800000, v3, |v1|
	v_cvt_u32_f32_e32 v1, v3
	s_delay_alu instid0(VALU_DEP_2) | instskip(NEXT) | instid1(VALU_DEP_2)
	v_cvt_u32_f32_e32 v3, v5
	v_xor_b32_e32 v15, v1, v10
	s_delay_alu instid0(VALU_DEP_2) | instskip(NEXT) | instid1(VALU_DEP_1)
	v_xor_b32_e32 v14, v3, v10
	v_sub_nc_u64_e32 v[10:11], v[14:15], v[10:11]
.LBB126_4388:
	s_or_b32 exec_lo, exec_lo, s2
	s_mov_b32 s2, 0
	s_branch .LBB126_4394
.LBB126_4389:
	s_mov_b32 s2, -1
                                        ; implicit-def: $vgpr10_vgpr11
	s_branch .LBB126_4400
.LBB126_4390:
	s_and_not1_saveexec_b32 s3, s3
	s_cbranch_execz .LBB126_4375
.LBB126_4391:
	v_cmp_ne_u16_e32 vcc_lo, 0, v1
	s_and_not1_b32 s18, s18, exec_lo
	s_and_b32 s19, vcc_lo, exec_lo
	s_delay_alu instid0(SALU_CYCLE_1)
	s_or_b32 s18, s18, s19
	s_or_b32 exec_lo, exec_lo, s3
	v_mov_b64_e32 v[10:11], 0
	s_and_saveexec_b32 s3, s18
	s_cbranch_execnz .LBB126_4376
	s_branch .LBB126_4377
.LBB126_4392:
	s_mov_b32 s2, -1
                                        ; implicit-def: $vgpr10_vgpr11
	s_branch .LBB126_4397
.LBB126_4393:
	s_mov_b32 s2, -1
                                        ; implicit-def: $vgpr10_vgpr11
.LBB126_4394:
	s_delay_alu instid0(SALU_CYCLE_1)
	s_and_b32 vcc_lo, exec_lo, s2
	s_cbranch_vccz .LBB126_4396
; %bb.4395:
	global_load_u8 v1, v[12:13], off
	s_wait_loadcnt 0x0
	v_lshlrev_b32_e32 v1, 24, v1
	s_delay_alu instid0(VALU_DEP_1) | instskip(NEXT) | instid1(VALU_DEP_1)
	v_and_b32_e32 v3, 0x7f000000, v1
	v_clz_i32_u32_e32 v5, v3
	v_add_nc_u32_e32 v9, 0x1000000, v3
	v_cmp_ne_u32_e32 vcc_lo, 0, v3
	s_delay_alu instid0(VALU_DEP_3) | instskip(NEXT) | instid1(VALU_DEP_1)
	v_min_u32_e32 v5, 32, v5
	v_sub_nc_u32_e64 v5, v5, 4 clamp
	s_delay_alu instid0(VALU_DEP_1) | instskip(NEXT) | instid1(VALU_DEP_1)
	v_dual_lshlrev_b32 v7, v5, v3 :: v_dual_lshlrev_b32 v5, 23, v5
	v_lshrrev_b32_e32 v7, 4, v7
	s_delay_alu instid0(VALU_DEP_1) | instskip(SKIP_1) | instid1(VALU_DEP_2)
	v_sub_nc_u32_e32 v5, v7, v5
	v_ashrrev_i32_e32 v7, 8, v9
	v_add_nc_u32_e32 v5, 0x3c000000, v5
	s_delay_alu instid0(VALU_DEP_1) | instskip(NEXT) | instid1(VALU_DEP_1)
	v_and_or_b32 v5, 0x7f800000, v7, v5
	v_cndmask_b32_e32 v3, 0, v5, vcc_lo
	s_delay_alu instid0(VALU_DEP_1) | instskip(NEXT) | instid1(VALU_DEP_1)
	v_and_or_b32 v1, 0x80000000, v1, v3
	v_trunc_f32_e32 v1, v1
	s_delay_alu instid0(VALU_DEP_1) | instskip(SKIP_1) | instid1(VALU_DEP_2)
	v_mul_f32_e64 v3, 0x2f800000, |v1|
	v_ashrrev_i32_e32 v10, 31, v1
	v_floor_f32_e32 v3, v3
	s_delay_alu instid0(VALU_DEP_2) | instskip(NEXT) | instid1(VALU_DEP_2)
	v_mov_b32_e32 v11, v10
	v_fma_f32 v5, 0xcf800000, v3, |v1|
	v_cvt_u32_f32_e32 v1, v3
	s_delay_alu instid0(VALU_DEP_2) | instskip(NEXT) | instid1(VALU_DEP_2)
	v_cvt_u32_f32_e32 v3, v5
	v_xor_b32_e32 v15, v1, v10
	s_delay_alu instid0(VALU_DEP_2) | instskip(NEXT) | instid1(VALU_DEP_1)
	v_xor_b32_e32 v14, v3, v10
	v_sub_nc_u64_e32 v[10:11], v[14:15], v[10:11]
.LBB126_4396:
	s_mov_b32 s2, 0
.LBB126_4397:
	s_delay_alu instid0(SALU_CYCLE_1)
	s_and_not1_b32 vcc_lo, exec_lo, s2
	s_cbranch_vccnz .LBB126_4399
; %bb.4398:
	global_load_u8 v1, v[12:13], off
	s_wait_loadcnt 0x0
	v_lshlrev_b32_e32 v3, 25, v1
	v_lshlrev_b16 v1, 8, v1
	s_delay_alu instid0(VALU_DEP_1) | instskip(SKIP_1) | instid1(VALU_DEP_2)
	v_and_or_b32 v7, 0x7f00, v1, 0.5
	v_bfe_i32 v1, v1, 0, 16
	v_add_f32_e32 v7, -0.5, v7
	v_lshrrev_b32_e32 v5, 4, v3
	v_cmp_gt_u32_e32 vcc_lo, 0x8000000, v3
	s_delay_alu instid0(VALU_DEP_2) | instskip(NEXT) | instid1(VALU_DEP_1)
	v_or_b32_e32 v5, 0x70000000, v5
	v_mul_f32_e32 v5, 0x7800000, v5
	s_delay_alu instid0(VALU_DEP_1) | instskip(NEXT) | instid1(VALU_DEP_1)
	v_cndmask_b32_e32 v3, v5, v7, vcc_lo
	v_and_or_b32 v1, 0x80000000, v1, v3
	s_delay_alu instid0(VALU_DEP_1) | instskip(NEXT) | instid1(VALU_DEP_1)
	v_trunc_f32_e32 v1, v1
	v_mul_f32_e64 v3, 0x2f800000, |v1|
	v_ashrrev_i32_e32 v10, 31, v1
	s_delay_alu instid0(VALU_DEP_2) | instskip(NEXT) | instid1(VALU_DEP_2)
	v_floor_f32_e32 v3, v3
	v_mov_b32_e32 v11, v10
	s_delay_alu instid0(VALU_DEP_2) | instskip(SKIP_1) | instid1(VALU_DEP_2)
	v_fma_f32 v5, 0xcf800000, v3, |v1|
	v_cvt_u32_f32_e32 v1, v3
	v_cvt_u32_f32_e32 v3, v5
	s_delay_alu instid0(VALU_DEP_2) | instskip(NEXT) | instid1(VALU_DEP_2)
	v_xor_b32_e32 v15, v1, v10
	v_xor_b32_e32 v14, v3, v10
	s_delay_alu instid0(VALU_DEP_1)
	v_sub_nc_u64_e32 v[10:11], v[14:15], v[10:11]
.LBB126_4399:
	s_mov_b32 s2, 0
	s_mov_b32 s3, -1
.LBB126_4400:
	s_and_not1_b32 vcc_lo, exec_lo, s2
	s_mov_b32 s2, 0
	s_cbranch_vccnz .LBB126_4411
; %bb.4401:
	s_cmp_gt_i32 s0, 14
	s_cbranch_scc0 .LBB126_4404
; %bb.4402:
	s_cmp_eq_u32 s0, 15
	s_cbranch_scc0 .LBB126_4407
; %bb.4403:
	global_load_u16 v1, v[12:13], off
	s_mov_b32 s1, 0
	s_mov_b32 s3, -1
	s_wait_loadcnt 0x0
	v_lshlrev_b32_e32 v1, 16, v1
	s_delay_alu instid0(VALU_DEP_1) | instskip(NEXT) | instid1(VALU_DEP_1)
	v_trunc_f32_e32 v1, v1
	v_mul_f32_e64 v3, 0x2f800000, |v1|
	v_ashrrev_i32_e32 v10, 31, v1
	s_delay_alu instid0(VALU_DEP_2) | instskip(NEXT) | instid1(VALU_DEP_2)
	v_floor_f32_e32 v3, v3
	v_mov_b32_e32 v11, v10
	s_delay_alu instid0(VALU_DEP_2) | instskip(SKIP_1) | instid1(VALU_DEP_2)
	v_fma_f32 v5, 0xcf800000, v3, |v1|
	v_cvt_u32_f32_e32 v1, v3
	v_cvt_u32_f32_e32 v3, v5
	s_delay_alu instid0(VALU_DEP_2) | instskip(NEXT) | instid1(VALU_DEP_2)
	v_xor_b32_e32 v15, v1, v10
	v_xor_b32_e32 v14, v3, v10
	s_delay_alu instid0(VALU_DEP_1)
	v_sub_nc_u64_e32 v[10:11], v[14:15], v[10:11]
	s_branch .LBB126_4409
.LBB126_4404:
	s_mov_b32 s2, -1
	s_branch .LBB126_4408
.LBB126_4405:
	s_and_not1_saveexec_b32 s2, s2
	s_cbranch_execz .LBB126_4386
.LBB126_4406:
	v_cmp_ne_u16_e32 vcc_lo, 0, v1
	s_and_not1_b32 s3, s3, exec_lo
	s_and_b32 s18, vcc_lo, exec_lo
	s_delay_alu instid0(SALU_CYCLE_1)
	s_or_b32 s3, s3, s18
	s_or_b32 exec_lo, exec_lo, s2
	v_mov_b64_e32 v[10:11], 0
	s_and_saveexec_b32 s2, s3
	s_cbranch_execnz .LBB126_4387
	s_branch .LBB126_4388
.LBB126_4407:
	s_mov_b32 s1, -1
.LBB126_4408:
                                        ; implicit-def: $vgpr10_vgpr11
.LBB126_4409:
	s_and_b32 vcc_lo, exec_lo, s2
	s_mov_b32 s2, 0
	s_cbranch_vccz .LBB126_4411
; %bb.4410:
	s_cmp_lg_u32 s0, 11
	s_mov_b32 s2, -1
	s_cselect_b32 s1, -1, 0
.LBB126_4411:
	s_delay_alu instid0(SALU_CYCLE_1)
	s_and_b32 vcc_lo, exec_lo, s1
	s_mov_b32 s68, s66
	s_cbranch_vccnz .LBB126_4476
; %bb.4412:
	s_and_not1_b32 vcc_lo, exec_lo, s2
	s_cbranch_vccnz .LBB126_4414
.LBB126_4413:
	global_load_u8 v1, v[12:13], off
	s_mov_b32 s0, 0
	s_mov_b32 s3, -1
	s_wait_loadcnt 0x1
	v_mov_b32_e32 v11, s0
	s_wait_loadcnt 0x0
	v_cmp_ne_u16_e32 vcc_lo, 0, v1
	v_cndmask_b32_e64 v10, 0, 1, vcc_lo
.LBB126_4414:
	s_mov_b32 s0, 0
.LBB126_4415:
	s_delay_alu instid0(SALU_CYCLE_1)
	s_and_b32 vcc_lo, exec_lo, s0
	s_cbranch_vccz .LBB126_4464
; %bb.4416:
	s_and_b32 s0, 0xffff, s57
	s_delay_alu instid0(SALU_CYCLE_1)
	s_cmp_lt_i32 s0, 5
	s_cbranch_scc1 .LBB126_4421
; %bb.4417:
	s_cmp_lt_i32 s0, 8
	s_cbranch_scc1 .LBB126_4422
; %bb.4418:
	;; [unrolled: 3-line block ×3, first 2 shown]
	s_cmp_gt_i32 s0, 9
	s_cbranch_scc0 .LBB126_4424
; %bb.4420:
	s_wait_loadcnt 0x0
	global_load_b64 v[10:11], v[12:13], off
	s_mov_b32 s1, 0
	s_wait_loadcnt 0x0
	v_trunc_f64_e32 v[10:11], v[10:11]
	s_delay_alu instid0(VALU_DEP_1) | instskip(NEXT) | instid1(VALU_DEP_1)
	v_ldexp_f64 v[14:15], v[10:11], 0xffffffe0
	v_floor_f64_e32 v[14:15], v[14:15]
	s_delay_alu instid0(VALU_DEP_1) | instskip(SKIP_1) | instid1(VALU_DEP_2)
	v_fmamk_f64 v[16:17], v[14:15], 0xc1f00000, v[10:11]
	v_cvt_i32_f64_e32 v11, v[14:15]
	v_cvt_u32_f64_e32 v10, v[16:17]
	s_branch .LBB126_4425
.LBB126_4421:
	s_mov_b32 s1, -1
                                        ; implicit-def: $vgpr10_vgpr11
	s_branch .LBB126_4443
.LBB126_4422:
	s_mov_b32 s1, -1
                                        ; implicit-def: $vgpr10_vgpr11
	s_branch .LBB126_4431
.LBB126_4423:
	s_mov_b32 s1, -1
                                        ; implicit-def: $vgpr10_vgpr11
	s_branch .LBB126_4428
.LBB126_4424:
	s_mov_b32 s1, -1
                                        ; implicit-def: $vgpr10_vgpr11
.LBB126_4425:
	s_delay_alu instid0(SALU_CYCLE_1)
	s_and_not1_b32 vcc_lo, exec_lo, s1
	s_cbranch_vccnz .LBB126_4427
; %bb.4426:
	global_load_b32 v1, v[12:13], off
	s_wait_loadcnt 0x0
	v_trunc_f32_e32 v1, v1
	s_delay_alu instid0(VALU_DEP_1) | instskip(SKIP_1) | instid1(VALU_DEP_2)
	v_mul_f32_e64 v3, 0x2f800000, |v1|
	v_ashrrev_i32_e32 v10, 31, v1
	v_floor_f32_e32 v3, v3
	s_delay_alu instid0(VALU_DEP_1) | instskip(SKIP_1) | instid1(VALU_DEP_4)
	v_fma_f32 v5, 0xcf800000, v3, |v1|
	v_cvt_u32_f32_e32 v1, v3
	v_mov_b32_e32 v11, v10
	s_delay_alu instid0(VALU_DEP_3) | instskip(NEXT) | instid1(VALU_DEP_3)
	v_cvt_u32_f32_e32 v3, v5
	v_xor_b32_e32 v15, v1, v10
	s_delay_alu instid0(VALU_DEP_2) | instskip(NEXT) | instid1(VALU_DEP_1)
	v_xor_b32_e32 v14, v3, v10
	v_sub_nc_u64_e32 v[10:11], v[14:15], v[10:11]
.LBB126_4427:
	s_mov_b32 s1, 0
.LBB126_4428:
	s_delay_alu instid0(SALU_CYCLE_1)
	s_and_not1_b32 vcc_lo, exec_lo, s1
	s_cbranch_vccnz .LBB126_4430
; %bb.4429:
	global_load_b32 v1, v[12:13], off
	s_wait_loadcnt 0x0
	v_cvt_f32_f16_e32 v1, v1
	s_delay_alu instid0(VALU_DEP_1) | instskip(NEXT) | instid1(VALU_DEP_1)
	v_cvt_i32_f32_e32 v10, v1
	v_ashrrev_i32_e32 v11, 31, v10
.LBB126_4430:
	s_mov_b32 s1, 0
.LBB126_4431:
	s_delay_alu instid0(SALU_CYCLE_1)
	s_and_not1_b32 vcc_lo, exec_lo, s1
	s_cbranch_vccnz .LBB126_4442
; %bb.4432:
	s_cmp_lt_i32 s0, 6
	s_cbranch_scc1 .LBB126_4435
; %bb.4433:
	s_cmp_gt_i32 s0, 6
	s_cbranch_scc0 .LBB126_4436
; %bb.4434:
	s_wait_loadcnt 0x0
	global_load_b64 v[10:11], v[12:13], off
	s_mov_b32 s1, 0
	s_wait_loadcnt 0x0
	v_trunc_f64_e32 v[10:11], v[10:11]
	s_delay_alu instid0(VALU_DEP_1) | instskip(NEXT) | instid1(VALU_DEP_1)
	v_ldexp_f64 v[14:15], v[10:11], 0xffffffe0
	v_floor_f64_e32 v[14:15], v[14:15]
	s_delay_alu instid0(VALU_DEP_1) | instskip(SKIP_1) | instid1(VALU_DEP_2)
	v_fmamk_f64 v[16:17], v[14:15], 0xc1f00000, v[10:11]
	v_cvt_i32_f64_e32 v11, v[14:15]
	v_cvt_u32_f64_e32 v10, v[16:17]
	s_branch .LBB126_4437
.LBB126_4435:
	s_mov_b32 s1, -1
                                        ; implicit-def: $vgpr10_vgpr11
	s_branch .LBB126_4440
.LBB126_4436:
	s_mov_b32 s1, -1
                                        ; implicit-def: $vgpr10_vgpr11
.LBB126_4437:
	s_delay_alu instid0(SALU_CYCLE_1)
	s_and_not1_b32 vcc_lo, exec_lo, s1
	s_cbranch_vccnz .LBB126_4439
; %bb.4438:
	global_load_b32 v1, v[12:13], off
	s_wait_loadcnt 0x0
	v_trunc_f32_e32 v1, v1
	s_delay_alu instid0(VALU_DEP_1) | instskip(SKIP_1) | instid1(VALU_DEP_2)
	v_mul_f32_e64 v3, 0x2f800000, |v1|
	v_ashrrev_i32_e32 v10, 31, v1
	v_floor_f32_e32 v3, v3
	s_delay_alu instid0(VALU_DEP_1) | instskip(SKIP_1) | instid1(VALU_DEP_4)
	v_fma_f32 v5, 0xcf800000, v3, |v1|
	v_cvt_u32_f32_e32 v1, v3
	v_mov_b32_e32 v11, v10
	s_delay_alu instid0(VALU_DEP_3) | instskip(NEXT) | instid1(VALU_DEP_3)
	v_cvt_u32_f32_e32 v3, v5
	v_xor_b32_e32 v15, v1, v10
	s_delay_alu instid0(VALU_DEP_2) | instskip(NEXT) | instid1(VALU_DEP_1)
	v_xor_b32_e32 v14, v3, v10
	v_sub_nc_u64_e32 v[10:11], v[14:15], v[10:11]
.LBB126_4439:
	s_mov_b32 s1, 0
.LBB126_4440:
	s_delay_alu instid0(SALU_CYCLE_1)
	s_and_not1_b32 vcc_lo, exec_lo, s1
	s_cbranch_vccnz .LBB126_4442
; %bb.4441:
	global_load_u16 v1, v[12:13], off
	s_wait_loadcnt 0x0
	v_cvt_f32_f16_e32 v1, v1
	s_delay_alu instid0(VALU_DEP_1) | instskip(NEXT) | instid1(VALU_DEP_1)
	v_cvt_i32_f32_e32 v10, v1
	v_ashrrev_i32_e32 v11, 31, v10
.LBB126_4442:
	s_mov_b32 s1, 0
.LBB126_4443:
	s_delay_alu instid0(SALU_CYCLE_1)
	s_and_not1_b32 vcc_lo, exec_lo, s1
	s_cbranch_vccnz .LBB126_4463
; %bb.4444:
	s_cmp_lt_i32 s0, 2
	s_cbranch_scc1 .LBB126_4448
; %bb.4445:
	s_cmp_lt_i32 s0, 3
	s_cbranch_scc1 .LBB126_4449
; %bb.4446:
	s_cmp_gt_i32 s0, 3
	s_cbranch_scc0 .LBB126_4450
; %bb.4447:
	s_wait_loadcnt 0x0
	global_load_b64 v[10:11], v[12:13], off
	s_mov_b32 s1, 0
	s_branch .LBB126_4451
.LBB126_4448:
	s_mov_b32 s1, -1
                                        ; implicit-def: $vgpr10_vgpr11
	s_branch .LBB126_4457
.LBB126_4449:
	s_mov_b32 s1, -1
                                        ; implicit-def: $vgpr10_vgpr11
	s_branch .LBB126_4454
.LBB126_4450:
	s_mov_b32 s1, -1
                                        ; implicit-def: $vgpr10_vgpr11
.LBB126_4451:
	s_delay_alu instid0(SALU_CYCLE_1)
	s_and_not1_b32 vcc_lo, exec_lo, s1
	s_cbranch_vccnz .LBB126_4453
; %bb.4452:
	s_wait_loadcnt 0x0
	global_load_b32 v10, v[12:13], off
	s_wait_loadcnt 0x0
	v_ashrrev_i32_e32 v11, 31, v10
.LBB126_4453:
	s_mov_b32 s1, 0
.LBB126_4454:
	s_delay_alu instid0(SALU_CYCLE_1)
	s_and_not1_b32 vcc_lo, exec_lo, s1
	s_cbranch_vccnz .LBB126_4456
; %bb.4455:
	global_load_u16 v1, v[12:13], off
	s_wait_loadcnt 0x0
	v_bfe_i32 v10, v1, 0, 16
	s_delay_alu instid0(VALU_DEP_1)
	v_ashrrev_i32_e32 v11, 31, v10
.LBB126_4456:
	s_mov_b32 s1, 0
.LBB126_4457:
	s_delay_alu instid0(SALU_CYCLE_1)
	s_and_not1_b32 vcc_lo, exec_lo, s1
	s_cbranch_vccnz .LBB126_4463
; %bb.4458:
	s_cmp_gt_i32 s0, 0
	s_mov_b32 s0, 0
	s_cbranch_scc0 .LBB126_4460
; %bb.4459:
	global_load_i8 v1, v[12:13], off
	s_wait_loadcnt 0x0
	v_bfe_i32 v10, v1, 0, 16
	s_delay_alu instid0(VALU_DEP_1)
	v_ashrrev_i32_e32 v11, 31, v10
	s_branch .LBB126_4461
.LBB126_4460:
	s_mov_b32 s0, -1
                                        ; implicit-def: $vgpr10_vgpr11
.LBB126_4461:
	s_delay_alu instid0(SALU_CYCLE_1)
	s_and_not1_b32 vcc_lo, exec_lo, s0
	s_cbranch_vccnz .LBB126_4463
; %bb.4462:
	global_load_u8 v1, v[12:13], off
	s_mov_b32 s0, 0
	s_wait_loadcnt 0x1
	v_mov_b32_e32 v11, s0
	s_wait_loadcnt 0x0
	v_and_b32_e32 v10, 0xffff, v1
.LBB126_4463:
	s_mov_b32 s3, -1
.LBB126_4464:
	s_delay_alu instid0(SALU_CYCLE_1)
	s_and_not1_b32 vcc_lo, exec_lo, s3
	s_cbranch_vccnz .LBB126_4984
; %bb.4465:
	v_add_nc_u32_e32 v2, s70, v2
	s_cmp_lt_i32 s58, 11
	s_delay_alu instid0(VALU_DEP_1) | instskip(NEXT) | instid1(VALU_DEP_1)
	v_ashrrev_i32_e32 v3, 31, v2
	v_add_nc_u64_e32 v[14:15], s[8:9], v[2:3]
	s_cbranch_scc1 .LBB126_4472
; %bb.4466:
	s_and_b32 s0, 0xffff, s58
	s_mov_b32 s2, 0
	s_cmp_gt_i32 s0, 25
	s_cbranch_scc0 .LBB126_4473
; %bb.4467:
	s_cmp_gt_i32 s0, 28
	s_cbranch_scc0 .LBB126_4474
; %bb.4468:
	;; [unrolled: 3-line block ×4, first 2 shown]
	s_cmp_eq_u32 s0, 46
	s_mov_b32 s18, 0
	s_cbranch_scc0 .LBB126_4479
; %bb.4471:
	global_load_b32 v1, v[14:15], off
	s_mov_b32 s1, 0
	s_mov_b32 s3, -1
	s_wait_loadcnt 0x0
	v_lshlrev_b32_e32 v1, 16, v1
	s_delay_alu instid0(VALU_DEP_1) | instskip(NEXT) | instid1(VALU_DEP_1)
	v_trunc_f32_e32 v1, v1
	v_mul_f32_e64 v3, 0x2f800000, |v1|
	s_wait_xcnt 0x1
	v_ashrrev_i32_e32 v12, 31, v1
	s_delay_alu instid0(VALU_DEP_2) | instskip(NEXT) | instid1(VALU_DEP_2)
	v_floor_f32_e32 v3, v3
	v_mov_b32_e32 v13, v12
	s_delay_alu instid0(VALU_DEP_2) | instskip(SKIP_1) | instid1(VALU_DEP_2)
	v_fma_f32 v5, 0xcf800000, v3, |v1|
	v_cvt_u32_f32_e32 v1, v3
	v_cvt_u32_f32_e32 v3, v5
	s_delay_alu instid0(VALU_DEP_2) | instskip(NEXT) | instid1(VALU_DEP_2)
	v_xor_b32_e32 v17, v1, v12
	v_xor_b32_e32 v16, v3, v12
	s_delay_alu instid0(VALU_DEP_1)
	v_sub_nc_u64_e32 v[12:13], v[16:17], v[12:13]
	s_branch .LBB126_4481
.LBB126_4472:
	s_mov_b32 s0, -1
	s_mov_b32 s3, 0
                                        ; implicit-def: $vgpr12_vgpr13
	s_branch .LBB126_4543
.LBB126_4473:
	s_mov_b32 s18, -1
	s_mov_b32 s3, 0
	s_mov_b32 s1, 0
                                        ; implicit-def: $vgpr12_vgpr13
	s_branch .LBB126_4508
.LBB126_4474:
	s_mov_b32 s18, -1
	s_mov_b32 s3, 0
	s_mov_b32 s1, 0
                                        ; implicit-def: $vgpr12_vgpr13
	s_branch .LBB126_4491
.LBB126_4475:
	s_mov_b32 s18, -1
	s_mov_b32 s3, 0
	s_mov_b32 s1, 0
                                        ; implicit-def: $vgpr12_vgpr13
	s_branch .LBB126_4486
.LBB126_4476:
	s_or_b32 s68, s66, exec_lo
	s_trap 2
	s_cbranch_execz .LBB126_4413
	s_branch .LBB126_4414
.LBB126_4477:
	s_mov_b32 s18, -1
	s_mov_b32 s3, 0
	s_mov_b32 s1, 0
	s_branch .LBB126_4480
.LBB126_4478:
	s_or_b32 s17, s17, exec_lo
	s_trap 2
                                        ; implicit-def: $vgpr0
                                        ; implicit-def: $vgpr2
                                        ; implicit-def: $vgpr12_vgpr13
                                        ; implicit-def: $vgpr4
                                        ; implicit-def: $vgpr14_vgpr15
                                        ; implicit-def: $vgpr6
                                        ; implicit-def: $vgpr16_vgpr17
                                        ; implicit-def: $vgpr8
                                        ; implicit-def: $vgpr20_vgpr21
                                        ; implicit-def: $vgpr23
                                        ; implicit-def: $vgpr22
	s_branch .LBB126_4311
.LBB126_4479:
	s_mov_b32 s1, -1
	s_mov_b32 s3, 0
.LBB126_4480:
                                        ; implicit-def: $vgpr12_vgpr13
.LBB126_4481:
	s_and_b32 vcc_lo, exec_lo, s18
	s_cbranch_vccz .LBB126_4485
; %bb.4482:
	s_cmp_eq_u32 s0, 44
	s_cbranch_scc0 .LBB126_4484
; %bb.4483:
	global_load_u8 v1, v[14:15], off
	s_mov_b32 s1, 0
	s_mov_b32 s3, -1
	s_wait_loadcnt 0x0
	v_lshlrev_b32_e32 v3, 23, v1
	v_cmp_ne_u32_e32 vcc_lo, 0, v1
	s_delay_alu instid0(VALU_DEP_2) | instskip(NEXT) | instid1(VALU_DEP_1)
	v_trunc_f32_e32 v3, v3
	v_mul_f32_e64 v5, 0x2f800000, |v3|
	s_wait_xcnt 0x1
	v_ashrrev_i32_e32 v12, 31, v3
	s_delay_alu instid0(VALU_DEP_2) | instskip(NEXT) | instid1(VALU_DEP_2)
	v_floor_f32_e32 v5, v5
	v_mov_b32_e32 v13, v12
	s_delay_alu instid0(VALU_DEP_2) | instskip(SKIP_1) | instid1(VALU_DEP_2)
	v_fma_f32 v7, 0xcf800000, v5, |v3|
	v_cvt_u32_f32_e32 v3, v5
	v_cvt_u32_f32_e32 v5, v7
	s_delay_alu instid0(VALU_DEP_2) | instskip(NEXT) | instid1(VALU_DEP_2)
	v_xor_b32_e32 v17, v3, v12
	v_xor_b32_e32 v16, v5, v12
	s_delay_alu instid0(VALU_DEP_1) | instskip(NEXT) | instid1(VALU_DEP_1)
	v_sub_nc_u64_e32 v[12:13], v[16:17], v[12:13]
	v_dual_cndmask_b32 v13, 0, v13 :: v_dual_cndmask_b32 v12, 0, v12
	s_branch .LBB126_4485
.LBB126_4484:
	s_mov_b32 s1, -1
                                        ; implicit-def: $vgpr12_vgpr13
.LBB126_4485:
	s_mov_b32 s18, 0
.LBB126_4486:
	s_delay_alu instid0(SALU_CYCLE_1)
	s_and_b32 vcc_lo, exec_lo, s18
	s_cbranch_vccz .LBB126_4490
; %bb.4487:
	s_cmp_eq_u32 s0, 29
	s_cbranch_scc0 .LBB126_4489
; %bb.4488:
	global_load_b64 v[12:13], v[14:15], off
	s_mov_b32 s1, 0
	s_mov_b32 s3, -1
	s_branch .LBB126_4490
.LBB126_4489:
	s_mov_b32 s1, -1
                                        ; implicit-def: $vgpr12_vgpr13
.LBB126_4490:
	s_mov_b32 s18, 0
.LBB126_4491:
	s_delay_alu instid0(SALU_CYCLE_1)
	s_and_b32 vcc_lo, exec_lo, s18
	s_cbranch_vccz .LBB126_4507
; %bb.4492:
	s_cmp_lt_i32 s0, 27
	s_cbranch_scc1 .LBB126_4495
; %bb.4493:
	s_cmp_gt_i32 s0, 27
	s_cbranch_scc0 .LBB126_4496
; %bb.4494:
	s_wait_loadcnt 0x0
	global_load_b32 v12, v[14:15], off
	v_mov_b32_e32 v13, 0
	s_mov_b32 s3, 0
	s_branch .LBB126_4497
.LBB126_4495:
	s_mov_b32 s3, -1
                                        ; implicit-def: $vgpr12_vgpr13
	s_branch .LBB126_4500
.LBB126_4496:
	s_mov_b32 s3, -1
                                        ; implicit-def: $vgpr12_vgpr13
.LBB126_4497:
	s_delay_alu instid0(SALU_CYCLE_1)
	s_and_not1_b32 vcc_lo, exec_lo, s3
	s_cbranch_vccnz .LBB126_4499
; %bb.4498:
	global_load_u16 v1, v[14:15], off
	s_mov_b32 s3, 0
	s_wait_loadcnt 0x1
	s_wait_xcnt 0x1
	v_mov_b32_e32 v13, s3
	s_wait_loadcnt 0x0
	v_and_b32_e32 v12, 0xffff, v1
.LBB126_4499:
	s_mov_b32 s3, 0
.LBB126_4500:
	s_delay_alu instid0(SALU_CYCLE_1)
	s_and_not1_b32 vcc_lo, exec_lo, s3
	s_cbranch_vccnz .LBB126_4506
; %bb.4501:
	global_load_u8 v1, v[14:15], off
	s_mov_b32 s18, 0
	s_mov_b32 s3, exec_lo
	s_wait_loadcnt 0x0
	v_cmpx_lt_i16_e32 0x7f, v1
	s_xor_b32 s3, exec_lo, s3
	s_cbranch_execz .LBB126_4518
; %bb.4502:
	v_cmp_ne_u16_e32 vcc_lo, 0x80, v1
	s_and_b32 s18, vcc_lo, exec_lo
	s_and_not1_saveexec_b32 s3, s3
	s_cbranch_execnz .LBB126_4519
.LBB126_4503:
	s_or_b32 exec_lo, exec_lo, s3
	v_mov_b64_e32 v[12:13], 0
	s_and_saveexec_b32 s3, s18
	s_cbranch_execz .LBB126_4505
.LBB126_4504:
	v_and_b32_e32 v3, 0xffff, v1
	s_delay_alu instid0(VALU_DEP_1) | instskip(SKIP_1) | instid1(VALU_DEP_2)
	v_dual_lshlrev_b32 v1, 24, v1 :: v_dual_bitop2_b32 v5, 7, v3 bitop3:0x40
	v_bfe_u32 v12, v3, 3, 4
	v_and_b32_e32 v1, 0x80000000, v1
	s_delay_alu instid0(VALU_DEP_3) | instskip(NEXT) | instid1(VALU_DEP_3)
	v_clz_i32_u32_e32 v7, v5
	v_cmp_eq_u32_e32 vcc_lo, 0, v12
	s_delay_alu instid0(VALU_DEP_2) | instskip(NEXT) | instid1(VALU_DEP_1)
	v_min_u32_e32 v7, 32, v7
	v_subrev_nc_u32_e32 v9, 28, v7
	v_sub_nc_u32_e32 v7, 29, v7
	s_delay_alu instid0(VALU_DEP_2) | instskip(NEXT) | instid1(VALU_DEP_2)
	v_lshlrev_b32_e32 v3, v9, v3
	v_cndmask_b32_e32 v7, v12, v7, vcc_lo
	s_delay_alu instid0(VALU_DEP_2) | instskip(NEXT) | instid1(VALU_DEP_1)
	v_and_b32_e32 v3, 7, v3
	v_cndmask_b32_e32 v3, v5, v3, vcc_lo
	s_delay_alu instid0(VALU_DEP_3) | instskip(NEXT) | instid1(VALU_DEP_2)
	v_lshl_add_u32 v5, v7, 23, 0x3b800000
	v_lshlrev_b32_e32 v3, 20, v3
	s_delay_alu instid0(VALU_DEP_1) | instskip(NEXT) | instid1(VALU_DEP_1)
	v_or3_b32 v1, v1, v5, v3
	v_trunc_f32_e32 v1, v1
	s_delay_alu instid0(VALU_DEP_1) | instskip(SKIP_1) | instid1(VALU_DEP_2)
	v_mul_f32_e64 v3, 0x2f800000, |v1|
	v_ashrrev_i32_e32 v12, 31, v1
	v_floor_f32_e32 v3, v3
	s_delay_alu instid0(VALU_DEP_2) | instskip(NEXT) | instid1(VALU_DEP_2)
	v_mov_b32_e32 v13, v12
	v_fma_f32 v5, 0xcf800000, v3, |v1|
	v_cvt_u32_f32_e32 v1, v3
	s_delay_alu instid0(VALU_DEP_2) | instskip(NEXT) | instid1(VALU_DEP_2)
	v_cvt_u32_f32_e32 v3, v5
	v_xor_b32_e32 v17, v1, v12
	s_delay_alu instid0(VALU_DEP_2) | instskip(NEXT) | instid1(VALU_DEP_1)
	v_xor_b32_e32 v16, v3, v12
	v_sub_nc_u64_e32 v[12:13], v[16:17], v[12:13]
.LBB126_4505:
	s_or_b32 exec_lo, exec_lo, s3
.LBB126_4506:
	s_mov_b32 s3, -1
.LBB126_4507:
	s_mov_b32 s18, 0
.LBB126_4508:
	s_delay_alu instid0(SALU_CYCLE_1)
	s_and_b32 vcc_lo, exec_lo, s18
	s_cbranch_vccz .LBB126_4539
; %bb.4509:
	s_cmp_gt_i32 s0, 22
	s_cbranch_scc0 .LBB126_4517
; %bb.4510:
	s_cmp_lt_i32 s0, 24
	s_cbranch_scc1 .LBB126_4520
; %bb.4511:
	s_cmp_gt_i32 s0, 24
	s_cbranch_scc0 .LBB126_4521
; %bb.4512:
	global_load_u8 v1, v[14:15], off
	s_mov_b32 s3, 0
	s_mov_b32 s2, exec_lo
	s_wait_loadcnt 0x0
	v_cmpx_lt_i16_e32 0x7f, v1
	s_xor_b32 s2, exec_lo, s2
	s_cbranch_execz .LBB126_4533
; %bb.4513:
	v_cmp_ne_u16_e32 vcc_lo, 0x80, v1
	s_and_b32 s3, vcc_lo, exec_lo
	s_and_not1_saveexec_b32 s2, s2
	s_cbranch_execnz .LBB126_4534
.LBB126_4514:
	s_or_b32 exec_lo, exec_lo, s2
	v_mov_b64_e32 v[12:13], 0
	s_and_saveexec_b32 s2, s3
	s_cbranch_execz .LBB126_4516
.LBB126_4515:
	v_and_b32_e32 v3, 0xffff, v1
	s_delay_alu instid0(VALU_DEP_1) | instskip(SKIP_1) | instid1(VALU_DEP_2)
	v_dual_lshlrev_b32 v1, 24, v1 :: v_dual_bitop2_b32 v5, 3, v3 bitop3:0x40
	v_bfe_u32 v12, v3, 2, 5
	v_and_b32_e32 v1, 0x80000000, v1
	s_delay_alu instid0(VALU_DEP_3) | instskip(NEXT) | instid1(VALU_DEP_3)
	v_clz_i32_u32_e32 v7, v5
	v_cmp_eq_u32_e32 vcc_lo, 0, v12
	s_delay_alu instid0(VALU_DEP_2) | instskip(NEXT) | instid1(VALU_DEP_1)
	v_min_u32_e32 v7, 32, v7
	v_subrev_nc_u32_e32 v9, 29, v7
	v_sub_nc_u32_e32 v7, 30, v7
	s_delay_alu instid0(VALU_DEP_2) | instskip(NEXT) | instid1(VALU_DEP_2)
	v_lshlrev_b32_e32 v3, v9, v3
	v_cndmask_b32_e32 v7, v12, v7, vcc_lo
	s_delay_alu instid0(VALU_DEP_2) | instskip(NEXT) | instid1(VALU_DEP_1)
	v_and_b32_e32 v3, 3, v3
	v_cndmask_b32_e32 v3, v5, v3, vcc_lo
	s_delay_alu instid0(VALU_DEP_3) | instskip(NEXT) | instid1(VALU_DEP_2)
	v_lshl_add_u32 v5, v7, 23, 0x37800000
	v_lshlrev_b32_e32 v3, 21, v3
	s_delay_alu instid0(VALU_DEP_1) | instskip(NEXT) | instid1(VALU_DEP_1)
	v_or3_b32 v1, v1, v5, v3
	v_trunc_f32_e32 v1, v1
	s_delay_alu instid0(VALU_DEP_1) | instskip(SKIP_1) | instid1(VALU_DEP_2)
	v_mul_f32_e64 v3, 0x2f800000, |v1|
	v_ashrrev_i32_e32 v12, 31, v1
	v_floor_f32_e32 v3, v3
	s_delay_alu instid0(VALU_DEP_2) | instskip(NEXT) | instid1(VALU_DEP_2)
	v_mov_b32_e32 v13, v12
	v_fma_f32 v5, 0xcf800000, v3, |v1|
	v_cvt_u32_f32_e32 v1, v3
	s_delay_alu instid0(VALU_DEP_2) | instskip(NEXT) | instid1(VALU_DEP_2)
	v_cvt_u32_f32_e32 v3, v5
	v_xor_b32_e32 v17, v1, v12
	s_delay_alu instid0(VALU_DEP_2) | instskip(NEXT) | instid1(VALU_DEP_1)
	v_xor_b32_e32 v16, v3, v12
	v_sub_nc_u64_e32 v[12:13], v[16:17], v[12:13]
.LBB126_4516:
	s_or_b32 exec_lo, exec_lo, s2
	s_mov_b32 s2, 0
	s_branch .LBB126_4522
.LBB126_4517:
	s_mov_b32 s2, -1
                                        ; implicit-def: $vgpr12_vgpr13
	s_branch .LBB126_4528
.LBB126_4518:
	s_and_not1_saveexec_b32 s3, s3
	s_cbranch_execz .LBB126_4503
.LBB126_4519:
	v_cmp_ne_u16_e32 vcc_lo, 0, v1
	s_and_not1_b32 s18, s18, exec_lo
	s_and_b32 s19, vcc_lo, exec_lo
	s_delay_alu instid0(SALU_CYCLE_1)
	s_or_b32 s18, s18, s19
	s_or_b32 exec_lo, exec_lo, s3
	v_mov_b64_e32 v[12:13], 0
	s_and_saveexec_b32 s3, s18
	s_cbranch_execnz .LBB126_4504
	s_branch .LBB126_4505
.LBB126_4520:
	s_mov_b32 s2, -1
                                        ; implicit-def: $vgpr12_vgpr13
	s_branch .LBB126_4525
.LBB126_4521:
	s_mov_b32 s2, -1
                                        ; implicit-def: $vgpr12_vgpr13
.LBB126_4522:
	s_delay_alu instid0(SALU_CYCLE_1)
	s_and_b32 vcc_lo, exec_lo, s2
	s_cbranch_vccz .LBB126_4524
; %bb.4523:
	global_load_u8 v1, v[14:15], off
	s_wait_loadcnt 0x0
	v_lshlrev_b32_e32 v1, 24, v1
	s_delay_alu instid0(VALU_DEP_1) | instskip(NEXT) | instid1(VALU_DEP_1)
	v_and_b32_e32 v3, 0x7f000000, v1
	v_clz_i32_u32_e32 v5, v3
	v_add_nc_u32_e32 v9, 0x1000000, v3
	v_cmp_ne_u32_e32 vcc_lo, 0, v3
	s_delay_alu instid0(VALU_DEP_3) | instskip(NEXT) | instid1(VALU_DEP_1)
	v_min_u32_e32 v5, 32, v5
	v_sub_nc_u32_e64 v5, v5, 4 clamp
	s_delay_alu instid0(VALU_DEP_1) | instskip(NEXT) | instid1(VALU_DEP_1)
	v_dual_lshlrev_b32 v7, v5, v3 :: v_dual_lshlrev_b32 v5, 23, v5
	v_lshrrev_b32_e32 v7, 4, v7
	s_delay_alu instid0(VALU_DEP_1) | instskip(SKIP_1) | instid1(VALU_DEP_2)
	v_sub_nc_u32_e32 v5, v7, v5
	v_ashrrev_i32_e32 v7, 8, v9
	v_add_nc_u32_e32 v5, 0x3c000000, v5
	s_delay_alu instid0(VALU_DEP_1) | instskip(NEXT) | instid1(VALU_DEP_1)
	v_and_or_b32 v5, 0x7f800000, v7, v5
	v_cndmask_b32_e32 v3, 0, v5, vcc_lo
	s_delay_alu instid0(VALU_DEP_1) | instskip(NEXT) | instid1(VALU_DEP_1)
	v_and_or_b32 v1, 0x80000000, v1, v3
	v_trunc_f32_e32 v1, v1
	s_delay_alu instid0(VALU_DEP_1) | instskip(SKIP_2) | instid1(VALU_DEP_2)
	v_mul_f32_e64 v3, 0x2f800000, |v1|
	s_wait_xcnt 0x1
	v_ashrrev_i32_e32 v12, 31, v1
	v_floor_f32_e32 v3, v3
	s_delay_alu instid0(VALU_DEP_2) | instskip(NEXT) | instid1(VALU_DEP_2)
	v_mov_b32_e32 v13, v12
	v_fma_f32 v5, 0xcf800000, v3, |v1|
	v_cvt_u32_f32_e32 v1, v3
	s_delay_alu instid0(VALU_DEP_2) | instskip(NEXT) | instid1(VALU_DEP_2)
	v_cvt_u32_f32_e32 v3, v5
	v_xor_b32_e32 v17, v1, v12
	s_delay_alu instid0(VALU_DEP_2) | instskip(NEXT) | instid1(VALU_DEP_1)
	v_xor_b32_e32 v16, v3, v12
	v_sub_nc_u64_e32 v[12:13], v[16:17], v[12:13]
.LBB126_4524:
	s_mov_b32 s2, 0
.LBB126_4525:
	s_delay_alu instid0(SALU_CYCLE_1)
	s_and_not1_b32 vcc_lo, exec_lo, s2
	s_cbranch_vccnz .LBB126_4527
; %bb.4526:
	global_load_u8 v1, v[14:15], off
	s_wait_loadcnt 0x0
	v_lshlrev_b32_e32 v3, 25, v1
	v_lshlrev_b16 v1, 8, v1
	s_delay_alu instid0(VALU_DEP_1) | instskip(SKIP_1) | instid1(VALU_DEP_2)
	v_and_or_b32 v7, 0x7f00, v1, 0.5
	v_bfe_i32 v1, v1, 0, 16
	v_add_f32_e32 v7, -0.5, v7
	v_lshrrev_b32_e32 v5, 4, v3
	v_cmp_gt_u32_e32 vcc_lo, 0x8000000, v3
	s_delay_alu instid0(VALU_DEP_2) | instskip(NEXT) | instid1(VALU_DEP_1)
	v_or_b32_e32 v5, 0x70000000, v5
	v_mul_f32_e32 v5, 0x7800000, v5
	s_delay_alu instid0(VALU_DEP_1) | instskip(NEXT) | instid1(VALU_DEP_1)
	v_cndmask_b32_e32 v3, v5, v7, vcc_lo
	v_and_or_b32 v1, 0x80000000, v1, v3
	s_delay_alu instid0(VALU_DEP_1) | instskip(NEXT) | instid1(VALU_DEP_1)
	v_trunc_f32_e32 v1, v1
	v_mul_f32_e64 v3, 0x2f800000, |v1|
	s_wait_xcnt 0x1
	v_ashrrev_i32_e32 v12, 31, v1
	s_delay_alu instid0(VALU_DEP_2) | instskip(NEXT) | instid1(VALU_DEP_2)
	v_floor_f32_e32 v3, v3
	v_mov_b32_e32 v13, v12
	s_delay_alu instid0(VALU_DEP_2) | instskip(SKIP_1) | instid1(VALU_DEP_2)
	v_fma_f32 v5, 0xcf800000, v3, |v1|
	v_cvt_u32_f32_e32 v1, v3
	v_cvt_u32_f32_e32 v3, v5
	s_delay_alu instid0(VALU_DEP_2) | instskip(NEXT) | instid1(VALU_DEP_2)
	v_xor_b32_e32 v17, v1, v12
	v_xor_b32_e32 v16, v3, v12
	s_delay_alu instid0(VALU_DEP_1)
	v_sub_nc_u64_e32 v[12:13], v[16:17], v[12:13]
.LBB126_4527:
	s_mov_b32 s2, 0
	s_mov_b32 s3, -1
.LBB126_4528:
	s_and_not1_b32 vcc_lo, exec_lo, s2
	s_mov_b32 s2, 0
	s_cbranch_vccnz .LBB126_4539
; %bb.4529:
	s_cmp_gt_i32 s0, 14
	s_cbranch_scc0 .LBB126_4532
; %bb.4530:
	s_cmp_eq_u32 s0, 15
	s_cbranch_scc0 .LBB126_4535
; %bb.4531:
	global_load_u16 v1, v[14:15], off
	s_mov_b32 s1, 0
	s_mov_b32 s3, -1
	s_wait_loadcnt 0x0
	v_lshlrev_b32_e32 v1, 16, v1
	s_delay_alu instid0(VALU_DEP_1) | instskip(NEXT) | instid1(VALU_DEP_1)
	v_trunc_f32_e32 v1, v1
	v_mul_f32_e64 v3, 0x2f800000, |v1|
	s_wait_xcnt 0x1
	v_ashrrev_i32_e32 v12, 31, v1
	s_delay_alu instid0(VALU_DEP_2) | instskip(NEXT) | instid1(VALU_DEP_2)
	v_floor_f32_e32 v3, v3
	v_mov_b32_e32 v13, v12
	s_delay_alu instid0(VALU_DEP_2) | instskip(SKIP_1) | instid1(VALU_DEP_2)
	v_fma_f32 v5, 0xcf800000, v3, |v1|
	v_cvt_u32_f32_e32 v1, v3
	v_cvt_u32_f32_e32 v3, v5
	s_delay_alu instid0(VALU_DEP_2) | instskip(NEXT) | instid1(VALU_DEP_2)
	v_xor_b32_e32 v17, v1, v12
	v_xor_b32_e32 v16, v3, v12
	s_delay_alu instid0(VALU_DEP_1)
	v_sub_nc_u64_e32 v[12:13], v[16:17], v[12:13]
	s_branch .LBB126_4537
.LBB126_4532:
	s_mov_b32 s2, -1
	s_branch .LBB126_4536
.LBB126_4533:
	s_and_not1_saveexec_b32 s2, s2
	s_cbranch_execz .LBB126_4514
.LBB126_4534:
	v_cmp_ne_u16_e32 vcc_lo, 0, v1
	s_and_not1_b32 s3, s3, exec_lo
	s_and_b32 s18, vcc_lo, exec_lo
	s_delay_alu instid0(SALU_CYCLE_1)
	s_or_b32 s3, s3, s18
	s_or_b32 exec_lo, exec_lo, s2
	v_mov_b64_e32 v[12:13], 0
	s_and_saveexec_b32 s2, s3
	s_cbranch_execnz .LBB126_4515
	s_branch .LBB126_4516
.LBB126_4535:
	s_mov_b32 s1, -1
.LBB126_4536:
                                        ; implicit-def: $vgpr12_vgpr13
.LBB126_4537:
	s_and_b32 vcc_lo, exec_lo, s2
	s_mov_b32 s2, 0
	s_cbranch_vccz .LBB126_4539
; %bb.4538:
	s_cmp_lg_u32 s0, 11
	s_mov_b32 s2, -1
	s_cselect_b32 s1, -1, 0
.LBB126_4539:
	s_delay_alu instid0(SALU_CYCLE_1)
	s_and_b32 vcc_lo, exec_lo, s1
	s_cbranch_vccnz .LBB126_4604
; %bb.4540:
	s_and_not1_b32 vcc_lo, exec_lo, s2
	s_cbranch_vccnz .LBB126_4542
.LBB126_4541:
	global_load_u8 v1, v[14:15], off
	s_mov_b32 s0, 0
	s_mov_b32 s3, -1
	s_wait_loadcnt 0x1
	s_wait_xcnt 0x1
	v_mov_b32_e32 v13, s0
	s_wait_loadcnt 0x0
	v_cmp_ne_u16_e32 vcc_lo, 0, v1
	v_cndmask_b32_e64 v12, 0, 1, vcc_lo
.LBB126_4542:
	s_mov_b32 s0, 0
.LBB126_4543:
	s_delay_alu instid0(SALU_CYCLE_1)
	s_and_b32 vcc_lo, exec_lo, s0
	s_cbranch_vccz .LBB126_4592
; %bb.4544:
	s_and_b32 s0, 0xffff, s58
	s_delay_alu instid0(SALU_CYCLE_1)
	s_cmp_lt_i32 s0, 5
	s_cbranch_scc1 .LBB126_4549
; %bb.4545:
	s_cmp_lt_i32 s0, 8
	s_cbranch_scc1 .LBB126_4550
; %bb.4546:
	s_cmp_lt_i32 s0, 9
	s_cbranch_scc1 .LBB126_4551
; %bb.4547:
	s_cmp_gt_i32 s0, 9
	s_cbranch_scc0 .LBB126_4552
; %bb.4548:
	s_wait_loadcnt 0x0
	global_load_b64 v[12:13], v[14:15], off
	s_mov_b32 s1, 0
	s_wait_loadcnt 0x0
	v_trunc_f64_e32 v[12:13], v[12:13]
	s_delay_alu instid0(VALU_DEP_1) | instskip(NEXT) | instid1(VALU_DEP_1)
	v_ldexp_f64 v[16:17], v[12:13], 0xffffffe0
	v_floor_f64_e32 v[16:17], v[16:17]
	s_delay_alu instid0(VALU_DEP_1) | instskip(SKIP_1) | instid1(VALU_DEP_2)
	v_fmamk_f64 v[18:19], v[16:17], 0xc1f00000, v[12:13]
	v_cvt_i32_f64_e32 v13, v[16:17]
	v_cvt_u32_f64_e32 v12, v[18:19]
	s_branch .LBB126_4553
.LBB126_4549:
	s_mov_b32 s1, -1
                                        ; implicit-def: $vgpr12_vgpr13
	s_branch .LBB126_4571
.LBB126_4550:
	s_mov_b32 s1, -1
                                        ; implicit-def: $vgpr12_vgpr13
	s_branch .LBB126_4559
.LBB126_4551:
	s_mov_b32 s1, -1
                                        ; implicit-def: $vgpr12_vgpr13
	s_branch .LBB126_4556
.LBB126_4552:
	s_mov_b32 s1, -1
                                        ; implicit-def: $vgpr12_vgpr13
.LBB126_4553:
	s_delay_alu instid0(SALU_CYCLE_1)
	s_and_not1_b32 vcc_lo, exec_lo, s1
	s_cbranch_vccnz .LBB126_4555
; %bb.4554:
	global_load_b32 v1, v[14:15], off
	s_wait_loadcnt 0x0
	v_trunc_f32_e32 v1, v1
	s_delay_alu instid0(VALU_DEP_1) | instskip(SKIP_2) | instid1(VALU_DEP_2)
	v_mul_f32_e64 v3, 0x2f800000, |v1|
	s_wait_xcnt 0x1
	v_ashrrev_i32_e32 v12, 31, v1
	v_floor_f32_e32 v3, v3
	s_delay_alu instid0(VALU_DEP_1) | instskip(SKIP_1) | instid1(VALU_DEP_4)
	v_fma_f32 v5, 0xcf800000, v3, |v1|
	v_cvt_u32_f32_e32 v1, v3
	v_mov_b32_e32 v13, v12
	s_delay_alu instid0(VALU_DEP_3) | instskip(NEXT) | instid1(VALU_DEP_3)
	v_cvt_u32_f32_e32 v3, v5
	v_xor_b32_e32 v17, v1, v12
	s_delay_alu instid0(VALU_DEP_2) | instskip(NEXT) | instid1(VALU_DEP_1)
	v_xor_b32_e32 v16, v3, v12
	v_sub_nc_u64_e32 v[12:13], v[16:17], v[12:13]
.LBB126_4555:
	s_mov_b32 s1, 0
.LBB126_4556:
	s_delay_alu instid0(SALU_CYCLE_1)
	s_and_not1_b32 vcc_lo, exec_lo, s1
	s_cbranch_vccnz .LBB126_4558
; %bb.4557:
	global_load_b32 v1, v[14:15], off
	s_wait_loadcnt 0x0
	v_cvt_f32_f16_e32 v1, v1
	s_wait_xcnt 0x1
	s_delay_alu instid0(VALU_DEP_1) | instskip(NEXT) | instid1(VALU_DEP_1)
	v_cvt_i32_f32_e32 v12, v1
	v_ashrrev_i32_e32 v13, 31, v12
.LBB126_4558:
	s_mov_b32 s1, 0
.LBB126_4559:
	s_delay_alu instid0(SALU_CYCLE_1)
	s_and_not1_b32 vcc_lo, exec_lo, s1
	s_cbranch_vccnz .LBB126_4570
; %bb.4560:
	s_cmp_lt_i32 s0, 6
	s_cbranch_scc1 .LBB126_4563
; %bb.4561:
	s_cmp_gt_i32 s0, 6
	s_cbranch_scc0 .LBB126_4564
; %bb.4562:
	s_wait_loadcnt 0x0
	global_load_b64 v[12:13], v[14:15], off
	s_mov_b32 s1, 0
	s_wait_loadcnt 0x0
	v_trunc_f64_e32 v[12:13], v[12:13]
	s_delay_alu instid0(VALU_DEP_1) | instskip(NEXT) | instid1(VALU_DEP_1)
	v_ldexp_f64 v[16:17], v[12:13], 0xffffffe0
	v_floor_f64_e32 v[16:17], v[16:17]
	s_delay_alu instid0(VALU_DEP_1) | instskip(SKIP_1) | instid1(VALU_DEP_2)
	v_fmamk_f64 v[18:19], v[16:17], 0xc1f00000, v[12:13]
	v_cvt_i32_f64_e32 v13, v[16:17]
	v_cvt_u32_f64_e32 v12, v[18:19]
	s_branch .LBB126_4565
.LBB126_4563:
	s_mov_b32 s1, -1
                                        ; implicit-def: $vgpr12_vgpr13
	s_branch .LBB126_4568
.LBB126_4564:
	s_mov_b32 s1, -1
                                        ; implicit-def: $vgpr12_vgpr13
.LBB126_4565:
	s_delay_alu instid0(SALU_CYCLE_1)
	s_and_not1_b32 vcc_lo, exec_lo, s1
	s_cbranch_vccnz .LBB126_4567
; %bb.4566:
	global_load_b32 v1, v[14:15], off
	s_wait_loadcnt 0x0
	v_trunc_f32_e32 v1, v1
	s_delay_alu instid0(VALU_DEP_1) | instskip(SKIP_2) | instid1(VALU_DEP_2)
	v_mul_f32_e64 v3, 0x2f800000, |v1|
	s_wait_xcnt 0x1
	v_ashrrev_i32_e32 v12, 31, v1
	v_floor_f32_e32 v3, v3
	s_delay_alu instid0(VALU_DEP_1) | instskip(SKIP_1) | instid1(VALU_DEP_4)
	v_fma_f32 v5, 0xcf800000, v3, |v1|
	v_cvt_u32_f32_e32 v1, v3
	v_mov_b32_e32 v13, v12
	s_delay_alu instid0(VALU_DEP_3) | instskip(NEXT) | instid1(VALU_DEP_3)
	v_cvt_u32_f32_e32 v3, v5
	v_xor_b32_e32 v17, v1, v12
	s_delay_alu instid0(VALU_DEP_2) | instskip(NEXT) | instid1(VALU_DEP_1)
	v_xor_b32_e32 v16, v3, v12
	v_sub_nc_u64_e32 v[12:13], v[16:17], v[12:13]
.LBB126_4567:
	s_mov_b32 s1, 0
.LBB126_4568:
	s_delay_alu instid0(SALU_CYCLE_1)
	s_and_not1_b32 vcc_lo, exec_lo, s1
	s_cbranch_vccnz .LBB126_4570
; %bb.4569:
	global_load_u16 v1, v[14:15], off
	s_wait_loadcnt 0x0
	v_cvt_f32_f16_e32 v1, v1
	s_wait_xcnt 0x1
	s_delay_alu instid0(VALU_DEP_1) | instskip(NEXT) | instid1(VALU_DEP_1)
	v_cvt_i32_f32_e32 v12, v1
	v_ashrrev_i32_e32 v13, 31, v12
.LBB126_4570:
	s_mov_b32 s1, 0
.LBB126_4571:
	s_delay_alu instid0(SALU_CYCLE_1)
	s_and_not1_b32 vcc_lo, exec_lo, s1
	s_cbranch_vccnz .LBB126_4591
; %bb.4572:
	s_cmp_lt_i32 s0, 2
	s_cbranch_scc1 .LBB126_4576
; %bb.4573:
	s_cmp_lt_i32 s0, 3
	s_cbranch_scc1 .LBB126_4577
; %bb.4574:
	s_cmp_gt_i32 s0, 3
	s_cbranch_scc0 .LBB126_4578
; %bb.4575:
	s_wait_loadcnt 0x0
	global_load_b64 v[12:13], v[14:15], off
	s_mov_b32 s1, 0
	s_branch .LBB126_4579
.LBB126_4576:
	s_mov_b32 s1, -1
                                        ; implicit-def: $vgpr12_vgpr13
	s_branch .LBB126_4585
.LBB126_4577:
	s_mov_b32 s1, -1
                                        ; implicit-def: $vgpr12_vgpr13
	s_branch .LBB126_4582
.LBB126_4578:
	s_mov_b32 s1, -1
                                        ; implicit-def: $vgpr12_vgpr13
.LBB126_4579:
	s_delay_alu instid0(SALU_CYCLE_1)
	s_and_not1_b32 vcc_lo, exec_lo, s1
	s_cbranch_vccnz .LBB126_4581
; %bb.4580:
	s_wait_loadcnt 0x0
	global_load_b32 v12, v[14:15], off
	s_wait_loadcnt 0x0
	v_ashrrev_i32_e32 v13, 31, v12
.LBB126_4581:
	s_mov_b32 s1, 0
.LBB126_4582:
	s_delay_alu instid0(SALU_CYCLE_1)
	s_and_not1_b32 vcc_lo, exec_lo, s1
	s_cbranch_vccnz .LBB126_4584
; %bb.4583:
	global_load_u16 v1, v[14:15], off
	s_wait_loadcnt 0x0
	s_wait_xcnt 0x1
	v_bfe_i32 v12, v1, 0, 16
	s_delay_alu instid0(VALU_DEP_1)
	v_ashrrev_i32_e32 v13, 31, v12
.LBB126_4584:
	s_mov_b32 s1, 0
.LBB126_4585:
	s_delay_alu instid0(SALU_CYCLE_1)
	s_and_not1_b32 vcc_lo, exec_lo, s1
	s_cbranch_vccnz .LBB126_4591
; %bb.4586:
	s_cmp_gt_i32 s0, 0
	s_mov_b32 s0, 0
	s_cbranch_scc0 .LBB126_4588
; %bb.4587:
	global_load_i8 v1, v[14:15], off
	s_wait_loadcnt 0x0
	s_wait_xcnt 0x1
	v_bfe_i32 v12, v1, 0, 16
	s_delay_alu instid0(VALU_DEP_1)
	v_ashrrev_i32_e32 v13, 31, v12
	s_branch .LBB126_4589
.LBB126_4588:
	s_mov_b32 s0, -1
                                        ; implicit-def: $vgpr12_vgpr13
.LBB126_4589:
	s_delay_alu instid0(SALU_CYCLE_1)
	s_and_not1_b32 vcc_lo, exec_lo, s0
	s_cbranch_vccnz .LBB126_4591
; %bb.4590:
	global_load_u8 v1, v[14:15], off
	s_mov_b32 s0, 0
	s_wait_loadcnt 0x1
	s_wait_xcnt 0x1
	v_mov_b32_e32 v13, s0
	s_wait_loadcnt 0x0
	v_and_b32_e32 v12, 0xffff, v1
.LBB126_4591:
	s_mov_b32 s3, -1
.LBB126_4592:
	s_delay_alu instid0(SALU_CYCLE_1)
	s_and_not1_b32 vcc_lo, exec_lo, s3
	s_cbranch_vccnz .LBB126_4984
; %bb.4593:
	v_add_nc_u32_e32 v4, s71, v4
	s_cmp_lt_i32 s59, 11
	s_delay_alu instid0(VALU_DEP_1) | instskip(NEXT) | instid1(VALU_DEP_1)
	v_ashrrev_i32_e32 v5, 31, v4
	v_add_nc_u64_e32 v[16:17], s[10:11], v[4:5]
	s_cbranch_scc1 .LBB126_4600
; %bb.4594:
	s_and_b32 s0, 0xffff, s59
	s_mov_b32 s2, 0
	s_cmp_gt_i32 s0, 25
	s_cbranch_scc0 .LBB126_4601
; %bb.4595:
	s_cmp_gt_i32 s0, 28
	s_cbranch_scc0 .LBB126_4602
; %bb.4596:
	;; [unrolled: 3-line block ×4, first 2 shown]
	s_cmp_eq_u32 s0, 46
	s_mov_b32 s18, 0
	s_cbranch_scc0 .LBB126_4607
; %bb.4599:
	global_load_b32 v1, v[16:17], off
	s_mov_b32 s1, 0
	s_mov_b32 s3, -1
	s_wait_loadcnt 0x0
	v_lshlrev_b32_e32 v1, 16, v1
	s_delay_alu instid0(VALU_DEP_1) | instskip(NEXT) | instid1(VALU_DEP_1)
	v_trunc_f32_e32 v1, v1
	v_mul_f32_e64 v3, 0x2f800000, |v1|
	s_wait_xcnt 0x1
	v_ashrrev_i32_e32 v14, 31, v1
	s_delay_alu instid0(VALU_DEP_2) | instskip(NEXT) | instid1(VALU_DEP_2)
	v_floor_f32_e32 v3, v3
	v_mov_b32_e32 v15, v14
	s_delay_alu instid0(VALU_DEP_2) | instskip(SKIP_1) | instid1(VALU_DEP_2)
	v_fma_f32 v5, 0xcf800000, v3, |v1|
	v_cvt_u32_f32_e32 v1, v3
	v_cvt_u32_f32_e32 v3, v5
	s_delay_alu instid0(VALU_DEP_2) | instskip(NEXT) | instid1(VALU_DEP_2)
	v_xor_b32_e32 v19, v1, v14
	v_xor_b32_e32 v18, v3, v14
	s_delay_alu instid0(VALU_DEP_1)
	v_sub_nc_u64_e32 v[14:15], v[18:19], v[14:15]
	s_branch .LBB126_4609
.LBB126_4600:
	s_mov_b32 s0, -1
	s_mov_b32 s3, 0
                                        ; implicit-def: $vgpr14_vgpr15
	s_branch .LBB126_4671
.LBB126_4601:
	s_mov_b32 s18, -1
	s_mov_b32 s3, 0
	s_mov_b32 s1, 0
                                        ; implicit-def: $vgpr14_vgpr15
	s_branch .LBB126_4636
.LBB126_4602:
	s_mov_b32 s18, -1
	s_mov_b32 s3, 0
	s_mov_b32 s1, 0
                                        ; implicit-def: $vgpr14_vgpr15
	s_branch .LBB126_4619
.LBB126_4603:
	s_mov_b32 s18, -1
	s_mov_b32 s3, 0
	s_mov_b32 s1, 0
                                        ; implicit-def: $vgpr14_vgpr15
	s_branch .LBB126_4614
.LBB126_4604:
	s_or_b32 s68, s68, exec_lo
	s_trap 2
	s_cbranch_execz .LBB126_4541
	s_branch .LBB126_4542
.LBB126_4605:
	s_mov_b32 s18, -1
	s_mov_b32 s3, 0
	s_mov_b32 s1, 0
	s_branch .LBB126_4608
.LBB126_4606:
	s_or_b32 s62, s17, exec_lo
	s_trap 2
                                        ; implicit-def: $vgpr0
                                        ; implicit-def: $vgpr2
                                        ; implicit-def: $vgpr4
                                        ; implicit-def: $vgpr14_vgpr15
                                        ; implicit-def: $vgpr6
                                        ; implicit-def: $vgpr16_vgpr17
                                        ; implicit-def: $vgpr8
                                        ; implicit-def: $vgpr20_vgpr21
                                        ; implicit-def: $vgpr23
                                        ; implicit-def: $vgpr22
	s_or_saveexec_b32 s63, s0
                                        ; implicit-def: $sgpr0
                                        ; implicit-def: $vgpr10_vgpr11
	s_delay_alu instid0(SALU_CYCLE_1)
	s_xor_b32 exec_lo, exec_lo, s63
	s_cbranch_execz .LBB126_4988
	s_branch .LBB126_4314
.LBB126_4607:
	s_mov_b32 s1, -1
	s_mov_b32 s3, 0
.LBB126_4608:
                                        ; implicit-def: $vgpr14_vgpr15
.LBB126_4609:
	s_and_b32 vcc_lo, exec_lo, s18
	s_cbranch_vccz .LBB126_4613
; %bb.4610:
	s_cmp_eq_u32 s0, 44
	s_cbranch_scc0 .LBB126_4612
; %bb.4611:
	global_load_u8 v1, v[16:17], off
	s_mov_b32 s1, 0
	s_mov_b32 s3, -1
	s_wait_loadcnt 0x0
	v_lshlrev_b32_e32 v3, 23, v1
	v_cmp_ne_u32_e32 vcc_lo, 0, v1
	s_delay_alu instid0(VALU_DEP_2) | instskip(NEXT) | instid1(VALU_DEP_1)
	v_trunc_f32_e32 v3, v3
	v_mul_f32_e64 v5, 0x2f800000, |v3|
	s_wait_xcnt 0x1
	v_ashrrev_i32_e32 v14, 31, v3
	s_delay_alu instid0(VALU_DEP_2) | instskip(NEXT) | instid1(VALU_DEP_2)
	v_floor_f32_e32 v5, v5
	v_mov_b32_e32 v15, v14
	s_delay_alu instid0(VALU_DEP_2) | instskip(SKIP_1) | instid1(VALU_DEP_2)
	v_fma_f32 v7, 0xcf800000, v5, |v3|
	v_cvt_u32_f32_e32 v3, v5
	v_cvt_u32_f32_e32 v5, v7
	s_delay_alu instid0(VALU_DEP_2) | instskip(NEXT) | instid1(VALU_DEP_2)
	v_xor_b32_e32 v19, v3, v14
	v_xor_b32_e32 v18, v5, v14
	s_delay_alu instid0(VALU_DEP_1) | instskip(NEXT) | instid1(VALU_DEP_1)
	v_sub_nc_u64_e32 v[14:15], v[18:19], v[14:15]
	v_dual_cndmask_b32 v15, 0, v15 :: v_dual_cndmask_b32 v14, 0, v14
	s_branch .LBB126_4613
.LBB126_4612:
	s_mov_b32 s1, -1
                                        ; implicit-def: $vgpr14_vgpr15
.LBB126_4613:
	s_mov_b32 s18, 0
.LBB126_4614:
	s_delay_alu instid0(SALU_CYCLE_1)
	s_and_b32 vcc_lo, exec_lo, s18
	s_cbranch_vccz .LBB126_4618
; %bb.4615:
	s_cmp_eq_u32 s0, 29
	s_cbranch_scc0 .LBB126_4617
; %bb.4616:
	global_load_b64 v[14:15], v[16:17], off
	s_mov_b32 s1, 0
	s_mov_b32 s3, -1
	s_branch .LBB126_4618
.LBB126_4617:
	s_mov_b32 s1, -1
                                        ; implicit-def: $vgpr14_vgpr15
.LBB126_4618:
	s_mov_b32 s18, 0
.LBB126_4619:
	s_delay_alu instid0(SALU_CYCLE_1)
	s_and_b32 vcc_lo, exec_lo, s18
	s_cbranch_vccz .LBB126_4635
; %bb.4620:
	s_cmp_lt_i32 s0, 27
	s_cbranch_scc1 .LBB126_4623
; %bb.4621:
	s_cmp_gt_i32 s0, 27
	s_cbranch_scc0 .LBB126_4624
; %bb.4622:
	s_wait_loadcnt 0x0
	global_load_b32 v14, v[16:17], off
	v_mov_b32_e32 v15, 0
	s_mov_b32 s3, 0
	s_branch .LBB126_4625
.LBB126_4623:
	s_mov_b32 s3, -1
                                        ; implicit-def: $vgpr14_vgpr15
	s_branch .LBB126_4628
.LBB126_4624:
	s_mov_b32 s3, -1
                                        ; implicit-def: $vgpr14_vgpr15
.LBB126_4625:
	s_delay_alu instid0(SALU_CYCLE_1)
	s_and_not1_b32 vcc_lo, exec_lo, s3
	s_cbranch_vccnz .LBB126_4627
; %bb.4626:
	global_load_u16 v1, v[16:17], off
	s_mov_b32 s3, 0
	s_wait_loadcnt 0x1
	s_wait_xcnt 0x1
	v_mov_b32_e32 v15, s3
	s_wait_loadcnt 0x0
	v_and_b32_e32 v14, 0xffff, v1
.LBB126_4627:
	s_mov_b32 s3, 0
.LBB126_4628:
	s_delay_alu instid0(SALU_CYCLE_1)
	s_and_not1_b32 vcc_lo, exec_lo, s3
	s_cbranch_vccnz .LBB126_4634
; %bb.4629:
	global_load_u8 v1, v[16:17], off
	s_mov_b32 s18, 0
	s_mov_b32 s3, exec_lo
	s_wait_loadcnt 0x0
	v_cmpx_lt_i16_e32 0x7f, v1
	s_xor_b32 s3, exec_lo, s3
	s_cbranch_execz .LBB126_4646
; %bb.4630:
	v_cmp_ne_u16_e32 vcc_lo, 0x80, v1
	s_and_b32 s18, vcc_lo, exec_lo
	s_and_not1_saveexec_b32 s3, s3
	s_cbranch_execnz .LBB126_4647
.LBB126_4631:
	s_or_b32 exec_lo, exec_lo, s3
	v_mov_b64_e32 v[14:15], 0
	s_and_saveexec_b32 s3, s18
	s_cbranch_execz .LBB126_4633
.LBB126_4632:
	v_and_b32_e32 v3, 0xffff, v1
	s_delay_alu instid0(VALU_DEP_1) | instskip(SKIP_1) | instid1(VALU_DEP_2)
	v_dual_lshlrev_b32 v1, 24, v1 :: v_dual_bitop2_b32 v5, 7, v3 bitop3:0x40
	v_bfe_u32 v14, v3, 3, 4
	v_and_b32_e32 v1, 0x80000000, v1
	s_delay_alu instid0(VALU_DEP_3) | instskip(NEXT) | instid1(VALU_DEP_3)
	v_clz_i32_u32_e32 v7, v5
	v_cmp_eq_u32_e32 vcc_lo, 0, v14
	s_delay_alu instid0(VALU_DEP_2) | instskip(NEXT) | instid1(VALU_DEP_1)
	v_min_u32_e32 v7, 32, v7
	v_subrev_nc_u32_e32 v9, 28, v7
	v_sub_nc_u32_e32 v7, 29, v7
	s_delay_alu instid0(VALU_DEP_2) | instskip(NEXT) | instid1(VALU_DEP_2)
	v_lshlrev_b32_e32 v3, v9, v3
	v_cndmask_b32_e32 v7, v14, v7, vcc_lo
	s_delay_alu instid0(VALU_DEP_2) | instskip(NEXT) | instid1(VALU_DEP_1)
	v_and_b32_e32 v3, 7, v3
	v_cndmask_b32_e32 v3, v5, v3, vcc_lo
	s_delay_alu instid0(VALU_DEP_3) | instskip(NEXT) | instid1(VALU_DEP_2)
	v_lshl_add_u32 v5, v7, 23, 0x3b800000
	v_lshlrev_b32_e32 v3, 20, v3
	s_delay_alu instid0(VALU_DEP_1) | instskip(NEXT) | instid1(VALU_DEP_1)
	v_or3_b32 v1, v1, v5, v3
	v_trunc_f32_e32 v1, v1
	s_delay_alu instid0(VALU_DEP_1) | instskip(SKIP_1) | instid1(VALU_DEP_2)
	v_mul_f32_e64 v3, 0x2f800000, |v1|
	v_ashrrev_i32_e32 v14, 31, v1
	v_floor_f32_e32 v3, v3
	s_delay_alu instid0(VALU_DEP_2) | instskip(NEXT) | instid1(VALU_DEP_2)
	v_mov_b32_e32 v15, v14
	v_fma_f32 v5, 0xcf800000, v3, |v1|
	v_cvt_u32_f32_e32 v1, v3
	s_delay_alu instid0(VALU_DEP_2) | instskip(NEXT) | instid1(VALU_DEP_2)
	v_cvt_u32_f32_e32 v3, v5
	v_xor_b32_e32 v19, v1, v14
	s_delay_alu instid0(VALU_DEP_2) | instskip(NEXT) | instid1(VALU_DEP_1)
	v_xor_b32_e32 v18, v3, v14
	v_sub_nc_u64_e32 v[14:15], v[18:19], v[14:15]
.LBB126_4633:
	s_or_b32 exec_lo, exec_lo, s3
.LBB126_4634:
	s_mov_b32 s3, -1
.LBB126_4635:
	s_mov_b32 s18, 0
.LBB126_4636:
	s_delay_alu instid0(SALU_CYCLE_1)
	s_and_b32 vcc_lo, exec_lo, s18
	s_cbranch_vccz .LBB126_4667
; %bb.4637:
	s_cmp_gt_i32 s0, 22
	s_cbranch_scc0 .LBB126_4645
; %bb.4638:
	s_cmp_lt_i32 s0, 24
	s_cbranch_scc1 .LBB126_4648
; %bb.4639:
	s_cmp_gt_i32 s0, 24
	s_cbranch_scc0 .LBB126_4649
; %bb.4640:
	global_load_u8 v1, v[16:17], off
	s_mov_b32 s3, 0
	s_mov_b32 s2, exec_lo
	s_wait_loadcnt 0x0
	v_cmpx_lt_i16_e32 0x7f, v1
	s_xor_b32 s2, exec_lo, s2
	s_cbranch_execz .LBB126_4661
; %bb.4641:
	v_cmp_ne_u16_e32 vcc_lo, 0x80, v1
	s_and_b32 s3, vcc_lo, exec_lo
	s_and_not1_saveexec_b32 s2, s2
	s_cbranch_execnz .LBB126_4662
.LBB126_4642:
	s_or_b32 exec_lo, exec_lo, s2
	v_mov_b64_e32 v[14:15], 0
	s_and_saveexec_b32 s2, s3
	s_cbranch_execz .LBB126_4644
.LBB126_4643:
	v_and_b32_e32 v3, 0xffff, v1
	s_delay_alu instid0(VALU_DEP_1) | instskip(SKIP_1) | instid1(VALU_DEP_2)
	v_dual_lshlrev_b32 v1, 24, v1 :: v_dual_bitop2_b32 v5, 3, v3 bitop3:0x40
	v_bfe_u32 v14, v3, 2, 5
	v_and_b32_e32 v1, 0x80000000, v1
	s_delay_alu instid0(VALU_DEP_3) | instskip(NEXT) | instid1(VALU_DEP_3)
	v_clz_i32_u32_e32 v7, v5
	v_cmp_eq_u32_e32 vcc_lo, 0, v14
	s_delay_alu instid0(VALU_DEP_2) | instskip(NEXT) | instid1(VALU_DEP_1)
	v_min_u32_e32 v7, 32, v7
	v_subrev_nc_u32_e32 v9, 29, v7
	v_sub_nc_u32_e32 v7, 30, v7
	s_delay_alu instid0(VALU_DEP_2) | instskip(NEXT) | instid1(VALU_DEP_2)
	v_lshlrev_b32_e32 v3, v9, v3
	v_cndmask_b32_e32 v7, v14, v7, vcc_lo
	s_delay_alu instid0(VALU_DEP_2) | instskip(NEXT) | instid1(VALU_DEP_1)
	v_and_b32_e32 v3, 3, v3
	v_cndmask_b32_e32 v3, v5, v3, vcc_lo
	s_delay_alu instid0(VALU_DEP_3) | instskip(NEXT) | instid1(VALU_DEP_2)
	v_lshl_add_u32 v5, v7, 23, 0x37800000
	v_lshlrev_b32_e32 v3, 21, v3
	s_delay_alu instid0(VALU_DEP_1) | instskip(NEXT) | instid1(VALU_DEP_1)
	v_or3_b32 v1, v1, v5, v3
	v_trunc_f32_e32 v1, v1
	s_delay_alu instid0(VALU_DEP_1) | instskip(SKIP_1) | instid1(VALU_DEP_2)
	v_mul_f32_e64 v3, 0x2f800000, |v1|
	v_ashrrev_i32_e32 v14, 31, v1
	v_floor_f32_e32 v3, v3
	s_delay_alu instid0(VALU_DEP_2) | instskip(NEXT) | instid1(VALU_DEP_2)
	v_mov_b32_e32 v15, v14
	v_fma_f32 v5, 0xcf800000, v3, |v1|
	v_cvt_u32_f32_e32 v1, v3
	s_delay_alu instid0(VALU_DEP_2) | instskip(NEXT) | instid1(VALU_DEP_2)
	v_cvt_u32_f32_e32 v3, v5
	v_xor_b32_e32 v19, v1, v14
	s_delay_alu instid0(VALU_DEP_2) | instskip(NEXT) | instid1(VALU_DEP_1)
	v_xor_b32_e32 v18, v3, v14
	v_sub_nc_u64_e32 v[14:15], v[18:19], v[14:15]
.LBB126_4644:
	s_or_b32 exec_lo, exec_lo, s2
	s_mov_b32 s2, 0
	s_branch .LBB126_4650
.LBB126_4645:
	s_mov_b32 s2, -1
                                        ; implicit-def: $vgpr14_vgpr15
	s_branch .LBB126_4656
.LBB126_4646:
	s_and_not1_saveexec_b32 s3, s3
	s_cbranch_execz .LBB126_4631
.LBB126_4647:
	v_cmp_ne_u16_e32 vcc_lo, 0, v1
	s_and_not1_b32 s18, s18, exec_lo
	s_and_b32 s19, vcc_lo, exec_lo
	s_delay_alu instid0(SALU_CYCLE_1)
	s_or_b32 s18, s18, s19
	s_or_b32 exec_lo, exec_lo, s3
	v_mov_b64_e32 v[14:15], 0
	s_and_saveexec_b32 s3, s18
	s_cbranch_execnz .LBB126_4632
	s_branch .LBB126_4633
.LBB126_4648:
	s_mov_b32 s2, -1
                                        ; implicit-def: $vgpr14_vgpr15
	s_branch .LBB126_4653
.LBB126_4649:
	s_mov_b32 s2, -1
                                        ; implicit-def: $vgpr14_vgpr15
.LBB126_4650:
	s_delay_alu instid0(SALU_CYCLE_1)
	s_and_b32 vcc_lo, exec_lo, s2
	s_cbranch_vccz .LBB126_4652
; %bb.4651:
	global_load_u8 v1, v[16:17], off
	s_wait_loadcnt 0x0
	v_lshlrev_b32_e32 v1, 24, v1
	s_delay_alu instid0(VALU_DEP_1) | instskip(NEXT) | instid1(VALU_DEP_1)
	v_and_b32_e32 v3, 0x7f000000, v1
	v_clz_i32_u32_e32 v5, v3
	v_add_nc_u32_e32 v9, 0x1000000, v3
	v_cmp_ne_u32_e32 vcc_lo, 0, v3
	s_delay_alu instid0(VALU_DEP_3) | instskip(NEXT) | instid1(VALU_DEP_1)
	v_min_u32_e32 v5, 32, v5
	v_sub_nc_u32_e64 v5, v5, 4 clamp
	s_delay_alu instid0(VALU_DEP_1) | instskip(NEXT) | instid1(VALU_DEP_1)
	v_dual_lshlrev_b32 v7, v5, v3 :: v_dual_lshlrev_b32 v5, 23, v5
	v_lshrrev_b32_e32 v7, 4, v7
	s_delay_alu instid0(VALU_DEP_1) | instskip(SKIP_1) | instid1(VALU_DEP_2)
	v_sub_nc_u32_e32 v5, v7, v5
	v_ashrrev_i32_e32 v7, 8, v9
	v_add_nc_u32_e32 v5, 0x3c000000, v5
	s_delay_alu instid0(VALU_DEP_1) | instskip(NEXT) | instid1(VALU_DEP_1)
	v_and_or_b32 v5, 0x7f800000, v7, v5
	v_cndmask_b32_e32 v3, 0, v5, vcc_lo
	s_delay_alu instid0(VALU_DEP_1) | instskip(NEXT) | instid1(VALU_DEP_1)
	v_and_or_b32 v1, 0x80000000, v1, v3
	v_trunc_f32_e32 v1, v1
	s_delay_alu instid0(VALU_DEP_1) | instskip(SKIP_2) | instid1(VALU_DEP_2)
	v_mul_f32_e64 v3, 0x2f800000, |v1|
	s_wait_xcnt 0x1
	v_ashrrev_i32_e32 v14, 31, v1
	v_floor_f32_e32 v3, v3
	s_delay_alu instid0(VALU_DEP_2) | instskip(NEXT) | instid1(VALU_DEP_2)
	v_mov_b32_e32 v15, v14
	v_fma_f32 v5, 0xcf800000, v3, |v1|
	v_cvt_u32_f32_e32 v1, v3
	s_delay_alu instid0(VALU_DEP_2) | instskip(NEXT) | instid1(VALU_DEP_2)
	v_cvt_u32_f32_e32 v3, v5
	v_xor_b32_e32 v19, v1, v14
	s_delay_alu instid0(VALU_DEP_2) | instskip(NEXT) | instid1(VALU_DEP_1)
	v_xor_b32_e32 v18, v3, v14
	v_sub_nc_u64_e32 v[14:15], v[18:19], v[14:15]
.LBB126_4652:
	s_mov_b32 s2, 0
.LBB126_4653:
	s_delay_alu instid0(SALU_CYCLE_1)
	s_and_not1_b32 vcc_lo, exec_lo, s2
	s_cbranch_vccnz .LBB126_4655
; %bb.4654:
	global_load_u8 v1, v[16:17], off
	s_wait_loadcnt 0x0
	v_lshlrev_b32_e32 v3, 25, v1
	v_lshlrev_b16 v1, 8, v1
	s_delay_alu instid0(VALU_DEP_1) | instskip(SKIP_1) | instid1(VALU_DEP_2)
	v_and_or_b32 v7, 0x7f00, v1, 0.5
	v_bfe_i32 v1, v1, 0, 16
	v_add_f32_e32 v7, -0.5, v7
	v_lshrrev_b32_e32 v5, 4, v3
	v_cmp_gt_u32_e32 vcc_lo, 0x8000000, v3
	s_delay_alu instid0(VALU_DEP_2) | instskip(NEXT) | instid1(VALU_DEP_1)
	v_or_b32_e32 v5, 0x70000000, v5
	v_mul_f32_e32 v5, 0x7800000, v5
	s_delay_alu instid0(VALU_DEP_1) | instskip(NEXT) | instid1(VALU_DEP_1)
	v_cndmask_b32_e32 v3, v5, v7, vcc_lo
	v_and_or_b32 v1, 0x80000000, v1, v3
	s_delay_alu instid0(VALU_DEP_1) | instskip(NEXT) | instid1(VALU_DEP_1)
	v_trunc_f32_e32 v1, v1
	v_mul_f32_e64 v3, 0x2f800000, |v1|
	s_wait_xcnt 0x1
	v_ashrrev_i32_e32 v14, 31, v1
	s_delay_alu instid0(VALU_DEP_2) | instskip(NEXT) | instid1(VALU_DEP_2)
	v_floor_f32_e32 v3, v3
	v_mov_b32_e32 v15, v14
	s_delay_alu instid0(VALU_DEP_2) | instskip(SKIP_1) | instid1(VALU_DEP_2)
	v_fma_f32 v5, 0xcf800000, v3, |v1|
	v_cvt_u32_f32_e32 v1, v3
	v_cvt_u32_f32_e32 v3, v5
	s_delay_alu instid0(VALU_DEP_2) | instskip(NEXT) | instid1(VALU_DEP_2)
	v_xor_b32_e32 v19, v1, v14
	v_xor_b32_e32 v18, v3, v14
	s_delay_alu instid0(VALU_DEP_1)
	v_sub_nc_u64_e32 v[14:15], v[18:19], v[14:15]
.LBB126_4655:
	s_mov_b32 s2, 0
	s_mov_b32 s3, -1
.LBB126_4656:
	s_and_not1_b32 vcc_lo, exec_lo, s2
	s_mov_b32 s2, 0
	s_cbranch_vccnz .LBB126_4667
; %bb.4657:
	s_cmp_gt_i32 s0, 14
	s_cbranch_scc0 .LBB126_4660
; %bb.4658:
	s_cmp_eq_u32 s0, 15
	s_cbranch_scc0 .LBB126_4663
; %bb.4659:
	global_load_u16 v1, v[16:17], off
	s_mov_b32 s1, 0
	s_mov_b32 s3, -1
	s_wait_loadcnt 0x0
	v_lshlrev_b32_e32 v1, 16, v1
	s_delay_alu instid0(VALU_DEP_1) | instskip(NEXT) | instid1(VALU_DEP_1)
	v_trunc_f32_e32 v1, v1
	v_mul_f32_e64 v3, 0x2f800000, |v1|
	s_wait_xcnt 0x1
	v_ashrrev_i32_e32 v14, 31, v1
	s_delay_alu instid0(VALU_DEP_2) | instskip(NEXT) | instid1(VALU_DEP_2)
	v_floor_f32_e32 v3, v3
	v_mov_b32_e32 v15, v14
	s_delay_alu instid0(VALU_DEP_2) | instskip(SKIP_1) | instid1(VALU_DEP_2)
	v_fma_f32 v5, 0xcf800000, v3, |v1|
	v_cvt_u32_f32_e32 v1, v3
	v_cvt_u32_f32_e32 v3, v5
	s_delay_alu instid0(VALU_DEP_2) | instskip(NEXT) | instid1(VALU_DEP_2)
	v_xor_b32_e32 v19, v1, v14
	v_xor_b32_e32 v18, v3, v14
	s_delay_alu instid0(VALU_DEP_1)
	v_sub_nc_u64_e32 v[14:15], v[18:19], v[14:15]
	s_branch .LBB126_4665
.LBB126_4660:
	s_mov_b32 s2, -1
	s_branch .LBB126_4664
.LBB126_4661:
	s_and_not1_saveexec_b32 s2, s2
	s_cbranch_execz .LBB126_4642
.LBB126_4662:
	v_cmp_ne_u16_e32 vcc_lo, 0, v1
	s_and_not1_b32 s3, s3, exec_lo
	s_and_b32 s18, vcc_lo, exec_lo
	s_delay_alu instid0(SALU_CYCLE_1)
	s_or_b32 s3, s3, s18
	s_or_b32 exec_lo, exec_lo, s2
	v_mov_b64_e32 v[14:15], 0
	s_and_saveexec_b32 s2, s3
	s_cbranch_execnz .LBB126_4643
	s_branch .LBB126_4644
.LBB126_4663:
	s_mov_b32 s1, -1
.LBB126_4664:
                                        ; implicit-def: $vgpr14_vgpr15
.LBB126_4665:
	s_and_b32 vcc_lo, exec_lo, s2
	s_mov_b32 s2, 0
	s_cbranch_vccz .LBB126_4667
; %bb.4666:
	s_cmp_lg_u32 s0, 11
	s_mov_b32 s2, -1
	s_cselect_b32 s1, -1, 0
.LBB126_4667:
	s_delay_alu instid0(SALU_CYCLE_1)
	s_and_b32 vcc_lo, exec_lo, s1
	s_cbranch_vccnz .LBB126_4732
; %bb.4668:
	s_and_not1_b32 vcc_lo, exec_lo, s2
	s_cbranch_vccnz .LBB126_4670
.LBB126_4669:
	global_load_u8 v1, v[16:17], off
	s_mov_b32 s0, 0
	s_mov_b32 s3, -1
	s_wait_loadcnt 0x1
	s_wait_xcnt 0x1
	v_mov_b32_e32 v15, s0
	s_wait_loadcnt 0x0
	v_cmp_ne_u16_e32 vcc_lo, 0, v1
	v_cndmask_b32_e64 v14, 0, 1, vcc_lo
.LBB126_4670:
	s_mov_b32 s0, 0
.LBB126_4671:
	s_delay_alu instid0(SALU_CYCLE_1)
	s_and_b32 vcc_lo, exec_lo, s0
	s_cbranch_vccz .LBB126_4720
; %bb.4672:
	s_and_b32 s0, 0xffff, s59
	s_delay_alu instid0(SALU_CYCLE_1)
	s_cmp_lt_i32 s0, 5
	s_cbranch_scc1 .LBB126_4677
; %bb.4673:
	s_cmp_lt_i32 s0, 8
	s_cbranch_scc1 .LBB126_4678
; %bb.4674:
	;; [unrolled: 3-line block ×3, first 2 shown]
	s_cmp_gt_i32 s0, 9
	s_cbranch_scc0 .LBB126_4680
; %bb.4676:
	s_wait_loadcnt 0x0
	global_load_b64 v[14:15], v[16:17], off
	s_mov_b32 s1, 0
	s_wait_loadcnt 0x0
	v_trunc_f64_e32 v[14:15], v[14:15]
	s_delay_alu instid0(VALU_DEP_1) | instskip(NEXT) | instid1(VALU_DEP_1)
	v_ldexp_f64 v[18:19], v[14:15], 0xffffffe0
	v_floor_f64_e32 v[18:19], v[18:19]
	s_delay_alu instid0(VALU_DEP_1) | instskip(SKIP_1) | instid1(VALU_DEP_2)
	v_fmamk_f64 v[20:21], v[18:19], 0xc1f00000, v[14:15]
	v_cvt_i32_f64_e32 v15, v[18:19]
	v_cvt_u32_f64_e32 v14, v[20:21]
	s_branch .LBB126_4681
.LBB126_4677:
	s_mov_b32 s1, -1
                                        ; implicit-def: $vgpr14_vgpr15
	s_branch .LBB126_4699
.LBB126_4678:
	s_mov_b32 s1, -1
                                        ; implicit-def: $vgpr14_vgpr15
	s_branch .LBB126_4687
.LBB126_4679:
	s_mov_b32 s1, -1
                                        ; implicit-def: $vgpr14_vgpr15
	s_branch .LBB126_4684
.LBB126_4680:
	s_mov_b32 s1, -1
                                        ; implicit-def: $vgpr14_vgpr15
.LBB126_4681:
	s_delay_alu instid0(SALU_CYCLE_1)
	s_and_not1_b32 vcc_lo, exec_lo, s1
	s_cbranch_vccnz .LBB126_4683
; %bb.4682:
	global_load_b32 v1, v[16:17], off
	s_wait_loadcnt 0x0
	v_trunc_f32_e32 v1, v1
	s_delay_alu instid0(VALU_DEP_1) | instskip(SKIP_2) | instid1(VALU_DEP_2)
	v_mul_f32_e64 v3, 0x2f800000, |v1|
	s_wait_xcnt 0x1
	v_ashrrev_i32_e32 v14, 31, v1
	v_floor_f32_e32 v3, v3
	s_delay_alu instid0(VALU_DEP_1) | instskip(SKIP_1) | instid1(VALU_DEP_4)
	v_fma_f32 v5, 0xcf800000, v3, |v1|
	v_cvt_u32_f32_e32 v1, v3
	v_mov_b32_e32 v15, v14
	s_delay_alu instid0(VALU_DEP_3) | instskip(NEXT) | instid1(VALU_DEP_3)
	v_cvt_u32_f32_e32 v3, v5
	v_xor_b32_e32 v19, v1, v14
	s_delay_alu instid0(VALU_DEP_2) | instskip(NEXT) | instid1(VALU_DEP_1)
	v_xor_b32_e32 v18, v3, v14
	v_sub_nc_u64_e32 v[14:15], v[18:19], v[14:15]
.LBB126_4683:
	s_mov_b32 s1, 0
.LBB126_4684:
	s_delay_alu instid0(SALU_CYCLE_1)
	s_and_not1_b32 vcc_lo, exec_lo, s1
	s_cbranch_vccnz .LBB126_4686
; %bb.4685:
	global_load_b32 v1, v[16:17], off
	s_wait_loadcnt 0x0
	v_cvt_f32_f16_e32 v1, v1
	s_wait_xcnt 0x1
	s_delay_alu instid0(VALU_DEP_1) | instskip(NEXT) | instid1(VALU_DEP_1)
	v_cvt_i32_f32_e32 v14, v1
	v_ashrrev_i32_e32 v15, 31, v14
.LBB126_4686:
	s_mov_b32 s1, 0
.LBB126_4687:
	s_delay_alu instid0(SALU_CYCLE_1)
	s_and_not1_b32 vcc_lo, exec_lo, s1
	s_cbranch_vccnz .LBB126_4698
; %bb.4688:
	s_cmp_lt_i32 s0, 6
	s_cbranch_scc1 .LBB126_4691
; %bb.4689:
	s_cmp_gt_i32 s0, 6
	s_cbranch_scc0 .LBB126_4692
; %bb.4690:
	s_wait_loadcnt 0x0
	global_load_b64 v[14:15], v[16:17], off
	s_mov_b32 s1, 0
	s_wait_loadcnt 0x0
	v_trunc_f64_e32 v[14:15], v[14:15]
	s_delay_alu instid0(VALU_DEP_1) | instskip(NEXT) | instid1(VALU_DEP_1)
	v_ldexp_f64 v[18:19], v[14:15], 0xffffffe0
	v_floor_f64_e32 v[18:19], v[18:19]
	s_delay_alu instid0(VALU_DEP_1) | instskip(SKIP_1) | instid1(VALU_DEP_2)
	v_fmamk_f64 v[20:21], v[18:19], 0xc1f00000, v[14:15]
	v_cvt_i32_f64_e32 v15, v[18:19]
	v_cvt_u32_f64_e32 v14, v[20:21]
	s_branch .LBB126_4693
.LBB126_4691:
	s_mov_b32 s1, -1
                                        ; implicit-def: $vgpr14_vgpr15
	s_branch .LBB126_4696
.LBB126_4692:
	s_mov_b32 s1, -1
                                        ; implicit-def: $vgpr14_vgpr15
.LBB126_4693:
	s_delay_alu instid0(SALU_CYCLE_1)
	s_and_not1_b32 vcc_lo, exec_lo, s1
	s_cbranch_vccnz .LBB126_4695
; %bb.4694:
	global_load_b32 v1, v[16:17], off
	s_wait_loadcnt 0x0
	v_trunc_f32_e32 v1, v1
	s_delay_alu instid0(VALU_DEP_1) | instskip(SKIP_2) | instid1(VALU_DEP_2)
	v_mul_f32_e64 v3, 0x2f800000, |v1|
	s_wait_xcnt 0x1
	v_ashrrev_i32_e32 v14, 31, v1
	v_floor_f32_e32 v3, v3
	s_delay_alu instid0(VALU_DEP_1) | instskip(SKIP_1) | instid1(VALU_DEP_4)
	v_fma_f32 v5, 0xcf800000, v3, |v1|
	v_cvt_u32_f32_e32 v1, v3
	v_mov_b32_e32 v15, v14
	s_delay_alu instid0(VALU_DEP_3) | instskip(NEXT) | instid1(VALU_DEP_3)
	v_cvt_u32_f32_e32 v3, v5
	v_xor_b32_e32 v19, v1, v14
	s_delay_alu instid0(VALU_DEP_2) | instskip(NEXT) | instid1(VALU_DEP_1)
	v_xor_b32_e32 v18, v3, v14
	v_sub_nc_u64_e32 v[14:15], v[18:19], v[14:15]
.LBB126_4695:
	s_mov_b32 s1, 0
.LBB126_4696:
	s_delay_alu instid0(SALU_CYCLE_1)
	s_and_not1_b32 vcc_lo, exec_lo, s1
	s_cbranch_vccnz .LBB126_4698
; %bb.4697:
	global_load_u16 v1, v[16:17], off
	s_wait_loadcnt 0x0
	v_cvt_f32_f16_e32 v1, v1
	s_wait_xcnt 0x1
	s_delay_alu instid0(VALU_DEP_1) | instskip(NEXT) | instid1(VALU_DEP_1)
	v_cvt_i32_f32_e32 v14, v1
	v_ashrrev_i32_e32 v15, 31, v14
.LBB126_4698:
	s_mov_b32 s1, 0
.LBB126_4699:
	s_delay_alu instid0(SALU_CYCLE_1)
	s_and_not1_b32 vcc_lo, exec_lo, s1
	s_cbranch_vccnz .LBB126_4719
; %bb.4700:
	s_cmp_lt_i32 s0, 2
	s_cbranch_scc1 .LBB126_4704
; %bb.4701:
	s_cmp_lt_i32 s0, 3
	s_cbranch_scc1 .LBB126_4705
; %bb.4702:
	s_cmp_gt_i32 s0, 3
	s_cbranch_scc0 .LBB126_4706
; %bb.4703:
	s_wait_loadcnt 0x0
	global_load_b64 v[14:15], v[16:17], off
	s_mov_b32 s1, 0
	s_branch .LBB126_4707
.LBB126_4704:
	s_mov_b32 s1, -1
                                        ; implicit-def: $vgpr14_vgpr15
	s_branch .LBB126_4713
.LBB126_4705:
	s_mov_b32 s1, -1
                                        ; implicit-def: $vgpr14_vgpr15
	s_branch .LBB126_4710
.LBB126_4706:
	s_mov_b32 s1, -1
                                        ; implicit-def: $vgpr14_vgpr15
.LBB126_4707:
	s_delay_alu instid0(SALU_CYCLE_1)
	s_and_not1_b32 vcc_lo, exec_lo, s1
	s_cbranch_vccnz .LBB126_4709
; %bb.4708:
	s_wait_loadcnt 0x0
	global_load_b32 v14, v[16:17], off
	s_wait_loadcnt 0x0
	v_ashrrev_i32_e32 v15, 31, v14
.LBB126_4709:
	s_mov_b32 s1, 0
.LBB126_4710:
	s_delay_alu instid0(SALU_CYCLE_1)
	s_and_not1_b32 vcc_lo, exec_lo, s1
	s_cbranch_vccnz .LBB126_4712
; %bb.4711:
	global_load_u16 v1, v[16:17], off
	s_wait_loadcnt 0x0
	s_wait_xcnt 0x1
	v_bfe_i32 v14, v1, 0, 16
	s_delay_alu instid0(VALU_DEP_1)
	v_ashrrev_i32_e32 v15, 31, v14
.LBB126_4712:
	s_mov_b32 s1, 0
.LBB126_4713:
	s_delay_alu instid0(SALU_CYCLE_1)
	s_and_not1_b32 vcc_lo, exec_lo, s1
	s_cbranch_vccnz .LBB126_4719
; %bb.4714:
	s_cmp_gt_i32 s0, 0
	s_mov_b32 s0, 0
	s_cbranch_scc0 .LBB126_4716
; %bb.4715:
	global_load_i8 v1, v[16:17], off
	s_wait_loadcnt 0x0
	s_wait_xcnt 0x1
	v_bfe_i32 v14, v1, 0, 16
	s_delay_alu instid0(VALU_DEP_1)
	v_ashrrev_i32_e32 v15, 31, v14
	s_branch .LBB126_4717
.LBB126_4716:
	s_mov_b32 s0, -1
                                        ; implicit-def: $vgpr14_vgpr15
.LBB126_4717:
	s_delay_alu instid0(SALU_CYCLE_1)
	s_and_not1_b32 vcc_lo, exec_lo, s0
	s_cbranch_vccnz .LBB126_4719
; %bb.4718:
	global_load_u8 v1, v[16:17], off
	s_mov_b32 s0, 0
	s_wait_loadcnt 0x1
	s_wait_xcnt 0x1
	v_mov_b32_e32 v15, s0
	s_wait_loadcnt 0x0
	v_and_b32_e32 v14, 0xffff, v1
.LBB126_4719:
	s_mov_b32 s3, -1
.LBB126_4720:
	s_delay_alu instid0(SALU_CYCLE_1)
	s_and_not1_b32 vcc_lo, exec_lo, s3
	s_cbranch_vccnz .LBB126_4984
; %bb.4721:
	v_add_nc_u32_e32 v6, s72, v6
	s_cmp_lt_i32 s60, 11
	s_delay_alu instid0(VALU_DEP_1) | instskip(NEXT) | instid1(VALU_DEP_1)
	v_ashrrev_i32_e32 v7, 31, v6
	v_add_nc_u64_e32 v[18:19], s[12:13], v[6:7]
	s_cbranch_scc1 .LBB126_4728
; %bb.4722:
	s_and_b32 s0, 0xffff, s60
	s_mov_b32 s2, 0
	s_cmp_gt_i32 s0, 25
	s_cbranch_scc0 .LBB126_4729
; %bb.4723:
	s_cmp_gt_i32 s0, 28
	s_cbranch_scc0 .LBB126_4730
; %bb.4724:
	;; [unrolled: 3-line block ×4, first 2 shown]
	s_cmp_eq_u32 s0, 46
	s_mov_b32 s18, 0
	s_cbranch_scc0 .LBB126_4735
; %bb.4727:
	global_load_b32 v1, v[18:19], off
	s_mov_b32 s1, 0
	s_mov_b32 s3, -1
	s_wait_loadcnt 0x0
	v_lshlrev_b32_e32 v1, 16, v1
	s_delay_alu instid0(VALU_DEP_1) | instskip(NEXT) | instid1(VALU_DEP_1)
	v_trunc_f32_e32 v1, v1
	v_mul_f32_e64 v3, 0x2f800000, |v1|
	s_wait_xcnt 0x1
	v_ashrrev_i32_e32 v16, 31, v1
	s_delay_alu instid0(VALU_DEP_2) | instskip(NEXT) | instid1(VALU_DEP_2)
	v_floor_f32_e32 v3, v3
	v_mov_b32_e32 v17, v16
	s_delay_alu instid0(VALU_DEP_2) | instskip(SKIP_1) | instid1(VALU_DEP_2)
	v_fma_f32 v5, 0xcf800000, v3, |v1|
	v_cvt_u32_f32_e32 v1, v3
	v_cvt_u32_f32_e32 v3, v5
	s_delay_alu instid0(VALU_DEP_2) | instskip(NEXT) | instid1(VALU_DEP_2)
	v_xor_b32_e32 v21, v1, v16
	v_xor_b32_e32 v20, v3, v16
	s_delay_alu instid0(VALU_DEP_1)
	v_sub_nc_u64_e32 v[16:17], v[20:21], v[16:17]
	s_branch .LBB126_4737
.LBB126_4728:
	s_mov_b32 s0, -1
	s_mov_b32 s3, 0
                                        ; implicit-def: $vgpr16_vgpr17
	s_branch .LBB126_4799
.LBB126_4729:
	s_mov_b32 s18, -1
	s_mov_b32 s3, 0
	s_mov_b32 s1, 0
                                        ; implicit-def: $vgpr16_vgpr17
	s_branch .LBB126_4764
.LBB126_4730:
	s_mov_b32 s18, -1
	s_mov_b32 s3, 0
	s_mov_b32 s1, 0
                                        ; implicit-def: $vgpr16_vgpr17
	s_branch .LBB126_4747
.LBB126_4731:
	s_mov_b32 s18, -1
	s_mov_b32 s3, 0
	s_mov_b32 s1, 0
                                        ; implicit-def: $vgpr16_vgpr17
	s_branch .LBB126_4742
.LBB126_4732:
	s_or_b32 s68, s68, exec_lo
	s_trap 2
	s_cbranch_execz .LBB126_4669
	s_branch .LBB126_4670
.LBB126_4733:
	s_mov_b32 s18, -1
	s_mov_b32 s3, 0
	s_mov_b32 s1, 0
	s_branch .LBB126_4736
.LBB126_4734:
	s_or_b32 s64, s62, exec_lo
	s_trap 2
                                        ; implicit-def: $vgpr0
                                        ; implicit-def: $vgpr2
                                        ; implicit-def: $vgpr4
                                        ; implicit-def: $vgpr14_vgpr15
                                        ; implicit-def: $vgpr6
                                        ; implicit-def: $vgpr16_vgpr17
                                        ; implicit-def: $vgpr8
                                        ; implicit-def: $vgpr20_vgpr21
                                        ; implicit-def: $vgpr23
                                        ; implicit-def: $vgpr22
	s_or_saveexec_b32 s65, s0
	s_mov_b32 s1, 0
                                        ; implicit-def: $sgpr0
                                        ; implicit-def: $vgpr10_vgpr11
	s_xor_b32 exec_lo, exec_lo, s65
	s_cbranch_execz .LBB126_4987
	s_branch .LBB126_4316
.LBB126_4735:
	s_mov_b32 s1, -1
	s_mov_b32 s3, 0
.LBB126_4736:
                                        ; implicit-def: $vgpr16_vgpr17
.LBB126_4737:
	s_and_b32 vcc_lo, exec_lo, s18
	s_cbranch_vccz .LBB126_4741
; %bb.4738:
	s_cmp_eq_u32 s0, 44
	s_cbranch_scc0 .LBB126_4740
; %bb.4739:
	global_load_u8 v1, v[18:19], off
	s_mov_b32 s1, 0
	s_mov_b32 s3, -1
	s_wait_loadcnt 0x0
	v_lshlrev_b32_e32 v3, 23, v1
	v_cmp_ne_u32_e32 vcc_lo, 0, v1
	s_delay_alu instid0(VALU_DEP_2) | instskip(NEXT) | instid1(VALU_DEP_1)
	v_trunc_f32_e32 v3, v3
	v_mul_f32_e64 v5, 0x2f800000, |v3|
	s_wait_xcnt 0x1
	v_ashrrev_i32_e32 v16, 31, v3
	s_delay_alu instid0(VALU_DEP_2) | instskip(NEXT) | instid1(VALU_DEP_2)
	v_floor_f32_e32 v5, v5
	v_mov_b32_e32 v17, v16
	s_delay_alu instid0(VALU_DEP_2) | instskip(SKIP_1) | instid1(VALU_DEP_2)
	v_fma_f32 v7, 0xcf800000, v5, |v3|
	v_cvt_u32_f32_e32 v3, v5
	v_cvt_u32_f32_e32 v5, v7
	s_delay_alu instid0(VALU_DEP_2) | instskip(NEXT) | instid1(VALU_DEP_2)
	v_xor_b32_e32 v21, v3, v16
	v_xor_b32_e32 v20, v5, v16
	s_delay_alu instid0(VALU_DEP_1) | instskip(NEXT) | instid1(VALU_DEP_1)
	v_sub_nc_u64_e32 v[16:17], v[20:21], v[16:17]
	v_dual_cndmask_b32 v17, 0, v17 :: v_dual_cndmask_b32 v16, 0, v16
	s_branch .LBB126_4741
.LBB126_4740:
	s_mov_b32 s1, -1
                                        ; implicit-def: $vgpr16_vgpr17
.LBB126_4741:
	s_mov_b32 s18, 0
.LBB126_4742:
	s_delay_alu instid0(SALU_CYCLE_1)
	s_and_b32 vcc_lo, exec_lo, s18
	s_cbranch_vccz .LBB126_4746
; %bb.4743:
	s_cmp_eq_u32 s0, 29
	s_cbranch_scc0 .LBB126_4745
; %bb.4744:
	global_load_b64 v[16:17], v[18:19], off
	s_mov_b32 s1, 0
	s_mov_b32 s3, -1
	s_branch .LBB126_4746
.LBB126_4745:
	s_mov_b32 s1, -1
                                        ; implicit-def: $vgpr16_vgpr17
.LBB126_4746:
	s_mov_b32 s18, 0
.LBB126_4747:
	s_delay_alu instid0(SALU_CYCLE_1)
	s_and_b32 vcc_lo, exec_lo, s18
	s_cbranch_vccz .LBB126_4763
; %bb.4748:
	s_cmp_lt_i32 s0, 27
	s_cbranch_scc1 .LBB126_4751
; %bb.4749:
	s_cmp_gt_i32 s0, 27
	s_cbranch_scc0 .LBB126_4752
; %bb.4750:
	s_wait_loadcnt 0x0
	global_load_b32 v16, v[18:19], off
	v_mov_b32_e32 v17, 0
	s_mov_b32 s3, 0
	s_branch .LBB126_4753
.LBB126_4751:
	s_mov_b32 s3, -1
                                        ; implicit-def: $vgpr16_vgpr17
	s_branch .LBB126_4756
.LBB126_4752:
	s_mov_b32 s3, -1
                                        ; implicit-def: $vgpr16_vgpr17
.LBB126_4753:
	s_delay_alu instid0(SALU_CYCLE_1)
	s_and_not1_b32 vcc_lo, exec_lo, s3
	s_cbranch_vccnz .LBB126_4755
; %bb.4754:
	global_load_u16 v1, v[18:19], off
	s_mov_b32 s3, 0
	s_wait_loadcnt 0x1
	s_wait_xcnt 0x1
	v_mov_b32_e32 v17, s3
	s_wait_loadcnt 0x0
	v_and_b32_e32 v16, 0xffff, v1
.LBB126_4755:
	s_mov_b32 s3, 0
.LBB126_4756:
	s_delay_alu instid0(SALU_CYCLE_1)
	s_and_not1_b32 vcc_lo, exec_lo, s3
	s_cbranch_vccnz .LBB126_4762
; %bb.4757:
	global_load_u8 v1, v[18:19], off
	s_mov_b32 s18, 0
	s_mov_b32 s3, exec_lo
	s_wait_loadcnt 0x0
	v_cmpx_lt_i16_e32 0x7f, v1
	s_xor_b32 s3, exec_lo, s3
	s_cbranch_execz .LBB126_4774
; %bb.4758:
	v_cmp_ne_u16_e32 vcc_lo, 0x80, v1
	s_and_b32 s18, vcc_lo, exec_lo
	s_and_not1_saveexec_b32 s3, s3
	s_cbranch_execnz .LBB126_4775
.LBB126_4759:
	s_or_b32 exec_lo, exec_lo, s3
	v_mov_b64_e32 v[16:17], 0
	s_and_saveexec_b32 s3, s18
	s_cbranch_execz .LBB126_4761
.LBB126_4760:
	v_and_b32_e32 v3, 0xffff, v1
	s_delay_alu instid0(VALU_DEP_1) | instskip(SKIP_1) | instid1(VALU_DEP_2)
	v_dual_lshlrev_b32 v1, 24, v1 :: v_dual_bitop2_b32 v5, 7, v3 bitop3:0x40
	v_bfe_u32 v16, v3, 3, 4
	v_and_b32_e32 v1, 0x80000000, v1
	s_delay_alu instid0(VALU_DEP_3) | instskip(NEXT) | instid1(VALU_DEP_3)
	v_clz_i32_u32_e32 v7, v5
	v_cmp_eq_u32_e32 vcc_lo, 0, v16
	s_delay_alu instid0(VALU_DEP_2) | instskip(NEXT) | instid1(VALU_DEP_1)
	v_min_u32_e32 v7, 32, v7
	v_subrev_nc_u32_e32 v9, 28, v7
	v_sub_nc_u32_e32 v7, 29, v7
	s_delay_alu instid0(VALU_DEP_2) | instskip(NEXT) | instid1(VALU_DEP_2)
	v_lshlrev_b32_e32 v3, v9, v3
	v_cndmask_b32_e32 v7, v16, v7, vcc_lo
	s_delay_alu instid0(VALU_DEP_2) | instskip(NEXT) | instid1(VALU_DEP_1)
	v_and_b32_e32 v3, 7, v3
	v_cndmask_b32_e32 v3, v5, v3, vcc_lo
	s_delay_alu instid0(VALU_DEP_3) | instskip(NEXT) | instid1(VALU_DEP_2)
	v_lshl_add_u32 v5, v7, 23, 0x3b800000
	v_lshlrev_b32_e32 v3, 20, v3
	s_delay_alu instid0(VALU_DEP_1) | instskip(NEXT) | instid1(VALU_DEP_1)
	v_or3_b32 v1, v1, v5, v3
	v_trunc_f32_e32 v1, v1
	s_delay_alu instid0(VALU_DEP_1) | instskip(SKIP_1) | instid1(VALU_DEP_2)
	v_mul_f32_e64 v3, 0x2f800000, |v1|
	v_ashrrev_i32_e32 v16, 31, v1
	v_floor_f32_e32 v3, v3
	s_delay_alu instid0(VALU_DEP_2) | instskip(NEXT) | instid1(VALU_DEP_2)
	v_mov_b32_e32 v17, v16
	v_fma_f32 v5, 0xcf800000, v3, |v1|
	v_cvt_u32_f32_e32 v1, v3
	s_delay_alu instid0(VALU_DEP_2) | instskip(NEXT) | instid1(VALU_DEP_2)
	v_cvt_u32_f32_e32 v3, v5
	v_xor_b32_e32 v21, v1, v16
	s_delay_alu instid0(VALU_DEP_2) | instskip(NEXT) | instid1(VALU_DEP_1)
	v_xor_b32_e32 v20, v3, v16
	v_sub_nc_u64_e32 v[16:17], v[20:21], v[16:17]
.LBB126_4761:
	s_or_b32 exec_lo, exec_lo, s3
.LBB126_4762:
	s_mov_b32 s3, -1
.LBB126_4763:
	s_mov_b32 s18, 0
.LBB126_4764:
	s_delay_alu instid0(SALU_CYCLE_1)
	s_and_b32 vcc_lo, exec_lo, s18
	s_cbranch_vccz .LBB126_4795
; %bb.4765:
	s_cmp_gt_i32 s0, 22
	s_cbranch_scc0 .LBB126_4773
; %bb.4766:
	s_cmp_lt_i32 s0, 24
	s_cbranch_scc1 .LBB126_4776
; %bb.4767:
	s_cmp_gt_i32 s0, 24
	s_cbranch_scc0 .LBB126_4777
; %bb.4768:
	global_load_u8 v1, v[18:19], off
	s_mov_b32 s3, 0
	s_mov_b32 s2, exec_lo
	s_wait_loadcnt 0x0
	v_cmpx_lt_i16_e32 0x7f, v1
	s_xor_b32 s2, exec_lo, s2
	s_cbranch_execz .LBB126_4789
; %bb.4769:
	v_cmp_ne_u16_e32 vcc_lo, 0x80, v1
	s_and_b32 s3, vcc_lo, exec_lo
	s_and_not1_saveexec_b32 s2, s2
	s_cbranch_execnz .LBB126_4790
.LBB126_4770:
	s_or_b32 exec_lo, exec_lo, s2
	v_mov_b64_e32 v[16:17], 0
	s_and_saveexec_b32 s2, s3
	s_cbranch_execz .LBB126_4772
.LBB126_4771:
	v_and_b32_e32 v3, 0xffff, v1
	s_delay_alu instid0(VALU_DEP_1) | instskip(SKIP_1) | instid1(VALU_DEP_2)
	v_dual_lshlrev_b32 v1, 24, v1 :: v_dual_bitop2_b32 v5, 3, v3 bitop3:0x40
	v_bfe_u32 v16, v3, 2, 5
	v_and_b32_e32 v1, 0x80000000, v1
	s_delay_alu instid0(VALU_DEP_3) | instskip(NEXT) | instid1(VALU_DEP_3)
	v_clz_i32_u32_e32 v7, v5
	v_cmp_eq_u32_e32 vcc_lo, 0, v16
	s_delay_alu instid0(VALU_DEP_2) | instskip(NEXT) | instid1(VALU_DEP_1)
	v_min_u32_e32 v7, 32, v7
	v_subrev_nc_u32_e32 v9, 29, v7
	v_sub_nc_u32_e32 v7, 30, v7
	s_delay_alu instid0(VALU_DEP_2) | instskip(NEXT) | instid1(VALU_DEP_2)
	v_lshlrev_b32_e32 v3, v9, v3
	v_cndmask_b32_e32 v7, v16, v7, vcc_lo
	s_delay_alu instid0(VALU_DEP_2) | instskip(NEXT) | instid1(VALU_DEP_1)
	v_and_b32_e32 v3, 3, v3
	v_cndmask_b32_e32 v3, v5, v3, vcc_lo
	s_delay_alu instid0(VALU_DEP_3) | instskip(NEXT) | instid1(VALU_DEP_2)
	v_lshl_add_u32 v5, v7, 23, 0x37800000
	v_lshlrev_b32_e32 v3, 21, v3
	s_delay_alu instid0(VALU_DEP_1) | instskip(NEXT) | instid1(VALU_DEP_1)
	v_or3_b32 v1, v1, v5, v3
	v_trunc_f32_e32 v1, v1
	s_delay_alu instid0(VALU_DEP_1) | instskip(SKIP_1) | instid1(VALU_DEP_2)
	v_mul_f32_e64 v3, 0x2f800000, |v1|
	v_ashrrev_i32_e32 v16, 31, v1
	v_floor_f32_e32 v3, v3
	s_delay_alu instid0(VALU_DEP_2) | instskip(NEXT) | instid1(VALU_DEP_2)
	v_mov_b32_e32 v17, v16
	v_fma_f32 v5, 0xcf800000, v3, |v1|
	v_cvt_u32_f32_e32 v1, v3
	s_delay_alu instid0(VALU_DEP_2) | instskip(NEXT) | instid1(VALU_DEP_2)
	v_cvt_u32_f32_e32 v3, v5
	v_xor_b32_e32 v21, v1, v16
	s_delay_alu instid0(VALU_DEP_2) | instskip(NEXT) | instid1(VALU_DEP_1)
	v_xor_b32_e32 v20, v3, v16
	v_sub_nc_u64_e32 v[16:17], v[20:21], v[16:17]
.LBB126_4772:
	s_or_b32 exec_lo, exec_lo, s2
	s_mov_b32 s2, 0
	s_branch .LBB126_4778
.LBB126_4773:
	s_mov_b32 s2, -1
                                        ; implicit-def: $vgpr16_vgpr17
	s_branch .LBB126_4784
.LBB126_4774:
	s_and_not1_saveexec_b32 s3, s3
	s_cbranch_execz .LBB126_4759
.LBB126_4775:
	v_cmp_ne_u16_e32 vcc_lo, 0, v1
	s_and_not1_b32 s18, s18, exec_lo
	s_and_b32 s19, vcc_lo, exec_lo
	s_delay_alu instid0(SALU_CYCLE_1)
	s_or_b32 s18, s18, s19
	s_or_b32 exec_lo, exec_lo, s3
	v_mov_b64_e32 v[16:17], 0
	s_and_saveexec_b32 s3, s18
	s_cbranch_execnz .LBB126_4760
	s_branch .LBB126_4761
.LBB126_4776:
	s_mov_b32 s2, -1
                                        ; implicit-def: $vgpr16_vgpr17
	s_branch .LBB126_4781
.LBB126_4777:
	s_mov_b32 s2, -1
                                        ; implicit-def: $vgpr16_vgpr17
.LBB126_4778:
	s_delay_alu instid0(SALU_CYCLE_1)
	s_and_b32 vcc_lo, exec_lo, s2
	s_cbranch_vccz .LBB126_4780
; %bb.4779:
	global_load_u8 v1, v[18:19], off
	s_wait_loadcnt 0x0
	v_lshlrev_b32_e32 v1, 24, v1
	s_delay_alu instid0(VALU_DEP_1) | instskip(NEXT) | instid1(VALU_DEP_1)
	v_and_b32_e32 v3, 0x7f000000, v1
	v_clz_i32_u32_e32 v5, v3
	v_add_nc_u32_e32 v9, 0x1000000, v3
	v_cmp_ne_u32_e32 vcc_lo, 0, v3
	s_delay_alu instid0(VALU_DEP_3) | instskip(NEXT) | instid1(VALU_DEP_1)
	v_min_u32_e32 v5, 32, v5
	v_sub_nc_u32_e64 v5, v5, 4 clamp
	s_delay_alu instid0(VALU_DEP_1) | instskip(NEXT) | instid1(VALU_DEP_1)
	v_dual_lshlrev_b32 v7, v5, v3 :: v_dual_lshlrev_b32 v5, 23, v5
	v_lshrrev_b32_e32 v7, 4, v7
	s_delay_alu instid0(VALU_DEP_1) | instskip(SKIP_1) | instid1(VALU_DEP_2)
	v_sub_nc_u32_e32 v5, v7, v5
	v_ashrrev_i32_e32 v7, 8, v9
	v_add_nc_u32_e32 v5, 0x3c000000, v5
	s_delay_alu instid0(VALU_DEP_1) | instskip(NEXT) | instid1(VALU_DEP_1)
	v_and_or_b32 v5, 0x7f800000, v7, v5
	v_cndmask_b32_e32 v3, 0, v5, vcc_lo
	s_delay_alu instid0(VALU_DEP_1) | instskip(NEXT) | instid1(VALU_DEP_1)
	v_and_or_b32 v1, 0x80000000, v1, v3
	v_trunc_f32_e32 v1, v1
	s_delay_alu instid0(VALU_DEP_1) | instskip(SKIP_2) | instid1(VALU_DEP_2)
	v_mul_f32_e64 v3, 0x2f800000, |v1|
	s_wait_xcnt 0x1
	v_ashrrev_i32_e32 v16, 31, v1
	v_floor_f32_e32 v3, v3
	s_delay_alu instid0(VALU_DEP_2) | instskip(NEXT) | instid1(VALU_DEP_2)
	v_mov_b32_e32 v17, v16
	v_fma_f32 v5, 0xcf800000, v3, |v1|
	v_cvt_u32_f32_e32 v1, v3
	s_delay_alu instid0(VALU_DEP_2) | instskip(NEXT) | instid1(VALU_DEP_2)
	v_cvt_u32_f32_e32 v3, v5
	v_xor_b32_e32 v21, v1, v16
	s_delay_alu instid0(VALU_DEP_2) | instskip(NEXT) | instid1(VALU_DEP_1)
	v_xor_b32_e32 v20, v3, v16
	v_sub_nc_u64_e32 v[16:17], v[20:21], v[16:17]
.LBB126_4780:
	s_mov_b32 s2, 0
.LBB126_4781:
	s_delay_alu instid0(SALU_CYCLE_1)
	s_and_not1_b32 vcc_lo, exec_lo, s2
	s_cbranch_vccnz .LBB126_4783
; %bb.4782:
	global_load_u8 v1, v[18:19], off
	s_wait_loadcnt 0x0
	v_lshlrev_b32_e32 v3, 25, v1
	v_lshlrev_b16 v1, 8, v1
	s_delay_alu instid0(VALU_DEP_1) | instskip(SKIP_1) | instid1(VALU_DEP_2)
	v_and_or_b32 v7, 0x7f00, v1, 0.5
	v_bfe_i32 v1, v1, 0, 16
	v_add_f32_e32 v7, -0.5, v7
	v_lshrrev_b32_e32 v5, 4, v3
	v_cmp_gt_u32_e32 vcc_lo, 0x8000000, v3
	s_delay_alu instid0(VALU_DEP_2) | instskip(NEXT) | instid1(VALU_DEP_1)
	v_or_b32_e32 v5, 0x70000000, v5
	v_mul_f32_e32 v5, 0x7800000, v5
	s_delay_alu instid0(VALU_DEP_1) | instskip(NEXT) | instid1(VALU_DEP_1)
	v_cndmask_b32_e32 v3, v5, v7, vcc_lo
	v_and_or_b32 v1, 0x80000000, v1, v3
	s_delay_alu instid0(VALU_DEP_1) | instskip(NEXT) | instid1(VALU_DEP_1)
	v_trunc_f32_e32 v1, v1
	v_mul_f32_e64 v3, 0x2f800000, |v1|
	s_wait_xcnt 0x1
	v_ashrrev_i32_e32 v16, 31, v1
	s_delay_alu instid0(VALU_DEP_2) | instskip(NEXT) | instid1(VALU_DEP_2)
	v_floor_f32_e32 v3, v3
	v_mov_b32_e32 v17, v16
	s_delay_alu instid0(VALU_DEP_2) | instskip(SKIP_1) | instid1(VALU_DEP_2)
	v_fma_f32 v5, 0xcf800000, v3, |v1|
	v_cvt_u32_f32_e32 v1, v3
	v_cvt_u32_f32_e32 v3, v5
	s_delay_alu instid0(VALU_DEP_2) | instskip(NEXT) | instid1(VALU_DEP_2)
	v_xor_b32_e32 v21, v1, v16
	v_xor_b32_e32 v20, v3, v16
	s_delay_alu instid0(VALU_DEP_1)
	v_sub_nc_u64_e32 v[16:17], v[20:21], v[16:17]
.LBB126_4783:
	s_mov_b32 s2, 0
	s_mov_b32 s3, -1
.LBB126_4784:
	s_and_not1_b32 vcc_lo, exec_lo, s2
	s_mov_b32 s2, 0
	s_cbranch_vccnz .LBB126_4795
; %bb.4785:
	s_cmp_gt_i32 s0, 14
	s_cbranch_scc0 .LBB126_4788
; %bb.4786:
	s_cmp_eq_u32 s0, 15
	s_cbranch_scc0 .LBB126_4791
; %bb.4787:
	global_load_u16 v1, v[18:19], off
	s_mov_b32 s1, 0
	s_mov_b32 s3, -1
	s_wait_loadcnt 0x0
	v_lshlrev_b32_e32 v1, 16, v1
	s_delay_alu instid0(VALU_DEP_1) | instskip(NEXT) | instid1(VALU_DEP_1)
	v_trunc_f32_e32 v1, v1
	v_mul_f32_e64 v3, 0x2f800000, |v1|
	s_wait_xcnt 0x1
	v_ashrrev_i32_e32 v16, 31, v1
	s_delay_alu instid0(VALU_DEP_2) | instskip(NEXT) | instid1(VALU_DEP_2)
	v_floor_f32_e32 v3, v3
	v_mov_b32_e32 v17, v16
	s_delay_alu instid0(VALU_DEP_2) | instskip(SKIP_1) | instid1(VALU_DEP_2)
	v_fma_f32 v5, 0xcf800000, v3, |v1|
	v_cvt_u32_f32_e32 v1, v3
	v_cvt_u32_f32_e32 v3, v5
	s_delay_alu instid0(VALU_DEP_2) | instskip(NEXT) | instid1(VALU_DEP_2)
	v_xor_b32_e32 v21, v1, v16
	v_xor_b32_e32 v20, v3, v16
	s_delay_alu instid0(VALU_DEP_1)
	v_sub_nc_u64_e32 v[16:17], v[20:21], v[16:17]
	s_branch .LBB126_4793
.LBB126_4788:
	s_mov_b32 s2, -1
	s_branch .LBB126_4792
.LBB126_4789:
	s_and_not1_saveexec_b32 s2, s2
	s_cbranch_execz .LBB126_4770
.LBB126_4790:
	v_cmp_ne_u16_e32 vcc_lo, 0, v1
	s_and_not1_b32 s3, s3, exec_lo
	s_and_b32 s18, vcc_lo, exec_lo
	s_delay_alu instid0(SALU_CYCLE_1)
	s_or_b32 s3, s3, s18
	s_or_b32 exec_lo, exec_lo, s2
	v_mov_b64_e32 v[16:17], 0
	s_and_saveexec_b32 s2, s3
	s_cbranch_execnz .LBB126_4771
	s_branch .LBB126_4772
.LBB126_4791:
	s_mov_b32 s1, -1
.LBB126_4792:
                                        ; implicit-def: $vgpr16_vgpr17
.LBB126_4793:
	s_and_b32 vcc_lo, exec_lo, s2
	s_mov_b32 s2, 0
	s_cbranch_vccz .LBB126_4795
; %bb.4794:
	s_cmp_lg_u32 s0, 11
	s_mov_b32 s2, -1
	s_cselect_b32 s1, -1, 0
.LBB126_4795:
	s_delay_alu instid0(SALU_CYCLE_1)
	s_and_b32 vcc_lo, exec_lo, s1
	s_cbranch_vccnz .LBB126_4860
; %bb.4796:
	s_and_not1_b32 vcc_lo, exec_lo, s2
	s_cbranch_vccnz .LBB126_4798
.LBB126_4797:
	global_load_u8 v1, v[18:19], off
	s_mov_b32 s0, 0
	s_mov_b32 s3, -1
	s_wait_loadcnt 0x1
	s_wait_xcnt 0x1
	v_mov_b32_e32 v17, s0
	s_wait_loadcnt 0x0
	v_cmp_ne_u16_e32 vcc_lo, 0, v1
	v_cndmask_b32_e64 v16, 0, 1, vcc_lo
.LBB126_4798:
	s_mov_b32 s0, 0
.LBB126_4799:
	s_delay_alu instid0(SALU_CYCLE_1)
	s_and_b32 vcc_lo, exec_lo, s0
	s_cbranch_vccz .LBB126_4848
; %bb.4800:
	s_and_b32 s0, 0xffff, s60
	s_delay_alu instid0(SALU_CYCLE_1)
	s_cmp_lt_i32 s0, 5
	s_cbranch_scc1 .LBB126_4805
; %bb.4801:
	s_cmp_lt_i32 s0, 8
	s_cbranch_scc1 .LBB126_4806
; %bb.4802:
	;; [unrolled: 3-line block ×3, first 2 shown]
	s_cmp_gt_i32 s0, 9
	s_cbranch_scc0 .LBB126_4808
; %bb.4804:
	s_wait_loadcnt 0x0
	global_load_b64 v[16:17], v[18:19], off
	s_mov_b32 s1, 0
	s_wait_loadcnt 0x0
	v_trunc_f64_e32 v[16:17], v[16:17]
	s_delay_alu instid0(VALU_DEP_1) | instskip(NEXT) | instid1(VALU_DEP_1)
	v_ldexp_f64 v[20:21], v[16:17], 0xffffffe0
	v_floor_f64_e32 v[20:21], v[20:21]
	s_delay_alu instid0(VALU_DEP_1) | instskip(SKIP_1) | instid1(VALU_DEP_2)
	v_fmamk_f64 v[24:25], v[20:21], 0xc1f00000, v[16:17]
	v_cvt_i32_f64_e32 v17, v[20:21]
	v_cvt_u32_f64_e32 v16, v[24:25]
	s_branch .LBB126_4809
.LBB126_4805:
	s_mov_b32 s1, -1
                                        ; implicit-def: $vgpr16_vgpr17
	s_branch .LBB126_4827
.LBB126_4806:
	s_mov_b32 s1, -1
                                        ; implicit-def: $vgpr16_vgpr17
	s_branch .LBB126_4815
.LBB126_4807:
	s_mov_b32 s1, -1
                                        ; implicit-def: $vgpr16_vgpr17
	s_branch .LBB126_4812
.LBB126_4808:
	s_mov_b32 s1, -1
                                        ; implicit-def: $vgpr16_vgpr17
.LBB126_4809:
	s_delay_alu instid0(SALU_CYCLE_1)
	s_and_not1_b32 vcc_lo, exec_lo, s1
	s_cbranch_vccnz .LBB126_4811
; %bb.4810:
	global_load_b32 v1, v[18:19], off
	s_wait_loadcnt 0x0
	v_trunc_f32_e32 v1, v1
	s_delay_alu instid0(VALU_DEP_1) | instskip(SKIP_2) | instid1(VALU_DEP_2)
	v_mul_f32_e64 v3, 0x2f800000, |v1|
	s_wait_xcnt 0x1
	v_ashrrev_i32_e32 v16, 31, v1
	v_floor_f32_e32 v3, v3
	s_delay_alu instid0(VALU_DEP_1) | instskip(SKIP_1) | instid1(VALU_DEP_4)
	v_fma_f32 v5, 0xcf800000, v3, |v1|
	v_cvt_u32_f32_e32 v1, v3
	v_mov_b32_e32 v17, v16
	s_delay_alu instid0(VALU_DEP_3) | instskip(NEXT) | instid1(VALU_DEP_3)
	v_cvt_u32_f32_e32 v3, v5
	v_xor_b32_e32 v21, v1, v16
	s_delay_alu instid0(VALU_DEP_2) | instskip(NEXT) | instid1(VALU_DEP_1)
	v_xor_b32_e32 v20, v3, v16
	v_sub_nc_u64_e32 v[16:17], v[20:21], v[16:17]
.LBB126_4811:
	s_mov_b32 s1, 0
.LBB126_4812:
	s_delay_alu instid0(SALU_CYCLE_1)
	s_and_not1_b32 vcc_lo, exec_lo, s1
	s_cbranch_vccnz .LBB126_4814
; %bb.4813:
	global_load_b32 v1, v[18:19], off
	s_wait_loadcnt 0x0
	v_cvt_f32_f16_e32 v1, v1
	s_wait_xcnt 0x1
	s_delay_alu instid0(VALU_DEP_1) | instskip(NEXT) | instid1(VALU_DEP_1)
	v_cvt_i32_f32_e32 v16, v1
	v_ashrrev_i32_e32 v17, 31, v16
.LBB126_4814:
	s_mov_b32 s1, 0
.LBB126_4815:
	s_delay_alu instid0(SALU_CYCLE_1)
	s_and_not1_b32 vcc_lo, exec_lo, s1
	s_cbranch_vccnz .LBB126_4826
; %bb.4816:
	s_cmp_lt_i32 s0, 6
	s_cbranch_scc1 .LBB126_4819
; %bb.4817:
	s_cmp_gt_i32 s0, 6
	s_cbranch_scc0 .LBB126_4820
; %bb.4818:
	s_wait_loadcnt 0x0
	global_load_b64 v[16:17], v[18:19], off
	s_mov_b32 s1, 0
	s_wait_loadcnt 0x0
	v_trunc_f64_e32 v[16:17], v[16:17]
	s_delay_alu instid0(VALU_DEP_1) | instskip(NEXT) | instid1(VALU_DEP_1)
	v_ldexp_f64 v[20:21], v[16:17], 0xffffffe0
	v_floor_f64_e32 v[20:21], v[20:21]
	s_delay_alu instid0(VALU_DEP_1) | instskip(SKIP_1) | instid1(VALU_DEP_2)
	v_fmamk_f64 v[24:25], v[20:21], 0xc1f00000, v[16:17]
	v_cvt_i32_f64_e32 v17, v[20:21]
	v_cvt_u32_f64_e32 v16, v[24:25]
	s_branch .LBB126_4821
.LBB126_4819:
	s_mov_b32 s1, -1
                                        ; implicit-def: $vgpr16_vgpr17
	s_branch .LBB126_4824
.LBB126_4820:
	s_mov_b32 s1, -1
                                        ; implicit-def: $vgpr16_vgpr17
.LBB126_4821:
	s_delay_alu instid0(SALU_CYCLE_1)
	s_and_not1_b32 vcc_lo, exec_lo, s1
	s_cbranch_vccnz .LBB126_4823
; %bb.4822:
	global_load_b32 v1, v[18:19], off
	s_wait_loadcnt 0x0
	v_trunc_f32_e32 v1, v1
	s_delay_alu instid0(VALU_DEP_1) | instskip(SKIP_2) | instid1(VALU_DEP_2)
	v_mul_f32_e64 v3, 0x2f800000, |v1|
	s_wait_xcnt 0x1
	v_ashrrev_i32_e32 v16, 31, v1
	v_floor_f32_e32 v3, v3
	s_delay_alu instid0(VALU_DEP_1) | instskip(SKIP_1) | instid1(VALU_DEP_4)
	v_fma_f32 v5, 0xcf800000, v3, |v1|
	v_cvt_u32_f32_e32 v1, v3
	v_mov_b32_e32 v17, v16
	s_delay_alu instid0(VALU_DEP_3) | instskip(NEXT) | instid1(VALU_DEP_3)
	v_cvt_u32_f32_e32 v3, v5
	v_xor_b32_e32 v21, v1, v16
	s_delay_alu instid0(VALU_DEP_2) | instskip(NEXT) | instid1(VALU_DEP_1)
	v_xor_b32_e32 v20, v3, v16
	v_sub_nc_u64_e32 v[16:17], v[20:21], v[16:17]
.LBB126_4823:
	s_mov_b32 s1, 0
.LBB126_4824:
	s_delay_alu instid0(SALU_CYCLE_1)
	s_and_not1_b32 vcc_lo, exec_lo, s1
	s_cbranch_vccnz .LBB126_4826
; %bb.4825:
	global_load_u16 v1, v[18:19], off
	s_wait_loadcnt 0x0
	v_cvt_f32_f16_e32 v1, v1
	s_wait_xcnt 0x1
	s_delay_alu instid0(VALU_DEP_1) | instskip(NEXT) | instid1(VALU_DEP_1)
	v_cvt_i32_f32_e32 v16, v1
	v_ashrrev_i32_e32 v17, 31, v16
.LBB126_4826:
	s_mov_b32 s1, 0
.LBB126_4827:
	s_delay_alu instid0(SALU_CYCLE_1)
	s_and_not1_b32 vcc_lo, exec_lo, s1
	s_cbranch_vccnz .LBB126_4847
; %bb.4828:
	s_cmp_lt_i32 s0, 2
	s_cbranch_scc1 .LBB126_4832
; %bb.4829:
	s_cmp_lt_i32 s0, 3
	s_cbranch_scc1 .LBB126_4833
; %bb.4830:
	s_cmp_gt_i32 s0, 3
	s_cbranch_scc0 .LBB126_4834
; %bb.4831:
	s_wait_loadcnt 0x0
	global_load_b64 v[16:17], v[18:19], off
	s_mov_b32 s1, 0
	s_branch .LBB126_4835
.LBB126_4832:
	s_mov_b32 s1, -1
                                        ; implicit-def: $vgpr16_vgpr17
	s_branch .LBB126_4841
.LBB126_4833:
	s_mov_b32 s1, -1
                                        ; implicit-def: $vgpr16_vgpr17
	s_branch .LBB126_4838
.LBB126_4834:
	s_mov_b32 s1, -1
                                        ; implicit-def: $vgpr16_vgpr17
.LBB126_4835:
	s_delay_alu instid0(SALU_CYCLE_1)
	s_and_not1_b32 vcc_lo, exec_lo, s1
	s_cbranch_vccnz .LBB126_4837
; %bb.4836:
	s_wait_loadcnt 0x0
	global_load_b32 v16, v[18:19], off
	s_wait_loadcnt 0x0
	v_ashrrev_i32_e32 v17, 31, v16
.LBB126_4837:
	s_mov_b32 s1, 0
.LBB126_4838:
	s_delay_alu instid0(SALU_CYCLE_1)
	s_and_not1_b32 vcc_lo, exec_lo, s1
	s_cbranch_vccnz .LBB126_4840
; %bb.4839:
	global_load_u16 v1, v[18:19], off
	s_wait_loadcnt 0x0
	s_wait_xcnt 0x1
	v_bfe_i32 v16, v1, 0, 16
	s_delay_alu instid0(VALU_DEP_1)
	v_ashrrev_i32_e32 v17, 31, v16
.LBB126_4840:
	s_mov_b32 s1, 0
.LBB126_4841:
	s_delay_alu instid0(SALU_CYCLE_1)
	s_and_not1_b32 vcc_lo, exec_lo, s1
	s_cbranch_vccnz .LBB126_4847
; %bb.4842:
	s_cmp_gt_i32 s0, 0
	s_mov_b32 s0, 0
	s_cbranch_scc0 .LBB126_4844
; %bb.4843:
	global_load_i8 v1, v[18:19], off
	s_wait_loadcnt 0x0
	s_wait_xcnt 0x1
	v_bfe_i32 v16, v1, 0, 16
	s_delay_alu instid0(VALU_DEP_1)
	v_ashrrev_i32_e32 v17, 31, v16
	s_branch .LBB126_4845
.LBB126_4844:
	s_mov_b32 s0, -1
                                        ; implicit-def: $vgpr16_vgpr17
.LBB126_4845:
	s_delay_alu instid0(SALU_CYCLE_1)
	s_and_not1_b32 vcc_lo, exec_lo, s0
	s_cbranch_vccnz .LBB126_4847
; %bb.4846:
	global_load_u8 v1, v[18:19], off
	s_mov_b32 s0, 0
	s_wait_loadcnt 0x1
	s_wait_xcnt 0x1
	v_mov_b32_e32 v17, s0
	s_wait_loadcnt 0x0
	v_and_b32_e32 v16, 0xffff, v1
.LBB126_4847:
	s_mov_b32 s3, -1
.LBB126_4848:
	s_delay_alu instid0(SALU_CYCLE_1)
	s_and_not1_b32 vcc_lo, exec_lo, s3
	s_cbranch_vccnz .LBB126_4984
; %bb.4849:
	v_add_nc_u32_e32 v8, s73, v8
	s_cmp_lt_i32 s61, 11
	s_delay_alu instid0(VALU_DEP_1) | instskip(SKIP_1) | instid1(VALU_DEP_1)
	v_ashrrev_i32_e32 v9, 31, v8
	s_wait_xcnt 0x0
	v_add_nc_u64_e32 v[18:19], s[14:15], v[8:9]
	s_cbranch_scc1 .LBB126_4856
; %bb.4850:
	s_and_b32 s0, 0xffff, s61
	s_mov_b32 s2, 0
	s_cmp_gt_i32 s0, 25
	s_cbranch_scc0 .LBB126_4857
; %bb.4851:
	s_cmp_gt_i32 s0, 28
	s_cbranch_scc0 .LBB126_4858
; %bb.4852:
	s_cmp_gt_i32 s0, 43
	s_cbranch_scc0 .LBB126_4859
; %bb.4853:
	s_cmp_gt_i32 s0, 45
	s_cbranch_scc0 .LBB126_4861
; %bb.4854:
	s_cmp_eq_u32 s0, 46
	s_mov_b32 s18, 0
	s_cbranch_scc0 .LBB126_4862
; %bb.4855:
	global_load_b32 v1, v[18:19], off
	s_mov_b32 s1, 0
	s_mov_b32 s3, -1
	s_wait_loadcnt 0x0
	v_lshlrev_b32_e32 v1, 16, v1
	s_delay_alu instid0(VALU_DEP_1) | instskip(NEXT) | instid1(VALU_DEP_1)
	v_trunc_f32_e32 v1, v1
	v_mul_f32_e64 v3, 0x2f800000, |v1|
	v_ashrrev_i32_e32 v20, 31, v1
	s_delay_alu instid0(VALU_DEP_2) | instskip(NEXT) | instid1(VALU_DEP_2)
	v_floor_f32_e32 v3, v3
	v_mov_b32_e32 v21, v20
	s_delay_alu instid0(VALU_DEP_2) | instskip(SKIP_1) | instid1(VALU_DEP_2)
	v_fma_f32 v5, 0xcf800000, v3, |v1|
	v_cvt_u32_f32_e32 v1, v3
	v_cvt_u32_f32_e32 v3, v5
	s_delay_alu instid0(VALU_DEP_2) | instskip(NEXT) | instid1(VALU_DEP_2)
	v_xor_b32_e32 v25, v1, v20
	v_xor_b32_e32 v24, v3, v20
	s_delay_alu instid0(VALU_DEP_1)
	v_sub_nc_u64_e32 v[20:21], v[24:25], v[20:21]
	s_branch .LBB126_4864
.LBB126_4856:
	s_mov_b32 s0, -1
	s_mov_b32 s3, 0
                                        ; implicit-def: $vgpr20_vgpr21
	s_branch .LBB126_4926
.LBB126_4857:
	s_mov_b32 s18, -1
	s_mov_b32 s3, 0
	s_mov_b32 s1, 0
                                        ; implicit-def: $vgpr20_vgpr21
	s_branch .LBB126_4891
.LBB126_4858:
	s_mov_b32 s18, -1
	s_mov_b32 s3, 0
	s_mov_b32 s1, 0
                                        ; implicit-def: $vgpr20_vgpr21
	s_branch .LBB126_4874
.LBB126_4859:
	s_mov_b32 s18, -1
	s_mov_b32 s3, 0
	s_mov_b32 s1, 0
                                        ; implicit-def: $vgpr20_vgpr21
	s_branch .LBB126_4869
.LBB126_4860:
	s_or_b32 s68, s68, exec_lo
	s_trap 2
	s_cbranch_execz .LBB126_4797
	s_branch .LBB126_4798
.LBB126_4861:
	s_mov_b32 s18, -1
	s_mov_b32 s3, 0
	s_mov_b32 s1, 0
	s_branch .LBB126_4863
.LBB126_4862:
	s_mov_b32 s1, -1
	s_mov_b32 s3, 0
.LBB126_4863:
                                        ; implicit-def: $vgpr20_vgpr21
.LBB126_4864:
	s_and_b32 vcc_lo, exec_lo, s18
	s_cbranch_vccz .LBB126_4868
; %bb.4865:
	s_cmp_eq_u32 s0, 44
	s_cbranch_scc0 .LBB126_4867
; %bb.4866:
	global_load_u8 v1, v[18:19], off
	s_mov_b32 s1, 0
	s_mov_b32 s3, -1
	s_wait_loadcnt 0x0
	v_lshlrev_b32_e32 v3, 23, v1
	v_cmp_ne_u32_e32 vcc_lo, 0, v1
	s_delay_alu instid0(VALU_DEP_2) | instskip(NEXT) | instid1(VALU_DEP_1)
	v_trunc_f32_e32 v3, v3
	v_mul_f32_e64 v5, 0x2f800000, |v3|
	v_ashrrev_i32_e32 v20, 31, v3
	s_delay_alu instid0(VALU_DEP_2) | instskip(NEXT) | instid1(VALU_DEP_2)
	v_floor_f32_e32 v5, v5
	v_mov_b32_e32 v21, v20
	s_delay_alu instid0(VALU_DEP_2) | instskip(SKIP_1) | instid1(VALU_DEP_2)
	v_fma_f32 v7, 0xcf800000, v5, |v3|
	v_cvt_u32_f32_e32 v3, v5
	v_cvt_u32_f32_e32 v5, v7
	s_delay_alu instid0(VALU_DEP_2) | instskip(NEXT) | instid1(VALU_DEP_2)
	v_xor_b32_e32 v25, v3, v20
	v_xor_b32_e32 v24, v5, v20
	s_delay_alu instid0(VALU_DEP_1) | instskip(NEXT) | instid1(VALU_DEP_1)
	v_sub_nc_u64_e32 v[20:21], v[24:25], v[20:21]
	v_dual_cndmask_b32 v21, 0, v21 :: v_dual_cndmask_b32 v20, 0, v20
	s_branch .LBB126_4868
.LBB126_4867:
	s_mov_b32 s1, -1
                                        ; implicit-def: $vgpr20_vgpr21
.LBB126_4868:
	s_mov_b32 s18, 0
.LBB126_4869:
	s_delay_alu instid0(SALU_CYCLE_1)
	s_and_b32 vcc_lo, exec_lo, s18
	s_cbranch_vccz .LBB126_4873
; %bb.4870:
	s_cmp_eq_u32 s0, 29
	s_cbranch_scc0 .LBB126_4872
; %bb.4871:
	global_load_b64 v[20:21], v[18:19], off
	s_mov_b32 s1, 0
	s_mov_b32 s3, -1
	s_branch .LBB126_4873
.LBB126_4872:
	s_mov_b32 s1, -1
                                        ; implicit-def: $vgpr20_vgpr21
.LBB126_4873:
	s_mov_b32 s18, 0
.LBB126_4874:
	s_delay_alu instid0(SALU_CYCLE_1)
	s_and_b32 vcc_lo, exec_lo, s18
	s_cbranch_vccz .LBB126_4890
; %bb.4875:
	s_cmp_lt_i32 s0, 27
	s_cbranch_scc1 .LBB126_4878
; %bb.4876:
	s_cmp_gt_i32 s0, 27
	s_cbranch_scc0 .LBB126_4879
; %bb.4877:
	s_wait_loadcnt 0x0
	global_load_b32 v20, v[18:19], off
	v_mov_b32_e32 v21, 0
	s_mov_b32 s3, 0
	s_branch .LBB126_4880
.LBB126_4878:
	s_mov_b32 s3, -1
                                        ; implicit-def: $vgpr20_vgpr21
	s_branch .LBB126_4883
.LBB126_4879:
	s_mov_b32 s3, -1
                                        ; implicit-def: $vgpr20_vgpr21
.LBB126_4880:
	s_delay_alu instid0(SALU_CYCLE_1)
	s_and_not1_b32 vcc_lo, exec_lo, s3
	s_cbranch_vccnz .LBB126_4882
; %bb.4881:
	global_load_u16 v1, v[18:19], off
	s_mov_b32 s3, 0
	s_wait_loadcnt 0x1
	v_mov_b32_e32 v21, s3
	s_wait_loadcnt 0x0
	v_and_b32_e32 v20, 0xffff, v1
.LBB126_4882:
	s_mov_b32 s3, 0
.LBB126_4883:
	s_delay_alu instid0(SALU_CYCLE_1)
	s_and_not1_b32 vcc_lo, exec_lo, s3
	s_cbranch_vccnz .LBB126_4889
; %bb.4884:
	global_load_u8 v1, v[18:19], off
	s_mov_b32 s18, 0
	s_mov_b32 s3, exec_lo
	s_wait_loadcnt 0x0
	v_cmpx_lt_i16_e32 0x7f, v1
	s_xor_b32 s3, exec_lo, s3
	s_cbranch_execz .LBB126_4901
; %bb.4885:
	v_cmp_ne_u16_e32 vcc_lo, 0x80, v1
	s_and_b32 s18, vcc_lo, exec_lo
	s_and_not1_saveexec_b32 s3, s3
	s_cbranch_execnz .LBB126_4902
.LBB126_4886:
	s_or_b32 exec_lo, exec_lo, s3
	v_mov_b64_e32 v[20:21], 0
	s_and_saveexec_b32 s3, s18
	s_cbranch_execz .LBB126_4888
.LBB126_4887:
	v_and_b32_e32 v3, 0xffff, v1
	s_delay_alu instid0(VALU_DEP_1) | instskip(SKIP_1) | instid1(VALU_DEP_2)
	v_dual_lshlrev_b32 v1, 24, v1 :: v_dual_bitop2_b32 v5, 7, v3 bitop3:0x40
	v_bfe_u32 v20, v3, 3, 4
	v_and_b32_e32 v1, 0x80000000, v1
	s_delay_alu instid0(VALU_DEP_3) | instskip(NEXT) | instid1(VALU_DEP_3)
	v_clz_i32_u32_e32 v7, v5
	v_cmp_eq_u32_e32 vcc_lo, 0, v20
	s_delay_alu instid0(VALU_DEP_2) | instskip(NEXT) | instid1(VALU_DEP_1)
	v_min_u32_e32 v7, 32, v7
	v_subrev_nc_u32_e32 v9, 28, v7
	v_sub_nc_u32_e32 v7, 29, v7
	s_delay_alu instid0(VALU_DEP_2) | instskip(NEXT) | instid1(VALU_DEP_2)
	v_lshlrev_b32_e32 v3, v9, v3
	v_cndmask_b32_e32 v7, v20, v7, vcc_lo
	s_delay_alu instid0(VALU_DEP_2) | instskip(NEXT) | instid1(VALU_DEP_1)
	v_and_b32_e32 v3, 7, v3
	v_cndmask_b32_e32 v3, v5, v3, vcc_lo
	s_delay_alu instid0(VALU_DEP_3) | instskip(NEXT) | instid1(VALU_DEP_2)
	v_lshl_add_u32 v5, v7, 23, 0x3b800000
	v_lshlrev_b32_e32 v3, 20, v3
	s_delay_alu instid0(VALU_DEP_1) | instskip(NEXT) | instid1(VALU_DEP_1)
	v_or3_b32 v1, v1, v5, v3
	v_trunc_f32_e32 v1, v1
	s_delay_alu instid0(VALU_DEP_1) | instskip(SKIP_1) | instid1(VALU_DEP_2)
	v_mul_f32_e64 v3, 0x2f800000, |v1|
	v_ashrrev_i32_e32 v20, 31, v1
	v_floor_f32_e32 v3, v3
	s_delay_alu instid0(VALU_DEP_2) | instskip(NEXT) | instid1(VALU_DEP_2)
	v_mov_b32_e32 v21, v20
	v_fma_f32 v5, 0xcf800000, v3, |v1|
	v_cvt_u32_f32_e32 v1, v3
	s_delay_alu instid0(VALU_DEP_2) | instskip(NEXT) | instid1(VALU_DEP_2)
	v_cvt_u32_f32_e32 v3, v5
	v_xor_b32_e32 v25, v1, v20
	s_delay_alu instid0(VALU_DEP_2) | instskip(NEXT) | instid1(VALU_DEP_1)
	v_xor_b32_e32 v24, v3, v20
	v_sub_nc_u64_e32 v[20:21], v[24:25], v[20:21]
.LBB126_4888:
	s_or_b32 exec_lo, exec_lo, s3
.LBB126_4889:
	s_mov_b32 s3, -1
.LBB126_4890:
	s_mov_b32 s18, 0
.LBB126_4891:
	s_delay_alu instid0(SALU_CYCLE_1)
	s_and_b32 vcc_lo, exec_lo, s18
	s_cbranch_vccz .LBB126_4922
; %bb.4892:
	s_cmp_gt_i32 s0, 22
	s_cbranch_scc0 .LBB126_4900
; %bb.4893:
	s_cmp_lt_i32 s0, 24
	s_cbranch_scc1 .LBB126_4903
; %bb.4894:
	s_cmp_gt_i32 s0, 24
	s_cbranch_scc0 .LBB126_4904
; %bb.4895:
	global_load_u8 v1, v[18:19], off
	s_mov_b32 s3, 0
	s_mov_b32 s2, exec_lo
	s_wait_loadcnt 0x0
	v_cmpx_lt_i16_e32 0x7f, v1
	s_xor_b32 s2, exec_lo, s2
	s_cbranch_execz .LBB126_4916
; %bb.4896:
	v_cmp_ne_u16_e32 vcc_lo, 0x80, v1
	s_and_b32 s3, vcc_lo, exec_lo
	s_and_not1_saveexec_b32 s2, s2
	s_cbranch_execnz .LBB126_4917
.LBB126_4897:
	s_or_b32 exec_lo, exec_lo, s2
	v_mov_b64_e32 v[20:21], 0
	s_and_saveexec_b32 s2, s3
	s_cbranch_execz .LBB126_4899
.LBB126_4898:
	v_and_b32_e32 v3, 0xffff, v1
	s_delay_alu instid0(VALU_DEP_1) | instskip(SKIP_1) | instid1(VALU_DEP_2)
	v_dual_lshlrev_b32 v1, 24, v1 :: v_dual_bitop2_b32 v5, 3, v3 bitop3:0x40
	v_bfe_u32 v20, v3, 2, 5
	v_and_b32_e32 v1, 0x80000000, v1
	s_delay_alu instid0(VALU_DEP_3) | instskip(NEXT) | instid1(VALU_DEP_3)
	v_clz_i32_u32_e32 v7, v5
	v_cmp_eq_u32_e32 vcc_lo, 0, v20
	s_delay_alu instid0(VALU_DEP_2) | instskip(NEXT) | instid1(VALU_DEP_1)
	v_min_u32_e32 v7, 32, v7
	v_subrev_nc_u32_e32 v9, 29, v7
	v_sub_nc_u32_e32 v7, 30, v7
	s_delay_alu instid0(VALU_DEP_2) | instskip(NEXT) | instid1(VALU_DEP_2)
	v_lshlrev_b32_e32 v3, v9, v3
	v_cndmask_b32_e32 v7, v20, v7, vcc_lo
	s_delay_alu instid0(VALU_DEP_2) | instskip(NEXT) | instid1(VALU_DEP_1)
	v_and_b32_e32 v3, 3, v3
	v_cndmask_b32_e32 v3, v5, v3, vcc_lo
	s_delay_alu instid0(VALU_DEP_3) | instskip(NEXT) | instid1(VALU_DEP_2)
	v_lshl_add_u32 v5, v7, 23, 0x37800000
	v_lshlrev_b32_e32 v3, 21, v3
	s_delay_alu instid0(VALU_DEP_1) | instskip(NEXT) | instid1(VALU_DEP_1)
	v_or3_b32 v1, v1, v5, v3
	v_trunc_f32_e32 v1, v1
	s_delay_alu instid0(VALU_DEP_1) | instskip(SKIP_1) | instid1(VALU_DEP_2)
	v_mul_f32_e64 v3, 0x2f800000, |v1|
	v_ashrrev_i32_e32 v20, 31, v1
	v_floor_f32_e32 v3, v3
	s_delay_alu instid0(VALU_DEP_2) | instskip(NEXT) | instid1(VALU_DEP_2)
	v_mov_b32_e32 v21, v20
	v_fma_f32 v5, 0xcf800000, v3, |v1|
	v_cvt_u32_f32_e32 v1, v3
	s_delay_alu instid0(VALU_DEP_2) | instskip(NEXT) | instid1(VALU_DEP_2)
	v_cvt_u32_f32_e32 v3, v5
	v_xor_b32_e32 v25, v1, v20
	s_delay_alu instid0(VALU_DEP_2) | instskip(NEXT) | instid1(VALU_DEP_1)
	v_xor_b32_e32 v24, v3, v20
	v_sub_nc_u64_e32 v[20:21], v[24:25], v[20:21]
.LBB126_4899:
	s_or_b32 exec_lo, exec_lo, s2
	s_mov_b32 s2, 0
	s_branch .LBB126_4905
.LBB126_4900:
	s_mov_b32 s2, -1
                                        ; implicit-def: $vgpr20_vgpr21
	s_branch .LBB126_4911
.LBB126_4901:
	s_and_not1_saveexec_b32 s3, s3
	s_cbranch_execz .LBB126_4886
.LBB126_4902:
	v_cmp_ne_u16_e32 vcc_lo, 0, v1
	s_and_not1_b32 s18, s18, exec_lo
	s_and_b32 s19, vcc_lo, exec_lo
	s_delay_alu instid0(SALU_CYCLE_1)
	s_or_b32 s18, s18, s19
	s_or_b32 exec_lo, exec_lo, s3
	v_mov_b64_e32 v[20:21], 0
	s_and_saveexec_b32 s3, s18
	s_cbranch_execnz .LBB126_4887
	s_branch .LBB126_4888
.LBB126_4903:
	s_mov_b32 s2, -1
                                        ; implicit-def: $vgpr20_vgpr21
	s_branch .LBB126_4908
.LBB126_4904:
	s_mov_b32 s2, -1
                                        ; implicit-def: $vgpr20_vgpr21
.LBB126_4905:
	s_delay_alu instid0(SALU_CYCLE_1)
	s_and_b32 vcc_lo, exec_lo, s2
	s_cbranch_vccz .LBB126_4907
; %bb.4906:
	global_load_u8 v1, v[18:19], off
	s_wait_loadcnt 0x0
	v_lshlrev_b32_e32 v1, 24, v1
	s_delay_alu instid0(VALU_DEP_1) | instskip(NEXT) | instid1(VALU_DEP_1)
	v_and_b32_e32 v3, 0x7f000000, v1
	v_clz_i32_u32_e32 v5, v3
	v_add_nc_u32_e32 v9, 0x1000000, v3
	v_cmp_ne_u32_e32 vcc_lo, 0, v3
	s_delay_alu instid0(VALU_DEP_3) | instskip(NEXT) | instid1(VALU_DEP_1)
	v_min_u32_e32 v5, 32, v5
	v_sub_nc_u32_e64 v5, v5, 4 clamp
	s_delay_alu instid0(VALU_DEP_1) | instskip(NEXT) | instid1(VALU_DEP_1)
	v_dual_lshlrev_b32 v7, v5, v3 :: v_dual_lshlrev_b32 v5, 23, v5
	v_lshrrev_b32_e32 v7, 4, v7
	s_delay_alu instid0(VALU_DEP_1) | instskip(SKIP_1) | instid1(VALU_DEP_2)
	v_sub_nc_u32_e32 v5, v7, v5
	v_ashrrev_i32_e32 v7, 8, v9
	v_add_nc_u32_e32 v5, 0x3c000000, v5
	s_delay_alu instid0(VALU_DEP_1) | instskip(NEXT) | instid1(VALU_DEP_1)
	v_and_or_b32 v5, 0x7f800000, v7, v5
	v_cndmask_b32_e32 v3, 0, v5, vcc_lo
	s_delay_alu instid0(VALU_DEP_1) | instskip(NEXT) | instid1(VALU_DEP_1)
	v_and_or_b32 v1, 0x80000000, v1, v3
	v_trunc_f32_e32 v1, v1
	s_delay_alu instid0(VALU_DEP_1) | instskip(SKIP_1) | instid1(VALU_DEP_2)
	v_mul_f32_e64 v3, 0x2f800000, |v1|
	v_ashrrev_i32_e32 v20, 31, v1
	v_floor_f32_e32 v3, v3
	s_delay_alu instid0(VALU_DEP_2) | instskip(NEXT) | instid1(VALU_DEP_2)
	v_mov_b32_e32 v21, v20
	v_fma_f32 v5, 0xcf800000, v3, |v1|
	v_cvt_u32_f32_e32 v1, v3
	s_delay_alu instid0(VALU_DEP_2) | instskip(NEXT) | instid1(VALU_DEP_2)
	v_cvt_u32_f32_e32 v3, v5
	v_xor_b32_e32 v25, v1, v20
	s_delay_alu instid0(VALU_DEP_2) | instskip(NEXT) | instid1(VALU_DEP_1)
	v_xor_b32_e32 v24, v3, v20
	v_sub_nc_u64_e32 v[20:21], v[24:25], v[20:21]
.LBB126_4907:
	s_mov_b32 s2, 0
.LBB126_4908:
	s_delay_alu instid0(SALU_CYCLE_1)
	s_and_not1_b32 vcc_lo, exec_lo, s2
	s_cbranch_vccnz .LBB126_4910
; %bb.4909:
	global_load_u8 v1, v[18:19], off
	s_wait_loadcnt 0x0
	v_lshlrev_b32_e32 v3, 25, v1
	v_lshlrev_b16 v1, 8, v1
	s_delay_alu instid0(VALU_DEP_1) | instskip(SKIP_1) | instid1(VALU_DEP_2)
	v_and_or_b32 v7, 0x7f00, v1, 0.5
	v_bfe_i32 v1, v1, 0, 16
	v_add_f32_e32 v7, -0.5, v7
	v_lshrrev_b32_e32 v5, 4, v3
	v_cmp_gt_u32_e32 vcc_lo, 0x8000000, v3
	s_delay_alu instid0(VALU_DEP_2) | instskip(NEXT) | instid1(VALU_DEP_1)
	v_or_b32_e32 v5, 0x70000000, v5
	v_mul_f32_e32 v5, 0x7800000, v5
	s_delay_alu instid0(VALU_DEP_1) | instskip(NEXT) | instid1(VALU_DEP_1)
	v_cndmask_b32_e32 v3, v5, v7, vcc_lo
	v_and_or_b32 v1, 0x80000000, v1, v3
	s_delay_alu instid0(VALU_DEP_1) | instskip(NEXT) | instid1(VALU_DEP_1)
	v_trunc_f32_e32 v1, v1
	v_mul_f32_e64 v3, 0x2f800000, |v1|
	v_ashrrev_i32_e32 v20, 31, v1
	s_delay_alu instid0(VALU_DEP_2) | instskip(NEXT) | instid1(VALU_DEP_2)
	v_floor_f32_e32 v3, v3
	v_mov_b32_e32 v21, v20
	s_delay_alu instid0(VALU_DEP_2) | instskip(SKIP_1) | instid1(VALU_DEP_2)
	v_fma_f32 v5, 0xcf800000, v3, |v1|
	v_cvt_u32_f32_e32 v1, v3
	v_cvt_u32_f32_e32 v3, v5
	s_delay_alu instid0(VALU_DEP_2) | instskip(NEXT) | instid1(VALU_DEP_2)
	v_xor_b32_e32 v25, v1, v20
	v_xor_b32_e32 v24, v3, v20
	s_delay_alu instid0(VALU_DEP_1)
	v_sub_nc_u64_e32 v[20:21], v[24:25], v[20:21]
.LBB126_4910:
	s_mov_b32 s2, 0
	s_mov_b32 s3, -1
.LBB126_4911:
	s_and_not1_b32 vcc_lo, exec_lo, s2
	s_mov_b32 s2, 0
	s_cbranch_vccnz .LBB126_4922
; %bb.4912:
	s_cmp_gt_i32 s0, 14
	s_cbranch_scc0 .LBB126_4915
; %bb.4913:
	s_cmp_eq_u32 s0, 15
	s_cbranch_scc0 .LBB126_4918
; %bb.4914:
	global_load_u16 v1, v[18:19], off
	s_mov_b32 s1, 0
	s_mov_b32 s3, -1
	s_wait_loadcnt 0x0
	v_lshlrev_b32_e32 v1, 16, v1
	s_delay_alu instid0(VALU_DEP_1) | instskip(NEXT) | instid1(VALU_DEP_1)
	v_trunc_f32_e32 v1, v1
	v_mul_f32_e64 v3, 0x2f800000, |v1|
	v_ashrrev_i32_e32 v20, 31, v1
	s_delay_alu instid0(VALU_DEP_2) | instskip(NEXT) | instid1(VALU_DEP_2)
	v_floor_f32_e32 v3, v3
	v_mov_b32_e32 v21, v20
	s_delay_alu instid0(VALU_DEP_2) | instskip(SKIP_1) | instid1(VALU_DEP_2)
	v_fma_f32 v5, 0xcf800000, v3, |v1|
	v_cvt_u32_f32_e32 v1, v3
	v_cvt_u32_f32_e32 v3, v5
	s_delay_alu instid0(VALU_DEP_2) | instskip(NEXT) | instid1(VALU_DEP_2)
	v_xor_b32_e32 v25, v1, v20
	v_xor_b32_e32 v24, v3, v20
	s_delay_alu instid0(VALU_DEP_1)
	v_sub_nc_u64_e32 v[20:21], v[24:25], v[20:21]
	s_branch .LBB126_4920
.LBB126_4915:
	s_mov_b32 s2, -1
	s_branch .LBB126_4919
.LBB126_4916:
	s_and_not1_saveexec_b32 s2, s2
	s_cbranch_execz .LBB126_4897
.LBB126_4917:
	v_cmp_ne_u16_e32 vcc_lo, 0, v1
	s_and_not1_b32 s3, s3, exec_lo
	s_and_b32 s18, vcc_lo, exec_lo
	s_delay_alu instid0(SALU_CYCLE_1)
	s_or_b32 s3, s3, s18
	s_or_b32 exec_lo, exec_lo, s2
	v_mov_b64_e32 v[20:21], 0
	s_and_saveexec_b32 s2, s3
	s_cbranch_execnz .LBB126_4898
	s_branch .LBB126_4899
.LBB126_4918:
	s_mov_b32 s1, -1
.LBB126_4919:
                                        ; implicit-def: $vgpr20_vgpr21
.LBB126_4920:
	s_and_b32 vcc_lo, exec_lo, s2
	s_mov_b32 s2, 0
	s_cbranch_vccz .LBB126_4922
; %bb.4921:
	s_cmp_lg_u32 s0, 11
	s_mov_b32 s2, -1
	s_cselect_b32 s1, -1, 0
.LBB126_4922:
	s_delay_alu instid0(SALU_CYCLE_1)
	s_and_b32 vcc_lo, exec_lo, s1
	s_cbranch_vccnz .LBB126_5010
; %bb.4923:
	s_and_not1_b32 vcc_lo, exec_lo, s2
	s_cbranch_vccnz .LBB126_4925
.LBB126_4924:
	global_load_u8 v1, v[18:19], off
	s_mov_b32 s0, 0
	s_mov_b32 s3, -1
	s_wait_loadcnt 0x1
	v_mov_b32_e32 v21, s0
	s_wait_loadcnt 0x0
	v_cmp_ne_u16_e32 vcc_lo, 0, v1
	v_cndmask_b32_e64 v20, 0, 1, vcc_lo
.LBB126_4925:
	s_mov_b32 s0, 0
.LBB126_4926:
	s_delay_alu instid0(SALU_CYCLE_1)
	s_and_b32 vcc_lo, exec_lo, s0
	s_cbranch_vccz .LBB126_4975
; %bb.4927:
	s_and_b32 s0, 0xffff, s61
	s_delay_alu instid0(SALU_CYCLE_1)
	s_cmp_lt_i32 s0, 5
	s_cbranch_scc1 .LBB126_4932
; %bb.4928:
	s_cmp_lt_i32 s0, 8
	s_cbranch_scc1 .LBB126_4933
; %bb.4929:
	;; [unrolled: 3-line block ×3, first 2 shown]
	s_cmp_gt_i32 s0, 9
	s_cbranch_scc0 .LBB126_4935
; %bb.4931:
	s_wait_loadcnt 0x0
	global_load_b64 v[20:21], v[18:19], off
	s_mov_b32 s1, 0
	s_wait_loadcnt 0x0
	v_trunc_f64_e32 v[20:21], v[20:21]
	s_delay_alu instid0(VALU_DEP_1) | instskip(NEXT) | instid1(VALU_DEP_1)
	v_ldexp_f64 v[24:25], v[20:21], 0xffffffe0
	v_floor_f64_e32 v[24:25], v[24:25]
	s_delay_alu instid0(VALU_DEP_1) | instskip(SKIP_1) | instid1(VALU_DEP_2)
	v_fmamk_f64 v[26:27], v[24:25], 0xc1f00000, v[20:21]
	v_cvt_i32_f64_e32 v21, v[24:25]
	v_cvt_u32_f64_e32 v20, v[26:27]
	s_branch .LBB126_4936
.LBB126_4932:
	s_mov_b32 s1, -1
                                        ; implicit-def: $vgpr20_vgpr21
	s_branch .LBB126_4954
.LBB126_4933:
	s_mov_b32 s1, -1
                                        ; implicit-def: $vgpr20_vgpr21
	s_branch .LBB126_4942
.LBB126_4934:
	s_mov_b32 s1, -1
                                        ; implicit-def: $vgpr20_vgpr21
	s_branch .LBB126_4939
.LBB126_4935:
	s_mov_b32 s1, -1
                                        ; implicit-def: $vgpr20_vgpr21
.LBB126_4936:
	s_delay_alu instid0(SALU_CYCLE_1)
	s_and_not1_b32 vcc_lo, exec_lo, s1
	s_cbranch_vccnz .LBB126_4938
; %bb.4937:
	global_load_b32 v1, v[18:19], off
	s_wait_loadcnt 0x0
	v_trunc_f32_e32 v1, v1
	s_delay_alu instid0(VALU_DEP_1) | instskip(SKIP_1) | instid1(VALU_DEP_2)
	v_mul_f32_e64 v3, 0x2f800000, |v1|
	v_ashrrev_i32_e32 v20, 31, v1
	v_floor_f32_e32 v3, v3
	s_delay_alu instid0(VALU_DEP_1) | instskip(SKIP_1) | instid1(VALU_DEP_4)
	v_fma_f32 v5, 0xcf800000, v3, |v1|
	v_cvt_u32_f32_e32 v1, v3
	v_mov_b32_e32 v21, v20
	s_delay_alu instid0(VALU_DEP_3) | instskip(NEXT) | instid1(VALU_DEP_3)
	v_cvt_u32_f32_e32 v3, v5
	v_xor_b32_e32 v25, v1, v20
	s_delay_alu instid0(VALU_DEP_2) | instskip(NEXT) | instid1(VALU_DEP_1)
	v_xor_b32_e32 v24, v3, v20
	v_sub_nc_u64_e32 v[20:21], v[24:25], v[20:21]
.LBB126_4938:
	s_mov_b32 s1, 0
.LBB126_4939:
	s_delay_alu instid0(SALU_CYCLE_1)
	s_and_not1_b32 vcc_lo, exec_lo, s1
	s_cbranch_vccnz .LBB126_4941
; %bb.4940:
	global_load_b32 v1, v[18:19], off
	s_wait_loadcnt 0x0
	v_cvt_f32_f16_e32 v1, v1
	s_delay_alu instid0(VALU_DEP_1) | instskip(NEXT) | instid1(VALU_DEP_1)
	v_cvt_i32_f32_e32 v20, v1
	v_ashrrev_i32_e32 v21, 31, v20
.LBB126_4941:
	s_mov_b32 s1, 0
.LBB126_4942:
	s_delay_alu instid0(SALU_CYCLE_1)
	s_and_not1_b32 vcc_lo, exec_lo, s1
	s_cbranch_vccnz .LBB126_4953
; %bb.4943:
	s_cmp_lt_i32 s0, 6
	s_cbranch_scc1 .LBB126_4946
; %bb.4944:
	s_cmp_gt_i32 s0, 6
	s_cbranch_scc0 .LBB126_4947
; %bb.4945:
	s_wait_loadcnt 0x0
	global_load_b64 v[20:21], v[18:19], off
	s_mov_b32 s1, 0
	s_wait_loadcnt 0x0
	v_trunc_f64_e32 v[20:21], v[20:21]
	s_delay_alu instid0(VALU_DEP_1) | instskip(NEXT) | instid1(VALU_DEP_1)
	v_ldexp_f64 v[24:25], v[20:21], 0xffffffe0
	v_floor_f64_e32 v[24:25], v[24:25]
	s_delay_alu instid0(VALU_DEP_1) | instskip(SKIP_1) | instid1(VALU_DEP_2)
	v_fmamk_f64 v[26:27], v[24:25], 0xc1f00000, v[20:21]
	v_cvt_i32_f64_e32 v21, v[24:25]
	v_cvt_u32_f64_e32 v20, v[26:27]
	s_branch .LBB126_4948
.LBB126_4946:
	s_mov_b32 s1, -1
                                        ; implicit-def: $vgpr20_vgpr21
	s_branch .LBB126_4951
.LBB126_4947:
	s_mov_b32 s1, -1
                                        ; implicit-def: $vgpr20_vgpr21
.LBB126_4948:
	s_delay_alu instid0(SALU_CYCLE_1)
	s_and_not1_b32 vcc_lo, exec_lo, s1
	s_cbranch_vccnz .LBB126_4950
; %bb.4949:
	global_load_b32 v1, v[18:19], off
	s_wait_loadcnt 0x0
	v_trunc_f32_e32 v1, v1
	s_delay_alu instid0(VALU_DEP_1) | instskip(SKIP_1) | instid1(VALU_DEP_2)
	v_mul_f32_e64 v3, 0x2f800000, |v1|
	v_ashrrev_i32_e32 v20, 31, v1
	v_floor_f32_e32 v3, v3
	s_delay_alu instid0(VALU_DEP_1) | instskip(SKIP_1) | instid1(VALU_DEP_4)
	v_fma_f32 v5, 0xcf800000, v3, |v1|
	v_cvt_u32_f32_e32 v1, v3
	v_mov_b32_e32 v21, v20
	s_delay_alu instid0(VALU_DEP_3) | instskip(NEXT) | instid1(VALU_DEP_3)
	v_cvt_u32_f32_e32 v3, v5
	v_xor_b32_e32 v25, v1, v20
	s_delay_alu instid0(VALU_DEP_2) | instskip(NEXT) | instid1(VALU_DEP_1)
	v_xor_b32_e32 v24, v3, v20
	v_sub_nc_u64_e32 v[20:21], v[24:25], v[20:21]
.LBB126_4950:
	s_mov_b32 s1, 0
.LBB126_4951:
	s_delay_alu instid0(SALU_CYCLE_1)
	s_and_not1_b32 vcc_lo, exec_lo, s1
	s_cbranch_vccnz .LBB126_4953
; %bb.4952:
	global_load_u16 v1, v[18:19], off
	s_wait_loadcnt 0x0
	v_cvt_f32_f16_e32 v1, v1
	s_delay_alu instid0(VALU_DEP_1) | instskip(NEXT) | instid1(VALU_DEP_1)
	v_cvt_i32_f32_e32 v20, v1
	v_ashrrev_i32_e32 v21, 31, v20
.LBB126_4953:
	s_mov_b32 s1, 0
.LBB126_4954:
	s_delay_alu instid0(SALU_CYCLE_1)
	s_and_not1_b32 vcc_lo, exec_lo, s1
	s_cbranch_vccnz .LBB126_4974
; %bb.4955:
	s_cmp_lt_i32 s0, 2
	s_cbranch_scc1 .LBB126_4959
; %bb.4956:
	s_cmp_lt_i32 s0, 3
	s_cbranch_scc1 .LBB126_4960
; %bb.4957:
	s_cmp_gt_i32 s0, 3
	s_cbranch_scc0 .LBB126_4961
; %bb.4958:
	s_wait_loadcnt 0x0
	global_load_b64 v[20:21], v[18:19], off
	s_mov_b32 s1, 0
	s_branch .LBB126_4962
.LBB126_4959:
	s_mov_b32 s1, -1
                                        ; implicit-def: $vgpr20_vgpr21
	s_branch .LBB126_4968
.LBB126_4960:
	s_mov_b32 s1, -1
                                        ; implicit-def: $vgpr20_vgpr21
	s_branch .LBB126_4965
.LBB126_4961:
	s_mov_b32 s1, -1
                                        ; implicit-def: $vgpr20_vgpr21
.LBB126_4962:
	s_delay_alu instid0(SALU_CYCLE_1)
	s_and_not1_b32 vcc_lo, exec_lo, s1
	s_cbranch_vccnz .LBB126_4964
; %bb.4963:
	s_wait_loadcnt 0x0
	global_load_b32 v20, v[18:19], off
	s_wait_loadcnt 0x0
	v_ashrrev_i32_e32 v21, 31, v20
.LBB126_4964:
	s_mov_b32 s1, 0
.LBB126_4965:
	s_delay_alu instid0(SALU_CYCLE_1)
	s_and_not1_b32 vcc_lo, exec_lo, s1
	s_cbranch_vccnz .LBB126_4967
; %bb.4966:
	global_load_u16 v1, v[18:19], off
	s_wait_loadcnt 0x0
	v_bfe_i32 v20, v1, 0, 16
	s_delay_alu instid0(VALU_DEP_1)
	v_ashrrev_i32_e32 v21, 31, v20
.LBB126_4967:
	s_mov_b32 s1, 0
.LBB126_4968:
	s_delay_alu instid0(SALU_CYCLE_1)
	s_and_not1_b32 vcc_lo, exec_lo, s1
	s_cbranch_vccnz .LBB126_4974
; %bb.4969:
	s_cmp_gt_i32 s0, 0
	s_mov_b32 s0, 0
	s_cbranch_scc0 .LBB126_4971
; %bb.4970:
	global_load_i8 v1, v[18:19], off
	s_wait_loadcnt 0x0
	v_bfe_i32 v20, v1, 0, 16
	s_delay_alu instid0(VALU_DEP_1)
	v_ashrrev_i32_e32 v21, 31, v20
	s_branch .LBB126_4972
.LBB126_4971:
	s_mov_b32 s0, -1
                                        ; implicit-def: $vgpr20_vgpr21
.LBB126_4972:
	s_delay_alu instid0(SALU_CYCLE_1)
	s_and_not1_b32 vcc_lo, exec_lo, s0
	s_cbranch_vccnz .LBB126_4974
; %bb.4973:
	global_load_u8 v1, v[18:19], off
	s_mov_b32 s0, 0
	s_wait_loadcnt 0x1
	v_mov_b32_e32 v21, s0
	s_wait_loadcnt 0x0
	v_and_b32_e32 v20, 0xffff, v1
.LBB126_4974:
	s_mov_b32 s3, -1
.LBB126_4975:
	s_delay_alu instid0(SALU_CYCLE_1)
	s_and_not1_b32 vcc_lo, exec_lo, s3
	s_cbranch_vccnz .LBB126_4984
; %bb.4976:
	s_mov_b32 s0, exec_lo
	s_wait_loadcnt 0x0
	v_cmpx_ne_u64_e64 s[36:37], v[10:11]
	s_xor_b32 s0, exec_lo, s0
	s_cbranch_execnz .LBB126_5144
.LBB126_4977:
	s_or_saveexec_b32 s74, s0
	s_mov_b32 s1, 0
	s_mov_b32 s2, 0
                                        ; implicit-def: $sgpr0
                                        ; implicit-def: $vgpr10_vgpr11
	s_xor_b32 exec_lo, exec_lo, s74
	s_cbranch_execz .LBB126_5655
; %bb.4978:
	s_mov_b32 s75, s68
	s_mov_b32 s0, exec_lo
	v_cmpx_ne_u64_e64 s[40:41], v[12:13]
	s_xor_b32 s0, exec_lo, s0
	s_cbranch_execnz .LBB126_5272
; %bb.4979:
	s_or_saveexec_b32 s76, s0
                                        ; implicit-def: $sgpr0
                                        ; implicit-def: $vgpr10_vgpr11
	s_delay_alu instid0(SALU_CYCLE_1)
	s_xor_b32 exec_lo, exec_lo, s76
	s_cbranch_execz .LBB126_5654
.LBB126_4980:
	v_sub_nc_u64_e32 v[10:11], v[16:17], v[14:15]
	s_mov_b32 s77, s75
	s_delay_alu instid0(VALU_DEP_1) | instskip(SKIP_2) | instid1(SALU_CYCLE_1)
	v_cmp_gt_i64_e32 vcc_lo, s[36:37], v[10:11]
	v_cmp_lt_i64_e64 s0, s[38:39], v[10:11]
	s_or_b32 s0, vcc_lo, s0
	s_and_saveexec_b32 s1, s0
	s_delay_alu instid0(SALU_CYCLE_1)
	s_xor_b32 s0, exec_lo, s1
	s_cbranch_execnz .LBB126_5400
.LBB126_4981:
	s_or_saveexec_b32 s78, s0
	s_mov_b32 s1, 0
	s_mov_b32 s3, 0
                                        ; implicit-def: $sgpr0
                                        ; implicit-def: $vgpr10_vgpr11
	s_xor_b32 exec_lo, exec_lo, s78
	s_cbranch_execz .LBB126_5653
; %bb.4982:
	v_cmp_ne_u32_e32 vcc_lo, 1, v23
	v_mov_b64_e32 v[10:11], 0
	s_cbranch_vccnz .LBB126_4995
; %bb.4983:
	v_mul_u64_e32 v[18:19], s[40:41], v[20:21]
	v_mov_b64_e32 v[10:11], 0
	s_mov_b32 s29, s1
	v_mov_b32_e32 v12, 0
	s_lshl_b64 s[30:31], s[28:29], 3
	s_mov_b64 s[2:3], 0xffffffff
	s_add_nc_u64 s[18:19], s[20:21], s[30:31]
	s_add_nc_u64 s[30:31], s[22:23], s[30:31]
	s_mov_b32 s29, s42
	s_branch .LBB126_4991
.LBB126_4984:
	s_mov_b32 s1, 0
	s_mov_b32 s2, 0
                                        ; implicit-def: $sgpr0
                                        ; implicit-def: $vgpr10_vgpr11
.LBB126_4985:
	s_and_not1_b32 s3, s66, exec_lo
	s_and_b32 s4, s68, exec_lo
	s_and_b32 s2, s2, exec_lo
	;; [unrolled: 1-line block ×3, first 2 shown]
	s_or_b32 s66, s3, s4
.LBB126_4986:
	s_wait_xcnt 0x0
	s_or_b32 exec_lo, exec_lo, s67
	s_delay_alu instid0(SALU_CYCLE_1)
	s_and_not1_b32 s3, s64, exec_lo
	s_and_b32 s4, s66, exec_lo
	s_and_b32 s2, s2, exec_lo
	;; [unrolled: 1-line block ×3, first 2 shown]
	s_or_b32 s64, s3, s4
.LBB126_4987:
	s_or_b32 exec_lo, exec_lo, s65
	s_delay_alu instid0(SALU_CYCLE_1)
	s_and_not1_b32 s3, s62, exec_lo
	s_and_b32 s4, s64, exec_lo
	s_and_b32 s2, s2, exec_lo
	;; [unrolled: 1-line block ×3, first 2 shown]
	s_or_b32 s62, s3, s4
.LBB126_4988:
	s_or_b32 exec_lo, exec_lo, s63
	s_delay_alu instid0(SALU_CYCLE_1)
	s_and_not1_b32 s3, s17, exec_lo
	s_and_b32 s4, s62, exec_lo
	s_and_b32 s2, s2, exec_lo
	;; [unrolled: 1-line block ×3, first 2 shown]
	s_or_b32 s17, s3, s4
.LBB126_4989:
	s_or_b32 exec_lo, exec_lo, s51
	s_branch .LBB126_4319
.LBB126_4990:                           ;   in Loop: Header=BB126_4991 Depth=1
	s_or_b32 exec_lo, exec_lo, s0
	global_load_b64 v[24:25], v12, s[30:31]
	v_mul_u64_e32 v[26:27], s[34:35], v[20:21]
	s_add_co_i32 s29, s29, -1
	s_add_nc_u64 s[18:19], s[18:19], -8
	s_cmp_eq_u32 s29, 0
	s_wait_xcnt 0x0
	s_add_nc_u64 s[30:31], s[30:31], -8
	s_delay_alu instid0(VALU_DEP_1) | instskip(SKIP_1) | instid1(VALU_DEP_1)
	v_sub_nc_u64_e32 v[18:19], v[18:19], v[26:27]
	s_wait_loadcnt 0x0
	v_mad_nc_u64_u32 v[10:11], v18, v24, v[10:11]
	s_delay_alu instid0(VALU_DEP_1) | instskip(NEXT) | instid1(VALU_DEP_1)
	v_mad_u32 v1, v19, v24, v11
	v_mad_u32 v11, v18, v25, v1
	v_mov_b64_e32 v[18:19], v[20:21]
	s_cbranch_scc1 .LBB126_4995
.LBB126_4991:                           ; =>This Inner Loop Header: Depth=1
	global_load_b64 v[20:21], v12, s[18:19]
	s_mov_b32 s0, exec_lo
	s_wait_loadcnt 0x0
	v_or_b32_e32 v13, v19, v21
	v_readfirstlane_b32 s34, v20
	v_readfirstlane_b32 s35, v21
                                        ; implicit-def: $vgpr20_vgpr21
	s_wait_xcnt 0x0
	s_delay_alu instid0(VALU_DEP_3)
	v_cmpx_ne_u64_e32 0, v[12:13]
	s_xor_b32 s79, exec_lo, s0
	s_cbranch_execz .LBB126_4993
; %bb.4992:                             ;   in Loop: Header=BB126_4991 Depth=1
	s_ashr_i32 s44, s35, 31
	v_dual_mov_b32 v27, v12 :: v_dual_ashrrev_i32 v20, 31, v19
	s_mov_b32 s45, s44
	v_mov_b32_e32 v31, v12
	s_add_nc_u64 s[46:47], s[34:35], s[44:45]
	s_delay_alu instid0(VALU_DEP_2)
	v_mov_b32_e32 v21, v20
	s_xor_b64 s[46:47], s[46:47], s[44:45]
	v_mov_b32_e32 v35, v12
	s_cvt_f32_u32 s0, s46
	s_cvt_f32_u32 s45, s47
	s_sub_nc_u64 s[82:83], 0, s[46:47]
	v_add_nc_u64_e32 v[24:25], v[18:19], v[20:21]
	s_delay_alu instid0(SALU_CYCLE_1) | instskip(NEXT) | instid1(SALU_CYCLE_3)
	s_fmamk_f32 s0, s45, 0x4f800000, s0
	v_s_rcp_f32 s0, s0
	s_delay_alu instid0(VALU_DEP_1) | instskip(NEXT) | instid1(VALU_DEP_2)
	v_xor_b32_e32 v30, v25, v20
	v_xor_b32_e32 v26, v24, v20
	;; [unrolled: 1-line block ×3, first 2 shown]
	s_delay_alu instid0(TRANS32_DEP_1) | instskip(NEXT) | instid1(VALU_DEP_1)
	s_mul_f32 s0, s0, 0x5f7ffffc
	v_mov_b32_e32 v21, v20
	s_delay_alu instid0(SALU_CYCLE_2) | instskip(NEXT) | instid1(SALU_CYCLE_3)
	s_mul_f32 s45, s0, 0x2f800000
	s_trunc_f32 s45, s45
	s_delay_alu instid0(SALU_CYCLE_3) | instskip(SKIP_1) | instid1(SALU_CYCLE_2)
	s_fmamk_f32 s0, s45, 0xcf800000, s0
	s_cvt_u32_f32 s81, s45
	s_cvt_u32_f32 s80, s0
	s_delay_alu instid0(SALU_CYCLE_3) | instskip(NEXT) | instid1(SALU_CYCLE_1)
	s_mul_u64 s[84:85], s[82:83], s[80:81]
	s_mul_hi_u32 s87, s80, s85
	s_mul_i32 s86, s80, s85
	s_mul_hi_u32 s0, s80, s84
	s_mul_i32 s88, s81, s84
	s_add_nc_u64 s[86:87], s[0:1], s[86:87]
	s_mul_hi_u32 s45, s81, s84
	s_mul_hi_u32 s89, s81, s85
	s_add_co_u32 s0, s86, s88
	s_add_co_ci_u32 s0, s87, s45
	s_mul_i32 s84, s81, s85
	s_add_co_ci_u32 s85, s89, 0
	s_delay_alu instid0(SALU_CYCLE_1) | instskip(NEXT) | instid1(SALU_CYCLE_1)
	s_add_nc_u64 s[84:85], s[0:1], s[84:85]
	s_add_co_u32 s80, s80, s84
	s_cselect_b32 s0, -1, 0
	s_delay_alu instid0(SALU_CYCLE_1) | instskip(SKIP_1) | instid1(SALU_CYCLE_1)
	s_cmp_lg_u32 s0, 0
	s_add_co_ci_u32 s81, s81, s85
	s_mul_u64 s[82:83], s[82:83], s[80:81]
	s_delay_alu instid0(SALU_CYCLE_1)
	s_mul_hi_u32 s85, s80, s83
	s_mul_i32 s84, s80, s83
	s_mul_hi_u32 s0, s80, s82
	s_mul_i32 s86, s81, s82
	s_add_nc_u64 s[84:85], s[0:1], s[84:85]
	s_mul_hi_u32 s45, s81, s82
	s_mul_hi_u32 s87, s81, s83
	s_add_co_u32 s0, s84, s86
	s_add_co_ci_u32 s0, s85, s45
	s_mul_i32 s82, s81, s83
	s_add_co_ci_u32 s83, s87, 0
	s_delay_alu instid0(SALU_CYCLE_1) | instskip(NEXT) | instid1(SALU_CYCLE_1)
	s_add_nc_u64 s[82:83], s[0:1], s[82:83]
	s_add_co_u32 s80, s80, s82
	s_cselect_b32 s0, -1, 0
	v_mul_hi_u32 v34, v26, s80
	s_cmp_lg_u32 s0, 0
	s_add_co_ci_u32 s0, s81, s83
	s_and_b64 s[82:83], s[80:81], s[2:3]
	v_mul_u64_e32 v[28:29], s[0:1], v[26:27]
	v_mul_u64_e32 v[24:25], s[82:83], v[30:31]
	;; [unrolled: 1-line block ×3, first 2 shown]
	s_delay_alu instid0(VALU_DEP_3) | instskip(NEXT) | instid1(VALU_DEP_1)
	v_add_nc_u64_e32 v[28:29], v[34:35], v[28:29]
	v_add_co_u32 v1, vcc_lo, v28, v24
	s_delay_alu instid0(VALU_DEP_2) | instskip(NEXT) | instid1(VALU_DEP_4)
	v_add_co_ci_u32_e32 v34, vcc_lo, v29, v25, vcc_lo
	v_add_co_ci_u32_e32 v33, vcc_lo, 0, v33, vcc_lo
	s_delay_alu instid0(VALU_DEP_1) | instskip(NEXT) | instid1(VALU_DEP_1)
	v_add_nc_u64_e32 v[24:25], v[34:35], v[32:33]
	v_mul_u64_e32 v[28:29], s[46:47], v[24:25]
	s_delay_alu instid0(VALU_DEP_1) | instskip(NEXT) | instid1(VALU_DEP_2)
	v_sub_nc_u32_e32 v1, v30, v29
	v_sub_co_u32 v3, vcc_lo, v26, v28
	s_delay_alu instid0(VALU_DEP_1) | instskip(NEXT) | instid1(VALU_DEP_3)
	v_sub_co_ci_u32_e64 v7, null, v30, v29, vcc_lo
	v_subrev_co_ci_u32_e64 v1, null, s47, v1, vcc_lo
	s_delay_alu instid0(VALU_DEP_3) | instskip(SKIP_1) | instid1(VALU_DEP_3)
	v_sub_co_u32 v5, s0, v3, s46
	v_add_nc_u64_e32 v[26:27], 2, v[24:25]
	v_subrev_co_ci_u32_e64 v1, null, 0, v1, s0
	s_delay_alu instid0(VALU_DEP_3) | instskip(SKIP_2) | instid1(VALU_DEP_4)
	v_cmp_le_u32_e32 vcc_lo, s46, v5
	v_add_nc_u64_e32 v[28:29], 1, v[24:25]
	v_cndmask_b32_e64 v5, 0, -1, vcc_lo
	v_cmp_le_u32_e32 vcc_lo, s47, v1
	v_cndmask_b32_e64 v9, 0, -1, vcc_lo
	v_cmp_le_u32_e32 vcc_lo, s46, v3
	;; [unrolled: 2-line block ×3, first 2 shown]
	v_cndmask_b32_e64 v13, 0, -1, vcc_lo
	v_cmp_eq_u32_e32 vcc_lo, s47, v1
	v_cndmask_b32_e32 v1, v9, v5, vcc_lo
	v_cmp_eq_u32_e32 vcc_lo, s47, v7
	s_delay_alu instid0(VALU_DEP_4) | instskip(NEXT) | instid1(VALU_DEP_3)
	v_cndmask_b32_e32 v3, v13, v3, vcc_lo
	v_cmp_ne_u32_e32 vcc_lo, 0, v1
	s_delay_alu instid0(VALU_DEP_2) | instskip(SKIP_1) | instid1(VALU_DEP_1)
	v_cmp_ne_u32_e64 s0, 0, v3
	v_dual_cndmask_b32 v1, v29, v27, vcc_lo :: v_dual_cndmask_b32 v3, v28, v26, vcc_lo
	v_dual_cndmask_b32 v1, v25, v1, s0 :: v_dual_cndmask_b32 v3, v24, v3, s0
	s_delay_alu instid0(VALU_DEP_1) | instskip(NEXT) | instid1(VALU_DEP_2)
	v_xor_b32_e32 v25, v1, v20
	v_xor_b32_e32 v24, v3, v20
	s_delay_alu instid0(VALU_DEP_1)
	v_sub_nc_u64_e32 v[20:21], v[24:25], v[20:21]
.LBB126_4993:                           ;   in Loop: Header=BB126_4991 Depth=1
	s_and_not1_saveexec_b32 s0, s79
	s_cbranch_execz .LBB126_4990
; %bb.4994:                             ;   in Loop: Header=BB126_4991 Depth=1
	v_cvt_f32_u32_e32 v1, s34
	s_sub_co_i32 s44, 0, s34
	v_mov_b32_e32 v21, v12
	s_delay_alu instid0(VALU_DEP_2) | instskip(SKIP_1) | instid1(TRANS32_DEP_1)
	v_rcp_iflag_f32_e32 v1, v1
	v_nop
	v_mul_f32_e32 v1, 0x4f7ffffe, v1
	s_delay_alu instid0(VALU_DEP_1) | instskip(NEXT) | instid1(VALU_DEP_1)
	v_cvt_u32_f32_e32 v1, v1
	v_mul_lo_u32 v3, s44, v1
	s_delay_alu instid0(VALU_DEP_1) | instskip(NEXT) | instid1(VALU_DEP_1)
	v_mul_hi_u32 v3, v1, v3
	v_add_nc_u32_e32 v1, v1, v3
	s_delay_alu instid0(VALU_DEP_1) | instskip(NEXT) | instid1(VALU_DEP_1)
	v_mul_hi_u32 v1, v18, v1
	v_mul_lo_u32 v3, v1, s34
	s_delay_alu instid0(VALU_DEP_1) | instskip(NEXT) | instid1(VALU_DEP_1)
	v_sub_nc_u32_e32 v3, v18, v3
	v_subrev_nc_u32_e32 v7, s34, v3
	v_cmp_le_u32_e32 vcc_lo, s34, v3
	s_delay_alu instid0(VALU_DEP_2) | instskip(NEXT) | instid1(VALU_DEP_1)
	v_dual_add_nc_u32 v5, 1, v1 :: v_dual_cndmask_b32 v3, v3, v7, vcc_lo
	v_cndmask_b32_e32 v1, v1, v5, vcc_lo
	s_delay_alu instid0(VALU_DEP_2) | instskip(NEXT) | instid1(VALU_DEP_2)
	v_cmp_le_u32_e32 vcc_lo, s34, v3
	v_add_nc_u32_e32 v5, 1, v1
	s_delay_alu instid0(VALU_DEP_1)
	v_cndmask_b32_e32 v20, v1, v5, vcc_lo
	s_branch .LBB126_4990
.LBB126_4995:
	s_mov_b32 s19, -1
	s_mov_b32 s1, s77
	s_mov_b32 s0, exec_lo
	v_cmpx_gt_i64_e64 v[16:17], v[14:15]
	s_cbranch_execz .LBB126_5002
; %bb.4996:
	s_delay_alu instid0(VALU_DEP_2) | instskip(SKIP_2) | instid1(VALU_DEP_1)
	v_lshlrev_b64_e32 v[10:11], 3, v[10:11]
	s_mov_b32 s2, 0
	s_xor_b32 s3, s50, -1
                                        ; implicit-def: $sgpr1
                                        ; implicit-def: $sgpr19
                                        ; implicit-def: $sgpr18
	v_lshl_add_u64 v[12:13], v[14:15], 3, v[10:11]
	v_add_nc_u64_e32 v[14:15], s[24:25], v[10:11]
	s_delay_alu instid0(VALU_DEP_2) | instskip(NEXT) | instid1(VALU_DEP_1)
	v_add_nc_u64_e32 v[12:13], s[24:25], v[12:13]
	v_add_nc_u64_e32 v[10:11], 8, v[12:13]
	s_delay_alu instid0(VALU_DEP_3)
	v_lshl_add_u64 v[12:13], v[16:17], 3, v[14:15]
	s_branch .LBB126_4998
.LBB126_4997:                           ;   in Loop: Header=BB126_4998 Depth=1
	s_or_b32 exec_lo, exec_lo, s29
	s_xor_b32 s29, s18, -1
	s_and_b32 s30, exec_lo, s19
	s_delay_alu instid0(SALU_CYCLE_1) | instskip(SKIP_2) | instid1(SALU_CYCLE_1)
	s_or_b32 s2, s30, s2
	s_and_not1_b32 s1, s1, exec_lo
	s_and_b32 s29, s29, exec_lo
	s_or_b32 s1, s1, s29
	s_and_not1_b32 exec_lo, exec_lo, s2
	s_cbranch_execz .LBB126_5000
.LBB126_4998:                           ; =>This Inner Loop Header: Depth=1
	s_or_b32 s18, s18, exec_lo
	s_or_b32 s19, s19, exec_lo
	s_mov_b32 s29, exec_lo
	s_delay_alu instid0(VALU_DEP_2)
	v_cmpx_lt_u64_e64 v[10:11], v[12:13]
	s_cbranch_execz .LBB126_4997
; %bb.4999:                             ;   in Loop: Header=BB126_4998 Depth=1
	global_load_b128 v[14:17], v[10:11], off offset:-8
	s_wait_xcnt 0x0
	v_add_nc_u64_e32 v[10:11], 8, v[10:11]
	s_and_not1_b32 s19, s19, exec_lo
	s_and_not1_b32 s18, s18, exec_lo
	s_wait_loadcnt 0x0
	v_cmp_ge_i64_e32 vcc_lo, v[14:15], v[16:17]
	s_or_b32 s30, s3, vcc_lo
	s_delay_alu instid0(SALU_CYCLE_1) | instskip(NEXT) | instid1(SALU_CYCLE_1)
	s_and_b32 s30, s30, exec_lo
	s_or_b32 s19, s19, s30
	s_branch .LBB126_4997
.LBB126_5000:
	s_or_b32 exec_lo, exec_lo, s2
	s_mov_b32 s2, -1
	s_mov_b32 s3, s77
	s_and_saveexec_b32 s18, s1
	s_delay_alu instid0(SALU_CYCLE_1)
	s_xor_b32 s1, exec_lo, s18
	s_cbranch_execnz .LBB126_5015
.LBB126_5001:
	s_or_b32 exec_lo, exec_lo, s1
	s_delay_alu instid0(SALU_CYCLE_1)
	s_and_not1_b32 s1, s77, exec_lo
	s_and_b32 s3, s3, exec_lo
	s_or_not1_b32 s19, s2, exec_lo
	s_or_b32 s1, s1, s3
.LBB126_5002:
	s_or_b32 exec_lo, exec_lo, s0
	s_mov_b32 s2, 0
	s_mov_b32 s3, 0
                                        ; implicit-def: $sgpr0
                                        ; implicit-def: $vgpr10_vgpr11
	s_and_saveexec_b32 s18, s19
	s_cbranch_execz .LBB126_5652
; %bb.5003:
	v_add_nc_u32_e32 v0, s69, v0
	s_cmp_lt_i32 s57, 11
	s_delay_alu instid0(VALU_DEP_1) | instskip(NEXT) | instid1(VALU_DEP_1)
	v_ashrrev_i32_e32 v1, 31, v0
	v_add_nc_u64_e32 v[10:11], s[6:7], v[0:1]
	s_cbranch_scc1 .LBB126_5011
; %bb.5004:
	s_and_b32 s0, 0xffff, s57
	s_delay_alu instid0(SALU_CYCLE_1)
	s_cmp_gt_i32 s0, 25
	s_cbranch_scc0 .LBB126_5012
; %bb.5005:
	s_cmp_gt_i32 s0, 28
	s_cbranch_scc0 .LBB126_5013
; %bb.5006:
	;; [unrolled: 3-line block ×4, first 2 shown]
	s_cmp_eq_u32 s0, 46
	s_mov_b32 s7, 0
	s_cbranch_scc0 .LBB126_5017
; %bb.5009:
	global_load_b32 v0, v[10:11], off
	s_mov_b32 s6, -1
	s_wait_loadcnt 0x0
	v_lshlrev_b32_e32 v0, 16, v0
	s_delay_alu instid0(VALU_DEP_1) | instskip(NEXT) | instid1(VALU_DEP_1)
	v_trunc_f32_e32 v0, v0
	v_mul_f32_e64 v1, 0x2f800000, |v0|
	s_delay_alu instid0(VALU_DEP_1) | instskip(NEXT) | instid1(VALU_DEP_1)
	v_floor_f32_e32 v1, v1
	v_fma_f32 v3, 0xcf800000, v1, |v0|
	v_ashrrev_i32_e32 v0, 31, v0
	v_cvt_u32_f32_e32 v5, v1
	s_delay_alu instid0(VALU_DEP_3) | instskip(NEXT) | instid1(VALU_DEP_2)
	v_cvt_u32_f32_e32 v3, v3
	v_dual_mov_b32 v1, v0 :: v_dual_bitop2_b32 v13, v5, v0 bitop3:0x14
	s_delay_alu instid0(VALU_DEP_2) | instskip(NEXT) | instid1(VALU_DEP_1)
	v_xor_b32_e32 v12, v3, v0
	v_sub_nc_u64_e32 v[0:1], v[12:13], v[0:1]
	s_branch .LBB126_5019
.LBB126_5010:
	s_or_b32 s68, s68, exec_lo
	s_trap 2
	s_cbranch_execz .LBB126_4924
	s_branch .LBB126_4925
.LBB126_5011:
	s_mov_b32 s0, -1
	s_mov_b32 s6, 0
	s_mov_b32 s19, s1
                                        ; implicit-def: $vgpr0_vgpr1
	s_branch .LBB126_5081
.LBB126_5012:
	s_mov_b32 s7, -1
	s_mov_b32 s6, 0
                                        ; implicit-def: $vgpr0_vgpr1
	s_branch .LBB126_5046
.LBB126_5013:
	s_mov_b32 s7, -1
	s_mov_b32 s6, 0
                                        ; implicit-def: $vgpr0_vgpr1
	s_branch .LBB126_5029
.LBB126_5014:
	s_mov_b32 s7, -1
	s_mov_b32 s6, 0
                                        ; implicit-def: $vgpr0_vgpr1
	s_branch .LBB126_5024
.LBB126_5015:
	s_or_b32 s3, s77, exec_lo
	s_xor_b32 s2, exec_lo, -1
	s_trap 2
	s_branch .LBB126_5001
.LBB126_5016:
	s_mov_b32 s7, -1
	s_branch .LBB126_5018
.LBB126_5017:
	s_mov_b32 s2, -1
.LBB126_5018:
	s_mov_b32 s6, 0
                                        ; implicit-def: $vgpr0_vgpr1
.LBB126_5019:
	s_and_b32 vcc_lo, exec_lo, s7
	s_cbranch_vccz .LBB126_5023
; %bb.5020:
	s_cmp_eq_u32 s0, 44
	s_cbranch_scc0 .LBB126_5022
; %bb.5021:
	global_load_u8 v3, v[10:11], off
	s_mov_b32 s2, 0
	s_mov_b32 s6, -1
	s_wait_loadcnt 0x0
	v_cmp_ne_u32_e32 vcc_lo, 0, v3
	v_lshlrev_b32_e32 v0, 23, v3
	s_delay_alu instid0(VALU_DEP_1) | instskip(NEXT) | instid1(VALU_DEP_1)
	v_trunc_f32_e32 v0, v0
	v_mul_f32_e64 v1, 0x2f800000, |v0|
	s_delay_alu instid0(VALU_DEP_1) | instskip(NEXT) | instid1(VALU_DEP_1)
	v_floor_f32_e32 v1, v1
	v_fma_f32 v5, 0xcf800000, v1, |v0|
	v_ashrrev_i32_e32 v0, 31, v0
	v_cvt_u32_f32_e32 v7, v1
	s_delay_alu instid0(VALU_DEP_3) | instskip(NEXT) | instid1(VALU_DEP_2)
	v_cvt_u32_f32_e32 v5, v5
	v_dual_mov_b32 v1, v0 :: v_dual_bitop2_b32 v13, v7, v0 bitop3:0x14
	s_delay_alu instid0(VALU_DEP_2) | instskip(NEXT) | instid1(VALU_DEP_1)
	v_xor_b32_e32 v12, v5, v0
	v_sub_nc_u64_e32 v[0:1], v[12:13], v[0:1]
	s_delay_alu instid0(VALU_DEP_1)
	v_dual_cndmask_b32 v1, 0, v1 :: v_dual_cndmask_b32 v0, 0, v0
	s_branch .LBB126_5023
.LBB126_5022:
	s_mov_b32 s2, -1
                                        ; implicit-def: $vgpr0_vgpr1
.LBB126_5023:
	s_mov_b32 s7, 0
.LBB126_5024:
	s_delay_alu instid0(SALU_CYCLE_1)
	s_and_b32 vcc_lo, exec_lo, s7
	s_cbranch_vccz .LBB126_5028
; %bb.5025:
	s_cmp_eq_u32 s0, 29
	s_cbranch_scc0 .LBB126_5027
; %bb.5026:
	global_load_b64 v[0:1], v[10:11], off
	s_mov_b32 s2, 0
	s_mov_b32 s6, -1
	s_branch .LBB126_5028
.LBB126_5027:
	s_mov_b32 s2, -1
                                        ; implicit-def: $vgpr0_vgpr1
.LBB126_5028:
	s_mov_b32 s7, 0
.LBB126_5029:
	s_delay_alu instid0(SALU_CYCLE_1)
	s_and_b32 vcc_lo, exec_lo, s7
	s_cbranch_vccz .LBB126_5045
; %bb.5030:
	s_cmp_lt_i32 s0, 27
	s_cbranch_scc1 .LBB126_5033
; %bb.5031:
	s_cmp_gt_i32 s0, 27
	s_cbranch_scc0 .LBB126_5034
; %bb.5032:
	s_wait_loadcnt 0x0
	global_load_b32 v0, v[10:11], off
	v_mov_b32_e32 v1, 0
	s_mov_b32 s6, 0
	s_branch .LBB126_5035
.LBB126_5033:
	s_mov_b32 s6, -1
                                        ; implicit-def: $vgpr0_vgpr1
	s_branch .LBB126_5038
.LBB126_5034:
	s_mov_b32 s6, -1
                                        ; implicit-def: $vgpr0_vgpr1
.LBB126_5035:
	s_delay_alu instid0(SALU_CYCLE_1)
	s_and_not1_b32 vcc_lo, exec_lo, s6
	s_cbranch_vccnz .LBB126_5037
; %bb.5036:
	s_wait_loadcnt 0x0
	global_load_u16 v0, v[10:11], off
	s_mov_b32 s6, 0
	s_delay_alu instid0(SALU_CYCLE_1)
	v_mov_b32_e32 v1, s6
	s_wait_loadcnt 0x0
	v_and_b32_e32 v0, 0xffff, v0
.LBB126_5037:
	s_mov_b32 s6, 0
.LBB126_5038:
	s_delay_alu instid0(SALU_CYCLE_1)
	s_and_not1_b32 vcc_lo, exec_lo, s6
	s_cbranch_vccnz .LBB126_5044
; %bb.5039:
	global_load_u8 v3, v[10:11], off
	s_mov_b32 s7, 0
	s_mov_b32 s6, exec_lo
	s_wait_loadcnt 0x0
	v_cmpx_lt_i16_e32 0x7f, v3
	s_xor_b32 s6, exec_lo, s6
	s_cbranch_execz .LBB126_5056
; %bb.5040:
	v_cmp_ne_u16_e32 vcc_lo, 0x80, v3
	s_and_b32 s7, vcc_lo, exec_lo
	s_and_not1_saveexec_b32 s6, s6
	s_cbranch_execnz .LBB126_5057
.LBB126_5041:
	s_or_b32 exec_lo, exec_lo, s6
	v_mov_b64_e32 v[0:1], 0
	s_and_saveexec_b32 s6, s7
	s_cbranch_execz .LBB126_5043
.LBB126_5042:
	v_and_b32_e32 v0, 0xffff, v3
	s_delay_alu instid0(VALU_DEP_1) | instskip(SKIP_1) | instid1(VALU_DEP_2)
	v_and_b32_e32 v1, 7, v0
	v_bfe_u32 v9, v0, 3, 4
	v_clz_i32_u32_e32 v5, v1
	s_delay_alu instid0(VALU_DEP_2) | instskip(NEXT) | instid1(VALU_DEP_2)
	v_cmp_eq_u32_e32 vcc_lo, 0, v9
	v_min_u32_e32 v5, 32, v5
	s_delay_alu instid0(VALU_DEP_1) | instskip(NEXT) | instid1(VALU_DEP_1)
	v_subrev_nc_u32_e32 v7, 28, v5
	v_dual_lshlrev_b32 v0, v7, v0 :: v_dual_sub_nc_u32 v5, 29, v5
	s_delay_alu instid0(VALU_DEP_1) | instskip(NEXT) | instid1(VALU_DEP_2)
	v_dual_lshlrev_b32 v3, 24, v3 :: v_dual_bitop2_b32 v0, 7, v0 bitop3:0x40
	v_cndmask_b32_e32 v5, v9, v5, vcc_lo
	s_delay_alu instid0(VALU_DEP_2) | instskip(NEXT) | instid1(VALU_DEP_3)
	v_cndmask_b32_e32 v0, v1, v0, vcc_lo
	v_and_b32_e32 v1, 0x80000000, v3
	s_delay_alu instid0(VALU_DEP_3) | instskip(NEXT) | instid1(VALU_DEP_3)
	v_lshl_add_u32 v3, v5, 23, 0x3b800000
	v_lshlrev_b32_e32 v0, 20, v0
	s_delay_alu instid0(VALU_DEP_1) | instskip(NEXT) | instid1(VALU_DEP_1)
	v_or3_b32 v0, v1, v3, v0
	v_trunc_f32_e32 v0, v0
	s_delay_alu instid0(VALU_DEP_1) | instskip(NEXT) | instid1(VALU_DEP_1)
	v_mul_f32_e64 v1, 0x2f800000, |v0|
	v_floor_f32_e32 v1, v1
	s_delay_alu instid0(VALU_DEP_1) | instskip(SKIP_2) | instid1(VALU_DEP_3)
	v_fma_f32 v3, 0xcf800000, v1, |v0|
	v_ashrrev_i32_e32 v0, 31, v0
	v_cvt_u32_f32_e32 v5, v1
	v_cvt_u32_f32_e32 v3, v3
	s_delay_alu instid0(VALU_DEP_2) | instskip(NEXT) | instid1(VALU_DEP_2)
	v_dual_mov_b32 v1, v0 :: v_dual_bitop2_b32 v13, v5, v0 bitop3:0x14
	v_xor_b32_e32 v12, v3, v0
	s_delay_alu instid0(VALU_DEP_1)
	v_sub_nc_u64_e32 v[0:1], v[12:13], v[0:1]
.LBB126_5043:
	s_or_b32 exec_lo, exec_lo, s6
.LBB126_5044:
	s_mov_b32 s6, -1
.LBB126_5045:
	s_mov_b32 s7, 0
.LBB126_5046:
	s_delay_alu instid0(SALU_CYCLE_1)
	s_and_b32 vcc_lo, exec_lo, s7
	s_cbranch_vccz .LBB126_5077
; %bb.5047:
	s_cmp_gt_i32 s0, 22
	s_cbranch_scc0 .LBB126_5055
; %bb.5048:
	s_cmp_lt_i32 s0, 24
	s_cbranch_scc1 .LBB126_5058
; %bb.5049:
	s_cmp_gt_i32 s0, 24
	s_cbranch_scc0 .LBB126_5059
; %bb.5050:
	global_load_u8 v3, v[10:11], off
	s_mov_b32 s6, 0
	s_mov_b32 s3, exec_lo
	s_wait_loadcnt 0x0
	v_cmpx_lt_i16_e32 0x7f, v3
	s_xor_b32 s3, exec_lo, s3
	s_cbranch_execz .LBB126_5071
; %bb.5051:
	v_cmp_ne_u16_e32 vcc_lo, 0x80, v3
	s_and_b32 s6, vcc_lo, exec_lo
	s_and_not1_saveexec_b32 s3, s3
	s_cbranch_execnz .LBB126_5072
.LBB126_5052:
	s_or_b32 exec_lo, exec_lo, s3
	v_mov_b64_e32 v[0:1], 0
	s_and_saveexec_b32 s3, s6
	s_cbranch_execz .LBB126_5054
.LBB126_5053:
	v_and_b32_e32 v0, 0xffff, v3
	s_delay_alu instid0(VALU_DEP_1) | instskip(SKIP_1) | instid1(VALU_DEP_2)
	v_and_b32_e32 v1, 3, v0
	v_bfe_u32 v9, v0, 2, 5
	v_clz_i32_u32_e32 v5, v1
	s_delay_alu instid0(VALU_DEP_2) | instskip(NEXT) | instid1(VALU_DEP_2)
	v_cmp_eq_u32_e32 vcc_lo, 0, v9
	v_min_u32_e32 v5, 32, v5
	s_delay_alu instid0(VALU_DEP_1) | instskip(NEXT) | instid1(VALU_DEP_1)
	v_subrev_nc_u32_e32 v7, 29, v5
	v_dual_lshlrev_b32 v0, v7, v0 :: v_dual_sub_nc_u32 v5, 30, v5
	s_delay_alu instid0(VALU_DEP_1) | instskip(NEXT) | instid1(VALU_DEP_2)
	v_dual_lshlrev_b32 v3, 24, v3 :: v_dual_bitop2_b32 v0, 3, v0 bitop3:0x40
	v_cndmask_b32_e32 v5, v9, v5, vcc_lo
	s_delay_alu instid0(VALU_DEP_2) | instskip(NEXT) | instid1(VALU_DEP_3)
	v_cndmask_b32_e32 v0, v1, v0, vcc_lo
	v_and_b32_e32 v1, 0x80000000, v3
	s_delay_alu instid0(VALU_DEP_3) | instskip(NEXT) | instid1(VALU_DEP_3)
	v_lshl_add_u32 v3, v5, 23, 0x37800000
	v_lshlrev_b32_e32 v0, 21, v0
	s_delay_alu instid0(VALU_DEP_1) | instskip(NEXT) | instid1(VALU_DEP_1)
	v_or3_b32 v0, v1, v3, v0
	v_trunc_f32_e32 v0, v0
	s_delay_alu instid0(VALU_DEP_1) | instskip(NEXT) | instid1(VALU_DEP_1)
	v_mul_f32_e64 v1, 0x2f800000, |v0|
	v_floor_f32_e32 v1, v1
	s_delay_alu instid0(VALU_DEP_1) | instskip(SKIP_2) | instid1(VALU_DEP_3)
	v_fma_f32 v3, 0xcf800000, v1, |v0|
	v_ashrrev_i32_e32 v0, 31, v0
	v_cvt_u32_f32_e32 v5, v1
	v_cvt_u32_f32_e32 v3, v3
	s_delay_alu instid0(VALU_DEP_2) | instskip(NEXT) | instid1(VALU_DEP_2)
	v_dual_mov_b32 v1, v0 :: v_dual_bitop2_b32 v13, v5, v0 bitop3:0x14
	v_xor_b32_e32 v12, v3, v0
	s_delay_alu instid0(VALU_DEP_1)
	v_sub_nc_u64_e32 v[0:1], v[12:13], v[0:1]
.LBB126_5054:
	s_or_b32 exec_lo, exec_lo, s3
	s_mov_b32 s3, 0
	s_branch .LBB126_5060
.LBB126_5055:
	s_mov_b32 s3, -1
                                        ; implicit-def: $vgpr0_vgpr1
	s_branch .LBB126_5066
.LBB126_5056:
	s_and_not1_saveexec_b32 s6, s6
	s_cbranch_execz .LBB126_5041
.LBB126_5057:
	v_cmp_ne_u16_e32 vcc_lo, 0, v3
	s_and_not1_b32 s7, s7, exec_lo
	s_and_b32 s19, vcc_lo, exec_lo
	s_delay_alu instid0(SALU_CYCLE_1)
	s_or_b32 s7, s7, s19
	s_or_b32 exec_lo, exec_lo, s6
	v_mov_b64_e32 v[0:1], 0
	s_and_saveexec_b32 s6, s7
	s_cbranch_execnz .LBB126_5042
	s_branch .LBB126_5043
.LBB126_5058:
	s_mov_b32 s3, -1
                                        ; implicit-def: $vgpr0_vgpr1
	s_branch .LBB126_5063
.LBB126_5059:
	s_mov_b32 s3, -1
                                        ; implicit-def: $vgpr0_vgpr1
.LBB126_5060:
	s_delay_alu instid0(SALU_CYCLE_1)
	s_and_b32 vcc_lo, exec_lo, s3
	s_cbranch_vccz .LBB126_5062
; %bb.5061:
	s_wait_loadcnt 0x0
	global_load_u8 v0, v[10:11], off
	s_wait_loadcnt 0x0
	v_lshlrev_b32_e32 v0, 24, v0
	s_delay_alu instid0(VALU_DEP_1) | instskip(NEXT) | instid1(VALU_DEP_1)
	v_and_b32_e32 v1, 0x7f000000, v0
	v_clz_i32_u32_e32 v3, v1
	v_add_nc_u32_e32 v7, 0x1000000, v1
	v_cmp_ne_u32_e32 vcc_lo, 0, v1
	s_delay_alu instid0(VALU_DEP_3) | instskip(NEXT) | instid1(VALU_DEP_1)
	v_min_u32_e32 v3, 32, v3
	v_sub_nc_u32_e64 v3, v3, 4 clamp
	s_delay_alu instid0(VALU_DEP_1) | instskip(NEXT) | instid1(VALU_DEP_1)
	v_dual_lshlrev_b32 v5, v3, v1 :: v_dual_lshlrev_b32 v3, 23, v3
	v_lshrrev_b32_e32 v5, 4, v5
	s_delay_alu instid0(VALU_DEP_1) | instskip(SKIP_1) | instid1(VALU_DEP_2)
	v_sub_nc_u32_e32 v3, v5, v3
	v_ashrrev_i32_e32 v5, 8, v7
	v_add_nc_u32_e32 v3, 0x3c000000, v3
	s_delay_alu instid0(VALU_DEP_1) | instskip(NEXT) | instid1(VALU_DEP_1)
	v_and_or_b32 v3, 0x7f800000, v5, v3
	v_cndmask_b32_e32 v1, 0, v3, vcc_lo
	s_delay_alu instid0(VALU_DEP_1) | instskip(NEXT) | instid1(VALU_DEP_1)
	v_and_or_b32 v0, 0x80000000, v0, v1
	v_trunc_f32_e32 v0, v0
	s_delay_alu instid0(VALU_DEP_1) | instskip(NEXT) | instid1(VALU_DEP_1)
	v_mul_f32_e64 v1, 0x2f800000, |v0|
	v_floor_f32_e32 v1, v1
	s_delay_alu instid0(VALU_DEP_1) | instskip(SKIP_2) | instid1(VALU_DEP_3)
	v_fma_f32 v3, 0xcf800000, v1, |v0|
	v_ashrrev_i32_e32 v0, 31, v0
	v_cvt_u32_f32_e32 v5, v1
	v_cvt_u32_f32_e32 v3, v3
	s_delay_alu instid0(VALU_DEP_2) | instskip(NEXT) | instid1(VALU_DEP_2)
	v_dual_mov_b32 v1, v0 :: v_dual_bitop2_b32 v13, v5, v0 bitop3:0x14
	v_xor_b32_e32 v12, v3, v0
	s_delay_alu instid0(VALU_DEP_1)
	v_sub_nc_u64_e32 v[0:1], v[12:13], v[0:1]
.LBB126_5062:
	s_mov_b32 s3, 0
.LBB126_5063:
	s_delay_alu instid0(SALU_CYCLE_1)
	s_and_not1_b32 vcc_lo, exec_lo, s3
	s_cbranch_vccnz .LBB126_5065
; %bb.5064:
	s_wait_loadcnt 0x0
	global_load_u8 v0, v[10:11], off
	s_wait_loadcnt 0x0
	v_lshlrev_b32_e32 v1, 25, v0
	v_lshlrev_b16 v0, 8, v0
	s_delay_alu instid0(VALU_DEP_1) | instskip(SKIP_1) | instid1(VALU_DEP_2)
	v_and_or_b32 v5, 0x7f00, v0, 0.5
	v_bfe_i32 v0, v0, 0, 16
	v_add_f32_e32 v5, -0.5, v5
	v_lshrrev_b32_e32 v3, 4, v1
	v_cmp_gt_u32_e32 vcc_lo, 0x8000000, v1
	s_delay_alu instid0(VALU_DEP_2) | instskip(NEXT) | instid1(VALU_DEP_1)
	v_or_b32_e32 v3, 0x70000000, v3
	v_mul_f32_e32 v3, 0x7800000, v3
	s_delay_alu instid0(VALU_DEP_1) | instskip(NEXT) | instid1(VALU_DEP_1)
	v_cndmask_b32_e32 v1, v3, v5, vcc_lo
	v_and_or_b32 v0, 0x80000000, v0, v1
	s_delay_alu instid0(VALU_DEP_1) | instskip(NEXT) | instid1(VALU_DEP_1)
	v_trunc_f32_e32 v0, v0
	v_mul_f32_e64 v1, 0x2f800000, |v0|
	s_delay_alu instid0(VALU_DEP_1) | instskip(NEXT) | instid1(VALU_DEP_1)
	v_floor_f32_e32 v1, v1
	v_fma_f32 v3, 0xcf800000, v1, |v0|
	v_ashrrev_i32_e32 v0, 31, v0
	v_cvt_u32_f32_e32 v5, v1
	s_delay_alu instid0(VALU_DEP_3) | instskip(NEXT) | instid1(VALU_DEP_2)
	v_cvt_u32_f32_e32 v3, v3
	v_dual_mov_b32 v1, v0 :: v_dual_bitop2_b32 v13, v5, v0 bitop3:0x14
	s_delay_alu instid0(VALU_DEP_2) | instskip(NEXT) | instid1(VALU_DEP_1)
	v_xor_b32_e32 v12, v3, v0
	v_sub_nc_u64_e32 v[0:1], v[12:13], v[0:1]
.LBB126_5065:
	s_mov_b32 s3, 0
	s_mov_b32 s6, -1
.LBB126_5066:
	s_and_not1_b32 vcc_lo, exec_lo, s3
	s_mov_b32 s3, 0
	s_cbranch_vccnz .LBB126_5077
; %bb.5067:
	s_cmp_gt_i32 s0, 14
	s_cbranch_scc0 .LBB126_5070
; %bb.5068:
	s_cmp_eq_u32 s0, 15
	s_cbranch_scc0 .LBB126_5073
; %bb.5069:
	s_wait_loadcnt 0x0
	global_load_u16 v0, v[10:11], off
	s_mov_b32 s2, 0
	s_mov_b32 s6, -1
	s_wait_loadcnt 0x0
	v_lshlrev_b32_e32 v0, 16, v0
	s_delay_alu instid0(VALU_DEP_1) | instskip(NEXT) | instid1(VALU_DEP_1)
	v_trunc_f32_e32 v0, v0
	v_mul_f32_e64 v1, 0x2f800000, |v0|
	s_delay_alu instid0(VALU_DEP_1) | instskip(NEXT) | instid1(VALU_DEP_1)
	v_floor_f32_e32 v1, v1
	v_fma_f32 v3, 0xcf800000, v1, |v0|
	v_ashrrev_i32_e32 v0, 31, v0
	v_cvt_u32_f32_e32 v5, v1
	s_delay_alu instid0(VALU_DEP_3) | instskip(NEXT) | instid1(VALU_DEP_2)
	v_cvt_u32_f32_e32 v3, v3
	v_dual_mov_b32 v1, v0 :: v_dual_bitop2_b32 v13, v5, v0 bitop3:0x14
	s_delay_alu instid0(VALU_DEP_2) | instskip(NEXT) | instid1(VALU_DEP_1)
	v_xor_b32_e32 v12, v3, v0
	v_sub_nc_u64_e32 v[0:1], v[12:13], v[0:1]
	s_branch .LBB126_5075
.LBB126_5070:
	s_mov_b32 s3, -1
	s_branch .LBB126_5074
.LBB126_5071:
	s_and_not1_saveexec_b32 s3, s3
	s_cbranch_execz .LBB126_5052
.LBB126_5072:
	v_cmp_ne_u16_e32 vcc_lo, 0, v3
	s_and_not1_b32 s6, s6, exec_lo
	s_and_b32 s7, vcc_lo, exec_lo
	s_delay_alu instid0(SALU_CYCLE_1)
	s_or_b32 s6, s6, s7
	s_or_b32 exec_lo, exec_lo, s3
	v_mov_b64_e32 v[0:1], 0
	s_and_saveexec_b32 s3, s6
	s_cbranch_execnz .LBB126_5053
	s_branch .LBB126_5054
.LBB126_5073:
	s_mov_b32 s2, -1
.LBB126_5074:
                                        ; implicit-def: $vgpr0_vgpr1
.LBB126_5075:
	s_and_b32 vcc_lo, exec_lo, s3
	s_mov_b32 s3, 0
	s_cbranch_vccz .LBB126_5077
; %bb.5076:
	s_cmp_lg_u32 s0, 11
	s_mov_b32 s3, -1
	s_cselect_b32 s2, -1, 0
.LBB126_5077:
	s_delay_alu instid0(SALU_CYCLE_1)
	s_and_b32 vcc_lo, exec_lo, s2
	s_mov_b32 s19, s1
	s_cbranch_vccnz .LBB126_5142
; %bb.5078:
	s_and_not1_b32 vcc_lo, exec_lo, s3
	s_cbranch_vccnz .LBB126_5080
.LBB126_5079:
	s_wait_loadcnt 0x0
	global_load_u8 v0, v[10:11], off
	s_mov_b32 s0, 0
	s_mov_b32 s6, -1
	v_mov_b32_e32 v1, s0
	s_wait_loadcnt 0x0
	v_cmp_ne_u16_e32 vcc_lo, 0, v0
	v_cndmask_b32_e64 v0, 0, 1, vcc_lo
.LBB126_5080:
	s_mov_b32 s0, 0
.LBB126_5081:
	s_delay_alu instid0(SALU_CYCLE_1)
	s_and_b32 vcc_lo, exec_lo, s0
	s_cbranch_vccz .LBB126_5130
; %bb.5082:
	s_and_b32 s0, 0xffff, s57
	s_delay_alu instid0(SALU_CYCLE_1)
	s_cmp_lt_i32 s0, 5
	s_cbranch_scc1 .LBB126_5087
; %bb.5083:
	s_cmp_lt_i32 s0, 8
	s_cbranch_scc1 .LBB126_5088
; %bb.5084:
	;; [unrolled: 3-line block ×3, first 2 shown]
	s_cmp_gt_i32 s0, 9
	s_cbranch_scc0 .LBB126_5090
; %bb.5086:
	s_wait_loadcnt 0x0
	global_load_b64 v[0:1], v[10:11], off
	s_mov_b32 s2, 0
	s_wait_loadcnt 0x0
	v_trunc_f64_e32 v[0:1], v[0:1]
	s_delay_alu instid0(VALU_DEP_1) | instskip(NEXT) | instid1(VALU_DEP_1)
	v_ldexp_f64 v[12:13], v[0:1], 0xffffffe0
	v_floor_f64_e32 v[12:13], v[12:13]
	s_delay_alu instid0(VALU_DEP_1) | instskip(SKIP_1) | instid1(VALU_DEP_2)
	v_fmamk_f64 v[14:15], v[12:13], 0xc1f00000, v[0:1]
	v_cvt_i32_f64_e32 v1, v[12:13]
	v_cvt_u32_f64_e32 v0, v[14:15]
	s_branch .LBB126_5091
.LBB126_5087:
	s_mov_b32 s2, -1
                                        ; implicit-def: $vgpr0_vgpr1
	s_branch .LBB126_5109
.LBB126_5088:
	s_mov_b32 s2, -1
                                        ; implicit-def: $vgpr0_vgpr1
	s_branch .LBB126_5097
.LBB126_5089:
	s_mov_b32 s2, -1
                                        ; implicit-def: $vgpr0_vgpr1
	s_branch .LBB126_5094
.LBB126_5090:
	s_mov_b32 s2, -1
                                        ; implicit-def: $vgpr0_vgpr1
.LBB126_5091:
	s_delay_alu instid0(SALU_CYCLE_1)
	s_and_not1_b32 vcc_lo, exec_lo, s2
	s_cbranch_vccnz .LBB126_5093
; %bb.5092:
	s_wait_loadcnt 0x0
	global_load_b32 v0, v[10:11], off
	s_wait_loadcnt 0x0
	v_trunc_f32_e32 v0, v0
	s_delay_alu instid0(VALU_DEP_1) | instskip(NEXT) | instid1(VALU_DEP_1)
	v_mul_f32_e64 v1, 0x2f800000, |v0|
	v_floor_f32_e32 v1, v1
	s_delay_alu instid0(VALU_DEP_1) | instskip(SKIP_2) | instid1(VALU_DEP_3)
	v_fma_f32 v3, 0xcf800000, v1, |v0|
	v_ashrrev_i32_e32 v0, 31, v0
	v_cvt_u32_f32_e32 v5, v1
	v_cvt_u32_f32_e32 v3, v3
	s_delay_alu instid0(VALU_DEP_2) | instskip(NEXT) | instid1(VALU_DEP_2)
	v_dual_mov_b32 v1, v0 :: v_dual_bitop2_b32 v13, v5, v0 bitop3:0x14
	v_xor_b32_e32 v12, v3, v0
	s_delay_alu instid0(VALU_DEP_1)
	v_sub_nc_u64_e32 v[0:1], v[12:13], v[0:1]
.LBB126_5093:
	s_mov_b32 s2, 0
.LBB126_5094:
	s_delay_alu instid0(SALU_CYCLE_1)
	s_and_not1_b32 vcc_lo, exec_lo, s2
	s_cbranch_vccnz .LBB126_5096
; %bb.5095:
	s_wait_loadcnt 0x0
	global_load_b32 v0, v[10:11], off
	s_wait_loadcnt 0x0
	v_cvt_f32_f16_e32 v0, v0
	s_delay_alu instid0(VALU_DEP_1) | instskip(NEXT) | instid1(VALU_DEP_1)
	v_cvt_i32_f32_e32 v0, v0
	v_ashrrev_i32_e32 v1, 31, v0
.LBB126_5096:
	s_mov_b32 s2, 0
.LBB126_5097:
	s_delay_alu instid0(SALU_CYCLE_1)
	s_and_not1_b32 vcc_lo, exec_lo, s2
	s_cbranch_vccnz .LBB126_5108
; %bb.5098:
	s_cmp_lt_i32 s0, 6
	s_cbranch_scc1 .LBB126_5101
; %bb.5099:
	s_cmp_gt_i32 s0, 6
	s_cbranch_scc0 .LBB126_5102
; %bb.5100:
	s_wait_loadcnt 0x0
	global_load_b64 v[0:1], v[10:11], off
	s_mov_b32 s2, 0
	s_wait_loadcnt 0x0
	v_trunc_f64_e32 v[0:1], v[0:1]
	s_delay_alu instid0(VALU_DEP_1) | instskip(NEXT) | instid1(VALU_DEP_1)
	v_ldexp_f64 v[12:13], v[0:1], 0xffffffe0
	v_floor_f64_e32 v[12:13], v[12:13]
	s_delay_alu instid0(VALU_DEP_1) | instskip(SKIP_1) | instid1(VALU_DEP_2)
	v_fmamk_f64 v[14:15], v[12:13], 0xc1f00000, v[0:1]
	v_cvt_i32_f64_e32 v1, v[12:13]
	v_cvt_u32_f64_e32 v0, v[14:15]
	s_branch .LBB126_5103
.LBB126_5101:
	s_mov_b32 s2, -1
                                        ; implicit-def: $vgpr0_vgpr1
	s_branch .LBB126_5106
.LBB126_5102:
	s_mov_b32 s2, -1
                                        ; implicit-def: $vgpr0_vgpr1
.LBB126_5103:
	s_delay_alu instid0(SALU_CYCLE_1)
	s_and_not1_b32 vcc_lo, exec_lo, s2
	s_cbranch_vccnz .LBB126_5105
; %bb.5104:
	s_wait_loadcnt 0x0
	global_load_b32 v0, v[10:11], off
	s_wait_loadcnt 0x0
	v_trunc_f32_e32 v0, v0
	s_delay_alu instid0(VALU_DEP_1) | instskip(NEXT) | instid1(VALU_DEP_1)
	v_mul_f32_e64 v1, 0x2f800000, |v0|
	v_floor_f32_e32 v1, v1
	s_delay_alu instid0(VALU_DEP_1) | instskip(SKIP_2) | instid1(VALU_DEP_3)
	v_fma_f32 v3, 0xcf800000, v1, |v0|
	v_ashrrev_i32_e32 v0, 31, v0
	v_cvt_u32_f32_e32 v5, v1
	v_cvt_u32_f32_e32 v3, v3
	s_delay_alu instid0(VALU_DEP_2) | instskip(NEXT) | instid1(VALU_DEP_2)
	v_dual_mov_b32 v1, v0 :: v_dual_bitop2_b32 v13, v5, v0 bitop3:0x14
	v_xor_b32_e32 v12, v3, v0
	s_delay_alu instid0(VALU_DEP_1)
	v_sub_nc_u64_e32 v[0:1], v[12:13], v[0:1]
.LBB126_5105:
	s_mov_b32 s2, 0
.LBB126_5106:
	s_delay_alu instid0(SALU_CYCLE_1)
	s_and_not1_b32 vcc_lo, exec_lo, s2
	s_cbranch_vccnz .LBB126_5108
; %bb.5107:
	s_wait_loadcnt 0x0
	global_load_u16 v0, v[10:11], off
	s_wait_loadcnt 0x0
	v_cvt_f32_f16_e32 v0, v0
	s_delay_alu instid0(VALU_DEP_1) | instskip(NEXT) | instid1(VALU_DEP_1)
	v_cvt_i32_f32_e32 v0, v0
	v_ashrrev_i32_e32 v1, 31, v0
.LBB126_5108:
	s_mov_b32 s2, 0
.LBB126_5109:
	s_delay_alu instid0(SALU_CYCLE_1)
	s_and_not1_b32 vcc_lo, exec_lo, s2
	s_cbranch_vccnz .LBB126_5129
; %bb.5110:
	s_cmp_lt_i32 s0, 2
	s_cbranch_scc1 .LBB126_5114
; %bb.5111:
	s_cmp_lt_i32 s0, 3
	s_cbranch_scc1 .LBB126_5115
; %bb.5112:
	s_cmp_gt_i32 s0, 3
	s_cbranch_scc0 .LBB126_5116
; %bb.5113:
	s_wait_loadcnt 0x0
	global_load_b64 v[0:1], v[10:11], off
	s_mov_b32 s2, 0
	s_branch .LBB126_5117
.LBB126_5114:
	s_mov_b32 s2, -1
                                        ; implicit-def: $vgpr0_vgpr1
	s_branch .LBB126_5123
.LBB126_5115:
	s_mov_b32 s2, -1
                                        ; implicit-def: $vgpr0_vgpr1
	s_branch .LBB126_5120
.LBB126_5116:
	s_mov_b32 s2, -1
                                        ; implicit-def: $vgpr0_vgpr1
.LBB126_5117:
	s_delay_alu instid0(SALU_CYCLE_1)
	s_and_not1_b32 vcc_lo, exec_lo, s2
	s_cbranch_vccnz .LBB126_5119
; %bb.5118:
	s_wait_loadcnt 0x0
	global_load_b32 v0, v[10:11], off
	s_wait_loadcnt 0x0
	v_ashrrev_i32_e32 v1, 31, v0
.LBB126_5119:
	s_mov_b32 s2, 0
.LBB126_5120:
	s_delay_alu instid0(SALU_CYCLE_1)
	s_and_not1_b32 vcc_lo, exec_lo, s2
	s_cbranch_vccnz .LBB126_5122
; %bb.5121:
	s_wait_loadcnt 0x0
	global_load_u16 v0, v[10:11], off
	s_wait_loadcnt 0x0
	v_bfe_i32 v0, v0, 0, 16
	s_delay_alu instid0(VALU_DEP_1)
	v_ashrrev_i32_e32 v1, 31, v0
.LBB126_5122:
	s_mov_b32 s2, 0
.LBB126_5123:
	s_delay_alu instid0(SALU_CYCLE_1)
	s_and_not1_b32 vcc_lo, exec_lo, s2
	s_cbranch_vccnz .LBB126_5129
; %bb.5124:
	s_cmp_gt_i32 s0, 0
	s_mov_b32 s0, 0
	s_cbranch_scc0 .LBB126_5126
; %bb.5125:
	s_wait_loadcnt 0x0
	global_load_i8 v0, v[10:11], off
	s_wait_loadcnt 0x0
	v_bfe_i32 v0, v0, 0, 16
	s_delay_alu instid0(VALU_DEP_1)
	v_ashrrev_i32_e32 v1, 31, v0
	s_branch .LBB126_5127
.LBB126_5126:
	s_mov_b32 s0, -1
                                        ; implicit-def: $vgpr0_vgpr1
.LBB126_5127:
	s_delay_alu instid0(SALU_CYCLE_1)
	s_and_not1_b32 vcc_lo, exec_lo, s0
	s_cbranch_vccnz .LBB126_5129
; %bb.5128:
	s_wait_loadcnt 0x0
	global_load_u8 v0, v[10:11], off
	s_mov_b32 s0, 0
	s_delay_alu instid0(SALU_CYCLE_1)
	v_mov_b32_e32 v1, s0
	s_wait_loadcnt 0x0
	v_and_b32_e32 v0, 0xffff, v0
.LBB126_5129:
	s_mov_b32 s6, -1
.LBB126_5130:
	s_delay_alu instid0(SALU_CYCLE_1)
	s_and_not1_b32 vcc_lo, exec_lo, s6
	s_cbranch_vccnz .LBB126_5650
; %bb.5131:
	v_add_nc_u32_e32 v2, s70, v2
	s_cmp_lt_i32 s58, 11
	s_delay_alu instid0(VALU_DEP_1) | instskip(SKIP_1) | instid1(VALU_DEP_1)
	v_ashrrev_i32_e32 v3, 31, v2
	s_wait_xcnt 0x0
	v_add_nc_u64_e32 v[10:11], s[8:9], v[2:3]
	s_cbranch_scc1 .LBB126_5138
; %bb.5132:
	s_and_b32 s0, 0xffff, s58
	s_mov_b32 s3, 0
	s_cmp_gt_i32 s0, 25
	s_cbranch_scc0 .LBB126_5139
; %bb.5133:
	s_cmp_gt_i32 s0, 28
	s_cbranch_scc0 .LBB126_5140
; %bb.5134:
	;; [unrolled: 3-line block ×4, first 2 shown]
	s_cmp_eq_u32 s0, 46
	s_mov_b32 s7, 0
	s_cbranch_scc0 .LBB126_5145
; %bb.5137:
	global_load_b32 v2, v[10:11], off
	s_mov_b32 s2, 0
	s_mov_b32 s6, -1
	s_wait_loadcnt 0x0
	v_lshlrev_b32_e32 v2, 16, v2
	s_delay_alu instid0(VALU_DEP_1) | instskip(NEXT) | instid1(VALU_DEP_1)
	v_trunc_f32_e32 v2, v2
	v_mul_f32_e64 v3, 0x2f800000, |v2|
	s_delay_alu instid0(VALU_DEP_1) | instskip(NEXT) | instid1(VALU_DEP_1)
	v_floor_f32_e32 v3, v3
	v_fma_f32 v5, 0xcf800000, v3, |v2|
	v_ashrrev_i32_e32 v2, 31, v2
	v_cvt_u32_f32_e32 v7, v3
	s_delay_alu instid0(VALU_DEP_3) | instskip(NEXT) | instid1(VALU_DEP_2)
	v_cvt_u32_f32_e32 v5, v5
	v_dual_mov_b32 v3, v2 :: v_dual_bitop2_b32 v13, v7, v2 bitop3:0x14
	s_delay_alu instid0(VALU_DEP_2) | instskip(NEXT) | instid1(VALU_DEP_1)
	v_xor_b32_e32 v12, v5, v2
	v_sub_nc_u64_e32 v[2:3], v[12:13], v[2:3]
	s_branch .LBB126_5147
.LBB126_5138:
	s_mov_b32 s0, -1
	s_mov_b32 s6, 0
                                        ; implicit-def: $vgpr2_vgpr3
	s_branch .LBB126_5209
.LBB126_5139:
	s_mov_b32 s7, -1
	s_mov_b32 s6, 0
	s_mov_b32 s2, 0
                                        ; implicit-def: $vgpr2_vgpr3
	s_branch .LBB126_5174
.LBB126_5140:
	s_mov_b32 s7, -1
	s_mov_b32 s6, 0
	s_mov_b32 s2, 0
                                        ; implicit-def: $vgpr2_vgpr3
	s_branch .LBB126_5157
.LBB126_5141:
	s_mov_b32 s7, -1
	s_mov_b32 s6, 0
	s_mov_b32 s2, 0
                                        ; implicit-def: $vgpr2_vgpr3
	s_branch .LBB126_5152
.LBB126_5142:
	s_or_b32 s19, s1, exec_lo
	s_trap 2
	s_cbranch_execz .LBB126_5079
	s_branch .LBB126_5080
.LBB126_5143:
	s_mov_b32 s7, -1
	s_mov_b32 s6, 0
	s_mov_b32 s2, 0
	s_branch .LBB126_5146
.LBB126_5144:
	s_or_b32 s68, s68, exec_lo
	s_trap 2
                                        ; implicit-def: $vgpr0
                                        ; implicit-def: $vgpr2
                                        ; implicit-def: $vgpr12_vgpr13
                                        ; implicit-def: $vgpr4
                                        ; implicit-def: $vgpr14_vgpr15
                                        ; implicit-def: $vgpr6
                                        ; implicit-def: $vgpr16_vgpr17
                                        ; implicit-def: $vgpr8
                                        ; implicit-def: $vgpr20_vgpr21
                                        ; implicit-def: $vgpr23
                                        ; implicit-def: $vgpr22
	s_branch .LBB126_4977
.LBB126_5145:
	s_mov_b32 s2, -1
	s_mov_b32 s6, 0
.LBB126_5146:
                                        ; implicit-def: $vgpr2_vgpr3
.LBB126_5147:
	s_and_b32 vcc_lo, exec_lo, s7
	s_cbranch_vccz .LBB126_5151
; %bb.5148:
	s_cmp_eq_u32 s0, 44
	s_cbranch_scc0 .LBB126_5150
; %bb.5149:
	global_load_u8 v5, v[10:11], off
	s_mov_b32 s2, 0
	s_mov_b32 s6, -1
	s_wait_loadcnt 0x0
	v_cmp_ne_u32_e32 vcc_lo, 0, v5
	v_lshlrev_b32_e32 v2, 23, v5
	s_delay_alu instid0(VALU_DEP_1) | instskip(NEXT) | instid1(VALU_DEP_1)
	v_trunc_f32_e32 v2, v2
	v_mul_f32_e64 v3, 0x2f800000, |v2|
	s_delay_alu instid0(VALU_DEP_1) | instskip(NEXT) | instid1(VALU_DEP_1)
	v_floor_f32_e32 v3, v3
	v_fma_f32 v7, 0xcf800000, v3, |v2|
	v_ashrrev_i32_e32 v2, 31, v2
	v_cvt_u32_f32_e32 v9, v3
	s_delay_alu instid0(VALU_DEP_3) | instskip(NEXT) | instid1(VALU_DEP_2)
	v_cvt_u32_f32_e32 v7, v7
	v_dual_mov_b32 v3, v2 :: v_dual_bitop2_b32 v13, v9, v2 bitop3:0x14
	s_delay_alu instid0(VALU_DEP_2) | instskip(NEXT) | instid1(VALU_DEP_1)
	v_xor_b32_e32 v12, v7, v2
	v_sub_nc_u64_e32 v[2:3], v[12:13], v[2:3]
	s_delay_alu instid0(VALU_DEP_1)
	v_dual_cndmask_b32 v3, 0, v3 :: v_dual_cndmask_b32 v2, 0, v2
	s_branch .LBB126_5151
.LBB126_5150:
	s_mov_b32 s2, -1
                                        ; implicit-def: $vgpr2_vgpr3
.LBB126_5151:
	s_mov_b32 s7, 0
.LBB126_5152:
	s_delay_alu instid0(SALU_CYCLE_1)
	s_and_b32 vcc_lo, exec_lo, s7
	s_cbranch_vccz .LBB126_5156
; %bb.5153:
	s_cmp_eq_u32 s0, 29
	s_cbranch_scc0 .LBB126_5155
; %bb.5154:
	global_load_b64 v[2:3], v[10:11], off
	s_mov_b32 s2, 0
	s_mov_b32 s6, -1
	s_branch .LBB126_5156
.LBB126_5155:
	s_mov_b32 s2, -1
                                        ; implicit-def: $vgpr2_vgpr3
.LBB126_5156:
	s_mov_b32 s7, 0
.LBB126_5157:
	s_delay_alu instid0(SALU_CYCLE_1)
	s_and_b32 vcc_lo, exec_lo, s7
	s_cbranch_vccz .LBB126_5173
; %bb.5158:
	s_cmp_lt_i32 s0, 27
	s_cbranch_scc1 .LBB126_5161
; %bb.5159:
	s_cmp_gt_i32 s0, 27
	s_cbranch_scc0 .LBB126_5162
; %bb.5160:
	s_wait_loadcnt 0x0
	global_load_b32 v2, v[10:11], off
	v_mov_b32_e32 v3, 0
	s_mov_b32 s6, 0
	s_branch .LBB126_5163
.LBB126_5161:
	s_mov_b32 s6, -1
                                        ; implicit-def: $vgpr2_vgpr3
	s_branch .LBB126_5166
.LBB126_5162:
	s_mov_b32 s6, -1
                                        ; implicit-def: $vgpr2_vgpr3
.LBB126_5163:
	s_delay_alu instid0(SALU_CYCLE_1)
	s_and_not1_b32 vcc_lo, exec_lo, s6
	s_cbranch_vccnz .LBB126_5165
; %bb.5164:
	s_wait_loadcnt 0x0
	global_load_u16 v2, v[10:11], off
	s_mov_b32 s6, 0
	s_delay_alu instid0(SALU_CYCLE_1)
	v_mov_b32_e32 v3, s6
	s_wait_loadcnt 0x0
	v_and_b32_e32 v2, 0xffff, v2
.LBB126_5165:
	s_mov_b32 s6, 0
.LBB126_5166:
	s_delay_alu instid0(SALU_CYCLE_1)
	s_and_not1_b32 vcc_lo, exec_lo, s6
	s_cbranch_vccnz .LBB126_5172
; %bb.5167:
	global_load_u8 v5, v[10:11], off
	s_mov_b32 s7, 0
	s_mov_b32 s6, exec_lo
	s_wait_loadcnt 0x0
	v_cmpx_lt_i16_e32 0x7f, v5
	s_xor_b32 s6, exec_lo, s6
	s_cbranch_execz .LBB126_5184
; %bb.5168:
	v_cmp_ne_u16_e32 vcc_lo, 0x80, v5
	s_and_b32 s7, vcc_lo, exec_lo
	s_and_not1_saveexec_b32 s6, s6
	s_cbranch_execnz .LBB126_5185
.LBB126_5169:
	s_or_b32 exec_lo, exec_lo, s6
	v_mov_b64_e32 v[2:3], 0
	s_and_saveexec_b32 s6, s7
	s_cbranch_execz .LBB126_5171
.LBB126_5170:
	v_and_b32_e32 v2, 0xffff, v5
	s_delay_alu instid0(VALU_DEP_1) | instskip(SKIP_1) | instid1(VALU_DEP_2)
	v_and_b32_e32 v3, 7, v2
	v_bfe_u32 v12, v2, 3, 4
	v_clz_i32_u32_e32 v7, v3
	s_delay_alu instid0(VALU_DEP_2) | instskip(NEXT) | instid1(VALU_DEP_2)
	v_cmp_eq_u32_e32 vcc_lo, 0, v12
	v_min_u32_e32 v7, 32, v7
	s_delay_alu instid0(VALU_DEP_1) | instskip(NEXT) | instid1(VALU_DEP_1)
	v_subrev_nc_u32_e32 v9, 28, v7
	v_dual_lshlrev_b32 v2, v9, v2 :: v_dual_sub_nc_u32 v7, 29, v7
	s_delay_alu instid0(VALU_DEP_1) | instskip(NEXT) | instid1(VALU_DEP_1)
	v_dual_lshlrev_b32 v5, 24, v5 :: v_dual_bitop2_b32 v2, 7, v2 bitop3:0x40
	v_dual_cndmask_b32 v7, v12, v7 :: v_dual_cndmask_b32 v2, v3, v2
	s_delay_alu instid0(VALU_DEP_2) | instskip(NEXT) | instid1(VALU_DEP_2)
	v_and_b32_e32 v3, 0x80000000, v5
	v_lshl_add_u32 v5, v7, 23, 0x3b800000
	s_delay_alu instid0(VALU_DEP_3) | instskip(NEXT) | instid1(VALU_DEP_1)
	v_lshlrev_b32_e32 v2, 20, v2
	v_or3_b32 v2, v3, v5, v2
	s_delay_alu instid0(VALU_DEP_1) | instskip(NEXT) | instid1(VALU_DEP_1)
	v_trunc_f32_e32 v2, v2
	v_mul_f32_e64 v3, 0x2f800000, |v2|
	s_delay_alu instid0(VALU_DEP_1) | instskip(NEXT) | instid1(VALU_DEP_1)
	v_floor_f32_e32 v3, v3
	v_fma_f32 v5, 0xcf800000, v3, |v2|
	v_ashrrev_i32_e32 v2, 31, v2
	v_cvt_u32_f32_e32 v7, v3
	s_delay_alu instid0(VALU_DEP_3) | instskip(NEXT) | instid1(VALU_DEP_2)
	v_cvt_u32_f32_e32 v5, v5
	v_dual_mov_b32 v3, v2 :: v_dual_bitop2_b32 v13, v7, v2 bitop3:0x14
	s_delay_alu instid0(VALU_DEP_2) | instskip(NEXT) | instid1(VALU_DEP_1)
	v_xor_b32_e32 v12, v5, v2
	v_sub_nc_u64_e32 v[2:3], v[12:13], v[2:3]
.LBB126_5171:
	s_or_b32 exec_lo, exec_lo, s6
.LBB126_5172:
	s_mov_b32 s6, -1
.LBB126_5173:
	s_mov_b32 s7, 0
.LBB126_5174:
	s_delay_alu instid0(SALU_CYCLE_1)
	s_and_b32 vcc_lo, exec_lo, s7
	s_cbranch_vccz .LBB126_5205
; %bb.5175:
	s_cmp_gt_i32 s0, 22
	s_cbranch_scc0 .LBB126_5183
; %bb.5176:
	s_cmp_lt_i32 s0, 24
	s_cbranch_scc1 .LBB126_5186
; %bb.5177:
	s_cmp_gt_i32 s0, 24
	s_cbranch_scc0 .LBB126_5187
; %bb.5178:
	global_load_u8 v5, v[10:11], off
	s_mov_b32 s6, 0
	s_mov_b32 s3, exec_lo
	s_wait_loadcnt 0x0
	v_cmpx_lt_i16_e32 0x7f, v5
	s_xor_b32 s3, exec_lo, s3
	s_cbranch_execz .LBB126_5199
; %bb.5179:
	v_cmp_ne_u16_e32 vcc_lo, 0x80, v5
	s_and_b32 s6, vcc_lo, exec_lo
	s_and_not1_saveexec_b32 s3, s3
	s_cbranch_execnz .LBB126_5200
.LBB126_5180:
	s_or_b32 exec_lo, exec_lo, s3
	v_mov_b64_e32 v[2:3], 0
	s_and_saveexec_b32 s3, s6
	s_cbranch_execz .LBB126_5182
.LBB126_5181:
	v_and_b32_e32 v2, 0xffff, v5
	s_delay_alu instid0(VALU_DEP_1) | instskip(SKIP_1) | instid1(VALU_DEP_2)
	v_and_b32_e32 v3, 3, v2
	v_bfe_u32 v12, v2, 2, 5
	v_clz_i32_u32_e32 v7, v3
	s_delay_alu instid0(VALU_DEP_2) | instskip(NEXT) | instid1(VALU_DEP_2)
	v_cmp_eq_u32_e32 vcc_lo, 0, v12
	v_min_u32_e32 v7, 32, v7
	s_delay_alu instid0(VALU_DEP_1) | instskip(NEXT) | instid1(VALU_DEP_1)
	v_subrev_nc_u32_e32 v9, 29, v7
	v_dual_lshlrev_b32 v2, v9, v2 :: v_dual_sub_nc_u32 v7, 30, v7
	s_delay_alu instid0(VALU_DEP_1) | instskip(NEXT) | instid1(VALU_DEP_1)
	v_dual_lshlrev_b32 v5, 24, v5 :: v_dual_bitop2_b32 v2, 3, v2 bitop3:0x40
	v_dual_cndmask_b32 v7, v12, v7 :: v_dual_cndmask_b32 v2, v3, v2
	s_delay_alu instid0(VALU_DEP_2) | instskip(NEXT) | instid1(VALU_DEP_2)
	v_and_b32_e32 v3, 0x80000000, v5
	v_lshl_add_u32 v5, v7, 23, 0x37800000
	s_delay_alu instid0(VALU_DEP_3) | instskip(NEXT) | instid1(VALU_DEP_1)
	v_lshlrev_b32_e32 v2, 21, v2
	v_or3_b32 v2, v3, v5, v2
	s_delay_alu instid0(VALU_DEP_1) | instskip(NEXT) | instid1(VALU_DEP_1)
	v_trunc_f32_e32 v2, v2
	v_mul_f32_e64 v3, 0x2f800000, |v2|
	s_delay_alu instid0(VALU_DEP_1) | instskip(NEXT) | instid1(VALU_DEP_1)
	v_floor_f32_e32 v3, v3
	v_fma_f32 v5, 0xcf800000, v3, |v2|
	v_ashrrev_i32_e32 v2, 31, v2
	v_cvt_u32_f32_e32 v7, v3
	s_delay_alu instid0(VALU_DEP_3) | instskip(NEXT) | instid1(VALU_DEP_2)
	v_cvt_u32_f32_e32 v5, v5
	v_dual_mov_b32 v3, v2 :: v_dual_bitop2_b32 v13, v7, v2 bitop3:0x14
	s_delay_alu instid0(VALU_DEP_2) | instskip(NEXT) | instid1(VALU_DEP_1)
	v_xor_b32_e32 v12, v5, v2
	v_sub_nc_u64_e32 v[2:3], v[12:13], v[2:3]
.LBB126_5182:
	s_or_b32 exec_lo, exec_lo, s3
	s_mov_b32 s3, 0
	s_branch .LBB126_5188
.LBB126_5183:
	s_mov_b32 s3, -1
                                        ; implicit-def: $vgpr2_vgpr3
	s_branch .LBB126_5194
.LBB126_5184:
	s_and_not1_saveexec_b32 s6, s6
	s_cbranch_execz .LBB126_5169
.LBB126_5185:
	v_cmp_ne_u16_e32 vcc_lo, 0, v5
	s_and_not1_b32 s7, s7, exec_lo
	s_and_b32 s8, vcc_lo, exec_lo
	s_delay_alu instid0(SALU_CYCLE_1)
	s_or_b32 s7, s7, s8
	s_or_b32 exec_lo, exec_lo, s6
	v_mov_b64_e32 v[2:3], 0
	s_and_saveexec_b32 s6, s7
	s_cbranch_execnz .LBB126_5170
	s_branch .LBB126_5171
.LBB126_5186:
	s_mov_b32 s3, -1
                                        ; implicit-def: $vgpr2_vgpr3
	s_branch .LBB126_5191
.LBB126_5187:
	s_mov_b32 s3, -1
                                        ; implicit-def: $vgpr2_vgpr3
.LBB126_5188:
	s_delay_alu instid0(SALU_CYCLE_1)
	s_and_b32 vcc_lo, exec_lo, s3
	s_cbranch_vccz .LBB126_5190
; %bb.5189:
	s_wait_loadcnt 0x0
	global_load_u8 v2, v[10:11], off
	s_wait_loadcnt 0x0
	v_lshlrev_b32_e32 v2, 24, v2
	s_delay_alu instid0(VALU_DEP_1) | instskip(NEXT) | instid1(VALU_DEP_1)
	v_and_b32_e32 v3, 0x7f000000, v2
	v_clz_i32_u32_e32 v5, v3
	v_add_nc_u32_e32 v9, 0x1000000, v3
	v_cmp_ne_u32_e32 vcc_lo, 0, v3
	s_delay_alu instid0(VALU_DEP_3) | instskip(NEXT) | instid1(VALU_DEP_1)
	v_min_u32_e32 v5, 32, v5
	v_sub_nc_u32_e64 v5, v5, 4 clamp
	s_delay_alu instid0(VALU_DEP_1) | instskip(NEXT) | instid1(VALU_DEP_1)
	v_dual_lshlrev_b32 v7, v5, v3 :: v_dual_lshlrev_b32 v5, 23, v5
	v_lshrrev_b32_e32 v7, 4, v7
	s_delay_alu instid0(VALU_DEP_1) | instskip(SKIP_1) | instid1(VALU_DEP_2)
	v_sub_nc_u32_e32 v5, v7, v5
	v_ashrrev_i32_e32 v7, 8, v9
	v_add_nc_u32_e32 v5, 0x3c000000, v5
	s_delay_alu instid0(VALU_DEP_1) | instskip(NEXT) | instid1(VALU_DEP_1)
	v_and_or_b32 v5, 0x7f800000, v7, v5
	v_cndmask_b32_e32 v3, 0, v5, vcc_lo
	s_delay_alu instid0(VALU_DEP_1) | instskip(NEXT) | instid1(VALU_DEP_1)
	v_and_or_b32 v2, 0x80000000, v2, v3
	v_trunc_f32_e32 v2, v2
	s_delay_alu instid0(VALU_DEP_1) | instskip(NEXT) | instid1(VALU_DEP_1)
	v_mul_f32_e64 v3, 0x2f800000, |v2|
	v_floor_f32_e32 v3, v3
	s_delay_alu instid0(VALU_DEP_1) | instskip(SKIP_2) | instid1(VALU_DEP_3)
	v_fma_f32 v5, 0xcf800000, v3, |v2|
	v_ashrrev_i32_e32 v2, 31, v2
	v_cvt_u32_f32_e32 v7, v3
	v_cvt_u32_f32_e32 v5, v5
	s_delay_alu instid0(VALU_DEP_2) | instskip(NEXT) | instid1(VALU_DEP_2)
	v_dual_mov_b32 v3, v2 :: v_dual_bitop2_b32 v13, v7, v2 bitop3:0x14
	v_xor_b32_e32 v12, v5, v2
	s_delay_alu instid0(VALU_DEP_1)
	v_sub_nc_u64_e32 v[2:3], v[12:13], v[2:3]
.LBB126_5190:
	s_mov_b32 s3, 0
.LBB126_5191:
	s_delay_alu instid0(SALU_CYCLE_1)
	s_and_not1_b32 vcc_lo, exec_lo, s3
	s_cbranch_vccnz .LBB126_5193
; %bb.5192:
	s_wait_loadcnt 0x0
	global_load_u8 v2, v[10:11], off
	s_wait_loadcnt 0x0
	v_lshlrev_b32_e32 v3, 25, v2
	v_lshlrev_b16 v2, 8, v2
	s_delay_alu instid0(VALU_DEP_1) | instskip(SKIP_1) | instid1(VALU_DEP_2)
	v_and_or_b32 v7, 0x7f00, v2, 0.5
	v_bfe_i32 v2, v2, 0, 16
	v_add_f32_e32 v7, -0.5, v7
	v_lshrrev_b32_e32 v5, 4, v3
	v_cmp_gt_u32_e32 vcc_lo, 0x8000000, v3
	s_delay_alu instid0(VALU_DEP_2) | instskip(NEXT) | instid1(VALU_DEP_1)
	v_or_b32_e32 v5, 0x70000000, v5
	v_mul_f32_e32 v5, 0x7800000, v5
	s_delay_alu instid0(VALU_DEP_1) | instskip(NEXT) | instid1(VALU_DEP_1)
	v_cndmask_b32_e32 v3, v5, v7, vcc_lo
	v_and_or_b32 v2, 0x80000000, v2, v3
	s_delay_alu instid0(VALU_DEP_1) | instskip(NEXT) | instid1(VALU_DEP_1)
	v_trunc_f32_e32 v2, v2
	v_mul_f32_e64 v3, 0x2f800000, |v2|
	s_delay_alu instid0(VALU_DEP_1) | instskip(NEXT) | instid1(VALU_DEP_1)
	v_floor_f32_e32 v3, v3
	v_fma_f32 v5, 0xcf800000, v3, |v2|
	v_ashrrev_i32_e32 v2, 31, v2
	v_cvt_u32_f32_e32 v7, v3
	s_delay_alu instid0(VALU_DEP_3) | instskip(NEXT) | instid1(VALU_DEP_2)
	v_cvt_u32_f32_e32 v5, v5
	v_dual_mov_b32 v3, v2 :: v_dual_bitop2_b32 v13, v7, v2 bitop3:0x14
	s_delay_alu instid0(VALU_DEP_2) | instskip(NEXT) | instid1(VALU_DEP_1)
	v_xor_b32_e32 v12, v5, v2
	v_sub_nc_u64_e32 v[2:3], v[12:13], v[2:3]
.LBB126_5193:
	s_mov_b32 s3, 0
	s_mov_b32 s6, -1
.LBB126_5194:
	s_and_not1_b32 vcc_lo, exec_lo, s3
	s_mov_b32 s3, 0
	s_cbranch_vccnz .LBB126_5205
; %bb.5195:
	s_cmp_gt_i32 s0, 14
	s_cbranch_scc0 .LBB126_5198
; %bb.5196:
	s_cmp_eq_u32 s0, 15
	s_cbranch_scc0 .LBB126_5201
; %bb.5197:
	s_wait_loadcnt 0x0
	global_load_u16 v2, v[10:11], off
	s_mov_b32 s2, 0
	s_mov_b32 s6, -1
	s_wait_loadcnt 0x0
	v_lshlrev_b32_e32 v2, 16, v2
	s_delay_alu instid0(VALU_DEP_1) | instskip(NEXT) | instid1(VALU_DEP_1)
	v_trunc_f32_e32 v2, v2
	v_mul_f32_e64 v3, 0x2f800000, |v2|
	s_delay_alu instid0(VALU_DEP_1) | instskip(NEXT) | instid1(VALU_DEP_1)
	v_floor_f32_e32 v3, v3
	v_fma_f32 v5, 0xcf800000, v3, |v2|
	v_ashrrev_i32_e32 v2, 31, v2
	v_cvt_u32_f32_e32 v7, v3
	s_delay_alu instid0(VALU_DEP_3) | instskip(NEXT) | instid1(VALU_DEP_2)
	v_cvt_u32_f32_e32 v5, v5
	v_dual_mov_b32 v3, v2 :: v_dual_bitop2_b32 v13, v7, v2 bitop3:0x14
	s_delay_alu instid0(VALU_DEP_2) | instskip(NEXT) | instid1(VALU_DEP_1)
	v_xor_b32_e32 v12, v5, v2
	v_sub_nc_u64_e32 v[2:3], v[12:13], v[2:3]
	s_branch .LBB126_5203
.LBB126_5198:
	s_mov_b32 s3, -1
	s_branch .LBB126_5202
.LBB126_5199:
	s_and_not1_saveexec_b32 s3, s3
	s_cbranch_execz .LBB126_5180
.LBB126_5200:
	v_cmp_ne_u16_e32 vcc_lo, 0, v5
	s_and_not1_b32 s6, s6, exec_lo
	s_and_b32 s7, vcc_lo, exec_lo
	s_delay_alu instid0(SALU_CYCLE_1)
	s_or_b32 s6, s6, s7
	s_or_b32 exec_lo, exec_lo, s3
	v_mov_b64_e32 v[2:3], 0
	s_and_saveexec_b32 s3, s6
	s_cbranch_execnz .LBB126_5181
	s_branch .LBB126_5182
.LBB126_5201:
	s_mov_b32 s2, -1
.LBB126_5202:
                                        ; implicit-def: $vgpr2_vgpr3
.LBB126_5203:
	s_and_b32 vcc_lo, exec_lo, s3
	s_mov_b32 s3, 0
	s_cbranch_vccz .LBB126_5205
; %bb.5204:
	s_cmp_lg_u32 s0, 11
	s_mov_b32 s3, -1
	s_cselect_b32 s2, -1, 0
.LBB126_5205:
	s_delay_alu instid0(SALU_CYCLE_1)
	s_and_b32 vcc_lo, exec_lo, s2
	s_cbranch_vccnz .LBB126_5270
; %bb.5206:
	s_and_not1_b32 vcc_lo, exec_lo, s3
	s_cbranch_vccnz .LBB126_5208
.LBB126_5207:
	s_wait_loadcnt 0x0
	global_load_u8 v2, v[10:11], off
	s_mov_b32 s0, 0
	s_mov_b32 s6, -1
	v_mov_b32_e32 v3, s0
	s_wait_loadcnt 0x0
	v_cmp_ne_u16_e32 vcc_lo, 0, v2
	v_cndmask_b32_e64 v2, 0, 1, vcc_lo
.LBB126_5208:
	s_mov_b32 s0, 0
.LBB126_5209:
	s_delay_alu instid0(SALU_CYCLE_1)
	s_and_b32 vcc_lo, exec_lo, s0
	s_cbranch_vccz .LBB126_5258
; %bb.5210:
	s_and_b32 s0, 0xffff, s58
	s_delay_alu instid0(SALU_CYCLE_1)
	s_cmp_lt_i32 s0, 5
	s_cbranch_scc1 .LBB126_5215
; %bb.5211:
	s_cmp_lt_i32 s0, 8
	s_cbranch_scc1 .LBB126_5216
; %bb.5212:
	;; [unrolled: 3-line block ×3, first 2 shown]
	s_cmp_gt_i32 s0, 9
	s_cbranch_scc0 .LBB126_5218
; %bb.5214:
	s_wait_loadcnt 0x0
	global_load_b64 v[2:3], v[10:11], off
	s_mov_b32 s2, 0
	s_wait_loadcnt 0x0
	v_trunc_f64_e32 v[2:3], v[2:3]
	s_delay_alu instid0(VALU_DEP_1) | instskip(NEXT) | instid1(VALU_DEP_1)
	v_ldexp_f64 v[12:13], v[2:3], 0xffffffe0
	v_floor_f64_e32 v[12:13], v[12:13]
	s_delay_alu instid0(VALU_DEP_1) | instskip(SKIP_1) | instid1(VALU_DEP_2)
	v_fmamk_f64 v[14:15], v[12:13], 0xc1f00000, v[2:3]
	v_cvt_i32_f64_e32 v3, v[12:13]
	v_cvt_u32_f64_e32 v2, v[14:15]
	s_branch .LBB126_5219
.LBB126_5215:
	s_mov_b32 s2, -1
                                        ; implicit-def: $vgpr2_vgpr3
	s_branch .LBB126_5237
.LBB126_5216:
	s_mov_b32 s2, -1
                                        ; implicit-def: $vgpr2_vgpr3
	s_branch .LBB126_5225
.LBB126_5217:
	s_mov_b32 s2, -1
                                        ; implicit-def: $vgpr2_vgpr3
	s_branch .LBB126_5222
.LBB126_5218:
	s_mov_b32 s2, -1
                                        ; implicit-def: $vgpr2_vgpr3
.LBB126_5219:
	s_delay_alu instid0(SALU_CYCLE_1)
	s_and_not1_b32 vcc_lo, exec_lo, s2
	s_cbranch_vccnz .LBB126_5221
; %bb.5220:
	s_wait_loadcnt 0x0
	global_load_b32 v2, v[10:11], off
	s_wait_loadcnt 0x0
	v_trunc_f32_e32 v2, v2
	s_delay_alu instid0(VALU_DEP_1) | instskip(NEXT) | instid1(VALU_DEP_1)
	v_mul_f32_e64 v3, 0x2f800000, |v2|
	v_floor_f32_e32 v3, v3
	s_delay_alu instid0(VALU_DEP_1) | instskip(SKIP_2) | instid1(VALU_DEP_3)
	v_fma_f32 v5, 0xcf800000, v3, |v2|
	v_ashrrev_i32_e32 v2, 31, v2
	v_cvt_u32_f32_e32 v7, v3
	v_cvt_u32_f32_e32 v5, v5
	s_delay_alu instid0(VALU_DEP_2) | instskip(NEXT) | instid1(VALU_DEP_2)
	v_dual_mov_b32 v3, v2 :: v_dual_bitop2_b32 v13, v7, v2 bitop3:0x14
	v_xor_b32_e32 v12, v5, v2
	s_delay_alu instid0(VALU_DEP_1)
	v_sub_nc_u64_e32 v[2:3], v[12:13], v[2:3]
.LBB126_5221:
	s_mov_b32 s2, 0
.LBB126_5222:
	s_delay_alu instid0(SALU_CYCLE_1)
	s_and_not1_b32 vcc_lo, exec_lo, s2
	s_cbranch_vccnz .LBB126_5224
; %bb.5223:
	s_wait_loadcnt 0x0
	global_load_b32 v2, v[10:11], off
	s_wait_loadcnt 0x0
	v_cvt_f32_f16_e32 v2, v2
	s_delay_alu instid0(VALU_DEP_1) | instskip(NEXT) | instid1(VALU_DEP_1)
	v_cvt_i32_f32_e32 v2, v2
	v_ashrrev_i32_e32 v3, 31, v2
.LBB126_5224:
	s_mov_b32 s2, 0
.LBB126_5225:
	s_delay_alu instid0(SALU_CYCLE_1)
	s_and_not1_b32 vcc_lo, exec_lo, s2
	s_cbranch_vccnz .LBB126_5236
; %bb.5226:
	s_cmp_lt_i32 s0, 6
	s_cbranch_scc1 .LBB126_5229
; %bb.5227:
	s_cmp_gt_i32 s0, 6
	s_cbranch_scc0 .LBB126_5230
; %bb.5228:
	s_wait_loadcnt 0x0
	global_load_b64 v[2:3], v[10:11], off
	s_mov_b32 s2, 0
	s_wait_loadcnt 0x0
	v_trunc_f64_e32 v[2:3], v[2:3]
	s_delay_alu instid0(VALU_DEP_1) | instskip(NEXT) | instid1(VALU_DEP_1)
	v_ldexp_f64 v[12:13], v[2:3], 0xffffffe0
	v_floor_f64_e32 v[12:13], v[12:13]
	s_delay_alu instid0(VALU_DEP_1) | instskip(SKIP_1) | instid1(VALU_DEP_2)
	v_fmamk_f64 v[14:15], v[12:13], 0xc1f00000, v[2:3]
	v_cvt_i32_f64_e32 v3, v[12:13]
	v_cvt_u32_f64_e32 v2, v[14:15]
	s_branch .LBB126_5231
.LBB126_5229:
	s_mov_b32 s2, -1
                                        ; implicit-def: $vgpr2_vgpr3
	s_branch .LBB126_5234
.LBB126_5230:
	s_mov_b32 s2, -1
                                        ; implicit-def: $vgpr2_vgpr3
.LBB126_5231:
	s_delay_alu instid0(SALU_CYCLE_1)
	s_and_not1_b32 vcc_lo, exec_lo, s2
	s_cbranch_vccnz .LBB126_5233
; %bb.5232:
	s_wait_loadcnt 0x0
	global_load_b32 v2, v[10:11], off
	s_wait_loadcnt 0x0
	v_trunc_f32_e32 v2, v2
	s_delay_alu instid0(VALU_DEP_1) | instskip(NEXT) | instid1(VALU_DEP_1)
	v_mul_f32_e64 v3, 0x2f800000, |v2|
	v_floor_f32_e32 v3, v3
	s_delay_alu instid0(VALU_DEP_1) | instskip(SKIP_2) | instid1(VALU_DEP_3)
	v_fma_f32 v5, 0xcf800000, v3, |v2|
	v_ashrrev_i32_e32 v2, 31, v2
	v_cvt_u32_f32_e32 v7, v3
	v_cvt_u32_f32_e32 v5, v5
	s_delay_alu instid0(VALU_DEP_2) | instskip(NEXT) | instid1(VALU_DEP_2)
	v_dual_mov_b32 v3, v2 :: v_dual_bitop2_b32 v13, v7, v2 bitop3:0x14
	v_xor_b32_e32 v12, v5, v2
	s_delay_alu instid0(VALU_DEP_1)
	v_sub_nc_u64_e32 v[2:3], v[12:13], v[2:3]
.LBB126_5233:
	s_mov_b32 s2, 0
.LBB126_5234:
	s_delay_alu instid0(SALU_CYCLE_1)
	s_and_not1_b32 vcc_lo, exec_lo, s2
	s_cbranch_vccnz .LBB126_5236
; %bb.5235:
	s_wait_loadcnt 0x0
	global_load_u16 v2, v[10:11], off
	s_wait_loadcnt 0x0
	v_cvt_f32_f16_e32 v2, v2
	s_delay_alu instid0(VALU_DEP_1) | instskip(NEXT) | instid1(VALU_DEP_1)
	v_cvt_i32_f32_e32 v2, v2
	v_ashrrev_i32_e32 v3, 31, v2
.LBB126_5236:
	s_mov_b32 s2, 0
.LBB126_5237:
	s_delay_alu instid0(SALU_CYCLE_1)
	s_and_not1_b32 vcc_lo, exec_lo, s2
	s_cbranch_vccnz .LBB126_5257
; %bb.5238:
	s_cmp_lt_i32 s0, 2
	s_cbranch_scc1 .LBB126_5242
; %bb.5239:
	s_cmp_lt_i32 s0, 3
	s_cbranch_scc1 .LBB126_5243
; %bb.5240:
	s_cmp_gt_i32 s0, 3
	s_cbranch_scc0 .LBB126_5244
; %bb.5241:
	s_wait_loadcnt 0x0
	global_load_b64 v[2:3], v[10:11], off
	s_mov_b32 s2, 0
	s_branch .LBB126_5245
.LBB126_5242:
	s_mov_b32 s2, -1
                                        ; implicit-def: $vgpr2_vgpr3
	s_branch .LBB126_5251
.LBB126_5243:
	s_mov_b32 s2, -1
                                        ; implicit-def: $vgpr2_vgpr3
	s_branch .LBB126_5248
.LBB126_5244:
	s_mov_b32 s2, -1
                                        ; implicit-def: $vgpr2_vgpr3
.LBB126_5245:
	s_delay_alu instid0(SALU_CYCLE_1)
	s_and_not1_b32 vcc_lo, exec_lo, s2
	s_cbranch_vccnz .LBB126_5247
; %bb.5246:
	s_wait_loadcnt 0x0
	global_load_b32 v2, v[10:11], off
	s_wait_loadcnt 0x0
	v_ashrrev_i32_e32 v3, 31, v2
.LBB126_5247:
	s_mov_b32 s2, 0
.LBB126_5248:
	s_delay_alu instid0(SALU_CYCLE_1)
	s_and_not1_b32 vcc_lo, exec_lo, s2
	s_cbranch_vccnz .LBB126_5250
; %bb.5249:
	s_wait_loadcnt 0x0
	global_load_u16 v2, v[10:11], off
	s_wait_loadcnt 0x0
	v_bfe_i32 v2, v2, 0, 16
	s_delay_alu instid0(VALU_DEP_1)
	v_ashrrev_i32_e32 v3, 31, v2
.LBB126_5250:
	s_mov_b32 s2, 0
.LBB126_5251:
	s_delay_alu instid0(SALU_CYCLE_1)
	s_and_not1_b32 vcc_lo, exec_lo, s2
	s_cbranch_vccnz .LBB126_5257
; %bb.5252:
	s_cmp_gt_i32 s0, 0
	s_mov_b32 s0, 0
	s_cbranch_scc0 .LBB126_5254
; %bb.5253:
	s_wait_loadcnt 0x0
	global_load_i8 v2, v[10:11], off
	s_wait_loadcnt 0x0
	v_bfe_i32 v2, v2, 0, 16
	s_delay_alu instid0(VALU_DEP_1)
	v_ashrrev_i32_e32 v3, 31, v2
	s_branch .LBB126_5255
.LBB126_5254:
	s_mov_b32 s0, -1
                                        ; implicit-def: $vgpr2_vgpr3
.LBB126_5255:
	s_delay_alu instid0(SALU_CYCLE_1)
	s_and_not1_b32 vcc_lo, exec_lo, s0
	s_cbranch_vccnz .LBB126_5257
; %bb.5256:
	s_wait_loadcnt 0x0
	global_load_u8 v2, v[10:11], off
	s_mov_b32 s0, 0
	s_delay_alu instid0(SALU_CYCLE_1)
	v_mov_b32_e32 v3, s0
	s_wait_loadcnt 0x0
	v_and_b32_e32 v2, 0xffff, v2
.LBB126_5257:
	s_mov_b32 s6, -1
.LBB126_5258:
	s_delay_alu instid0(SALU_CYCLE_1)
	s_and_not1_b32 vcc_lo, exec_lo, s6
	s_cbranch_vccnz .LBB126_5650
; %bb.5259:
	v_add_nc_u32_e32 v4, s71, v4
	s_cmp_lt_i32 s59, 11
	s_delay_alu instid0(VALU_DEP_1) | instskip(SKIP_1) | instid1(VALU_DEP_1)
	v_ashrrev_i32_e32 v5, 31, v4
	s_wait_xcnt 0x0
	v_add_nc_u64_e32 v[10:11], s[10:11], v[4:5]
	s_cbranch_scc1 .LBB126_5266
; %bb.5260:
	s_and_b32 s0, 0xffff, s59
	s_mov_b32 s3, 0
	s_cmp_gt_i32 s0, 25
	s_cbranch_scc0 .LBB126_5267
; %bb.5261:
	s_cmp_gt_i32 s0, 28
	s_cbranch_scc0 .LBB126_5268
; %bb.5262:
	;; [unrolled: 3-line block ×4, first 2 shown]
	s_cmp_eq_u32 s0, 46
	s_mov_b32 s7, 0
	s_cbranch_scc0 .LBB126_5273
; %bb.5265:
	global_load_b32 v4, v[10:11], off
	s_mov_b32 s2, 0
	s_mov_b32 s6, -1
	s_wait_loadcnt 0x0
	v_lshlrev_b32_e32 v4, 16, v4
	s_delay_alu instid0(VALU_DEP_1) | instskip(NEXT) | instid1(VALU_DEP_1)
	v_trunc_f32_e32 v4, v4
	v_mul_f32_e64 v5, 0x2f800000, |v4|
	s_delay_alu instid0(VALU_DEP_1) | instskip(NEXT) | instid1(VALU_DEP_1)
	v_floor_f32_e32 v5, v5
	v_fma_f32 v7, 0xcf800000, v5, |v4|
	v_ashrrev_i32_e32 v4, 31, v4
	v_cvt_u32_f32_e32 v9, v5
	s_delay_alu instid0(VALU_DEP_3) | instskip(NEXT) | instid1(VALU_DEP_2)
	v_cvt_u32_f32_e32 v7, v7
	v_dual_mov_b32 v5, v4 :: v_dual_bitop2_b32 v13, v9, v4 bitop3:0x14
	s_delay_alu instid0(VALU_DEP_2) | instskip(NEXT) | instid1(VALU_DEP_1)
	v_xor_b32_e32 v12, v7, v4
	v_sub_nc_u64_e32 v[4:5], v[12:13], v[4:5]
	s_branch .LBB126_5275
.LBB126_5266:
	s_mov_b32 s0, -1
	s_mov_b32 s6, 0
                                        ; implicit-def: $vgpr4_vgpr5
	s_branch .LBB126_5337
.LBB126_5267:
	s_mov_b32 s7, -1
	s_mov_b32 s6, 0
	s_mov_b32 s2, 0
                                        ; implicit-def: $vgpr4_vgpr5
	s_branch .LBB126_5302
.LBB126_5268:
	s_mov_b32 s7, -1
	s_mov_b32 s6, 0
	s_mov_b32 s2, 0
                                        ; implicit-def: $vgpr4_vgpr5
	s_branch .LBB126_5285
.LBB126_5269:
	s_mov_b32 s7, -1
	s_mov_b32 s6, 0
	s_mov_b32 s2, 0
                                        ; implicit-def: $vgpr4_vgpr5
	s_branch .LBB126_5280
.LBB126_5270:
	s_or_b32 s19, s19, exec_lo
	s_trap 2
	s_cbranch_execz .LBB126_5207
	s_branch .LBB126_5208
.LBB126_5271:
	s_mov_b32 s7, -1
	s_mov_b32 s6, 0
	s_mov_b32 s2, 0
	s_branch .LBB126_5274
.LBB126_5272:
	s_or_b32 s75, s68, exec_lo
	s_trap 2
                                        ; implicit-def: $vgpr0
                                        ; implicit-def: $vgpr2
                                        ; implicit-def: $vgpr4
                                        ; implicit-def: $vgpr14_vgpr15
                                        ; implicit-def: $vgpr6
                                        ; implicit-def: $vgpr16_vgpr17
                                        ; implicit-def: $vgpr8
                                        ; implicit-def: $vgpr20_vgpr21
                                        ; implicit-def: $vgpr23
                                        ; implicit-def: $vgpr22
	s_or_saveexec_b32 s76, s0
                                        ; implicit-def: $sgpr0
                                        ; implicit-def: $vgpr10_vgpr11
	s_delay_alu instid0(SALU_CYCLE_1)
	s_xor_b32 exec_lo, exec_lo, s76
	s_cbranch_execz .LBB126_5654
	s_branch .LBB126_4980
.LBB126_5273:
	s_mov_b32 s2, -1
	s_mov_b32 s6, 0
.LBB126_5274:
                                        ; implicit-def: $vgpr4_vgpr5
.LBB126_5275:
	s_and_b32 vcc_lo, exec_lo, s7
	s_cbranch_vccz .LBB126_5279
; %bb.5276:
	s_cmp_eq_u32 s0, 44
	s_cbranch_scc0 .LBB126_5278
; %bb.5277:
	global_load_u8 v7, v[10:11], off
	s_mov_b32 s2, 0
	s_mov_b32 s6, -1
	s_wait_loadcnt 0x0
	v_cmp_ne_u32_e32 vcc_lo, 0, v7
	v_lshlrev_b32_e32 v4, 23, v7
	s_delay_alu instid0(VALU_DEP_1) | instskip(NEXT) | instid1(VALU_DEP_1)
	v_trunc_f32_e32 v4, v4
	v_mul_f32_e64 v5, 0x2f800000, |v4|
	s_delay_alu instid0(VALU_DEP_1) | instskip(NEXT) | instid1(VALU_DEP_1)
	v_floor_f32_e32 v5, v5
	v_fma_f32 v9, 0xcf800000, v5, |v4|
	v_ashrrev_i32_e32 v4, 31, v4
	v_cvt_u32_f32_e32 v12, v5
	s_delay_alu instid0(VALU_DEP_3) | instskip(NEXT) | instid1(VALU_DEP_3)
	v_cvt_u32_f32_e32 v9, v9
	v_mov_b32_e32 v5, v4
	s_delay_alu instid0(VALU_DEP_3) | instskip(NEXT) | instid1(VALU_DEP_3)
	v_xor_b32_e32 v13, v12, v4
	v_xor_b32_e32 v12, v9, v4
	s_delay_alu instid0(VALU_DEP_1) | instskip(NEXT) | instid1(VALU_DEP_1)
	v_sub_nc_u64_e32 v[4:5], v[12:13], v[4:5]
	v_dual_cndmask_b32 v5, 0, v5 :: v_dual_cndmask_b32 v4, 0, v4
	s_branch .LBB126_5279
.LBB126_5278:
	s_mov_b32 s2, -1
                                        ; implicit-def: $vgpr4_vgpr5
.LBB126_5279:
	s_mov_b32 s7, 0
.LBB126_5280:
	s_delay_alu instid0(SALU_CYCLE_1)
	s_and_b32 vcc_lo, exec_lo, s7
	s_cbranch_vccz .LBB126_5284
; %bb.5281:
	s_cmp_eq_u32 s0, 29
	s_cbranch_scc0 .LBB126_5283
; %bb.5282:
	global_load_b64 v[4:5], v[10:11], off
	s_mov_b32 s2, 0
	s_mov_b32 s6, -1
	s_branch .LBB126_5284
.LBB126_5283:
	s_mov_b32 s2, -1
                                        ; implicit-def: $vgpr4_vgpr5
.LBB126_5284:
	s_mov_b32 s7, 0
.LBB126_5285:
	s_delay_alu instid0(SALU_CYCLE_1)
	s_and_b32 vcc_lo, exec_lo, s7
	s_cbranch_vccz .LBB126_5301
; %bb.5286:
	s_cmp_lt_i32 s0, 27
	s_cbranch_scc1 .LBB126_5289
; %bb.5287:
	s_cmp_gt_i32 s0, 27
	s_cbranch_scc0 .LBB126_5290
; %bb.5288:
	s_wait_loadcnt 0x0
	global_load_b32 v4, v[10:11], off
	v_mov_b32_e32 v5, 0
	s_mov_b32 s6, 0
	s_branch .LBB126_5291
.LBB126_5289:
	s_mov_b32 s6, -1
                                        ; implicit-def: $vgpr4_vgpr5
	s_branch .LBB126_5294
.LBB126_5290:
	s_mov_b32 s6, -1
                                        ; implicit-def: $vgpr4_vgpr5
.LBB126_5291:
	s_delay_alu instid0(SALU_CYCLE_1)
	s_and_not1_b32 vcc_lo, exec_lo, s6
	s_cbranch_vccnz .LBB126_5293
; %bb.5292:
	s_wait_loadcnt 0x0
	global_load_u16 v4, v[10:11], off
	s_mov_b32 s6, 0
	s_delay_alu instid0(SALU_CYCLE_1)
	v_mov_b32_e32 v5, s6
	s_wait_loadcnt 0x0
	v_and_b32_e32 v4, 0xffff, v4
.LBB126_5293:
	s_mov_b32 s6, 0
.LBB126_5294:
	s_delay_alu instid0(SALU_CYCLE_1)
	s_and_not1_b32 vcc_lo, exec_lo, s6
	s_cbranch_vccnz .LBB126_5300
; %bb.5295:
	global_load_u8 v7, v[10:11], off
	s_mov_b32 s7, 0
	s_mov_b32 s6, exec_lo
	s_wait_loadcnt 0x0
	v_cmpx_lt_i16_e32 0x7f, v7
	s_xor_b32 s6, exec_lo, s6
	s_cbranch_execz .LBB126_5312
; %bb.5296:
	v_cmp_ne_u16_e32 vcc_lo, 0x80, v7
	s_and_b32 s7, vcc_lo, exec_lo
	s_and_not1_saveexec_b32 s6, s6
	s_cbranch_execnz .LBB126_5313
.LBB126_5297:
	s_or_b32 exec_lo, exec_lo, s6
	v_mov_b64_e32 v[4:5], 0
	s_and_saveexec_b32 s6, s7
	s_cbranch_execz .LBB126_5299
.LBB126_5298:
	v_and_b32_e32 v4, 0xffff, v7
	s_delay_alu instid0(VALU_DEP_1) | instskip(SKIP_1) | instid1(VALU_DEP_2)
	v_and_b32_e32 v5, 7, v4
	v_bfe_u32 v13, v4, 3, 4
	v_clz_i32_u32_e32 v9, v5
	s_delay_alu instid0(VALU_DEP_2) | instskip(NEXT) | instid1(VALU_DEP_2)
	v_cmp_eq_u32_e32 vcc_lo, 0, v13
	v_min_u32_e32 v9, 32, v9
	s_delay_alu instid0(VALU_DEP_1) | instskip(NEXT) | instid1(VALU_DEP_1)
	v_subrev_nc_u32_e32 v12, 28, v9
	v_dual_lshlrev_b32 v4, v12, v4 :: v_dual_sub_nc_u32 v9, 29, v9
	s_delay_alu instid0(VALU_DEP_1) | instskip(NEXT) | instid1(VALU_DEP_2)
	v_dual_lshlrev_b32 v7, 24, v7 :: v_dual_bitop2_b32 v4, 7, v4 bitop3:0x40
	v_cndmask_b32_e32 v9, v13, v9, vcc_lo
	s_delay_alu instid0(VALU_DEP_2) | instskip(NEXT) | instid1(VALU_DEP_3)
	v_cndmask_b32_e32 v4, v5, v4, vcc_lo
	v_and_b32_e32 v5, 0x80000000, v7
	s_delay_alu instid0(VALU_DEP_3) | instskip(NEXT) | instid1(VALU_DEP_3)
	v_lshl_add_u32 v7, v9, 23, 0x3b800000
	v_lshlrev_b32_e32 v4, 20, v4
	s_delay_alu instid0(VALU_DEP_1) | instskip(NEXT) | instid1(VALU_DEP_1)
	v_or3_b32 v4, v5, v7, v4
	v_trunc_f32_e32 v4, v4
	s_delay_alu instid0(VALU_DEP_1) | instskip(NEXT) | instid1(VALU_DEP_1)
	v_mul_f32_e64 v5, 0x2f800000, |v4|
	v_floor_f32_e32 v5, v5
	s_delay_alu instid0(VALU_DEP_1) | instskip(SKIP_2) | instid1(VALU_DEP_3)
	v_fma_f32 v7, 0xcf800000, v5, |v4|
	v_ashrrev_i32_e32 v4, 31, v4
	v_cvt_u32_f32_e32 v9, v5
	v_cvt_u32_f32_e32 v7, v7
	s_delay_alu instid0(VALU_DEP_2) | instskip(NEXT) | instid1(VALU_DEP_2)
	v_dual_mov_b32 v5, v4 :: v_dual_bitop2_b32 v13, v9, v4 bitop3:0x14
	v_xor_b32_e32 v12, v7, v4
	s_delay_alu instid0(VALU_DEP_1)
	v_sub_nc_u64_e32 v[4:5], v[12:13], v[4:5]
.LBB126_5299:
	s_or_b32 exec_lo, exec_lo, s6
.LBB126_5300:
	s_mov_b32 s6, -1
.LBB126_5301:
	s_mov_b32 s7, 0
.LBB126_5302:
	s_delay_alu instid0(SALU_CYCLE_1)
	s_and_b32 vcc_lo, exec_lo, s7
	s_cbranch_vccz .LBB126_5333
; %bb.5303:
	s_cmp_gt_i32 s0, 22
	s_cbranch_scc0 .LBB126_5311
; %bb.5304:
	s_cmp_lt_i32 s0, 24
	s_cbranch_scc1 .LBB126_5314
; %bb.5305:
	s_cmp_gt_i32 s0, 24
	s_cbranch_scc0 .LBB126_5315
; %bb.5306:
	global_load_u8 v7, v[10:11], off
	s_mov_b32 s6, 0
	s_mov_b32 s3, exec_lo
	s_wait_loadcnt 0x0
	v_cmpx_lt_i16_e32 0x7f, v7
	s_xor_b32 s3, exec_lo, s3
	s_cbranch_execz .LBB126_5327
; %bb.5307:
	v_cmp_ne_u16_e32 vcc_lo, 0x80, v7
	s_and_b32 s6, vcc_lo, exec_lo
	s_and_not1_saveexec_b32 s3, s3
	s_cbranch_execnz .LBB126_5328
.LBB126_5308:
	s_or_b32 exec_lo, exec_lo, s3
	v_mov_b64_e32 v[4:5], 0
	s_and_saveexec_b32 s3, s6
	s_cbranch_execz .LBB126_5310
.LBB126_5309:
	v_and_b32_e32 v4, 0xffff, v7
	s_delay_alu instid0(VALU_DEP_1) | instskip(SKIP_1) | instid1(VALU_DEP_2)
	v_and_b32_e32 v5, 3, v4
	v_bfe_u32 v13, v4, 2, 5
	v_clz_i32_u32_e32 v9, v5
	s_delay_alu instid0(VALU_DEP_2) | instskip(NEXT) | instid1(VALU_DEP_2)
	v_cmp_eq_u32_e32 vcc_lo, 0, v13
	v_min_u32_e32 v9, 32, v9
	s_delay_alu instid0(VALU_DEP_1) | instskip(NEXT) | instid1(VALU_DEP_1)
	v_subrev_nc_u32_e32 v12, 29, v9
	v_dual_lshlrev_b32 v4, v12, v4 :: v_dual_sub_nc_u32 v9, 30, v9
	s_delay_alu instid0(VALU_DEP_1) | instskip(NEXT) | instid1(VALU_DEP_2)
	v_dual_lshlrev_b32 v7, 24, v7 :: v_dual_bitop2_b32 v4, 3, v4 bitop3:0x40
	v_cndmask_b32_e32 v9, v13, v9, vcc_lo
	s_delay_alu instid0(VALU_DEP_2) | instskip(NEXT) | instid1(VALU_DEP_3)
	v_cndmask_b32_e32 v4, v5, v4, vcc_lo
	v_and_b32_e32 v5, 0x80000000, v7
	s_delay_alu instid0(VALU_DEP_3) | instskip(NEXT) | instid1(VALU_DEP_3)
	v_lshl_add_u32 v7, v9, 23, 0x37800000
	v_lshlrev_b32_e32 v4, 21, v4
	s_delay_alu instid0(VALU_DEP_1) | instskip(NEXT) | instid1(VALU_DEP_1)
	v_or3_b32 v4, v5, v7, v4
	v_trunc_f32_e32 v4, v4
	s_delay_alu instid0(VALU_DEP_1) | instskip(NEXT) | instid1(VALU_DEP_1)
	v_mul_f32_e64 v5, 0x2f800000, |v4|
	v_floor_f32_e32 v5, v5
	s_delay_alu instid0(VALU_DEP_1) | instskip(SKIP_2) | instid1(VALU_DEP_3)
	v_fma_f32 v7, 0xcf800000, v5, |v4|
	v_ashrrev_i32_e32 v4, 31, v4
	v_cvt_u32_f32_e32 v9, v5
	v_cvt_u32_f32_e32 v7, v7
	s_delay_alu instid0(VALU_DEP_2) | instskip(NEXT) | instid1(VALU_DEP_2)
	v_dual_mov_b32 v5, v4 :: v_dual_bitop2_b32 v13, v9, v4 bitop3:0x14
	v_xor_b32_e32 v12, v7, v4
	s_delay_alu instid0(VALU_DEP_1)
	v_sub_nc_u64_e32 v[4:5], v[12:13], v[4:5]
.LBB126_5310:
	s_or_b32 exec_lo, exec_lo, s3
	s_mov_b32 s3, 0
	s_branch .LBB126_5316
.LBB126_5311:
	s_mov_b32 s3, -1
                                        ; implicit-def: $vgpr4_vgpr5
	s_branch .LBB126_5322
.LBB126_5312:
	s_and_not1_saveexec_b32 s6, s6
	s_cbranch_execz .LBB126_5297
.LBB126_5313:
	v_cmp_ne_u16_e32 vcc_lo, 0, v7
	s_and_not1_b32 s7, s7, exec_lo
	s_and_b32 s8, vcc_lo, exec_lo
	s_delay_alu instid0(SALU_CYCLE_1)
	s_or_b32 s7, s7, s8
	s_or_b32 exec_lo, exec_lo, s6
	v_mov_b64_e32 v[4:5], 0
	s_and_saveexec_b32 s6, s7
	s_cbranch_execnz .LBB126_5298
	s_branch .LBB126_5299
.LBB126_5314:
	s_mov_b32 s3, -1
                                        ; implicit-def: $vgpr4_vgpr5
	s_branch .LBB126_5319
.LBB126_5315:
	s_mov_b32 s3, -1
                                        ; implicit-def: $vgpr4_vgpr5
.LBB126_5316:
	s_delay_alu instid0(SALU_CYCLE_1)
	s_and_b32 vcc_lo, exec_lo, s3
	s_cbranch_vccz .LBB126_5318
; %bb.5317:
	s_wait_loadcnt 0x0
	global_load_u8 v4, v[10:11], off
	s_wait_loadcnt 0x0
	v_lshlrev_b32_e32 v4, 24, v4
	s_delay_alu instid0(VALU_DEP_1) | instskip(NEXT) | instid1(VALU_DEP_1)
	v_and_b32_e32 v5, 0x7f000000, v4
	v_clz_i32_u32_e32 v7, v5
	v_cmp_ne_u32_e32 vcc_lo, 0, v5
	v_add_nc_u32_e32 v12, 0x1000000, v5
	s_delay_alu instid0(VALU_DEP_3) | instskip(NEXT) | instid1(VALU_DEP_1)
	v_min_u32_e32 v7, 32, v7
	v_sub_nc_u32_e64 v7, v7, 4 clamp
	s_delay_alu instid0(VALU_DEP_1) | instskip(NEXT) | instid1(VALU_DEP_1)
	v_dual_lshlrev_b32 v9, v7, v5 :: v_dual_lshlrev_b32 v7, 23, v7
	v_lshrrev_b32_e32 v9, 4, v9
	s_delay_alu instid0(VALU_DEP_1) | instskip(NEXT) | instid1(VALU_DEP_1)
	v_dual_sub_nc_u32 v7, v9, v7 :: v_dual_ashrrev_i32 v9, 8, v12
	v_add_nc_u32_e32 v7, 0x3c000000, v7
	s_delay_alu instid0(VALU_DEP_1) | instskip(NEXT) | instid1(VALU_DEP_1)
	v_and_or_b32 v7, 0x7f800000, v9, v7
	v_cndmask_b32_e32 v5, 0, v7, vcc_lo
	s_delay_alu instid0(VALU_DEP_1) | instskip(NEXT) | instid1(VALU_DEP_1)
	v_and_or_b32 v4, 0x80000000, v4, v5
	v_trunc_f32_e32 v4, v4
	s_delay_alu instid0(VALU_DEP_1) | instskip(NEXT) | instid1(VALU_DEP_1)
	v_mul_f32_e64 v5, 0x2f800000, |v4|
	v_floor_f32_e32 v5, v5
	s_delay_alu instid0(VALU_DEP_1) | instskip(SKIP_2) | instid1(VALU_DEP_3)
	v_fma_f32 v7, 0xcf800000, v5, |v4|
	v_ashrrev_i32_e32 v4, 31, v4
	v_cvt_u32_f32_e32 v9, v5
	v_cvt_u32_f32_e32 v7, v7
	s_delay_alu instid0(VALU_DEP_2) | instskip(NEXT) | instid1(VALU_DEP_2)
	v_dual_mov_b32 v5, v4 :: v_dual_bitop2_b32 v13, v9, v4 bitop3:0x14
	v_xor_b32_e32 v12, v7, v4
	s_delay_alu instid0(VALU_DEP_1)
	v_sub_nc_u64_e32 v[4:5], v[12:13], v[4:5]
.LBB126_5318:
	s_mov_b32 s3, 0
.LBB126_5319:
	s_delay_alu instid0(SALU_CYCLE_1)
	s_and_not1_b32 vcc_lo, exec_lo, s3
	s_cbranch_vccnz .LBB126_5321
; %bb.5320:
	s_wait_loadcnt 0x0
	global_load_u8 v4, v[10:11], off
	s_wait_loadcnt 0x0
	v_lshlrev_b32_e32 v5, 25, v4
	v_lshlrev_b16 v4, 8, v4
	s_delay_alu instid0(VALU_DEP_1) | instskip(SKIP_1) | instid1(VALU_DEP_2)
	v_and_or_b32 v9, 0x7f00, v4, 0.5
	v_bfe_i32 v4, v4, 0, 16
	v_add_f32_e32 v9, -0.5, v9
	v_lshrrev_b32_e32 v7, 4, v5
	v_cmp_gt_u32_e32 vcc_lo, 0x8000000, v5
	s_delay_alu instid0(VALU_DEP_2) | instskip(NEXT) | instid1(VALU_DEP_1)
	v_or_b32_e32 v7, 0x70000000, v7
	v_mul_f32_e32 v7, 0x7800000, v7
	s_delay_alu instid0(VALU_DEP_1) | instskip(NEXT) | instid1(VALU_DEP_1)
	v_cndmask_b32_e32 v5, v7, v9, vcc_lo
	v_and_or_b32 v4, 0x80000000, v4, v5
	s_delay_alu instid0(VALU_DEP_1) | instskip(NEXT) | instid1(VALU_DEP_1)
	v_trunc_f32_e32 v4, v4
	v_mul_f32_e64 v5, 0x2f800000, |v4|
	s_delay_alu instid0(VALU_DEP_1) | instskip(NEXT) | instid1(VALU_DEP_1)
	v_floor_f32_e32 v5, v5
	v_fma_f32 v7, 0xcf800000, v5, |v4|
	v_ashrrev_i32_e32 v4, 31, v4
	v_cvt_u32_f32_e32 v9, v5
	s_delay_alu instid0(VALU_DEP_3) | instskip(NEXT) | instid1(VALU_DEP_2)
	v_cvt_u32_f32_e32 v7, v7
	v_dual_mov_b32 v5, v4 :: v_dual_bitop2_b32 v13, v9, v4 bitop3:0x14
	s_delay_alu instid0(VALU_DEP_2) | instskip(NEXT) | instid1(VALU_DEP_1)
	v_xor_b32_e32 v12, v7, v4
	v_sub_nc_u64_e32 v[4:5], v[12:13], v[4:5]
.LBB126_5321:
	s_mov_b32 s3, 0
	s_mov_b32 s6, -1
.LBB126_5322:
	s_and_not1_b32 vcc_lo, exec_lo, s3
	s_mov_b32 s3, 0
	s_cbranch_vccnz .LBB126_5333
; %bb.5323:
	s_cmp_gt_i32 s0, 14
	s_cbranch_scc0 .LBB126_5326
; %bb.5324:
	s_cmp_eq_u32 s0, 15
	s_cbranch_scc0 .LBB126_5329
; %bb.5325:
	s_wait_loadcnt 0x0
	global_load_u16 v4, v[10:11], off
	s_mov_b32 s2, 0
	s_mov_b32 s6, -1
	s_wait_loadcnt 0x0
	v_lshlrev_b32_e32 v4, 16, v4
	s_delay_alu instid0(VALU_DEP_1) | instskip(NEXT) | instid1(VALU_DEP_1)
	v_trunc_f32_e32 v4, v4
	v_mul_f32_e64 v5, 0x2f800000, |v4|
	s_delay_alu instid0(VALU_DEP_1) | instskip(NEXT) | instid1(VALU_DEP_1)
	v_floor_f32_e32 v5, v5
	v_fma_f32 v7, 0xcf800000, v5, |v4|
	v_ashrrev_i32_e32 v4, 31, v4
	v_cvt_u32_f32_e32 v9, v5
	s_delay_alu instid0(VALU_DEP_3) | instskip(NEXT) | instid1(VALU_DEP_2)
	v_cvt_u32_f32_e32 v7, v7
	v_dual_mov_b32 v5, v4 :: v_dual_bitop2_b32 v13, v9, v4 bitop3:0x14
	s_delay_alu instid0(VALU_DEP_2) | instskip(NEXT) | instid1(VALU_DEP_1)
	v_xor_b32_e32 v12, v7, v4
	v_sub_nc_u64_e32 v[4:5], v[12:13], v[4:5]
	s_branch .LBB126_5331
.LBB126_5326:
	s_mov_b32 s3, -1
	s_branch .LBB126_5330
.LBB126_5327:
	s_and_not1_saveexec_b32 s3, s3
	s_cbranch_execz .LBB126_5308
.LBB126_5328:
	v_cmp_ne_u16_e32 vcc_lo, 0, v7
	s_and_not1_b32 s6, s6, exec_lo
	s_and_b32 s7, vcc_lo, exec_lo
	s_delay_alu instid0(SALU_CYCLE_1)
	s_or_b32 s6, s6, s7
	s_or_b32 exec_lo, exec_lo, s3
	v_mov_b64_e32 v[4:5], 0
	s_and_saveexec_b32 s3, s6
	s_cbranch_execnz .LBB126_5309
	s_branch .LBB126_5310
.LBB126_5329:
	s_mov_b32 s2, -1
.LBB126_5330:
                                        ; implicit-def: $vgpr4_vgpr5
.LBB126_5331:
	s_and_b32 vcc_lo, exec_lo, s3
	s_mov_b32 s3, 0
	s_cbranch_vccz .LBB126_5333
; %bb.5332:
	s_cmp_lg_u32 s0, 11
	s_mov_b32 s3, -1
	s_cselect_b32 s2, -1, 0
.LBB126_5333:
	s_delay_alu instid0(SALU_CYCLE_1)
	s_and_b32 vcc_lo, exec_lo, s2
	s_cbranch_vccnz .LBB126_5398
; %bb.5334:
	s_and_not1_b32 vcc_lo, exec_lo, s3
	s_cbranch_vccnz .LBB126_5336
.LBB126_5335:
	s_wait_loadcnt 0x0
	global_load_u8 v4, v[10:11], off
	s_mov_b32 s0, 0
	s_mov_b32 s6, -1
	v_mov_b32_e32 v5, s0
	s_wait_loadcnt 0x0
	v_cmp_ne_u16_e32 vcc_lo, 0, v4
	v_cndmask_b32_e64 v4, 0, 1, vcc_lo
.LBB126_5336:
	s_mov_b32 s0, 0
.LBB126_5337:
	s_delay_alu instid0(SALU_CYCLE_1)
	s_and_b32 vcc_lo, exec_lo, s0
	s_cbranch_vccz .LBB126_5386
; %bb.5338:
	s_and_b32 s0, 0xffff, s59
	s_delay_alu instid0(SALU_CYCLE_1)
	s_cmp_lt_i32 s0, 5
	s_cbranch_scc1 .LBB126_5343
; %bb.5339:
	s_cmp_lt_i32 s0, 8
	s_cbranch_scc1 .LBB126_5344
; %bb.5340:
	;; [unrolled: 3-line block ×3, first 2 shown]
	s_cmp_gt_i32 s0, 9
	s_cbranch_scc0 .LBB126_5346
; %bb.5342:
	s_wait_loadcnt 0x0
	global_load_b64 v[4:5], v[10:11], off
	s_mov_b32 s2, 0
	s_wait_loadcnt 0x0
	v_trunc_f64_e32 v[4:5], v[4:5]
	s_delay_alu instid0(VALU_DEP_1) | instskip(NEXT) | instid1(VALU_DEP_1)
	v_ldexp_f64 v[12:13], v[4:5], 0xffffffe0
	v_floor_f64_e32 v[12:13], v[12:13]
	s_delay_alu instid0(VALU_DEP_1) | instskip(SKIP_1) | instid1(VALU_DEP_2)
	v_fmamk_f64 v[14:15], v[12:13], 0xc1f00000, v[4:5]
	v_cvt_i32_f64_e32 v5, v[12:13]
	v_cvt_u32_f64_e32 v4, v[14:15]
	s_branch .LBB126_5347
.LBB126_5343:
	s_mov_b32 s2, -1
                                        ; implicit-def: $vgpr4_vgpr5
	s_branch .LBB126_5365
.LBB126_5344:
	s_mov_b32 s2, -1
                                        ; implicit-def: $vgpr4_vgpr5
	s_branch .LBB126_5353
.LBB126_5345:
	s_mov_b32 s2, -1
                                        ; implicit-def: $vgpr4_vgpr5
	s_branch .LBB126_5350
.LBB126_5346:
	s_mov_b32 s2, -1
                                        ; implicit-def: $vgpr4_vgpr5
.LBB126_5347:
	s_delay_alu instid0(SALU_CYCLE_1)
	s_and_not1_b32 vcc_lo, exec_lo, s2
	s_cbranch_vccnz .LBB126_5349
; %bb.5348:
	s_wait_loadcnt 0x0
	global_load_b32 v4, v[10:11], off
	s_wait_loadcnt 0x0
	v_trunc_f32_e32 v4, v4
	s_delay_alu instid0(VALU_DEP_1) | instskip(NEXT) | instid1(VALU_DEP_1)
	v_mul_f32_e64 v5, 0x2f800000, |v4|
	v_floor_f32_e32 v5, v5
	s_delay_alu instid0(VALU_DEP_1) | instskip(SKIP_2) | instid1(VALU_DEP_3)
	v_fma_f32 v7, 0xcf800000, v5, |v4|
	v_ashrrev_i32_e32 v4, 31, v4
	v_cvt_u32_f32_e32 v9, v5
	v_cvt_u32_f32_e32 v7, v7
	s_delay_alu instid0(VALU_DEP_2) | instskip(NEXT) | instid1(VALU_DEP_2)
	v_dual_mov_b32 v5, v4 :: v_dual_bitop2_b32 v13, v9, v4 bitop3:0x14
	v_xor_b32_e32 v12, v7, v4
	s_delay_alu instid0(VALU_DEP_1)
	v_sub_nc_u64_e32 v[4:5], v[12:13], v[4:5]
.LBB126_5349:
	s_mov_b32 s2, 0
.LBB126_5350:
	s_delay_alu instid0(SALU_CYCLE_1)
	s_and_not1_b32 vcc_lo, exec_lo, s2
	s_cbranch_vccnz .LBB126_5352
; %bb.5351:
	s_wait_loadcnt 0x0
	global_load_b32 v4, v[10:11], off
	s_wait_loadcnt 0x0
	v_cvt_f32_f16_e32 v4, v4
	s_delay_alu instid0(VALU_DEP_1) | instskip(NEXT) | instid1(VALU_DEP_1)
	v_cvt_i32_f32_e32 v4, v4
	v_ashrrev_i32_e32 v5, 31, v4
.LBB126_5352:
	s_mov_b32 s2, 0
.LBB126_5353:
	s_delay_alu instid0(SALU_CYCLE_1)
	s_and_not1_b32 vcc_lo, exec_lo, s2
	s_cbranch_vccnz .LBB126_5364
; %bb.5354:
	s_cmp_lt_i32 s0, 6
	s_cbranch_scc1 .LBB126_5357
; %bb.5355:
	s_cmp_gt_i32 s0, 6
	s_cbranch_scc0 .LBB126_5358
; %bb.5356:
	s_wait_loadcnt 0x0
	global_load_b64 v[4:5], v[10:11], off
	s_mov_b32 s2, 0
	s_wait_loadcnt 0x0
	v_trunc_f64_e32 v[4:5], v[4:5]
	s_delay_alu instid0(VALU_DEP_1) | instskip(NEXT) | instid1(VALU_DEP_1)
	v_ldexp_f64 v[12:13], v[4:5], 0xffffffe0
	v_floor_f64_e32 v[12:13], v[12:13]
	s_delay_alu instid0(VALU_DEP_1) | instskip(SKIP_1) | instid1(VALU_DEP_2)
	v_fmamk_f64 v[14:15], v[12:13], 0xc1f00000, v[4:5]
	v_cvt_i32_f64_e32 v5, v[12:13]
	v_cvt_u32_f64_e32 v4, v[14:15]
	s_branch .LBB126_5359
.LBB126_5357:
	s_mov_b32 s2, -1
                                        ; implicit-def: $vgpr4_vgpr5
	s_branch .LBB126_5362
.LBB126_5358:
	s_mov_b32 s2, -1
                                        ; implicit-def: $vgpr4_vgpr5
.LBB126_5359:
	s_delay_alu instid0(SALU_CYCLE_1)
	s_and_not1_b32 vcc_lo, exec_lo, s2
	s_cbranch_vccnz .LBB126_5361
; %bb.5360:
	s_wait_loadcnt 0x0
	global_load_b32 v4, v[10:11], off
	s_wait_loadcnt 0x0
	v_trunc_f32_e32 v4, v4
	s_delay_alu instid0(VALU_DEP_1) | instskip(NEXT) | instid1(VALU_DEP_1)
	v_mul_f32_e64 v5, 0x2f800000, |v4|
	v_floor_f32_e32 v5, v5
	s_delay_alu instid0(VALU_DEP_1) | instskip(SKIP_2) | instid1(VALU_DEP_3)
	v_fma_f32 v7, 0xcf800000, v5, |v4|
	v_ashrrev_i32_e32 v4, 31, v4
	v_cvt_u32_f32_e32 v9, v5
	v_cvt_u32_f32_e32 v7, v7
	s_delay_alu instid0(VALU_DEP_2) | instskip(NEXT) | instid1(VALU_DEP_2)
	v_dual_mov_b32 v5, v4 :: v_dual_bitop2_b32 v13, v9, v4 bitop3:0x14
	v_xor_b32_e32 v12, v7, v4
	s_delay_alu instid0(VALU_DEP_1)
	v_sub_nc_u64_e32 v[4:5], v[12:13], v[4:5]
.LBB126_5361:
	s_mov_b32 s2, 0
.LBB126_5362:
	s_delay_alu instid0(SALU_CYCLE_1)
	s_and_not1_b32 vcc_lo, exec_lo, s2
	s_cbranch_vccnz .LBB126_5364
; %bb.5363:
	s_wait_loadcnt 0x0
	global_load_u16 v4, v[10:11], off
	s_wait_loadcnt 0x0
	v_cvt_f32_f16_e32 v4, v4
	s_delay_alu instid0(VALU_DEP_1) | instskip(NEXT) | instid1(VALU_DEP_1)
	v_cvt_i32_f32_e32 v4, v4
	v_ashrrev_i32_e32 v5, 31, v4
.LBB126_5364:
	s_mov_b32 s2, 0
.LBB126_5365:
	s_delay_alu instid0(SALU_CYCLE_1)
	s_and_not1_b32 vcc_lo, exec_lo, s2
	s_cbranch_vccnz .LBB126_5385
; %bb.5366:
	s_cmp_lt_i32 s0, 2
	s_cbranch_scc1 .LBB126_5370
; %bb.5367:
	s_cmp_lt_i32 s0, 3
	s_cbranch_scc1 .LBB126_5371
; %bb.5368:
	s_cmp_gt_i32 s0, 3
	s_cbranch_scc0 .LBB126_5372
; %bb.5369:
	s_wait_loadcnt 0x0
	global_load_b64 v[4:5], v[10:11], off
	s_mov_b32 s2, 0
	s_branch .LBB126_5373
.LBB126_5370:
	s_mov_b32 s2, -1
                                        ; implicit-def: $vgpr4_vgpr5
	s_branch .LBB126_5379
.LBB126_5371:
	s_mov_b32 s2, -1
                                        ; implicit-def: $vgpr4_vgpr5
	s_branch .LBB126_5376
.LBB126_5372:
	s_mov_b32 s2, -1
                                        ; implicit-def: $vgpr4_vgpr5
.LBB126_5373:
	s_delay_alu instid0(SALU_CYCLE_1)
	s_and_not1_b32 vcc_lo, exec_lo, s2
	s_cbranch_vccnz .LBB126_5375
; %bb.5374:
	s_wait_loadcnt 0x0
	global_load_b32 v4, v[10:11], off
	s_wait_loadcnt 0x0
	v_ashrrev_i32_e32 v5, 31, v4
.LBB126_5375:
	s_mov_b32 s2, 0
.LBB126_5376:
	s_delay_alu instid0(SALU_CYCLE_1)
	s_and_not1_b32 vcc_lo, exec_lo, s2
	s_cbranch_vccnz .LBB126_5378
; %bb.5377:
	s_wait_loadcnt 0x0
	global_load_u16 v4, v[10:11], off
	s_wait_loadcnt 0x0
	v_bfe_i32 v4, v4, 0, 16
	s_delay_alu instid0(VALU_DEP_1)
	v_ashrrev_i32_e32 v5, 31, v4
.LBB126_5378:
	s_mov_b32 s2, 0
.LBB126_5379:
	s_delay_alu instid0(SALU_CYCLE_1)
	s_and_not1_b32 vcc_lo, exec_lo, s2
	s_cbranch_vccnz .LBB126_5385
; %bb.5380:
	s_cmp_gt_i32 s0, 0
	s_mov_b32 s0, 0
	s_cbranch_scc0 .LBB126_5382
; %bb.5381:
	s_wait_loadcnt 0x0
	global_load_i8 v4, v[10:11], off
	s_wait_loadcnt 0x0
	v_bfe_i32 v4, v4, 0, 16
	s_delay_alu instid0(VALU_DEP_1)
	v_ashrrev_i32_e32 v5, 31, v4
	s_branch .LBB126_5383
.LBB126_5382:
	s_mov_b32 s0, -1
                                        ; implicit-def: $vgpr4_vgpr5
.LBB126_5383:
	s_delay_alu instid0(SALU_CYCLE_1)
	s_and_not1_b32 vcc_lo, exec_lo, s0
	s_cbranch_vccnz .LBB126_5385
; %bb.5384:
	s_wait_loadcnt 0x0
	global_load_u8 v4, v[10:11], off
	s_mov_b32 s0, 0
	s_delay_alu instid0(SALU_CYCLE_1)
	v_mov_b32_e32 v5, s0
	s_wait_loadcnt 0x0
	v_and_b32_e32 v4, 0xffff, v4
.LBB126_5385:
	s_mov_b32 s6, -1
.LBB126_5386:
	s_delay_alu instid0(SALU_CYCLE_1)
	s_and_not1_b32 vcc_lo, exec_lo, s6
	s_cbranch_vccnz .LBB126_5650
; %bb.5387:
	v_add_nc_u32_e32 v6, s72, v6
	s_cmp_lt_i32 s60, 11
	s_delay_alu instid0(VALU_DEP_1) | instskip(SKIP_1) | instid1(VALU_DEP_1)
	v_ashrrev_i32_e32 v7, 31, v6
	s_wait_xcnt 0x0
	v_add_nc_u64_e32 v[10:11], s[12:13], v[6:7]
	s_cbranch_scc1 .LBB126_5394
; %bb.5388:
	s_and_b32 s0, 0xffff, s60
	s_mov_b32 s3, 0
	s_cmp_gt_i32 s0, 25
	s_cbranch_scc0 .LBB126_5395
; %bb.5389:
	s_cmp_gt_i32 s0, 28
	s_cbranch_scc0 .LBB126_5396
; %bb.5390:
	;; [unrolled: 3-line block ×4, first 2 shown]
	s_cmp_eq_u32 s0, 46
	s_mov_b32 s7, 0
	s_cbranch_scc0 .LBB126_5401
; %bb.5393:
	global_load_b32 v6, v[10:11], off
	s_mov_b32 s2, 0
	s_mov_b32 s6, -1
	s_wait_loadcnt 0x0
	v_lshlrev_b32_e32 v6, 16, v6
	s_delay_alu instid0(VALU_DEP_1) | instskip(NEXT) | instid1(VALU_DEP_1)
	v_trunc_f32_e32 v6, v6
	v_mul_f32_e64 v7, 0x2f800000, |v6|
	s_delay_alu instid0(VALU_DEP_1) | instskip(NEXT) | instid1(VALU_DEP_1)
	v_floor_f32_e32 v7, v7
	v_fma_f32 v9, 0xcf800000, v7, |v6|
	v_ashrrev_i32_e32 v6, 31, v6
	v_cvt_u32_f32_e32 v12, v7
	s_delay_alu instid0(VALU_DEP_3) | instskip(NEXT) | instid1(VALU_DEP_2)
	v_cvt_u32_f32_e32 v9, v9
	v_dual_mov_b32 v7, v6 :: v_dual_bitop2_b32 v13, v12, v6 bitop3:0x14
	s_delay_alu instid0(VALU_DEP_2) | instskip(NEXT) | instid1(VALU_DEP_1)
	v_xor_b32_e32 v12, v9, v6
	v_sub_nc_u64_e32 v[6:7], v[12:13], v[6:7]
	s_branch .LBB126_5403
.LBB126_5394:
	s_mov_b32 s0, -1
	s_mov_b32 s6, 0
                                        ; implicit-def: $vgpr6_vgpr7
	s_branch .LBB126_5465
.LBB126_5395:
	s_mov_b32 s7, -1
	s_mov_b32 s6, 0
	s_mov_b32 s2, 0
                                        ; implicit-def: $vgpr6_vgpr7
	s_branch .LBB126_5430
.LBB126_5396:
	s_mov_b32 s7, -1
	s_mov_b32 s6, 0
	s_mov_b32 s2, 0
                                        ; implicit-def: $vgpr6_vgpr7
	s_branch .LBB126_5413
.LBB126_5397:
	s_mov_b32 s7, -1
	s_mov_b32 s6, 0
	s_mov_b32 s2, 0
                                        ; implicit-def: $vgpr6_vgpr7
	s_branch .LBB126_5408
.LBB126_5398:
	s_or_b32 s19, s19, exec_lo
	s_trap 2
	s_cbranch_execz .LBB126_5335
	s_branch .LBB126_5336
.LBB126_5399:
	s_mov_b32 s7, -1
	s_mov_b32 s6, 0
	s_mov_b32 s2, 0
	s_branch .LBB126_5402
.LBB126_5400:
	s_or_b32 s77, s75, exec_lo
	s_trap 2
                                        ; implicit-def: $vgpr0
                                        ; implicit-def: $vgpr2
                                        ; implicit-def: $vgpr4
                                        ; implicit-def: $vgpr14_vgpr15
                                        ; implicit-def: $vgpr6
                                        ; implicit-def: $vgpr16_vgpr17
                                        ; implicit-def: $vgpr8
                                        ; implicit-def: $vgpr20_vgpr21
                                        ; implicit-def: $vgpr23
                                        ; implicit-def: $vgpr22
	s_branch .LBB126_4981
.LBB126_5401:
	s_mov_b32 s2, -1
	s_mov_b32 s6, 0
.LBB126_5402:
                                        ; implicit-def: $vgpr6_vgpr7
.LBB126_5403:
	s_and_b32 vcc_lo, exec_lo, s7
	s_cbranch_vccz .LBB126_5407
; %bb.5404:
	s_cmp_eq_u32 s0, 44
	s_cbranch_scc0 .LBB126_5406
; %bb.5405:
	global_load_u8 v9, v[10:11], off
	s_mov_b32 s2, 0
	s_mov_b32 s6, -1
	s_wait_loadcnt 0x0
	v_cmp_ne_u32_e32 vcc_lo, 0, v9
	v_lshlrev_b32_e32 v6, 23, v9
	s_delay_alu instid0(VALU_DEP_1) | instskip(NEXT) | instid1(VALU_DEP_1)
	v_trunc_f32_e32 v6, v6
	v_mul_f32_e64 v7, 0x2f800000, |v6|
	s_delay_alu instid0(VALU_DEP_1) | instskip(NEXT) | instid1(VALU_DEP_1)
	v_floor_f32_e32 v7, v7
	v_fma_f32 v12, 0xcf800000, v7, |v6|
	v_ashrrev_i32_e32 v6, 31, v6
	v_cvt_u32_f32_e32 v13, v7
	s_delay_alu instid0(VALU_DEP_3) | instskip(NEXT) | instid1(VALU_DEP_2)
	v_cvt_u32_f32_e32 v12, v12
	v_dual_mov_b32 v7, v6 :: v_dual_bitop2_b32 v13, v13, v6 bitop3:0x14
	s_delay_alu instid0(VALU_DEP_2) | instskip(NEXT) | instid1(VALU_DEP_1)
	v_xor_b32_e32 v12, v12, v6
	v_sub_nc_u64_e32 v[6:7], v[12:13], v[6:7]
	s_delay_alu instid0(VALU_DEP_1)
	v_dual_cndmask_b32 v7, 0, v7 :: v_dual_cndmask_b32 v6, 0, v6
	s_branch .LBB126_5407
.LBB126_5406:
	s_mov_b32 s2, -1
                                        ; implicit-def: $vgpr6_vgpr7
.LBB126_5407:
	s_mov_b32 s7, 0
.LBB126_5408:
	s_delay_alu instid0(SALU_CYCLE_1)
	s_and_b32 vcc_lo, exec_lo, s7
	s_cbranch_vccz .LBB126_5412
; %bb.5409:
	s_cmp_eq_u32 s0, 29
	s_cbranch_scc0 .LBB126_5411
; %bb.5410:
	global_load_b64 v[6:7], v[10:11], off
	s_mov_b32 s2, 0
	s_mov_b32 s6, -1
	s_branch .LBB126_5412
.LBB126_5411:
	s_mov_b32 s2, -1
                                        ; implicit-def: $vgpr6_vgpr7
.LBB126_5412:
	s_mov_b32 s7, 0
.LBB126_5413:
	s_delay_alu instid0(SALU_CYCLE_1)
	s_and_b32 vcc_lo, exec_lo, s7
	s_cbranch_vccz .LBB126_5429
; %bb.5414:
	s_cmp_lt_i32 s0, 27
	s_cbranch_scc1 .LBB126_5417
; %bb.5415:
	s_cmp_gt_i32 s0, 27
	s_cbranch_scc0 .LBB126_5418
; %bb.5416:
	s_wait_loadcnt 0x0
	global_load_b32 v6, v[10:11], off
	v_mov_b32_e32 v7, 0
	s_mov_b32 s6, 0
	s_branch .LBB126_5419
.LBB126_5417:
	s_mov_b32 s6, -1
                                        ; implicit-def: $vgpr6_vgpr7
	s_branch .LBB126_5422
.LBB126_5418:
	s_mov_b32 s6, -1
                                        ; implicit-def: $vgpr6_vgpr7
.LBB126_5419:
	s_delay_alu instid0(SALU_CYCLE_1)
	s_and_not1_b32 vcc_lo, exec_lo, s6
	s_cbranch_vccnz .LBB126_5421
; %bb.5420:
	s_wait_loadcnt 0x0
	global_load_u16 v6, v[10:11], off
	s_mov_b32 s6, 0
	s_delay_alu instid0(SALU_CYCLE_1)
	v_mov_b32_e32 v7, s6
	s_wait_loadcnt 0x0
	v_and_b32_e32 v6, 0xffff, v6
.LBB126_5421:
	s_mov_b32 s6, 0
.LBB126_5422:
	s_delay_alu instid0(SALU_CYCLE_1)
	s_and_not1_b32 vcc_lo, exec_lo, s6
	s_cbranch_vccnz .LBB126_5428
; %bb.5423:
	global_load_u8 v9, v[10:11], off
	s_mov_b32 s7, 0
	s_mov_b32 s6, exec_lo
	s_wait_loadcnt 0x0
	v_cmpx_lt_i16_e32 0x7f, v9
	s_xor_b32 s6, exec_lo, s6
	s_cbranch_execz .LBB126_5440
; %bb.5424:
	v_cmp_ne_u16_e32 vcc_lo, 0x80, v9
	s_and_b32 s7, vcc_lo, exec_lo
	s_and_not1_saveexec_b32 s6, s6
	s_cbranch_execnz .LBB126_5441
.LBB126_5425:
	s_or_b32 exec_lo, exec_lo, s6
	v_mov_b64_e32 v[6:7], 0
	s_and_saveexec_b32 s6, s7
	s_cbranch_execz .LBB126_5427
.LBB126_5426:
	v_and_b32_e32 v6, 0xffff, v9
	s_delay_alu instid0(VALU_DEP_1) | instskip(SKIP_1) | instid1(VALU_DEP_2)
	v_and_b32_e32 v7, 7, v6
	v_bfe_u32 v14, v6, 3, 4
	v_clz_i32_u32_e32 v12, v7
	s_delay_alu instid0(VALU_DEP_2) | instskip(NEXT) | instid1(VALU_DEP_2)
	v_cmp_eq_u32_e32 vcc_lo, 0, v14
	v_min_u32_e32 v12, 32, v12
	s_delay_alu instid0(VALU_DEP_1) | instskip(NEXT) | instid1(VALU_DEP_1)
	v_subrev_nc_u32_e32 v13, 28, v12
	v_dual_lshlrev_b32 v6, v13, v6 :: v_dual_sub_nc_u32 v12, 29, v12
	s_delay_alu instid0(VALU_DEP_1) | instskip(NEXT) | instid1(VALU_DEP_1)
	v_dual_lshlrev_b32 v9, 24, v9 :: v_dual_bitop2_b32 v6, 7, v6 bitop3:0x40
	v_dual_cndmask_b32 v12, v14, v12, vcc_lo :: v_dual_cndmask_b32 v6, v7, v6, vcc_lo
	s_delay_alu instid0(VALU_DEP_2) | instskip(NEXT) | instid1(VALU_DEP_2)
	v_and_b32_e32 v7, 0x80000000, v9
	v_lshl_add_u32 v9, v12, 23, 0x3b800000
	s_delay_alu instid0(VALU_DEP_3) | instskip(NEXT) | instid1(VALU_DEP_1)
	v_lshlrev_b32_e32 v6, 20, v6
	v_or3_b32 v6, v7, v9, v6
	s_delay_alu instid0(VALU_DEP_1) | instskip(NEXT) | instid1(VALU_DEP_1)
	v_trunc_f32_e32 v6, v6
	v_mul_f32_e64 v7, 0x2f800000, |v6|
	s_delay_alu instid0(VALU_DEP_1) | instskip(NEXT) | instid1(VALU_DEP_1)
	v_floor_f32_e32 v7, v7
	v_fma_f32 v9, 0xcf800000, v7, |v6|
	v_ashrrev_i32_e32 v6, 31, v6
	v_cvt_u32_f32_e32 v12, v7
	s_delay_alu instid0(VALU_DEP_3) | instskip(NEXT) | instid1(VALU_DEP_2)
	v_cvt_u32_f32_e32 v9, v9
	v_dual_mov_b32 v7, v6 :: v_dual_bitop2_b32 v13, v12, v6 bitop3:0x14
	s_delay_alu instid0(VALU_DEP_2) | instskip(NEXT) | instid1(VALU_DEP_1)
	v_xor_b32_e32 v12, v9, v6
	v_sub_nc_u64_e32 v[6:7], v[12:13], v[6:7]
.LBB126_5427:
	s_or_b32 exec_lo, exec_lo, s6
.LBB126_5428:
	s_mov_b32 s6, -1
.LBB126_5429:
	s_mov_b32 s7, 0
.LBB126_5430:
	s_delay_alu instid0(SALU_CYCLE_1)
	s_and_b32 vcc_lo, exec_lo, s7
	s_cbranch_vccz .LBB126_5461
; %bb.5431:
	s_cmp_gt_i32 s0, 22
	s_cbranch_scc0 .LBB126_5439
; %bb.5432:
	s_cmp_lt_i32 s0, 24
	s_cbranch_scc1 .LBB126_5442
; %bb.5433:
	s_cmp_gt_i32 s0, 24
	s_cbranch_scc0 .LBB126_5443
; %bb.5434:
	global_load_u8 v9, v[10:11], off
	s_mov_b32 s6, 0
	s_mov_b32 s3, exec_lo
	s_wait_loadcnt 0x0
	v_cmpx_lt_i16_e32 0x7f, v9
	s_xor_b32 s3, exec_lo, s3
	s_cbranch_execz .LBB126_5455
; %bb.5435:
	v_cmp_ne_u16_e32 vcc_lo, 0x80, v9
	s_and_b32 s6, vcc_lo, exec_lo
	s_and_not1_saveexec_b32 s3, s3
	s_cbranch_execnz .LBB126_5456
.LBB126_5436:
	s_or_b32 exec_lo, exec_lo, s3
	v_mov_b64_e32 v[6:7], 0
	s_and_saveexec_b32 s3, s6
	s_cbranch_execz .LBB126_5438
.LBB126_5437:
	v_and_b32_e32 v6, 0xffff, v9
	s_delay_alu instid0(VALU_DEP_1) | instskip(SKIP_1) | instid1(VALU_DEP_2)
	v_and_b32_e32 v7, 3, v6
	v_bfe_u32 v14, v6, 2, 5
	v_clz_i32_u32_e32 v12, v7
	s_delay_alu instid0(VALU_DEP_2) | instskip(NEXT) | instid1(VALU_DEP_2)
	v_cmp_eq_u32_e32 vcc_lo, 0, v14
	v_min_u32_e32 v12, 32, v12
	s_delay_alu instid0(VALU_DEP_1) | instskip(NEXT) | instid1(VALU_DEP_1)
	v_subrev_nc_u32_e32 v13, 29, v12
	v_dual_lshlrev_b32 v6, v13, v6 :: v_dual_sub_nc_u32 v12, 30, v12
	s_delay_alu instid0(VALU_DEP_1) | instskip(NEXT) | instid1(VALU_DEP_1)
	v_dual_lshlrev_b32 v9, 24, v9 :: v_dual_bitop2_b32 v6, 3, v6 bitop3:0x40
	v_dual_cndmask_b32 v12, v14, v12, vcc_lo :: v_dual_cndmask_b32 v6, v7, v6, vcc_lo
	s_delay_alu instid0(VALU_DEP_2) | instskip(NEXT) | instid1(VALU_DEP_2)
	v_and_b32_e32 v7, 0x80000000, v9
	v_lshl_add_u32 v9, v12, 23, 0x37800000
	s_delay_alu instid0(VALU_DEP_3) | instskip(NEXT) | instid1(VALU_DEP_1)
	v_lshlrev_b32_e32 v6, 21, v6
	v_or3_b32 v6, v7, v9, v6
	s_delay_alu instid0(VALU_DEP_1) | instskip(NEXT) | instid1(VALU_DEP_1)
	v_trunc_f32_e32 v6, v6
	v_mul_f32_e64 v7, 0x2f800000, |v6|
	s_delay_alu instid0(VALU_DEP_1) | instskip(NEXT) | instid1(VALU_DEP_1)
	v_floor_f32_e32 v7, v7
	v_fma_f32 v9, 0xcf800000, v7, |v6|
	v_ashrrev_i32_e32 v6, 31, v6
	v_cvt_u32_f32_e32 v12, v7
	s_delay_alu instid0(VALU_DEP_3) | instskip(NEXT) | instid1(VALU_DEP_2)
	v_cvt_u32_f32_e32 v9, v9
	v_dual_mov_b32 v7, v6 :: v_dual_bitop2_b32 v13, v12, v6 bitop3:0x14
	s_delay_alu instid0(VALU_DEP_2) | instskip(NEXT) | instid1(VALU_DEP_1)
	v_xor_b32_e32 v12, v9, v6
	v_sub_nc_u64_e32 v[6:7], v[12:13], v[6:7]
.LBB126_5438:
	s_or_b32 exec_lo, exec_lo, s3
	s_mov_b32 s3, 0
	s_branch .LBB126_5444
.LBB126_5439:
	s_mov_b32 s3, -1
                                        ; implicit-def: $vgpr6_vgpr7
	s_branch .LBB126_5450
.LBB126_5440:
	s_and_not1_saveexec_b32 s6, s6
	s_cbranch_execz .LBB126_5425
.LBB126_5441:
	v_cmp_ne_u16_e32 vcc_lo, 0, v9
	s_and_not1_b32 s7, s7, exec_lo
	s_and_b32 s8, vcc_lo, exec_lo
	s_delay_alu instid0(SALU_CYCLE_1)
	s_or_b32 s7, s7, s8
	s_or_b32 exec_lo, exec_lo, s6
	v_mov_b64_e32 v[6:7], 0
	s_and_saveexec_b32 s6, s7
	s_cbranch_execnz .LBB126_5426
	s_branch .LBB126_5427
.LBB126_5442:
	s_mov_b32 s3, -1
                                        ; implicit-def: $vgpr6_vgpr7
	s_branch .LBB126_5447
.LBB126_5443:
	s_mov_b32 s3, -1
                                        ; implicit-def: $vgpr6_vgpr7
.LBB126_5444:
	s_delay_alu instid0(SALU_CYCLE_1)
	s_and_b32 vcc_lo, exec_lo, s3
	s_cbranch_vccz .LBB126_5446
; %bb.5445:
	s_wait_loadcnt 0x0
	global_load_u8 v6, v[10:11], off
	s_wait_loadcnt 0x0
	v_lshlrev_b32_e32 v6, 24, v6
	s_delay_alu instid0(VALU_DEP_1) | instskip(NEXT) | instid1(VALU_DEP_1)
	v_and_b32_e32 v7, 0x7f000000, v6
	v_clz_i32_u32_e32 v9, v7
	v_add_nc_u32_e32 v13, 0x1000000, v7
	v_cmp_ne_u32_e32 vcc_lo, 0, v7
	s_delay_alu instid0(VALU_DEP_3) | instskip(NEXT) | instid1(VALU_DEP_1)
	v_min_u32_e32 v9, 32, v9
	v_sub_nc_u32_e64 v9, v9, 4 clamp
	s_delay_alu instid0(VALU_DEP_1) | instskip(NEXT) | instid1(VALU_DEP_1)
	v_dual_lshlrev_b32 v12, v9, v7 :: v_dual_lshlrev_b32 v9, 23, v9
	v_lshrrev_b32_e32 v12, 4, v12
	s_delay_alu instid0(VALU_DEP_1) | instskip(SKIP_1) | instid1(VALU_DEP_2)
	v_sub_nc_u32_e32 v9, v12, v9
	v_ashrrev_i32_e32 v12, 8, v13
	v_add_nc_u32_e32 v9, 0x3c000000, v9
	s_delay_alu instid0(VALU_DEP_1) | instskip(NEXT) | instid1(VALU_DEP_1)
	v_and_or_b32 v9, 0x7f800000, v12, v9
	v_cndmask_b32_e32 v7, 0, v9, vcc_lo
	s_delay_alu instid0(VALU_DEP_1) | instskip(NEXT) | instid1(VALU_DEP_1)
	v_and_or_b32 v6, 0x80000000, v6, v7
	v_trunc_f32_e32 v6, v6
	s_delay_alu instid0(VALU_DEP_1) | instskip(NEXT) | instid1(VALU_DEP_1)
	v_mul_f32_e64 v7, 0x2f800000, |v6|
	v_floor_f32_e32 v7, v7
	s_delay_alu instid0(VALU_DEP_1) | instskip(SKIP_2) | instid1(VALU_DEP_3)
	v_fma_f32 v9, 0xcf800000, v7, |v6|
	v_ashrrev_i32_e32 v6, 31, v6
	v_cvt_u32_f32_e32 v12, v7
	v_cvt_u32_f32_e32 v9, v9
	s_delay_alu instid0(VALU_DEP_2) | instskip(NEXT) | instid1(VALU_DEP_2)
	v_dual_mov_b32 v7, v6 :: v_dual_bitop2_b32 v13, v12, v6 bitop3:0x14
	v_xor_b32_e32 v12, v9, v6
	s_delay_alu instid0(VALU_DEP_1)
	v_sub_nc_u64_e32 v[6:7], v[12:13], v[6:7]
.LBB126_5446:
	s_mov_b32 s3, 0
.LBB126_5447:
	s_delay_alu instid0(SALU_CYCLE_1)
	s_and_not1_b32 vcc_lo, exec_lo, s3
	s_cbranch_vccnz .LBB126_5449
; %bb.5448:
	s_wait_loadcnt 0x0
	global_load_u8 v6, v[10:11], off
	s_wait_loadcnt 0x0
	v_lshlrev_b32_e32 v7, 25, v6
	v_lshlrev_b16 v6, 8, v6
	s_delay_alu instid0(VALU_DEP_1) | instskip(SKIP_1) | instid1(VALU_DEP_2)
	v_and_or_b32 v12, 0x7f00, v6, 0.5
	v_bfe_i32 v6, v6, 0, 16
	v_dual_add_f32 v12, -0.5, v12 :: v_dual_lshrrev_b32 v9, 4, v7
	v_cmp_gt_u32_e32 vcc_lo, 0x8000000, v7
	s_delay_alu instid0(VALU_DEP_2) | instskip(NEXT) | instid1(VALU_DEP_1)
	v_or_b32_e32 v9, 0x70000000, v9
	v_mul_f32_e32 v9, 0x7800000, v9
	s_delay_alu instid0(VALU_DEP_1) | instskip(NEXT) | instid1(VALU_DEP_1)
	v_cndmask_b32_e32 v7, v9, v12, vcc_lo
	v_and_or_b32 v6, 0x80000000, v6, v7
	s_delay_alu instid0(VALU_DEP_1) | instskip(NEXT) | instid1(VALU_DEP_1)
	v_trunc_f32_e32 v6, v6
	v_mul_f32_e64 v7, 0x2f800000, |v6|
	s_delay_alu instid0(VALU_DEP_1) | instskip(NEXT) | instid1(VALU_DEP_1)
	v_floor_f32_e32 v7, v7
	v_fma_f32 v9, 0xcf800000, v7, |v6|
	v_ashrrev_i32_e32 v6, 31, v6
	v_cvt_u32_f32_e32 v12, v7
	s_delay_alu instid0(VALU_DEP_3) | instskip(NEXT) | instid1(VALU_DEP_2)
	v_cvt_u32_f32_e32 v9, v9
	v_dual_mov_b32 v7, v6 :: v_dual_bitop2_b32 v13, v12, v6 bitop3:0x14
	s_delay_alu instid0(VALU_DEP_2) | instskip(NEXT) | instid1(VALU_DEP_1)
	v_xor_b32_e32 v12, v9, v6
	v_sub_nc_u64_e32 v[6:7], v[12:13], v[6:7]
.LBB126_5449:
	s_mov_b32 s3, 0
	s_mov_b32 s6, -1
.LBB126_5450:
	s_and_not1_b32 vcc_lo, exec_lo, s3
	s_mov_b32 s3, 0
	s_cbranch_vccnz .LBB126_5461
; %bb.5451:
	s_cmp_gt_i32 s0, 14
	s_cbranch_scc0 .LBB126_5454
; %bb.5452:
	s_cmp_eq_u32 s0, 15
	s_cbranch_scc0 .LBB126_5457
; %bb.5453:
	s_wait_loadcnt 0x0
	global_load_u16 v6, v[10:11], off
	s_mov_b32 s2, 0
	s_mov_b32 s6, -1
	s_wait_loadcnt 0x0
	v_lshlrev_b32_e32 v6, 16, v6
	s_delay_alu instid0(VALU_DEP_1) | instskip(NEXT) | instid1(VALU_DEP_1)
	v_trunc_f32_e32 v6, v6
	v_mul_f32_e64 v7, 0x2f800000, |v6|
	s_delay_alu instid0(VALU_DEP_1) | instskip(NEXT) | instid1(VALU_DEP_1)
	v_floor_f32_e32 v7, v7
	v_fma_f32 v9, 0xcf800000, v7, |v6|
	v_ashrrev_i32_e32 v6, 31, v6
	v_cvt_u32_f32_e32 v12, v7
	s_delay_alu instid0(VALU_DEP_3) | instskip(NEXT) | instid1(VALU_DEP_2)
	v_cvt_u32_f32_e32 v9, v9
	v_dual_mov_b32 v7, v6 :: v_dual_bitop2_b32 v13, v12, v6 bitop3:0x14
	s_delay_alu instid0(VALU_DEP_2) | instskip(NEXT) | instid1(VALU_DEP_1)
	v_xor_b32_e32 v12, v9, v6
	v_sub_nc_u64_e32 v[6:7], v[12:13], v[6:7]
	s_branch .LBB126_5459
.LBB126_5454:
	s_mov_b32 s3, -1
	s_branch .LBB126_5458
.LBB126_5455:
	s_and_not1_saveexec_b32 s3, s3
	s_cbranch_execz .LBB126_5436
.LBB126_5456:
	v_cmp_ne_u16_e32 vcc_lo, 0, v9
	s_and_not1_b32 s6, s6, exec_lo
	s_and_b32 s7, vcc_lo, exec_lo
	s_delay_alu instid0(SALU_CYCLE_1)
	s_or_b32 s6, s6, s7
	s_or_b32 exec_lo, exec_lo, s3
	v_mov_b64_e32 v[6:7], 0
	s_and_saveexec_b32 s3, s6
	s_cbranch_execnz .LBB126_5437
	s_branch .LBB126_5438
.LBB126_5457:
	s_mov_b32 s2, -1
.LBB126_5458:
                                        ; implicit-def: $vgpr6_vgpr7
.LBB126_5459:
	s_and_b32 vcc_lo, exec_lo, s3
	s_mov_b32 s3, 0
	s_cbranch_vccz .LBB126_5461
; %bb.5460:
	s_cmp_lg_u32 s0, 11
	s_mov_b32 s3, -1
	s_cselect_b32 s2, -1, 0
.LBB126_5461:
	s_delay_alu instid0(SALU_CYCLE_1)
	s_and_b32 vcc_lo, exec_lo, s2
	s_cbranch_vccnz .LBB126_5526
; %bb.5462:
	s_and_not1_b32 vcc_lo, exec_lo, s3
	s_cbranch_vccnz .LBB126_5464
.LBB126_5463:
	s_wait_loadcnt 0x0
	global_load_u8 v6, v[10:11], off
	s_mov_b32 s0, 0
	s_mov_b32 s6, -1
	v_mov_b32_e32 v7, s0
	s_wait_loadcnt 0x0
	v_cmp_ne_u16_e32 vcc_lo, 0, v6
	v_cndmask_b32_e64 v6, 0, 1, vcc_lo
.LBB126_5464:
	s_mov_b32 s0, 0
.LBB126_5465:
	s_delay_alu instid0(SALU_CYCLE_1)
	s_and_b32 vcc_lo, exec_lo, s0
	s_cbranch_vccz .LBB126_5514
; %bb.5466:
	s_and_b32 s0, 0xffff, s60
	s_delay_alu instid0(SALU_CYCLE_1)
	s_cmp_lt_i32 s0, 5
	s_cbranch_scc1 .LBB126_5471
; %bb.5467:
	s_cmp_lt_i32 s0, 8
	s_cbranch_scc1 .LBB126_5472
; %bb.5468:
	;; [unrolled: 3-line block ×3, first 2 shown]
	s_cmp_gt_i32 s0, 9
	s_cbranch_scc0 .LBB126_5474
; %bb.5470:
	s_wait_loadcnt 0x0
	global_load_b64 v[6:7], v[10:11], off
	s_mov_b32 s2, 0
	s_wait_loadcnt 0x0
	v_trunc_f64_e32 v[6:7], v[6:7]
	s_delay_alu instid0(VALU_DEP_1) | instskip(NEXT) | instid1(VALU_DEP_1)
	v_ldexp_f64 v[12:13], v[6:7], 0xffffffe0
	v_floor_f64_e32 v[12:13], v[12:13]
	s_delay_alu instid0(VALU_DEP_1) | instskip(SKIP_1) | instid1(VALU_DEP_2)
	v_fmamk_f64 v[14:15], v[12:13], 0xc1f00000, v[6:7]
	v_cvt_i32_f64_e32 v7, v[12:13]
	v_cvt_u32_f64_e32 v6, v[14:15]
	s_branch .LBB126_5475
.LBB126_5471:
	s_mov_b32 s2, -1
                                        ; implicit-def: $vgpr6_vgpr7
	s_branch .LBB126_5493
.LBB126_5472:
	s_mov_b32 s2, -1
                                        ; implicit-def: $vgpr6_vgpr7
	s_branch .LBB126_5481
.LBB126_5473:
	s_mov_b32 s2, -1
                                        ; implicit-def: $vgpr6_vgpr7
	s_branch .LBB126_5478
.LBB126_5474:
	s_mov_b32 s2, -1
                                        ; implicit-def: $vgpr6_vgpr7
.LBB126_5475:
	s_delay_alu instid0(SALU_CYCLE_1)
	s_and_not1_b32 vcc_lo, exec_lo, s2
	s_cbranch_vccnz .LBB126_5477
; %bb.5476:
	s_wait_loadcnt 0x0
	global_load_b32 v6, v[10:11], off
	s_wait_loadcnt 0x0
	v_trunc_f32_e32 v6, v6
	s_delay_alu instid0(VALU_DEP_1) | instskip(NEXT) | instid1(VALU_DEP_1)
	v_mul_f32_e64 v7, 0x2f800000, |v6|
	v_floor_f32_e32 v7, v7
	s_delay_alu instid0(VALU_DEP_1) | instskip(SKIP_2) | instid1(VALU_DEP_3)
	v_fma_f32 v9, 0xcf800000, v7, |v6|
	v_ashrrev_i32_e32 v6, 31, v6
	v_cvt_u32_f32_e32 v12, v7
	v_cvt_u32_f32_e32 v9, v9
	s_delay_alu instid0(VALU_DEP_2) | instskip(NEXT) | instid1(VALU_DEP_2)
	v_dual_mov_b32 v7, v6 :: v_dual_bitop2_b32 v13, v12, v6 bitop3:0x14
	v_xor_b32_e32 v12, v9, v6
	s_delay_alu instid0(VALU_DEP_1)
	v_sub_nc_u64_e32 v[6:7], v[12:13], v[6:7]
.LBB126_5477:
	s_mov_b32 s2, 0
.LBB126_5478:
	s_delay_alu instid0(SALU_CYCLE_1)
	s_and_not1_b32 vcc_lo, exec_lo, s2
	s_cbranch_vccnz .LBB126_5480
; %bb.5479:
	s_wait_loadcnt 0x0
	global_load_b32 v6, v[10:11], off
	s_wait_loadcnt 0x0
	v_cvt_f32_f16_e32 v6, v6
	s_delay_alu instid0(VALU_DEP_1) | instskip(NEXT) | instid1(VALU_DEP_1)
	v_cvt_i32_f32_e32 v6, v6
	v_ashrrev_i32_e32 v7, 31, v6
.LBB126_5480:
	s_mov_b32 s2, 0
.LBB126_5481:
	s_delay_alu instid0(SALU_CYCLE_1)
	s_and_not1_b32 vcc_lo, exec_lo, s2
	s_cbranch_vccnz .LBB126_5492
; %bb.5482:
	s_cmp_lt_i32 s0, 6
	s_cbranch_scc1 .LBB126_5485
; %bb.5483:
	s_cmp_gt_i32 s0, 6
	s_cbranch_scc0 .LBB126_5486
; %bb.5484:
	s_wait_loadcnt 0x0
	global_load_b64 v[6:7], v[10:11], off
	s_mov_b32 s2, 0
	s_wait_loadcnt 0x0
	v_trunc_f64_e32 v[6:7], v[6:7]
	s_delay_alu instid0(VALU_DEP_1) | instskip(NEXT) | instid1(VALU_DEP_1)
	v_ldexp_f64 v[12:13], v[6:7], 0xffffffe0
	v_floor_f64_e32 v[12:13], v[12:13]
	s_delay_alu instid0(VALU_DEP_1) | instskip(SKIP_1) | instid1(VALU_DEP_2)
	v_fmamk_f64 v[14:15], v[12:13], 0xc1f00000, v[6:7]
	v_cvt_i32_f64_e32 v7, v[12:13]
	v_cvt_u32_f64_e32 v6, v[14:15]
	s_branch .LBB126_5487
.LBB126_5485:
	s_mov_b32 s2, -1
                                        ; implicit-def: $vgpr6_vgpr7
	s_branch .LBB126_5490
.LBB126_5486:
	s_mov_b32 s2, -1
                                        ; implicit-def: $vgpr6_vgpr7
.LBB126_5487:
	s_delay_alu instid0(SALU_CYCLE_1)
	s_and_not1_b32 vcc_lo, exec_lo, s2
	s_cbranch_vccnz .LBB126_5489
; %bb.5488:
	s_wait_loadcnt 0x0
	global_load_b32 v6, v[10:11], off
	s_wait_loadcnt 0x0
	v_trunc_f32_e32 v6, v6
	s_delay_alu instid0(VALU_DEP_1) | instskip(NEXT) | instid1(VALU_DEP_1)
	v_mul_f32_e64 v7, 0x2f800000, |v6|
	v_floor_f32_e32 v7, v7
	s_delay_alu instid0(VALU_DEP_1) | instskip(SKIP_2) | instid1(VALU_DEP_3)
	v_fma_f32 v9, 0xcf800000, v7, |v6|
	v_ashrrev_i32_e32 v6, 31, v6
	v_cvt_u32_f32_e32 v12, v7
	v_cvt_u32_f32_e32 v9, v9
	s_delay_alu instid0(VALU_DEP_2) | instskip(NEXT) | instid1(VALU_DEP_2)
	v_dual_mov_b32 v7, v6 :: v_dual_bitop2_b32 v13, v12, v6 bitop3:0x14
	v_xor_b32_e32 v12, v9, v6
	s_delay_alu instid0(VALU_DEP_1)
	v_sub_nc_u64_e32 v[6:7], v[12:13], v[6:7]
.LBB126_5489:
	s_mov_b32 s2, 0
.LBB126_5490:
	s_delay_alu instid0(SALU_CYCLE_1)
	s_and_not1_b32 vcc_lo, exec_lo, s2
	s_cbranch_vccnz .LBB126_5492
; %bb.5491:
	s_wait_loadcnt 0x0
	global_load_u16 v6, v[10:11], off
	s_wait_loadcnt 0x0
	v_cvt_f32_f16_e32 v6, v6
	s_delay_alu instid0(VALU_DEP_1) | instskip(NEXT) | instid1(VALU_DEP_1)
	v_cvt_i32_f32_e32 v6, v6
	v_ashrrev_i32_e32 v7, 31, v6
.LBB126_5492:
	s_mov_b32 s2, 0
.LBB126_5493:
	s_delay_alu instid0(SALU_CYCLE_1)
	s_and_not1_b32 vcc_lo, exec_lo, s2
	s_cbranch_vccnz .LBB126_5513
; %bb.5494:
	s_cmp_lt_i32 s0, 2
	s_cbranch_scc1 .LBB126_5498
; %bb.5495:
	s_cmp_lt_i32 s0, 3
	s_cbranch_scc1 .LBB126_5499
; %bb.5496:
	s_cmp_gt_i32 s0, 3
	s_cbranch_scc0 .LBB126_5500
; %bb.5497:
	s_wait_loadcnt 0x0
	global_load_b64 v[6:7], v[10:11], off
	s_mov_b32 s2, 0
	s_branch .LBB126_5501
.LBB126_5498:
	s_mov_b32 s2, -1
                                        ; implicit-def: $vgpr6_vgpr7
	s_branch .LBB126_5507
.LBB126_5499:
	s_mov_b32 s2, -1
                                        ; implicit-def: $vgpr6_vgpr7
	s_branch .LBB126_5504
.LBB126_5500:
	s_mov_b32 s2, -1
                                        ; implicit-def: $vgpr6_vgpr7
.LBB126_5501:
	s_delay_alu instid0(SALU_CYCLE_1)
	s_and_not1_b32 vcc_lo, exec_lo, s2
	s_cbranch_vccnz .LBB126_5503
; %bb.5502:
	s_wait_loadcnt 0x0
	global_load_b32 v6, v[10:11], off
	s_wait_loadcnt 0x0
	v_ashrrev_i32_e32 v7, 31, v6
.LBB126_5503:
	s_mov_b32 s2, 0
.LBB126_5504:
	s_delay_alu instid0(SALU_CYCLE_1)
	s_and_not1_b32 vcc_lo, exec_lo, s2
	s_cbranch_vccnz .LBB126_5506
; %bb.5505:
	s_wait_loadcnt 0x0
	global_load_u16 v6, v[10:11], off
	s_wait_loadcnt 0x0
	v_bfe_i32 v6, v6, 0, 16
	s_delay_alu instid0(VALU_DEP_1)
	v_ashrrev_i32_e32 v7, 31, v6
.LBB126_5506:
	s_mov_b32 s2, 0
.LBB126_5507:
	s_delay_alu instid0(SALU_CYCLE_1)
	s_and_not1_b32 vcc_lo, exec_lo, s2
	s_cbranch_vccnz .LBB126_5513
; %bb.5508:
	s_cmp_gt_i32 s0, 0
	s_mov_b32 s0, 0
	s_cbranch_scc0 .LBB126_5510
; %bb.5509:
	s_wait_loadcnt 0x0
	global_load_i8 v6, v[10:11], off
	s_wait_loadcnt 0x0
	v_bfe_i32 v6, v6, 0, 16
	s_delay_alu instid0(VALU_DEP_1)
	v_ashrrev_i32_e32 v7, 31, v6
	s_branch .LBB126_5511
.LBB126_5510:
	s_mov_b32 s0, -1
                                        ; implicit-def: $vgpr6_vgpr7
.LBB126_5511:
	s_delay_alu instid0(SALU_CYCLE_1)
	s_and_not1_b32 vcc_lo, exec_lo, s0
	s_cbranch_vccnz .LBB126_5513
; %bb.5512:
	s_wait_loadcnt 0x0
	global_load_u8 v6, v[10:11], off
	s_mov_b32 s0, 0
	s_delay_alu instid0(SALU_CYCLE_1)
	v_mov_b32_e32 v7, s0
	s_wait_loadcnt 0x0
	v_and_b32_e32 v6, 0xffff, v6
.LBB126_5513:
	s_mov_b32 s6, -1
.LBB126_5514:
	s_delay_alu instid0(SALU_CYCLE_1)
	s_and_not1_b32 vcc_lo, exec_lo, s6
	s_cbranch_vccnz .LBB126_5650
; %bb.5515:
	v_add_nc_u32_e32 v8, s73, v8
	s_cmp_lt_i32 s61, 11
	s_delay_alu instid0(VALU_DEP_1) | instskip(NEXT) | instid1(VALU_DEP_1)
	v_ashrrev_i32_e32 v9, 31, v8
	v_add_nc_u64_e32 v[8:9], s[14:15], v[8:9]
	s_cbranch_scc1 .LBB126_5522
; %bb.5516:
	s_and_b32 s0, 0xffff, s61
	s_mov_b32 s3, 0
	s_cmp_gt_i32 s0, 25
	s_cbranch_scc0 .LBB126_5523
; %bb.5517:
	s_cmp_gt_i32 s0, 28
	s_cbranch_scc0 .LBB126_5524
; %bb.5518:
	;; [unrolled: 3-line block ×4, first 2 shown]
	s_cmp_eq_u32 s0, 46
	s_mov_b32 s7, 0
	s_cbranch_scc0 .LBB126_5528
; %bb.5521:
	global_load_b32 v10, v[8:9], off
	s_mov_b32 s2, 0
	s_mov_b32 s6, -1
	s_wait_loadcnt 0x0
	v_lshlrev_b32_e32 v10, 16, v10
	s_delay_alu instid0(VALU_DEP_1) | instskip(NEXT) | instid1(VALU_DEP_1)
	v_trunc_f32_e32 v10, v10
	v_mul_f32_e64 v11, 0x2f800000, |v10|
	s_delay_alu instid0(VALU_DEP_1) | instskip(NEXT) | instid1(VALU_DEP_1)
	v_floor_f32_e32 v11, v11
	v_fma_f32 v12, 0xcf800000, v11, |v10|
	v_ashrrev_i32_e32 v10, 31, v10
	v_cvt_u32_f32_e32 v13, v11
	s_delay_alu instid0(VALU_DEP_3) | instskip(NEXT) | instid1(VALU_DEP_2)
	v_cvt_u32_f32_e32 v12, v12
	v_dual_mov_b32 v11, v10 :: v_dual_bitop2_b32 v13, v13, v10 bitop3:0x14
	s_delay_alu instid0(VALU_DEP_2) | instskip(NEXT) | instid1(VALU_DEP_1)
	v_xor_b32_e32 v12, v12, v10
	v_sub_nc_u64_e32 v[12:13], v[12:13], v[10:11]
	s_branch .LBB126_5530
.LBB126_5522:
	s_mov_b32 s0, -1
	s_mov_b32 s6, 0
                                        ; implicit-def: $vgpr12_vgpr13
	s_branch .LBB126_5592
.LBB126_5523:
	s_mov_b32 s7, -1
	s_mov_b32 s6, 0
	s_mov_b32 s2, 0
                                        ; implicit-def: $vgpr12_vgpr13
	s_branch .LBB126_5557
.LBB126_5524:
	s_mov_b32 s7, -1
	s_mov_b32 s6, 0
	s_mov_b32 s2, 0
                                        ; implicit-def: $vgpr12_vgpr13
	s_branch .LBB126_5540
.LBB126_5525:
	s_mov_b32 s7, -1
	s_mov_b32 s6, 0
	s_mov_b32 s2, 0
                                        ; implicit-def: $vgpr12_vgpr13
	s_branch .LBB126_5535
.LBB126_5526:
	s_or_b32 s19, s19, exec_lo
	s_trap 2
	s_cbranch_execz .LBB126_5463
	s_branch .LBB126_5464
.LBB126_5527:
	s_mov_b32 s7, -1
	s_mov_b32 s6, 0
	s_mov_b32 s2, 0
	s_branch .LBB126_5529
.LBB126_5528:
	s_mov_b32 s2, -1
	s_mov_b32 s6, 0
.LBB126_5529:
                                        ; implicit-def: $vgpr12_vgpr13
.LBB126_5530:
	s_and_b32 vcc_lo, exec_lo, s7
	s_cbranch_vccz .LBB126_5534
; %bb.5531:
	s_cmp_eq_u32 s0, 44
	s_cbranch_scc0 .LBB126_5533
; %bb.5532:
	global_load_u8 v14, v[8:9], off
	s_mov_b32 s2, 0
	s_mov_b32 s6, -1
	s_wait_loadcnt 0x0
	v_cmp_ne_u32_e32 vcc_lo, 0, v14
	s_wait_xcnt 0x1
	v_lshlrev_b32_e32 v10, 23, v14
	s_delay_alu instid0(VALU_DEP_1) | instskip(NEXT) | instid1(VALU_DEP_1)
	v_trunc_f32_e32 v10, v10
	v_mul_f32_e64 v11, 0x2f800000, |v10|
	s_delay_alu instid0(VALU_DEP_1) | instskip(NEXT) | instid1(VALU_DEP_1)
	v_floor_f32_e32 v11, v11
	v_fma_f32 v12, 0xcf800000, v11, |v10|
	v_ashrrev_i32_e32 v10, 31, v10
	v_cvt_u32_f32_e32 v13, v11
	s_delay_alu instid0(VALU_DEP_3) | instskip(NEXT) | instid1(VALU_DEP_2)
	v_cvt_u32_f32_e32 v12, v12
	v_dual_mov_b32 v11, v10 :: v_dual_bitop2_b32 v13, v13, v10 bitop3:0x14
	s_delay_alu instid0(VALU_DEP_2) | instskip(NEXT) | instid1(VALU_DEP_1)
	v_xor_b32_e32 v12, v12, v10
	v_sub_nc_u64_e32 v[10:11], v[12:13], v[10:11]
	s_delay_alu instid0(VALU_DEP_1)
	v_dual_cndmask_b32 v13, 0, v11 :: v_dual_cndmask_b32 v12, 0, v10
	s_branch .LBB126_5534
.LBB126_5533:
	s_mov_b32 s2, -1
                                        ; implicit-def: $vgpr12_vgpr13
.LBB126_5534:
	s_mov_b32 s7, 0
.LBB126_5535:
	s_delay_alu instid0(SALU_CYCLE_1)
	s_and_b32 vcc_lo, exec_lo, s7
	s_cbranch_vccz .LBB126_5539
; %bb.5536:
	s_cmp_eq_u32 s0, 29
	s_cbranch_scc0 .LBB126_5538
; %bb.5537:
	global_load_b64 v[12:13], v[8:9], off
	s_mov_b32 s2, 0
	s_mov_b32 s6, -1
	s_branch .LBB126_5539
.LBB126_5538:
	s_mov_b32 s2, -1
                                        ; implicit-def: $vgpr12_vgpr13
.LBB126_5539:
	s_mov_b32 s7, 0
.LBB126_5540:
	s_delay_alu instid0(SALU_CYCLE_1)
	s_and_b32 vcc_lo, exec_lo, s7
	s_cbranch_vccz .LBB126_5556
; %bb.5541:
	s_cmp_lt_i32 s0, 27
	s_cbranch_scc1 .LBB126_5544
; %bb.5542:
	s_cmp_gt_i32 s0, 27
	s_cbranch_scc0 .LBB126_5545
; %bb.5543:
	s_wait_loadcnt 0x0
	global_load_b32 v12, v[8:9], off
	v_mov_b32_e32 v13, 0
	s_mov_b32 s6, 0
	s_branch .LBB126_5546
.LBB126_5544:
	s_mov_b32 s6, -1
                                        ; implicit-def: $vgpr12_vgpr13
	s_branch .LBB126_5549
.LBB126_5545:
	s_mov_b32 s6, -1
                                        ; implicit-def: $vgpr12_vgpr13
.LBB126_5546:
	s_delay_alu instid0(SALU_CYCLE_1)
	s_and_not1_b32 vcc_lo, exec_lo, s6
	s_cbranch_vccnz .LBB126_5548
; %bb.5547:
	global_load_u16 v10, v[8:9], off
	s_mov_b32 s6, 0
	s_wait_loadcnt 0x1
	v_mov_b32_e32 v13, s6
	s_wait_loadcnt 0x0
	v_and_b32_e32 v12, 0xffff, v10
.LBB126_5548:
	s_mov_b32 s6, 0
.LBB126_5549:
	s_delay_alu instid0(SALU_CYCLE_1)
	s_and_not1_b32 vcc_lo, exec_lo, s6
	s_cbranch_vccnz .LBB126_5555
; %bb.5550:
	global_load_u8 v10, v[8:9], off
	s_mov_b32 s7, 0
	s_mov_b32 s6, exec_lo
	s_wait_loadcnt 0x0
	v_cmpx_lt_i16_e32 0x7f, v10
	s_xor_b32 s6, exec_lo, s6
	s_cbranch_execz .LBB126_5567
; %bb.5551:
	v_cmp_ne_u16_e32 vcc_lo, 0x80, v10
	s_and_b32 s7, vcc_lo, exec_lo
	s_and_not1_saveexec_b32 s6, s6
	s_cbranch_execnz .LBB126_5568
.LBB126_5552:
	s_or_b32 exec_lo, exec_lo, s6
	v_mov_b64_e32 v[12:13], 0
	s_and_saveexec_b32 s6, s7
	s_cbranch_execz .LBB126_5554
.LBB126_5553:
	v_and_b32_e32 v11, 0xffff, v10
	s_delay_alu instid0(VALU_DEP_1) | instskip(SKIP_1) | instid1(VALU_DEP_2)
	v_and_b32_e32 v12, 7, v11
	v_bfe_u32 v15, v11, 3, 4
	v_clz_i32_u32_e32 v13, v12
	s_delay_alu instid0(VALU_DEP_2) | instskip(NEXT) | instid1(VALU_DEP_2)
	v_cmp_eq_u32_e32 vcc_lo, 0, v15
	v_min_u32_e32 v13, 32, v13
	s_delay_alu instid0(VALU_DEP_1) | instskip(NEXT) | instid1(VALU_DEP_1)
	v_subrev_nc_u32_e32 v14, 28, v13
	v_dual_lshlrev_b32 v11, v14, v11 :: v_dual_sub_nc_u32 v13, 29, v13
	s_delay_alu instid0(VALU_DEP_1) | instskip(NEXT) | instid1(VALU_DEP_1)
	v_dual_lshlrev_b32 v10, 24, v10 :: v_dual_bitop2_b32 v11, 7, v11 bitop3:0x40
	v_dual_cndmask_b32 v13, v15, v13, vcc_lo :: v_dual_cndmask_b32 v11, v12, v11, vcc_lo
	s_delay_alu instid0(VALU_DEP_2) | instskip(NEXT) | instid1(VALU_DEP_2)
	v_and_b32_e32 v10, 0x80000000, v10
	v_lshl_add_u32 v12, v13, 23, 0x3b800000
	s_delay_alu instid0(VALU_DEP_3) | instskip(NEXT) | instid1(VALU_DEP_1)
	v_lshlrev_b32_e32 v11, 20, v11
	v_or3_b32 v10, v10, v12, v11
	s_delay_alu instid0(VALU_DEP_1) | instskip(NEXT) | instid1(VALU_DEP_1)
	v_trunc_f32_e32 v10, v10
	v_mul_f32_e64 v11, 0x2f800000, |v10|
	s_delay_alu instid0(VALU_DEP_1) | instskip(NEXT) | instid1(VALU_DEP_1)
	v_floor_f32_e32 v11, v11
	v_fma_f32 v12, 0xcf800000, v11, |v10|
	v_ashrrev_i32_e32 v10, 31, v10
	v_cvt_u32_f32_e32 v13, v11
	s_delay_alu instid0(VALU_DEP_3) | instskip(NEXT) | instid1(VALU_DEP_2)
	v_cvt_u32_f32_e32 v12, v12
	v_dual_mov_b32 v11, v10 :: v_dual_bitop2_b32 v13, v13, v10 bitop3:0x14
	s_delay_alu instid0(VALU_DEP_2) | instskip(NEXT) | instid1(VALU_DEP_1)
	v_xor_b32_e32 v12, v12, v10
	v_sub_nc_u64_e32 v[12:13], v[12:13], v[10:11]
.LBB126_5554:
	s_or_b32 exec_lo, exec_lo, s6
.LBB126_5555:
	s_mov_b32 s6, -1
.LBB126_5556:
	s_mov_b32 s7, 0
.LBB126_5557:
	s_delay_alu instid0(SALU_CYCLE_1)
	s_and_b32 vcc_lo, exec_lo, s7
	s_cbranch_vccz .LBB126_5588
; %bb.5558:
	s_cmp_gt_i32 s0, 22
	s_cbranch_scc0 .LBB126_5566
; %bb.5559:
	s_cmp_lt_i32 s0, 24
	s_cbranch_scc1 .LBB126_5569
; %bb.5560:
	s_cmp_gt_i32 s0, 24
	s_cbranch_scc0 .LBB126_5570
; %bb.5561:
	global_load_u8 v10, v[8:9], off
	s_mov_b32 s6, 0
	s_mov_b32 s3, exec_lo
	s_wait_loadcnt 0x0
	v_cmpx_lt_i16_e32 0x7f, v10
	s_xor_b32 s3, exec_lo, s3
	s_cbranch_execz .LBB126_5582
; %bb.5562:
	v_cmp_ne_u16_e32 vcc_lo, 0x80, v10
	s_and_b32 s6, vcc_lo, exec_lo
	s_and_not1_saveexec_b32 s3, s3
	s_cbranch_execnz .LBB126_5583
.LBB126_5563:
	s_or_b32 exec_lo, exec_lo, s3
	v_mov_b64_e32 v[12:13], 0
	s_and_saveexec_b32 s3, s6
	s_cbranch_execz .LBB126_5565
.LBB126_5564:
	v_and_b32_e32 v11, 0xffff, v10
	s_delay_alu instid0(VALU_DEP_1) | instskip(SKIP_1) | instid1(VALU_DEP_2)
	v_and_b32_e32 v12, 3, v11
	v_bfe_u32 v15, v11, 2, 5
	v_clz_i32_u32_e32 v13, v12
	s_delay_alu instid0(VALU_DEP_2) | instskip(NEXT) | instid1(VALU_DEP_2)
	v_cmp_eq_u32_e32 vcc_lo, 0, v15
	v_min_u32_e32 v13, 32, v13
	s_delay_alu instid0(VALU_DEP_1) | instskip(NEXT) | instid1(VALU_DEP_1)
	v_subrev_nc_u32_e32 v14, 29, v13
	v_dual_lshlrev_b32 v11, v14, v11 :: v_dual_sub_nc_u32 v13, 30, v13
	s_delay_alu instid0(VALU_DEP_1) | instskip(NEXT) | instid1(VALU_DEP_1)
	v_dual_lshlrev_b32 v10, 24, v10 :: v_dual_bitop2_b32 v11, 3, v11 bitop3:0x40
	v_dual_cndmask_b32 v13, v15, v13, vcc_lo :: v_dual_cndmask_b32 v11, v12, v11, vcc_lo
	s_delay_alu instid0(VALU_DEP_2) | instskip(NEXT) | instid1(VALU_DEP_2)
	v_and_b32_e32 v10, 0x80000000, v10
	v_lshl_add_u32 v12, v13, 23, 0x37800000
	s_delay_alu instid0(VALU_DEP_3) | instskip(NEXT) | instid1(VALU_DEP_1)
	v_lshlrev_b32_e32 v11, 21, v11
	v_or3_b32 v10, v10, v12, v11
	s_delay_alu instid0(VALU_DEP_1) | instskip(NEXT) | instid1(VALU_DEP_1)
	v_trunc_f32_e32 v10, v10
	v_mul_f32_e64 v11, 0x2f800000, |v10|
	s_delay_alu instid0(VALU_DEP_1) | instskip(NEXT) | instid1(VALU_DEP_1)
	v_floor_f32_e32 v11, v11
	v_fma_f32 v12, 0xcf800000, v11, |v10|
	v_ashrrev_i32_e32 v10, 31, v10
	v_cvt_u32_f32_e32 v13, v11
	s_delay_alu instid0(VALU_DEP_3) | instskip(NEXT) | instid1(VALU_DEP_2)
	v_cvt_u32_f32_e32 v12, v12
	v_dual_mov_b32 v11, v10 :: v_dual_bitop2_b32 v13, v13, v10 bitop3:0x14
	s_delay_alu instid0(VALU_DEP_2) | instskip(NEXT) | instid1(VALU_DEP_1)
	v_xor_b32_e32 v12, v12, v10
	v_sub_nc_u64_e32 v[12:13], v[12:13], v[10:11]
.LBB126_5565:
	s_or_b32 exec_lo, exec_lo, s3
	s_mov_b32 s3, 0
	s_branch .LBB126_5571
.LBB126_5566:
	s_mov_b32 s3, -1
                                        ; implicit-def: $vgpr12_vgpr13
	s_branch .LBB126_5577
.LBB126_5567:
	s_and_not1_saveexec_b32 s6, s6
	s_cbranch_execz .LBB126_5552
.LBB126_5568:
	v_cmp_ne_u16_e32 vcc_lo, 0, v10
	s_and_not1_b32 s7, s7, exec_lo
	s_and_b32 s8, vcc_lo, exec_lo
	s_delay_alu instid0(SALU_CYCLE_1)
	s_or_b32 s7, s7, s8
	s_or_b32 exec_lo, exec_lo, s6
	v_mov_b64_e32 v[12:13], 0
	s_and_saveexec_b32 s6, s7
	s_cbranch_execnz .LBB126_5553
	s_branch .LBB126_5554
.LBB126_5569:
	s_mov_b32 s3, -1
                                        ; implicit-def: $vgpr12_vgpr13
	s_branch .LBB126_5574
.LBB126_5570:
	s_mov_b32 s3, -1
                                        ; implicit-def: $vgpr12_vgpr13
.LBB126_5571:
	s_delay_alu instid0(SALU_CYCLE_1)
	s_and_b32 vcc_lo, exec_lo, s3
	s_cbranch_vccz .LBB126_5573
; %bb.5572:
	global_load_u8 v10, v[8:9], off
	s_wait_loadcnt 0x0
	v_lshlrev_b32_e32 v10, 24, v10
	s_delay_alu instid0(VALU_DEP_1) | instskip(NEXT) | instid1(VALU_DEP_1)
	v_and_b32_e32 v11, 0x7f000000, v10
	v_clz_i32_u32_e32 v12, v11
	v_cmp_ne_u32_e32 vcc_lo, 0, v11
	v_add_nc_u32_e32 v14, 0x1000000, v11
	s_delay_alu instid0(VALU_DEP_3) | instskip(NEXT) | instid1(VALU_DEP_1)
	v_min_u32_e32 v12, 32, v12
	v_sub_nc_u32_e64 v12, v12, 4 clamp
	s_delay_alu instid0(VALU_DEP_1) | instskip(NEXT) | instid1(VALU_DEP_1)
	v_dual_lshlrev_b32 v13, v12, v11 :: v_dual_lshlrev_b32 v12, 23, v12
	v_lshrrev_b32_e32 v13, 4, v13
	s_delay_alu instid0(VALU_DEP_1) | instskip(NEXT) | instid1(VALU_DEP_1)
	v_dual_sub_nc_u32 v12, v13, v12 :: v_dual_ashrrev_i32 v13, 8, v14
	v_add_nc_u32_e32 v12, 0x3c000000, v12
	s_delay_alu instid0(VALU_DEP_1) | instskip(NEXT) | instid1(VALU_DEP_1)
	v_and_or_b32 v12, 0x7f800000, v13, v12
	v_cndmask_b32_e32 v11, 0, v12, vcc_lo
	s_delay_alu instid0(VALU_DEP_1) | instskip(NEXT) | instid1(VALU_DEP_1)
	v_and_or_b32 v10, 0x80000000, v10, v11
	v_trunc_f32_e32 v10, v10
	s_delay_alu instid0(VALU_DEP_1) | instskip(NEXT) | instid1(VALU_DEP_1)
	v_mul_f32_e64 v11, 0x2f800000, |v10|
	v_floor_f32_e32 v11, v11
	s_delay_alu instid0(VALU_DEP_1) | instskip(SKIP_2) | instid1(VALU_DEP_3)
	v_fma_f32 v12, 0xcf800000, v11, |v10|
	v_ashrrev_i32_e32 v10, 31, v10
	v_cvt_u32_f32_e32 v13, v11
	v_cvt_u32_f32_e32 v12, v12
	s_delay_alu instid0(VALU_DEP_2) | instskip(NEXT) | instid1(VALU_DEP_2)
	v_dual_mov_b32 v11, v10 :: v_dual_bitop2_b32 v13, v13, v10 bitop3:0x14
	v_xor_b32_e32 v12, v12, v10
	s_delay_alu instid0(VALU_DEP_1)
	v_sub_nc_u64_e32 v[12:13], v[12:13], v[10:11]
.LBB126_5573:
	s_mov_b32 s3, 0
.LBB126_5574:
	s_delay_alu instid0(SALU_CYCLE_1)
	s_and_not1_b32 vcc_lo, exec_lo, s3
	s_cbranch_vccnz .LBB126_5576
; %bb.5575:
	global_load_u8 v10, v[8:9], off
	s_wait_loadcnt 0x0
	v_lshlrev_b32_e32 v11, 25, v10
	v_lshlrev_b16 v10, 8, v10
	s_delay_alu instid0(VALU_DEP_1) | instskip(SKIP_1) | instid1(VALU_DEP_2)
	v_and_or_b32 v13, 0x7f00, v10, 0.5
	v_bfe_i32 v10, v10, 0, 16
	v_dual_add_f32 v13, -0.5, v13 :: v_dual_lshrrev_b32 v12, 4, v11
	v_cmp_gt_u32_e32 vcc_lo, 0x8000000, v11
	s_delay_alu instid0(VALU_DEP_2) | instskip(NEXT) | instid1(VALU_DEP_1)
	v_or_b32_e32 v12, 0x70000000, v12
	v_mul_f32_e32 v12, 0x7800000, v12
	s_delay_alu instid0(VALU_DEP_1) | instskip(NEXT) | instid1(VALU_DEP_1)
	v_cndmask_b32_e32 v11, v12, v13, vcc_lo
	v_and_or_b32 v10, 0x80000000, v10, v11
	s_delay_alu instid0(VALU_DEP_1) | instskip(NEXT) | instid1(VALU_DEP_1)
	v_trunc_f32_e32 v10, v10
	v_mul_f32_e64 v11, 0x2f800000, |v10|
	s_delay_alu instid0(VALU_DEP_1) | instskip(NEXT) | instid1(VALU_DEP_1)
	v_floor_f32_e32 v11, v11
	v_fma_f32 v12, 0xcf800000, v11, |v10|
	v_ashrrev_i32_e32 v10, 31, v10
	v_cvt_u32_f32_e32 v13, v11
	s_delay_alu instid0(VALU_DEP_3) | instskip(NEXT) | instid1(VALU_DEP_2)
	v_cvt_u32_f32_e32 v12, v12
	v_dual_mov_b32 v11, v10 :: v_dual_bitop2_b32 v13, v13, v10 bitop3:0x14
	s_delay_alu instid0(VALU_DEP_2) | instskip(NEXT) | instid1(VALU_DEP_1)
	v_xor_b32_e32 v12, v12, v10
	v_sub_nc_u64_e32 v[12:13], v[12:13], v[10:11]
.LBB126_5576:
	s_mov_b32 s3, 0
	s_mov_b32 s6, -1
.LBB126_5577:
	s_and_not1_b32 vcc_lo, exec_lo, s3
	s_mov_b32 s3, 0
	s_cbranch_vccnz .LBB126_5588
; %bb.5578:
	s_cmp_gt_i32 s0, 14
	s_cbranch_scc0 .LBB126_5581
; %bb.5579:
	s_cmp_eq_u32 s0, 15
	s_cbranch_scc0 .LBB126_5584
; %bb.5580:
	global_load_u16 v10, v[8:9], off
	s_mov_b32 s2, 0
	s_mov_b32 s6, -1
	s_wait_loadcnt 0x0
	v_lshlrev_b32_e32 v10, 16, v10
	s_delay_alu instid0(VALU_DEP_1) | instskip(NEXT) | instid1(VALU_DEP_1)
	v_trunc_f32_e32 v10, v10
	v_mul_f32_e64 v11, 0x2f800000, |v10|
	s_delay_alu instid0(VALU_DEP_1) | instskip(NEXT) | instid1(VALU_DEP_1)
	v_floor_f32_e32 v11, v11
	v_fma_f32 v12, 0xcf800000, v11, |v10|
	v_ashrrev_i32_e32 v10, 31, v10
	v_cvt_u32_f32_e32 v13, v11
	s_delay_alu instid0(VALU_DEP_3) | instskip(NEXT) | instid1(VALU_DEP_2)
	v_cvt_u32_f32_e32 v12, v12
	v_dual_mov_b32 v11, v10 :: v_dual_bitop2_b32 v13, v13, v10 bitop3:0x14
	s_delay_alu instid0(VALU_DEP_2) | instskip(NEXT) | instid1(VALU_DEP_1)
	v_xor_b32_e32 v12, v12, v10
	v_sub_nc_u64_e32 v[12:13], v[12:13], v[10:11]
	s_branch .LBB126_5586
.LBB126_5581:
	s_mov_b32 s3, -1
	s_branch .LBB126_5585
.LBB126_5582:
	s_and_not1_saveexec_b32 s3, s3
	s_cbranch_execz .LBB126_5563
.LBB126_5583:
	v_cmp_ne_u16_e32 vcc_lo, 0, v10
	s_and_not1_b32 s6, s6, exec_lo
	s_and_b32 s7, vcc_lo, exec_lo
	s_delay_alu instid0(SALU_CYCLE_1)
	s_or_b32 s6, s6, s7
	s_or_b32 exec_lo, exec_lo, s3
	v_mov_b64_e32 v[12:13], 0
	s_and_saveexec_b32 s3, s6
	s_cbranch_execnz .LBB126_5564
	s_branch .LBB126_5565
.LBB126_5584:
	s_mov_b32 s2, -1
.LBB126_5585:
                                        ; implicit-def: $vgpr12_vgpr13
.LBB126_5586:
	s_and_b32 vcc_lo, exec_lo, s3
	s_mov_b32 s3, 0
	s_cbranch_vccz .LBB126_5588
; %bb.5587:
	s_cmp_lg_u32 s0, 11
	s_mov_b32 s3, -1
	s_cselect_b32 s2, -1, 0
.LBB126_5588:
	s_delay_alu instid0(SALU_CYCLE_1)
	s_and_b32 vcc_lo, exec_lo, s2
	s_cbranch_vccnz .LBB126_5717
; %bb.5589:
	s_and_not1_b32 vcc_lo, exec_lo, s3
	s_cbranch_vccnz .LBB126_5591
.LBB126_5590:
	global_load_u8 v10, v[8:9], off
	s_mov_b32 s0, 0
	s_mov_b32 s6, -1
	s_wait_loadcnt 0x1
	v_mov_b32_e32 v13, s0
	s_wait_loadcnt 0x0
	v_cmp_ne_u16_e32 vcc_lo, 0, v10
	v_cndmask_b32_e64 v12, 0, 1, vcc_lo
.LBB126_5591:
	s_mov_b32 s0, 0
.LBB126_5592:
	s_delay_alu instid0(SALU_CYCLE_1)
	s_and_b32 vcc_lo, exec_lo, s0
	s_cbranch_vccz .LBB126_5641
; %bb.5593:
	s_and_b32 s0, 0xffff, s61
	s_delay_alu instid0(SALU_CYCLE_1)
	s_cmp_lt_i32 s0, 5
	s_cbranch_scc1 .LBB126_5598
; %bb.5594:
	s_cmp_lt_i32 s0, 8
	s_cbranch_scc1 .LBB126_5599
; %bb.5595:
	;; [unrolled: 3-line block ×3, first 2 shown]
	s_cmp_gt_i32 s0, 9
	s_cbranch_scc0 .LBB126_5601
; %bb.5597:
	global_load_b64 v[10:11], v[8:9], off
	s_mov_b32 s2, 0
	s_wait_loadcnt 0x0
	v_trunc_f64_e32 v[10:11], v[10:11]
	s_delay_alu instid0(VALU_DEP_1) | instskip(NEXT) | instid1(VALU_DEP_1)
	v_ldexp_f64 v[12:13], v[10:11], 0xffffffe0
	v_floor_f64_e32 v[12:13], v[12:13]
	s_delay_alu instid0(VALU_DEP_1) | instskip(SKIP_1) | instid1(VALU_DEP_2)
	v_fmamk_f64 v[10:11], v[12:13], 0xc1f00000, v[10:11]
	v_cvt_i32_f64_e32 v13, v[12:13]
	v_cvt_u32_f64_e32 v12, v[10:11]
	s_branch .LBB126_5602
.LBB126_5598:
	s_mov_b32 s2, -1
                                        ; implicit-def: $vgpr12_vgpr13
	s_branch .LBB126_5620
.LBB126_5599:
	s_mov_b32 s2, -1
                                        ; implicit-def: $vgpr12_vgpr13
	s_branch .LBB126_5608
.LBB126_5600:
	s_mov_b32 s2, -1
                                        ; implicit-def: $vgpr12_vgpr13
	s_branch .LBB126_5605
.LBB126_5601:
	s_mov_b32 s2, -1
                                        ; implicit-def: $vgpr12_vgpr13
.LBB126_5602:
	s_delay_alu instid0(SALU_CYCLE_1)
	s_and_not1_b32 vcc_lo, exec_lo, s2
	s_cbranch_vccnz .LBB126_5604
; %bb.5603:
	global_load_b32 v10, v[8:9], off
	s_wait_loadcnt 0x0
	v_trunc_f32_e32 v10, v10
	s_delay_alu instid0(VALU_DEP_1) | instskip(NEXT) | instid1(VALU_DEP_1)
	v_mul_f32_e64 v11, 0x2f800000, |v10|
	v_floor_f32_e32 v11, v11
	s_delay_alu instid0(VALU_DEP_1) | instskip(SKIP_2) | instid1(VALU_DEP_3)
	v_fma_f32 v12, 0xcf800000, v11, |v10|
	v_ashrrev_i32_e32 v10, 31, v10
	v_cvt_u32_f32_e32 v13, v11
	v_cvt_u32_f32_e32 v12, v12
	s_delay_alu instid0(VALU_DEP_2) | instskip(NEXT) | instid1(VALU_DEP_2)
	v_dual_mov_b32 v11, v10 :: v_dual_bitop2_b32 v13, v13, v10 bitop3:0x14
	v_xor_b32_e32 v12, v12, v10
	s_delay_alu instid0(VALU_DEP_1)
	v_sub_nc_u64_e32 v[12:13], v[12:13], v[10:11]
.LBB126_5604:
	s_mov_b32 s2, 0
.LBB126_5605:
	s_delay_alu instid0(SALU_CYCLE_1)
	s_and_not1_b32 vcc_lo, exec_lo, s2
	s_cbranch_vccnz .LBB126_5607
; %bb.5606:
	global_load_b32 v10, v[8:9], off
	s_wait_loadcnt 0x0
	v_cvt_f32_f16_e32 v10, v10
	s_delay_alu instid0(VALU_DEP_1) | instskip(NEXT) | instid1(VALU_DEP_1)
	v_cvt_i32_f32_e32 v12, v10
	v_ashrrev_i32_e32 v13, 31, v12
.LBB126_5607:
	s_mov_b32 s2, 0
.LBB126_5608:
	s_delay_alu instid0(SALU_CYCLE_1)
	s_and_not1_b32 vcc_lo, exec_lo, s2
	s_cbranch_vccnz .LBB126_5619
; %bb.5609:
	s_cmp_lt_i32 s0, 6
	s_cbranch_scc1 .LBB126_5612
; %bb.5610:
	s_cmp_gt_i32 s0, 6
	s_cbranch_scc0 .LBB126_5613
; %bb.5611:
	global_load_b64 v[10:11], v[8:9], off
	s_mov_b32 s2, 0
	s_wait_loadcnt 0x0
	v_trunc_f64_e32 v[10:11], v[10:11]
	s_delay_alu instid0(VALU_DEP_1) | instskip(NEXT) | instid1(VALU_DEP_1)
	v_ldexp_f64 v[12:13], v[10:11], 0xffffffe0
	v_floor_f64_e32 v[12:13], v[12:13]
	s_delay_alu instid0(VALU_DEP_1) | instskip(SKIP_1) | instid1(VALU_DEP_2)
	v_fmamk_f64 v[10:11], v[12:13], 0xc1f00000, v[10:11]
	v_cvt_i32_f64_e32 v13, v[12:13]
	v_cvt_u32_f64_e32 v12, v[10:11]
	s_branch .LBB126_5614
.LBB126_5612:
	s_mov_b32 s2, -1
                                        ; implicit-def: $vgpr12_vgpr13
	s_branch .LBB126_5617
.LBB126_5613:
	s_mov_b32 s2, -1
                                        ; implicit-def: $vgpr12_vgpr13
.LBB126_5614:
	s_delay_alu instid0(SALU_CYCLE_1)
	s_and_not1_b32 vcc_lo, exec_lo, s2
	s_cbranch_vccnz .LBB126_5616
; %bb.5615:
	global_load_b32 v10, v[8:9], off
	s_wait_loadcnt 0x0
	v_trunc_f32_e32 v10, v10
	s_delay_alu instid0(VALU_DEP_1) | instskip(NEXT) | instid1(VALU_DEP_1)
	v_mul_f32_e64 v11, 0x2f800000, |v10|
	v_floor_f32_e32 v11, v11
	s_delay_alu instid0(VALU_DEP_1) | instskip(SKIP_2) | instid1(VALU_DEP_3)
	v_fma_f32 v12, 0xcf800000, v11, |v10|
	v_ashrrev_i32_e32 v10, 31, v10
	v_cvt_u32_f32_e32 v13, v11
	v_cvt_u32_f32_e32 v12, v12
	s_delay_alu instid0(VALU_DEP_2) | instskip(NEXT) | instid1(VALU_DEP_2)
	v_dual_mov_b32 v11, v10 :: v_dual_bitop2_b32 v13, v13, v10 bitop3:0x14
	v_xor_b32_e32 v12, v12, v10
	s_delay_alu instid0(VALU_DEP_1)
	v_sub_nc_u64_e32 v[12:13], v[12:13], v[10:11]
.LBB126_5616:
	s_mov_b32 s2, 0
.LBB126_5617:
	s_delay_alu instid0(SALU_CYCLE_1)
	s_and_not1_b32 vcc_lo, exec_lo, s2
	s_cbranch_vccnz .LBB126_5619
; %bb.5618:
	global_load_u16 v10, v[8:9], off
	s_wait_loadcnt 0x0
	v_cvt_f32_f16_e32 v10, v10
	s_delay_alu instid0(VALU_DEP_1) | instskip(NEXT) | instid1(VALU_DEP_1)
	v_cvt_i32_f32_e32 v12, v10
	v_ashrrev_i32_e32 v13, 31, v12
.LBB126_5619:
	s_mov_b32 s2, 0
.LBB126_5620:
	s_delay_alu instid0(SALU_CYCLE_1)
	s_and_not1_b32 vcc_lo, exec_lo, s2
	s_cbranch_vccnz .LBB126_5640
; %bb.5621:
	s_cmp_lt_i32 s0, 2
	s_cbranch_scc1 .LBB126_5625
; %bb.5622:
	s_cmp_lt_i32 s0, 3
	s_cbranch_scc1 .LBB126_5626
; %bb.5623:
	s_cmp_gt_i32 s0, 3
	s_cbranch_scc0 .LBB126_5627
; %bb.5624:
	s_wait_loadcnt 0x0
	global_load_b64 v[12:13], v[8:9], off
	s_mov_b32 s2, 0
	s_branch .LBB126_5628
.LBB126_5625:
	s_mov_b32 s2, -1
                                        ; implicit-def: $vgpr12_vgpr13
	s_branch .LBB126_5634
.LBB126_5626:
	s_mov_b32 s2, -1
                                        ; implicit-def: $vgpr12_vgpr13
	s_branch .LBB126_5631
.LBB126_5627:
	s_mov_b32 s2, -1
                                        ; implicit-def: $vgpr12_vgpr13
.LBB126_5628:
	s_delay_alu instid0(SALU_CYCLE_1)
	s_and_not1_b32 vcc_lo, exec_lo, s2
	s_cbranch_vccnz .LBB126_5630
; %bb.5629:
	s_wait_loadcnt 0x0
	global_load_b32 v12, v[8:9], off
	s_wait_loadcnt 0x0
	v_ashrrev_i32_e32 v13, 31, v12
.LBB126_5630:
	s_mov_b32 s2, 0
.LBB126_5631:
	s_delay_alu instid0(SALU_CYCLE_1)
	s_and_not1_b32 vcc_lo, exec_lo, s2
	s_cbranch_vccnz .LBB126_5633
; %bb.5632:
	global_load_u16 v10, v[8:9], off
	s_wait_loadcnt 0x0
	v_bfe_i32 v12, v10, 0, 16
	s_delay_alu instid0(VALU_DEP_1)
	v_ashrrev_i32_e32 v13, 31, v12
.LBB126_5633:
	s_mov_b32 s2, 0
.LBB126_5634:
	s_delay_alu instid0(SALU_CYCLE_1)
	s_and_not1_b32 vcc_lo, exec_lo, s2
	s_cbranch_vccnz .LBB126_5640
; %bb.5635:
	s_cmp_gt_i32 s0, 0
	s_mov_b32 s0, 0
	s_cbranch_scc0 .LBB126_5637
; %bb.5636:
	global_load_i8 v10, v[8:9], off
	s_wait_loadcnt 0x0
	v_bfe_i32 v12, v10, 0, 16
	s_delay_alu instid0(VALU_DEP_1)
	v_ashrrev_i32_e32 v13, 31, v12
	s_branch .LBB126_5638
.LBB126_5637:
	s_mov_b32 s0, -1
                                        ; implicit-def: $vgpr12_vgpr13
.LBB126_5638:
	s_delay_alu instid0(SALU_CYCLE_1)
	s_and_not1_b32 vcc_lo, exec_lo, s0
	s_cbranch_vccnz .LBB126_5640
; %bb.5639:
	global_load_u8 v8, v[8:9], off
	s_mov_b32 s0, 0
	s_wait_loadcnt 0x1
	v_mov_b32_e32 v13, s0
	s_wait_loadcnt 0x0
	v_and_b32_e32 v12, 0xffff, v8
.LBB126_5640:
	s_mov_b32 s6, -1
.LBB126_5641:
	s_delay_alu instid0(SALU_CYCLE_1)
	s_and_not1_b32 vcc_lo, exec_lo, s6
	s_cbranch_vccnz .LBB126_5650
; %bb.5642:
	s_mov_b32 s0, exec_lo
	s_wait_loadcnt 0x0
	v_cmpx_ne_u64_e64 s[36:37], v[0:1]
	s_xor_b32 s0, exec_lo, s0
	s_cbranch_execnz .LBB126_5993
.LBB126_5643:
	s_or_saveexec_b32 s30, s0
	s_mov_b32 s2, 0
	s_mov_b32 s3, 0
                                        ; implicit-def: $sgpr0
                                        ; implicit-def: $vgpr10_vgpr11
	s_xor_b32 exec_lo, exec_lo, s30
	s_cbranch_execz .LBB126_5988
; %bb.5644:
	s_mov_b32 s31, s19
	s_mov_b32 s0, exec_lo
	v_cmpx_ne_u64_e64 s[40:41], v[2:3]
	s_xor_b32 s0, exec_lo, s0
	s_cbranch_execnz .LBB126_5995
; %bb.5645:
	s_or_saveexec_b32 s34, s0
                                        ; implicit-def: $sgpr0
                                        ; implicit-def: $vgpr10_vgpr11
	s_delay_alu instid0(SALU_CYCLE_1)
	s_xor_b32 exec_lo, exec_lo, s34
	s_cbranch_execz .LBB126_5987
.LBB126_5646:
	v_sub_nc_u64_e32 v[0:1], v[6:7], v[4:5]
	s_mov_b32 s35, s31
	s_delay_alu instid0(VALU_DEP_1) | instskip(SKIP_2) | instid1(SALU_CYCLE_1)
	v_cmp_gt_i64_e32 vcc_lo, s[36:37], v[0:1]
	v_cmp_lt_i64_e64 s0, s[38:39], v[0:1]
	s_or_b32 s0, vcc_lo, s0
	s_and_saveexec_b32 s2, s0
	s_delay_alu instid0(SALU_CYCLE_1)
	s_xor_b32 s0, exec_lo, s2
	s_cbranch_execnz .LBB126_5997
; %bb.5647:
	s_or_saveexec_b32 s36, s0
	s_mov_b32 s2, 0
                                        ; implicit-def: $sgpr0
                                        ; implicit-def: $vgpr10_vgpr11
	s_xor_b32 exec_lo, exec_lo, s36
	s_cbranch_execz .LBB126_5986
.LBB126_5648:
	v_cmp_ne_u32_e32 vcc_lo, 1, v23
	v_mov_b64_e32 v[0:1], 0
	s_cbranch_vccnz .LBB126_5661
; %bb.5649:
	v_mul_u64_e32 v[8:9], s[40:41], v[12:13]
	v_mov_b64_e32 v[0:1], 0
	s_mov_b32 s29, 0
	v_mov_b32_e32 v2, 0
	s_lshl_b64 s[8:9], s[28:29], 3
	s_mov_b64 s[2:3], 0xffffffff
	s_add_nc_u64 s[6:7], s[20:21], s[8:9]
	s_add_nc_u64 s[8:9], s[22:23], s[8:9]
	s_branch .LBB126_5657
.LBB126_5650:
	s_mov_b32 s2, 0
	s_mov_b32 s3, 0
                                        ; implicit-def: $sgpr0
                                        ; implicit-def: $vgpr10_vgpr11
.LBB126_5651:
	s_and_not1_b32 s1, s1, exec_lo
	s_and_b32 s4, s19, exec_lo
	s_and_b32 s3, s3, exec_lo
	;; [unrolled: 1-line block ×3, first 2 shown]
	s_or_b32 s1, s1, s4
.LBB126_5652:
	s_wait_xcnt 0x0
	s_or_b32 exec_lo, exec_lo, s18
	s_delay_alu instid0(SALU_CYCLE_1)
	s_and_not1_b32 s4, s77, exec_lo
	s_and_b32 s5, s1, exec_lo
	s_and_b32 s3, s3, exec_lo
	;; [unrolled: 1-line block ×3, first 2 shown]
	s_or_b32 s77, s4, s5
.LBB126_5653:
	s_or_b32 exec_lo, exec_lo, s78
	s_delay_alu instid0(SALU_CYCLE_1)
	s_and_b32 s2, s3, exec_lo
	s_and_not1_b32 s3, s75, exec_lo
	s_and_b32 s4, s77, exec_lo
	s_and_b32 s1, s1, exec_lo
	s_or_b32 s75, s3, s4
.LBB126_5654:
	s_or_b32 exec_lo, exec_lo, s76
	s_delay_alu instid0(SALU_CYCLE_1)
	s_and_not1_b32 s3, s68, exec_lo
	s_and_b32 s4, s75, exec_lo
	s_and_b32 s2, s2, exec_lo
	;; [unrolled: 1-line block ×3, first 2 shown]
	s_or_b32 s68, s3, s4
.LBB126_5655:
	s_or_b32 exec_lo, exec_lo, s74
	s_branch .LBB126_4985
.LBB126_5656:                           ;   in Loop: Header=BB126_5657 Depth=1
	s_or_b32 exec_lo, exec_lo, s0
	global_load_b64 v[12:13], v2, s[8:9]
	v_mul_u64_e32 v[14:15], s[10:11], v[10:11]
	s_add_co_i32 s42, s42, -1
	s_add_nc_u64 s[6:7], s[6:7], -8
	s_cmp_eq_u32 s42, 0
	s_wait_xcnt 0x0
	s_add_nc_u64 s[8:9], s[8:9], -8
	s_delay_alu instid0(VALU_DEP_1) | instskip(SKIP_1) | instid1(VALU_DEP_1)
	v_sub_nc_u64_e32 v[8:9], v[8:9], v[14:15]
	s_wait_loadcnt 0x0
	v_mad_nc_u64_u32 v[0:1], v8, v12, v[0:1]
	s_delay_alu instid0(VALU_DEP_1) | instskip(NEXT) | instid1(VALU_DEP_1)
	v_mad_u32 v1, v9, v12, v1
	v_mad_u32 v1, v8, v13, v1
	v_mov_b64_e32 v[8:9], v[10:11]
	s_cbranch_scc1 .LBB126_5661
.LBB126_5657:                           ; =>This Inner Loop Header: Depth=1
	global_load_b64 v[10:11], v2, s[6:7]
	s_mov_b32 s0, exec_lo
	s_wait_loadcnt 0x0
	v_or_b32_e32 v3, v9, v11
	v_readfirstlane_b32 s10, v10
	v_readfirstlane_b32 s11, v11
                                        ; implicit-def: $vgpr10_vgpr11
	s_wait_xcnt 0x0
	s_delay_alu instid0(VALU_DEP_3)
	v_cmpx_ne_u64_e32 0, v[2:3]
	s_xor_b32 s20, exec_lo, s0
	s_cbranch_execz .LBB126_5659
; %bb.5658:                             ;   in Loop: Header=BB126_5657 Depth=1
	s_ashr_i32 s12, s11, 31
	v_dual_mov_b32 v15, v2 :: v_dual_ashrrev_i32 v10, 31, v9
	s_mov_b32 s13, s12
	v_mov_b32_e32 v25, v2
	s_add_nc_u64 s[14:15], s[10:11], s[12:13]
	s_delay_alu instid0(VALU_DEP_2) | instskip(SKIP_1) | instid1(SALU_CYCLE_1)
	v_mov_b32_e32 v11, v10
	s_xor_b64 s[14:15], s[14:15], s[12:13]
	s_cvt_f32_u32 s0, s14
	s_cvt_f32_u32 s13, s15
	s_sub_nc_u64 s[38:39], 0, s[14:15]
	v_add_nc_u64_e32 v[12:13], v[8:9], v[10:11]
	v_mov_b32_e32 v19, v2
	s_fmamk_f32 s0, s13, 0x4f800000, s0
	s_delay_alu instid0(SALU_CYCLE_3) | instskip(NEXT) | instid1(VALU_DEP_2)
	v_s_rcp_f32 s0, s0
	v_xor_b32_e32 v14, v12, v10
	s_delay_alu instid0(VALU_DEP_3) | instskip(NEXT) | instid1(TRANS32_DEP_1)
	v_xor_b32_e32 v18, v13, v10
	s_mul_f32 s0, s0, 0x5f7ffffc
	s_delay_alu instid0(SALU_CYCLE_3) | instskip(NEXT) | instid1(SALU_CYCLE_3)
	s_mul_f32 s13, s0, 0x2f800000
	s_trunc_f32 s13, s13
	s_delay_alu instid0(SALU_CYCLE_3) | instskip(SKIP_1) | instid1(SALU_CYCLE_2)
	s_fmamk_f32 s0, s13, 0xcf800000, s0
	s_cvt_u32_f32 s23, s13
	s_cvt_u32_f32 s22, s0
	s_delay_alu instid0(SALU_CYCLE_3) | instskip(NEXT) | instid1(SALU_CYCLE_1)
	s_mul_u64 s[40:41], s[38:39], s[22:23]
	s_mul_hi_u32 s45, s22, s41
	s_mul_i32 s44, s22, s41
	s_mul_hi_u32 s28, s22, s40
	s_mul_i32 s13, s23, s40
	s_add_nc_u64 s[44:45], s[28:29], s[44:45]
	s_mul_hi_u32 s0, s23, s40
	s_mul_hi_u32 s21, s23, s41
	s_add_co_u32 s13, s44, s13
	s_add_co_ci_u32 s28, s45, s0
	s_mul_i32 s40, s23, s41
	s_add_co_ci_u32 s41, s21, 0
	s_delay_alu instid0(SALU_CYCLE_1) | instskip(NEXT) | instid1(SALU_CYCLE_1)
	s_add_nc_u64 s[40:41], s[28:29], s[40:41]
	s_add_co_u32 s22, s22, s40
	s_cselect_b32 s0, -1, 0
	s_delay_alu instid0(SALU_CYCLE_1) | instskip(SKIP_1) | instid1(SALU_CYCLE_1)
	s_cmp_lg_u32 s0, 0
	s_add_co_ci_u32 s23, s23, s41
	s_mul_u64 s[38:39], s[38:39], s[22:23]
	s_delay_alu instid0(SALU_CYCLE_1)
	s_mul_hi_u32 s41, s22, s39
	s_mul_i32 s40, s22, s39
	s_mul_hi_u32 s28, s22, s38
	s_mul_i32 s13, s23, s38
	s_add_nc_u64 s[40:41], s[28:29], s[40:41]
	s_mul_hi_u32 s0, s23, s38
	s_mul_hi_u32 s21, s23, s39
	s_add_co_u32 s13, s40, s13
	s_add_co_ci_u32 s28, s41, s0
	s_mul_i32 s38, s23, s39
	s_add_co_ci_u32 s39, s21, 0
	s_delay_alu instid0(SALU_CYCLE_1) | instskip(NEXT) | instid1(SALU_CYCLE_1)
	s_add_nc_u64 s[38:39], s[28:29], s[38:39]
	s_add_co_u32 s0, s22, s38
	s_cselect_b32 s13, -1, 0
	v_mul_hi_u32 v24, v14, s0
	s_cmp_lg_u32 s13, 0
	s_add_co_ci_u32 s28, s23, s39
	s_and_b64 s[22:23], s[0:1], s[2:3]
	v_mul_u64_e32 v[16:17], s[28:29], v[14:15]
	v_mul_u64_e32 v[12:13], s[22:23], v[18:19]
	;; [unrolled: 1-line block ×3, first 2 shown]
	s_delay_alu instid0(VALU_DEP_3) | instskip(NEXT) | instid1(VALU_DEP_1)
	v_add_nc_u64_e32 v[16:17], v[24:25], v[16:17]
	v_add_co_u32 v3, vcc_lo, v16, v12
	s_delay_alu instid0(VALU_DEP_2) | instskip(NEXT) | instid1(VALU_DEP_4)
	v_add_co_ci_u32_e32 v24, vcc_lo, v17, v13, vcc_lo
	v_add_co_ci_u32_e32 v21, vcc_lo, 0, v21, vcc_lo
	s_delay_alu instid0(VALU_DEP_1) | instskip(NEXT) | instid1(VALU_DEP_1)
	v_add_nc_u64_e32 v[12:13], v[24:25], v[20:21]
	v_mul_u64_e32 v[16:17], s[14:15], v[12:13]
	s_delay_alu instid0(VALU_DEP_1) | instskip(NEXT) | instid1(VALU_DEP_2)
	v_sub_nc_u32_e32 v3, v18, v17
	v_sub_co_u32 v11, vcc_lo, v14, v16
	s_delay_alu instid0(VALU_DEP_1) | instskip(NEXT) | instid1(VALU_DEP_3)
	v_sub_co_ci_u32_e64 v18, null, v18, v17, vcc_lo
	v_subrev_co_ci_u32_e64 v3, null, s15, v3, vcc_lo
	s_delay_alu instid0(VALU_DEP_3) | instskip(SKIP_1) | instid1(VALU_DEP_3)
	v_sub_co_u32 v14, s0, v11, s14
	v_add_nc_u64_e32 v[16:17], 1, v[12:13]
	v_subrev_co_ci_u32_e64 v3, null, 0, v3, s0
	s_delay_alu instid0(VALU_DEP_3) | instskip(SKIP_1) | instid1(VALU_DEP_3)
	v_cmp_le_u32_e32 vcc_lo, s14, v14
	v_cndmask_b32_e64 v14, 0, -1, vcc_lo
	v_cmp_le_u32_e32 vcc_lo, s15, v3
	v_cndmask_b32_e64 v15, 0, -1, vcc_lo
	;; [unrolled: 2-line block ×4, first 2 shown]
	v_cmp_eq_u32_e32 vcc_lo, s15, v3
	v_cndmask_b32_e32 v3, v15, v14, vcc_lo
	v_cmp_eq_u32_e32 vcc_lo, s15, v18
	v_add_nc_u64_e32 v[14:15], 2, v[12:13]
	v_cndmask_b32_e32 v11, v19, v11, vcc_lo
	s_delay_alu instid0(VALU_DEP_4) | instskip(NEXT) | instid1(VALU_DEP_2)
	v_cmp_ne_u32_e32 vcc_lo, 0, v3
	v_cmp_ne_u32_e64 s0, 0, v11
	s_delay_alu instid0(VALU_DEP_4) | instskip(NEXT) | instid1(VALU_DEP_1)
	v_dual_cndmask_b32 v3, v17, v15, vcc_lo :: v_dual_cndmask_b32 v11, v16, v14, vcc_lo
	v_dual_cndmask_b32 v3, v13, v3, s0 :: v_dual_bitop2_b32 v10, s12, v10 bitop3:0x14
	s_delay_alu instid0(VALU_DEP_1) | instskip(NEXT) | instid1(VALU_DEP_2)
	v_dual_cndmask_b32 v12, v12, v11, s0 :: v_dual_mov_b32 v11, v10
	v_xor_b32_e32 v13, v3, v10
	s_delay_alu instid0(VALU_DEP_2) | instskip(NEXT) | instid1(VALU_DEP_1)
	v_xor_b32_e32 v12, v12, v10
	v_sub_nc_u64_e32 v[10:11], v[12:13], v[10:11]
.LBB126_5659:                           ;   in Loop: Header=BB126_5657 Depth=1
	s_and_not1_saveexec_b32 s0, s20
	s_cbranch_execz .LBB126_5656
; %bb.5660:                             ;   in Loop: Header=BB126_5657 Depth=1
	v_cvt_f32_u32_e32 v3, s10
	s_sub_co_i32 s12, 0, s10
	s_delay_alu instid0(VALU_DEP_1) | instskip(SKIP_1) | instid1(TRANS32_DEP_1)
	v_rcp_iflag_f32_e32 v3, v3
	v_nop
	v_mul_f32_e32 v3, 0x4f7ffffe, v3
	s_delay_alu instid0(VALU_DEP_1) | instskip(NEXT) | instid1(VALU_DEP_1)
	v_cvt_u32_f32_e32 v3, v3
	v_mul_lo_u32 v10, s12, v3
	s_delay_alu instid0(VALU_DEP_1) | instskip(NEXT) | instid1(VALU_DEP_1)
	v_mul_hi_u32 v10, v3, v10
	v_add_nc_u32_e32 v3, v3, v10
	s_delay_alu instid0(VALU_DEP_1) | instskip(NEXT) | instid1(VALU_DEP_1)
	v_mul_hi_u32 v3, v8, v3
	v_mul_lo_u32 v10, v3, s10
	s_delay_alu instid0(VALU_DEP_1) | instskip(NEXT) | instid1(VALU_DEP_1)
	v_dual_add_nc_u32 v11, 1, v3 :: v_dual_sub_nc_u32 v10, v8, v10
	v_subrev_nc_u32_e32 v12, s10, v10
	v_cmp_le_u32_e32 vcc_lo, s10, v10
	s_delay_alu instid0(VALU_DEP_2) | instskip(NEXT) | instid1(VALU_DEP_1)
	v_dual_cndmask_b32 v10, v10, v12 :: v_dual_cndmask_b32 v3, v3, v11
	v_cmp_le_u32_e32 vcc_lo, s10, v10
	s_delay_alu instid0(VALU_DEP_2) | instskip(NEXT) | instid1(VALU_DEP_1)
	v_add_nc_u32_e32 v11, 1, v3
	v_dual_cndmask_b32 v10, v3, v11 :: v_dual_mov_b32 v11, v2
	s_branch .LBB126_5656
.LBB126_5661:
	s_mov_b32 s8, -1
	s_mov_b32 s2, s35
	s_mov_b32 s0, exec_lo
	v_cmpx_gt_i64_e64 v[6:7], v[4:5]
	s_cbranch_execz .LBB126_5668
; %bb.5662:
	s_delay_alu instid0(VALU_DEP_2) | instskip(SKIP_2) | instid1(VALU_DEP_1)
	v_lshlrev_b64_e32 v[0:1], 3, v[0:1]
	s_mov_b32 s3, 0
	s_xor_b32 s6, s50, -1
                                        ; implicit-def: $sgpr2
                                        ; implicit-def: $sgpr8
                                        ; implicit-def: $sgpr7
	v_lshl_add_u64 v[2:3], v[4:5], 3, v[0:1]
	v_add_nc_u64_e32 v[4:5], s[24:25], v[0:1]
	s_delay_alu instid0(VALU_DEP_2) | instskip(NEXT) | instid1(VALU_DEP_1)
	v_add_nc_u64_e32 v[2:3], s[24:25], v[2:3]
	v_add_nc_u64_e32 v[0:1], 8, v[2:3]
	s_delay_alu instid0(VALU_DEP_3)
	v_lshl_add_u64 v[2:3], v[6:7], 3, v[4:5]
	s_branch .LBB126_5664
.LBB126_5663:                           ;   in Loop: Header=BB126_5664 Depth=1
	s_or_b32 exec_lo, exec_lo, s9
	s_xor_b32 s9, s7, -1
	s_and_b32 s10, exec_lo, s8
	s_delay_alu instid0(SALU_CYCLE_1) | instskip(SKIP_2) | instid1(SALU_CYCLE_1)
	s_or_b32 s3, s10, s3
	s_and_not1_b32 s2, s2, exec_lo
	s_and_b32 s9, s9, exec_lo
	s_or_b32 s2, s2, s9
	s_and_not1_b32 exec_lo, exec_lo, s3
	s_cbranch_execz .LBB126_5666
.LBB126_5664:                           ; =>This Inner Loop Header: Depth=1
	s_or_b32 s7, s7, exec_lo
	s_or_b32 s8, s8, exec_lo
	s_mov_b32 s9, exec_lo
	s_delay_alu instid0(VALU_DEP_2)
	v_cmpx_lt_u64_e64 v[0:1], v[2:3]
	s_cbranch_execz .LBB126_5663
; %bb.5665:                             ;   in Loop: Header=BB126_5664 Depth=1
	global_load_b128 v[4:7], v[0:1], off offset:-8
	s_wait_xcnt 0x0
	v_add_nc_u64_e32 v[0:1], 8, v[0:1]
	s_and_not1_b32 s8, s8, exec_lo
	s_and_not1_b32 s7, s7, exec_lo
	s_wait_loadcnt 0x0
	v_cmp_ge_i64_e32 vcc_lo, v[4:5], v[6:7]
	s_or_b32 s10, s6, vcc_lo
	s_delay_alu instid0(SALU_CYCLE_1) | instskip(NEXT) | instid1(SALU_CYCLE_1)
	s_and_b32 s10, s10, exec_lo
	s_or_b32 s8, s8, s10
	s_branch .LBB126_5663
.LBB126_5666:
	s_or_b32 exec_lo, exec_lo, s3
	s_mov_b32 s3, -1
	s_mov_b32 s6, s35
	s_and_saveexec_b32 s7, s2
	s_delay_alu instid0(SALU_CYCLE_1)
	s_xor_b32 s2, exec_lo, s7
	s_cbranch_execnz .LBB126_5990
.LBB126_5667:
	s_or_b32 exec_lo, exec_lo, s2
	s_delay_alu instid0(SALU_CYCLE_1)
	s_and_not1_b32 s2, s35, exec_lo
	s_and_b32 s6, s6, exec_lo
	s_or_not1_b32 s8, s3, exec_lo
	s_or_b32 s2, s2, s6
.LBB126_5668:
	s_or_b32 exec_lo, exec_lo, s0
	s_mov_b32 s6, 0
	s_mov_b32 s7, 0
                                        ; implicit-def: $sgpr0
                                        ; implicit-def: $vgpr10_vgpr11
	s_and_saveexec_b32 s3, s8
	s_cbranch_execz .LBB126_5985
; %bb.5669:
	v_mul_lo_u32 v0, s16, v22
	s_and_b32 s0, s26, 0xff
	s_delay_alu instid0(SALU_CYCLE_1) | instskip(NEXT) | instid1(VALU_DEP_1)
	s_cmp_lt_i32 s0, 11
	v_ashrrev_i32_e32 v1, 31, v0
	s_delay_alu instid0(VALU_DEP_1)
	v_add_nc_u64_e32 v[2:3], s[4:5], v[0:1]
	s_cbranch_scc1 .LBB126_5718
; %bb.5670:
	s_and_b32 s6, 0xffff, s0
	s_mov_b32 s10, -1
	s_mov_b32 s9, 0
	s_cmp_gt_i32 s6, 25
	s_mov_b32 s8, 0
	s_cbranch_scc0 .LBB126_5695
; %bb.5671:
	s_cmp_gt_i32 s6, 28
	s_cbranch_scc0 .LBB126_5684
; %bb.5672:
	s_cmp_gt_i32 s6, 43
	s_cbranch_scc0 .LBB126_5680
; %bb.5673:
	s_cmp_gt_i32 s6, 45
	s_cbranch_scc0 .LBB126_5676
; %bb.5674:
	s_mov_b32 s7, -1
	s_mov_b32 s10, 0
	s_cmp_eq_u32 s6, 46
	s_cbranch_scc0 .LBB126_5676
; %bb.5675:
	v_mov_b32_e32 v1, 0
	s_mov_b32 s7, 0
	s_mov_b32 s8, -1
	global_store_b32 v[2:3], v1, off
.LBB126_5676:
	s_and_b32 vcc_lo, exec_lo, s10
	s_cbranch_vccz .LBB126_5679
; %bb.5677:
	s_cmp_eq_u32 s6, 44
	s_mov_b32 s7, -1
	s_cbranch_scc0 .LBB126_5679
; %bb.5678:
	s_wait_xcnt 0x0
	v_mov_b32_e32 v1, 0
	s_mov_b32 s7, 0
	s_mov_b32 s8, -1
	global_store_b8 v[2:3], v1, off
.LBB126_5679:
	s_mov_b32 s10, 0
.LBB126_5680:
	s_delay_alu instid0(SALU_CYCLE_1)
	s_and_b32 vcc_lo, exec_lo, s10
	s_cbranch_vccz .LBB126_5683
; %bb.5681:
	s_cmp_eq_u32 s6, 29
	s_mov_b32 s7, -1
	s_cbranch_scc0 .LBB126_5683
; %bb.5682:
	v_mov_b64_e32 v[4:5], 0
	s_mov_b32 s7, 0
	s_mov_b32 s8, -1
	global_store_b64 v[2:3], v[4:5], off
.LBB126_5683:
	s_mov_b32 s10, 0
.LBB126_5684:
	s_delay_alu instid0(SALU_CYCLE_1)
	s_and_b32 vcc_lo, exec_lo, s10
	s_cbranch_vccz .LBB126_5694
; %bb.5685:
	s_cmp_lt_i32 s6, 27
	s_mov_b32 s8, -1
	s_cbranch_scc1 .LBB126_5691
; %bb.5686:
	s_cmp_gt_i32 s6, 27
	s_cbranch_scc0 .LBB126_5688
; %bb.5687:
	s_wait_xcnt 0x0
	v_mov_b32_e32 v1, 0
	s_mov_b32 s8, 0
	global_store_b32 v[2:3], v1, off
.LBB126_5688:
	s_and_not1_b32 vcc_lo, exec_lo, s8
	s_cbranch_vccnz .LBB126_5690
; %bb.5689:
	s_wait_xcnt 0x0
	v_mov_b32_e32 v1, 0
	global_store_b16 v[2:3], v1, off
.LBB126_5690:
	s_mov_b32 s8, 0
.LBB126_5691:
	s_delay_alu instid0(SALU_CYCLE_1)
	s_and_not1_b32 vcc_lo, exec_lo, s8
	s_cbranch_vccnz .LBB126_5693
; %bb.5692:
	s_wait_xcnt 0x0
	v_mov_b32_e32 v1, 0
	global_store_b8 v[2:3], v1, off
.LBB126_5693:
	s_mov_b32 s8, -1
.LBB126_5694:
	s_mov_b32 s10, 0
.LBB126_5695:
	s_delay_alu instid0(SALU_CYCLE_1)
	s_and_b32 vcc_lo, exec_lo, s10
	s_cbranch_vccz .LBB126_5713
; %bb.5696:
	s_cmp_gt_i32 s6, 22
	s_mov_b32 s9, -1
	s_cbranch_scc0 .LBB126_5706
; %bb.5697:
	s_cmp_lt_i32 s6, 24
	s_mov_b32 s8, -1
	s_cbranch_scc1 .LBB126_5703
; %bb.5698:
	s_cmp_gt_i32 s6, 24
	s_cbranch_scc0 .LBB126_5700
; %bb.5699:
	s_wait_xcnt 0x0
	v_mov_b32_e32 v1, 0
	s_mov_b32 s8, 0
	global_store_b8 v[2:3], v1, off
.LBB126_5700:
	s_and_not1_b32 vcc_lo, exec_lo, s8
	s_cbranch_vccnz .LBB126_5702
; %bb.5701:
	s_wait_xcnt 0x0
	v_mov_b32_e32 v1, 0
	global_store_b8 v[2:3], v1, off
.LBB126_5702:
	s_mov_b32 s8, 0
.LBB126_5703:
	s_delay_alu instid0(SALU_CYCLE_1)
	s_and_not1_b32 vcc_lo, exec_lo, s8
	s_cbranch_vccnz .LBB126_5705
; %bb.5704:
	s_wait_xcnt 0x0
	v_mov_b32_e32 v1, 0
	global_store_b8 v[2:3], v1, off
.LBB126_5705:
	s_mov_b32 s9, 0
	s_mov_b32 s8, -1
.LBB126_5706:
	s_and_not1_b32 vcc_lo, exec_lo, s9
	s_mov_b32 s9, 0
	s_cbranch_vccnz .LBB126_5713
; %bb.5707:
	s_cmp_gt_i32 s6, 14
	s_mov_b32 s9, -1
	s_cbranch_scc0 .LBB126_5711
; %bb.5708:
	s_cmp_eq_u32 s6, 15
	s_mov_b32 s7, -1
	s_cbranch_scc0 .LBB126_5710
; %bb.5709:
	s_wait_xcnt 0x0
	v_mov_b32_e32 v1, 0
	s_mov_b32 s7, 0
	s_mov_b32 s8, -1
	global_store_b16 v[2:3], v1, off
.LBB126_5710:
	s_mov_b32 s9, 0
.LBB126_5711:
	s_delay_alu instid0(SALU_CYCLE_1)
	s_and_b32 vcc_lo, exec_lo, s9
	s_mov_b32 s9, 0
	s_cbranch_vccz .LBB126_5713
; %bb.5712:
	s_cmp_lg_u32 s6, 11
	s_mov_b32 s9, -1
	s_cselect_b32 s7, -1, 0
.LBB126_5713:
	s_delay_alu instid0(SALU_CYCLE_1)
	s_and_b32 vcc_lo, exec_lo, s7
	s_mov_b32 s6, s2
	s_cbranch_vccnz .LBB126_5991
; %bb.5714:
	s_and_not1_b32 vcc_lo, exec_lo, s9
	s_cbranch_vccnz .LBB126_5716
.LBB126_5715:
	s_wait_xcnt 0x0
	v_mov_b32_e32 v1, 0
	s_mov_b32 s8, -1
	global_store_b8 v[2:3], v1, off
.LBB126_5716:
	s_mov_b32 s7, 0
	s_branch .LBB126_5719
.LBB126_5717:
	s_or_b32 s19, s19, exec_lo
	s_trap 2
	s_cbranch_execz .LBB126_5590
	s_branch .LBB126_5591
.LBB126_5718:
	s_mov_b32 s7, -1
	s_mov_b32 s8, 0
	s_mov_b32 s6, s2
.LBB126_5719:
	s_and_b32 vcc_lo, exec_lo, s7
	s_cbranch_vccz .LBB126_5758
; %bb.5720:
	s_and_b32 s7, 0xffff, s0
	s_mov_b32 s8, -1
	s_cmp_lt_i32 s7, 5
	s_cbranch_scc1 .LBB126_5741
; %bb.5721:
	s_cmp_lt_i32 s7, 8
	s_cbranch_scc1 .LBB126_5731
; %bb.5722:
	s_cmp_lt_i32 s7, 9
	s_cbranch_scc1 .LBB126_5728
; %bb.5723:
	s_cmp_gt_i32 s7, 9
	s_cbranch_scc0 .LBB126_5725
; %bb.5724:
	s_wait_xcnt 0x0
	v_mov_b32_e32 v4, 0
	s_mov_b32 s8, 0
	s_delay_alu instid0(VALU_DEP_1)
	v_dual_mov_b32 v5, v4 :: v_dual_mov_b32 v6, v4
	v_mov_b32_e32 v7, v4
	global_store_b128 v[2:3], v[4:7], off
.LBB126_5725:
	s_and_not1_b32 vcc_lo, exec_lo, s8
	s_cbranch_vccnz .LBB126_5727
; %bb.5726:
	s_wait_xcnt 0x0
	v_mov_b64_e32 v[4:5], 0
	global_store_b64 v[2:3], v[4:5], off
.LBB126_5727:
	s_mov_b32 s8, 0
.LBB126_5728:
	s_delay_alu instid0(SALU_CYCLE_1)
	s_and_not1_b32 vcc_lo, exec_lo, s8
	s_cbranch_vccnz .LBB126_5730
; %bb.5729:
	s_wait_xcnt 0x0
	v_mov_b32_e32 v1, 0
	global_store_b32 v[2:3], v1, off
.LBB126_5730:
	s_mov_b32 s8, 0
.LBB126_5731:
	s_delay_alu instid0(SALU_CYCLE_1)
	s_and_not1_b32 vcc_lo, exec_lo, s8
	s_cbranch_vccnz .LBB126_5740
; %bb.5732:
	s_cmp_lt_i32 s7, 6
	s_mov_b32 s8, -1
	s_cbranch_scc1 .LBB126_5738
; %bb.5733:
	s_cmp_gt_i32 s7, 6
	s_cbranch_scc0 .LBB126_5735
; %bb.5734:
	s_wait_xcnt 0x0
	v_mov_b64_e32 v[4:5], 0
	s_mov_b32 s8, 0
	global_store_b64 v[2:3], v[4:5], off
.LBB126_5735:
	s_and_not1_b32 vcc_lo, exec_lo, s8
	s_cbranch_vccnz .LBB126_5737
; %bb.5736:
	s_wait_xcnt 0x0
	v_mov_b32_e32 v1, 0
	global_store_b32 v[2:3], v1, off
.LBB126_5737:
	s_mov_b32 s8, 0
.LBB126_5738:
	s_delay_alu instid0(SALU_CYCLE_1)
	s_and_not1_b32 vcc_lo, exec_lo, s8
	s_cbranch_vccnz .LBB126_5740
; %bb.5739:
	s_wait_xcnt 0x0
	v_mov_b32_e32 v1, 0
	global_store_b16 v[2:3], v1, off
.LBB126_5740:
	s_mov_b32 s8, 0
.LBB126_5741:
	s_delay_alu instid0(SALU_CYCLE_1)
	s_and_not1_b32 vcc_lo, exec_lo, s8
	s_cbranch_vccnz .LBB126_5757
; %bb.5742:
	s_cmp_lt_i32 s7, 2
	s_mov_b32 s8, -1
	s_cbranch_scc1 .LBB126_5752
; %bb.5743:
	s_cmp_lt_i32 s7, 3
	s_cbranch_scc1 .LBB126_5749
; %bb.5744:
	s_cmp_gt_i32 s7, 3
	s_cbranch_scc0 .LBB126_5746
; %bb.5745:
	s_wait_xcnt 0x0
	v_mov_b64_e32 v[4:5], 0
	s_mov_b32 s8, 0
	global_store_b64 v[2:3], v[4:5], off
.LBB126_5746:
	s_and_not1_b32 vcc_lo, exec_lo, s8
	s_cbranch_vccnz .LBB126_5748
; %bb.5747:
	s_wait_xcnt 0x0
	v_mov_b32_e32 v1, 0
	global_store_b32 v[2:3], v1, off
.LBB126_5748:
	s_mov_b32 s8, 0
.LBB126_5749:
	s_delay_alu instid0(SALU_CYCLE_1)
	s_and_not1_b32 vcc_lo, exec_lo, s8
	s_cbranch_vccnz .LBB126_5751
; %bb.5750:
	s_wait_xcnt 0x0
	v_mov_b32_e32 v1, 0
	global_store_b16 v[2:3], v1, off
.LBB126_5751:
	s_mov_b32 s8, 0
.LBB126_5752:
	s_delay_alu instid0(SALU_CYCLE_1)
	s_and_not1_b32 vcc_lo, exec_lo, s8
	s_cbranch_vccnz .LBB126_5757
; %bb.5753:
	s_cmp_gt_i32 s7, 0
	s_mov_b32 s7, -1
	s_cbranch_scc0 .LBB126_5755
; %bb.5754:
	s_wait_xcnt 0x0
	v_mov_b32_e32 v1, 0
	s_mov_b32 s7, 0
	global_store_b8 v[2:3], v1, off
.LBB126_5755:
	s_and_not1_b32 vcc_lo, exec_lo, s7
	s_cbranch_vccnz .LBB126_5757
; %bb.5756:
	s_wait_xcnt 0x0
	v_mov_b32_e32 v1, 0
	global_store_b8 v[2:3], v1, off
.LBB126_5757:
	s_mov_b32 s8, -1
.LBB126_5758:
	s_delay_alu instid0(SALU_CYCLE_1)
	s_and_not1_b32 vcc_lo, exec_lo, s8
	s_cbranch_vccnz .LBB126_5983
; %bb.5759:
	s_lshl_b32 s7, s16, 7
	s_cmp_lt_i32 s0, 11
	v_add_nc_u32_e32 v0, s7, v0
	s_wait_xcnt 0x0
	s_delay_alu instid0(VALU_DEP_1) | instskip(NEXT) | instid1(VALU_DEP_1)
	v_ashrrev_i32_e32 v1, 31, v0
	v_add_nc_u64_e32 v[2:3], s[4:5], v[0:1]
	s_cbranch_scc1 .LBB126_5807
; %bb.5760:
	s_and_b32 s8, 0xffff, s0
	s_mov_b32 s12, -1
	s_mov_b32 s11, 0
	s_cmp_gt_i32 s8, 25
	s_mov_b32 s10, 0
	s_mov_b32 s9, 0
	s_cbranch_scc0 .LBB126_5785
; %bb.5761:
	s_cmp_gt_i32 s8, 28
	s_cbranch_scc0 .LBB126_5774
; %bb.5762:
	s_cmp_gt_i32 s8, 43
	;; [unrolled: 3-line block ×3, first 2 shown]
	s_cbranch_scc0 .LBB126_5766
; %bb.5764:
	s_mov_b32 s9, -1
	s_mov_b32 s12, 0
	s_cmp_eq_u32 s8, 46
	s_cbranch_scc0 .LBB126_5766
; %bb.5765:
	v_mov_b32_e32 v1, 0
	s_mov_b32 s9, 0
	s_mov_b32 s10, -1
	global_store_b32 v[2:3], v1, off
.LBB126_5766:
	s_and_b32 vcc_lo, exec_lo, s12
	s_cbranch_vccz .LBB126_5769
; %bb.5767:
	s_cmp_eq_u32 s8, 44
	s_mov_b32 s9, -1
	s_cbranch_scc0 .LBB126_5769
; %bb.5768:
	s_wait_xcnt 0x0
	v_mov_b32_e32 v1, 0
	s_mov_b32 s9, 0
	s_mov_b32 s10, -1
	global_store_b8 v[2:3], v1, off
.LBB126_5769:
	s_mov_b32 s12, 0
.LBB126_5770:
	s_delay_alu instid0(SALU_CYCLE_1)
	s_and_b32 vcc_lo, exec_lo, s12
	s_cbranch_vccz .LBB126_5773
; %bb.5771:
	s_cmp_eq_u32 s8, 29
	s_mov_b32 s9, -1
	s_cbranch_scc0 .LBB126_5773
; %bb.5772:
	v_mov_b64_e32 v[4:5], 0
	s_mov_b32 s9, 0
	s_mov_b32 s10, -1
	global_store_b64 v[2:3], v[4:5], off
.LBB126_5773:
	s_mov_b32 s12, 0
.LBB126_5774:
	s_delay_alu instid0(SALU_CYCLE_1)
	s_and_b32 vcc_lo, exec_lo, s12
	s_cbranch_vccz .LBB126_5784
; %bb.5775:
	s_cmp_lt_i32 s8, 27
	s_mov_b32 s10, -1
	s_cbranch_scc1 .LBB126_5781
; %bb.5776:
	s_cmp_gt_i32 s8, 27
	s_cbranch_scc0 .LBB126_5778
; %bb.5777:
	s_wait_xcnt 0x0
	v_mov_b32_e32 v1, 0
	s_mov_b32 s10, 0
	global_store_b32 v[2:3], v1, off
.LBB126_5778:
	s_and_not1_b32 vcc_lo, exec_lo, s10
	s_cbranch_vccnz .LBB126_5780
; %bb.5779:
	s_wait_xcnt 0x0
	v_mov_b32_e32 v1, 0
	global_store_b16 v[2:3], v1, off
.LBB126_5780:
	s_mov_b32 s10, 0
.LBB126_5781:
	s_delay_alu instid0(SALU_CYCLE_1)
	s_and_not1_b32 vcc_lo, exec_lo, s10
	s_cbranch_vccnz .LBB126_5783
; %bb.5782:
	s_wait_xcnt 0x0
	v_mov_b32_e32 v1, 0
	global_store_b8 v[2:3], v1, off
.LBB126_5783:
	s_mov_b32 s10, -1
.LBB126_5784:
	s_mov_b32 s12, 0
.LBB126_5785:
	s_delay_alu instid0(SALU_CYCLE_1)
	s_and_b32 vcc_lo, exec_lo, s12
	s_cbranch_vccz .LBB126_5803
; %bb.5786:
	s_cmp_gt_i32 s8, 22
	s_mov_b32 s11, -1
	s_cbranch_scc0 .LBB126_5796
; %bb.5787:
	s_cmp_lt_i32 s8, 24
	s_mov_b32 s10, -1
	s_cbranch_scc1 .LBB126_5793
; %bb.5788:
	s_cmp_gt_i32 s8, 24
	s_cbranch_scc0 .LBB126_5790
; %bb.5789:
	s_wait_xcnt 0x0
	v_mov_b32_e32 v1, 0
	s_mov_b32 s10, 0
	global_store_b8 v[2:3], v1, off
.LBB126_5790:
	s_and_not1_b32 vcc_lo, exec_lo, s10
	s_cbranch_vccnz .LBB126_5792
; %bb.5791:
	s_wait_xcnt 0x0
	v_mov_b32_e32 v1, 0
	global_store_b8 v[2:3], v1, off
.LBB126_5792:
	s_mov_b32 s10, 0
.LBB126_5793:
	s_delay_alu instid0(SALU_CYCLE_1)
	s_and_not1_b32 vcc_lo, exec_lo, s10
	s_cbranch_vccnz .LBB126_5795
; %bb.5794:
	s_wait_xcnt 0x0
	v_mov_b32_e32 v1, 0
	global_store_b8 v[2:3], v1, off
.LBB126_5795:
	s_mov_b32 s11, 0
	s_mov_b32 s10, -1
.LBB126_5796:
	s_and_not1_b32 vcc_lo, exec_lo, s11
	s_mov_b32 s11, 0
	s_cbranch_vccnz .LBB126_5803
; %bb.5797:
	s_cmp_gt_i32 s8, 14
	s_mov_b32 s11, -1
	s_cbranch_scc0 .LBB126_5801
; %bb.5798:
	s_cmp_eq_u32 s8, 15
	s_mov_b32 s9, -1
	s_cbranch_scc0 .LBB126_5800
; %bb.5799:
	s_wait_xcnt 0x0
	v_mov_b32_e32 v1, 0
	s_mov_b32 s9, 0
	s_mov_b32 s10, -1
	global_store_b16 v[2:3], v1, off
.LBB126_5800:
	s_mov_b32 s11, 0
.LBB126_5801:
	s_delay_alu instid0(SALU_CYCLE_1)
	s_and_b32 vcc_lo, exec_lo, s11
	s_mov_b32 s11, 0
	s_cbranch_vccz .LBB126_5803
; %bb.5802:
	s_cmp_lg_u32 s8, 11
	s_mov_b32 s11, -1
	s_cselect_b32 s9, -1, 0
.LBB126_5803:
	s_delay_alu instid0(SALU_CYCLE_1)
	s_and_b32 vcc_lo, exec_lo, s9
	s_cbranch_vccnz .LBB126_5992
; %bb.5804:
	s_and_not1_b32 vcc_lo, exec_lo, s11
	s_cbranch_vccnz .LBB126_5806
.LBB126_5805:
	s_wait_xcnt 0x0
	v_mov_b32_e32 v1, 0
	s_mov_b32 s10, -1
	global_store_b8 v[2:3], v1, off
.LBB126_5806:
	s_mov_b32 s8, 0
	s_branch .LBB126_5808
.LBB126_5807:
	s_mov_b32 s8, -1
	s_mov_b32 s10, 0
.LBB126_5808:
	s_and_b32 vcc_lo, exec_lo, s8
	s_cbranch_vccz .LBB126_5847
; %bb.5809:
	s_and_b32 s8, 0xffff, s0
	s_mov_b32 s9, -1
	s_cmp_lt_i32 s8, 5
	s_cbranch_scc1 .LBB126_5830
; %bb.5810:
	s_cmp_lt_i32 s8, 8
	s_cbranch_scc1 .LBB126_5820
; %bb.5811:
	;; [unrolled: 3-line block ×3, first 2 shown]
	s_cmp_gt_i32 s8, 9
	s_cbranch_scc0 .LBB126_5814
; %bb.5813:
	s_wait_xcnt 0x0
	v_mov_b32_e32 v4, 0
	s_mov_b32 s9, 0
	s_delay_alu instid0(VALU_DEP_1)
	v_dual_mov_b32 v5, v4 :: v_dual_mov_b32 v6, v4
	v_mov_b32_e32 v7, v4
	global_store_b128 v[2:3], v[4:7], off
.LBB126_5814:
	s_and_not1_b32 vcc_lo, exec_lo, s9
	s_cbranch_vccnz .LBB126_5816
; %bb.5815:
	s_wait_xcnt 0x0
	v_mov_b64_e32 v[4:5], 0
	global_store_b64 v[2:3], v[4:5], off
.LBB126_5816:
	s_mov_b32 s9, 0
.LBB126_5817:
	s_delay_alu instid0(SALU_CYCLE_1)
	s_and_not1_b32 vcc_lo, exec_lo, s9
	s_cbranch_vccnz .LBB126_5819
; %bb.5818:
	s_wait_xcnt 0x0
	v_mov_b32_e32 v1, 0
	global_store_b32 v[2:3], v1, off
.LBB126_5819:
	s_mov_b32 s9, 0
.LBB126_5820:
	s_delay_alu instid0(SALU_CYCLE_1)
	s_and_not1_b32 vcc_lo, exec_lo, s9
	s_cbranch_vccnz .LBB126_5829
; %bb.5821:
	s_cmp_lt_i32 s8, 6
	s_mov_b32 s9, -1
	s_cbranch_scc1 .LBB126_5827
; %bb.5822:
	s_cmp_gt_i32 s8, 6
	s_cbranch_scc0 .LBB126_5824
; %bb.5823:
	s_wait_xcnt 0x0
	v_mov_b64_e32 v[4:5], 0
	s_mov_b32 s9, 0
	global_store_b64 v[2:3], v[4:5], off
.LBB126_5824:
	s_and_not1_b32 vcc_lo, exec_lo, s9
	s_cbranch_vccnz .LBB126_5826
; %bb.5825:
	s_wait_xcnt 0x0
	v_mov_b32_e32 v1, 0
	global_store_b32 v[2:3], v1, off
.LBB126_5826:
	s_mov_b32 s9, 0
.LBB126_5827:
	s_delay_alu instid0(SALU_CYCLE_1)
	s_and_not1_b32 vcc_lo, exec_lo, s9
	s_cbranch_vccnz .LBB126_5829
; %bb.5828:
	s_wait_xcnt 0x0
	v_mov_b32_e32 v1, 0
	global_store_b16 v[2:3], v1, off
.LBB126_5829:
	s_mov_b32 s9, 0
.LBB126_5830:
	s_delay_alu instid0(SALU_CYCLE_1)
	s_and_not1_b32 vcc_lo, exec_lo, s9
	s_cbranch_vccnz .LBB126_5846
; %bb.5831:
	s_cmp_lt_i32 s8, 2
	s_mov_b32 s9, -1
	s_cbranch_scc1 .LBB126_5841
; %bb.5832:
	s_cmp_lt_i32 s8, 3
	s_cbranch_scc1 .LBB126_5838
; %bb.5833:
	s_cmp_gt_i32 s8, 3
	s_cbranch_scc0 .LBB126_5835
; %bb.5834:
	s_wait_xcnt 0x0
	v_mov_b64_e32 v[4:5], 0
	s_mov_b32 s9, 0
	global_store_b64 v[2:3], v[4:5], off
.LBB126_5835:
	s_and_not1_b32 vcc_lo, exec_lo, s9
	s_cbranch_vccnz .LBB126_5837
; %bb.5836:
	s_wait_xcnt 0x0
	v_mov_b32_e32 v1, 0
	global_store_b32 v[2:3], v1, off
.LBB126_5837:
	s_mov_b32 s9, 0
.LBB126_5838:
	s_delay_alu instid0(SALU_CYCLE_1)
	s_and_not1_b32 vcc_lo, exec_lo, s9
	s_cbranch_vccnz .LBB126_5840
; %bb.5839:
	s_wait_xcnt 0x0
	v_mov_b32_e32 v1, 0
	global_store_b16 v[2:3], v1, off
.LBB126_5840:
	s_mov_b32 s9, 0
.LBB126_5841:
	s_delay_alu instid0(SALU_CYCLE_1)
	s_and_not1_b32 vcc_lo, exec_lo, s9
	s_cbranch_vccnz .LBB126_5846
; %bb.5842:
	s_cmp_gt_i32 s8, 0
	s_mov_b32 s8, -1
	s_cbranch_scc0 .LBB126_5844
; %bb.5843:
	s_wait_xcnt 0x0
	v_mov_b32_e32 v1, 0
	s_mov_b32 s8, 0
	global_store_b8 v[2:3], v1, off
.LBB126_5844:
	s_and_not1_b32 vcc_lo, exec_lo, s8
	s_cbranch_vccnz .LBB126_5846
; %bb.5845:
	s_wait_xcnt 0x0
	v_mov_b32_e32 v1, 0
	global_store_b8 v[2:3], v1, off
.LBB126_5846:
	s_mov_b32 s10, -1
.LBB126_5847:
	s_delay_alu instid0(SALU_CYCLE_1)
	s_and_not1_b32 vcc_lo, exec_lo, s10
	s_cbranch_vccnz .LBB126_5983
; %bb.5848:
	v_add_nc_u32_e32 v0, s7, v0
	s_cmp_lt_i32 s0, 11
	s_wait_xcnt 0x0
	s_delay_alu instid0(VALU_DEP_1) | instskip(NEXT) | instid1(VALU_DEP_1)
	v_ashrrev_i32_e32 v1, 31, v0
	v_add_nc_u64_e32 v[2:3], s[4:5], v[0:1]
	s_cbranch_scc1 .LBB126_5896
; %bb.5849:
	s_and_b32 s8, 0xffff, s0
	s_mov_b32 s12, -1
	s_mov_b32 s11, 0
	s_cmp_gt_i32 s8, 25
	s_mov_b32 s10, 0
	s_mov_b32 s9, 0
	s_cbranch_scc0 .LBB126_5874
; %bb.5850:
	s_cmp_gt_i32 s8, 28
	s_cbranch_scc0 .LBB126_5863
; %bb.5851:
	s_cmp_gt_i32 s8, 43
	;; [unrolled: 3-line block ×3, first 2 shown]
	s_cbranch_scc0 .LBB126_5855
; %bb.5853:
	s_mov_b32 s9, -1
	s_mov_b32 s12, 0
	s_cmp_eq_u32 s8, 46
	s_cbranch_scc0 .LBB126_5855
; %bb.5854:
	v_mov_b32_e32 v1, 0
	s_mov_b32 s9, 0
	s_mov_b32 s10, -1
	global_store_b32 v[2:3], v1, off
.LBB126_5855:
	s_and_b32 vcc_lo, exec_lo, s12
	s_cbranch_vccz .LBB126_5858
; %bb.5856:
	s_cmp_eq_u32 s8, 44
	s_mov_b32 s9, -1
	s_cbranch_scc0 .LBB126_5858
; %bb.5857:
	s_wait_xcnt 0x0
	v_mov_b32_e32 v1, 0
	s_mov_b32 s9, 0
	s_mov_b32 s10, -1
	global_store_b8 v[2:3], v1, off
.LBB126_5858:
	s_mov_b32 s12, 0
.LBB126_5859:
	s_delay_alu instid0(SALU_CYCLE_1)
	s_and_b32 vcc_lo, exec_lo, s12
	s_cbranch_vccz .LBB126_5862
; %bb.5860:
	s_cmp_eq_u32 s8, 29
	s_mov_b32 s9, -1
	s_cbranch_scc0 .LBB126_5862
; %bb.5861:
	v_mov_b64_e32 v[4:5], 0
	s_mov_b32 s9, 0
	s_mov_b32 s10, -1
	global_store_b64 v[2:3], v[4:5], off
.LBB126_5862:
	s_mov_b32 s12, 0
.LBB126_5863:
	s_delay_alu instid0(SALU_CYCLE_1)
	s_and_b32 vcc_lo, exec_lo, s12
	s_cbranch_vccz .LBB126_5873
; %bb.5864:
	s_cmp_lt_i32 s8, 27
	s_mov_b32 s10, -1
	s_cbranch_scc1 .LBB126_5870
; %bb.5865:
	s_cmp_gt_i32 s8, 27
	s_cbranch_scc0 .LBB126_5867
; %bb.5866:
	s_wait_xcnt 0x0
	v_mov_b32_e32 v1, 0
	s_mov_b32 s10, 0
	global_store_b32 v[2:3], v1, off
.LBB126_5867:
	s_and_not1_b32 vcc_lo, exec_lo, s10
	s_cbranch_vccnz .LBB126_5869
; %bb.5868:
	s_wait_xcnt 0x0
	v_mov_b32_e32 v1, 0
	global_store_b16 v[2:3], v1, off
.LBB126_5869:
	s_mov_b32 s10, 0
.LBB126_5870:
	s_delay_alu instid0(SALU_CYCLE_1)
	s_and_not1_b32 vcc_lo, exec_lo, s10
	s_cbranch_vccnz .LBB126_5872
; %bb.5871:
	s_wait_xcnt 0x0
	v_mov_b32_e32 v1, 0
	global_store_b8 v[2:3], v1, off
.LBB126_5872:
	s_mov_b32 s10, -1
.LBB126_5873:
	s_mov_b32 s12, 0
.LBB126_5874:
	s_delay_alu instid0(SALU_CYCLE_1)
	s_and_b32 vcc_lo, exec_lo, s12
	s_cbranch_vccz .LBB126_5892
; %bb.5875:
	s_cmp_gt_i32 s8, 22
	s_mov_b32 s11, -1
	s_cbranch_scc0 .LBB126_5885
; %bb.5876:
	s_cmp_lt_i32 s8, 24
	s_mov_b32 s10, -1
	s_cbranch_scc1 .LBB126_5882
; %bb.5877:
	s_cmp_gt_i32 s8, 24
	s_cbranch_scc0 .LBB126_5879
; %bb.5878:
	s_wait_xcnt 0x0
	v_mov_b32_e32 v1, 0
	s_mov_b32 s10, 0
	global_store_b8 v[2:3], v1, off
.LBB126_5879:
	s_and_not1_b32 vcc_lo, exec_lo, s10
	s_cbranch_vccnz .LBB126_5881
; %bb.5880:
	s_wait_xcnt 0x0
	v_mov_b32_e32 v1, 0
	global_store_b8 v[2:3], v1, off
.LBB126_5881:
	s_mov_b32 s10, 0
.LBB126_5882:
	s_delay_alu instid0(SALU_CYCLE_1)
	s_and_not1_b32 vcc_lo, exec_lo, s10
	s_cbranch_vccnz .LBB126_5884
; %bb.5883:
	s_wait_xcnt 0x0
	v_mov_b32_e32 v1, 0
	global_store_b8 v[2:3], v1, off
.LBB126_5884:
	s_mov_b32 s11, 0
	s_mov_b32 s10, -1
.LBB126_5885:
	s_and_not1_b32 vcc_lo, exec_lo, s11
	s_mov_b32 s11, 0
	s_cbranch_vccnz .LBB126_5892
; %bb.5886:
	s_cmp_gt_i32 s8, 14
	s_mov_b32 s11, -1
	s_cbranch_scc0 .LBB126_5890
; %bb.5887:
	s_cmp_eq_u32 s8, 15
	s_mov_b32 s9, -1
	s_cbranch_scc0 .LBB126_5889
; %bb.5888:
	s_wait_xcnt 0x0
	v_mov_b32_e32 v1, 0
	s_mov_b32 s9, 0
	s_mov_b32 s10, -1
	global_store_b16 v[2:3], v1, off
.LBB126_5889:
	s_mov_b32 s11, 0
.LBB126_5890:
	s_delay_alu instid0(SALU_CYCLE_1)
	s_and_b32 vcc_lo, exec_lo, s11
	s_mov_b32 s11, 0
	s_cbranch_vccz .LBB126_5892
; %bb.5891:
	s_cmp_lg_u32 s8, 11
	s_mov_b32 s11, -1
	s_cselect_b32 s9, -1, 0
.LBB126_5892:
	s_delay_alu instid0(SALU_CYCLE_1)
	s_and_b32 vcc_lo, exec_lo, s9
	s_cbranch_vccnz .LBB126_5994
; %bb.5893:
	s_and_not1_b32 vcc_lo, exec_lo, s11
	s_cbranch_vccnz .LBB126_5895
.LBB126_5894:
	s_wait_xcnt 0x0
	v_mov_b32_e32 v1, 0
	s_mov_b32 s10, -1
	global_store_b8 v[2:3], v1, off
.LBB126_5895:
	s_mov_b32 s8, 0
	s_branch .LBB126_5897
.LBB126_5896:
	s_mov_b32 s8, -1
	s_mov_b32 s10, 0
.LBB126_5897:
	s_and_b32 vcc_lo, exec_lo, s8
	s_cbranch_vccz .LBB126_5936
; %bb.5898:
	s_and_b32 s8, 0xffff, s0
	s_mov_b32 s9, -1
	s_cmp_lt_i32 s8, 5
	s_cbranch_scc1 .LBB126_5919
; %bb.5899:
	s_cmp_lt_i32 s8, 8
	s_cbranch_scc1 .LBB126_5909
; %bb.5900:
	;; [unrolled: 3-line block ×3, first 2 shown]
	s_cmp_gt_i32 s8, 9
	s_cbranch_scc0 .LBB126_5903
; %bb.5902:
	s_wait_xcnt 0x0
	v_mov_b32_e32 v4, 0
	s_mov_b32 s9, 0
	s_delay_alu instid0(VALU_DEP_1)
	v_dual_mov_b32 v5, v4 :: v_dual_mov_b32 v6, v4
	v_mov_b32_e32 v7, v4
	global_store_b128 v[2:3], v[4:7], off
.LBB126_5903:
	s_and_not1_b32 vcc_lo, exec_lo, s9
	s_cbranch_vccnz .LBB126_5905
; %bb.5904:
	s_wait_xcnt 0x0
	v_mov_b64_e32 v[4:5], 0
	global_store_b64 v[2:3], v[4:5], off
.LBB126_5905:
	s_mov_b32 s9, 0
.LBB126_5906:
	s_delay_alu instid0(SALU_CYCLE_1)
	s_and_not1_b32 vcc_lo, exec_lo, s9
	s_cbranch_vccnz .LBB126_5908
; %bb.5907:
	s_wait_xcnt 0x0
	v_mov_b32_e32 v1, 0
	global_store_b32 v[2:3], v1, off
.LBB126_5908:
	s_mov_b32 s9, 0
.LBB126_5909:
	s_delay_alu instid0(SALU_CYCLE_1)
	s_and_not1_b32 vcc_lo, exec_lo, s9
	s_cbranch_vccnz .LBB126_5918
; %bb.5910:
	s_cmp_lt_i32 s8, 6
	s_mov_b32 s9, -1
	s_cbranch_scc1 .LBB126_5916
; %bb.5911:
	s_cmp_gt_i32 s8, 6
	s_cbranch_scc0 .LBB126_5913
; %bb.5912:
	s_wait_xcnt 0x0
	v_mov_b64_e32 v[4:5], 0
	s_mov_b32 s9, 0
	global_store_b64 v[2:3], v[4:5], off
.LBB126_5913:
	s_and_not1_b32 vcc_lo, exec_lo, s9
	s_cbranch_vccnz .LBB126_5915
; %bb.5914:
	s_wait_xcnt 0x0
	v_mov_b32_e32 v1, 0
	global_store_b32 v[2:3], v1, off
.LBB126_5915:
	s_mov_b32 s9, 0
.LBB126_5916:
	s_delay_alu instid0(SALU_CYCLE_1)
	s_and_not1_b32 vcc_lo, exec_lo, s9
	s_cbranch_vccnz .LBB126_5918
; %bb.5917:
	s_wait_xcnt 0x0
	v_mov_b32_e32 v1, 0
	global_store_b16 v[2:3], v1, off
.LBB126_5918:
	s_mov_b32 s9, 0
.LBB126_5919:
	s_delay_alu instid0(SALU_CYCLE_1)
	s_and_not1_b32 vcc_lo, exec_lo, s9
	s_cbranch_vccnz .LBB126_5935
; %bb.5920:
	s_cmp_lt_i32 s8, 2
	s_mov_b32 s9, -1
	s_cbranch_scc1 .LBB126_5930
; %bb.5921:
	s_cmp_lt_i32 s8, 3
	s_cbranch_scc1 .LBB126_5927
; %bb.5922:
	s_cmp_gt_i32 s8, 3
	s_cbranch_scc0 .LBB126_5924
; %bb.5923:
	s_wait_xcnt 0x0
	v_mov_b64_e32 v[4:5], 0
	s_mov_b32 s9, 0
	global_store_b64 v[2:3], v[4:5], off
.LBB126_5924:
	s_and_not1_b32 vcc_lo, exec_lo, s9
	s_cbranch_vccnz .LBB126_5926
; %bb.5925:
	s_wait_xcnt 0x0
	v_mov_b32_e32 v1, 0
	global_store_b32 v[2:3], v1, off
.LBB126_5926:
	s_mov_b32 s9, 0
.LBB126_5927:
	s_delay_alu instid0(SALU_CYCLE_1)
	s_and_not1_b32 vcc_lo, exec_lo, s9
	s_cbranch_vccnz .LBB126_5929
; %bb.5928:
	s_wait_xcnt 0x0
	v_mov_b32_e32 v1, 0
	global_store_b16 v[2:3], v1, off
.LBB126_5929:
	s_mov_b32 s9, 0
.LBB126_5930:
	s_delay_alu instid0(SALU_CYCLE_1)
	s_and_not1_b32 vcc_lo, exec_lo, s9
	s_cbranch_vccnz .LBB126_5935
; %bb.5931:
	s_cmp_gt_i32 s8, 0
	s_mov_b32 s8, -1
	s_cbranch_scc0 .LBB126_5933
; %bb.5932:
	s_wait_xcnt 0x0
	v_mov_b32_e32 v1, 0
	s_mov_b32 s8, 0
	global_store_b8 v[2:3], v1, off
.LBB126_5933:
	s_and_not1_b32 vcc_lo, exec_lo, s8
	s_cbranch_vccnz .LBB126_5935
; %bb.5934:
	s_wait_xcnt 0x0
	v_mov_b32_e32 v1, 0
	global_store_b8 v[2:3], v1, off
.LBB126_5935:
	s_mov_b32 s10, -1
.LBB126_5936:
	s_delay_alu instid0(SALU_CYCLE_1)
	s_and_not1_b32 vcc_lo, exec_lo, s10
	s_cbranch_vccnz .LBB126_5983
; %bb.5937:
	v_add_nc_u32_e32 v0, s7, v0
	s_cmp_lt_i32 s0, 11
	s_wait_xcnt 0x0
	s_delay_alu instid0(VALU_DEP_1) | instskip(NEXT) | instid1(VALU_DEP_1)
	v_ashrrev_i32_e32 v1, 31, v0
	v_add_nc_u64_e32 v[10:11], s[4:5], v[0:1]
	s_cbranch_scc1 .LBB126_5989
; %bb.5938:
	s_and_b32 s5, 0xffff, s0
	s_mov_b32 s8, -1
	s_mov_b32 s4, 0
	s_cmp_gt_i32 s5, 25
	s_mov_b32 s7, 0
	s_cbranch_scc0 .LBB126_5963
; %bb.5939:
	s_cmp_gt_i32 s5, 28
	s_cbranch_scc0 .LBB126_5953
; %bb.5940:
	s_cmp_gt_i32 s5, 43
	;; [unrolled: 3-line block ×3, first 2 shown]
	s_cbranch_scc0 .LBB126_5945
; %bb.5942:
	s_cmp_eq_u32 s5, 46
	s_mov_b32 s7, -1
	s_cbranch_scc0 .LBB126_5944
; %bb.5943:
	v_mov_b32_e32 v0, 0
	s_mov_b32 s7, 0
	global_store_b32 v[10:11], v0, off
.LBB126_5944:
	s_mov_b32 s8, 0
.LBB126_5945:
	s_delay_alu instid0(SALU_CYCLE_1)
	s_and_b32 vcc_lo, exec_lo, s8
	s_cbranch_vccz .LBB126_5948
; %bb.5946:
	s_cmp_eq_u32 s5, 44
	s_mov_b32 s7, -1
	s_cbranch_scc0 .LBB126_5948
; %bb.5947:
	s_wait_xcnt 0x0
	v_mov_b32_e32 v0, 0
	s_mov_b32 s7, 0
	global_store_b8 v[10:11], v0, off
.LBB126_5948:
	s_mov_b32 s8, 0
.LBB126_5949:
	s_delay_alu instid0(SALU_CYCLE_1)
	s_and_b32 vcc_lo, exec_lo, s8
	s_cbranch_vccz .LBB126_5952
; %bb.5950:
	s_cmp_eq_u32 s5, 29
	s_mov_b32 s7, -1
	s_cbranch_scc0 .LBB126_5952
; %bb.5951:
	s_wait_xcnt 0x0
	v_mov_b64_e32 v[0:1], 0
	s_mov_b32 s7, 0
	global_store_b64 v[10:11], v[0:1], off
.LBB126_5952:
	s_mov_b32 s8, 0
.LBB126_5953:
	s_delay_alu instid0(SALU_CYCLE_1)
	s_and_b32 vcc_lo, exec_lo, s8
	s_cbranch_vccz .LBB126_5962
; %bb.5954:
	s_cmp_lt_i32 s5, 27
	s_mov_b32 s8, -1
	s_cbranch_scc1 .LBB126_5960
; %bb.5955:
	s_cmp_gt_i32 s5, 27
	s_cbranch_scc0 .LBB126_5957
; %bb.5956:
	s_wait_xcnt 0x0
	v_mov_b32_e32 v0, 0
	s_mov_b32 s8, 0
	global_store_b32 v[10:11], v0, off
.LBB126_5957:
	s_and_not1_b32 vcc_lo, exec_lo, s8
	s_cbranch_vccnz .LBB126_5959
; %bb.5958:
	s_wait_xcnt 0x0
	v_mov_b32_e32 v0, 0
	global_store_b16 v[10:11], v0, off
.LBB126_5959:
	s_mov_b32 s8, 0
.LBB126_5960:
	s_delay_alu instid0(SALU_CYCLE_1)
	s_and_not1_b32 vcc_lo, exec_lo, s8
	s_cbranch_vccnz .LBB126_5962
; %bb.5961:
	s_wait_xcnt 0x0
	v_mov_b32_e32 v0, 0
	global_store_b8 v[10:11], v0, off
.LBB126_5962:
	s_mov_b32 s8, 0
.LBB126_5963:
	s_delay_alu instid0(SALU_CYCLE_1)
	s_and_b32 vcc_lo, exec_lo, s8
	s_cbranch_vccz .LBB126_5981
; %bb.5964:
	s_cmp_gt_i32 s5, 22
	s_mov_b32 s4, -1
	s_cbranch_scc0 .LBB126_5974
; %bb.5965:
	s_cmp_lt_i32 s5, 24
	s_cbranch_scc1 .LBB126_5971
; %bb.5966:
	s_cmp_gt_i32 s5, 24
	s_cbranch_scc0 .LBB126_5968
; %bb.5967:
	s_wait_xcnt 0x0
	v_mov_b32_e32 v0, 0
	s_mov_b32 s4, 0
	global_store_b8 v[10:11], v0, off
.LBB126_5968:
	s_and_not1_b32 vcc_lo, exec_lo, s4
	s_cbranch_vccnz .LBB126_5970
; %bb.5969:
	s_wait_xcnt 0x0
	v_mov_b32_e32 v0, 0
	global_store_b8 v[10:11], v0, off
.LBB126_5970:
	s_mov_b32 s4, 0
.LBB126_5971:
	s_delay_alu instid0(SALU_CYCLE_1)
	s_and_not1_b32 vcc_lo, exec_lo, s4
	s_cbranch_vccnz .LBB126_5973
; %bb.5972:
	s_wait_xcnt 0x0
	v_mov_b32_e32 v0, 0
	global_store_b8 v[10:11], v0, off
.LBB126_5973:
	s_mov_b32 s4, 0
.LBB126_5974:
	s_delay_alu instid0(SALU_CYCLE_1)
	s_and_not1_b32 vcc_lo, exec_lo, s4
	s_mov_b32 s4, 0
	s_cbranch_vccnz .LBB126_5981
; %bb.5975:
	s_cmp_gt_i32 s5, 14
	s_mov_b32 s4, -1
	s_cbranch_scc0 .LBB126_5979
; %bb.5976:
	s_cmp_eq_u32 s5, 15
	s_mov_b32 s7, -1
	s_cbranch_scc0 .LBB126_5978
; %bb.5977:
	s_wait_xcnt 0x0
	v_mov_b32_e32 v0, 0
	s_mov_b32 s7, 0
	global_store_b16 v[10:11], v0, off
.LBB126_5978:
	s_mov_b32 s4, 0
.LBB126_5979:
	s_delay_alu instid0(SALU_CYCLE_1)
	s_and_b32 vcc_lo, exec_lo, s4
	s_mov_b32 s4, 0
	s_cbranch_vccz .LBB126_5981
; %bb.5980:
	s_cmp_lg_u32 s5, 11
	s_mov_b32 s4, -1
	s_cselect_b32 s7, -1, 0
.LBB126_5981:
	s_delay_alu instid0(SALU_CYCLE_1)
	s_and_b32 vcc_lo, exec_lo, s7
	s_cbranch_vccnz .LBB126_5996
.LBB126_5982:
	s_mov_b32 s5, 0
	s_branch .LBB126_5984
.LBB126_5983:
	s_mov_b32 s5, 0
	s_mov_b32 s4, 0
                                        ; implicit-def: $sgpr0
                                        ; implicit-def: $vgpr10_vgpr11
.LBB126_5984:
	s_and_b32 s7, s5, exec_lo
	s_and_not1_b32 s2, s2, exec_lo
	s_and_b32 s5, s6, exec_lo
	s_and_b32 s6, s4, exec_lo
	s_or_b32 s2, s2, s5
.LBB126_5985:
	s_wait_xcnt 0x0
	s_or_b32 exec_lo, exec_lo, s3
	s_delay_alu instid0(SALU_CYCLE_1)
	s_and_not1_b32 s4, s35, exec_lo
	s_and_b32 s5, s2, exec_lo
	s_and_b32 s3, s7, exec_lo
	;; [unrolled: 1-line block ×3, first 2 shown]
	s_or_b32 s35, s4, s5
.LBB126_5986:
	s_or_b32 exec_lo, exec_lo, s36
	s_delay_alu instid0(SALU_CYCLE_1)
	s_and_not1_b32 s4, s31, exec_lo
	s_and_b32 s5, s35, exec_lo
	s_and_b32 s3, s3, exec_lo
	;; [unrolled: 1-line block ×3, first 2 shown]
	s_or_b32 s31, s4, s5
.LBB126_5987:
	s_or_b32 exec_lo, exec_lo, s34
	s_delay_alu instid0(SALU_CYCLE_1)
	s_and_not1_b32 s4, s19, exec_lo
	s_and_b32 s5, s31, exec_lo
	s_and_b32 s3, s3, exec_lo
	;; [unrolled: 1-line block ×3, first 2 shown]
	s_or_b32 s19, s4, s5
.LBB126_5988:
	s_or_b32 exec_lo, exec_lo, s30
	s_branch .LBB126_5651
.LBB126_5989:
	s_mov_b32 s4, 0
	s_mov_b32 s5, -1
	s_branch .LBB126_5984
.LBB126_5990:
	s_or_b32 s6, s35, exec_lo
	s_xor_b32 s3, exec_lo, -1
	s_trap 2
	s_branch .LBB126_5667
.LBB126_5991:
	s_or_b32 s6, s2, exec_lo
	s_trap 2
	s_cbranch_execz .LBB126_5715
	s_branch .LBB126_5716
.LBB126_5992:
	s_or_b32 s6, s6, exec_lo
	s_trap 2
	s_cbranch_execz .LBB126_5805
	s_branch .LBB126_5806
.LBB126_5993:
	s_or_b32 s19, s19, exec_lo
	s_trap 2
                                        ; implicit-def: $vgpr2_vgpr3
                                        ; implicit-def: $vgpr6_vgpr7
                                        ; implicit-def: $vgpr4_vgpr5
                                        ; implicit-def: $vgpr23
                                        ; implicit-def: $vgpr22
                                        ; implicit-def: $vgpr12_vgpr13
	s_branch .LBB126_5643
.LBB126_5994:
	s_or_b32 s6, s6, exec_lo
	s_trap 2
	s_cbranch_execz .LBB126_5894
	s_branch .LBB126_5895
.LBB126_5995:
	s_or_b32 s31, s19, exec_lo
	s_trap 2
                                        ; implicit-def: $vgpr6_vgpr7
                                        ; implicit-def: $vgpr4_vgpr5
                                        ; implicit-def: $vgpr23
                                        ; implicit-def: $vgpr22
                                        ; implicit-def: $vgpr12_vgpr13
	s_or_saveexec_b32 s34, s0
                                        ; implicit-def: $sgpr0
                                        ; implicit-def: $vgpr10_vgpr11
	s_delay_alu instid0(SALU_CYCLE_1)
	s_xor_b32 exec_lo, exec_lo, s34
	s_cbranch_execz .LBB126_5987
	s_branch .LBB126_5646
.LBB126_5996:
	s_mov_b32 s4, 0
	s_or_b32 s6, s6, exec_lo
	s_trap 2
	s_branch .LBB126_5982
.LBB126_5997:
	s_or_b32 s35, s31, exec_lo
	s_trap 2
                                        ; implicit-def: $vgpr6_vgpr7
                                        ; implicit-def: $vgpr4_vgpr5
                                        ; implicit-def: $vgpr23
                                        ; implicit-def: $vgpr22
                                        ; implicit-def: $vgpr12_vgpr13
	s_or_saveexec_b32 s36, s0
	s_mov_b32 s2, 0
                                        ; implicit-def: $sgpr0
                                        ; implicit-def: $vgpr10_vgpr11
	s_xor_b32 exec_lo, exec_lo, s36
	s_cbranch_execz .LBB126_5986
	s_branch .LBB126_5648
	.section	.rodata,"a",@progbits
	.p2align	6, 0x0
	.amdhsa_kernel _ZN2at6native32elementwise_kernel_manual_unrollILi128ELi4EZNS0_15gpu_kernel_implIZZZNS0_12_GLOBAL__N_142_validate_compressed_sparse_indices_kernelILNS3_8CDimNameE1ENS3_18CUDAKernelLauncherENS3_14EmptyVecKernelENS3_8DummyVecELm0EEEvRKNS_6TensorESB_lllENKUlvE1_clEvENKUlvE0_clEvEUllllllE_EEvRNS_18TensorIteratorBaseERKT_EUlibE_EEviT1_
		.amdhsa_group_segment_fixed_size 0
		.amdhsa_private_segment_fixed_size 0
		.amdhsa_kernarg_size 144
		.amdhsa_user_sgpr_count 2
		.amdhsa_user_sgpr_dispatch_ptr 0
		.amdhsa_user_sgpr_queue_ptr 0
		.amdhsa_user_sgpr_kernarg_segment_ptr 1
		.amdhsa_user_sgpr_dispatch_id 0
		.amdhsa_user_sgpr_kernarg_preload_length 0
		.amdhsa_user_sgpr_kernarg_preload_offset 0
		.amdhsa_user_sgpr_private_segment_size 0
		.amdhsa_wavefront_size32 1
		.amdhsa_uses_dynamic_stack 0
		.amdhsa_enable_private_segment 0
		.amdhsa_system_sgpr_workgroup_id_x 1
		.amdhsa_system_sgpr_workgroup_id_y 0
		.amdhsa_system_sgpr_workgroup_id_z 0
		.amdhsa_system_sgpr_workgroup_info 0
		.amdhsa_system_vgpr_workitem_id 0
		.amdhsa_next_free_vgpr 36
		.amdhsa_next_free_sgpr 105
		.amdhsa_named_barrier_count 0
		.amdhsa_reserve_vcc 1
		.amdhsa_float_round_mode_32 0
		.amdhsa_float_round_mode_16_64 0
		.amdhsa_float_denorm_mode_32 3
		.amdhsa_float_denorm_mode_16_64 3
		.amdhsa_fp16_overflow 0
		.amdhsa_memory_ordered 1
		.amdhsa_forward_progress 1
		.amdhsa_inst_pref_size 255
		.amdhsa_round_robin_scheduling 0
		.amdhsa_exception_fp_ieee_invalid_op 0
		.amdhsa_exception_fp_denorm_src 0
		.amdhsa_exception_fp_ieee_div_zero 0
		.amdhsa_exception_fp_ieee_overflow 0
		.amdhsa_exception_fp_ieee_underflow 0
		.amdhsa_exception_fp_ieee_inexact 0
		.amdhsa_exception_int_div_zero 0
	.end_amdhsa_kernel
	.section	.text._ZN2at6native32elementwise_kernel_manual_unrollILi128ELi4EZNS0_15gpu_kernel_implIZZZNS0_12_GLOBAL__N_142_validate_compressed_sparse_indices_kernelILNS3_8CDimNameE1ENS3_18CUDAKernelLauncherENS3_14EmptyVecKernelENS3_8DummyVecELm0EEEvRKNS_6TensorESB_lllENKUlvE1_clEvENKUlvE0_clEvEUllllllE_EEvRNS_18TensorIteratorBaseERKT_EUlibE_EEviT1_,"axG",@progbits,_ZN2at6native32elementwise_kernel_manual_unrollILi128ELi4EZNS0_15gpu_kernel_implIZZZNS0_12_GLOBAL__N_142_validate_compressed_sparse_indices_kernelILNS3_8CDimNameE1ENS3_18CUDAKernelLauncherENS3_14EmptyVecKernelENS3_8DummyVecELm0EEEvRKNS_6TensorESB_lllENKUlvE1_clEvENKUlvE0_clEvEUllllllE_EEvRNS_18TensorIteratorBaseERKT_EUlibE_EEviT1_,comdat
.Lfunc_end126:
	.size	_ZN2at6native32elementwise_kernel_manual_unrollILi128ELi4EZNS0_15gpu_kernel_implIZZZNS0_12_GLOBAL__N_142_validate_compressed_sparse_indices_kernelILNS3_8CDimNameE1ENS3_18CUDAKernelLauncherENS3_14EmptyVecKernelENS3_8DummyVecELm0EEEvRKNS_6TensorESB_lllENKUlvE1_clEvENKUlvE0_clEvEUllllllE_EEvRNS_18TensorIteratorBaseERKT_EUlibE_EEviT1_, .Lfunc_end126-_ZN2at6native32elementwise_kernel_manual_unrollILi128ELi4EZNS0_15gpu_kernel_implIZZZNS0_12_GLOBAL__N_142_validate_compressed_sparse_indices_kernelILNS3_8CDimNameE1ENS3_18CUDAKernelLauncherENS3_14EmptyVecKernelENS3_8DummyVecELm0EEEvRKNS_6TensorESB_lllENKUlvE1_clEvENKUlvE0_clEvEUllllllE_EEvRNS_18TensorIteratorBaseERKT_EUlibE_EEviT1_
                                        ; -- End function
	.set _ZN2at6native32elementwise_kernel_manual_unrollILi128ELi4EZNS0_15gpu_kernel_implIZZZNS0_12_GLOBAL__N_142_validate_compressed_sparse_indices_kernelILNS3_8CDimNameE1ENS3_18CUDAKernelLauncherENS3_14EmptyVecKernelENS3_8DummyVecELm0EEEvRKNS_6TensorESB_lllENKUlvE1_clEvENKUlvE0_clEvEUllllllE_EEvRNS_18TensorIteratorBaseERKT_EUlibE_EEviT1_.num_vgpr, 36
	.set _ZN2at6native32elementwise_kernel_manual_unrollILi128ELi4EZNS0_15gpu_kernel_implIZZZNS0_12_GLOBAL__N_142_validate_compressed_sparse_indices_kernelILNS3_8CDimNameE1ENS3_18CUDAKernelLauncherENS3_14EmptyVecKernelENS3_8DummyVecELm0EEEvRKNS_6TensorESB_lllENKUlvE1_clEvENKUlvE0_clEvEUllllllE_EEvRNS_18TensorIteratorBaseERKT_EUlibE_EEviT1_.num_agpr, 0
	.set _ZN2at6native32elementwise_kernel_manual_unrollILi128ELi4EZNS0_15gpu_kernel_implIZZZNS0_12_GLOBAL__N_142_validate_compressed_sparse_indices_kernelILNS3_8CDimNameE1ENS3_18CUDAKernelLauncherENS3_14EmptyVecKernelENS3_8DummyVecELm0EEEvRKNS_6TensorESB_lllENKUlvE1_clEvENKUlvE0_clEvEUllllllE_EEvRNS_18TensorIteratorBaseERKT_EUlibE_EEviT1_.numbered_sgpr, 105
	.set _ZN2at6native32elementwise_kernel_manual_unrollILi128ELi4EZNS0_15gpu_kernel_implIZZZNS0_12_GLOBAL__N_142_validate_compressed_sparse_indices_kernelILNS3_8CDimNameE1ENS3_18CUDAKernelLauncherENS3_14EmptyVecKernelENS3_8DummyVecELm0EEEvRKNS_6TensorESB_lllENKUlvE1_clEvENKUlvE0_clEvEUllllllE_EEvRNS_18TensorIteratorBaseERKT_EUlibE_EEviT1_.num_named_barrier, 0
	.set _ZN2at6native32elementwise_kernel_manual_unrollILi128ELi4EZNS0_15gpu_kernel_implIZZZNS0_12_GLOBAL__N_142_validate_compressed_sparse_indices_kernelILNS3_8CDimNameE1ENS3_18CUDAKernelLauncherENS3_14EmptyVecKernelENS3_8DummyVecELm0EEEvRKNS_6TensorESB_lllENKUlvE1_clEvENKUlvE0_clEvEUllllllE_EEvRNS_18TensorIteratorBaseERKT_EUlibE_EEviT1_.private_seg_size, 0
	.set _ZN2at6native32elementwise_kernel_manual_unrollILi128ELi4EZNS0_15gpu_kernel_implIZZZNS0_12_GLOBAL__N_142_validate_compressed_sparse_indices_kernelILNS3_8CDimNameE1ENS3_18CUDAKernelLauncherENS3_14EmptyVecKernelENS3_8DummyVecELm0EEEvRKNS_6TensorESB_lllENKUlvE1_clEvENKUlvE0_clEvEUllllllE_EEvRNS_18TensorIteratorBaseERKT_EUlibE_EEviT1_.uses_vcc, 1
	.set _ZN2at6native32elementwise_kernel_manual_unrollILi128ELi4EZNS0_15gpu_kernel_implIZZZNS0_12_GLOBAL__N_142_validate_compressed_sparse_indices_kernelILNS3_8CDimNameE1ENS3_18CUDAKernelLauncherENS3_14EmptyVecKernelENS3_8DummyVecELm0EEEvRKNS_6TensorESB_lllENKUlvE1_clEvENKUlvE0_clEvEUllllllE_EEvRNS_18TensorIteratorBaseERKT_EUlibE_EEviT1_.uses_flat_scratch, 0
	.set _ZN2at6native32elementwise_kernel_manual_unrollILi128ELi4EZNS0_15gpu_kernel_implIZZZNS0_12_GLOBAL__N_142_validate_compressed_sparse_indices_kernelILNS3_8CDimNameE1ENS3_18CUDAKernelLauncherENS3_14EmptyVecKernelENS3_8DummyVecELm0EEEvRKNS_6TensorESB_lllENKUlvE1_clEvENKUlvE0_clEvEUllllllE_EEvRNS_18TensorIteratorBaseERKT_EUlibE_EEviT1_.has_dyn_sized_stack, 0
	.set _ZN2at6native32elementwise_kernel_manual_unrollILi128ELi4EZNS0_15gpu_kernel_implIZZZNS0_12_GLOBAL__N_142_validate_compressed_sparse_indices_kernelILNS3_8CDimNameE1ENS3_18CUDAKernelLauncherENS3_14EmptyVecKernelENS3_8DummyVecELm0EEEvRKNS_6TensorESB_lllENKUlvE1_clEvENKUlvE0_clEvEUllllllE_EEvRNS_18TensorIteratorBaseERKT_EUlibE_EEviT1_.has_recursion, 0
	.set _ZN2at6native32elementwise_kernel_manual_unrollILi128ELi4EZNS0_15gpu_kernel_implIZZZNS0_12_GLOBAL__N_142_validate_compressed_sparse_indices_kernelILNS3_8CDimNameE1ENS3_18CUDAKernelLauncherENS3_14EmptyVecKernelENS3_8DummyVecELm0EEEvRKNS_6TensorESB_lllENKUlvE1_clEvENKUlvE0_clEvEUllllllE_EEvRNS_18TensorIteratorBaseERKT_EUlibE_EEviT1_.has_indirect_call, 0
	.section	.AMDGPU.csdata,"",@progbits
; Kernel info:
; codeLenInByte = 142600
; TotalNumSgprs: 107
; NumVgprs: 36
; ScratchSize: 0
; MemoryBound: 1
; FloatMode: 240
; IeeeMode: 1
; LDSByteSize: 0 bytes/workgroup (compile time only)
; SGPRBlocks: 0
; VGPRBlocks: 2
; NumSGPRsForWavesPerEU: 107
; NumVGPRsForWavesPerEU: 36
; NamedBarCnt: 0
; Occupancy: 16
; WaveLimiterHint : 0
; COMPUTE_PGM_RSRC2:SCRATCH_EN: 0
; COMPUTE_PGM_RSRC2:USER_SGPR: 2
; COMPUTE_PGM_RSRC2:TRAP_HANDLER: 0
; COMPUTE_PGM_RSRC2:TGID_X_EN: 1
; COMPUTE_PGM_RSRC2:TGID_Y_EN: 0
; COMPUTE_PGM_RSRC2:TGID_Z_EN: 0
; COMPUTE_PGM_RSRC2:TIDIG_COMP_CNT: 0
	.section	.text._ZN2at6native32elementwise_kernel_manual_unrollILi128ELi4EZNS0_15gpu_kernel_implIZZZNS0_12_GLOBAL__N_142_validate_compressed_sparse_indices_kernelILNS3_8CDimNameE1ENS3_18CUDAKernelLauncherENS3_14EmptyVecKernelENS3_8DummyVecELm0EEEvRKNS_6TensorESB_lllENKUlvE1_clEvENKUlvE0_clEvEUllllllE_EEvRNS_18TensorIteratorBaseERKT_EUlibE0_EEviT1_,"axG",@progbits,_ZN2at6native32elementwise_kernel_manual_unrollILi128ELi4EZNS0_15gpu_kernel_implIZZZNS0_12_GLOBAL__N_142_validate_compressed_sparse_indices_kernelILNS3_8CDimNameE1ENS3_18CUDAKernelLauncherENS3_14EmptyVecKernelENS3_8DummyVecELm0EEEvRKNS_6TensorESB_lllENKUlvE1_clEvENKUlvE0_clEvEUllllllE_EEvRNS_18TensorIteratorBaseERKT_EUlibE0_EEviT1_,comdat
	.globl	_ZN2at6native32elementwise_kernel_manual_unrollILi128ELi4EZNS0_15gpu_kernel_implIZZZNS0_12_GLOBAL__N_142_validate_compressed_sparse_indices_kernelILNS3_8CDimNameE1ENS3_18CUDAKernelLauncherENS3_14EmptyVecKernelENS3_8DummyVecELm0EEEvRKNS_6TensorESB_lllENKUlvE1_clEvENKUlvE0_clEvEUllllllE_EEvRNS_18TensorIteratorBaseERKT_EUlibE0_EEviT1_ ; -- Begin function _ZN2at6native32elementwise_kernel_manual_unrollILi128ELi4EZNS0_15gpu_kernel_implIZZZNS0_12_GLOBAL__N_142_validate_compressed_sparse_indices_kernelILNS3_8CDimNameE1ENS3_18CUDAKernelLauncherENS3_14EmptyVecKernelENS3_8DummyVecELm0EEEvRKNS_6TensorESB_lllENKUlvE1_clEvENKUlvE0_clEvEUllllllE_EEvRNS_18TensorIteratorBaseERKT_EUlibE0_EEviT1_
	.p2align	8
	.type	_ZN2at6native32elementwise_kernel_manual_unrollILi128ELi4EZNS0_15gpu_kernel_implIZZZNS0_12_GLOBAL__N_142_validate_compressed_sparse_indices_kernelILNS3_8CDimNameE1ENS3_18CUDAKernelLauncherENS3_14EmptyVecKernelENS3_8DummyVecELm0EEEvRKNS_6TensorESB_lllENKUlvE1_clEvENKUlvE0_clEvEUllllllE_EEvRNS_18TensorIteratorBaseERKT_EUlibE0_EEviT1_,@function
_ZN2at6native32elementwise_kernel_manual_unrollILi128ELi4EZNS0_15gpu_kernel_implIZZZNS0_12_GLOBAL__N_142_validate_compressed_sparse_indices_kernelILNS3_8CDimNameE1ENS3_18CUDAKernelLauncherENS3_14EmptyVecKernelENS3_8DummyVecELm0EEEvRKNS_6TensorESB_lllENKUlvE1_clEvENKUlvE0_clEvEUllllllE_EEvRNS_18TensorIteratorBaseERKT_EUlibE0_EEviT1_: ; @_ZN2at6native32elementwise_kernel_manual_unrollILi128ELi4EZNS0_15gpu_kernel_implIZZZNS0_12_GLOBAL__N_142_validate_compressed_sparse_indices_kernelILNS3_8CDimNameE1ENS3_18CUDAKernelLauncherENS3_14EmptyVecKernelENS3_8DummyVecELm0EEEvRKNS_6TensorESB_lllENKUlvE1_clEvENKUlvE0_clEvEUllllllE_EEvRNS_18TensorIteratorBaseERKT_EUlibE0_EEviT1_
; %bb.0:
	s_clause 0x1
	s_load_b32 s33, s[0:1], 0x8
	s_load_b32 s83, s[0:1], 0x0
	s_bfe_u32 s2, ttmp6, 0x4000c
	s_and_b32 s3, ttmp6, 15
	s_add_co_i32 s2, s2, 1
	s_getreg_b32 s4, hwreg(HW_REG_IB_STS2, 6, 4)
	s_mul_i32 s2, ttmp9, s2
	s_mov_b32 s73, 0
	s_add_co_i32 s3, s3, s2
	s_cmp_eq_u32 s4, 0
	s_mov_b32 s35, -1
	s_cselect_b32 s2, ttmp9, s3
	s_mov_b32 s36, 0
	v_lshl_or_b32 v0, s2, 9, v0
	s_add_nc_u64 s[2:3], s[0:1], 8
	s_wait_xcnt 0x0
	s_mov_b32 s0, exec_lo
	s_delay_alu instid0(VALU_DEP_1) | instskip(SKIP_2) | instid1(SALU_CYCLE_1)
	v_or_b32_e32 v1, 0x180, v0
	s_wait_kmcnt 0x0
	s_add_co_i32 s72, s33, -1
	s_cmp_gt_u32 s72, 1
	s_cselect_b32 s74, -1, 0
	v_cmpx_le_i32_e64 s83, v1
	s_xor_b32 s75, exec_lo, s0
	s_cbranch_execz .LBB127_1974
; %bb.1:
	s_clause 0x4
	s_load_b128 s[28:31], s[2:3], 0x2a8
	s_load_b128 s[12:15], s[2:3], 0x4
	s_load_b64 s[78:79], s[2:3], 0x14
	s_load_b128 s[40:43], s[2:3], 0xe4
	s_load_b256 s[20:27], s[2:3], 0x288
	s_cmp_lg_u32 s33, 0
	s_get_pc_i64 s[0:1]
	s_add_nc_u64 s[0:1], s[0:1], .str.6@rel64+4
	s_cselect_b32 s84, -1, 0
	s_min_u32 s68, s72, 15
	s_cmp_gt_u32 s33, 1
	s_get_pc_i64 s[4:5]
	s_add_nc_u64 s[4:5], s[4:5], .str.7@rel64+4
	s_cselect_b32 s48, -1, 0
	s_mov_b32 s55, 0
	s_wait_kmcnt 0x0
	s_mov_b32 s23, exec_lo
	s_mov_b32 s57, s55
	s_mov_b32 s92, s55
	s_mov_b32 s91, s55
	s_mov_b32 s90, s55
	s_mov_b32 s89, s55
	s_mov_b32 s88, s55
	s_mov_b32 s87, s55
	s_mov_b32 s54, s13
	s_mov_b32 s56, s78
	s_lshr_b32 s50, s30, 8
	s_lshr_b32 s82, s30, 16
	s_lshr_b64 s[80:81], s[30:31], 24
	s_lshr_b32 s53, s31, 8
	s_cmp_lg_u64 s[0:1], 0
	s_get_pc_i64 s[0:1]
	s_add_nc_u64 s[0:1], s[0:1], .str.8@rel64+4
	s_cselect_b32 s81, -1, 0
	s_cmp_lg_u64 s[4:5], 0
	s_mov_b32 s86, s55
	s_cselect_b32 s52, -1, 0
	s_cmp_lg_u64 s[0:1], 0
	s_get_pc_i64 s[0:1]
	s_add_nc_u64 s[0:1], s[0:1], .str.9@rel64+4
	s_cselect_b32 s77, -1, 0
	s_add_co_i32 s34, s22, -1
	s_mov_b32 s85, s55
	s_cmp_gt_i32 s34, -1
	s_mov_b32 s71, s55
	s_cselect_b32 s76, -1, 0
	s_cmp_lg_u64 s[0:1], 0
	s_mov_b32 s70, s55
	s_cselect_b32 s69, -1, 0
	v_cmpx_gt_i32_e64 s83, v0
	s_cbranch_execz .LBB127_523
; %bb.2:
	s_and_not1_b32 vcc_lo, exec_lo, s74
	s_cbranch_vccnz .LBB127_9
; %bb.3:
	s_and_not1_b32 vcc_lo, exec_lo, s84
	s_cbranch_vccnz .LBB127_10
; %bb.4:
	v_dual_mov_b32 v10, 0 :: v_dual_mov_b32 v1, v0
	v_dual_mov_b32 v6, 0 :: v_dual_mov_b32 v8, 0
	;; [unrolled: 1-line block ×3, first 2 shown]
	v_mov_b32_e32 v4, 0
	s_add_co_i32 s0, s68, 1
	s_mov_b64 s[36:37], 0xffffffffffffffd0
	s_mov_b64 s[4:5], s[40:41]
	s_mov_b32 s8, s69
	s_mov_b64 s[6:7], s[42:43]
	s_mov_b32 s1, s68
	s_and_b32 s0, s0, 30
	s_add_nc_u64 s[58:59], s[2:3], s[36:37]
	s_mov_b64 s[60:61], s[2:3]
.LBB127_5:                              ; =>This Inner Loop Header: Depth=1
	s_clause 0x1
	s_load_b128 s[36:39], s[60:61], 0x4
	s_load_b64 s[44:45], s[60:61], 0x14
	s_clause 0x1
	s_load_b256 s[64:71], s[58:59], 0xf4
	s_load_b128 s[40:43], s[58:59], 0x114
	s_add_co_i32 s0, s0, -2
	s_wait_xcnt 0x0
	s_add_nc_u64 s[60:61], s[60:61], 24
	s_cmp_lg_u32 s0, 0
	s_add_nc_u64 s[58:59], s[58:59], 48
	s_wait_kmcnt 0x0
	v_mul_hi_u32 v3, s37, v1
	s_delay_alu instid0(VALU_DEP_1) | instskip(NEXT) | instid1(VALU_DEP_1)
	v_add_nc_u32_e32 v3, v1, v3
	v_lshrrev_b32_e32 v3, s38, v3
	s_delay_alu instid0(VALU_DEP_1) | instskip(SKIP_1) | instid1(VALU_DEP_1)
	v_mul_hi_u32 v5, s44, v3
	v_mul_lo_u32 v7, v3, s36
	v_dual_add_nc_u32 v5, v3, v5 :: v_dual_sub_nc_u32 v7, v1, v7
	s_delay_alu instid0(VALU_DEP_1) | instskip(NEXT) | instid1(VALU_DEP_2)
	v_lshrrev_b32_e32 v1, s45, v5
	v_mad_u32 v4, v7, s65, v4
	v_mad_u32 v2, v7, s64, v2
	;; [unrolled: 1-line block ×4, first 2 shown]
	v_mul_lo_u32 v5, v1, s39
	v_mad_u32 v6, s69, v7, v6
	v_mad_u32 v7, s68, v7, v10
	s_delay_alu instid0(VALU_DEP_3) | instskip(NEXT) | instid1(VALU_DEP_1)
	v_sub_nc_u32_e32 v3, v3, v5
	v_mad_u32 v4, v3, s71, v4
	v_mad_u32 v2, v3, s70, v2
	;; [unrolled: 1-line block ×6, first 2 shown]
	s_cbranch_scc1 .LBB127_5
; %bb.6:
	s_load_b256 s[88:95], s[2:3], 0xc4
	s_bitcmp1_b32 s1, 0
	s_mov_b32 s68, s1
	s_cselect_b32 s0, -1, 0
	s_delay_alu instid0(SALU_CYCLE_1)
	s_and_b32 vcc_lo, exec_lo, s0
	s_cbranch_vccnz .LBB127_8
; %bb.7:
	s_load_b96 s[40:42], s[60:61], 0x4
	s_clause 0x1
	s_load_b128 s[36:39], s[58:59], 0xf4
	s_load_b64 s[0:1], s[58:59], 0x104
	s_wait_kmcnt 0x0
	v_mul_hi_u32 v3, s41, v1
	s_delay_alu instid0(VALU_DEP_1) | instskip(NEXT) | instid1(VALU_DEP_1)
	v_add_nc_u32_e32 v3, v1, v3
	v_lshrrev_b32_e32 v3, s42, v3
	s_delay_alu instid0(VALU_DEP_1) | instskip(NEXT) | instid1(VALU_DEP_1)
	v_mul_lo_u32 v3, v3, s40
	v_sub_nc_u32_e32 v1, v1, v3
	s_delay_alu instid0(VALU_DEP_1)
	v_mad_u32 v2, v1, s36, v2
	v_mad_u32 v4, v1, s37, v4
	;; [unrolled: 1-line block ×6, first 2 shown]
.LBB127_8:
	s_mov_b64 s[42:43], s[6:7]
	s_mov_b64 s[40:41], s[4:5]
	s_mov_b32 s69, s8
	s_cbranch_execz .LBB127_11
	s_branch .LBB127_13
.LBB127_9:
	s_load_b256 s[88:95], s[2:3], 0xc4
                                        ; implicit-def: $vgpr4
                                        ; implicit-def: $vgpr2
                                        ; implicit-def: $vgpr12
                                        ; implicit-def: $vgpr8
                                        ; implicit-def: $vgpr6
                                        ; implicit-def: $vgpr10
	s_branch .LBB127_11
.LBB127_10:
	s_load_b256 s[88:95], s[2:3], 0xc4
	v_dual_mov_b32 v4, 0 :: v_dual_mov_b32 v2, 0
	v_dual_mov_b32 v12, 0 :: v_dual_mov_b32 v8, 0
	;; [unrolled: 1-line block ×3, first 2 shown]
	s_cbranch_execnz .LBB127_13
.LBB127_11:
	v_mov_b32_e32 v1, 0
	s_and_not1_b32 vcc_lo, exec_lo, s48
	s_delay_alu instid0(VALU_DEP_1) | instskip(NEXT) | instid1(VALU_DEP_1)
	v_mul_u64_e32 v[2:3], s[54:55], v[0:1]
	v_add_nc_u32_e32 v2, v0, v3
	s_delay_alu instid0(VALU_DEP_1) | instskip(NEXT) | instid1(VALU_DEP_1)
	v_lshrrev_b32_e32 v14, s14, v2
	v_mul_lo_u32 v2, v14, s12
	s_delay_alu instid0(VALU_DEP_1) | instskip(SKIP_1) | instid1(VALU_DEP_1)
	v_sub_nc_u32_e32 v3, v0, v2
	s_wait_kmcnt 0x0
	v_mul_lo_u32 v4, v3, s89
	v_mul_lo_u32 v2, v3, s88
	;; [unrolled: 1-line block ×6, first 2 shown]
	s_cbranch_vccnz .LBB127_13
; %bb.12:
	v_mov_b32_e32 v15, v1
	s_delay_alu instid0(VALU_DEP_1) | instskip(NEXT) | instid1(VALU_DEP_1)
	v_mul_u64_e32 v[16:17], s[56:57], v[14:15]
	v_add_nc_u32_e32 v1, v14, v17
	s_delay_alu instid0(VALU_DEP_1) | instskip(NEXT) | instid1(VALU_DEP_1)
	v_lshrrev_b32_e32 v1, s79, v1
	v_mul_lo_u32 v1, v1, s15
	s_delay_alu instid0(VALU_DEP_1) | instskip(NEXT) | instid1(VALU_DEP_1)
	v_sub_nc_u32_e32 v1, v14, v1
	v_mad_u32 v2, v1, s94, v2
	v_mad_u32 v4, v1, s95, v4
	;; [unrolled: 1-line block ×6, first 2 shown]
.LBB127_13:
	s_wait_kmcnt 0x0
	s_mov_b64 s[94:95], s[14:15]
	s_mov_b32 s92, s12
	s_load_b512 s[4:19], s[2:3], 0x248
	v_mov_b32_e32 v5, 0
	s_and_b32 s0, s50, 0xff
	s_delay_alu instid0(SALU_CYCLE_1) | instskip(SKIP_1) | instid1(VALU_DEP_1)
	s_cmp_lt_i32 s0, 11
	s_wait_kmcnt 0x0
	v_add_nc_u64_e32 v[14:15], s[6:7], v[4:5]
	s_cbranch_scc1 .LBB127_20
; %bb.14:
	s_and_b32 s35, 0xffff, s0
	s_delay_alu instid0(SALU_CYCLE_1)
	s_cmp_gt_i32 s35, 25
	s_cbranch_scc0 .LBB127_29
; %bb.15:
	s_cmp_gt_i32 s35, 28
	s_cbranch_scc0 .LBB127_39
; %bb.16:
	s_cmp_gt_i32 s35, 43
	s_cbranch_scc0 .LBB127_42
; %bb.17:
	s_cmp_gt_i32 s35, 45
	s_cbranch_scc0 .LBB127_45
; %bb.18:
	s_cmp_eq_u32 s35, 46
	s_mov_b32 s1, 0
	s_cbranch_scc0 .LBB127_48
; %bb.19:
	global_load_b32 v1, v[14:15], off
	s_mov_b32 s45, -1
	s_mov_b32 s44, 0
	s_wait_loadcnt 0x0
	v_lshlrev_b32_e32 v1, 16, v1
	s_delay_alu instid0(VALU_DEP_1) | instskip(NEXT) | instid1(VALU_DEP_1)
	v_trunc_f32_e32 v1, v1
	v_mul_f32_e64 v3, 0x2f800000, |v1|
	v_ashrrev_i32_e32 v4, 31, v1
	s_delay_alu instid0(VALU_DEP_2) | instskip(NEXT) | instid1(VALU_DEP_1)
	v_floor_f32_e32 v3, v3
	v_fma_f32 v5, 0xcf800000, v3, |v1|
	v_cvt_u32_f32_e32 v1, v3
	s_delay_alu instid0(VALU_DEP_2) | instskip(NEXT) | instid1(VALU_DEP_2)
	v_cvt_u32_f32_e32 v3, v5
	v_dual_mov_b32 v5, v4 :: v_dual_bitop2_b32 v17, v1, v4 bitop3:0x14
	s_delay_alu instid0(VALU_DEP_2) | instskip(NEXT) | instid1(VALU_DEP_1)
	v_xor_b32_e32 v16, v3, v4
	v_sub_nc_u64_e32 v[4:5], v[16:17], v[4:5]
	s_branch .LBB127_50
.LBB127_20:
	s_mov_b32 s44, 0
	s_mov_b32 s45, 0
                                        ; implicit-def: $vgpr4_vgpr5
	s_cbranch_execnz .LBB127_112
.LBB127_21:
	s_and_not1_b32 vcc_lo, exec_lo, s45
	s_cbranch_vccnz .LBB127_159
.LBB127_22:
	s_load_b512 s[4:19], s[2:3], 0x248
	v_mov_b32_e32 v9, 0
	s_and_b32 s0, s82, 0xff
	s_delay_alu instid0(SALU_CYCLE_1) | instskip(SKIP_1) | instid1(VALU_DEP_1)
	s_cmp_lt_i32 s0, 11
	s_wait_kmcnt 0x0
	v_add_nc_u64_e32 v[14:15], s[8:9], v[8:9]
	s_cbranch_scc1 .LBB127_30
; %bb.23:
	s_and_b32 s35, 0xffff, s0
	s_delay_alu instid0(SALU_CYCLE_1)
	s_cmp_gt_i32 s35, 25
	s_cbranch_scc0 .LBB127_40
; %bb.24:
	s_cmp_gt_i32 s35, 28
	s_cbranch_scc0 .LBB127_43
; %bb.25:
	;; [unrolled: 3-line block ×4, first 2 shown]
	s_cmp_eq_u32 s35, 46
	s_mov_b32 s1, 0
	s_cbranch_scc0 .LBB127_160
; %bb.28:
	global_load_b32 v1, v[14:15], off
	s_mov_b32 s46, -1
	s_mov_b32 s45, 0
	s_wait_loadcnt 0x0
	v_lshlrev_b32_e32 v1, 16, v1
	s_delay_alu instid0(VALU_DEP_1) | instskip(NEXT) | instid1(VALU_DEP_1)
	v_trunc_f32_e32 v1, v1
	v_mul_f32_e64 v3, 0x2f800000, |v1|
	v_ashrrev_i32_e32 v8, 31, v1
	s_delay_alu instid0(VALU_DEP_2) | instskip(NEXT) | instid1(VALU_DEP_2)
	v_floor_f32_e32 v3, v3
	v_mov_b32_e32 v9, v8
	s_delay_alu instid0(VALU_DEP_2) | instskip(SKIP_1) | instid1(VALU_DEP_2)
	v_fma_f32 v7, 0xcf800000, v3, |v1|
	v_cvt_u32_f32_e32 v1, v3
	v_cvt_u32_f32_e32 v3, v7
	s_delay_alu instid0(VALU_DEP_2) | instskip(NEXT) | instid1(VALU_DEP_2)
	v_xor_b32_e32 v17, v1, v8
	v_xor_b32_e32 v16, v3, v8
	s_delay_alu instid0(VALU_DEP_1)
	v_sub_nc_u64_e32 v[8:9], v[16:17], v[8:9]
	s_branch .LBB127_162
.LBB127_29:
	s_mov_b32 s44, 0
	s_mov_b32 s45, 0
                                        ; implicit-def: $vgpr4_vgpr5
	s_cbranch_execnz .LBB127_79
	s_branch .LBB127_111
.LBB127_30:
	s_mov_b32 s45, 0
	s_mov_b32 s46, 0
                                        ; implicit-def: $vgpr8_vgpr9
	s_cbranch_execnz .LBB127_224
.LBB127_31:
	s_and_not1_b32 vcc_lo, exec_lo, s46
	s_cbranch_vccnz .LBB127_272
.LBB127_32:
	s_load_b512 s[4:19], s[2:3], 0x248
	v_mov_b32_e32 v13, 0
	s_and_b32 s0, s80, 0xff
	s_delay_alu instid0(SALU_CYCLE_1) | instskip(SKIP_1) | instid1(VALU_DEP_1)
	s_cmp_lt_i32 s0, 11
	s_wait_kmcnt 0x0
	v_add_nc_u64_e32 v[14:15], s[10:11], v[12:13]
	s_cbranch_scc1 .LBB127_41
; %bb.33:
	s_and_b32 s35, 0xffff, s0
	s_delay_alu instid0(SALU_CYCLE_1)
	s_cmp_gt_i32 s35, 25
	s_cbranch_scc0 .LBB127_44
; %bb.34:
	s_cmp_gt_i32 s35, 28
	s_cbranch_scc0 .LBB127_47
; %bb.35:
	;; [unrolled: 3-line block ×4, first 2 shown]
	s_cmp_eq_u32 s35, 46
	s_mov_b32 s1, 0
	s_cbranch_scc0 .LBB127_273
; %bb.38:
	global_load_b32 v1, v[14:15], off
	s_mov_b32 s47, -1
	s_mov_b32 s46, 0
	s_wait_loadcnt 0x0
	v_lshlrev_b32_e32 v1, 16, v1
	s_delay_alu instid0(VALU_DEP_1) | instskip(NEXT) | instid1(VALU_DEP_1)
	v_trunc_f32_e32 v1, v1
	v_mul_f32_e64 v3, 0x2f800000, |v1|
	v_ashrrev_i32_e32 v12, 31, v1
	s_delay_alu instid0(VALU_DEP_2) | instskip(NEXT) | instid1(VALU_DEP_2)
	v_floor_f32_e32 v3, v3
	v_mov_b32_e32 v13, v12
	s_delay_alu instid0(VALU_DEP_2) | instskip(SKIP_1) | instid1(VALU_DEP_2)
	v_fma_f32 v7, 0xcf800000, v3, |v1|
	v_cvt_u32_f32_e32 v1, v3
	v_cvt_u32_f32_e32 v3, v7
	s_delay_alu instid0(VALU_DEP_2) | instskip(NEXT) | instid1(VALU_DEP_2)
	v_xor_b32_e32 v17, v1, v12
	v_xor_b32_e32 v16, v3, v12
	s_delay_alu instid0(VALU_DEP_1)
	v_sub_nc_u64_e32 v[12:13], v[16:17], v[12:13]
	s_branch .LBB127_275
.LBB127_39:
	s_mov_b32 s1, -1
	s_mov_b32 s44, 0
	s_mov_b32 s45, 0
                                        ; implicit-def: $vgpr4_vgpr5
	s_branch .LBB127_62
.LBB127_40:
	s_mov_b32 s1, -1
	s_mov_b32 s45, 0
	s_mov_b32 s46, 0
                                        ; implicit-def: $vgpr8_vgpr9
	s_branch .LBB127_190
.LBB127_41:
	s_mov_b32 s1, -1
	s_mov_b32 s46, 0
	s_mov_b32 s47, 0
                                        ; implicit-def: $vgpr12_vgpr13
	s_branch .LBB127_336
.LBB127_42:
	s_mov_b32 s1, -1
	s_mov_b32 s44, 0
	s_mov_b32 s45, 0
                                        ; implicit-def: $vgpr4_vgpr5
	s_branch .LBB127_57
.LBB127_43:
	s_mov_b32 s1, -1
	s_mov_b32 s45, 0
	s_mov_b32 s46, 0
                                        ; implicit-def: $vgpr8_vgpr9
	s_branch .LBB127_173
.LBB127_44:
	s_mov_b32 s1, -1
	s_mov_b32 s46, 0
	s_mov_b32 s47, 0
                                        ; implicit-def: $vgpr12_vgpr13
	s_branch .LBB127_302
.LBB127_45:
	s_mov_b32 s1, -1
	s_mov_b32 s44, 0
	s_branch .LBB127_49
.LBB127_46:
	s_mov_b32 s1, -1
	s_mov_b32 s45, 0
	s_mov_b32 s46, 0
                                        ; implicit-def: $vgpr8_vgpr9
	s_branch .LBB127_168
.LBB127_47:
	s_mov_b32 s1, -1
	s_mov_b32 s46, 0
	s_mov_b32 s47, 0
                                        ; implicit-def: $vgpr12_vgpr13
	s_branch .LBB127_285
.LBB127_48:
	s_mov_b32 s44, -1
.LBB127_49:
	s_mov_b32 s45, 0
                                        ; implicit-def: $vgpr4_vgpr5
.LBB127_50:
	s_and_b32 vcc_lo, exec_lo, s1
	s_cbranch_vccz .LBB127_56
; %bb.51:
	s_cmp_eq_u32 s35, 44
	s_cbranch_scc0 .LBB127_55
; %bb.52:
	global_load_u8 v1, v[14:15], off
	s_mov_b32 s44, 0
	s_mov_b32 s45, -1
	s_wait_loadcnt 0x0
	v_lshlrev_b32_e32 v3, 23, v1
	v_cmp_ne_u32_e32 vcc_lo, 0, v1
	s_delay_alu instid0(VALU_DEP_2) | instskip(NEXT) | instid1(VALU_DEP_1)
	v_trunc_f32_e32 v3, v3
	v_mul_f32_e64 v4, 0x2f800000, |v3|
	s_delay_alu instid0(VALU_DEP_1) | instskip(SKIP_1) | instid1(VALU_DEP_2)
	v_floor_f32_e32 v5, v4
	v_ashrrev_i32_e32 v4, 31, v3
	v_fma_f32 v7, 0xcf800000, v5, |v3|
	v_cvt_u32_f32_e32 v3, v5
	s_delay_alu instid0(VALU_DEP_3) | instskip(NEXT) | instid1(VALU_DEP_3)
	v_mov_b32_e32 v5, v4
	v_cvt_u32_f32_e32 v7, v7
	s_delay_alu instid0(VALU_DEP_3) | instskip(NEXT) | instid1(VALU_DEP_2)
	v_xor_b32_e32 v17, v3, v4
	v_xor_b32_e32 v16, v7, v4
	s_delay_alu instid0(VALU_DEP_1) | instskip(NEXT) | instid1(VALU_DEP_1)
	v_sub_nc_u64_e32 v[4:5], v[16:17], v[4:5]
	v_dual_cndmask_b32 v5, 0, v5 :: v_dual_cndmask_b32 v4, 0, v4
	s_branch .LBB127_56
.LBB127_53:
	s_mov_b32 s1, -1
	s_mov_b32 s45, 0
	s_branch .LBB127_161
.LBB127_54:
	s_mov_b32 s1, -1
	s_mov_b32 s46, 0
	s_mov_b32 s47, 0
                                        ; implicit-def: $vgpr12_vgpr13
	s_branch .LBB127_280
.LBB127_55:
	s_mov_b32 s44, -1
                                        ; implicit-def: $vgpr4_vgpr5
.LBB127_56:
	s_mov_b32 s1, 0
.LBB127_57:
	s_delay_alu instid0(SALU_CYCLE_1)
	s_and_b32 vcc_lo, exec_lo, s1
	s_cbranch_vccz .LBB127_61
; %bb.58:
	s_cmp_eq_u32 s35, 29
	s_cbranch_scc0 .LBB127_60
; %bb.59:
	global_load_b64 v[4:5], v[14:15], off
	s_mov_b32 s45, -1
	s_mov_b32 s44, 0
	s_branch .LBB127_61
.LBB127_60:
	s_mov_b32 s44, -1
                                        ; implicit-def: $vgpr4_vgpr5
.LBB127_61:
	s_mov_b32 s1, 0
.LBB127_62:
	s_delay_alu instid0(SALU_CYCLE_1)
	s_and_b32 vcc_lo, exec_lo, s1
	s_cbranch_vccz .LBB127_78
; %bb.63:
	s_cmp_lt_i32 s35, 27
	s_cbranch_scc1 .LBB127_66
; %bb.64:
	s_cmp_gt_i32 s35, 27
	s_cbranch_scc0 .LBB127_67
; %bb.65:
	s_wait_loadcnt 0x0
	global_load_b32 v4, v[14:15], off
	v_mov_b32_e32 v5, 0
	s_mov_b32 s1, 0
	s_branch .LBB127_68
.LBB127_66:
	s_mov_b32 s1, -1
                                        ; implicit-def: $vgpr4_vgpr5
	s_branch .LBB127_71
.LBB127_67:
	s_mov_b32 s1, -1
                                        ; implicit-def: $vgpr4_vgpr5
.LBB127_68:
	s_delay_alu instid0(SALU_CYCLE_1)
	s_and_not1_b32 vcc_lo, exec_lo, s1
	s_cbranch_vccnz .LBB127_70
; %bb.69:
	global_load_u16 v1, v[14:15], off
	s_mov_b32 s1, 0
	s_wait_loadcnt 0x1
	v_mov_b32_e32 v5, s1
	s_wait_loadcnt 0x0
	v_and_b32_e32 v4, 0xffff, v1
.LBB127_70:
	s_mov_b32 s1, 0
.LBB127_71:
	s_delay_alu instid0(SALU_CYCLE_1)
	s_and_not1_b32 vcc_lo, exec_lo, s1
	s_cbranch_vccnz .LBB127_77
; %bb.72:
	global_load_u8 v1, v[14:15], off
	s_mov_b32 s45, 0
	s_mov_b32 s1, exec_lo
	s_wait_loadcnt 0x0
	v_cmpx_lt_i16_e32 0x7f, v1
	s_xor_b32 s1, exec_lo, s1
	s_cbranch_execz .LBB127_88
; %bb.73:
	v_cmp_ne_u16_e32 vcc_lo, 0x80, v1
	s_and_b32 s45, vcc_lo, exec_lo
	s_and_not1_saveexec_b32 s1, s1
	s_cbranch_execnz .LBB127_89
.LBB127_74:
	s_or_b32 exec_lo, exec_lo, s1
	v_mov_b64_e32 v[4:5], 0
	s_and_saveexec_b32 s1, s45
	s_cbranch_execz .LBB127_76
.LBB127_75:
	v_and_b32_e32 v3, 0xffff, v1
	s_delay_alu instid0(VALU_DEP_1) | instskip(SKIP_1) | instid1(VALU_DEP_2)
	v_and_b32_e32 v4, 7, v3
	v_bfe_u32 v9, v3, 3, 4
	v_clz_i32_u32_e32 v5, v4
	s_delay_alu instid0(VALU_DEP_2) | instskip(NEXT) | instid1(VALU_DEP_2)
	v_cmp_eq_u32_e32 vcc_lo, 0, v9
	v_min_u32_e32 v5, 32, v5
	s_delay_alu instid0(VALU_DEP_1) | instskip(NEXT) | instid1(VALU_DEP_1)
	v_subrev_nc_u32_e32 v7, 28, v5
	v_dual_lshlrev_b32 v3, v7, v3 :: v_dual_sub_nc_u32 v5, 29, v5
	s_delay_alu instid0(VALU_DEP_1) | instskip(NEXT) | instid1(VALU_DEP_1)
	v_dual_lshlrev_b32 v1, 24, v1 :: v_dual_bitop2_b32 v3, 7, v3 bitop3:0x40
	v_dual_cndmask_b32 v3, v4, v3, vcc_lo :: v_dual_cndmask_b32 v5, v9, v5, vcc_lo
	s_delay_alu instid0(VALU_DEP_2) | instskip(NEXT) | instid1(VALU_DEP_2)
	v_and_b32_e32 v1, 0x80000000, v1
	v_lshlrev_b32_e32 v3, 20, v3
	s_delay_alu instid0(VALU_DEP_3) | instskip(NEXT) | instid1(VALU_DEP_1)
	v_lshl_add_u32 v4, v5, 23, 0x3b800000
	v_or3_b32 v1, v1, v4, v3
	s_delay_alu instid0(VALU_DEP_1) | instskip(NEXT) | instid1(VALU_DEP_1)
	v_trunc_f32_e32 v1, v1
	v_mul_f32_e64 v3, 0x2f800000, |v1|
	v_ashrrev_i32_e32 v4, 31, v1
	s_delay_alu instid0(VALU_DEP_2) | instskip(NEXT) | instid1(VALU_DEP_1)
	v_floor_f32_e32 v3, v3
	v_fma_f32 v5, 0xcf800000, v3, |v1|
	v_cvt_u32_f32_e32 v1, v3
	s_delay_alu instid0(VALU_DEP_2) | instskip(NEXT) | instid1(VALU_DEP_2)
	v_cvt_u32_f32_e32 v3, v5
	v_dual_mov_b32 v5, v4 :: v_dual_bitop2_b32 v17, v1, v4 bitop3:0x14
	s_delay_alu instid0(VALU_DEP_2) | instskip(NEXT) | instid1(VALU_DEP_1)
	v_xor_b32_e32 v16, v3, v4
	v_sub_nc_u64_e32 v[4:5], v[16:17], v[4:5]
.LBB127_76:
	s_or_b32 exec_lo, exec_lo, s1
.LBB127_77:
	s_mov_b32 s45, -1
.LBB127_78:
	s_branch .LBB127_111
.LBB127_79:
	s_cmp_gt_i32 s35, 22
	s_cbranch_scc0 .LBB127_87
; %bb.80:
	s_cmp_lt_i32 s35, 24
	s_cbranch_scc1 .LBB127_90
; %bb.81:
	s_cmp_gt_i32 s35, 24
	s_cbranch_scc0 .LBB127_91
; %bb.82:
	global_load_u8 v1, v[14:15], off
	s_mov_b32 s45, 0
	s_mov_b32 s1, exec_lo
	s_wait_loadcnt 0x0
	v_cmpx_lt_i16_e32 0x7f, v1
	s_xor_b32 s1, exec_lo, s1
	s_cbranch_execz .LBB127_103
; %bb.83:
	v_cmp_ne_u16_e32 vcc_lo, 0x80, v1
	s_and_b32 s45, vcc_lo, exec_lo
	s_and_not1_saveexec_b32 s1, s1
	s_cbranch_execnz .LBB127_104
.LBB127_84:
	s_or_b32 exec_lo, exec_lo, s1
	v_mov_b64_e32 v[4:5], 0
	s_and_saveexec_b32 s1, s45
	s_cbranch_execz .LBB127_86
.LBB127_85:
	v_and_b32_e32 v3, 0xffff, v1
	s_delay_alu instid0(VALU_DEP_1) | instskip(SKIP_1) | instid1(VALU_DEP_2)
	v_and_b32_e32 v4, 3, v3
	v_bfe_u32 v9, v3, 2, 5
	v_clz_i32_u32_e32 v5, v4
	s_delay_alu instid0(VALU_DEP_2) | instskip(NEXT) | instid1(VALU_DEP_2)
	v_cmp_eq_u32_e32 vcc_lo, 0, v9
	v_min_u32_e32 v5, 32, v5
	s_delay_alu instid0(VALU_DEP_1) | instskip(NEXT) | instid1(VALU_DEP_1)
	v_subrev_nc_u32_e32 v7, 29, v5
	v_dual_lshlrev_b32 v3, v7, v3 :: v_dual_sub_nc_u32 v5, 30, v5
	s_delay_alu instid0(VALU_DEP_1) | instskip(NEXT) | instid1(VALU_DEP_1)
	v_dual_lshlrev_b32 v1, 24, v1 :: v_dual_bitop2_b32 v3, 3, v3 bitop3:0x40
	v_dual_cndmask_b32 v3, v4, v3, vcc_lo :: v_dual_cndmask_b32 v5, v9, v5, vcc_lo
	s_delay_alu instid0(VALU_DEP_2) | instskip(NEXT) | instid1(VALU_DEP_2)
	v_and_b32_e32 v1, 0x80000000, v1
	v_lshlrev_b32_e32 v3, 21, v3
	s_delay_alu instid0(VALU_DEP_3) | instskip(NEXT) | instid1(VALU_DEP_1)
	v_lshl_add_u32 v4, v5, 23, 0x37800000
	v_or3_b32 v1, v1, v4, v3
	s_delay_alu instid0(VALU_DEP_1) | instskip(NEXT) | instid1(VALU_DEP_1)
	v_trunc_f32_e32 v1, v1
	v_mul_f32_e64 v3, 0x2f800000, |v1|
	v_ashrrev_i32_e32 v4, 31, v1
	s_delay_alu instid0(VALU_DEP_2) | instskip(NEXT) | instid1(VALU_DEP_1)
	v_floor_f32_e32 v3, v3
	v_fma_f32 v5, 0xcf800000, v3, |v1|
	v_cvt_u32_f32_e32 v1, v3
	s_delay_alu instid0(VALU_DEP_2) | instskip(NEXT) | instid1(VALU_DEP_2)
	v_cvt_u32_f32_e32 v3, v5
	v_dual_mov_b32 v5, v4 :: v_dual_bitop2_b32 v17, v1, v4 bitop3:0x14
	s_delay_alu instid0(VALU_DEP_2) | instskip(NEXT) | instid1(VALU_DEP_1)
	v_xor_b32_e32 v16, v3, v4
	v_sub_nc_u64_e32 v[4:5], v[16:17], v[4:5]
.LBB127_86:
	s_or_b32 exec_lo, exec_lo, s1
	s_mov_b32 s1, 0
	s_branch .LBB127_92
.LBB127_87:
	s_mov_b32 s1, -1
                                        ; implicit-def: $vgpr4_vgpr5
	s_branch .LBB127_98
.LBB127_88:
	s_and_not1_saveexec_b32 s1, s1
	s_cbranch_execz .LBB127_74
.LBB127_89:
	v_cmp_ne_u16_e32 vcc_lo, 0, v1
	s_and_not1_b32 s36, s45, exec_lo
	s_and_b32 s37, vcc_lo, exec_lo
	s_delay_alu instid0(SALU_CYCLE_1)
	s_or_b32 s45, s36, s37
	s_or_b32 exec_lo, exec_lo, s1
	v_mov_b64_e32 v[4:5], 0
	s_and_saveexec_b32 s1, s45
	s_cbranch_execnz .LBB127_75
	s_branch .LBB127_76
.LBB127_90:
	s_mov_b32 s1, -1
                                        ; implicit-def: $vgpr4_vgpr5
	s_branch .LBB127_95
.LBB127_91:
	s_mov_b32 s1, -1
                                        ; implicit-def: $vgpr4_vgpr5
.LBB127_92:
	s_delay_alu instid0(SALU_CYCLE_1)
	s_and_b32 vcc_lo, exec_lo, s1
	s_cbranch_vccz .LBB127_94
; %bb.93:
	global_load_u8 v1, v[14:15], off
	s_wait_loadcnt 0x0
	v_lshlrev_b32_e32 v1, 24, v1
	s_delay_alu instid0(VALU_DEP_1) | instskip(NEXT) | instid1(VALU_DEP_1)
	v_and_b32_e32 v3, 0x7f000000, v1
	v_clz_i32_u32_e32 v4, v3
	v_add_nc_u32_e32 v7, 0x1000000, v3
	v_cmp_ne_u32_e32 vcc_lo, 0, v3
	s_delay_alu instid0(VALU_DEP_3) | instskip(NEXT) | instid1(VALU_DEP_1)
	v_min_u32_e32 v4, 32, v4
	v_sub_nc_u32_e64 v4, v4, 4 clamp
	s_delay_alu instid0(VALU_DEP_1) | instskip(NEXT) | instid1(VALU_DEP_1)
	v_dual_lshlrev_b32 v5, v4, v3 :: v_dual_lshlrev_b32 v4, 23, v4
	v_lshrrev_b32_e32 v5, 4, v5
	s_delay_alu instid0(VALU_DEP_1) | instskip(NEXT) | instid1(VALU_DEP_1)
	v_dual_sub_nc_u32 v4, v5, v4 :: v_dual_ashrrev_i32 v5, 8, v7
	v_add_nc_u32_e32 v4, 0x3c000000, v4
	s_delay_alu instid0(VALU_DEP_1) | instskip(NEXT) | instid1(VALU_DEP_1)
	v_and_or_b32 v4, 0x7f800000, v5, v4
	v_cndmask_b32_e32 v3, 0, v4, vcc_lo
	s_delay_alu instid0(VALU_DEP_1) | instskip(NEXT) | instid1(VALU_DEP_1)
	v_and_or_b32 v1, 0x80000000, v1, v3
	v_trunc_f32_e32 v1, v1
	s_delay_alu instid0(VALU_DEP_1) | instskip(SKIP_1) | instid1(VALU_DEP_2)
	v_mul_f32_e64 v3, 0x2f800000, |v1|
	v_ashrrev_i32_e32 v4, 31, v1
	v_floor_f32_e32 v3, v3
	s_delay_alu instid0(VALU_DEP_1) | instskip(SKIP_1) | instid1(VALU_DEP_2)
	v_fma_f32 v5, 0xcf800000, v3, |v1|
	v_cvt_u32_f32_e32 v1, v3
	v_cvt_u32_f32_e32 v3, v5
	s_delay_alu instid0(VALU_DEP_2) | instskip(NEXT) | instid1(VALU_DEP_2)
	v_dual_mov_b32 v5, v4 :: v_dual_bitop2_b32 v17, v1, v4 bitop3:0x14
	v_xor_b32_e32 v16, v3, v4
	s_delay_alu instid0(VALU_DEP_1)
	v_sub_nc_u64_e32 v[4:5], v[16:17], v[4:5]
.LBB127_94:
	s_mov_b32 s1, 0
.LBB127_95:
	s_delay_alu instid0(SALU_CYCLE_1)
	s_and_not1_b32 vcc_lo, exec_lo, s1
	s_cbranch_vccnz .LBB127_97
; %bb.96:
	global_load_u8 v1, v[14:15], off
	s_wait_loadcnt 0x0
	v_lshlrev_b32_e32 v3, 25, v1
	v_lshlrev_b16 v1, 8, v1
	s_delay_alu instid0(VALU_DEP_1) | instskip(NEXT) | instid1(VALU_DEP_3)
	v_and_or_b32 v5, 0x7f00, v1, 0.5
	v_lshrrev_b32_e32 v4, 4, v3
	v_bfe_i32 v1, v1, 0, 16
	s_delay_alu instid0(VALU_DEP_3) | instskip(NEXT) | instid1(VALU_DEP_3)
	v_add_f32_e32 v5, -0.5, v5
	v_or_b32_e32 v4, 0x70000000, v4
	s_delay_alu instid0(VALU_DEP_1) | instskip(SKIP_1) | instid1(VALU_DEP_2)
	v_mul_f32_e32 v4, 0x7800000, v4
	v_cmp_gt_u32_e32 vcc_lo, 0x8000000, v3
	v_cndmask_b32_e32 v3, v4, v5, vcc_lo
	s_delay_alu instid0(VALU_DEP_1) | instskip(NEXT) | instid1(VALU_DEP_1)
	v_and_or_b32 v1, 0x80000000, v1, v3
	v_trunc_f32_e32 v1, v1
	s_delay_alu instid0(VALU_DEP_1) | instskip(SKIP_1) | instid1(VALU_DEP_2)
	v_mul_f32_e64 v3, 0x2f800000, |v1|
	v_ashrrev_i32_e32 v4, 31, v1
	v_floor_f32_e32 v3, v3
	s_delay_alu instid0(VALU_DEP_1) | instskip(SKIP_1) | instid1(VALU_DEP_2)
	v_fma_f32 v5, 0xcf800000, v3, |v1|
	v_cvt_u32_f32_e32 v1, v3
	v_cvt_u32_f32_e32 v3, v5
	s_delay_alu instid0(VALU_DEP_2) | instskip(NEXT) | instid1(VALU_DEP_2)
	v_dual_mov_b32 v5, v4 :: v_dual_bitop2_b32 v17, v1, v4 bitop3:0x14
	v_xor_b32_e32 v16, v3, v4
	s_delay_alu instid0(VALU_DEP_1)
	v_sub_nc_u64_e32 v[4:5], v[16:17], v[4:5]
.LBB127_97:
	s_mov_b32 s1, 0
	s_mov_b32 s45, -1
.LBB127_98:
	s_and_not1_b32 vcc_lo, exec_lo, s1
	s_cbranch_vccnz .LBB127_111
; %bb.99:
	s_cmp_gt_i32 s35, 14
	s_cbranch_scc0 .LBB127_102
; %bb.100:
	s_cmp_eq_u32 s35, 15
	s_cbranch_scc0 .LBB127_105
; %bb.101:
	global_load_u16 v1, v[14:15], off
	s_mov_b32 s45, -1
	s_mov_b32 s44, 0
	s_wait_loadcnt 0x0
	v_lshlrev_b32_e32 v1, 16, v1
	s_delay_alu instid0(VALU_DEP_1) | instskip(NEXT) | instid1(VALU_DEP_1)
	v_trunc_f32_e32 v1, v1
	v_mul_f32_e64 v3, 0x2f800000, |v1|
	v_ashrrev_i32_e32 v4, 31, v1
	s_delay_alu instid0(VALU_DEP_2) | instskip(NEXT) | instid1(VALU_DEP_1)
	v_floor_f32_e32 v3, v3
	v_fma_f32 v5, 0xcf800000, v3, |v1|
	v_cvt_u32_f32_e32 v1, v3
	s_delay_alu instid0(VALU_DEP_2) | instskip(NEXT) | instid1(VALU_DEP_2)
	v_cvt_u32_f32_e32 v3, v5
	v_dual_mov_b32 v5, v4 :: v_dual_bitop2_b32 v17, v1, v4 bitop3:0x14
	s_delay_alu instid0(VALU_DEP_2) | instskip(NEXT) | instid1(VALU_DEP_1)
	v_xor_b32_e32 v16, v3, v4
	v_sub_nc_u64_e32 v[4:5], v[16:17], v[4:5]
	s_branch .LBB127_106
.LBB127_102:
	s_mov_b32 s1, -1
                                        ; implicit-def: $vgpr4_vgpr5
	s_branch .LBB127_107
.LBB127_103:
	s_and_not1_saveexec_b32 s1, s1
	s_cbranch_execz .LBB127_84
.LBB127_104:
	v_cmp_ne_u16_e32 vcc_lo, 0, v1
	s_and_not1_b32 s36, s45, exec_lo
	s_and_b32 s37, vcc_lo, exec_lo
	s_delay_alu instid0(SALU_CYCLE_1)
	s_or_b32 s45, s36, s37
	s_or_b32 exec_lo, exec_lo, s1
	v_mov_b64_e32 v[4:5], 0
	s_and_saveexec_b32 s1, s45
	s_cbranch_execnz .LBB127_85
	s_branch .LBB127_86
.LBB127_105:
	s_mov_b32 s44, -1
                                        ; implicit-def: $vgpr4_vgpr5
.LBB127_106:
	s_mov_b32 s1, 0
.LBB127_107:
	s_delay_alu instid0(SALU_CYCLE_1)
	s_and_b32 vcc_lo, exec_lo, s1
	s_cbranch_vccz .LBB127_111
; %bb.108:
	s_cmp_eq_u32 s35, 11
	s_cbranch_scc0 .LBB127_110
; %bb.109:
	global_load_u8 v1, v[14:15], off
	s_mov_b32 s44, 0
	s_mov_b32 s45, -1
	s_wait_loadcnt 0x1
	v_mov_b32_e32 v5, s44
	s_wait_loadcnt 0x0
	v_cmp_ne_u16_e32 vcc_lo, 0, v1
	v_cndmask_b32_e64 v4, 0, 1, vcc_lo
	s_branch .LBB127_111
.LBB127_110:
	s_mov_b32 s44, -1
                                        ; implicit-def: $vgpr4_vgpr5
.LBB127_111:
	s_branch .LBB127_21
.LBB127_112:
	s_and_b32 s0, 0xffff, s0
	s_delay_alu instid0(SALU_CYCLE_1)
	s_cmp_lt_i32 s0, 5
	s_cbranch_scc1 .LBB127_117
; %bb.113:
	s_cmp_lt_i32 s0, 8
	s_cbranch_scc1 .LBB127_118
; %bb.114:
	;; [unrolled: 3-line block ×3, first 2 shown]
	s_cmp_gt_i32 s0, 9
	s_cbranch_scc0 .LBB127_120
; %bb.116:
	s_wait_loadcnt 0x0
	global_load_b64 v[4:5], v[14:15], off
	s_mov_b32 s1, 0
	s_wait_loadcnt 0x0
	v_trunc_f64_e32 v[4:5], v[4:5]
	s_delay_alu instid0(VALU_DEP_1) | instskip(NEXT) | instid1(VALU_DEP_1)
	v_ldexp_f64 v[16:17], v[4:5], 0xffffffe0
	v_floor_f64_e32 v[16:17], v[16:17]
	s_delay_alu instid0(VALU_DEP_1) | instskip(SKIP_1) | instid1(VALU_DEP_2)
	v_fmamk_f64 v[18:19], v[16:17], 0xc1f00000, v[4:5]
	v_cvt_i32_f64_e32 v5, v[16:17]
	v_cvt_u32_f64_e32 v4, v[18:19]
	s_branch .LBB127_121
.LBB127_117:
                                        ; implicit-def: $vgpr4_vgpr5
	s_branch .LBB127_139
.LBB127_118:
	s_mov_b32 s1, -1
                                        ; implicit-def: $vgpr4_vgpr5
	s_branch .LBB127_127
.LBB127_119:
	s_mov_b32 s1, -1
                                        ; implicit-def: $vgpr4_vgpr5
	s_branch .LBB127_124
.LBB127_120:
	s_mov_b32 s1, -1
                                        ; implicit-def: $vgpr4_vgpr5
.LBB127_121:
	s_delay_alu instid0(SALU_CYCLE_1)
	s_and_not1_b32 vcc_lo, exec_lo, s1
	s_cbranch_vccnz .LBB127_123
; %bb.122:
	global_load_b32 v1, v[14:15], off
	s_wait_loadcnt 0x0
	v_trunc_f32_e32 v1, v1
	s_delay_alu instid0(VALU_DEP_1) | instskip(SKIP_1) | instid1(VALU_DEP_2)
	v_mul_f32_e64 v3, 0x2f800000, |v1|
	v_ashrrev_i32_e32 v4, 31, v1
	v_floor_f32_e32 v3, v3
	s_delay_alu instid0(VALU_DEP_1) | instskip(SKIP_1) | instid1(VALU_DEP_2)
	v_fma_f32 v5, 0xcf800000, v3, |v1|
	v_cvt_u32_f32_e32 v1, v3
	v_cvt_u32_f32_e32 v3, v5
	s_delay_alu instid0(VALU_DEP_2) | instskip(NEXT) | instid1(VALU_DEP_2)
	v_dual_mov_b32 v5, v4 :: v_dual_bitop2_b32 v17, v1, v4 bitop3:0x14
	v_xor_b32_e32 v16, v3, v4
	s_delay_alu instid0(VALU_DEP_1)
	v_sub_nc_u64_e32 v[4:5], v[16:17], v[4:5]
.LBB127_123:
	s_mov_b32 s1, 0
.LBB127_124:
	s_delay_alu instid0(SALU_CYCLE_1)
	s_and_not1_b32 vcc_lo, exec_lo, s1
	s_cbranch_vccnz .LBB127_126
; %bb.125:
	global_load_b32 v1, v[14:15], off
	s_wait_loadcnt 0x0
	v_cvt_f32_f16_e32 v1, v1
	s_delay_alu instid0(VALU_DEP_1) | instskip(NEXT) | instid1(VALU_DEP_1)
	v_cvt_i32_f32_e32 v4, v1
	v_ashrrev_i32_e32 v5, 31, v4
.LBB127_126:
	s_mov_b32 s1, 0
.LBB127_127:
	s_delay_alu instid0(SALU_CYCLE_1)
	s_and_not1_b32 vcc_lo, exec_lo, s1
	s_cbranch_vccnz .LBB127_138
; %bb.128:
	s_cmp_lt_i32 s0, 6
	s_cbranch_scc1 .LBB127_131
; %bb.129:
	s_cmp_gt_i32 s0, 6
	s_cbranch_scc0 .LBB127_132
; %bb.130:
	s_wait_loadcnt 0x0
	global_load_b64 v[4:5], v[14:15], off
	s_mov_b32 s1, 0
	s_wait_loadcnt 0x0
	v_trunc_f64_e32 v[4:5], v[4:5]
	s_delay_alu instid0(VALU_DEP_1) | instskip(NEXT) | instid1(VALU_DEP_1)
	v_ldexp_f64 v[16:17], v[4:5], 0xffffffe0
	v_floor_f64_e32 v[16:17], v[16:17]
	s_delay_alu instid0(VALU_DEP_1) | instskip(SKIP_1) | instid1(VALU_DEP_2)
	v_fmamk_f64 v[18:19], v[16:17], 0xc1f00000, v[4:5]
	v_cvt_i32_f64_e32 v5, v[16:17]
	v_cvt_u32_f64_e32 v4, v[18:19]
	s_branch .LBB127_133
.LBB127_131:
	s_mov_b32 s1, -1
                                        ; implicit-def: $vgpr4_vgpr5
	s_branch .LBB127_136
.LBB127_132:
	s_mov_b32 s1, -1
                                        ; implicit-def: $vgpr4_vgpr5
.LBB127_133:
	s_delay_alu instid0(SALU_CYCLE_1)
	s_and_not1_b32 vcc_lo, exec_lo, s1
	s_cbranch_vccnz .LBB127_135
; %bb.134:
	global_load_b32 v1, v[14:15], off
	s_wait_loadcnt 0x0
	v_trunc_f32_e32 v1, v1
	s_delay_alu instid0(VALU_DEP_1) | instskip(SKIP_1) | instid1(VALU_DEP_2)
	v_mul_f32_e64 v3, 0x2f800000, |v1|
	v_ashrrev_i32_e32 v4, 31, v1
	v_floor_f32_e32 v3, v3
	s_delay_alu instid0(VALU_DEP_1) | instskip(SKIP_1) | instid1(VALU_DEP_2)
	v_fma_f32 v5, 0xcf800000, v3, |v1|
	v_cvt_u32_f32_e32 v1, v3
	v_cvt_u32_f32_e32 v3, v5
	s_delay_alu instid0(VALU_DEP_2) | instskip(NEXT) | instid1(VALU_DEP_2)
	v_dual_mov_b32 v5, v4 :: v_dual_bitop2_b32 v17, v1, v4 bitop3:0x14
	v_xor_b32_e32 v16, v3, v4
	s_delay_alu instid0(VALU_DEP_1)
	v_sub_nc_u64_e32 v[4:5], v[16:17], v[4:5]
.LBB127_135:
	s_mov_b32 s1, 0
.LBB127_136:
	s_delay_alu instid0(SALU_CYCLE_1)
	s_and_not1_b32 vcc_lo, exec_lo, s1
	s_cbranch_vccnz .LBB127_138
; %bb.137:
	global_load_u16 v1, v[14:15], off
	s_wait_loadcnt 0x0
	v_cvt_f32_f16_e32 v1, v1
	s_delay_alu instid0(VALU_DEP_1) | instskip(NEXT) | instid1(VALU_DEP_1)
	v_cvt_i32_f32_e32 v4, v1
	v_ashrrev_i32_e32 v5, 31, v4
.LBB127_138:
	s_cbranch_execnz .LBB127_158
.LBB127_139:
	s_cmp_lt_i32 s0, 2
	s_cbranch_scc1 .LBB127_143
; %bb.140:
	s_cmp_lt_i32 s0, 3
	s_cbranch_scc1 .LBB127_144
; %bb.141:
	s_cmp_gt_i32 s0, 3
	s_cbranch_scc0 .LBB127_145
; %bb.142:
	s_wait_loadcnt 0x0
	global_load_b64 v[4:5], v[14:15], off
	s_mov_b32 s1, 0
	s_branch .LBB127_146
.LBB127_143:
	s_mov_b32 s1, -1
                                        ; implicit-def: $vgpr4_vgpr5
	s_branch .LBB127_152
.LBB127_144:
	s_mov_b32 s1, -1
                                        ; implicit-def: $vgpr4_vgpr5
	s_branch .LBB127_149
.LBB127_145:
	s_mov_b32 s1, -1
                                        ; implicit-def: $vgpr4_vgpr5
.LBB127_146:
	s_delay_alu instid0(SALU_CYCLE_1)
	s_and_not1_b32 vcc_lo, exec_lo, s1
	s_cbranch_vccnz .LBB127_148
; %bb.147:
	s_wait_loadcnt 0x0
	global_load_b32 v4, v[14:15], off
	s_wait_loadcnt 0x0
	v_ashrrev_i32_e32 v5, 31, v4
.LBB127_148:
	s_mov_b32 s1, 0
.LBB127_149:
	s_delay_alu instid0(SALU_CYCLE_1)
	s_and_not1_b32 vcc_lo, exec_lo, s1
	s_cbranch_vccnz .LBB127_151
; %bb.150:
	global_load_u16 v1, v[14:15], off
	s_wait_loadcnt 0x0
	v_bfe_i32 v4, v1, 0, 16
	s_delay_alu instid0(VALU_DEP_1)
	v_ashrrev_i32_e32 v5, 31, v4
.LBB127_151:
	s_mov_b32 s1, 0
.LBB127_152:
	s_delay_alu instid0(SALU_CYCLE_1)
	s_and_not1_b32 vcc_lo, exec_lo, s1
	s_cbranch_vccnz .LBB127_158
; %bb.153:
	s_cmp_gt_i32 s0, 0
	s_mov_b32 s0, 0
	s_cbranch_scc0 .LBB127_155
; %bb.154:
	global_load_i8 v1, v[14:15], off
	s_wait_loadcnt 0x0
	v_bfe_i32 v4, v1, 0, 16
	s_delay_alu instid0(VALU_DEP_1)
	v_ashrrev_i32_e32 v5, 31, v4
	s_branch .LBB127_156
.LBB127_155:
	s_mov_b32 s0, -1
                                        ; implicit-def: $vgpr4_vgpr5
.LBB127_156:
	s_delay_alu instid0(SALU_CYCLE_1)
	s_and_not1_b32 vcc_lo, exec_lo, s0
	s_cbranch_vccnz .LBB127_158
; %bb.157:
	global_load_u8 v1, v[14:15], off
	s_mov_b32 s0, 0
	s_wait_loadcnt 0x1
	v_mov_b32_e32 v5, s0
	s_wait_loadcnt 0x0
	v_and_b32_e32 v4, 0xffff, v1
.LBB127_158:
	s_branch .LBB127_22
.LBB127_159:
	s_mov_b32 s0, 0
	s_mov_b32 s1, 0
	;; [unrolled: 1-line block ×10, first 2 shown]
	s_branch .LBB127_520
.LBB127_160:
	s_mov_b32 s45, -1
.LBB127_161:
	s_mov_b32 s46, 0
                                        ; implicit-def: $vgpr8_vgpr9
.LBB127_162:
	s_and_b32 vcc_lo, exec_lo, s1
	s_cbranch_vccz .LBB127_167
; %bb.163:
	s_cmp_eq_u32 s35, 44
	s_cbranch_scc0 .LBB127_166
; %bb.164:
	global_load_u8 v1, v[14:15], off
	s_mov_b32 s45, 0
	s_mov_b32 s46, -1
	s_wait_loadcnt 0x0
	v_lshlrev_b32_e32 v3, 23, v1
	v_cmp_ne_u32_e32 vcc_lo, 0, v1
	s_delay_alu instid0(VALU_DEP_2) | instskip(NEXT) | instid1(VALU_DEP_1)
	v_trunc_f32_e32 v3, v3
	v_mul_f32_e64 v7, 0x2f800000, |v3|
	v_ashrrev_i32_e32 v8, 31, v3
	s_delay_alu instid0(VALU_DEP_2) | instskip(NEXT) | instid1(VALU_DEP_1)
	v_floor_f32_e32 v7, v7
	v_fma_f32 v9, 0xcf800000, v7, |v3|
	v_cvt_u32_f32_e32 v3, v7
	s_delay_alu instid0(VALU_DEP_2) | instskip(NEXT) | instid1(VALU_DEP_2)
	v_cvt_u32_f32_e32 v7, v9
	v_dual_mov_b32 v9, v8 :: v_dual_bitop2_b32 v17, v3, v8 bitop3:0x14
	s_delay_alu instid0(VALU_DEP_2) | instskip(NEXT) | instid1(VALU_DEP_1)
	v_xor_b32_e32 v16, v7, v8
	v_sub_nc_u64_e32 v[8:9], v[16:17], v[8:9]
	s_delay_alu instid0(VALU_DEP_1)
	v_dual_cndmask_b32 v9, 0, v9 :: v_dual_cndmask_b32 v8, 0, v8
	s_branch .LBB127_167
.LBB127_165:
	s_mov_b32 s1, -1
	s_mov_b32 s46, 0
	s_branch .LBB127_274
.LBB127_166:
	s_mov_b32 s45, -1
                                        ; implicit-def: $vgpr8_vgpr9
.LBB127_167:
	s_mov_b32 s1, 0
.LBB127_168:
	s_delay_alu instid0(SALU_CYCLE_1)
	s_and_b32 vcc_lo, exec_lo, s1
	s_cbranch_vccz .LBB127_172
; %bb.169:
	s_cmp_eq_u32 s35, 29
	s_cbranch_scc0 .LBB127_171
; %bb.170:
	global_load_b64 v[8:9], v[14:15], off
	s_mov_b32 s46, -1
	s_mov_b32 s45, 0
	s_branch .LBB127_172
.LBB127_171:
	s_mov_b32 s45, -1
                                        ; implicit-def: $vgpr8_vgpr9
.LBB127_172:
	s_mov_b32 s1, 0
.LBB127_173:
	s_delay_alu instid0(SALU_CYCLE_1)
	s_and_b32 vcc_lo, exec_lo, s1
	s_cbranch_vccz .LBB127_189
; %bb.174:
	s_cmp_lt_i32 s35, 27
	s_cbranch_scc1 .LBB127_177
; %bb.175:
	s_cmp_gt_i32 s35, 27
	s_cbranch_scc0 .LBB127_178
; %bb.176:
	s_wait_loadcnt 0x0
	global_load_b32 v8, v[14:15], off
	v_mov_b32_e32 v9, 0
	s_mov_b32 s1, 0
	s_branch .LBB127_179
.LBB127_177:
	s_mov_b32 s1, -1
                                        ; implicit-def: $vgpr8_vgpr9
	s_branch .LBB127_182
.LBB127_178:
	s_mov_b32 s1, -1
                                        ; implicit-def: $vgpr8_vgpr9
.LBB127_179:
	s_delay_alu instid0(SALU_CYCLE_1)
	s_and_not1_b32 vcc_lo, exec_lo, s1
	s_cbranch_vccnz .LBB127_181
; %bb.180:
	global_load_u16 v1, v[14:15], off
	s_mov_b32 s1, 0
	s_wait_loadcnt 0x1
	v_mov_b32_e32 v9, s1
	s_wait_loadcnt 0x0
	v_and_b32_e32 v8, 0xffff, v1
.LBB127_181:
	s_mov_b32 s1, 0
.LBB127_182:
	s_delay_alu instid0(SALU_CYCLE_1)
	s_and_not1_b32 vcc_lo, exec_lo, s1
	s_cbranch_vccnz .LBB127_188
; %bb.183:
	global_load_u8 v1, v[14:15], off
	s_mov_b32 s46, 0
	s_mov_b32 s1, exec_lo
	s_wait_loadcnt 0x0
	v_cmpx_lt_i16_e32 0x7f, v1
	s_xor_b32 s1, exec_lo, s1
	s_cbranch_execz .LBB127_200
; %bb.184:
	v_cmp_ne_u16_e32 vcc_lo, 0x80, v1
	s_and_b32 s46, vcc_lo, exec_lo
	s_and_not1_saveexec_b32 s1, s1
	s_cbranch_execnz .LBB127_201
.LBB127_185:
	s_or_b32 exec_lo, exec_lo, s1
	v_mov_b64_e32 v[8:9], 0
	s_and_saveexec_b32 s1, s46
	s_cbranch_execz .LBB127_187
.LBB127_186:
	v_and_b32_e32 v3, 0xffff, v1
	s_delay_alu instid0(VALU_DEP_1) | instskip(SKIP_1) | instid1(VALU_DEP_2)
	v_and_b32_e32 v7, 7, v3
	v_bfe_u32 v11, v3, 3, 4
	v_clz_i32_u32_e32 v8, v7
	s_delay_alu instid0(VALU_DEP_2) | instskip(NEXT) | instid1(VALU_DEP_2)
	v_cmp_eq_u32_e32 vcc_lo, 0, v11
	v_min_u32_e32 v8, 32, v8
	s_delay_alu instid0(VALU_DEP_1) | instskip(NEXT) | instid1(VALU_DEP_1)
	v_subrev_nc_u32_e32 v9, 28, v8
	v_dual_lshlrev_b32 v3, v9, v3 :: v_dual_sub_nc_u32 v8, 29, v8
	s_delay_alu instid0(VALU_DEP_1) | instskip(NEXT) | instid1(VALU_DEP_2)
	v_dual_lshlrev_b32 v1, 24, v1 :: v_dual_bitop2_b32 v3, 7, v3 bitop3:0x40
	v_cndmask_b32_e32 v8, v11, v8, vcc_lo
	s_delay_alu instid0(VALU_DEP_2) | instskip(NEXT) | instid1(VALU_DEP_3)
	v_cndmask_b32_e32 v3, v7, v3, vcc_lo
	v_and_b32_e32 v1, 0x80000000, v1
	s_delay_alu instid0(VALU_DEP_3) | instskip(NEXT) | instid1(VALU_DEP_3)
	v_lshl_add_u32 v7, v8, 23, 0x3b800000
	v_lshlrev_b32_e32 v3, 20, v3
	s_delay_alu instid0(VALU_DEP_1) | instskip(NEXT) | instid1(VALU_DEP_1)
	v_or3_b32 v1, v1, v7, v3
	v_trunc_f32_e32 v1, v1
	s_delay_alu instid0(VALU_DEP_1) | instskip(SKIP_1) | instid1(VALU_DEP_2)
	v_mul_f32_e64 v3, 0x2f800000, |v1|
	v_ashrrev_i32_e32 v8, 31, v1
	v_floor_f32_e32 v3, v3
	s_delay_alu instid0(VALU_DEP_2) | instskip(NEXT) | instid1(VALU_DEP_2)
	v_mov_b32_e32 v9, v8
	v_fma_f32 v7, 0xcf800000, v3, |v1|
	v_cvt_u32_f32_e32 v1, v3
	s_delay_alu instid0(VALU_DEP_2) | instskip(NEXT) | instid1(VALU_DEP_2)
	v_cvt_u32_f32_e32 v3, v7
	v_xor_b32_e32 v17, v1, v8
	s_delay_alu instid0(VALU_DEP_2) | instskip(NEXT) | instid1(VALU_DEP_1)
	v_xor_b32_e32 v16, v3, v8
	v_sub_nc_u64_e32 v[8:9], v[16:17], v[8:9]
.LBB127_187:
	s_or_b32 exec_lo, exec_lo, s1
.LBB127_188:
	s_mov_b32 s46, -1
.LBB127_189:
	s_mov_b32 s1, 0
.LBB127_190:
	s_delay_alu instid0(SALU_CYCLE_1)
	s_and_b32 vcc_lo, exec_lo, s1
	s_cbranch_vccz .LBB127_223
; %bb.191:
	s_cmp_gt_i32 s35, 22
	s_cbranch_scc0 .LBB127_199
; %bb.192:
	s_cmp_lt_i32 s35, 24
	s_cbranch_scc1 .LBB127_202
; %bb.193:
	s_cmp_gt_i32 s35, 24
	s_cbranch_scc0 .LBB127_203
; %bb.194:
	global_load_u8 v1, v[14:15], off
	s_mov_b32 s46, 0
	s_mov_b32 s1, exec_lo
	s_wait_loadcnt 0x0
	v_cmpx_lt_i16_e32 0x7f, v1
	s_xor_b32 s1, exec_lo, s1
	s_cbranch_execz .LBB127_215
; %bb.195:
	v_cmp_ne_u16_e32 vcc_lo, 0x80, v1
	s_and_b32 s46, vcc_lo, exec_lo
	s_and_not1_saveexec_b32 s1, s1
	s_cbranch_execnz .LBB127_216
.LBB127_196:
	s_or_b32 exec_lo, exec_lo, s1
	v_mov_b64_e32 v[8:9], 0
	s_and_saveexec_b32 s1, s46
	s_cbranch_execz .LBB127_198
.LBB127_197:
	v_and_b32_e32 v3, 0xffff, v1
	s_delay_alu instid0(VALU_DEP_1) | instskip(SKIP_1) | instid1(VALU_DEP_2)
	v_and_b32_e32 v7, 3, v3
	v_bfe_u32 v11, v3, 2, 5
	v_clz_i32_u32_e32 v8, v7
	s_delay_alu instid0(VALU_DEP_2) | instskip(NEXT) | instid1(VALU_DEP_2)
	v_cmp_eq_u32_e32 vcc_lo, 0, v11
	v_min_u32_e32 v8, 32, v8
	s_delay_alu instid0(VALU_DEP_1) | instskip(NEXT) | instid1(VALU_DEP_1)
	v_subrev_nc_u32_e32 v9, 29, v8
	v_dual_lshlrev_b32 v3, v9, v3 :: v_dual_sub_nc_u32 v8, 30, v8
	s_delay_alu instid0(VALU_DEP_1) | instskip(NEXT) | instid1(VALU_DEP_2)
	v_dual_lshlrev_b32 v1, 24, v1 :: v_dual_bitop2_b32 v3, 3, v3 bitop3:0x40
	v_cndmask_b32_e32 v8, v11, v8, vcc_lo
	s_delay_alu instid0(VALU_DEP_2) | instskip(NEXT) | instid1(VALU_DEP_3)
	v_cndmask_b32_e32 v3, v7, v3, vcc_lo
	v_and_b32_e32 v1, 0x80000000, v1
	s_delay_alu instid0(VALU_DEP_3) | instskip(NEXT) | instid1(VALU_DEP_3)
	v_lshl_add_u32 v7, v8, 23, 0x37800000
	v_lshlrev_b32_e32 v3, 21, v3
	s_delay_alu instid0(VALU_DEP_1) | instskip(NEXT) | instid1(VALU_DEP_1)
	v_or3_b32 v1, v1, v7, v3
	v_trunc_f32_e32 v1, v1
	s_delay_alu instid0(VALU_DEP_1) | instskip(SKIP_1) | instid1(VALU_DEP_2)
	v_mul_f32_e64 v3, 0x2f800000, |v1|
	v_ashrrev_i32_e32 v8, 31, v1
	v_floor_f32_e32 v3, v3
	s_delay_alu instid0(VALU_DEP_2) | instskip(NEXT) | instid1(VALU_DEP_2)
	v_mov_b32_e32 v9, v8
	v_fma_f32 v7, 0xcf800000, v3, |v1|
	v_cvt_u32_f32_e32 v1, v3
	s_delay_alu instid0(VALU_DEP_2) | instskip(NEXT) | instid1(VALU_DEP_2)
	v_cvt_u32_f32_e32 v3, v7
	v_xor_b32_e32 v17, v1, v8
	s_delay_alu instid0(VALU_DEP_2) | instskip(NEXT) | instid1(VALU_DEP_1)
	v_xor_b32_e32 v16, v3, v8
	v_sub_nc_u64_e32 v[8:9], v[16:17], v[8:9]
.LBB127_198:
	s_or_b32 exec_lo, exec_lo, s1
	s_mov_b32 s1, 0
	s_branch .LBB127_204
.LBB127_199:
	s_mov_b32 s1, -1
                                        ; implicit-def: $vgpr8_vgpr9
	s_branch .LBB127_210
.LBB127_200:
	s_and_not1_saveexec_b32 s1, s1
	s_cbranch_execz .LBB127_185
.LBB127_201:
	v_cmp_ne_u16_e32 vcc_lo, 0, v1
	s_and_not1_b32 s36, s46, exec_lo
	s_and_b32 s37, vcc_lo, exec_lo
	s_delay_alu instid0(SALU_CYCLE_1)
	s_or_b32 s46, s36, s37
	s_or_b32 exec_lo, exec_lo, s1
	v_mov_b64_e32 v[8:9], 0
	s_and_saveexec_b32 s1, s46
	s_cbranch_execnz .LBB127_186
	s_branch .LBB127_187
.LBB127_202:
	s_mov_b32 s1, -1
                                        ; implicit-def: $vgpr8_vgpr9
	s_branch .LBB127_207
.LBB127_203:
	s_mov_b32 s1, -1
                                        ; implicit-def: $vgpr8_vgpr9
.LBB127_204:
	s_delay_alu instid0(SALU_CYCLE_1)
	s_and_b32 vcc_lo, exec_lo, s1
	s_cbranch_vccz .LBB127_206
; %bb.205:
	global_load_u8 v1, v[14:15], off
	s_wait_loadcnt 0x0
	v_lshlrev_b32_e32 v1, 24, v1
	s_delay_alu instid0(VALU_DEP_1) | instskip(NEXT) | instid1(VALU_DEP_1)
	v_and_b32_e32 v3, 0x7f000000, v1
	v_clz_i32_u32_e32 v7, v3
	v_add_nc_u32_e32 v9, 0x1000000, v3
	v_cmp_ne_u32_e32 vcc_lo, 0, v3
	s_delay_alu instid0(VALU_DEP_3) | instskip(NEXT) | instid1(VALU_DEP_1)
	v_min_u32_e32 v7, 32, v7
	v_sub_nc_u32_e64 v7, v7, 4 clamp
	s_delay_alu instid0(VALU_DEP_1) | instskip(NEXT) | instid1(VALU_DEP_1)
	v_lshlrev_b32_e32 v8, v7, v3
	v_dual_lshlrev_b32 v7, 23, v7 :: v_dual_lshrrev_b32 v8, 4, v8
	s_delay_alu instid0(VALU_DEP_1) | instskip(NEXT) | instid1(VALU_DEP_1)
	v_dual_sub_nc_u32 v7, v8, v7 :: v_dual_ashrrev_i32 v8, 8, v9
	v_add_nc_u32_e32 v7, 0x3c000000, v7
	s_delay_alu instid0(VALU_DEP_1) | instskip(NEXT) | instid1(VALU_DEP_1)
	v_and_or_b32 v7, 0x7f800000, v8, v7
	v_cndmask_b32_e32 v3, 0, v7, vcc_lo
	s_delay_alu instid0(VALU_DEP_1) | instskip(NEXT) | instid1(VALU_DEP_1)
	v_and_or_b32 v1, 0x80000000, v1, v3
	v_trunc_f32_e32 v1, v1
	s_delay_alu instid0(VALU_DEP_1) | instskip(SKIP_1) | instid1(VALU_DEP_2)
	v_mul_f32_e64 v3, 0x2f800000, |v1|
	v_ashrrev_i32_e32 v8, 31, v1
	v_floor_f32_e32 v3, v3
	s_delay_alu instid0(VALU_DEP_1) | instskip(SKIP_1) | instid1(VALU_DEP_4)
	v_fma_f32 v7, 0xcf800000, v3, |v1|
	v_cvt_u32_f32_e32 v1, v3
	v_mov_b32_e32 v9, v8
	s_delay_alu instid0(VALU_DEP_3) | instskip(NEXT) | instid1(VALU_DEP_3)
	v_cvt_u32_f32_e32 v3, v7
	v_xor_b32_e32 v17, v1, v8
	s_delay_alu instid0(VALU_DEP_2) | instskip(NEXT) | instid1(VALU_DEP_1)
	v_xor_b32_e32 v16, v3, v8
	v_sub_nc_u64_e32 v[8:9], v[16:17], v[8:9]
.LBB127_206:
	s_mov_b32 s1, 0
.LBB127_207:
	s_delay_alu instid0(SALU_CYCLE_1)
	s_and_not1_b32 vcc_lo, exec_lo, s1
	s_cbranch_vccnz .LBB127_209
; %bb.208:
	global_load_u8 v1, v[14:15], off
	s_wait_loadcnt 0x0
	v_lshlrev_b32_e32 v3, 25, v1
	v_lshlrev_b16 v1, 8, v1
	s_delay_alu instid0(VALU_DEP_1) | instskip(SKIP_1) | instid1(VALU_DEP_2)
	v_and_or_b32 v8, 0x7f00, v1, 0.5
	v_bfe_i32 v1, v1, 0, 16
	v_dual_add_f32 v8, -0.5, v8 :: v_dual_lshrrev_b32 v7, 4, v3
	v_cmp_gt_u32_e32 vcc_lo, 0x8000000, v3
	s_delay_alu instid0(VALU_DEP_2) | instskip(NEXT) | instid1(VALU_DEP_1)
	v_or_b32_e32 v7, 0x70000000, v7
	v_mul_f32_e32 v7, 0x7800000, v7
	s_delay_alu instid0(VALU_DEP_1) | instskip(NEXT) | instid1(VALU_DEP_1)
	v_cndmask_b32_e32 v3, v7, v8, vcc_lo
	v_and_or_b32 v1, 0x80000000, v1, v3
	s_delay_alu instid0(VALU_DEP_1) | instskip(NEXT) | instid1(VALU_DEP_1)
	v_trunc_f32_e32 v1, v1
	v_mul_f32_e64 v3, 0x2f800000, |v1|
	v_ashrrev_i32_e32 v8, 31, v1
	s_delay_alu instid0(VALU_DEP_2) | instskip(NEXT) | instid1(VALU_DEP_2)
	v_floor_f32_e32 v3, v3
	v_mov_b32_e32 v9, v8
	s_delay_alu instid0(VALU_DEP_2) | instskip(SKIP_1) | instid1(VALU_DEP_2)
	v_fma_f32 v7, 0xcf800000, v3, |v1|
	v_cvt_u32_f32_e32 v1, v3
	v_cvt_u32_f32_e32 v3, v7
	s_delay_alu instid0(VALU_DEP_2) | instskip(NEXT) | instid1(VALU_DEP_2)
	v_xor_b32_e32 v17, v1, v8
	v_xor_b32_e32 v16, v3, v8
	s_delay_alu instid0(VALU_DEP_1)
	v_sub_nc_u64_e32 v[8:9], v[16:17], v[8:9]
.LBB127_209:
	s_mov_b32 s1, 0
	s_mov_b32 s46, -1
.LBB127_210:
	s_and_not1_b32 vcc_lo, exec_lo, s1
	s_cbranch_vccnz .LBB127_223
; %bb.211:
	s_cmp_gt_i32 s35, 14
	s_cbranch_scc0 .LBB127_214
; %bb.212:
	s_cmp_eq_u32 s35, 15
	s_cbranch_scc0 .LBB127_217
; %bb.213:
	global_load_u16 v1, v[14:15], off
	s_mov_b32 s46, -1
	s_mov_b32 s45, 0
	s_wait_loadcnt 0x0
	v_lshlrev_b32_e32 v1, 16, v1
	s_delay_alu instid0(VALU_DEP_1) | instskip(NEXT) | instid1(VALU_DEP_1)
	v_trunc_f32_e32 v1, v1
	v_mul_f32_e64 v3, 0x2f800000, |v1|
	v_ashrrev_i32_e32 v8, 31, v1
	s_delay_alu instid0(VALU_DEP_2) | instskip(NEXT) | instid1(VALU_DEP_2)
	v_floor_f32_e32 v3, v3
	v_mov_b32_e32 v9, v8
	s_delay_alu instid0(VALU_DEP_2) | instskip(SKIP_1) | instid1(VALU_DEP_2)
	v_fma_f32 v7, 0xcf800000, v3, |v1|
	v_cvt_u32_f32_e32 v1, v3
	v_cvt_u32_f32_e32 v3, v7
	s_delay_alu instid0(VALU_DEP_2) | instskip(NEXT) | instid1(VALU_DEP_2)
	v_xor_b32_e32 v17, v1, v8
	v_xor_b32_e32 v16, v3, v8
	s_delay_alu instid0(VALU_DEP_1)
	v_sub_nc_u64_e32 v[8:9], v[16:17], v[8:9]
	s_branch .LBB127_218
.LBB127_214:
	s_mov_b32 s1, -1
                                        ; implicit-def: $vgpr8_vgpr9
	s_branch .LBB127_219
.LBB127_215:
	s_and_not1_saveexec_b32 s1, s1
	s_cbranch_execz .LBB127_196
.LBB127_216:
	v_cmp_ne_u16_e32 vcc_lo, 0, v1
	s_and_not1_b32 s36, s46, exec_lo
	s_and_b32 s37, vcc_lo, exec_lo
	s_delay_alu instid0(SALU_CYCLE_1)
	s_or_b32 s46, s36, s37
	s_or_b32 exec_lo, exec_lo, s1
	v_mov_b64_e32 v[8:9], 0
	s_and_saveexec_b32 s1, s46
	s_cbranch_execnz .LBB127_197
	s_branch .LBB127_198
.LBB127_217:
	s_mov_b32 s45, -1
                                        ; implicit-def: $vgpr8_vgpr9
.LBB127_218:
	s_mov_b32 s1, 0
.LBB127_219:
	s_delay_alu instid0(SALU_CYCLE_1)
	s_and_b32 vcc_lo, exec_lo, s1
	s_cbranch_vccz .LBB127_223
; %bb.220:
	s_cmp_eq_u32 s35, 11
	s_cbranch_scc0 .LBB127_222
; %bb.221:
	global_load_u8 v1, v[14:15], off
	s_mov_b32 s45, 0
	s_mov_b32 s46, -1
	s_wait_loadcnt 0x1
	v_mov_b32_e32 v9, s45
	s_wait_loadcnt 0x0
	v_cmp_ne_u16_e32 vcc_lo, 0, v1
	v_cndmask_b32_e64 v8, 0, 1, vcc_lo
	s_branch .LBB127_223
.LBB127_222:
	s_mov_b32 s45, -1
                                        ; implicit-def: $vgpr8_vgpr9
.LBB127_223:
	s_branch .LBB127_31
.LBB127_224:
	s_and_b32 s0, 0xffff, s0
	s_delay_alu instid0(SALU_CYCLE_1)
	s_cmp_lt_i32 s0, 5
	s_cbranch_scc1 .LBB127_229
; %bb.225:
	s_cmp_lt_i32 s0, 8
	s_cbranch_scc1 .LBB127_230
; %bb.226:
	;; [unrolled: 3-line block ×3, first 2 shown]
	s_cmp_gt_i32 s0, 9
	s_cbranch_scc0 .LBB127_232
; %bb.228:
	s_wait_loadcnt 0x0
	global_load_b64 v[8:9], v[14:15], off
	s_mov_b32 s1, 0
	s_wait_loadcnt 0x0
	v_trunc_f64_e32 v[8:9], v[8:9]
	s_delay_alu instid0(VALU_DEP_1) | instskip(NEXT) | instid1(VALU_DEP_1)
	v_ldexp_f64 v[16:17], v[8:9], 0xffffffe0
	v_floor_f64_e32 v[16:17], v[16:17]
	s_delay_alu instid0(VALU_DEP_1) | instskip(SKIP_1) | instid1(VALU_DEP_2)
	v_fmamk_f64 v[18:19], v[16:17], 0xc1f00000, v[8:9]
	v_cvt_i32_f64_e32 v9, v[16:17]
	v_cvt_u32_f64_e32 v8, v[18:19]
	s_branch .LBB127_233
.LBB127_229:
	s_mov_b32 s1, -1
                                        ; implicit-def: $vgpr8_vgpr9
	s_branch .LBB127_251
.LBB127_230:
	s_mov_b32 s1, -1
                                        ; implicit-def: $vgpr8_vgpr9
	s_branch .LBB127_239
.LBB127_231:
	s_mov_b32 s1, -1
                                        ; implicit-def: $vgpr8_vgpr9
	s_branch .LBB127_236
.LBB127_232:
	s_mov_b32 s1, -1
                                        ; implicit-def: $vgpr8_vgpr9
.LBB127_233:
	s_delay_alu instid0(SALU_CYCLE_1)
	s_and_not1_b32 vcc_lo, exec_lo, s1
	s_cbranch_vccnz .LBB127_235
; %bb.234:
	global_load_b32 v1, v[14:15], off
	s_wait_loadcnt 0x0
	v_trunc_f32_e32 v1, v1
	s_delay_alu instid0(VALU_DEP_1) | instskip(SKIP_1) | instid1(VALU_DEP_2)
	v_mul_f32_e64 v3, 0x2f800000, |v1|
	v_ashrrev_i32_e32 v8, 31, v1
	v_floor_f32_e32 v3, v3
	s_delay_alu instid0(VALU_DEP_1) | instskip(SKIP_1) | instid1(VALU_DEP_4)
	v_fma_f32 v7, 0xcf800000, v3, |v1|
	v_cvt_u32_f32_e32 v1, v3
	v_mov_b32_e32 v9, v8
	s_delay_alu instid0(VALU_DEP_3) | instskip(NEXT) | instid1(VALU_DEP_3)
	v_cvt_u32_f32_e32 v3, v7
	v_xor_b32_e32 v17, v1, v8
	s_delay_alu instid0(VALU_DEP_2) | instskip(NEXT) | instid1(VALU_DEP_1)
	v_xor_b32_e32 v16, v3, v8
	v_sub_nc_u64_e32 v[8:9], v[16:17], v[8:9]
.LBB127_235:
	s_mov_b32 s1, 0
.LBB127_236:
	s_delay_alu instid0(SALU_CYCLE_1)
	s_and_not1_b32 vcc_lo, exec_lo, s1
	s_cbranch_vccnz .LBB127_238
; %bb.237:
	global_load_b32 v1, v[14:15], off
	s_wait_loadcnt 0x0
	v_cvt_f32_f16_e32 v1, v1
	s_delay_alu instid0(VALU_DEP_1) | instskip(NEXT) | instid1(VALU_DEP_1)
	v_cvt_i32_f32_e32 v8, v1
	v_ashrrev_i32_e32 v9, 31, v8
.LBB127_238:
	s_mov_b32 s1, 0
.LBB127_239:
	s_delay_alu instid0(SALU_CYCLE_1)
	s_and_not1_b32 vcc_lo, exec_lo, s1
	s_cbranch_vccnz .LBB127_250
; %bb.240:
	s_cmp_lt_i32 s0, 6
	s_cbranch_scc1 .LBB127_243
; %bb.241:
	s_cmp_gt_i32 s0, 6
	s_cbranch_scc0 .LBB127_244
; %bb.242:
	s_wait_loadcnt 0x0
	global_load_b64 v[8:9], v[14:15], off
	s_mov_b32 s1, 0
	s_wait_loadcnt 0x0
	v_trunc_f64_e32 v[8:9], v[8:9]
	s_delay_alu instid0(VALU_DEP_1) | instskip(NEXT) | instid1(VALU_DEP_1)
	v_ldexp_f64 v[16:17], v[8:9], 0xffffffe0
	v_floor_f64_e32 v[16:17], v[16:17]
	s_delay_alu instid0(VALU_DEP_1) | instskip(SKIP_1) | instid1(VALU_DEP_2)
	v_fmamk_f64 v[18:19], v[16:17], 0xc1f00000, v[8:9]
	v_cvt_i32_f64_e32 v9, v[16:17]
	v_cvt_u32_f64_e32 v8, v[18:19]
	s_branch .LBB127_245
.LBB127_243:
	s_mov_b32 s1, -1
                                        ; implicit-def: $vgpr8_vgpr9
	s_branch .LBB127_248
.LBB127_244:
	s_mov_b32 s1, -1
                                        ; implicit-def: $vgpr8_vgpr9
.LBB127_245:
	s_delay_alu instid0(SALU_CYCLE_1)
	s_and_not1_b32 vcc_lo, exec_lo, s1
	s_cbranch_vccnz .LBB127_247
; %bb.246:
	global_load_b32 v1, v[14:15], off
	s_wait_loadcnt 0x0
	v_trunc_f32_e32 v1, v1
	s_delay_alu instid0(VALU_DEP_1) | instskip(SKIP_1) | instid1(VALU_DEP_2)
	v_mul_f32_e64 v3, 0x2f800000, |v1|
	v_ashrrev_i32_e32 v8, 31, v1
	v_floor_f32_e32 v3, v3
	s_delay_alu instid0(VALU_DEP_1) | instskip(SKIP_1) | instid1(VALU_DEP_4)
	v_fma_f32 v7, 0xcf800000, v3, |v1|
	v_cvt_u32_f32_e32 v1, v3
	v_mov_b32_e32 v9, v8
	s_delay_alu instid0(VALU_DEP_3) | instskip(NEXT) | instid1(VALU_DEP_3)
	v_cvt_u32_f32_e32 v3, v7
	v_xor_b32_e32 v17, v1, v8
	s_delay_alu instid0(VALU_DEP_2) | instskip(NEXT) | instid1(VALU_DEP_1)
	v_xor_b32_e32 v16, v3, v8
	v_sub_nc_u64_e32 v[8:9], v[16:17], v[8:9]
.LBB127_247:
	s_mov_b32 s1, 0
.LBB127_248:
	s_delay_alu instid0(SALU_CYCLE_1)
	s_and_not1_b32 vcc_lo, exec_lo, s1
	s_cbranch_vccnz .LBB127_250
; %bb.249:
	global_load_u16 v1, v[14:15], off
	s_wait_loadcnt 0x0
	v_cvt_f32_f16_e32 v1, v1
	s_delay_alu instid0(VALU_DEP_1) | instskip(NEXT) | instid1(VALU_DEP_1)
	v_cvt_i32_f32_e32 v8, v1
	v_ashrrev_i32_e32 v9, 31, v8
.LBB127_250:
	s_mov_b32 s1, 0
.LBB127_251:
	s_delay_alu instid0(SALU_CYCLE_1)
	s_and_not1_b32 vcc_lo, exec_lo, s1
	s_cbranch_vccnz .LBB127_271
; %bb.252:
	s_cmp_lt_i32 s0, 2
	s_cbranch_scc1 .LBB127_256
; %bb.253:
	s_cmp_lt_i32 s0, 3
	s_cbranch_scc1 .LBB127_257
; %bb.254:
	s_cmp_gt_i32 s0, 3
	s_cbranch_scc0 .LBB127_258
; %bb.255:
	s_wait_loadcnt 0x0
	global_load_b64 v[8:9], v[14:15], off
	s_mov_b32 s1, 0
	s_branch .LBB127_259
.LBB127_256:
	s_mov_b32 s1, -1
                                        ; implicit-def: $vgpr8_vgpr9
	s_branch .LBB127_265
.LBB127_257:
	s_mov_b32 s1, -1
                                        ; implicit-def: $vgpr8_vgpr9
	s_branch .LBB127_262
.LBB127_258:
	s_mov_b32 s1, -1
                                        ; implicit-def: $vgpr8_vgpr9
.LBB127_259:
	s_delay_alu instid0(SALU_CYCLE_1)
	s_and_not1_b32 vcc_lo, exec_lo, s1
	s_cbranch_vccnz .LBB127_261
; %bb.260:
	s_wait_loadcnt 0x0
	global_load_b32 v8, v[14:15], off
	s_wait_loadcnt 0x0
	v_ashrrev_i32_e32 v9, 31, v8
.LBB127_261:
	s_mov_b32 s1, 0
.LBB127_262:
	s_delay_alu instid0(SALU_CYCLE_1)
	s_and_not1_b32 vcc_lo, exec_lo, s1
	s_cbranch_vccnz .LBB127_264
; %bb.263:
	global_load_u16 v1, v[14:15], off
	s_wait_loadcnt 0x0
	v_bfe_i32 v8, v1, 0, 16
	s_delay_alu instid0(VALU_DEP_1)
	v_ashrrev_i32_e32 v9, 31, v8
.LBB127_264:
	s_mov_b32 s1, 0
.LBB127_265:
	s_delay_alu instid0(SALU_CYCLE_1)
	s_and_not1_b32 vcc_lo, exec_lo, s1
	s_cbranch_vccnz .LBB127_271
; %bb.266:
	s_cmp_gt_i32 s0, 0
	s_mov_b32 s0, 0
	s_cbranch_scc0 .LBB127_268
; %bb.267:
	global_load_i8 v1, v[14:15], off
	s_wait_loadcnt 0x0
	v_bfe_i32 v8, v1, 0, 16
	s_delay_alu instid0(VALU_DEP_1)
	v_ashrrev_i32_e32 v9, 31, v8
	s_branch .LBB127_269
.LBB127_268:
	s_mov_b32 s0, -1
                                        ; implicit-def: $vgpr8_vgpr9
.LBB127_269:
	s_delay_alu instid0(SALU_CYCLE_1)
	s_and_not1_b32 vcc_lo, exec_lo, s0
	s_cbranch_vccnz .LBB127_271
; %bb.270:
	global_load_u8 v1, v[14:15], off
	s_mov_b32 s0, 0
	s_wait_loadcnt 0x1
	v_mov_b32_e32 v9, s0
	s_wait_loadcnt 0x0
	v_and_b32_e32 v8, 0xffff, v1
.LBB127_271:
	s_branch .LBB127_32
.LBB127_272:
	s_mov_b32 s0, 0
	s_mov_b32 s1, 0
	;; [unrolled: 1-line block ×9, first 2 shown]
	s_branch .LBB127_520
.LBB127_273:
	s_mov_b32 s46, -1
.LBB127_274:
	s_mov_b32 s47, 0
                                        ; implicit-def: $vgpr12_vgpr13
.LBB127_275:
	s_and_b32 vcc_lo, exec_lo, s1
	s_cbranch_vccz .LBB127_279
; %bb.276:
	s_cmp_eq_u32 s35, 44
	s_cbranch_scc0 .LBB127_278
; %bb.277:
	global_load_u8 v1, v[14:15], off
	s_mov_b32 s46, 0
	s_mov_b32 s47, -1
	s_wait_loadcnt 0x0
	v_lshlrev_b32_e32 v3, 23, v1
	v_cmp_ne_u32_e32 vcc_lo, 0, v1
	s_delay_alu instid0(VALU_DEP_2) | instskip(NEXT) | instid1(VALU_DEP_1)
	v_trunc_f32_e32 v3, v3
	v_mul_f32_e64 v7, 0x2f800000, |v3|
	v_ashrrev_i32_e32 v12, 31, v3
	s_delay_alu instid0(VALU_DEP_2) | instskip(NEXT) | instid1(VALU_DEP_2)
	v_floor_f32_e32 v7, v7
	v_mov_b32_e32 v13, v12
	s_delay_alu instid0(VALU_DEP_2) | instskip(SKIP_1) | instid1(VALU_DEP_2)
	v_fma_f32 v11, 0xcf800000, v7, |v3|
	v_cvt_u32_f32_e32 v3, v7
	v_cvt_u32_f32_e32 v7, v11
	s_delay_alu instid0(VALU_DEP_2) | instskip(NEXT) | instid1(VALU_DEP_2)
	v_xor_b32_e32 v17, v3, v12
	v_xor_b32_e32 v16, v7, v12
	s_delay_alu instid0(VALU_DEP_1) | instskip(NEXT) | instid1(VALU_DEP_1)
	v_sub_nc_u64_e32 v[12:13], v[16:17], v[12:13]
	v_dual_cndmask_b32 v13, 0, v13 :: v_dual_cndmask_b32 v12, 0, v12
	s_branch .LBB127_279
.LBB127_278:
	s_mov_b32 s46, -1
                                        ; implicit-def: $vgpr12_vgpr13
.LBB127_279:
	s_mov_b32 s1, 0
.LBB127_280:
	s_delay_alu instid0(SALU_CYCLE_1)
	s_and_b32 vcc_lo, exec_lo, s1
	s_cbranch_vccz .LBB127_284
; %bb.281:
	s_cmp_eq_u32 s35, 29
	s_cbranch_scc0 .LBB127_283
; %bb.282:
	global_load_b64 v[12:13], v[14:15], off
	s_mov_b32 s47, -1
	s_mov_b32 s46, 0
	s_branch .LBB127_284
.LBB127_283:
	s_mov_b32 s46, -1
                                        ; implicit-def: $vgpr12_vgpr13
.LBB127_284:
	s_mov_b32 s1, 0
.LBB127_285:
	s_delay_alu instid0(SALU_CYCLE_1)
	s_and_b32 vcc_lo, exec_lo, s1
	s_cbranch_vccz .LBB127_301
; %bb.286:
	s_cmp_lt_i32 s35, 27
	s_cbranch_scc1 .LBB127_289
; %bb.287:
	s_cmp_gt_i32 s35, 27
	s_cbranch_scc0 .LBB127_290
; %bb.288:
	s_wait_loadcnt 0x0
	global_load_b32 v12, v[14:15], off
	v_mov_b32_e32 v13, 0
	s_mov_b32 s1, 0
	s_branch .LBB127_291
.LBB127_289:
	s_mov_b32 s1, -1
                                        ; implicit-def: $vgpr12_vgpr13
	s_branch .LBB127_294
.LBB127_290:
	s_mov_b32 s1, -1
                                        ; implicit-def: $vgpr12_vgpr13
.LBB127_291:
	s_delay_alu instid0(SALU_CYCLE_1)
	s_and_not1_b32 vcc_lo, exec_lo, s1
	s_cbranch_vccnz .LBB127_293
; %bb.292:
	global_load_u16 v1, v[14:15], off
	s_mov_b32 s1, 0
	s_wait_loadcnt 0x1
	v_mov_b32_e32 v13, s1
	s_wait_loadcnt 0x0
	v_and_b32_e32 v12, 0xffff, v1
.LBB127_293:
	s_mov_b32 s1, 0
.LBB127_294:
	s_delay_alu instid0(SALU_CYCLE_1)
	s_and_not1_b32 vcc_lo, exec_lo, s1
	s_cbranch_vccnz .LBB127_300
; %bb.295:
	global_load_u8 v1, v[14:15], off
	s_mov_b32 s47, 0
	s_mov_b32 s1, exec_lo
	s_wait_loadcnt 0x0
	v_cmpx_lt_i16_e32 0x7f, v1
	s_xor_b32 s1, exec_lo, s1
	s_cbranch_execz .LBB127_312
; %bb.296:
	v_cmp_ne_u16_e32 vcc_lo, 0x80, v1
	s_and_b32 s47, vcc_lo, exec_lo
	s_and_not1_saveexec_b32 s1, s1
	s_cbranch_execnz .LBB127_313
.LBB127_297:
	s_or_b32 exec_lo, exec_lo, s1
	v_mov_b64_e32 v[12:13], 0
	s_and_saveexec_b32 s1, s47
	s_cbranch_execz .LBB127_299
.LBB127_298:
	v_and_b32_e32 v3, 0xffff, v1
	s_delay_alu instid0(VALU_DEP_1) | instskip(SKIP_1) | instid1(VALU_DEP_2)
	v_dual_lshlrev_b32 v1, 24, v1 :: v_dual_bitop2_b32 v7, 7, v3 bitop3:0x40
	v_bfe_u32 v13, v3, 3, 4
	v_and_b32_e32 v1, 0x80000000, v1
	s_delay_alu instid0(VALU_DEP_3) | instskip(NEXT) | instid1(VALU_DEP_3)
	v_clz_i32_u32_e32 v11, v7
	v_cmp_eq_u32_e32 vcc_lo, 0, v13
	s_delay_alu instid0(VALU_DEP_2) | instskip(NEXT) | instid1(VALU_DEP_1)
	v_min_u32_e32 v11, 32, v11
	v_subrev_nc_u32_e32 v12, 28, v11
	v_sub_nc_u32_e32 v11, 29, v11
	s_delay_alu instid0(VALU_DEP_2) | instskip(NEXT) | instid1(VALU_DEP_2)
	v_lshlrev_b32_e32 v3, v12, v3
	v_cndmask_b32_e32 v11, v13, v11, vcc_lo
	s_delay_alu instid0(VALU_DEP_2) | instskip(NEXT) | instid1(VALU_DEP_1)
	v_and_b32_e32 v3, 7, v3
	v_cndmask_b32_e32 v3, v7, v3, vcc_lo
	s_delay_alu instid0(VALU_DEP_3) | instskip(NEXT) | instid1(VALU_DEP_2)
	v_lshl_add_u32 v7, v11, 23, 0x3b800000
	v_lshlrev_b32_e32 v3, 20, v3
	s_delay_alu instid0(VALU_DEP_1) | instskip(NEXT) | instid1(VALU_DEP_1)
	v_or3_b32 v1, v1, v7, v3
	v_trunc_f32_e32 v1, v1
	s_delay_alu instid0(VALU_DEP_1) | instskip(SKIP_1) | instid1(VALU_DEP_2)
	v_mul_f32_e64 v3, 0x2f800000, |v1|
	v_ashrrev_i32_e32 v12, 31, v1
	v_floor_f32_e32 v3, v3
	s_delay_alu instid0(VALU_DEP_2) | instskip(NEXT) | instid1(VALU_DEP_2)
	v_mov_b32_e32 v13, v12
	v_fma_f32 v7, 0xcf800000, v3, |v1|
	v_cvt_u32_f32_e32 v1, v3
	s_delay_alu instid0(VALU_DEP_2) | instskip(NEXT) | instid1(VALU_DEP_2)
	v_cvt_u32_f32_e32 v3, v7
	v_xor_b32_e32 v17, v1, v12
	s_delay_alu instid0(VALU_DEP_2) | instskip(NEXT) | instid1(VALU_DEP_1)
	v_xor_b32_e32 v16, v3, v12
	v_sub_nc_u64_e32 v[12:13], v[16:17], v[12:13]
.LBB127_299:
	s_or_b32 exec_lo, exec_lo, s1
.LBB127_300:
	s_mov_b32 s47, -1
.LBB127_301:
	s_mov_b32 s1, 0
.LBB127_302:
	s_delay_alu instid0(SALU_CYCLE_1)
	s_and_b32 vcc_lo, exec_lo, s1
	s_cbranch_vccz .LBB127_335
; %bb.303:
	s_cmp_gt_i32 s35, 22
	s_cbranch_scc0 .LBB127_311
; %bb.304:
	s_cmp_lt_i32 s35, 24
	s_cbranch_scc1 .LBB127_314
; %bb.305:
	s_cmp_gt_i32 s35, 24
	s_cbranch_scc0 .LBB127_315
; %bb.306:
	global_load_u8 v1, v[14:15], off
	s_mov_b32 s47, 0
	s_mov_b32 s1, exec_lo
	s_wait_loadcnt 0x0
	v_cmpx_lt_i16_e32 0x7f, v1
	s_xor_b32 s1, exec_lo, s1
	s_cbranch_execz .LBB127_327
; %bb.307:
	v_cmp_ne_u16_e32 vcc_lo, 0x80, v1
	s_and_b32 s47, vcc_lo, exec_lo
	s_and_not1_saveexec_b32 s1, s1
	s_cbranch_execnz .LBB127_328
.LBB127_308:
	s_or_b32 exec_lo, exec_lo, s1
	v_mov_b64_e32 v[12:13], 0
	s_and_saveexec_b32 s1, s47
	s_cbranch_execz .LBB127_310
.LBB127_309:
	v_and_b32_e32 v3, 0xffff, v1
	s_delay_alu instid0(VALU_DEP_1) | instskip(SKIP_1) | instid1(VALU_DEP_2)
	v_dual_lshlrev_b32 v1, 24, v1 :: v_dual_bitop2_b32 v7, 3, v3 bitop3:0x40
	v_bfe_u32 v13, v3, 2, 5
	v_and_b32_e32 v1, 0x80000000, v1
	s_delay_alu instid0(VALU_DEP_3) | instskip(NEXT) | instid1(VALU_DEP_3)
	v_clz_i32_u32_e32 v11, v7
	v_cmp_eq_u32_e32 vcc_lo, 0, v13
	s_delay_alu instid0(VALU_DEP_2) | instskip(NEXT) | instid1(VALU_DEP_1)
	v_min_u32_e32 v11, 32, v11
	v_subrev_nc_u32_e32 v12, 29, v11
	v_sub_nc_u32_e32 v11, 30, v11
	s_delay_alu instid0(VALU_DEP_2) | instskip(NEXT) | instid1(VALU_DEP_2)
	v_lshlrev_b32_e32 v3, v12, v3
	v_cndmask_b32_e32 v11, v13, v11, vcc_lo
	s_delay_alu instid0(VALU_DEP_2) | instskip(NEXT) | instid1(VALU_DEP_1)
	v_and_b32_e32 v3, 3, v3
	v_cndmask_b32_e32 v3, v7, v3, vcc_lo
	s_delay_alu instid0(VALU_DEP_3) | instskip(NEXT) | instid1(VALU_DEP_2)
	v_lshl_add_u32 v7, v11, 23, 0x37800000
	v_lshlrev_b32_e32 v3, 21, v3
	s_delay_alu instid0(VALU_DEP_1) | instskip(NEXT) | instid1(VALU_DEP_1)
	v_or3_b32 v1, v1, v7, v3
	v_trunc_f32_e32 v1, v1
	s_delay_alu instid0(VALU_DEP_1) | instskip(SKIP_1) | instid1(VALU_DEP_2)
	v_mul_f32_e64 v3, 0x2f800000, |v1|
	v_ashrrev_i32_e32 v12, 31, v1
	v_floor_f32_e32 v3, v3
	s_delay_alu instid0(VALU_DEP_2) | instskip(NEXT) | instid1(VALU_DEP_2)
	v_mov_b32_e32 v13, v12
	v_fma_f32 v7, 0xcf800000, v3, |v1|
	v_cvt_u32_f32_e32 v1, v3
	s_delay_alu instid0(VALU_DEP_2) | instskip(NEXT) | instid1(VALU_DEP_2)
	v_cvt_u32_f32_e32 v3, v7
	v_xor_b32_e32 v17, v1, v12
	s_delay_alu instid0(VALU_DEP_2) | instskip(NEXT) | instid1(VALU_DEP_1)
	v_xor_b32_e32 v16, v3, v12
	v_sub_nc_u64_e32 v[12:13], v[16:17], v[12:13]
.LBB127_310:
	s_or_b32 exec_lo, exec_lo, s1
	s_mov_b32 s1, 0
	s_branch .LBB127_316
.LBB127_311:
	s_mov_b32 s1, -1
                                        ; implicit-def: $vgpr12_vgpr13
	s_branch .LBB127_322
.LBB127_312:
	s_and_not1_saveexec_b32 s1, s1
	s_cbranch_execz .LBB127_297
.LBB127_313:
	v_cmp_ne_u16_e32 vcc_lo, 0, v1
	s_and_not1_b32 s36, s47, exec_lo
	s_and_b32 s37, vcc_lo, exec_lo
	s_delay_alu instid0(SALU_CYCLE_1)
	s_or_b32 s47, s36, s37
	s_or_b32 exec_lo, exec_lo, s1
	v_mov_b64_e32 v[12:13], 0
	s_and_saveexec_b32 s1, s47
	s_cbranch_execnz .LBB127_298
	s_branch .LBB127_299
.LBB127_314:
	s_mov_b32 s1, -1
                                        ; implicit-def: $vgpr12_vgpr13
	s_branch .LBB127_319
.LBB127_315:
	s_mov_b32 s1, -1
                                        ; implicit-def: $vgpr12_vgpr13
.LBB127_316:
	s_delay_alu instid0(SALU_CYCLE_1)
	s_and_b32 vcc_lo, exec_lo, s1
	s_cbranch_vccz .LBB127_318
; %bb.317:
	global_load_u8 v1, v[14:15], off
	s_wait_loadcnt 0x0
	v_lshlrev_b32_e32 v1, 24, v1
	s_delay_alu instid0(VALU_DEP_1) | instskip(NEXT) | instid1(VALU_DEP_1)
	v_and_b32_e32 v3, 0x7f000000, v1
	v_clz_i32_u32_e32 v7, v3
	v_add_nc_u32_e32 v12, 0x1000000, v3
	v_cmp_ne_u32_e32 vcc_lo, 0, v3
	s_delay_alu instid0(VALU_DEP_3) | instskip(NEXT) | instid1(VALU_DEP_1)
	v_min_u32_e32 v7, 32, v7
	v_sub_nc_u32_e64 v7, v7, 4 clamp
	s_delay_alu instid0(VALU_DEP_1) | instskip(SKIP_1) | instid1(VALU_DEP_2)
	v_lshlrev_b32_e32 v11, v7, v3
	v_lshlrev_b32_e32 v7, 23, v7
	v_lshrrev_b32_e32 v11, 4, v11
	s_delay_alu instid0(VALU_DEP_1) | instskip(NEXT) | instid1(VALU_DEP_1)
	v_dual_sub_nc_u32 v7, v11, v7 :: v_dual_ashrrev_i32 v11, 8, v12
	v_add_nc_u32_e32 v7, 0x3c000000, v7
	s_delay_alu instid0(VALU_DEP_1) | instskip(NEXT) | instid1(VALU_DEP_1)
	v_and_or_b32 v7, 0x7f800000, v11, v7
	v_cndmask_b32_e32 v3, 0, v7, vcc_lo
	s_delay_alu instid0(VALU_DEP_1) | instskip(NEXT) | instid1(VALU_DEP_1)
	v_and_or_b32 v1, 0x80000000, v1, v3
	v_trunc_f32_e32 v1, v1
	s_delay_alu instid0(VALU_DEP_1) | instskip(SKIP_1) | instid1(VALU_DEP_2)
	v_mul_f32_e64 v3, 0x2f800000, |v1|
	v_ashrrev_i32_e32 v12, 31, v1
	v_floor_f32_e32 v3, v3
	s_delay_alu instid0(VALU_DEP_2) | instskip(NEXT) | instid1(VALU_DEP_2)
	v_mov_b32_e32 v13, v12
	v_fma_f32 v7, 0xcf800000, v3, |v1|
	v_cvt_u32_f32_e32 v1, v3
	s_delay_alu instid0(VALU_DEP_2) | instskip(NEXT) | instid1(VALU_DEP_2)
	v_cvt_u32_f32_e32 v3, v7
	v_xor_b32_e32 v17, v1, v12
	s_delay_alu instid0(VALU_DEP_2) | instskip(NEXT) | instid1(VALU_DEP_1)
	v_xor_b32_e32 v16, v3, v12
	v_sub_nc_u64_e32 v[12:13], v[16:17], v[12:13]
.LBB127_318:
	s_mov_b32 s1, 0
.LBB127_319:
	s_delay_alu instid0(SALU_CYCLE_1)
	s_and_not1_b32 vcc_lo, exec_lo, s1
	s_cbranch_vccnz .LBB127_321
; %bb.320:
	global_load_u8 v1, v[14:15], off
	s_wait_loadcnt 0x0
	v_lshlrev_b32_e32 v3, 25, v1
	v_lshlrev_b16 v1, 8, v1
	s_delay_alu instid0(VALU_DEP_1) | instskip(SKIP_1) | instid1(VALU_DEP_2)
	v_and_or_b32 v11, 0x7f00, v1, 0.5
	v_bfe_i32 v1, v1, 0, 16
	v_add_f32_e32 v11, -0.5, v11
	v_lshrrev_b32_e32 v7, 4, v3
	v_cmp_gt_u32_e32 vcc_lo, 0x8000000, v3
	s_delay_alu instid0(VALU_DEP_2) | instskip(NEXT) | instid1(VALU_DEP_1)
	v_or_b32_e32 v7, 0x70000000, v7
	v_mul_f32_e32 v7, 0x7800000, v7
	s_delay_alu instid0(VALU_DEP_1) | instskip(NEXT) | instid1(VALU_DEP_1)
	v_cndmask_b32_e32 v3, v7, v11, vcc_lo
	v_and_or_b32 v1, 0x80000000, v1, v3
	s_delay_alu instid0(VALU_DEP_1) | instskip(NEXT) | instid1(VALU_DEP_1)
	v_trunc_f32_e32 v1, v1
	v_mul_f32_e64 v3, 0x2f800000, |v1|
	v_ashrrev_i32_e32 v12, 31, v1
	s_delay_alu instid0(VALU_DEP_2) | instskip(NEXT) | instid1(VALU_DEP_2)
	v_floor_f32_e32 v3, v3
	v_mov_b32_e32 v13, v12
	s_delay_alu instid0(VALU_DEP_2) | instskip(SKIP_1) | instid1(VALU_DEP_2)
	v_fma_f32 v7, 0xcf800000, v3, |v1|
	v_cvt_u32_f32_e32 v1, v3
	v_cvt_u32_f32_e32 v3, v7
	s_delay_alu instid0(VALU_DEP_2) | instskip(NEXT) | instid1(VALU_DEP_2)
	v_xor_b32_e32 v17, v1, v12
	v_xor_b32_e32 v16, v3, v12
	s_delay_alu instid0(VALU_DEP_1)
	v_sub_nc_u64_e32 v[12:13], v[16:17], v[12:13]
.LBB127_321:
	s_mov_b32 s1, 0
	s_mov_b32 s47, -1
.LBB127_322:
	s_and_not1_b32 vcc_lo, exec_lo, s1
	s_cbranch_vccnz .LBB127_335
; %bb.323:
	s_cmp_gt_i32 s35, 14
	s_cbranch_scc0 .LBB127_326
; %bb.324:
	s_cmp_eq_u32 s35, 15
	s_cbranch_scc0 .LBB127_329
; %bb.325:
	global_load_u16 v1, v[14:15], off
	s_mov_b32 s47, -1
	s_mov_b32 s46, 0
	s_wait_loadcnt 0x0
	v_lshlrev_b32_e32 v1, 16, v1
	s_delay_alu instid0(VALU_DEP_1) | instskip(NEXT) | instid1(VALU_DEP_1)
	v_trunc_f32_e32 v1, v1
	v_mul_f32_e64 v3, 0x2f800000, |v1|
	v_ashrrev_i32_e32 v12, 31, v1
	s_delay_alu instid0(VALU_DEP_2) | instskip(NEXT) | instid1(VALU_DEP_2)
	v_floor_f32_e32 v3, v3
	v_mov_b32_e32 v13, v12
	s_delay_alu instid0(VALU_DEP_2) | instskip(SKIP_1) | instid1(VALU_DEP_2)
	v_fma_f32 v7, 0xcf800000, v3, |v1|
	v_cvt_u32_f32_e32 v1, v3
	v_cvt_u32_f32_e32 v3, v7
	s_delay_alu instid0(VALU_DEP_2) | instskip(NEXT) | instid1(VALU_DEP_2)
	v_xor_b32_e32 v17, v1, v12
	v_xor_b32_e32 v16, v3, v12
	s_delay_alu instid0(VALU_DEP_1)
	v_sub_nc_u64_e32 v[12:13], v[16:17], v[12:13]
	s_branch .LBB127_330
.LBB127_326:
	s_mov_b32 s1, -1
                                        ; implicit-def: $vgpr12_vgpr13
	s_branch .LBB127_331
.LBB127_327:
	s_and_not1_saveexec_b32 s1, s1
	s_cbranch_execz .LBB127_308
.LBB127_328:
	v_cmp_ne_u16_e32 vcc_lo, 0, v1
	s_and_not1_b32 s36, s47, exec_lo
	s_and_b32 s37, vcc_lo, exec_lo
	s_delay_alu instid0(SALU_CYCLE_1)
	s_or_b32 s47, s36, s37
	s_or_b32 exec_lo, exec_lo, s1
	v_mov_b64_e32 v[12:13], 0
	s_and_saveexec_b32 s1, s47
	s_cbranch_execnz .LBB127_309
	s_branch .LBB127_310
.LBB127_329:
	s_mov_b32 s46, -1
                                        ; implicit-def: $vgpr12_vgpr13
.LBB127_330:
	s_mov_b32 s1, 0
.LBB127_331:
	s_delay_alu instid0(SALU_CYCLE_1)
	s_and_b32 vcc_lo, exec_lo, s1
	s_cbranch_vccz .LBB127_335
; %bb.332:
	s_cmp_eq_u32 s35, 11
	s_cbranch_scc0 .LBB127_334
; %bb.333:
	global_load_u8 v1, v[14:15], off
	s_mov_b32 s46, 0
	s_mov_b32 s47, -1
	s_wait_loadcnt 0x1
	v_mov_b32_e32 v13, s46
	s_wait_loadcnt 0x0
	v_cmp_ne_u16_e32 vcc_lo, 0, v1
	v_cndmask_b32_e64 v12, 0, 1, vcc_lo
	s_branch .LBB127_335
.LBB127_334:
	s_mov_b32 s46, -1
                                        ; implicit-def: $vgpr12_vgpr13
.LBB127_335:
	s_mov_b32 s1, 0
.LBB127_336:
	s_delay_alu instid0(SALU_CYCLE_1)
	s_and_b32 vcc_lo, exec_lo, s1
	s_cbranch_vccz .LBB127_385
; %bb.337:
	s_and_b32 s0, 0xffff, s0
	s_delay_alu instid0(SALU_CYCLE_1)
	s_cmp_lt_i32 s0, 5
	s_cbranch_scc1 .LBB127_342
; %bb.338:
	s_cmp_lt_i32 s0, 8
	s_cbranch_scc1 .LBB127_343
; %bb.339:
	;; [unrolled: 3-line block ×3, first 2 shown]
	s_cmp_gt_i32 s0, 9
	s_cbranch_scc0 .LBB127_345
; %bb.341:
	s_wait_loadcnt 0x0
	global_load_b64 v[12:13], v[14:15], off
	s_mov_b32 s1, 0
	s_wait_loadcnt 0x0
	v_trunc_f64_e32 v[12:13], v[12:13]
	s_delay_alu instid0(VALU_DEP_1) | instskip(NEXT) | instid1(VALU_DEP_1)
	v_ldexp_f64 v[16:17], v[12:13], 0xffffffe0
	v_floor_f64_e32 v[16:17], v[16:17]
	s_delay_alu instid0(VALU_DEP_1) | instskip(SKIP_1) | instid1(VALU_DEP_2)
	v_fmamk_f64 v[18:19], v[16:17], 0xc1f00000, v[12:13]
	v_cvt_i32_f64_e32 v13, v[16:17]
	v_cvt_u32_f64_e32 v12, v[18:19]
	s_branch .LBB127_346
.LBB127_342:
	s_mov_b32 s1, -1
                                        ; implicit-def: $vgpr12_vgpr13
	s_branch .LBB127_364
.LBB127_343:
	s_mov_b32 s1, -1
                                        ; implicit-def: $vgpr12_vgpr13
	s_branch .LBB127_352
.LBB127_344:
	s_mov_b32 s1, -1
                                        ; implicit-def: $vgpr12_vgpr13
	s_branch .LBB127_349
.LBB127_345:
	s_mov_b32 s1, -1
                                        ; implicit-def: $vgpr12_vgpr13
.LBB127_346:
	s_delay_alu instid0(SALU_CYCLE_1)
	s_and_not1_b32 vcc_lo, exec_lo, s1
	s_cbranch_vccnz .LBB127_348
; %bb.347:
	global_load_b32 v1, v[14:15], off
	s_wait_loadcnt 0x0
	v_trunc_f32_e32 v1, v1
	s_delay_alu instid0(VALU_DEP_1) | instskip(SKIP_1) | instid1(VALU_DEP_2)
	v_mul_f32_e64 v3, 0x2f800000, |v1|
	v_ashrrev_i32_e32 v12, 31, v1
	v_floor_f32_e32 v3, v3
	s_delay_alu instid0(VALU_DEP_1) | instskip(SKIP_1) | instid1(VALU_DEP_4)
	v_fma_f32 v7, 0xcf800000, v3, |v1|
	v_cvt_u32_f32_e32 v1, v3
	v_mov_b32_e32 v13, v12
	s_delay_alu instid0(VALU_DEP_3) | instskip(NEXT) | instid1(VALU_DEP_3)
	v_cvt_u32_f32_e32 v3, v7
	v_xor_b32_e32 v17, v1, v12
	s_delay_alu instid0(VALU_DEP_2) | instskip(NEXT) | instid1(VALU_DEP_1)
	v_xor_b32_e32 v16, v3, v12
	v_sub_nc_u64_e32 v[12:13], v[16:17], v[12:13]
.LBB127_348:
	s_mov_b32 s1, 0
.LBB127_349:
	s_delay_alu instid0(SALU_CYCLE_1)
	s_and_not1_b32 vcc_lo, exec_lo, s1
	s_cbranch_vccnz .LBB127_351
; %bb.350:
	global_load_b32 v1, v[14:15], off
	s_wait_loadcnt 0x0
	v_cvt_f32_f16_e32 v1, v1
	s_delay_alu instid0(VALU_DEP_1) | instskip(NEXT) | instid1(VALU_DEP_1)
	v_cvt_i32_f32_e32 v12, v1
	v_ashrrev_i32_e32 v13, 31, v12
.LBB127_351:
	s_mov_b32 s1, 0
.LBB127_352:
	s_delay_alu instid0(SALU_CYCLE_1)
	s_and_not1_b32 vcc_lo, exec_lo, s1
	s_cbranch_vccnz .LBB127_363
; %bb.353:
	s_cmp_lt_i32 s0, 6
	s_cbranch_scc1 .LBB127_356
; %bb.354:
	s_cmp_gt_i32 s0, 6
	s_cbranch_scc0 .LBB127_357
; %bb.355:
	s_wait_loadcnt 0x0
	global_load_b64 v[12:13], v[14:15], off
	s_mov_b32 s1, 0
	s_wait_loadcnt 0x0
	v_trunc_f64_e32 v[12:13], v[12:13]
	s_delay_alu instid0(VALU_DEP_1) | instskip(NEXT) | instid1(VALU_DEP_1)
	v_ldexp_f64 v[16:17], v[12:13], 0xffffffe0
	v_floor_f64_e32 v[16:17], v[16:17]
	s_delay_alu instid0(VALU_DEP_1) | instskip(SKIP_1) | instid1(VALU_DEP_2)
	v_fmamk_f64 v[18:19], v[16:17], 0xc1f00000, v[12:13]
	v_cvt_i32_f64_e32 v13, v[16:17]
	v_cvt_u32_f64_e32 v12, v[18:19]
	s_branch .LBB127_358
.LBB127_356:
	s_mov_b32 s1, -1
                                        ; implicit-def: $vgpr12_vgpr13
	s_branch .LBB127_361
.LBB127_357:
	s_mov_b32 s1, -1
                                        ; implicit-def: $vgpr12_vgpr13
.LBB127_358:
	s_delay_alu instid0(SALU_CYCLE_1)
	s_and_not1_b32 vcc_lo, exec_lo, s1
	s_cbranch_vccnz .LBB127_360
; %bb.359:
	global_load_b32 v1, v[14:15], off
	s_wait_loadcnt 0x0
	v_trunc_f32_e32 v1, v1
	s_delay_alu instid0(VALU_DEP_1) | instskip(SKIP_1) | instid1(VALU_DEP_2)
	v_mul_f32_e64 v3, 0x2f800000, |v1|
	v_ashrrev_i32_e32 v12, 31, v1
	v_floor_f32_e32 v3, v3
	s_delay_alu instid0(VALU_DEP_1) | instskip(SKIP_1) | instid1(VALU_DEP_4)
	v_fma_f32 v7, 0xcf800000, v3, |v1|
	v_cvt_u32_f32_e32 v1, v3
	v_mov_b32_e32 v13, v12
	s_delay_alu instid0(VALU_DEP_3) | instskip(NEXT) | instid1(VALU_DEP_3)
	v_cvt_u32_f32_e32 v3, v7
	v_xor_b32_e32 v17, v1, v12
	s_delay_alu instid0(VALU_DEP_2) | instskip(NEXT) | instid1(VALU_DEP_1)
	v_xor_b32_e32 v16, v3, v12
	v_sub_nc_u64_e32 v[12:13], v[16:17], v[12:13]
.LBB127_360:
	s_mov_b32 s1, 0
.LBB127_361:
	s_delay_alu instid0(SALU_CYCLE_1)
	s_and_not1_b32 vcc_lo, exec_lo, s1
	s_cbranch_vccnz .LBB127_363
; %bb.362:
	global_load_u16 v1, v[14:15], off
	s_wait_loadcnt 0x0
	v_cvt_f32_f16_e32 v1, v1
	s_delay_alu instid0(VALU_DEP_1) | instskip(NEXT) | instid1(VALU_DEP_1)
	v_cvt_i32_f32_e32 v12, v1
	v_ashrrev_i32_e32 v13, 31, v12
.LBB127_363:
	s_mov_b32 s1, 0
.LBB127_364:
	s_delay_alu instid0(SALU_CYCLE_1)
	s_and_not1_b32 vcc_lo, exec_lo, s1
	s_cbranch_vccnz .LBB127_384
; %bb.365:
	s_cmp_lt_i32 s0, 2
	s_cbranch_scc1 .LBB127_369
; %bb.366:
	s_cmp_lt_i32 s0, 3
	s_cbranch_scc1 .LBB127_370
; %bb.367:
	s_cmp_gt_i32 s0, 3
	s_cbranch_scc0 .LBB127_371
; %bb.368:
	s_wait_loadcnt 0x0
	global_load_b64 v[12:13], v[14:15], off
	s_mov_b32 s1, 0
	s_branch .LBB127_372
.LBB127_369:
	s_mov_b32 s1, -1
                                        ; implicit-def: $vgpr12_vgpr13
	s_branch .LBB127_378
.LBB127_370:
	s_mov_b32 s1, -1
                                        ; implicit-def: $vgpr12_vgpr13
	s_branch .LBB127_375
.LBB127_371:
	s_mov_b32 s1, -1
                                        ; implicit-def: $vgpr12_vgpr13
.LBB127_372:
	s_delay_alu instid0(SALU_CYCLE_1)
	s_and_not1_b32 vcc_lo, exec_lo, s1
	s_cbranch_vccnz .LBB127_374
; %bb.373:
	s_wait_loadcnt 0x0
	global_load_b32 v12, v[14:15], off
	s_wait_loadcnt 0x0
	v_ashrrev_i32_e32 v13, 31, v12
.LBB127_374:
	s_mov_b32 s1, 0
.LBB127_375:
	s_delay_alu instid0(SALU_CYCLE_1)
	s_and_not1_b32 vcc_lo, exec_lo, s1
	s_cbranch_vccnz .LBB127_377
; %bb.376:
	global_load_u16 v1, v[14:15], off
	s_wait_loadcnt 0x0
	v_bfe_i32 v12, v1, 0, 16
	s_delay_alu instid0(VALU_DEP_1)
	v_ashrrev_i32_e32 v13, 31, v12
.LBB127_377:
	s_mov_b32 s1, 0
.LBB127_378:
	s_delay_alu instid0(SALU_CYCLE_1)
	s_and_not1_b32 vcc_lo, exec_lo, s1
	s_cbranch_vccnz .LBB127_384
; %bb.379:
	s_cmp_gt_i32 s0, 0
	s_mov_b32 s0, 0
	s_cbranch_scc0 .LBB127_381
; %bb.380:
	global_load_i8 v1, v[14:15], off
	s_wait_loadcnt 0x0
	v_bfe_i32 v12, v1, 0, 16
	s_delay_alu instid0(VALU_DEP_1)
	v_ashrrev_i32_e32 v13, 31, v12
	s_branch .LBB127_382
.LBB127_381:
	s_mov_b32 s0, -1
                                        ; implicit-def: $vgpr12_vgpr13
.LBB127_382:
	s_delay_alu instid0(SALU_CYCLE_1)
	s_and_not1_b32 vcc_lo, exec_lo, s0
	s_cbranch_vccnz .LBB127_384
; %bb.383:
	global_load_u8 v1, v[14:15], off
	s_mov_b32 s0, 0
	s_wait_loadcnt 0x1
	v_mov_b32_e32 v13, s0
	s_wait_loadcnt 0x0
	v_and_b32_e32 v12, 0xffff, v1
.LBB127_384:
	s_mov_b32 s47, -1
.LBB127_385:
	s_delay_alu instid0(SALU_CYCLE_1)
	s_and_not1_b32 vcc_lo, exec_lo, s47
	s_cbranch_vccnz .LBB127_393
; %bb.386:
	s_load_b512 s[4:19], s[2:3], 0x248
	v_mov_b32_e32 v11, 0
	s_and_b32 s0, s31, 0xff
	s_delay_alu instid0(SALU_CYCLE_1) | instskip(SKIP_1) | instid1(VALU_DEP_1)
	s_cmp_lt_i32 s0, 11
	s_wait_kmcnt 0x0
	v_add_nc_u64_e32 v[14:15], s[12:13], v[10:11]
	s_cbranch_scc1 .LBB127_394
; %bb.387:
	s_and_b32 s35, 0xffff, s0
	s_delay_alu instid0(SALU_CYCLE_1)
	s_cmp_gt_i32 s35, 25
	s_cbranch_scc0 .LBB127_395
; %bb.388:
	s_cmp_gt_i32 s35, 28
	s_cbranch_scc0 .LBB127_396
; %bb.389:
	;; [unrolled: 3-line block ×4, first 2 shown]
	s_cmp_eq_u32 s35, 46
	s_mov_b32 s1, 0
	s_cbranch_scc0 .LBB127_399
; %bb.392:
	global_load_b32 v1, v[14:15], off
	s_mov_b32 s58, -1
	s_mov_b32 s47, 0
	s_wait_loadcnt 0x0
	v_lshlrev_b32_e32 v1, 16, v1
	s_delay_alu instid0(VALU_DEP_1) | instskip(NEXT) | instid1(VALU_DEP_1)
	v_trunc_f32_e32 v1, v1
	v_mul_f32_e64 v3, 0x2f800000, |v1|
	v_ashrrev_i32_e32 v10, 31, v1
	s_delay_alu instid0(VALU_DEP_2) | instskip(NEXT) | instid1(VALU_DEP_2)
	v_floor_f32_e32 v3, v3
	v_mov_b32_e32 v11, v10
	s_delay_alu instid0(VALU_DEP_2) | instskip(SKIP_1) | instid1(VALU_DEP_2)
	v_fma_f32 v7, 0xcf800000, v3, |v1|
	v_cvt_u32_f32_e32 v1, v3
	v_cvt_u32_f32_e32 v3, v7
	s_delay_alu instid0(VALU_DEP_2) | instskip(NEXT) | instid1(VALU_DEP_2)
	v_xor_b32_e32 v17, v1, v10
	v_xor_b32_e32 v16, v3, v10
	s_delay_alu instid0(VALU_DEP_1)
	v_sub_nc_u64_e32 v[10:11], v[16:17], v[10:11]
	s_branch .LBB127_401
.LBB127_393:
	s_mov_b32 s0, 0
	s_mov_b32 s1, 0
	;; [unrolled: 1-line block ×8, first 2 shown]
	s_branch .LBB127_520
.LBB127_394:
	s_mov_b32 s1, -1
	s_mov_b32 s47, 0
	s_mov_b32 s58, 0
                                        ; implicit-def: $vgpr10_vgpr11
	s_branch .LBB127_462
.LBB127_395:
	s_mov_b32 s1, -1
	s_mov_b32 s47, 0
	s_mov_b32 s58, 0
                                        ; implicit-def: $vgpr10_vgpr11
	s_branch .LBB127_428
.LBB127_396:
	s_mov_b32 s1, -1
	s_mov_b32 s47, 0
	s_mov_b32 s58, 0
                                        ; implicit-def: $vgpr10_vgpr11
	s_branch .LBB127_411
.LBB127_397:
	s_mov_b32 s1, -1
	s_mov_b32 s47, 0
	s_mov_b32 s58, 0
                                        ; implicit-def: $vgpr10_vgpr11
	s_branch .LBB127_406
.LBB127_398:
	s_mov_b32 s1, -1
	s_mov_b32 s47, 0
	s_branch .LBB127_400
.LBB127_399:
	s_mov_b32 s47, -1
.LBB127_400:
	s_mov_b32 s58, 0
                                        ; implicit-def: $vgpr10_vgpr11
.LBB127_401:
	s_and_b32 vcc_lo, exec_lo, s1
	s_cbranch_vccz .LBB127_405
; %bb.402:
	s_cmp_eq_u32 s35, 44
	s_cbranch_scc0 .LBB127_404
; %bb.403:
	global_load_u8 v1, v[14:15], off
	s_mov_b32 s47, 0
	s_mov_b32 s58, -1
	s_wait_loadcnt 0x0
	v_lshlrev_b32_e32 v3, 23, v1
	v_cmp_ne_u32_e32 vcc_lo, 0, v1
	s_delay_alu instid0(VALU_DEP_2) | instskip(NEXT) | instid1(VALU_DEP_1)
	v_trunc_f32_e32 v3, v3
	v_mul_f32_e64 v7, 0x2f800000, |v3|
	v_ashrrev_i32_e32 v10, 31, v3
	s_delay_alu instid0(VALU_DEP_2) | instskip(NEXT) | instid1(VALU_DEP_1)
	v_floor_f32_e32 v7, v7
	v_fma_f32 v11, 0xcf800000, v7, |v3|
	v_cvt_u32_f32_e32 v3, v7
	s_delay_alu instid0(VALU_DEP_2) | instskip(NEXT) | instid1(VALU_DEP_2)
	v_cvt_u32_f32_e32 v7, v11
	v_dual_mov_b32 v11, v10 :: v_dual_bitop2_b32 v17, v3, v10 bitop3:0x14
	s_delay_alu instid0(VALU_DEP_2) | instskip(NEXT) | instid1(VALU_DEP_1)
	v_xor_b32_e32 v16, v7, v10
	v_sub_nc_u64_e32 v[10:11], v[16:17], v[10:11]
	s_delay_alu instid0(VALU_DEP_1)
	v_dual_cndmask_b32 v11, 0, v11 :: v_dual_cndmask_b32 v10, 0, v10
	s_branch .LBB127_405
.LBB127_404:
	s_mov_b32 s47, -1
                                        ; implicit-def: $vgpr10_vgpr11
.LBB127_405:
	s_mov_b32 s1, 0
.LBB127_406:
	s_delay_alu instid0(SALU_CYCLE_1)
	s_and_b32 vcc_lo, exec_lo, s1
	s_cbranch_vccz .LBB127_410
; %bb.407:
	s_cmp_eq_u32 s35, 29
	s_cbranch_scc0 .LBB127_409
; %bb.408:
	global_load_b64 v[10:11], v[14:15], off
	s_mov_b32 s58, -1
	s_mov_b32 s47, 0
	s_branch .LBB127_410
.LBB127_409:
	s_mov_b32 s47, -1
                                        ; implicit-def: $vgpr10_vgpr11
.LBB127_410:
	s_mov_b32 s1, 0
.LBB127_411:
	s_delay_alu instid0(SALU_CYCLE_1)
	s_and_b32 vcc_lo, exec_lo, s1
	s_cbranch_vccz .LBB127_427
; %bb.412:
	s_cmp_lt_i32 s35, 27
	s_cbranch_scc1 .LBB127_415
; %bb.413:
	s_cmp_gt_i32 s35, 27
	s_cbranch_scc0 .LBB127_416
; %bb.414:
	s_wait_loadcnt 0x0
	global_load_b32 v10, v[14:15], off
	v_mov_b32_e32 v11, 0
	s_mov_b32 s1, 0
	s_branch .LBB127_417
.LBB127_415:
	s_mov_b32 s1, -1
                                        ; implicit-def: $vgpr10_vgpr11
	s_branch .LBB127_420
.LBB127_416:
	s_mov_b32 s1, -1
                                        ; implicit-def: $vgpr10_vgpr11
.LBB127_417:
	s_delay_alu instid0(SALU_CYCLE_1)
	s_and_not1_b32 vcc_lo, exec_lo, s1
	s_cbranch_vccnz .LBB127_419
; %bb.418:
	global_load_u16 v1, v[14:15], off
	s_mov_b32 s1, 0
	s_wait_loadcnt 0x1
	v_mov_b32_e32 v11, s1
	s_wait_loadcnt 0x0
	v_and_b32_e32 v10, 0xffff, v1
.LBB127_419:
	s_mov_b32 s1, 0
.LBB127_420:
	s_delay_alu instid0(SALU_CYCLE_1)
	s_and_not1_b32 vcc_lo, exec_lo, s1
	s_cbranch_vccnz .LBB127_426
; %bb.421:
	global_load_u8 v1, v[14:15], off
	s_mov_b32 s58, 0
	s_mov_b32 s1, exec_lo
	s_wait_loadcnt 0x0
	v_cmpx_lt_i16_e32 0x7f, v1
	s_xor_b32 s1, exec_lo, s1
	s_cbranch_execz .LBB127_438
; %bb.422:
	v_cmp_ne_u16_e32 vcc_lo, 0x80, v1
	s_and_b32 s58, vcc_lo, exec_lo
	s_and_not1_saveexec_b32 s1, s1
	s_cbranch_execnz .LBB127_439
.LBB127_423:
	s_or_b32 exec_lo, exec_lo, s1
	v_mov_b64_e32 v[10:11], 0
	s_and_saveexec_b32 s1, s58
	s_cbranch_execz .LBB127_425
.LBB127_424:
	v_and_b32_e32 v3, 0xffff, v1
	s_delay_alu instid0(VALU_DEP_1) | instskip(SKIP_1) | instid1(VALU_DEP_2)
	v_and_b32_e32 v7, 7, v3
	v_bfe_u32 v16, v3, 3, 4
	v_clz_i32_u32_e32 v10, v7
	s_delay_alu instid0(VALU_DEP_2) | instskip(NEXT) | instid1(VALU_DEP_2)
	v_cmp_eq_u32_e32 vcc_lo, 0, v16
	v_min_u32_e32 v10, 32, v10
	s_delay_alu instid0(VALU_DEP_1) | instskip(NEXT) | instid1(VALU_DEP_1)
	v_subrev_nc_u32_e32 v11, 28, v10
	v_dual_lshlrev_b32 v3, v11, v3 :: v_dual_sub_nc_u32 v10, 29, v10
	s_delay_alu instid0(VALU_DEP_1) | instskip(NEXT) | instid1(VALU_DEP_1)
	v_dual_lshlrev_b32 v1, 24, v1 :: v_dual_bitop2_b32 v3, 7, v3 bitop3:0x40
	v_dual_cndmask_b32 v10, v16, v10 :: v_dual_cndmask_b32 v3, v7, v3
	s_delay_alu instid0(VALU_DEP_2) | instskip(NEXT) | instid1(VALU_DEP_2)
	v_and_b32_e32 v1, 0x80000000, v1
	v_lshl_add_u32 v7, v10, 23, 0x3b800000
	s_delay_alu instid0(VALU_DEP_3) | instskip(NEXT) | instid1(VALU_DEP_1)
	v_lshlrev_b32_e32 v3, 20, v3
	v_or3_b32 v1, v1, v7, v3
	s_delay_alu instid0(VALU_DEP_1) | instskip(NEXT) | instid1(VALU_DEP_1)
	v_trunc_f32_e32 v1, v1
	v_mul_f32_e64 v3, 0x2f800000, |v1|
	v_ashrrev_i32_e32 v10, 31, v1
	s_delay_alu instid0(VALU_DEP_2) | instskip(NEXT) | instid1(VALU_DEP_2)
	v_floor_f32_e32 v3, v3
	v_mov_b32_e32 v11, v10
	s_delay_alu instid0(VALU_DEP_2) | instskip(SKIP_1) | instid1(VALU_DEP_2)
	v_fma_f32 v7, 0xcf800000, v3, |v1|
	v_cvt_u32_f32_e32 v1, v3
	v_cvt_u32_f32_e32 v3, v7
	s_delay_alu instid0(VALU_DEP_2) | instskip(NEXT) | instid1(VALU_DEP_2)
	v_xor_b32_e32 v17, v1, v10
	v_xor_b32_e32 v16, v3, v10
	s_delay_alu instid0(VALU_DEP_1)
	v_sub_nc_u64_e32 v[10:11], v[16:17], v[10:11]
.LBB127_425:
	s_or_b32 exec_lo, exec_lo, s1
.LBB127_426:
	s_mov_b32 s58, -1
.LBB127_427:
	s_mov_b32 s1, 0
.LBB127_428:
	s_delay_alu instid0(SALU_CYCLE_1)
	s_and_b32 vcc_lo, exec_lo, s1
	s_cbranch_vccz .LBB127_461
; %bb.429:
	s_cmp_gt_i32 s35, 22
	s_cbranch_scc0 .LBB127_437
; %bb.430:
	s_cmp_lt_i32 s35, 24
	s_cbranch_scc1 .LBB127_440
; %bb.431:
	s_cmp_gt_i32 s35, 24
	s_cbranch_scc0 .LBB127_441
; %bb.432:
	global_load_u8 v1, v[14:15], off
	s_mov_b32 s58, 0
	s_mov_b32 s1, exec_lo
	s_wait_loadcnt 0x0
	v_cmpx_lt_i16_e32 0x7f, v1
	s_xor_b32 s1, exec_lo, s1
	s_cbranch_execz .LBB127_453
; %bb.433:
	v_cmp_ne_u16_e32 vcc_lo, 0x80, v1
	s_and_b32 s58, vcc_lo, exec_lo
	s_and_not1_saveexec_b32 s1, s1
	s_cbranch_execnz .LBB127_454
.LBB127_434:
	s_or_b32 exec_lo, exec_lo, s1
	v_mov_b64_e32 v[10:11], 0
	s_and_saveexec_b32 s1, s58
	s_cbranch_execz .LBB127_436
.LBB127_435:
	v_and_b32_e32 v3, 0xffff, v1
	s_delay_alu instid0(VALU_DEP_1) | instskip(SKIP_1) | instid1(VALU_DEP_2)
	v_and_b32_e32 v7, 3, v3
	v_bfe_u32 v16, v3, 2, 5
	v_clz_i32_u32_e32 v10, v7
	s_delay_alu instid0(VALU_DEP_2) | instskip(NEXT) | instid1(VALU_DEP_2)
	v_cmp_eq_u32_e32 vcc_lo, 0, v16
	v_min_u32_e32 v10, 32, v10
	s_delay_alu instid0(VALU_DEP_1) | instskip(NEXT) | instid1(VALU_DEP_1)
	v_subrev_nc_u32_e32 v11, 29, v10
	v_dual_lshlrev_b32 v3, v11, v3 :: v_dual_sub_nc_u32 v10, 30, v10
	s_delay_alu instid0(VALU_DEP_1) | instskip(NEXT) | instid1(VALU_DEP_1)
	v_dual_lshlrev_b32 v1, 24, v1 :: v_dual_bitop2_b32 v3, 3, v3 bitop3:0x40
	v_dual_cndmask_b32 v10, v16, v10 :: v_dual_cndmask_b32 v3, v7, v3
	s_delay_alu instid0(VALU_DEP_2) | instskip(NEXT) | instid1(VALU_DEP_2)
	v_and_b32_e32 v1, 0x80000000, v1
	v_lshl_add_u32 v7, v10, 23, 0x37800000
	s_delay_alu instid0(VALU_DEP_3) | instskip(NEXT) | instid1(VALU_DEP_1)
	v_lshlrev_b32_e32 v3, 21, v3
	v_or3_b32 v1, v1, v7, v3
	s_delay_alu instid0(VALU_DEP_1) | instskip(NEXT) | instid1(VALU_DEP_1)
	v_trunc_f32_e32 v1, v1
	v_mul_f32_e64 v3, 0x2f800000, |v1|
	v_ashrrev_i32_e32 v10, 31, v1
	s_delay_alu instid0(VALU_DEP_2) | instskip(NEXT) | instid1(VALU_DEP_2)
	v_floor_f32_e32 v3, v3
	v_mov_b32_e32 v11, v10
	s_delay_alu instid0(VALU_DEP_2) | instskip(SKIP_1) | instid1(VALU_DEP_2)
	v_fma_f32 v7, 0xcf800000, v3, |v1|
	v_cvt_u32_f32_e32 v1, v3
	v_cvt_u32_f32_e32 v3, v7
	s_delay_alu instid0(VALU_DEP_2) | instskip(NEXT) | instid1(VALU_DEP_2)
	v_xor_b32_e32 v17, v1, v10
	v_xor_b32_e32 v16, v3, v10
	s_delay_alu instid0(VALU_DEP_1)
	v_sub_nc_u64_e32 v[10:11], v[16:17], v[10:11]
.LBB127_436:
	s_or_b32 exec_lo, exec_lo, s1
	s_mov_b32 s1, 0
	s_branch .LBB127_442
.LBB127_437:
	s_mov_b32 s1, -1
                                        ; implicit-def: $vgpr10_vgpr11
	s_branch .LBB127_448
.LBB127_438:
	s_and_not1_saveexec_b32 s1, s1
	s_cbranch_execz .LBB127_423
.LBB127_439:
	v_cmp_ne_u16_e32 vcc_lo, 0, v1
	s_and_not1_b32 s36, s58, exec_lo
	s_and_b32 s37, vcc_lo, exec_lo
	s_delay_alu instid0(SALU_CYCLE_1)
	s_or_b32 s58, s36, s37
	s_or_b32 exec_lo, exec_lo, s1
	v_mov_b64_e32 v[10:11], 0
	s_and_saveexec_b32 s1, s58
	s_cbranch_execnz .LBB127_424
	s_branch .LBB127_425
.LBB127_440:
	s_mov_b32 s1, -1
                                        ; implicit-def: $vgpr10_vgpr11
	s_branch .LBB127_445
.LBB127_441:
	s_mov_b32 s1, -1
                                        ; implicit-def: $vgpr10_vgpr11
.LBB127_442:
	s_delay_alu instid0(SALU_CYCLE_1)
	s_and_b32 vcc_lo, exec_lo, s1
	s_cbranch_vccz .LBB127_444
; %bb.443:
	global_load_u8 v1, v[14:15], off
	s_wait_loadcnt 0x0
	v_lshlrev_b32_e32 v1, 24, v1
	s_delay_alu instid0(VALU_DEP_1) | instskip(NEXT) | instid1(VALU_DEP_1)
	v_and_b32_e32 v3, 0x7f000000, v1
	v_clz_i32_u32_e32 v7, v3
	v_add_nc_u32_e32 v11, 0x1000000, v3
	v_cmp_ne_u32_e32 vcc_lo, 0, v3
	s_delay_alu instid0(VALU_DEP_3) | instskip(NEXT) | instid1(VALU_DEP_1)
	v_min_u32_e32 v7, 32, v7
	v_sub_nc_u32_e64 v7, v7, 4 clamp
	s_delay_alu instid0(VALU_DEP_1) | instskip(NEXT) | instid1(VALU_DEP_1)
	v_lshlrev_b32_e32 v10, v7, v3
	v_dual_lshlrev_b32 v7, 23, v7 :: v_dual_lshrrev_b32 v10, 4, v10
	s_delay_alu instid0(VALU_DEP_1) | instskip(SKIP_1) | instid1(VALU_DEP_2)
	v_sub_nc_u32_e32 v7, v10, v7
	v_ashrrev_i32_e32 v10, 8, v11
	v_add_nc_u32_e32 v7, 0x3c000000, v7
	s_delay_alu instid0(VALU_DEP_1) | instskip(NEXT) | instid1(VALU_DEP_1)
	v_and_or_b32 v7, 0x7f800000, v10, v7
	v_cndmask_b32_e32 v3, 0, v7, vcc_lo
	s_delay_alu instid0(VALU_DEP_1) | instskip(NEXT) | instid1(VALU_DEP_1)
	v_and_or_b32 v1, 0x80000000, v1, v3
	v_trunc_f32_e32 v1, v1
	s_delay_alu instid0(VALU_DEP_1) | instskip(SKIP_1) | instid1(VALU_DEP_2)
	v_mul_f32_e64 v3, 0x2f800000, |v1|
	v_ashrrev_i32_e32 v10, 31, v1
	v_floor_f32_e32 v3, v3
	s_delay_alu instid0(VALU_DEP_2) | instskip(NEXT) | instid1(VALU_DEP_2)
	v_mov_b32_e32 v11, v10
	v_fma_f32 v7, 0xcf800000, v3, |v1|
	v_cvt_u32_f32_e32 v1, v3
	s_delay_alu instid0(VALU_DEP_2) | instskip(NEXT) | instid1(VALU_DEP_2)
	v_cvt_u32_f32_e32 v3, v7
	v_xor_b32_e32 v17, v1, v10
	s_delay_alu instid0(VALU_DEP_2) | instskip(NEXT) | instid1(VALU_DEP_1)
	v_xor_b32_e32 v16, v3, v10
	v_sub_nc_u64_e32 v[10:11], v[16:17], v[10:11]
.LBB127_444:
	s_mov_b32 s1, 0
.LBB127_445:
	s_delay_alu instid0(SALU_CYCLE_1)
	s_and_not1_b32 vcc_lo, exec_lo, s1
	s_cbranch_vccnz .LBB127_447
; %bb.446:
	global_load_u8 v1, v[14:15], off
	s_wait_loadcnt 0x0
	v_lshlrev_b32_e32 v3, 25, v1
	v_lshlrev_b16 v1, 8, v1
	s_delay_alu instid0(VALU_DEP_1) | instskip(SKIP_1) | instid1(VALU_DEP_2)
	v_and_or_b32 v10, 0x7f00, v1, 0.5
	v_bfe_i32 v1, v1, 0, 16
	v_dual_add_f32 v10, -0.5, v10 :: v_dual_lshrrev_b32 v7, 4, v3
	v_cmp_gt_u32_e32 vcc_lo, 0x8000000, v3
	s_delay_alu instid0(VALU_DEP_2) | instskip(NEXT) | instid1(VALU_DEP_1)
	v_or_b32_e32 v7, 0x70000000, v7
	v_mul_f32_e32 v7, 0x7800000, v7
	s_delay_alu instid0(VALU_DEP_1) | instskip(NEXT) | instid1(VALU_DEP_1)
	v_cndmask_b32_e32 v3, v7, v10, vcc_lo
	v_and_or_b32 v1, 0x80000000, v1, v3
	s_delay_alu instid0(VALU_DEP_1) | instskip(NEXT) | instid1(VALU_DEP_1)
	v_trunc_f32_e32 v1, v1
	v_mul_f32_e64 v3, 0x2f800000, |v1|
	v_ashrrev_i32_e32 v10, 31, v1
	s_delay_alu instid0(VALU_DEP_2) | instskip(NEXT) | instid1(VALU_DEP_2)
	v_floor_f32_e32 v3, v3
	v_mov_b32_e32 v11, v10
	s_delay_alu instid0(VALU_DEP_2) | instskip(SKIP_1) | instid1(VALU_DEP_2)
	v_fma_f32 v7, 0xcf800000, v3, |v1|
	v_cvt_u32_f32_e32 v1, v3
	v_cvt_u32_f32_e32 v3, v7
	s_delay_alu instid0(VALU_DEP_2) | instskip(NEXT) | instid1(VALU_DEP_2)
	v_xor_b32_e32 v17, v1, v10
	v_xor_b32_e32 v16, v3, v10
	s_delay_alu instid0(VALU_DEP_1)
	v_sub_nc_u64_e32 v[10:11], v[16:17], v[10:11]
.LBB127_447:
	s_mov_b32 s1, 0
	s_mov_b32 s58, -1
.LBB127_448:
	s_and_not1_b32 vcc_lo, exec_lo, s1
	s_cbranch_vccnz .LBB127_461
; %bb.449:
	s_cmp_gt_i32 s35, 14
	s_cbranch_scc0 .LBB127_452
; %bb.450:
	s_cmp_eq_u32 s35, 15
	s_cbranch_scc0 .LBB127_455
; %bb.451:
	global_load_u16 v1, v[14:15], off
	s_mov_b32 s58, -1
	s_mov_b32 s47, 0
	s_wait_loadcnt 0x0
	v_lshlrev_b32_e32 v1, 16, v1
	s_delay_alu instid0(VALU_DEP_1) | instskip(NEXT) | instid1(VALU_DEP_1)
	v_trunc_f32_e32 v1, v1
	v_mul_f32_e64 v3, 0x2f800000, |v1|
	v_ashrrev_i32_e32 v10, 31, v1
	s_delay_alu instid0(VALU_DEP_2) | instskip(NEXT) | instid1(VALU_DEP_2)
	v_floor_f32_e32 v3, v3
	v_mov_b32_e32 v11, v10
	s_delay_alu instid0(VALU_DEP_2) | instskip(SKIP_1) | instid1(VALU_DEP_2)
	v_fma_f32 v7, 0xcf800000, v3, |v1|
	v_cvt_u32_f32_e32 v1, v3
	v_cvt_u32_f32_e32 v3, v7
	s_delay_alu instid0(VALU_DEP_2) | instskip(NEXT) | instid1(VALU_DEP_2)
	v_xor_b32_e32 v17, v1, v10
	v_xor_b32_e32 v16, v3, v10
	s_delay_alu instid0(VALU_DEP_1)
	v_sub_nc_u64_e32 v[10:11], v[16:17], v[10:11]
	s_branch .LBB127_456
.LBB127_452:
	s_mov_b32 s1, -1
                                        ; implicit-def: $vgpr10_vgpr11
	s_branch .LBB127_457
.LBB127_453:
	s_and_not1_saveexec_b32 s1, s1
	s_cbranch_execz .LBB127_434
.LBB127_454:
	v_cmp_ne_u16_e32 vcc_lo, 0, v1
	s_and_not1_b32 s36, s58, exec_lo
	s_and_b32 s37, vcc_lo, exec_lo
	s_delay_alu instid0(SALU_CYCLE_1)
	s_or_b32 s58, s36, s37
	s_or_b32 exec_lo, exec_lo, s1
	v_mov_b64_e32 v[10:11], 0
	s_and_saveexec_b32 s1, s58
	s_cbranch_execnz .LBB127_435
	s_branch .LBB127_436
.LBB127_455:
	s_mov_b32 s47, -1
                                        ; implicit-def: $vgpr10_vgpr11
.LBB127_456:
	s_mov_b32 s1, 0
.LBB127_457:
	s_delay_alu instid0(SALU_CYCLE_1)
	s_and_b32 vcc_lo, exec_lo, s1
	s_cbranch_vccz .LBB127_461
; %bb.458:
	s_cmp_eq_u32 s35, 11
	s_cbranch_scc0 .LBB127_460
; %bb.459:
	global_load_u8 v1, v[14:15], off
	s_mov_b32 s47, 0
	s_mov_b32 s58, -1
	s_wait_loadcnt 0x1
	v_mov_b32_e32 v11, s47
	s_wait_loadcnt 0x0
	v_cmp_ne_u16_e32 vcc_lo, 0, v1
	v_cndmask_b32_e64 v10, 0, 1, vcc_lo
	s_branch .LBB127_461
.LBB127_460:
	s_mov_b32 s47, -1
                                        ; implicit-def: $vgpr10_vgpr11
.LBB127_461:
	s_mov_b32 s1, 0
.LBB127_462:
	s_delay_alu instid0(SALU_CYCLE_1)
	s_and_b32 vcc_lo, exec_lo, s1
	s_cbranch_vccz .LBB127_511
; %bb.463:
	s_and_b32 s0, 0xffff, s0
	s_delay_alu instid0(SALU_CYCLE_1)
	s_cmp_lt_i32 s0, 5
	s_cbranch_scc1 .LBB127_468
; %bb.464:
	s_cmp_lt_i32 s0, 8
	s_cbranch_scc1 .LBB127_469
; %bb.465:
	;; [unrolled: 3-line block ×3, first 2 shown]
	s_cmp_gt_i32 s0, 9
	s_cbranch_scc0 .LBB127_471
; %bb.467:
	s_wait_loadcnt 0x0
	global_load_b64 v[10:11], v[14:15], off
	s_mov_b32 s1, 0
	s_wait_loadcnt 0x0
	v_trunc_f64_e32 v[10:11], v[10:11]
	s_delay_alu instid0(VALU_DEP_1) | instskip(NEXT) | instid1(VALU_DEP_1)
	v_ldexp_f64 v[16:17], v[10:11], 0xffffffe0
	v_floor_f64_e32 v[16:17], v[16:17]
	s_delay_alu instid0(VALU_DEP_1) | instskip(SKIP_1) | instid1(VALU_DEP_2)
	v_fmamk_f64 v[18:19], v[16:17], 0xc1f00000, v[10:11]
	v_cvt_i32_f64_e32 v11, v[16:17]
	v_cvt_u32_f64_e32 v10, v[18:19]
	s_branch .LBB127_472
.LBB127_468:
	s_mov_b32 s1, -1
                                        ; implicit-def: $vgpr10_vgpr11
	s_branch .LBB127_490
.LBB127_469:
	s_mov_b32 s1, -1
                                        ; implicit-def: $vgpr10_vgpr11
	s_branch .LBB127_478
.LBB127_470:
	s_mov_b32 s1, -1
                                        ; implicit-def: $vgpr10_vgpr11
	s_branch .LBB127_475
.LBB127_471:
	s_mov_b32 s1, -1
                                        ; implicit-def: $vgpr10_vgpr11
.LBB127_472:
	s_delay_alu instid0(SALU_CYCLE_1)
	s_and_not1_b32 vcc_lo, exec_lo, s1
	s_cbranch_vccnz .LBB127_474
; %bb.473:
	global_load_b32 v1, v[14:15], off
	s_wait_loadcnt 0x0
	v_trunc_f32_e32 v1, v1
	s_delay_alu instid0(VALU_DEP_1) | instskip(SKIP_1) | instid1(VALU_DEP_2)
	v_mul_f32_e64 v3, 0x2f800000, |v1|
	v_ashrrev_i32_e32 v10, 31, v1
	v_floor_f32_e32 v3, v3
	s_delay_alu instid0(VALU_DEP_1) | instskip(SKIP_1) | instid1(VALU_DEP_4)
	v_fma_f32 v7, 0xcf800000, v3, |v1|
	v_cvt_u32_f32_e32 v1, v3
	v_mov_b32_e32 v11, v10
	s_delay_alu instid0(VALU_DEP_3) | instskip(NEXT) | instid1(VALU_DEP_3)
	v_cvt_u32_f32_e32 v3, v7
	v_xor_b32_e32 v17, v1, v10
	s_delay_alu instid0(VALU_DEP_2) | instskip(NEXT) | instid1(VALU_DEP_1)
	v_xor_b32_e32 v16, v3, v10
	v_sub_nc_u64_e32 v[10:11], v[16:17], v[10:11]
.LBB127_474:
	s_mov_b32 s1, 0
.LBB127_475:
	s_delay_alu instid0(SALU_CYCLE_1)
	s_and_not1_b32 vcc_lo, exec_lo, s1
	s_cbranch_vccnz .LBB127_477
; %bb.476:
	global_load_b32 v1, v[14:15], off
	s_wait_loadcnt 0x0
	v_cvt_f32_f16_e32 v1, v1
	s_delay_alu instid0(VALU_DEP_1) | instskip(NEXT) | instid1(VALU_DEP_1)
	v_cvt_i32_f32_e32 v10, v1
	v_ashrrev_i32_e32 v11, 31, v10
.LBB127_477:
	s_mov_b32 s1, 0
.LBB127_478:
	s_delay_alu instid0(SALU_CYCLE_1)
	s_and_not1_b32 vcc_lo, exec_lo, s1
	s_cbranch_vccnz .LBB127_489
; %bb.479:
	s_cmp_lt_i32 s0, 6
	s_cbranch_scc1 .LBB127_482
; %bb.480:
	s_cmp_gt_i32 s0, 6
	s_cbranch_scc0 .LBB127_483
; %bb.481:
	s_wait_loadcnt 0x0
	global_load_b64 v[10:11], v[14:15], off
	s_mov_b32 s1, 0
	s_wait_loadcnt 0x0
	v_trunc_f64_e32 v[10:11], v[10:11]
	s_delay_alu instid0(VALU_DEP_1) | instskip(NEXT) | instid1(VALU_DEP_1)
	v_ldexp_f64 v[16:17], v[10:11], 0xffffffe0
	v_floor_f64_e32 v[16:17], v[16:17]
	s_delay_alu instid0(VALU_DEP_1) | instskip(SKIP_1) | instid1(VALU_DEP_2)
	v_fmamk_f64 v[18:19], v[16:17], 0xc1f00000, v[10:11]
	v_cvt_i32_f64_e32 v11, v[16:17]
	v_cvt_u32_f64_e32 v10, v[18:19]
	s_branch .LBB127_484
.LBB127_482:
	s_mov_b32 s1, -1
                                        ; implicit-def: $vgpr10_vgpr11
	s_branch .LBB127_487
.LBB127_483:
	s_mov_b32 s1, -1
                                        ; implicit-def: $vgpr10_vgpr11
.LBB127_484:
	s_delay_alu instid0(SALU_CYCLE_1)
	s_and_not1_b32 vcc_lo, exec_lo, s1
	s_cbranch_vccnz .LBB127_486
; %bb.485:
	global_load_b32 v1, v[14:15], off
	s_wait_loadcnt 0x0
	v_trunc_f32_e32 v1, v1
	s_delay_alu instid0(VALU_DEP_1) | instskip(SKIP_1) | instid1(VALU_DEP_2)
	v_mul_f32_e64 v3, 0x2f800000, |v1|
	v_ashrrev_i32_e32 v10, 31, v1
	v_floor_f32_e32 v3, v3
	s_delay_alu instid0(VALU_DEP_1) | instskip(SKIP_1) | instid1(VALU_DEP_4)
	v_fma_f32 v7, 0xcf800000, v3, |v1|
	v_cvt_u32_f32_e32 v1, v3
	v_mov_b32_e32 v11, v10
	s_delay_alu instid0(VALU_DEP_3) | instskip(NEXT) | instid1(VALU_DEP_3)
	v_cvt_u32_f32_e32 v3, v7
	v_xor_b32_e32 v17, v1, v10
	s_delay_alu instid0(VALU_DEP_2) | instskip(NEXT) | instid1(VALU_DEP_1)
	v_xor_b32_e32 v16, v3, v10
	v_sub_nc_u64_e32 v[10:11], v[16:17], v[10:11]
.LBB127_486:
	s_mov_b32 s1, 0
.LBB127_487:
	s_delay_alu instid0(SALU_CYCLE_1)
	s_and_not1_b32 vcc_lo, exec_lo, s1
	s_cbranch_vccnz .LBB127_489
; %bb.488:
	global_load_u16 v1, v[14:15], off
	s_wait_loadcnt 0x0
	v_cvt_f32_f16_e32 v1, v1
	s_delay_alu instid0(VALU_DEP_1) | instskip(NEXT) | instid1(VALU_DEP_1)
	v_cvt_i32_f32_e32 v10, v1
	v_ashrrev_i32_e32 v11, 31, v10
.LBB127_489:
	s_mov_b32 s1, 0
.LBB127_490:
	s_delay_alu instid0(SALU_CYCLE_1)
	s_and_not1_b32 vcc_lo, exec_lo, s1
	s_cbranch_vccnz .LBB127_510
; %bb.491:
	s_cmp_lt_i32 s0, 2
	s_cbranch_scc1 .LBB127_495
; %bb.492:
	s_cmp_lt_i32 s0, 3
	s_cbranch_scc1 .LBB127_496
; %bb.493:
	s_cmp_gt_i32 s0, 3
	s_cbranch_scc0 .LBB127_497
; %bb.494:
	s_wait_loadcnt 0x0
	global_load_b64 v[10:11], v[14:15], off
	s_mov_b32 s1, 0
	s_branch .LBB127_498
.LBB127_495:
	s_mov_b32 s1, -1
                                        ; implicit-def: $vgpr10_vgpr11
	s_branch .LBB127_504
.LBB127_496:
	s_mov_b32 s1, -1
                                        ; implicit-def: $vgpr10_vgpr11
	s_branch .LBB127_501
.LBB127_497:
	s_mov_b32 s1, -1
                                        ; implicit-def: $vgpr10_vgpr11
.LBB127_498:
	s_delay_alu instid0(SALU_CYCLE_1)
	s_and_not1_b32 vcc_lo, exec_lo, s1
	s_cbranch_vccnz .LBB127_500
; %bb.499:
	s_wait_loadcnt 0x0
	global_load_b32 v10, v[14:15], off
	s_wait_loadcnt 0x0
	v_ashrrev_i32_e32 v11, 31, v10
.LBB127_500:
	s_mov_b32 s1, 0
.LBB127_501:
	s_delay_alu instid0(SALU_CYCLE_1)
	s_and_not1_b32 vcc_lo, exec_lo, s1
	s_cbranch_vccnz .LBB127_503
; %bb.502:
	global_load_u16 v1, v[14:15], off
	s_wait_loadcnt 0x0
	v_bfe_i32 v10, v1, 0, 16
	s_delay_alu instid0(VALU_DEP_1)
	v_ashrrev_i32_e32 v11, 31, v10
.LBB127_503:
	s_mov_b32 s1, 0
.LBB127_504:
	s_delay_alu instid0(SALU_CYCLE_1)
	s_and_not1_b32 vcc_lo, exec_lo, s1
	s_cbranch_vccnz .LBB127_510
; %bb.505:
	s_cmp_gt_i32 s0, 0
	s_mov_b32 s0, 0
	s_cbranch_scc0 .LBB127_507
; %bb.506:
	global_load_i8 v1, v[14:15], off
	s_wait_loadcnt 0x0
	v_bfe_i32 v10, v1, 0, 16
	s_delay_alu instid0(VALU_DEP_1)
	v_ashrrev_i32_e32 v11, 31, v10
	s_branch .LBB127_508
.LBB127_507:
	s_mov_b32 s0, -1
                                        ; implicit-def: $vgpr10_vgpr11
.LBB127_508:
	s_delay_alu instid0(SALU_CYCLE_1)
	s_and_not1_b32 vcc_lo, exec_lo, s0
	s_cbranch_vccnz .LBB127_510
; %bb.509:
	global_load_u8 v1, v[14:15], off
	s_mov_b32 s0, 0
	s_wait_loadcnt 0x1
	v_mov_b32_e32 v11, s0
	s_wait_loadcnt 0x0
	v_and_b32_e32 v10, 0xffff, v1
.LBB127_510:
	s_mov_b32 s58, -1
.LBB127_511:
	s_delay_alu instid0(SALU_CYCLE_1)
	s_and_not1_b32 vcc_lo, exec_lo, s58
	s_cbranch_vccnz .LBB127_519
; %bb.512:
	s_load_b512 s[4:19], s[2:3], 0x248
	v_mov_b32_e32 v7, 0
	s_and_b32 s0, s53, 0xff
	s_delay_alu instid0(SALU_CYCLE_1) | instskip(SKIP_1) | instid1(VALU_DEP_1)
	s_cmp_lt_i32 s0, 11
	s_wait_kmcnt 0x0
	v_add_nc_u64_e32 v[6:7], s[14:15], v[6:7]
	s_cbranch_scc1 .LBB127_559
; %bb.513:
	s_and_b32 s35, 0xffff, s0
	s_delay_alu instid0(SALU_CYCLE_1)
	s_cmp_gt_i32 s35, 25
	s_cbranch_scc0 .LBB127_562
; %bb.514:
	s_cmp_gt_i32 s35, 28
	s_mov_b64 s[14:15], s[94:95]
	s_mov_b32 s12, s92
	s_cbranch_scc0 .LBB127_565
; %bb.515:
	s_cmp_gt_i32 s35, 43
	s_cbranch_scc0 .LBB127_680
; %bb.516:
	s_cmp_gt_i32 s35, 45
	s_cbranch_scc0 .LBB127_963
; %bb.517:
	s_cmp_eq_u32 s35, 46
	s_mov_b32 s1, 0
	s_cbranch_scc0 .LBB127_2716
; %bb.518:
	global_load_b32 v1, v[6:7], off
	s_mov_b32 s58, -1
	s_mov_b32 s88, 0
	s_wait_loadcnt 0x0
	v_lshlrev_b32_e32 v1, 16, v1
	s_delay_alu instid0(VALU_DEP_1) | instskip(NEXT) | instid1(VALU_DEP_1)
	v_trunc_f32_e32 v1, v1
	v_mul_f32_e64 v3, 0x2f800000, |v1|
	v_ashrrev_i32_e32 v14, 31, v1
	s_delay_alu instid0(VALU_DEP_2) | instskip(NEXT) | instid1(VALU_DEP_1)
	v_floor_f32_e32 v3, v3
	v_fma_f32 v15, 0xcf800000, v3, |v1|
	v_cvt_u32_f32_e32 v1, v3
	s_delay_alu instid0(VALU_DEP_2) | instskip(NEXT) | instid1(VALU_DEP_2)
	v_cvt_u32_f32_e32 v3, v15
	v_dual_mov_b32 v15, v14 :: v_dual_bitop2_b32 v17, v1, v14 bitop3:0x14
	s_delay_alu instid0(VALU_DEP_2) | instskip(NEXT) | instid1(VALU_DEP_1)
	v_xor_b32_e32 v16, v3, v14
	v_sub_nc_u64_e32 v[14:15], v[16:17], v[14:15]
	s_branch .LBB127_2718
.LBB127_519:
	s_mov_b32 s0, 0
	s_mov_b32 s1, 0
	;; [unrolled: 1-line block ×7, first 2 shown]
.LBB127_520:
	s_mov_b64 s[14:15], s[94:95]
	s_mov_b32 s12, s92
.LBB127_521:
                                        ; implicit-def: $vgpr0
.LBB127_522:
	s_and_b32 s70, s60, exec_lo
	s_and_b32 s71, s59, exec_lo
	;; [unrolled: 1-line block ×10, first 2 shown]
	s_or_not1_b32 s35, s0, exec_lo
.LBB127_523:
	s_wait_xcnt 0x0
	s_or_b32 exec_lo, exec_lo, s23
	s_mov_b32 s44, 0
	s_mov_b32 s23, 0
                                        ; implicit-def: $sgpr0
                                        ; implicit-def: $vgpr14_vgpr15
                                        ; implicit-def: $vgpr2
                                        ; implicit-def: $vgpr12
                                        ; implicit-def: $vgpr10
                                        ; implicit-def: $vgpr6
                                        ; implicit-def: $vgpr8
                                        ; implicit-def: $vgpr4_vgpr5
	s_and_saveexec_b32 s93, s35
	s_cbranch_execz .LBB127_532
; %bb.524:
	s_mov_b32 s35, -1
	s_mov_b32 s94, s92
	s_mov_b32 s96, s91
	;; [unrolled: 1-line block ×7, first 2 shown]
	s_mov_b32 vcc_hi, s85
	s_mov_b32 s104, s71
	s_mov_b32 s101, s70
	s_mov_b32 s23, exec_lo
	v_cmpx_gt_i32_e64 s83, v0
	s_cbranch_execz .LBB127_804
; %bb.525:
	s_and_not1_b32 vcc_lo, exec_lo, s74
	s_cbranch_vccnz .LBB127_535
; %bb.526:
	s_and_not1_b32 vcc_lo, exec_lo, s84
	s_cbranch_vccnz .LBB127_536
; %bb.527:
	s_wait_loadcnt 0x0
	v_dual_mov_b32 v10, 0 :: v_dual_mov_b32 v1, v0
	v_dual_mov_b32 v6, 0 :: v_dual_mov_b32 v8, 0
	;; [unrolled: 1-line block ×3, first 2 shown]
	v_mov_b32_e32 v4, 0
	s_add_co_i32 s0, s68, 1
	s_mov_b64 s[36:37], 0xffffffffffffffd0
	s_mov_b64 s[8:9], s[40:41]
	s_mov_b32 s5, s48
	s_mov_b64 s[10:11], s[42:43]
	s_mov_b32 s4, s50
	s_and_b32 s0, s0, 30
	s_add_nc_u64 s[58:59], s[2:3], s[36:37]
	s_mov_b64 s[60:61], s[2:3]
.LBB127_528:                            ; =>This Inner Loop Header: Depth=1
	s_clause 0x1
	s_load_b128 s[36:39], s[60:61], 0x4
	s_load_b64 s[62:63], s[60:61], 0x14
	s_clause 0x1
	s_load_b256 s[44:51], s[58:59], 0xf4
	s_load_b128 s[40:43], s[58:59], 0x114
	s_add_co_i32 s0, s0, -2
	s_wait_xcnt 0x0
	s_add_nc_u64 s[60:61], s[60:61], 24
	s_cmp_eq_u32 s0, 0
	s_add_nc_u64 s[58:59], s[58:59], 48
	s_wait_kmcnt 0x0
	v_mul_hi_u32 v3, s37, v1
	s_delay_alu instid0(VALU_DEP_1) | instskip(NEXT) | instid1(VALU_DEP_1)
	v_add_nc_u32_e32 v3, v1, v3
	v_lshrrev_b32_e32 v3, s38, v3
	s_delay_alu instid0(VALU_DEP_1) | instskip(SKIP_1) | instid1(VALU_DEP_1)
	v_mul_hi_u32 v5, s62, v3
	v_mul_lo_u32 v7, v3, s36
	v_dual_add_nc_u32 v5, v3, v5 :: v_dual_sub_nc_u32 v7, v1, v7
	s_delay_alu instid0(VALU_DEP_1) | instskip(NEXT) | instid1(VALU_DEP_2)
	v_lshrrev_b32_e32 v1, s63, v5
	v_mad_u32 v4, v7, s45, v4
	v_mad_u32 v2, v7, s44, v2
	;; [unrolled: 1-line block ×4, first 2 shown]
	v_mul_lo_u32 v5, v1, s39
	v_mad_u32 v6, s49, v7, v6
	v_mad_u32 v7, s48, v7, v10
	s_delay_alu instid0(VALU_DEP_3) | instskip(NEXT) | instid1(VALU_DEP_1)
	v_sub_nc_u32_e32 v3, v3, v5
	v_mad_u32 v4, v3, s51, v4
	v_mad_u32 v2, v3, s50, v2
	v_mad_u32 v12, v3, s41, v9
	v_mad_u32 v8, v3, s40, v8
	v_mad_u32 v6, s43, v3, v6
	v_mad_u32 v10, s42, v3, v7
	s_cbranch_scc0 .LBB127_528
; %bb.529:
	s_bitcmp1_b32 s68, 0
	s_cselect_b32 s0, -1, 0
	s_delay_alu instid0(SALU_CYCLE_1)
	s_and_b32 vcc_lo, exec_lo, s0
	s_cbranch_vccnz .LBB127_531
; %bb.530:
	s_load_b96 s[40:42], s[60:61], 0x4
	s_clause 0x1
	s_load_b128 s[36:39], s[58:59], 0xf4
	s_load_b64 s[0:1], s[58:59], 0x104
	s_wait_kmcnt 0x0
	v_mul_hi_u32 v3, s41, v1
	s_delay_alu instid0(VALU_DEP_1) | instskip(NEXT) | instid1(VALU_DEP_1)
	v_add_nc_u32_e32 v3, v1, v3
	v_lshrrev_b32_e32 v3, s42, v3
	s_delay_alu instid0(VALU_DEP_1) | instskip(NEXT) | instid1(VALU_DEP_1)
	v_mul_lo_u32 v3, v3, s40
	v_sub_nc_u32_e32 v1, v1, v3
	s_delay_alu instid0(VALU_DEP_1)
	v_mad_u32 v2, v1, s36, v2
	v_mad_u32 v4, v1, s37, v4
	;; [unrolled: 1-line block ×6, first 2 shown]
.LBB127_531:
	s_mov_b64 s[42:43], s[10:11]
	s_mov_b32 s50, s4
	s_mov_b32 s48, s5
	s_mov_b64 s[40:41], s[8:9]
	s_cbranch_execnz .LBB127_539
	s_branch .LBB127_537
.LBB127_532:
	s_or_b32 exec_lo, exec_lo, s93
	s_mov_b32 s1, 0
	s_and_saveexec_b32 s6, s92
	s_cbranch_execnz .LBB127_1311
.LBB127_533:
	s_or_b32 exec_lo, exec_lo, s6
	s_and_saveexec_b32 s6, s55
	s_delay_alu instid0(SALU_CYCLE_1)
	s_xor_b32 s6, exec_lo, s6
	s_cbranch_execz .LBB127_1312
.LBB127_534:
	s_wait_loadcnt 0x0
	global_load_u8 v0, v[14:15], off
	s_mov_b32 s7, 0
	s_or_b32 s23, s23, exec_lo
	v_mov_b32_e32 v5, s7
	s_wait_loadcnt 0x0
	v_cmp_ne_u16_e32 vcc_lo, 0, v0
	v_cndmask_b32_e64 v4, 0, 1, vcc_lo
	s_wait_xcnt 0x0
	s_or_b32 exec_lo, exec_lo, s6
	s_and_saveexec_b32 s6, s44
	s_cbranch_execz .LBB127_1358
	s_branch .LBB127_1313
.LBB127_535:
                                        ; implicit-def: $vgpr4
                                        ; implicit-def: $vgpr2
                                        ; implicit-def: $vgpr12
                                        ; implicit-def: $vgpr8
                                        ; implicit-def: $vgpr6
                                        ; implicit-def: $vgpr10
	s_branch .LBB127_537
.LBB127_536:
	s_wait_loadcnt 0x0
	v_dual_mov_b32 v4, 0 :: v_dual_mov_b32 v2, 0
	v_dual_mov_b32 v12, 0 :: v_dual_mov_b32 v8, 0
	;; [unrolled: 1-line block ×3, first 2 shown]
	s_cbranch_execnz .LBB127_539
.LBB127_537:
	v_mov_b32_e32 v1, 0
	s_load_b256 s[4:11], s[2:3], 0xc4
	s_and_not1_b32 vcc_lo, exec_lo, s48
	s_delay_alu instid0(VALU_DEP_1) | instskip(NEXT) | instid1(VALU_DEP_1)
	v_mul_u64_e32 v[2:3], s[54:55], v[0:1]
	v_add_nc_u32_e32 v2, v0, v3
	s_wait_loadcnt 0x0
	s_delay_alu instid0(VALU_DEP_1) | instskip(NEXT) | instid1(VALU_DEP_1)
	v_lshrrev_b32_e32 v14, s14, v2
	v_mul_lo_u32 v2, v14, s12
	s_delay_alu instid0(VALU_DEP_1) | instskip(SKIP_1) | instid1(VALU_DEP_1)
	v_sub_nc_u32_e32 v3, v0, v2
	s_wait_kmcnt 0x0
	v_mul_lo_u32 v4, v3, s5
	v_mul_lo_u32 v2, v3, s4
	;; [unrolled: 1-line block ×6, first 2 shown]
	s_cbranch_vccnz .LBB127_539
; %bb.538:
	v_mov_b32_e32 v15, v1
	s_delay_alu instid0(VALU_DEP_1) | instskip(NEXT) | instid1(VALU_DEP_1)
	v_mul_u64_e32 v[16:17], s[56:57], v[14:15]
	v_add_nc_u32_e32 v1, v14, v17
	s_delay_alu instid0(VALU_DEP_1) | instskip(NEXT) | instid1(VALU_DEP_1)
	v_lshrrev_b32_e32 v1, s79, v1
	v_mul_lo_u32 v1, v1, s15
	s_delay_alu instid0(VALU_DEP_1) | instskip(NEXT) | instid1(VALU_DEP_1)
	v_sub_nc_u32_e32 v1, v14, v1
	v_mad_u32 v2, v1, s10, v2
	v_mad_u32 v4, v1, s11, v4
	;; [unrolled: 1-line block ×6, first 2 shown]
.LBB127_539:
	s_mov_b32 s51, s79
	s_mov_b32 s49, s76
	s_mov_b64 s[78:79], s[14:15]
	s_mov_b32 s76, s12
	s_load_b512 s[4:19], s[2:3], 0x248
	s_wait_loadcnt 0x0
	v_mov_b32_e32 v5, 0
	s_and_b32 s0, s50, 0xff
	s_delay_alu instid0(SALU_CYCLE_1) | instskip(SKIP_1) | instid1(VALU_DEP_1)
	s_cmp_lt_i32 s0, 11
	s_wait_kmcnt 0x0
	v_add_nc_u64_e32 v[14:15], s[6:7], v[4:5]
	s_cbranch_scc1 .LBB127_546
; %bb.540:
	s_and_b32 s35, 0xffff, s0
	s_delay_alu instid0(SALU_CYCLE_1)
	s_cmp_gt_i32 s35, 25
	s_cbranch_scc0 .LBB127_555
; %bb.541:
	s_cmp_gt_i32 s35, 28
	s_cbranch_scc0 .LBB127_557
; %bb.542:
	;; [unrolled: 3-line block ×4, first 2 shown]
	s_cmp_eq_u32 s35, 46
	s_mov_b32 s1, 0
	s_cbranch_scc0 .LBB127_566
; %bb.545:
	global_load_b32 v1, v[14:15], off
	s_mov_b32 s45, -1
	s_mov_b32 s44, 0
	s_wait_loadcnt 0x0
	v_lshlrev_b32_e32 v1, 16, v1
	s_delay_alu instid0(VALU_DEP_1) | instskip(NEXT) | instid1(VALU_DEP_1)
	v_trunc_f32_e32 v1, v1
	v_mul_f32_e64 v3, 0x2f800000, |v1|
	v_ashrrev_i32_e32 v4, 31, v1
	s_delay_alu instid0(VALU_DEP_2) | instskip(NEXT) | instid1(VALU_DEP_1)
	v_floor_f32_e32 v3, v3
	v_fma_f32 v5, 0xcf800000, v3, |v1|
	v_cvt_u32_f32_e32 v1, v3
	s_delay_alu instid0(VALU_DEP_2) | instskip(NEXT) | instid1(VALU_DEP_2)
	v_cvt_u32_f32_e32 v3, v5
	v_dual_mov_b32 v5, v4 :: v_dual_bitop2_b32 v17, v1, v4 bitop3:0x14
	s_delay_alu instid0(VALU_DEP_2) | instskip(NEXT) | instid1(VALU_DEP_1)
	v_xor_b32_e32 v16, v3, v4
	v_sub_nc_u64_e32 v[4:5], v[16:17], v[4:5]
	s_branch .LBB127_568
.LBB127_546:
	s_mov_b32 s45, 0
	s_mov_b32 s44, s92
                                        ; implicit-def: $vgpr4_vgpr5
	s_cbranch_execnz .LBB127_630
.LBB127_547:
	s_and_not1_b32 vcc_lo, exec_lo, s45
	s_cbranch_vccnz .LBB127_678
.LBB127_548:
	s_load_b512 s[4:19], s[2:3], 0x248
	v_mov_b32_e32 v9, 0
	s_and_b32 s0, s82, 0xff
	s_delay_alu instid0(SALU_CYCLE_1) | instskip(SKIP_1) | instid1(VALU_DEP_1)
	s_cmp_lt_i32 s0, 11
	s_wait_kmcnt 0x0
	v_add_nc_u64_e32 v[14:15], s[8:9], v[8:9]
	s_cbranch_scc1 .LBB127_556
; %bb.549:
	s_and_b32 s35, 0xffff, s0
	s_delay_alu instid0(SALU_CYCLE_1)
	s_cmp_gt_i32 s35, 25
	s_cbranch_scc0 .LBB127_558
; %bb.550:
	s_cmp_gt_i32 s35, 28
	s_mov_b64 s[14:15], s[78:79]
	s_mov_b32 s12, s76
	s_cbranch_scc0 .LBB127_561
; %bb.551:
	s_cmp_gt_i32 s35, 43
	s_cbranch_scc0 .LBB127_564
; %bb.552:
	s_cmp_gt_i32 s35, 45
	s_cbranch_scc0 .LBB127_571
; %bb.553:
	s_cmp_eq_u32 s35, 46
	s_mov_b32 s1, 0
	s_cbranch_scc0 .LBB127_681
; %bb.554:
	global_load_b32 v1, v[14:15], off
	s_mov_b32 s46, -1
	s_mov_b32 s45, 0
	s_wait_loadcnt 0x0
	v_lshlrev_b32_e32 v1, 16, v1
	s_delay_alu instid0(VALU_DEP_1) | instskip(NEXT) | instid1(VALU_DEP_1)
	v_trunc_f32_e32 v1, v1
	v_mul_f32_e64 v3, 0x2f800000, |v1|
	v_ashrrev_i32_e32 v8, 31, v1
	s_delay_alu instid0(VALU_DEP_2) | instskip(NEXT) | instid1(VALU_DEP_2)
	v_floor_f32_e32 v3, v3
	v_mov_b32_e32 v9, v8
	s_delay_alu instid0(VALU_DEP_2) | instskip(SKIP_1) | instid1(VALU_DEP_2)
	v_fma_f32 v7, 0xcf800000, v3, |v1|
	v_cvt_u32_f32_e32 v1, v3
	v_cvt_u32_f32_e32 v3, v7
	s_delay_alu instid0(VALU_DEP_2) | instskip(NEXT) | instid1(VALU_DEP_2)
	v_xor_b32_e32 v17, v1, v8
	v_xor_b32_e32 v16, v3, v8
	s_delay_alu instid0(VALU_DEP_1)
	v_sub_nc_u64_e32 v[8:9], v[16:17], v[8:9]
	s_branch .LBB127_683
.LBB127_555:
	s_mov_b32 s1, -1
	s_mov_b32 s45, 0
	s_mov_b32 s44, s92
                                        ; implicit-def: $vgpr4_vgpr5
	s_branch .LBB127_596
.LBB127_556:
	s_mov_b32 s1, -1
	s_mov_b32 s46, 0
	s_mov_b32 s45, s91
                                        ; implicit-def: $vgpr8_vgpr9
	s_mov_b64 s[14:15], s[78:79]
	s_mov_b32 s12, s76
	s_branch .LBB127_744
.LBB127_557:
	s_mov_b32 s1, -1
	s_mov_b32 s45, 0
	s_mov_b32 s44, s92
                                        ; implicit-def: $vgpr4_vgpr5
	s_branch .LBB127_579
.LBB127_558:
	s_mov_b32 s1, -1
	s_mov_b32 s46, 0
	s_mov_b32 s45, s91
	s_mov_b64 s[14:15], s[78:79]
	s_mov_b32 s12, s76
                                        ; implicit-def: $vgpr8_vgpr9
	s_branch .LBB127_710
.LBB127_559:
	s_mov_b32 s1, -1
	s_mov_b32 s88, 0
	s_mov_b32 s58, 0
                                        ; implicit-def: $vgpr14_vgpr15
	s_mov_b64 s[14:15], s[94:95]
	s_mov_b32 s12, s92
	s_branch .LBB127_2790
.LBB127_560:
	s_mov_b32 s1, -1
	s_mov_b32 s45, 0
	s_mov_b32 s44, s92
                                        ; implicit-def: $vgpr4_vgpr5
	s_branch .LBB127_574
.LBB127_561:
	s_mov_b32 s1, -1
	s_mov_b32 s46, 0
	s_mov_b32 s45, s91
                                        ; implicit-def: $vgpr8_vgpr9
	s_branch .LBB127_693
.LBB127_562:
	s_mov_b32 s1, -1
	s_mov_b32 s88, 0
	s_mov_b32 s58, 0
	s_mov_b64 s[14:15], s[94:95]
	s_mov_b32 s12, s92
                                        ; implicit-def: $vgpr14_vgpr15
	s_branch .LBB127_2756
.LBB127_563:
	s_mov_b32 s1, -1
	s_mov_b32 s45, 0
	s_mov_b32 s44, s92
	s_branch .LBB127_567
.LBB127_564:
	s_mov_b32 s1, -1
	s_mov_b32 s46, 0
	s_mov_b32 s45, s91
                                        ; implicit-def: $vgpr8_vgpr9
	s_branch .LBB127_688
.LBB127_565:
	s_mov_b32 s1, -1
	s_mov_b32 s88, 0
	s_mov_b32 s58, 0
                                        ; implicit-def: $vgpr14_vgpr15
	s_branch .LBB127_2739
.LBB127_566:
	s_mov_b32 s44, -1
	s_mov_b32 s45, 0
.LBB127_567:
                                        ; implicit-def: $vgpr4_vgpr5
.LBB127_568:
	s_and_b32 vcc_lo, exec_lo, s1
	s_cbranch_vccz .LBB127_573
; %bb.569:
	s_cmp_eq_u32 s35, 44
	s_cbranch_scc0 .LBB127_572
; %bb.570:
	global_load_u8 v1, v[14:15], off
	s_mov_b32 s44, 0
	s_mov_b32 s45, -1
	s_wait_loadcnt 0x0
	v_lshlrev_b32_e32 v3, 23, v1
	v_cmp_ne_u32_e32 vcc_lo, 0, v1
	s_delay_alu instid0(VALU_DEP_2) | instskip(NEXT) | instid1(VALU_DEP_1)
	v_trunc_f32_e32 v3, v3
	v_mul_f32_e64 v4, 0x2f800000, |v3|
	s_delay_alu instid0(VALU_DEP_1) | instskip(SKIP_1) | instid1(VALU_DEP_2)
	v_floor_f32_e32 v5, v4
	v_ashrrev_i32_e32 v4, 31, v3
	v_fma_f32 v7, 0xcf800000, v5, |v3|
	v_cvt_u32_f32_e32 v3, v5
	s_delay_alu instid0(VALU_DEP_3) | instskip(NEXT) | instid1(VALU_DEP_3)
	v_mov_b32_e32 v5, v4
	v_cvt_u32_f32_e32 v7, v7
	s_delay_alu instid0(VALU_DEP_3) | instskip(NEXT) | instid1(VALU_DEP_2)
	v_xor_b32_e32 v17, v3, v4
	v_xor_b32_e32 v16, v7, v4
	s_delay_alu instid0(VALU_DEP_1) | instskip(NEXT) | instid1(VALU_DEP_1)
	v_sub_nc_u64_e32 v[4:5], v[16:17], v[4:5]
	v_dual_cndmask_b32 v5, 0, v5 :: v_dual_cndmask_b32 v4, 0, v4
	s_branch .LBB127_573
.LBB127_571:
	s_mov_b32 s1, -1
	s_mov_b32 s46, 0
	s_mov_b32 s45, s91
	s_branch .LBB127_682
.LBB127_572:
	s_mov_b32 s44, -1
                                        ; implicit-def: $vgpr4_vgpr5
.LBB127_573:
	s_mov_b32 s1, 0
.LBB127_574:
	s_delay_alu instid0(SALU_CYCLE_1)
	s_and_b32 vcc_lo, exec_lo, s1
	s_cbranch_vccz .LBB127_578
; %bb.575:
	s_cmp_eq_u32 s35, 29
	s_cbranch_scc0 .LBB127_577
; %bb.576:
	global_load_b64 v[4:5], v[14:15], off
	s_mov_b32 s45, -1
	s_mov_b32 s44, 0
	s_branch .LBB127_578
.LBB127_577:
	s_mov_b32 s44, -1
                                        ; implicit-def: $vgpr4_vgpr5
.LBB127_578:
	s_mov_b32 s1, 0
.LBB127_579:
	s_delay_alu instid0(SALU_CYCLE_1)
	s_and_b32 vcc_lo, exec_lo, s1
	s_cbranch_vccz .LBB127_595
; %bb.580:
	s_cmp_lt_i32 s35, 27
	s_cbranch_scc1 .LBB127_583
; %bb.581:
	s_cmp_gt_i32 s35, 27
	s_cbranch_scc0 .LBB127_584
; %bb.582:
	s_wait_loadcnt 0x0
	global_load_b32 v4, v[14:15], off
	v_mov_b32_e32 v5, 0
	s_mov_b32 s1, 0
	s_branch .LBB127_585
.LBB127_583:
	s_mov_b32 s1, -1
                                        ; implicit-def: $vgpr4_vgpr5
	s_branch .LBB127_588
.LBB127_584:
	s_mov_b32 s1, -1
                                        ; implicit-def: $vgpr4_vgpr5
.LBB127_585:
	s_delay_alu instid0(SALU_CYCLE_1)
	s_and_not1_b32 vcc_lo, exec_lo, s1
	s_cbranch_vccnz .LBB127_587
; %bb.586:
	global_load_u16 v1, v[14:15], off
	s_mov_b32 s1, 0
	s_wait_loadcnt 0x1
	v_mov_b32_e32 v5, s1
	s_wait_loadcnt 0x0
	v_and_b32_e32 v4, 0xffff, v1
.LBB127_587:
	s_mov_b32 s1, 0
.LBB127_588:
	s_delay_alu instid0(SALU_CYCLE_1)
	s_and_not1_b32 vcc_lo, exec_lo, s1
	s_cbranch_vccnz .LBB127_594
; %bb.589:
	global_load_u8 v1, v[14:15], off
	s_mov_b32 s45, 0
	s_mov_b32 s1, exec_lo
	s_wait_loadcnt 0x0
	v_cmpx_lt_i16_e32 0x7f, v1
	s_xor_b32 s1, exec_lo, s1
	s_cbranch_execz .LBB127_606
; %bb.590:
	v_cmp_ne_u16_e32 vcc_lo, 0x80, v1
	s_and_b32 s45, vcc_lo, exec_lo
	s_and_not1_saveexec_b32 s1, s1
	s_cbranch_execnz .LBB127_607
.LBB127_591:
	s_or_b32 exec_lo, exec_lo, s1
	v_mov_b64_e32 v[4:5], 0
	s_and_saveexec_b32 s1, s45
	s_cbranch_execz .LBB127_593
.LBB127_592:
	v_and_b32_e32 v3, 0xffff, v1
	s_delay_alu instid0(VALU_DEP_1) | instskip(SKIP_1) | instid1(VALU_DEP_2)
	v_and_b32_e32 v4, 7, v3
	v_bfe_u32 v9, v3, 3, 4
	v_clz_i32_u32_e32 v5, v4
	s_delay_alu instid0(VALU_DEP_2) | instskip(NEXT) | instid1(VALU_DEP_2)
	v_cmp_eq_u32_e32 vcc_lo, 0, v9
	v_min_u32_e32 v5, 32, v5
	s_delay_alu instid0(VALU_DEP_1) | instskip(NEXT) | instid1(VALU_DEP_1)
	v_subrev_nc_u32_e32 v7, 28, v5
	v_dual_lshlrev_b32 v3, v7, v3 :: v_dual_sub_nc_u32 v5, 29, v5
	s_delay_alu instid0(VALU_DEP_1) | instskip(NEXT) | instid1(VALU_DEP_1)
	v_dual_lshlrev_b32 v1, 24, v1 :: v_dual_bitop2_b32 v3, 7, v3 bitop3:0x40
	v_dual_cndmask_b32 v3, v4, v3, vcc_lo :: v_dual_cndmask_b32 v5, v9, v5, vcc_lo
	s_delay_alu instid0(VALU_DEP_2) | instskip(NEXT) | instid1(VALU_DEP_2)
	v_and_b32_e32 v1, 0x80000000, v1
	v_lshlrev_b32_e32 v3, 20, v3
	s_delay_alu instid0(VALU_DEP_3) | instskip(NEXT) | instid1(VALU_DEP_1)
	v_lshl_add_u32 v4, v5, 23, 0x3b800000
	v_or3_b32 v1, v1, v4, v3
	s_delay_alu instid0(VALU_DEP_1) | instskip(NEXT) | instid1(VALU_DEP_1)
	v_trunc_f32_e32 v1, v1
	v_mul_f32_e64 v3, 0x2f800000, |v1|
	v_ashrrev_i32_e32 v4, 31, v1
	s_delay_alu instid0(VALU_DEP_2) | instskip(NEXT) | instid1(VALU_DEP_1)
	v_floor_f32_e32 v3, v3
	v_fma_f32 v5, 0xcf800000, v3, |v1|
	v_cvt_u32_f32_e32 v1, v3
	s_delay_alu instid0(VALU_DEP_2) | instskip(NEXT) | instid1(VALU_DEP_2)
	v_cvt_u32_f32_e32 v3, v5
	v_dual_mov_b32 v5, v4 :: v_dual_bitop2_b32 v17, v1, v4 bitop3:0x14
	s_delay_alu instid0(VALU_DEP_2) | instskip(NEXT) | instid1(VALU_DEP_1)
	v_xor_b32_e32 v16, v3, v4
	v_sub_nc_u64_e32 v[4:5], v[16:17], v[4:5]
.LBB127_593:
	s_or_b32 exec_lo, exec_lo, s1
.LBB127_594:
	s_mov_b32 s45, -1
.LBB127_595:
	s_mov_b32 s1, 0
.LBB127_596:
	s_delay_alu instid0(SALU_CYCLE_1)
	s_and_b32 vcc_lo, exec_lo, s1
	s_cbranch_vccz .LBB127_629
; %bb.597:
	s_cmp_gt_i32 s35, 22
	s_cbranch_scc0 .LBB127_605
; %bb.598:
	s_cmp_lt_i32 s35, 24
	s_cbranch_scc1 .LBB127_608
; %bb.599:
	s_cmp_gt_i32 s35, 24
	s_cbranch_scc0 .LBB127_609
; %bb.600:
	global_load_u8 v1, v[14:15], off
	s_mov_b32 s45, 0
	s_mov_b32 s1, exec_lo
	s_wait_loadcnt 0x0
	v_cmpx_lt_i16_e32 0x7f, v1
	s_xor_b32 s1, exec_lo, s1
	s_cbranch_execz .LBB127_621
; %bb.601:
	v_cmp_ne_u16_e32 vcc_lo, 0x80, v1
	s_and_b32 s45, vcc_lo, exec_lo
	s_and_not1_saveexec_b32 s1, s1
	s_cbranch_execnz .LBB127_622
.LBB127_602:
	s_or_b32 exec_lo, exec_lo, s1
	v_mov_b64_e32 v[4:5], 0
	s_and_saveexec_b32 s1, s45
	s_cbranch_execz .LBB127_604
.LBB127_603:
	v_and_b32_e32 v3, 0xffff, v1
	s_delay_alu instid0(VALU_DEP_1) | instskip(SKIP_1) | instid1(VALU_DEP_2)
	v_and_b32_e32 v4, 3, v3
	v_bfe_u32 v9, v3, 2, 5
	v_clz_i32_u32_e32 v5, v4
	s_delay_alu instid0(VALU_DEP_2) | instskip(NEXT) | instid1(VALU_DEP_2)
	v_cmp_eq_u32_e32 vcc_lo, 0, v9
	v_min_u32_e32 v5, 32, v5
	s_delay_alu instid0(VALU_DEP_1) | instskip(NEXT) | instid1(VALU_DEP_1)
	v_subrev_nc_u32_e32 v7, 29, v5
	v_dual_lshlrev_b32 v3, v7, v3 :: v_dual_sub_nc_u32 v5, 30, v5
	s_delay_alu instid0(VALU_DEP_1) | instskip(NEXT) | instid1(VALU_DEP_1)
	v_dual_lshlrev_b32 v1, 24, v1 :: v_dual_bitop2_b32 v3, 3, v3 bitop3:0x40
	v_dual_cndmask_b32 v3, v4, v3, vcc_lo :: v_dual_cndmask_b32 v5, v9, v5, vcc_lo
	s_delay_alu instid0(VALU_DEP_2) | instskip(NEXT) | instid1(VALU_DEP_2)
	v_and_b32_e32 v1, 0x80000000, v1
	v_lshlrev_b32_e32 v3, 21, v3
	s_delay_alu instid0(VALU_DEP_3) | instskip(NEXT) | instid1(VALU_DEP_1)
	v_lshl_add_u32 v4, v5, 23, 0x37800000
	v_or3_b32 v1, v1, v4, v3
	s_delay_alu instid0(VALU_DEP_1) | instskip(NEXT) | instid1(VALU_DEP_1)
	v_trunc_f32_e32 v1, v1
	v_mul_f32_e64 v3, 0x2f800000, |v1|
	v_ashrrev_i32_e32 v4, 31, v1
	s_delay_alu instid0(VALU_DEP_2) | instskip(NEXT) | instid1(VALU_DEP_1)
	v_floor_f32_e32 v3, v3
	v_fma_f32 v5, 0xcf800000, v3, |v1|
	v_cvt_u32_f32_e32 v1, v3
	s_delay_alu instid0(VALU_DEP_2) | instskip(NEXT) | instid1(VALU_DEP_2)
	v_cvt_u32_f32_e32 v3, v5
	v_dual_mov_b32 v5, v4 :: v_dual_bitop2_b32 v17, v1, v4 bitop3:0x14
	s_delay_alu instid0(VALU_DEP_2) | instskip(NEXT) | instid1(VALU_DEP_1)
	v_xor_b32_e32 v16, v3, v4
	v_sub_nc_u64_e32 v[4:5], v[16:17], v[4:5]
.LBB127_604:
	s_or_b32 exec_lo, exec_lo, s1
	s_mov_b32 s1, 0
	s_branch .LBB127_610
.LBB127_605:
	s_mov_b32 s1, -1
                                        ; implicit-def: $vgpr4_vgpr5
	s_branch .LBB127_616
.LBB127_606:
	s_and_not1_saveexec_b32 s1, s1
	s_cbranch_execz .LBB127_591
.LBB127_607:
	v_cmp_ne_u16_e32 vcc_lo, 0, v1
	s_and_not1_b32 s36, s45, exec_lo
	s_and_b32 s37, vcc_lo, exec_lo
	s_delay_alu instid0(SALU_CYCLE_1)
	s_or_b32 s45, s36, s37
	s_or_b32 exec_lo, exec_lo, s1
	v_mov_b64_e32 v[4:5], 0
	s_and_saveexec_b32 s1, s45
	s_cbranch_execnz .LBB127_592
	s_branch .LBB127_593
.LBB127_608:
	s_mov_b32 s1, -1
                                        ; implicit-def: $vgpr4_vgpr5
	s_branch .LBB127_613
.LBB127_609:
	s_mov_b32 s1, -1
                                        ; implicit-def: $vgpr4_vgpr5
.LBB127_610:
	s_delay_alu instid0(SALU_CYCLE_1)
	s_and_b32 vcc_lo, exec_lo, s1
	s_cbranch_vccz .LBB127_612
; %bb.611:
	global_load_u8 v1, v[14:15], off
	s_wait_loadcnt 0x0
	v_lshlrev_b32_e32 v1, 24, v1
	s_delay_alu instid0(VALU_DEP_1) | instskip(NEXT) | instid1(VALU_DEP_1)
	v_and_b32_e32 v3, 0x7f000000, v1
	v_clz_i32_u32_e32 v4, v3
	v_add_nc_u32_e32 v7, 0x1000000, v3
	v_cmp_ne_u32_e32 vcc_lo, 0, v3
	s_delay_alu instid0(VALU_DEP_3) | instskip(NEXT) | instid1(VALU_DEP_1)
	v_min_u32_e32 v4, 32, v4
	v_sub_nc_u32_e64 v4, v4, 4 clamp
	s_delay_alu instid0(VALU_DEP_1) | instskip(NEXT) | instid1(VALU_DEP_1)
	v_dual_lshlrev_b32 v5, v4, v3 :: v_dual_lshlrev_b32 v4, 23, v4
	v_lshrrev_b32_e32 v5, 4, v5
	s_delay_alu instid0(VALU_DEP_1) | instskip(NEXT) | instid1(VALU_DEP_1)
	v_dual_sub_nc_u32 v4, v5, v4 :: v_dual_ashrrev_i32 v5, 8, v7
	v_add_nc_u32_e32 v4, 0x3c000000, v4
	s_delay_alu instid0(VALU_DEP_1) | instskip(NEXT) | instid1(VALU_DEP_1)
	v_and_or_b32 v4, 0x7f800000, v5, v4
	v_cndmask_b32_e32 v3, 0, v4, vcc_lo
	s_delay_alu instid0(VALU_DEP_1) | instskip(NEXT) | instid1(VALU_DEP_1)
	v_and_or_b32 v1, 0x80000000, v1, v3
	v_trunc_f32_e32 v1, v1
	s_delay_alu instid0(VALU_DEP_1) | instskip(SKIP_1) | instid1(VALU_DEP_2)
	v_mul_f32_e64 v3, 0x2f800000, |v1|
	v_ashrrev_i32_e32 v4, 31, v1
	v_floor_f32_e32 v3, v3
	s_delay_alu instid0(VALU_DEP_1) | instskip(SKIP_1) | instid1(VALU_DEP_2)
	v_fma_f32 v5, 0xcf800000, v3, |v1|
	v_cvt_u32_f32_e32 v1, v3
	v_cvt_u32_f32_e32 v3, v5
	s_delay_alu instid0(VALU_DEP_2) | instskip(NEXT) | instid1(VALU_DEP_2)
	v_dual_mov_b32 v5, v4 :: v_dual_bitop2_b32 v17, v1, v4 bitop3:0x14
	v_xor_b32_e32 v16, v3, v4
	s_delay_alu instid0(VALU_DEP_1)
	v_sub_nc_u64_e32 v[4:5], v[16:17], v[4:5]
.LBB127_612:
	s_mov_b32 s1, 0
.LBB127_613:
	s_delay_alu instid0(SALU_CYCLE_1)
	s_and_not1_b32 vcc_lo, exec_lo, s1
	s_cbranch_vccnz .LBB127_615
; %bb.614:
	global_load_u8 v1, v[14:15], off
	s_wait_loadcnt 0x0
	v_lshlrev_b32_e32 v3, 25, v1
	v_lshlrev_b16 v1, 8, v1
	s_delay_alu instid0(VALU_DEP_1) | instskip(NEXT) | instid1(VALU_DEP_3)
	v_and_or_b32 v5, 0x7f00, v1, 0.5
	v_lshrrev_b32_e32 v4, 4, v3
	v_bfe_i32 v1, v1, 0, 16
	s_delay_alu instid0(VALU_DEP_3) | instskip(NEXT) | instid1(VALU_DEP_3)
	v_add_f32_e32 v5, -0.5, v5
	v_or_b32_e32 v4, 0x70000000, v4
	s_delay_alu instid0(VALU_DEP_1) | instskip(SKIP_1) | instid1(VALU_DEP_2)
	v_mul_f32_e32 v4, 0x7800000, v4
	v_cmp_gt_u32_e32 vcc_lo, 0x8000000, v3
	v_cndmask_b32_e32 v3, v4, v5, vcc_lo
	s_delay_alu instid0(VALU_DEP_1) | instskip(NEXT) | instid1(VALU_DEP_1)
	v_and_or_b32 v1, 0x80000000, v1, v3
	v_trunc_f32_e32 v1, v1
	s_delay_alu instid0(VALU_DEP_1) | instskip(SKIP_1) | instid1(VALU_DEP_2)
	v_mul_f32_e64 v3, 0x2f800000, |v1|
	v_ashrrev_i32_e32 v4, 31, v1
	v_floor_f32_e32 v3, v3
	s_delay_alu instid0(VALU_DEP_1) | instskip(SKIP_1) | instid1(VALU_DEP_2)
	v_fma_f32 v5, 0xcf800000, v3, |v1|
	v_cvt_u32_f32_e32 v1, v3
	v_cvt_u32_f32_e32 v3, v5
	s_delay_alu instid0(VALU_DEP_2) | instskip(NEXT) | instid1(VALU_DEP_2)
	v_dual_mov_b32 v5, v4 :: v_dual_bitop2_b32 v17, v1, v4 bitop3:0x14
	v_xor_b32_e32 v16, v3, v4
	s_delay_alu instid0(VALU_DEP_1)
	v_sub_nc_u64_e32 v[4:5], v[16:17], v[4:5]
.LBB127_615:
	s_mov_b32 s1, 0
	s_mov_b32 s45, -1
.LBB127_616:
	s_and_not1_b32 vcc_lo, exec_lo, s1
	s_cbranch_vccnz .LBB127_629
; %bb.617:
	s_cmp_gt_i32 s35, 14
	s_cbranch_scc0 .LBB127_620
; %bb.618:
	s_cmp_eq_u32 s35, 15
	s_cbranch_scc0 .LBB127_623
; %bb.619:
	global_load_u16 v1, v[14:15], off
	s_mov_b32 s45, -1
	s_mov_b32 s44, 0
	s_wait_loadcnt 0x0
	v_lshlrev_b32_e32 v1, 16, v1
	s_delay_alu instid0(VALU_DEP_1) | instskip(NEXT) | instid1(VALU_DEP_1)
	v_trunc_f32_e32 v1, v1
	v_mul_f32_e64 v3, 0x2f800000, |v1|
	v_ashrrev_i32_e32 v4, 31, v1
	s_delay_alu instid0(VALU_DEP_2) | instskip(NEXT) | instid1(VALU_DEP_1)
	v_floor_f32_e32 v3, v3
	v_fma_f32 v5, 0xcf800000, v3, |v1|
	v_cvt_u32_f32_e32 v1, v3
	s_delay_alu instid0(VALU_DEP_2) | instskip(NEXT) | instid1(VALU_DEP_2)
	v_cvt_u32_f32_e32 v3, v5
	v_dual_mov_b32 v5, v4 :: v_dual_bitop2_b32 v17, v1, v4 bitop3:0x14
	s_delay_alu instid0(VALU_DEP_2) | instskip(NEXT) | instid1(VALU_DEP_1)
	v_xor_b32_e32 v16, v3, v4
	v_sub_nc_u64_e32 v[4:5], v[16:17], v[4:5]
	s_branch .LBB127_624
.LBB127_620:
	s_mov_b32 s1, -1
                                        ; implicit-def: $vgpr4_vgpr5
	s_branch .LBB127_625
.LBB127_621:
	s_and_not1_saveexec_b32 s1, s1
	s_cbranch_execz .LBB127_602
.LBB127_622:
	v_cmp_ne_u16_e32 vcc_lo, 0, v1
	s_and_not1_b32 s36, s45, exec_lo
	s_and_b32 s37, vcc_lo, exec_lo
	s_delay_alu instid0(SALU_CYCLE_1)
	s_or_b32 s45, s36, s37
	s_or_b32 exec_lo, exec_lo, s1
	v_mov_b64_e32 v[4:5], 0
	s_and_saveexec_b32 s1, s45
	s_cbranch_execnz .LBB127_603
	s_branch .LBB127_604
.LBB127_623:
	s_mov_b32 s44, -1
                                        ; implicit-def: $vgpr4_vgpr5
.LBB127_624:
	s_mov_b32 s1, 0
.LBB127_625:
	s_delay_alu instid0(SALU_CYCLE_1)
	s_and_b32 vcc_lo, exec_lo, s1
	s_cbranch_vccz .LBB127_629
; %bb.626:
	s_cmp_eq_u32 s35, 11
	s_cbranch_scc0 .LBB127_628
; %bb.627:
	global_load_u8 v1, v[14:15], off
	s_mov_b32 s44, 0
	s_mov_b32 s45, -1
	s_wait_loadcnt 0x1
	v_mov_b32_e32 v5, s44
	s_wait_loadcnt 0x0
	v_cmp_ne_u16_e32 vcc_lo, 0, v1
	v_cndmask_b32_e64 v4, 0, 1, vcc_lo
	s_branch .LBB127_629
.LBB127_628:
	s_mov_b32 s44, -1
                                        ; implicit-def: $vgpr4_vgpr5
.LBB127_629:
	s_branch .LBB127_547
.LBB127_630:
	s_and_b32 s0, 0xffff, s0
	s_delay_alu instid0(SALU_CYCLE_1)
	s_cmp_lt_i32 s0, 5
	s_cbranch_scc1 .LBB127_635
; %bb.631:
	s_cmp_lt_i32 s0, 8
	s_cbranch_scc1 .LBB127_636
; %bb.632:
	;; [unrolled: 3-line block ×3, first 2 shown]
	s_cmp_gt_i32 s0, 9
	s_cbranch_scc0 .LBB127_638
; %bb.634:
	s_wait_loadcnt 0x0
	global_load_b64 v[4:5], v[14:15], off
	s_mov_b32 s1, 0
	s_wait_loadcnt 0x0
	v_trunc_f64_e32 v[4:5], v[4:5]
	s_delay_alu instid0(VALU_DEP_1) | instskip(NEXT) | instid1(VALU_DEP_1)
	v_ldexp_f64 v[16:17], v[4:5], 0xffffffe0
	v_floor_f64_e32 v[16:17], v[16:17]
	s_delay_alu instid0(VALU_DEP_1) | instskip(SKIP_1) | instid1(VALU_DEP_2)
	v_fmamk_f64 v[18:19], v[16:17], 0xc1f00000, v[4:5]
	v_cvt_i32_f64_e32 v5, v[16:17]
	v_cvt_u32_f64_e32 v4, v[18:19]
	s_branch .LBB127_639
.LBB127_635:
	s_mov_b32 s1, -1
                                        ; implicit-def: $vgpr4_vgpr5
	s_branch .LBB127_657
.LBB127_636:
	s_mov_b32 s1, -1
                                        ; implicit-def: $vgpr4_vgpr5
	s_branch .LBB127_645
.LBB127_637:
	s_mov_b32 s1, -1
                                        ; implicit-def: $vgpr4_vgpr5
	s_branch .LBB127_642
.LBB127_638:
	s_mov_b32 s1, -1
                                        ; implicit-def: $vgpr4_vgpr5
.LBB127_639:
	s_delay_alu instid0(SALU_CYCLE_1)
	s_and_not1_b32 vcc_lo, exec_lo, s1
	s_cbranch_vccnz .LBB127_641
; %bb.640:
	global_load_b32 v1, v[14:15], off
	s_wait_loadcnt 0x0
	v_trunc_f32_e32 v1, v1
	s_delay_alu instid0(VALU_DEP_1) | instskip(SKIP_1) | instid1(VALU_DEP_2)
	v_mul_f32_e64 v3, 0x2f800000, |v1|
	v_ashrrev_i32_e32 v4, 31, v1
	v_floor_f32_e32 v3, v3
	s_delay_alu instid0(VALU_DEP_1) | instskip(SKIP_1) | instid1(VALU_DEP_2)
	v_fma_f32 v5, 0xcf800000, v3, |v1|
	v_cvt_u32_f32_e32 v1, v3
	v_cvt_u32_f32_e32 v3, v5
	s_delay_alu instid0(VALU_DEP_2) | instskip(NEXT) | instid1(VALU_DEP_2)
	v_dual_mov_b32 v5, v4 :: v_dual_bitop2_b32 v17, v1, v4 bitop3:0x14
	v_xor_b32_e32 v16, v3, v4
	s_delay_alu instid0(VALU_DEP_1)
	v_sub_nc_u64_e32 v[4:5], v[16:17], v[4:5]
.LBB127_641:
	s_mov_b32 s1, 0
.LBB127_642:
	s_delay_alu instid0(SALU_CYCLE_1)
	s_and_not1_b32 vcc_lo, exec_lo, s1
	s_cbranch_vccnz .LBB127_644
; %bb.643:
	global_load_b32 v1, v[14:15], off
	s_wait_loadcnt 0x0
	v_cvt_f32_f16_e32 v1, v1
	s_delay_alu instid0(VALU_DEP_1) | instskip(NEXT) | instid1(VALU_DEP_1)
	v_cvt_i32_f32_e32 v4, v1
	v_ashrrev_i32_e32 v5, 31, v4
.LBB127_644:
	s_mov_b32 s1, 0
.LBB127_645:
	s_delay_alu instid0(SALU_CYCLE_1)
	s_and_not1_b32 vcc_lo, exec_lo, s1
	s_cbranch_vccnz .LBB127_656
; %bb.646:
	s_cmp_lt_i32 s0, 6
	s_cbranch_scc1 .LBB127_649
; %bb.647:
	s_cmp_gt_i32 s0, 6
	s_cbranch_scc0 .LBB127_650
; %bb.648:
	s_wait_loadcnt 0x0
	global_load_b64 v[4:5], v[14:15], off
	s_mov_b32 s1, 0
	s_wait_loadcnt 0x0
	v_trunc_f64_e32 v[4:5], v[4:5]
	s_delay_alu instid0(VALU_DEP_1) | instskip(NEXT) | instid1(VALU_DEP_1)
	v_ldexp_f64 v[16:17], v[4:5], 0xffffffe0
	v_floor_f64_e32 v[16:17], v[16:17]
	s_delay_alu instid0(VALU_DEP_1) | instskip(SKIP_1) | instid1(VALU_DEP_2)
	v_fmamk_f64 v[18:19], v[16:17], 0xc1f00000, v[4:5]
	v_cvt_i32_f64_e32 v5, v[16:17]
	v_cvt_u32_f64_e32 v4, v[18:19]
	s_branch .LBB127_651
.LBB127_649:
	s_mov_b32 s1, -1
                                        ; implicit-def: $vgpr4_vgpr5
	s_branch .LBB127_654
.LBB127_650:
	s_mov_b32 s1, -1
                                        ; implicit-def: $vgpr4_vgpr5
.LBB127_651:
	s_delay_alu instid0(SALU_CYCLE_1)
	s_and_not1_b32 vcc_lo, exec_lo, s1
	s_cbranch_vccnz .LBB127_653
; %bb.652:
	global_load_b32 v1, v[14:15], off
	s_wait_loadcnt 0x0
	v_trunc_f32_e32 v1, v1
	s_delay_alu instid0(VALU_DEP_1) | instskip(SKIP_1) | instid1(VALU_DEP_2)
	v_mul_f32_e64 v3, 0x2f800000, |v1|
	v_ashrrev_i32_e32 v4, 31, v1
	v_floor_f32_e32 v3, v3
	s_delay_alu instid0(VALU_DEP_1) | instskip(SKIP_1) | instid1(VALU_DEP_2)
	v_fma_f32 v5, 0xcf800000, v3, |v1|
	v_cvt_u32_f32_e32 v1, v3
	v_cvt_u32_f32_e32 v3, v5
	s_delay_alu instid0(VALU_DEP_2) | instskip(NEXT) | instid1(VALU_DEP_2)
	v_dual_mov_b32 v5, v4 :: v_dual_bitop2_b32 v17, v1, v4 bitop3:0x14
	v_xor_b32_e32 v16, v3, v4
	s_delay_alu instid0(VALU_DEP_1)
	v_sub_nc_u64_e32 v[4:5], v[16:17], v[4:5]
.LBB127_653:
	s_mov_b32 s1, 0
.LBB127_654:
	s_delay_alu instid0(SALU_CYCLE_1)
	s_and_not1_b32 vcc_lo, exec_lo, s1
	s_cbranch_vccnz .LBB127_656
; %bb.655:
	global_load_u16 v1, v[14:15], off
	s_wait_loadcnt 0x0
	v_cvt_f32_f16_e32 v1, v1
	s_delay_alu instid0(VALU_DEP_1) | instskip(NEXT) | instid1(VALU_DEP_1)
	v_cvt_i32_f32_e32 v4, v1
	v_ashrrev_i32_e32 v5, 31, v4
.LBB127_656:
	s_mov_b32 s1, 0
.LBB127_657:
	s_delay_alu instid0(SALU_CYCLE_1)
	s_and_not1_b32 vcc_lo, exec_lo, s1
	s_cbranch_vccnz .LBB127_677
; %bb.658:
	s_cmp_lt_i32 s0, 2
	s_cbranch_scc1 .LBB127_662
; %bb.659:
	s_cmp_lt_i32 s0, 3
	s_cbranch_scc1 .LBB127_663
; %bb.660:
	s_cmp_gt_i32 s0, 3
	s_cbranch_scc0 .LBB127_664
; %bb.661:
	s_wait_loadcnt 0x0
	global_load_b64 v[4:5], v[14:15], off
	s_mov_b32 s1, 0
	s_branch .LBB127_665
.LBB127_662:
	s_mov_b32 s1, -1
                                        ; implicit-def: $vgpr4_vgpr5
	s_branch .LBB127_671
.LBB127_663:
	s_mov_b32 s1, -1
                                        ; implicit-def: $vgpr4_vgpr5
	s_branch .LBB127_668
.LBB127_664:
	s_mov_b32 s1, -1
                                        ; implicit-def: $vgpr4_vgpr5
.LBB127_665:
	s_delay_alu instid0(SALU_CYCLE_1)
	s_and_not1_b32 vcc_lo, exec_lo, s1
	s_cbranch_vccnz .LBB127_667
; %bb.666:
	s_wait_loadcnt 0x0
	global_load_b32 v4, v[14:15], off
	s_wait_loadcnt 0x0
	v_ashrrev_i32_e32 v5, 31, v4
.LBB127_667:
	s_mov_b32 s1, 0
.LBB127_668:
	s_delay_alu instid0(SALU_CYCLE_1)
	s_and_not1_b32 vcc_lo, exec_lo, s1
	s_cbranch_vccnz .LBB127_670
; %bb.669:
	global_load_u16 v1, v[14:15], off
	s_wait_loadcnt 0x0
	v_bfe_i32 v4, v1, 0, 16
	s_delay_alu instid0(VALU_DEP_1)
	v_ashrrev_i32_e32 v5, 31, v4
.LBB127_670:
	s_mov_b32 s1, 0
.LBB127_671:
	s_delay_alu instid0(SALU_CYCLE_1)
	s_and_not1_b32 vcc_lo, exec_lo, s1
	s_cbranch_vccnz .LBB127_677
; %bb.672:
	s_cmp_gt_i32 s0, 0
	s_mov_b32 s0, 0
	s_cbranch_scc0 .LBB127_674
; %bb.673:
	global_load_i8 v1, v[14:15], off
	s_wait_loadcnt 0x0
	v_bfe_i32 v4, v1, 0, 16
	s_delay_alu instid0(VALU_DEP_1)
	v_ashrrev_i32_e32 v5, 31, v4
	s_branch .LBB127_675
.LBB127_674:
	s_mov_b32 s0, -1
                                        ; implicit-def: $vgpr4_vgpr5
.LBB127_675:
	s_delay_alu instid0(SALU_CYCLE_1)
	s_and_not1_b32 vcc_lo, exec_lo, s0
	s_cbranch_vccnz .LBB127_677
; %bb.676:
	global_load_u8 v1, v[14:15], off
	s_mov_b32 s0, 0
	s_wait_loadcnt 0x1
	v_mov_b32_e32 v5, s0
	s_wait_loadcnt 0x0
	v_and_b32_e32 v4, 0xffff, v1
.LBB127_677:
	s_branch .LBB127_548
.LBB127_678:
	s_mov_b32 s0, 0
	s_mov_b32 s1, s70
	;; [unrolled: 1-line block ×10, first 2 shown]
.LBB127_679:
	s_mov_b64 s[14:15], s[78:79]
	s_mov_b32 s12, s76
	s_branch .LBB127_802
.LBB127_680:
	s_mov_b32 s1, -1
	s_mov_b32 s88, 0
	s_mov_b32 s58, 0
                                        ; implicit-def: $vgpr14_vgpr15
	s_branch .LBB127_2734
.LBB127_681:
	s_mov_b32 s45, -1
	s_mov_b32 s46, 0
.LBB127_682:
                                        ; implicit-def: $vgpr8_vgpr9
.LBB127_683:
	s_and_b32 vcc_lo, exec_lo, s1
	s_cbranch_vccz .LBB127_687
; %bb.684:
	s_cmp_eq_u32 s35, 44
	s_cbranch_scc0 .LBB127_686
; %bb.685:
	global_load_u8 v1, v[14:15], off
	s_mov_b32 s45, 0
	s_mov_b32 s46, -1
	s_wait_loadcnt 0x0
	v_lshlrev_b32_e32 v3, 23, v1
	v_cmp_ne_u32_e32 vcc_lo, 0, v1
	s_delay_alu instid0(VALU_DEP_2) | instskip(NEXT) | instid1(VALU_DEP_1)
	v_trunc_f32_e32 v3, v3
	v_mul_f32_e64 v7, 0x2f800000, |v3|
	v_ashrrev_i32_e32 v8, 31, v3
	s_delay_alu instid0(VALU_DEP_2) | instskip(NEXT) | instid1(VALU_DEP_1)
	v_floor_f32_e32 v7, v7
	v_fma_f32 v9, 0xcf800000, v7, |v3|
	v_cvt_u32_f32_e32 v3, v7
	s_delay_alu instid0(VALU_DEP_2) | instskip(NEXT) | instid1(VALU_DEP_2)
	v_cvt_u32_f32_e32 v7, v9
	v_dual_mov_b32 v9, v8 :: v_dual_bitop2_b32 v17, v3, v8 bitop3:0x14
	s_delay_alu instid0(VALU_DEP_2) | instskip(NEXT) | instid1(VALU_DEP_1)
	v_xor_b32_e32 v16, v7, v8
	v_sub_nc_u64_e32 v[8:9], v[16:17], v[8:9]
	s_delay_alu instid0(VALU_DEP_1)
	v_dual_cndmask_b32 v9, 0, v9 :: v_dual_cndmask_b32 v8, 0, v8
	s_branch .LBB127_687
.LBB127_686:
	s_mov_b32 s45, -1
                                        ; implicit-def: $vgpr8_vgpr9
.LBB127_687:
	s_mov_b32 s1, 0
.LBB127_688:
	s_delay_alu instid0(SALU_CYCLE_1)
	s_and_b32 vcc_lo, exec_lo, s1
	s_cbranch_vccz .LBB127_692
; %bb.689:
	s_cmp_eq_u32 s35, 29
	s_cbranch_scc0 .LBB127_691
; %bb.690:
	global_load_b64 v[8:9], v[14:15], off
	s_mov_b32 s46, -1
	s_mov_b32 s45, 0
	s_branch .LBB127_692
.LBB127_691:
	s_mov_b32 s45, -1
                                        ; implicit-def: $vgpr8_vgpr9
.LBB127_692:
	s_mov_b32 s1, 0
.LBB127_693:
	s_delay_alu instid0(SALU_CYCLE_1)
	s_and_b32 vcc_lo, exec_lo, s1
	s_cbranch_vccz .LBB127_709
; %bb.694:
	s_cmp_lt_i32 s35, 27
	s_cbranch_scc1 .LBB127_697
; %bb.695:
	s_cmp_gt_i32 s35, 27
	s_cbranch_scc0 .LBB127_698
; %bb.696:
	s_wait_loadcnt 0x0
	global_load_b32 v8, v[14:15], off
	v_mov_b32_e32 v9, 0
	s_mov_b32 s1, 0
	s_branch .LBB127_699
.LBB127_697:
	s_mov_b32 s1, -1
                                        ; implicit-def: $vgpr8_vgpr9
	s_branch .LBB127_702
.LBB127_698:
	s_mov_b32 s1, -1
                                        ; implicit-def: $vgpr8_vgpr9
.LBB127_699:
	s_delay_alu instid0(SALU_CYCLE_1)
	s_and_not1_b32 vcc_lo, exec_lo, s1
	s_cbranch_vccnz .LBB127_701
; %bb.700:
	global_load_u16 v1, v[14:15], off
	s_mov_b32 s1, 0
	s_wait_loadcnt 0x1
	v_mov_b32_e32 v9, s1
	s_wait_loadcnt 0x0
	v_and_b32_e32 v8, 0xffff, v1
.LBB127_701:
	s_mov_b32 s1, 0
.LBB127_702:
	s_delay_alu instid0(SALU_CYCLE_1)
	s_and_not1_b32 vcc_lo, exec_lo, s1
	s_cbranch_vccnz .LBB127_708
; %bb.703:
	global_load_u8 v1, v[14:15], off
	s_mov_b32 s46, 0
	s_mov_b32 s1, exec_lo
	s_wait_loadcnt 0x0
	v_cmpx_lt_i16_e32 0x7f, v1
	s_xor_b32 s1, exec_lo, s1
	s_cbranch_execz .LBB127_720
; %bb.704:
	v_cmp_ne_u16_e32 vcc_lo, 0x80, v1
	s_and_b32 s46, vcc_lo, exec_lo
	s_and_not1_saveexec_b32 s1, s1
	s_cbranch_execnz .LBB127_721
.LBB127_705:
	s_or_b32 exec_lo, exec_lo, s1
	v_mov_b64_e32 v[8:9], 0
	s_and_saveexec_b32 s1, s46
	s_cbranch_execz .LBB127_707
.LBB127_706:
	v_and_b32_e32 v3, 0xffff, v1
	s_delay_alu instid0(VALU_DEP_1) | instskip(SKIP_1) | instid1(VALU_DEP_2)
	v_and_b32_e32 v7, 7, v3
	v_bfe_u32 v11, v3, 3, 4
	v_clz_i32_u32_e32 v8, v7
	s_delay_alu instid0(VALU_DEP_2) | instskip(NEXT) | instid1(VALU_DEP_2)
	v_cmp_eq_u32_e32 vcc_lo, 0, v11
	v_min_u32_e32 v8, 32, v8
	s_delay_alu instid0(VALU_DEP_1) | instskip(NEXT) | instid1(VALU_DEP_1)
	v_subrev_nc_u32_e32 v9, 28, v8
	v_dual_lshlrev_b32 v3, v9, v3 :: v_dual_sub_nc_u32 v8, 29, v8
	s_delay_alu instid0(VALU_DEP_1) | instskip(NEXT) | instid1(VALU_DEP_2)
	v_dual_lshlrev_b32 v1, 24, v1 :: v_dual_bitop2_b32 v3, 7, v3 bitop3:0x40
	v_cndmask_b32_e32 v8, v11, v8, vcc_lo
	s_delay_alu instid0(VALU_DEP_2) | instskip(NEXT) | instid1(VALU_DEP_3)
	v_cndmask_b32_e32 v3, v7, v3, vcc_lo
	v_and_b32_e32 v1, 0x80000000, v1
	s_delay_alu instid0(VALU_DEP_3) | instskip(NEXT) | instid1(VALU_DEP_3)
	v_lshl_add_u32 v7, v8, 23, 0x3b800000
	v_lshlrev_b32_e32 v3, 20, v3
	s_delay_alu instid0(VALU_DEP_1) | instskip(NEXT) | instid1(VALU_DEP_1)
	v_or3_b32 v1, v1, v7, v3
	v_trunc_f32_e32 v1, v1
	s_delay_alu instid0(VALU_DEP_1) | instskip(SKIP_1) | instid1(VALU_DEP_2)
	v_mul_f32_e64 v3, 0x2f800000, |v1|
	v_ashrrev_i32_e32 v8, 31, v1
	v_floor_f32_e32 v3, v3
	s_delay_alu instid0(VALU_DEP_2) | instskip(NEXT) | instid1(VALU_DEP_2)
	v_mov_b32_e32 v9, v8
	v_fma_f32 v7, 0xcf800000, v3, |v1|
	v_cvt_u32_f32_e32 v1, v3
	s_delay_alu instid0(VALU_DEP_2) | instskip(NEXT) | instid1(VALU_DEP_2)
	v_cvt_u32_f32_e32 v3, v7
	v_xor_b32_e32 v17, v1, v8
	s_delay_alu instid0(VALU_DEP_2) | instskip(NEXT) | instid1(VALU_DEP_1)
	v_xor_b32_e32 v16, v3, v8
	v_sub_nc_u64_e32 v[8:9], v[16:17], v[8:9]
.LBB127_707:
	s_or_b32 exec_lo, exec_lo, s1
.LBB127_708:
	s_mov_b32 s46, -1
.LBB127_709:
	s_mov_b32 s1, 0
.LBB127_710:
	s_delay_alu instid0(SALU_CYCLE_1)
	s_and_b32 vcc_lo, exec_lo, s1
	s_cbranch_vccz .LBB127_743
; %bb.711:
	s_cmp_gt_i32 s35, 22
	s_cbranch_scc0 .LBB127_719
; %bb.712:
	s_cmp_lt_i32 s35, 24
	s_cbranch_scc1 .LBB127_722
; %bb.713:
	s_cmp_gt_i32 s35, 24
	s_cbranch_scc0 .LBB127_723
; %bb.714:
	global_load_u8 v1, v[14:15], off
	s_mov_b32 s46, 0
	s_mov_b32 s1, exec_lo
	s_wait_loadcnt 0x0
	v_cmpx_lt_i16_e32 0x7f, v1
	s_xor_b32 s1, exec_lo, s1
	s_cbranch_execz .LBB127_735
; %bb.715:
	v_cmp_ne_u16_e32 vcc_lo, 0x80, v1
	s_and_b32 s46, vcc_lo, exec_lo
	s_and_not1_saveexec_b32 s1, s1
	s_cbranch_execnz .LBB127_736
.LBB127_716:
	s_or_b32 exec_lo, exec_lo, s1
	v_mov_b64_e32 v[8:9], 0
	s_and_saveexec_b32 s1, s46
	s_cbranch_execz .LBB127_718
.LBB127_717:
	v_and_b32_e32 v3, 0xffff, v1
	s_delay_alu instid0(VALU_DEP_1) | instskip(SKIP_1) | instid1(VALU_DEP_2)
	v_and_b32_e32 v7, 3, v3
	v_bfe_u32 v11, v3, 2, 5
	v_clz_i32_u32_e32 v8, v7
	s_delay_alu instid0(VALU_DEP_2) | instskip(NEXT) | instid1(VALU_DEP_2)
	v_cmp_eq_u32_e32 vcc_lo, 0, v11
	v_min_u32_e32 v8, 32, v8
	s_delay_alu instid0(VALU_DEP_1) | instskip(NEXT) | instid1(VALU_DEP_1)
	v_subrev_nc_u32_e32 v9, 29, v8
	v_dual_lshlrev_b32 v3, v9, v3 :: v_dual_sub_nc_u32 v8, 30, v8
	s_delay_alu instid0(VALU_DEP_1) | instskip(NEXT) | instid1(VALU_DEP_2)
	v_dual_lshlrev_b32 v1, 24, v1 :: v_dual_bitop2_b32 v3, 3, v3 bitop3:0x40
	v_cndmask_b32_e32 v8, v11, v8, vcc_lo
	s_delay_alu instid0(VALU_DEP_2) | instskip(NEXT) | instid1(VALU_DEP_3)
	v_cndmask_b32_e32 v3, v7, v3, vcc_lo
	v_and_b32_e32 v1, 0x80000000, v1
	s_delay_alu instid0(VALU_DEP_3) | instskip(NEXT) | instid1(VALU_DEP_3)
	v_lshl_add_u32 v7, v8, 23, 0x37800000
	v_lshlrev_b32_e32 v3, 21, v3
	s_delay_alu instid0(VALU_DEP_1) | instskip(NEXT) | instid1(VALU_DEP_1)
	v_or3_b32 v1, v1, v7, v3
	v_trunc_f32_e32 v1, v1
	s_delay_alu instid0(VALU_DEP_1) | instskip(SKIP_1) | instid1(VALU_DEP_2)
	v_mul_f32_e64 v3, 0x2f800000, |v1|
	v_ashrrev_i32_e32 v8, 31, v1
	v_floor_f32_e32 v3, v3
	s_delay_alu instid0(VALU_DEP_2) | instskip(NEXT) | instid1(VALU_DEP_2)
	v_mov_b32_e32 v9, v8
	v_fma_f32 v7, 0xcf800000, v3, |v1|
	v_cvt_u32_f32_e32 v1, v3
	s_delay_alu instid0(VALU_DEP_2) | instskip(NEXT) | instid1(VALU_DEP_2)
	v_cvt_u32_f32_e32 v3, v7
	v_xor_b32_e32 v17, v1, v8
	s_delay_alu instid0(VALU_DEP_2) | instskip(NEXT) | instid1(VALU_DEP_1)
	v_xor_b32_e32 v16, v3, v8
	v_sub_nc_u64_e32 v[8:9], v[16:17], v[8:9]
.LBB127_718:
	s_or_b32 exec_lo, exec_lo, s1
	s_mov_b32 s1, 0
	s_branch .LBB127_724
.LBB127_719:
	s_mov_b32 s1, -1
                                        ; implicit-def: $vgpr8_vgpr9
	s_branch .LBB127_730
.LBB127_720:
	s_and_not1_saveexec_b32 s1, s1
	s_cbranch_execz .LBB127_705
.LBB127_721:
	v_cmp_ne_u16_e32 vcc_lo, 0, v1
	s_and_not1_b32 s36, s46, exec_lo
	s_and_b32 s37, vcc_lo, exec_lo
	s_delay_alu instid0(SALU_CYCLE_1)
	s_or_b32 s46, s36, s37
	s_or_b32 exec_lo, exec_lo, s1
	v_mov_b64_e32 v[8:9], 0
	s_and_saveexec_b32 s1, s46
	s_cbranch_execnz .LBB127_706
	s_branch .LBB127_707
.LBB127_722:
	s_mov_b32 s1, -1
                                        ; implicit-def: $vgpr8_vgpr9
	s_branch .LBB127_727
.LBB127_723:
	s_mov_b32 s1, -1
                                        ; implicit-def: $vgpr8_vgpr9
.LBB127_724:
	s_delay_alu instid0(SALU_CYCLE_1)
	s_and_b32 vcc_lo, exec_lo, s1
	s_cbranch_vccz .LBB127_726
; %bb.725:
	global_load_u8 v1, v[14:15], off
	s_wait_loadcnt 0x0
	v_lshlrev_b32_e32 v1, 24, v1
	s_delay_alu instid0(VALU_DEP_1) | instskip(NEXT) | instid1(VALU_DEP_1)
	v_and_b32_e32 v3, 0x7f000000, v1
	v_clz_i32_u32_e32 v7, v3
	v_add_nc_u32_e32 v9, 0x1000000, v3
	v_cmp_ne_u32_e32 vcc_lo, 0, v3
	s_delay_alu instid0(VALU_DEP_3) | instskip(NEXT) | instid1(VALU_DEP_1)
	v_min_u32_e32 v7, 32, v7
	v_sub_nc_u32_e64 v7, v7, 4 clamp
	s_delay_alu instid0(VALU_DEP_1) | instskip(NEXT) | instid1(VALU_DEP_1)
	v_lshlrev_b32_e32 v8, v7, v3
	v_dual_lshlrev_b32 v7, 23, v7 :: v_dual_lshrrev_b32 v8, 4, v8
	s_delay_alu instid0(VALU_DEP_1) | instskip(NEXT) | instid1(VALU_DEP_1)
	v_dual_sub_nc_u32 v7, v8, v7 :: v_dual_ashrrev_i32 v8, 8, v9
	v_add_nc_u32_e32 v7, 0x3c000000, v7
	s_delay_alu instid0(VALU_DEP_1) | instskip(NEXT) | instid1(VALU_DEP_1)
	v_and_or_b32 v7, 0x7f800000, v8, v7
	v_cndmask_b32_e32 v3, 0, v7, vcc_lo
	s_delay_alu instid0(VALU_DEP_1) | instskip(NEXT) | instid1(VALU_DEP_1)
	v_and_or_b32 v1, 0x80000000, v1, v3
	v_trunc_f32_e32 v1, v1
	s_delay_alu instid0(VALU_DEP_1) | instskip(SKIP_1) | instid1(VALU_DEP_2)
	v_mul_f32_e64 v3, 0x2f800000, |v1|
	v_ashrrev_i32_e32 v8, 31, v1
	v_floor_f32_e32 v3, v3
	s_delay_alu instid0(VALU_DEP_1) | instskip(SKIP_1) | instid1(VALU_DEP_4)
	v_fma_f32 v7, 0xcf800000, v3, |v1|
	v_cvt_u32_f32_e32 v1, v3
	v_mov_b32_e32 v9, v8
	s_delay_alu instid0(VALU_DEP_3) | instskip(NEXT) | instid1(VALU_DEP_3)
	v_cvt_u32_f32_e32 v3, v7
	v_xor_b32_e32 v17, v1, v8
	s_delay_alu instid0(VALU_DEP_2) | instskip(NEXT) | instid1(VALU_DEP_1)
	v_xor_b32_e32 v16, v3, v8
	v_sub_nc_u64_e32 v[8:9], v[16:17], v[8:9]
.LBB127_726:
	s_mov_b32 s1, 0
.LBB127_727:
	s_delay_alu instid0(SALU_CYCLE_1)
	s_and_not1_b32 vcc_lo, exec_lo, s1
	s_cbranch_vccnz .LBB127_729
; %bb.728:
	global_load_u8 v1, v[14:15], off
	s_wait_loadcnt 0x0
	v_lshlrev_b32_e32 v3, 25, v1
	v_lshlrev_b16 v1, 8, v1
	s_delay_alu instid0(VALU_DEP_1) | instskip(SKIP_1) | instid1(VALU_DEP_2)
	v_and_or_b32 v8, 0x7f00, v1, 0.5
	v_bfe_i32 v1, v1, 0, 16
	v_dual_add_f32 v8, -0.5, v8 :: v_dual_lshrrev_b32 v7, 4, v3
	v_cmp_gt_u32_e32 vcc_lo, 0x8000000, v3
	s_delay_alu instid0(VALU_DEP_2) | instskip(NEXT) | instid1(VALU_DEP_1)
	v_or_b32_e32 v7, 0x70000000, v7
	v_mul_f32_e32 v7, 0x7800000, v7
	s_delay_alu instid0(VALU_DEP_1) | instskip(NEXT) | instid1(VALU_DEP_1)
	v_cndmask_b32_e32 v3, v7, v8, vcc_lo
	v_and_or_b32 v1, 0x80000000, v1, v3
	s_delay_alu instid0(VALU_DEP_1) | instskip(NEXT) | instid1(VALU_DEP_1)
	v_trunc_f32_e32 v1, v1
	v_mul_f32_e64 v3, 0x2f800000, |v1|
	v_ashrrev_i32_e32 v8, 31, v1
	s_delay_alu instid0(VALU_DEP_2) | instskip(NEXT) | instid1(VALU_DEP_2)
	v_floor_f32_e32 v3, v3
	v_mov_b32_e32 v9, v8
	s_delay_alu instid0(VALU_DEP_2) | instskip(SKIP_1) | instid1(VALU_DEP_2)
	v_fma_f32 v7, 0xcf800000, v3, |v1|
	v_cvt_u32_f32_e32 v1, v3
	v_cvt_u32_f32_e32 v3, v7
	s_delay_alu instid0(VALU_DEP_2) | instskip(NEXT) | instid1(VALU_DEP_2)
	v_xor_b32_e32 v17, v1, v8
	v_xor_b32_e32 v16, v3, v8
	s_delay_alu instid0(VALU_DEP_1)
	v_sub_nc_u64_e32 v[8:9], v[16:17], v[8:9]
.LBB127_729:
	s_mov_b32 s1, 0
	s_mov_b32 s46, -1
.LBB127_730:
	s_and_not1_b32 vcc_lo, exec_lo, s1
	s_cbranch_vccnz .LBB127_743
; %bb.731:
	s_cmp_gt_i32 s35, 14
	s_cbranch_scc0 .LBB127_734
; %bb.732:
	s_cmp_eq_u32 s35, 15
	s_cbranch_scc0 .LBB127_737
; %bb.733:
	global_load_u16 v1, v[14:15], off
	s_mov_b32 s46, -1
	s_mov_b32 s45, 0
	s_wait_loadcnt 0x0
	v_lshlrev_b32_e32 v1, 16, v1
	s_delay_alu instid0(VALU_DEP_1) | instskip(NEXT) | instid1(VALU_DEP_1)
	v_trunc_f32_e32 v1, v1
	v_mul_f32_e64 v3, 0x2f800000, |v1|
	v_ashrrev_i32_e32 v8, 31, v1
	s_delay_alu instid0(VALU_DEP_2) | instskip(NEXT) | instid1(VALU_DEP_2)
	v_floor_f32_e32 v3, v3
	v_mov_b32_e32 v9, v8
	s_delay_alu instid0(VALU_DEP_2) | instskip(SKIP_1) | instid1(VALU_DEP_2)
	v_fma_f32 v7, 0xcf800000, v3, |v1|
	v_cvt_u32_f32_e32 v1, v3
	v_cvt_u32_f32_e32 v3, v7
	s_delay_alu instid0(VALU_DEP_2) | instskip(NEXT) | instid1(VALU_DEP_2)
	v_xor_b32_e32 v17, v1, v8
	v_xor_b32_e32 v16, v3, v8
	s_delay_alu instid0(VALU_DEP_1)
	v_sub_nc_u64_e32 v[8:9], v[16:17], v[8:9]
	s_branch .LBB127_738
.LBB127_734:
	s_mov_b32 s1, -1
                                        ; implicit-def: $vgpr8_vgpr9
	s_branch .LBB127_739
.LBB127_735:
	s_and_not1_saveexec_b32 s1, s1
	s_cbranch_execz .LBB127_716
.LBB127_736:
	v_cmp_ne_u16_e32 vcc_lo, 0, v1
	s_and_not1_b32 s36, s46, exec_lo
	s_and_b32 s37, vcc_lo, exec_lo
	s_delay_alu instid0(SALU_CYCLE_1)
	s_or_b32 s46, s36, s37
	s_or_b32 exec_lo, exec_lo, s1
	v_mov_b64_e32 v[8:9], 0
	s_and_saveexec_b32 s1, s46
	s_cbranch_execnz .LBB127_717
	s_branch .LBB127_718
.LBB127_737:
	s_mov_b32 s45, -1
                                        ; implicit-def: $vgpr8_vgpr9
.LBB127_738:
	s_mov_b32 s1, 0
.LBB127_739:
	s_delay_alu instid0(SALU_CYCLE_1)
	s_and_b32 vcc_lo, exec_lo, s1
	s_cbranch_vccz .LBB127_743
; %bb.740:
	s_cmp_eq_u32 s35, 11
	s_cbranch_scc0 .LBB127_742
; %bb.741:
	global_load_u8 v1, v[14:15], off
	s_mov_b32 s45, 0
	s_mov_b32 s46, -1
	s_wait_loadcnt 0x1
	v_mov_b32_e32 v9, s45
	s_wait_loadcnt 0x0
	v_cmp_ne_u16_e32 vcc_lo, 0, v1
	v_cndmask_b32_e64 v8, 0, 1, vcc_lo
	s_branch .LBB127_743
.LBB127_742:
	s_mov_b32 s45, -1
                                        ; implicit-def: $vgpr8_vgpr9
.LBB127_743:
	s_mov_b32 s1, 0
.LBB127_744:
	s_delay_alu instid0(SALU_CYCLE_1)
	s_and_b32 vcc_lo, exec_lo, s1
	s_cbranch_vccz .LBB127_793
; %bb.745:
	s_and_b32 s0, 0xffff, s0
	s_delay_alu instid0(SALU_CYCLE_1)
	s_cmp_lt_i32 s0, 5
	s_cbranch_scc1 .LBB127_750
; %bb.746:
	s_cmp_lt_i32 s0, 8
	s_cbranch_scc1 .LBB127_751
; %bb.747:
	;; [unrolled: 3-line block ×3, first 2 shown]
	s_cmp_gt_i32 s0, 9
	s_cbranch_scc0 .LBB127_753
; %bb.749:
	s_wait_loadcnt 0x0
	global_load_b64 v[8:9], v[14:15], off
	s_mov_b32 s1, 0
	s_wait_loadcnt 0x0
	v_trunc_f64_e32 v[8:9], v[8:9]
	s_delay_alu instid0(VALU_DEP_1) | instskip(NEXT) | instid1(VALU_DEP_1)
	v_ldexp_f64 v[16:17], v[8:9], 0xffffffe0
	v_floor_f64_e32 v[16:17], v[16:17]
	s_delay_alu instid0(VALU_DEP_1) | instskip(SKIP_1) | instid1(VALU_DEP_2)
	v_fmamk_f64 v[18:19], v[16:17], 0xc1f00000, v[8:9]
	v_cvt_i32_f64_e32 v9, v[16:17]
	v_cvt_u32_f64_e32 v8, v[18:19]
	s_branch .LBB127_754
.LBB127_750:
	s_mov_b32 s1, -1
                                        ; implicit-def: $vgpr8_vgpr9
	s_branch .LBB127_772
.LBB127_751:
	s_mov_b32 s1, -1
                                        ; implicit-def: $vgpr8_vgpr9
	s_branch .LBB127_760
.LBB127_752:
	s_mov_b32 s1, -1
                                        ; implicit-def: $vgpr8_vgpr9
	s_branch .LBB127_757
.LBB127_753:
	s_mov_b32 s1, -1
                                        ; implicit-def: $vgpr8_vgpr9
.LBB127_754:
	s_delay_alu instid0(SALU_CYCLE_1)
	s_and_not1_b32 vcc_lo, exec_lo, s1
	s_cbranch_vccnz .LBB127_756
; %bb.755:
	global_load_b32 v1, v[14:15], off
	s_wait_loadcnt 0x0
	v_trunc_f32_e32 v1, v1
	s_delay_alu instid0(VALU_DEP_1) | instskip(SKIP_1) | instid1(VALU_DEP_2)
	v_mul_f32_e64 v3, 0x2f800000, |v1|
	v_ashrrev_i32_e32 v8, 31, v1
	v_floor_f32_e32 v3, v3
	s_delay_alu instid0(VALU_DEP_1) | instskip(SKIP_1) | instid1(VALU_DEP_4)
	v_fma_f32 v7, 0xcf800000, v3, |v1|
	v_cvt_u32_f32_e32 v1, v3
	v_mov_b32_e32 v9, v8
	s_delay_alu instid0(VALU_DEP_3) | instskip(NEXT) | instid1(VALU_DEP_3)
	v_cvt_u32_f32_e32 v3, v7
	v_xor_b32_e32 v17, v1, v8
	s_delay_alu instid0(VALU_DEP_2) | instskip(NEXT) | instid1(VALU_DEP_1)
	v_xor_b32_e32 v16, v3, v8
	v_sub_nc_u64_e32 v[8:9], v[16:17], v[8:9]
.LBB127_756:
	s_mov_b32 s1, 0
.LBB127_757:
	s_delay_alu instid0(SALU_CYCLE_1)
	s_and_not1_b32 vcc_lo, exec_lo, s1
	s_cbranch_vccnz .LBB127_759
; %bb.758:
	global_load_b32 v1, v[14:15], off
	s_wait_loadcnt 0x0
	v_cvt_f32_f16_e32 v1, v1
	s_delay_alu instid0(VALU_DEP_1) | instskip(NEXT) | instid1(VALU_DEP_1)
	v_cvt_i32_f32_e32 v8, v1
	v_ashrrev_i32_e32 v9, 31, v8
.LBB127_759:
	s_mov_b32 s1, 0
.LBB127_760:
	s_delay_alu instid0(SALU_CYCLE_1)
	s_and_not1_b32 vcc_lo, exec_lo, s1
	s_cbranch_vccnz .LBB127_771
; %bb.761:
	s_cmp_lt_i32 s0, 6
	s_cbranch_scc1 .LBB127_764
; %bb.762:
	s_cmp_gt_i32 s0, 6
	s_cbranch_scc0 .LBB127_765
; %bb.763:
	s_wait_loadcnt 0x0
	global_load_b64 v[8:9], v[14:15], off
	s_mov_b32 s1, 0
	s_wait_loadcnt 0x0
	v_trunc_f64_e32 v[8:9], v[8:9]
	s_delay_alu instid0(VALU_DEP_1) | instskip(NEXT) | instid1(VALU_DEP_1)
	v_ldexp_f64 v[16:17], v[8:9], 0xffffffe0
	v_floor_f64_e32 v[16:17], v[16:17]
	s_delay_alu instid0(VALU_DEP_1) | instskip(SKIP_1) | instid1(VALU_DEP_2)
	v_fmamk_f64 v[18:19], v[16:17], 0xc1f00000, v[8:9]
	v_cvt_i32_f64_e32 v9, v[16:17]
	v_cvt_u32_f64_e32 v8, v[18:19]
	s_branch .LBB127_766
.LBB127_764:
	s_mov_b32 s1, -1
                                        ; implicit-def: $vgpr8_vgpr9
	s_branch .LBB127_769
.LBB127_765:
	s_mov_b32 s1, -1
                                        ; implicit-def: $vgpr8_vgpr9
.LBB127_766:
	s_delay_alu instid0(SALU_CYCLE_1)
	s_and_not1_b32 vcc_lo, exec_lo, s1
	s_cbranch_vccnz .LBB127_768
; %bb.767:
	global_load_b32 v1, v[14:15], off
	s_wait_loadcnt 0x0
	v_trunc_f32_e32 v1, v1
	s_delay_alu instid0(VALU_DEP_1) | instskip(SKIP_1) | instid1(VALU_DEP_2)
	v_mul_f32_e64 v3, 0x2f800000, |v1|
	v_ashrrev_i32_e32 v8, 31, v1
	v_floor_f32_e32 v3, v3
	s_delay_alu instid0(VALU_DEP_1) | instskip(SKIP_1) | instid1(VALU_DEP_4)
	v_fma_f32 v7, 0xcf800000, v3, |v1|
	v_cvt_u32_f32_e32 v1, v3
	v_mov_b32_e32 v9, v8
	s_delay_alu instid0(VALU_DEP_3) | instskip(NEXT) | instid1(VALU_DEP_3)
	v_cvt_u32_f32_e32 v3, v7
	v_xor_b32_e32 v17, v1, v8
	s_delay_alu instid0(VALU_DEP_2) | instskip(NEXT) | instid1(VALU_DEP_1)
	v_xor_b32_e32 v16, v3, v8
	v_sub_nc_u64_e32 v[8:9], v[16:17], v[8:9]
.LBB127_768:
	s_mov_b32 s1, 0
.LBB127_769:
	s_delay_alu instid0(SALU_CYCLE_1)
	s_and_not1_b32 vcc_lo, exec_lo, s1
	s_cbranch_vccnz .LBB127_771
; %bb.770:
	global_load_u16 v1, v[14:15], off
	s_wait_loadcnt 0x0
	v_cvt_f32_f16_e32 v1, v1
	s_delay_alu instid0(VALU_DEP_1) | instskip(NEXT) | instid1(VALU_DEP_1)
	v_cvt_i32_f32_e32 v8, v1
	v_ashrrev_i32_e32 v9, 31, v8
.LBB127_771:
	s_mov_b32 s1, 0
.LBB127_772:
	s_delay_alu instid0(SALU_CYCLE_1)
	s_and_not1_b32 vcc_lo, exec_lo, s1
	s_cbranch_vccnz .LBB127_792
; %bb.773:
	s_cmp_lt_i32 s0, 2
	s_cbranch_scc1 .LBB127_777
; %bb.774:
	s_cmp_lt_i32 s0, 3
	s_cbranch_scc1 .LBB127_778
; %bb.775:
	s_cmp_gt_i32 s0, 3
	s_cbranch_scc0 .LBB127_779
; %bb.776:
	s_wait_loadcnt 0x0
	global_load_b64 v[8:9], v[14:15], off
	s_mov_b32 s1, 0
	s_branch .LBB127_780
.LBB127_777:
	s_mov_b32 s1, -1
                                        ; implicit-def: $vgpr8_vgpr9
	s_branch .LBB127_786
.LBB127_778:
	s_mov_b32 s1, -1
                                        ; implicit-def: $vgpr8_vgpr9
	s_branch .LBB127_783
.LBB127_779:
	s_mov_b32 s1, -1
                                        ; implicit-def: $vgpr8_vgpr9
.LBB127_780:
	s_delay_alu instid0(SALU_CYCLE_1)
	s_and_not1_b32 vcc_lo, exec_lo, s1
	s_cbranch_vccnz .LBB127_782
; %bb.781:
	s_wait_loadcnt 0x0
	global_load_b32 v8, v[14:15], off
	s_wait_loadcnt 0x0
	v_ashrrev_i32_e32 v9, 31, v8
.LBB127_782:
	s_mov_b32 s1, 0
.LBB127_783:
	s_delay_alu instid0(SALU_CYCLE_1)
	s_and_not1_b32 vcc_lo, exec_lo, s1
	s_cbranch_vccnz .LBB127_785
; %bb.784:
	global_load_u16 v1, v[14:15], off
	s_wait_loadcnt 0x0
	v_bfe_i32 v8, v1, 0, 16
	s_delay_alu instid0(VALU_DEP_1)
	v_ashrrev_i32_e32 v9, 31, v8
.LBB127_785:
	s_mov_b32 s1, 0
.LBB127_786:
	s_delay_alu instid0(SALU_CYCLE_1)
	s_and_not1_b32 vcc_lo, exec_lo, s1
	s_cbranch_vccnz .LBB127_792
; %bb.787:
	s_cmp_gt_i32 s0, 0
	s_mov_b32 s0, 0
	s_cbranch_scc0 .LBB127_789
; %bb.788:
	global_load_i8 v1, v[14:15], off
	s_wait_loadcnt 0x0
	v_bfe_i32 v8, v1, 0, 16
	s_delay_alu instid0(VALU_DEP_1)
	v_ashrrev_i32_e32 v9, 31, v8
	s_branch .LBB127_790
.LBB127_789:
	s_mov_b32 s0, -1
                                        ; implicit-def: $vgpr8_vgpr9
.LBB127_790:
	s_delay_alu instid0(SALU_CYCLE_1)
	s_and_not1_b32 vcc_lo, exec_lo, s0
	s_cbranch_vccnz .LBB127_792
; %bb.791:
	global_load_u8 v1, v[14:15], off
	s_mov_b32 s0, 0
	s_wait_loadcnt 0x1
	v_mov_b32_e32 v9, s0
	s_wait_loadcnt 0x0
	v_and_b32_e32 v8, 0xffff, v1
.LBB127_792:
	s_mov_b32 s46, -1
.LBB127_793:
	s_delay_alu instid0(SALU_CYCLE_1)
	s_and_not1_b32 vcc_lo, exec_lo, s46
	s_cbranch_vccnz .LBB127_801
; %bb.794:
	s_load_b512 s[4:19], s[2:3], 0x248
	v_mov_b32_e32 v13, 0
	s_and_b32 s0, s80, 0xff
	s_delay_alu instid0(SALU_CYCLE_1) | instskip(SKIP_1) | instid1(VALU_DEP_1)
	s_cmp_lt_i32 s0, 11
	s_wait_kmcnt 0x0
	v_add_nc_u64_e32 v[14:15], s[10:11], v[12:13]
	s_cbranch_scc1 .LBB127_814
; %bb.795:
	s_and_b32 s35, 0xffff, s0
	s_delay_alu instid0(SALU_CYCLE_1)
	s_cmp_gt_i32 s35, 25
	s_cbranch_scc0 .LBB127_829
; %bb.796:
	s_cmp_gt_i32 s35, 28
	s_cbranch_scc0 .LBB127_831
; %bb.797:
	;; [unrolled: 3-line block ×4, first 2 shown]
	s_cmp_eq_u32 s35, 46
	s_mov_b32 s1, 0
	s_cbranch_scc0 .LBB127_964
; %bb.800:
	global_load_b32 v1, v[14:15], off
	s_mov_b32 s47, -1
	s_mov_b32 s46, 0
	s_wait_loadcnt 0x0
	v_lshlrev_b32_e32 v1, 16, v1
	s_delay_alu instid0(VALU_DEP_1) | instskip(NEXT) | instid1(VALU_DEP_1)
	v_trunc_f32_e32 v1, v1
	v_mul_f32_e64 v3, 0x2f800000, |v1|
	v_ashrrev_i32_e32 v12, 31, v1
	s_delay_alu instid0(VALU_DEP_2) | instskip(NEXT) | instid1(VALU_DEP_2)
	v_floor_f32_e32 v3, v3
	v_mov_b32_e32 v13, v12
	s_delay_alu instid0(VALU_DEP_2) | instskip(SKIP_1) | instid1(VALU_DEP_2)
	v_fma_f32 v7, 0xcf800000, v3, |v1|
	v_cvt_u32_f32_e32 v1, v3
	v_cvt_u32_f32_e32 v3, v7
	s_delay_alu instid0(VALU_DEP_2) | instskip(NEXT) | instid1(VALU_DEP_2)
	v_xor_b32_e32 v17, v1, v12
	v_xor_b32_e32 v16, v3, v12
	s_delay_alu instid0(VALU_DEP_1)
	v_sub_nc_u64_e32 v[12:13], v[16:17], v[12:13]
	s_branch .LBB127_966
.LBB127_801:
	s_mov_b32 s0, 0
	s_mov_b32 s1, s70
	s_mov_b32 s35, s71
	s_mov_b32 s58, s85
	s_mov_b32 s60, s86
	s_mov_b32 s59, s87
	s_mov_b32 s94, s88
	s_mov_b32 s47, s89
	s_mov_b32 s46, s90
.LBB127_802:
                                        ; implicit-def: $vgpr0
.LBB127_803:
	s_and_not1_b32 s36, s70, exec_lo
	s_and_b32 s1, s1, exec_lo
	s_and_not1_b32 s37, s71, exec_lo
	s_and_b32 s35, s35, exec_lo
	s_or_b32 s101, s36, s1
	s_or_b32 s104, s37, s35
	s_and_not1_b32 s1, s85, exec_lo
	s_and_b32 s35, s58, exec_lo
	s_and_not1_b32 s36, s86, exec_lo
	s_and_b32 s37, s60, exec_lo
	s_or_b32 vcc_hi, s1, s35
	s_or_b32 s99, s36, s37
	s_and_not1_b32 s1, s87, exec_lo
	s_and_b32 s35, s59, exec_lo
	s_and_not1_b32 s36, s88, exec_lo
	s_and_b32 s37, s94, exec_lo
	s_or_b32 s100, s1, s35
	s_or_b32 s97, s36, s37
	s_and_not1_b32 s1, s89, exec_lo
	s_and_b32 s35, s47, exec_lo
	s_and_not1_b32 s36, s90, exec_lo
	s_and_b32 s37, s46, exec_lo
	s_or_b32 s98, s1, s35
	s_or_b32 s95, s36, s37
	s_and_not1_b32 s1, s91, exec_lo
	s_and_b32 s35, s45, exec_lo
	s_and_not1_b32 s36, s92, exec_lo
	s_and_b32 s37, s44, exec_lo
	s_mov_b32 s76, s49
	s_mov_b32 s79, s51
	s_or_b32 s96, s1, s35
	s_or_b32 s94, s36, s37
	s_or_not1_b32 s35, s0, exec_lo
.LBB127_804:
	s_wait_xcnt 0x0
	s_or_b32 exec_lo, exec_lo, s23
	s_mov_b32 s1, 0
	s_mov_b32 s44, 0
	;; [unrolled: 1-line block ×3, first 2 shown]
                                        ; implicit-def: $sgpr0
                                        ; implicit-def: $vgpr14_vgpr15
                                        ; implicit-def: $vgpr2
                                        ; implicit-def: $vgpr12
                                        ; implicit-def: $vgpr10
                                        ; implicit-def: $vgpr6
                                        ; implicit-def: $vgpr8
                                        ; implicit-def: $vgpr4_vgpr5
	s_and_saveexec_b32 s23, s35
	s_cbranch_execz .LBB127_1310
; %bb.805:
	s_mov_b32 s60, -1
	s_mov_b32 s35, s94
	s_mov_b32 s47, s96
	;; [unrolled: 1-line block ×7, first 2 shown]
	s_mov_b32 s66, vcc_hi
	s_mov_b32 s64, s104
	s_mov_b32 s67, s101
	s_mov_b32 s44, exec_lo
	v_cmpx_gt_i32_e64 s83, v0
	s_cbranch_execz .LBB127_1213
; %bb.806:
	s_and_not1_b32 vcc_lo, exec_lo, s74
	s_cbranch_vccnz .LBB127_813
; %bb.807:
	s_and_not1_b32 vcc_lo, exec_lo, s84
	s_cbranch_vccnz .LBB127_815
; %bb.808:
	s_wait_loadcnt 0x0
	v_dual_mov_b32 v10, 0 :: v_dual_mov_b32 v1, v0
	v_dual_mov_b32 v6, 0 :: v_dual_mov_b32 v8, 0
	;; [unrolled: 1-line block ×3, first 2 shown]
	v_mov_b32_e32 v4, 0
	s_add_co_i32 s0, s68, 1
	s_mov_b64 s[36:37], 0xffffffffffffffd0
	s_mov_b64 s[8:9], s[40:41]
	s_mov_b32 s5, s48
	s_mov_b64 s[10:11], s[42:43]
	s_mov_b32 s4, s50
	s_and_b32 s0, s0, 30
	s_add_nc_u64 s[58:59], s[2:3], s[36:37]
	s_mov_b64 s[60:61], s[2:3]
.LBB127_809:                            ; =>This Inner Loop Header: Depth=1
	s_clause 0x1
	s_load_b128 s[48:51], s[60:61], 0x4
	s_load_b64 s[46:47], s[60:61], 0x14
	s_clause 0x1
	s_load_b256 s[36:43], s[58:59], 0xf4
	s_load_b128 s[64:67], s[58:59], 0x114
	s_add_co_i32 s0, s0, -2
	s_wait_xcnt 0x0
	s_add_nc_u64 s[60:61], s[60:61], 24
	s_cmp_eq_u32 s0, 0
	s_add_nc_u64 s[58:59], s[58:59], 48
	s_wait_kmcnt 0x0
	v_mul_hi_u32 v3, s49, v1
	s_delay_alu instid0(VALU_DEP_1) | instskip(NEXT) | instid1(VALU_DEP_1)
	v_add_nc_u32_e32 v3, v1, v3
	v_lshrrev_b32_e32 v3, s50, v3
	s_delay_alu instid0(VALU_DEP_1) | instskip(SKIP_1) | instid1(VALU_DEP_1)
	v_mul_hi_u32 v5, s46, v3
	v_mul_lo_u32 v7, v3, s48
	v_dual_add_nc_u32 v5, v3, v5 :: v_dual_sub_nc_u32 v7, v1, v7
	s_delay_alu instid0(VALU_DEP_1) | instskip(NEXT) | instid1(VALU_DEP_2)
	v_lshrrev_b32_e32 v1, s47, v5
	v_mad_u32 v4, v7, s37, v4
	v_mad_u32 v2, v7, s36, v2
	;; [unrolled: 1-line block ×4, first 2 shown]
	v_mul_lo_u32 v5, v1, s51
	v_mad_u32 v6, s41, v7, v6
	v_mad_u32 v7, s40, v7, v10
	s_delay_alu instid0(VALU_DEP_3) | instskip(NEXT) | instid1(VALU_DEP_1)
	v_sub_nc_u32_e32 v3, v3, v5
	v_mad_u32 v4, v3, s43, v4
	v_mad_u32 v2, v3, s42, v2
	;; [unrolled: 1-line block ×6, first 2 shown]
	s_cbranch_scc0 .LBB127_809
; %bb.810:
	s_bitcmp1_b32 s68, 0
	s_cselect_b32 s0, -1, 0
	s_delay_alu instid0(SALU_CYCLE_1)
	s_and_b32 vcc_lo, exec_lo, s0
	s_cbranch_vccnz .LBB127_812
; %bb.811:
	s_load_b96 s[40:42], s[60:61], 0x4
	s_clause 0x1
	s_load_b128 s[36:39], s[58:59], 0xf4
	s_load_b64 s[0:1], s[58:59], 0x104
	s_wait_kmcnt 0x0
	v_mul_hi_u32 v3, s41, v1
	s_delay_alu instid0(VALU_DEP_1) | instskip(NEXT) | instid1(VALU_DEP_1)
	v_add_nc_u32_e32 v3, v1, v3
	v_lshrrev_b32_e32 v3, s42, v3
	s_delay_alu instid0(VALU_DEP_1) | instskip(NEXT) | instid1(VALU_DEP_1)
	v_mul_lo_u32 v3, v3, s40
	v_sub_nc_u32_e32 v1, v1, v3
	s_delay_alu instid0(VALU_DEP_1)
	v_mad_u32 v2, v1, s36, v2
	v_mad_u32 v4, v1, s37, v4
	;; [unrolled: 1-line block ×6, first 2 shown]
.LBB127_812:
	s_mov_b64 s[42:43], s[10:11]
	s_mov_b32 s50, s4
	s_mov_b32 s48, s5
	s_mov_b64 s[40:41], s[8:9]
	s_branch .LBB127_816
.LBB127_813:
	s_mov_b32 s0, -1
                                        ; implicit-def: $vgpr4
                                        ; implicit-def: $vgpr2
                                        ; implicit-def: $vgpr12
                                        ; implicit-def: $vgpr8
                                        ; implicit-def: $vgpr6
                                        ; implicit-def: $vgpr10
	s_branch .LBB127_817
.LBB127_814:
	s_mov_b32 s1, -1
	s_mov_b32 s47, 0
	s_mov_b32 s46, s90
                                        ; implicit-def: $vgpr12_vgpr13
	s_branch .LBB127_1032
.LBB127_815:
	s_wait_loadcnt 0x0
	v_dual_mov_b32 v4, 0 :: v_dual_mov_b32 v2, 0
	v_dual_mov_b32 v12, 0 :: v_dual_mov_b32 v8, 0
	;; [unrolled: 1-line block ×3, first 2 shown]
.LBB127_816:
	s_mov_b32 s0, 0
.LBB127_817:
	s_delay_alu instid0(SALU_CYCLE_1)
	s_and_not1_b32 vcc_lo, exec_lo, s0
	s_cbranch_vccnz .LBB127_820
; %bb.818:
	v_mov_b32_e32 v1, 0
	s_load_b256 s[4:11], s[2:3], 0xc4
	s_and_not1_b32 vcc_lo, exec_lo, s48
	s_delay_alu instid0(VALU_DEP_1) | instskip(NEXT) | instid1(VALU_DEP_1)
	v_mul_u64_e32 v[2:3], s[54:55], v[0:1]
	v_add_nc_u32_e32 v2, v0, v3
	s_wait_loadcnt 0x0
	s_delay_alu instid0(VALU_DEP_1) | instskip(NEXT) | instid1(VALU_DEP_1)
	v_lshrrev_b32_e32 v14, s14, v2
	v_mul_lo_u32 v2, v14, s12
	s_delay_alu instid0(VALU_DEP_1) | instskip(SKIP_1) | instid1(VALU_DEP_1)
	v_sub_nc_u32_e32 v3, v0, v2
	s_wait_kmcnt 0x0
	v_mul_lo_u32 v4, v3, s5
	v_mul_lo_u32 v2, v3, s4
	;; [unrolled: 1-line block ×6, first 2 shown]
	s_cbranch_vccnz .LBB127_820
; %bb.819:
	v_mov_b32_e32 v15, v1
	s_delay_alu instid0(VALU_DEP_1) | instskip(NEXT) | instid1(VALU_DEP_1)
	v_mul_u64_e32 v[16:17], s[56:57], v[14:15]
	v_add_nc_u32_e32 v1, v14, v17
	s_delay_alu instid0(VALU_DEP_1) | instskip(NEXT) | instid1(VALU_DEP_1)
	v_lshrrev_b32_e32 v1, s79, v1
	v_mul_lo_u32 v1, v1, s15
	s_delay_alu instid0(VALU_DEP_1) | instskip(NEXT) | instid1(VALU_DEP_1)
	v_sub_nc_u32_e32 v1, v14, v1
	v_mad_u32 v2, v1, s10, v2
	v_mad_u32 v4, v1, s11, v4
	;; [unrolled: 1-line block ×6, first 2 shown]
.LBB127_820:
	s_mov_b32 s51, s76
	s_mov_b64 s[78:79], s[14:15]
	s_mov_b32 s76, s12
	s_load_b512 s[4:19], s[2:3], 0x248
	s_wait_loadcnt 0x0
	v_mov_b32_e32 v5, 0
	s_and_b32 s0, s50, 0xff
	s_delay_alu instid0(SALU_CYCLE_1) | instskip(SKIP_1) | instid1(VALU_DEP_1)
	s_cmp_lt_i32 s0, 11
	s_wait_kmcnt 0x0
	v_add_nc_u64_e32 v[14:15], s[6:7], v[4:5]
	s_cbranch_scc1 .LBB127_827
; %bb.821:
	s_and_b32 s35, 0xffff, s0
	s_delay_alu instid0(SALU_CYCLE_1)
	s_cmp_gt_i32 s35, 25
	s_cbranch_scc0 .LBB127_828
; %bb.822:
	s_cmp_gt_i32 s35, 28
	s_cbranch_scc0 .LBB127_830
; %bb.823:
	;; [unrolled: 3-line block ×4, first 2 shown]
	s_cmp_eq_u32 s35, 46
	s_mov_b32 s1, 0
	s_cbranch_scc0 .LBB127_836
; %bb.826:
	global_load_b32 v1, v[14:15], off
	s_mov_b32 s45, -1
	s_mov_b32 s49, 0
	s_wait_loadcnt 0x0
	v_lshlrev_b32_e32 v1, 16, v1
	s_delay_alu instid0(VALU_DEP_1) | instskip(NEXT) | instid1(VALU_DEP_1)
	v_trunc_f32_e32 v1, v1
	v_mul_f32_e64 v3, 0x2f800000, |v1|
	v_ashrrev_i32_e32 v4, 31, v1
	s_delay_alu instid0(VALU_DEP_2) | instskip(NEXT) | instid1(VALU_DEP_1)
	v_floor_f32_e32 v3, v3
	v_fma_f32 v5, 0xcf800000, v3, |v1|
	v_cvt_u32_f32_e32 v1, v3
	s_delay_alu instid0(VALU_DEP_2) | instskip(NEXT) | instid1(VALU_DEP_2)
	v_cvt_u32_f32_e32 v3, v5
	v_dual_mov_b32 v5, v4 :: v_dual_bitop2_b32 v17, v1, v4 bitop3:0x14
	s_delay_alu instid0(VALU_DEP_2) | instskip(NEXT) | instid1(VALU_DEP_1)
	v_xor_b32_e32 v16, v3, v4
	v_sub_nc_u64_e32 v[4:5], v[16:17], v[4:5]
	s_branch .LBB127_838
.LBB127_827:
	s_mov_b32 s1, -1
	s_mov_b32 s45, 0
	s_mov_b32 s49, s94
                                        ; implicit-def: $vgpr4_vgpr5
	s_branch .LBB127_899
.LBB127_828:
	s_mov_b32 s1, -1
	s_mov_b32 s45, 0
	s_mov_b32 s49, s94
                                        ; implicit-def: $vgpr4_vgpr5
	s_branch .LBB127_865
.LBB127_829:
	s_mov_b32 s1, -1
	s_mov_b32 s47, 0
	s_mov_b32 s46, s90
                                        ; implicit-def: $vgpr12_vgpr13
	s_branch .LBB127_998
.LBB127_830:
	s_mov_b32 s1, -1
	s_mov_b32 s45, 0
	s_mov_b32 s49, s94
                                        ; implicit-def: $vgpr4_vgpr5
	s_branch .LBB127_848
.LBB127_831:
	s_mov_b32 s1, -1
	s_mov_b32 s47, 0
	s_mov_b32 s46, s90
                                        ; implicit-def: $vgpr12_vgpr13
	s_branch .LBB127_981
.LBB127_832:
	s_mov_b32 s1, -1
	s_mov_b32 s45, 0
	s_mov_b32 s49, s94
                                        ; implicit-def: $vgpr4_vgpr5
	s_branch .LBB127_843
.LBB127_833:
	s_mov_b32 s1, -1
	s_mov_b32 s47, 0
	s_mov_b32 s46, s90
                                        ; implicit-def: $vgpr12_vgpr13
	s_branch .LBB127_976
.LBB127_834:
	s_mov_b32 s1, -1
	s_mov_b32 s45, 0
	s_mov_b32 s49, s94
	s_branch .LBB127_837
.LBB127_835:
	s_mov_b32 s1, -1
	s_mov_b32 s47, 0
	s_mov_b32 s46, s90
	s_branch .LBB127_965
.LBB127_836:
	s_mov_b32 s49, -1
	s_mov_b32 s45, 0
.LBB127_837:
                                        ; implicit-def: $vgpr4_vgpr5
.LBB127_838:
	s_and_b32 vcc_lo, exec_lo, s1
	s_cbranch_vccz .LBB127_842
; %bb.839:
	s_cmp_eq_u32 s35, 44
	s_cbranch_scc0 .LBB127_841
; %bb.840:
	global_load_u8 v1, v[14:15], off
	s_mov_b32 s49, 0
	s_mov_b32 s45, -1
	s_wait_loadcnt 0x0
	v_lshlrev_b32_e32 v3, 23, v1
	v_cmp_ne_u32_e32 vcc_lo, 0, v1
	s_delay_alu instid0(VALU_DEP_2) | instskip(NEXT) | instid1(VALU_DEP_1)
	v_trunc_f32_e32 v3, v3
	v_mul_f32_e64 v4, 0x2f800000, |v3|
	s_delay_alu instid0(VALU_DEP_1) | instskip(SKIP_1) | instid1(VALU_DEP_2)
	v_floor_f32_e32 v5, v4
	v_ashrrev_i32_e32 v4, 31, v3
	v_fma_f32 v7, 0xcf800000, v5, |v3|
	v_cvt_u32_f32_e32 v3, v5
	s_delay_alu instid0(VALU_DEP_3) | instskip(NEXT) | instid1(VALU_DEP_3)
	v_mov_b32_e32 v5, v4
	v_cvt_u32_f32_e32 v7, v7
	s_delay_alu instid0(VALU_DEP_3) | instskip(NEXT) | instid1(VALU_DEP_2)
	v_xor_b32_e32 v17, v3, v4
	v_xor_b32_e32 v16, v7, v4
	s_delay_alu instid0(VALU_DEP_1) | instskip(NEXT) | instid1(VALU_DEP_1)
	v_sub_nc_u64_e32 v[4:5], v[16:17], v[4:5]
	v_dual_cndmask_b32 v5, 0, v5 :: v_dual_cndmask_b32 v4, 0, v4
	s_branch .LBB127_842
.LBB127_841:
	s_mov_b32 s49, -1
                                        ; implicit-def: $vgpr4_vgpr5
.LBB127_842:
	s_mov_b32 s1, 0
.LBB127_843:
	s_delay_alu instid0(SALU_CYCLE_1)
	s_and_b32 vcc_lo, exec_lo, s1
	s_cbranch_vccz .LBB127_847
; %bb.844:
	s_cmp_eq_u32 s35, 29
	s_cbranch_scc0 .LBB127_846
; %bb.845:
	global_load_b64 v[4:5], v[14:15], off
	s_mov_b32 s45, -1
	s_mov_b32 s49, 0
	s_branch .LBB127_847
.LBB127_846:
	s_mov_b32 s49, -1
                                        ; implicit-def: $vgpr4_vgpr5
.LBB127_847:
	s_mov_b32 s1, 0
.LBB127_848:
	s_delay_alu instid0(SALU_CYCLE_1)
	s_and_b32 vcc_lo, exec_lo, s1
	s_cbranch_vccz .LBB127_864
; %bb.849:
	s_cmp_lt_i32 s35, 27
	s_cbranch_scc1 .LBB127_852
; %bb.850:
	s_cmp_gt_i32 s35, 27
	s_cbranch_scc0 .LBB127_853
; %bb.851:
	s_wait_loadcnt 0x0
	global_load_b32 v4, v[14:15], off
	v_mov_b32_e32 v5, 0
	s_mov_b32 s1, 0
	s_branch .LBB127_854
.LBB127_852:
	s_mov_b32 s1, -1
                                        ; implicit-def: $vgpr4_vgpr5
	s_branch .LBB127_857
.LBB127_853:
	s_mov_b32 s1, -1
                                        ; implicit-def: $vgpr4_vgpr5
.LBB127_854:
	s_delay_alu instid0(SALU_CYCLE_1)
	s_and_not1_b32 vcc_lo, exec_lo, s1
	s_cbranch_vccnz .LBB127_856
; %bb.855:
	global_load_u16 v1, v[14:15], off
	s_mov_b32 s1, 0
	s_wait_loadcnt 0x1
	v_mov_b32_e32 v5, s1
	s_wait_loadcnt 0x0
	v_and_b32_e32 v4, 0xffff, v1
.LBB127_856:
	s_mov_b32 s1, 0
.LBB127_857:
	s_delay_alu instid0(SALU_CYCLE_1)
	s_and_not1_b32 vcc_lo, exec_lo, s1
	s_cbranch_vccnz .LBB127_863
; %bb.858:
	global_load_u8 v1, v[14:15], off
	s_mov_b32 s45, 0
	s_mov_b32 s1, exec_lo
	s_wait_loadcnt 0x0
	v_cmpx_lt_i16_e32 0x7f, v1
	s_xor_b32 s1, exec_lo, s1
	s_cbranch_execz .LBB127_875
; %bb.859:
	v_cmp_ne_u16_e32 vcc_lo, 0x80, v1
	s_and_b32 s45, vcc_lo, exec_lo
	s_and_not1_saveexec_b32 s1, s1
	s_cbranch_execnz .LBB127_876
.LBB127_860:
	s_or_b32 exec_lo, exec_lo, s1
	v_mov_b64_e32 v[4:5], 0
	s_and_saveexec_b32 s1, s45
	s_cbranch_execz .LBB127_862
.LBB127_861:
	v_and_b32_e32 v3, 0xffff, v1
	s_delay_alu instid0(VALU_DEP_1) | instskip(SKIP_1) | instid1(VALU_DEP_2)
	v_and_b32_e32 v4, 7, v3
	v_bfe_u32 v9, v3, 3, 4
	v_clz_i32_u32_e32 v5, v4
	s_delay_alu instid0(VALU_DEP_2) | instskip(NEXT) | instid1(VALU_DEP_2)
	v_cmp_eq_u32_e32 vcc_lo, 0, v9
	v_min_u32_e32 v5, 32, v5
	s_delay_alu instid0(VALU_DEP_1) | instskip(NEXT) | instid1(VALU_DEP_1)
	v_subrev_nc_u32_e32 v7, 28, v5
	v_dual_lshlrev_b32 v3, v7, v3 :: v_dual_sub_nc_u32 v5, 29, v5
	s_delay_alu instid0(VALU_DEP_1) | instskip(NEXT) | instid1(VALU_DEP_1)
	v_dual_lshlrev_b32 v1, 24, v1 :: v_dual_bitop2_b32 v3, 7, v3 bitop3:0x40
	v_dual_cndmask_b32 v3, v4, v3, vcc_lo :: v_dual_cndmask_b32 v5, v9, v5, vcc_lo
	s_delay_alu instid0(VALU_DEP_2) | instskip(NEXT) | instid1(VALU_DEP_2)
	v_and_b32_e32 v1, 0x80000000, v1
	v_lshlrev_b32_e32 v3, 20, v3
	s_delay_alu instid0(VALU_DEP_3) | instskip(NEXT) | instid1(VALU_DEP_1)
	v_lshl_add_u32 v4, v5, 23, 0x3b800000
	v_or3_b32 v1, v1, v4, v3
	s_delay_alu instid0(VALU_DEP_1) | instskip(NEXT) | instid1(VALU_DEP_1)
	v_trunc_f32_e32 v1, v1
	v_mul_f32_e64 v3, 0x2f800000, |v1|
	v_ashrrev_i32_e32 v4, 31, v1
	s_delay_alu instid0(VALU_DEP_2) | instskip(NEXT) | instid1(VALU_DEP_1)
	v_floor_f32_e32 v3, v3
	v_fma_f32 v5, 0xcf800000, v3, |v1|
	v_cvt_u32_f32_e32 v1, v3
	s_delay_alu instid0(VALU_DEP_2) | instskip(NEXT) | instid1(VALU_DEP_2)
	v_cvt_u32_f32_e32 v3, v5
	v_dual_mov_b32 v5, v4 :: v_dual_bitop2_b32 v17, v1, v4 bitop3:0x14
	s_delay_alu instid0(VALU_DEP_2) | instskip(NEXT) | instid1(VALU_DEP_1)
	v_xor_b32_e32 v16, v3, v4
	v_sub_nc_u64_e32 v[4:5], v[16:17], v[4:5]
.LBB127_862:
	s_or_b32 exec_lo, exec_lo, s1
.LBB127_863:
	s_mov_b32 s45, -1
.LBB127_864:
	s_mov_b32 s1, 0
.LBB127_865:
	s_delay_alu instid0(SALU_CYCLE_1)
	s_and_b32 vcc_lo, exec_lo, s1
	s_cbranch_vccz .LBB127_898
; %bb.866:
	s_cmp_gt_i32 s35, 22
	s_cbranch_scc0 .LBB127_874
; %bb.867:
	s_cmp_lt_i32 s35, 24
	s_cbranch_scc1 .LBB127_877
; %bb.868:
	s_cmp_gt_i32 s35, 24
	s_cbranch_scc0 .LBB127_878
; %bb.869:
	global_load_u8 v1, v[14:15], off
	s_mov_b32 s45, 0
	s_mov_b32 s1, exec_lo
	s_wait_loadcnt 0x0
	v_cmpx_lt_i16_e32 0x7f, v1
	s_xor_b32 s1, exec_lo, s1
	s_cbranch_execz .LBB127_890
; %bb.870:
	v_cmp_ne_u16_e32 vcc_lo, 0x80, v1
	s_and_b32 s45, vcc_lo, exec_lo
	s_and_not1_saveexec_b32 s1, s1
	s_cbranch_execnz .LBB127_891
.LBB127_871:
	s_or_b32 exec_lo, exec_lo, s1
	v_mov_b64_e32 v[4:5], 0
	s_and_saveexec_b32 s1, s45
	s_cbranch_execz .LBB127_873
.LBB127_872:
	v_and_b32_e32 v3, 0xffff, v1
	s_delay_alu instid0(VALU_DEP_1) | instskip(SKIP_1) | instid1(VALU_DEP_2)
	v_and_b32_e32 v4, 3, v3
	v_bfe_u32 v9, v3, 2, 5
	v_clz_i32_u32_e32 v5, v4
	s_delay_alu instid0(VALU_DEP_2) | instskip(NEXT) | instid1(VALU_DEP_2)
	v_cmp_eq_u32_e32 vcc_lo, 0, v9
	v_min_u32_e32 v5, 32, v5
	s_delay_alu instid0(VALU_DEP_1) | instskip(NEXT) | instid1(VALU_DEP_1)
	v_subrev_nc_u32_e32 v7, 29, v5
	v_dual_lshlrev_b32 v3, v7, v3 :: v_dual_sub_nc_u32 v5, 30, v5
	s_delay_alu instid0(VALU_DEP_1) | instskip(NEXT) | instid1(VALU_DEP_1)
	v_dual_lshlrev_b32 v1, 24, v1 :: v_dual_bitop2_b32 v3, 3, v3 bitop3:0x40
	v_dual_cndmask_b32 v3, v4, v3, vcc_lo :: v_dual_cndmask_b32 v5, v9, v5, vcc_lo
	s_delay_alu instid0(VALU_DEP_2) | instskip(NEXT) | instid1(VALU_DEP_2)
	v_and_b32_e32 v1, 0x80000000, v1
	v_lshlrev_b32_e32 v3, 21, v3
	s_delay_alu instid0(VALU_DEP_3) | instskip(NEXT) | instid1(VALU_DEP_1)
	v_lshl_add_u32 v4, v5, 23, 0x37800000
	v_or3_b32 v1, v1, v4, v3
	s_delay_alu instid0(VALU_DEP_1) | instskip(NEXT) | instid1(VALU_DEP_1)
	v_trunc_f32_e32 v1, v1
	v_mul_f32_e64 v3, 0x2f800000, |v1|
	v_ashrrev_i32_e32 v4, 31, v1
	s_delay_alu instid0(VALU_DEP_2) | instskip(NEXT) | instid1(VALU_DEP_1)
	v_floor_f32_e32 v3, v3
	v_fma_f32 v5, 0xcf800000, v3, |v1|
	v_cvt_u32_f32_e32 v1, v3
	s_delay_alu instid0(VALU_DEP_2) | instskip(NEXT) | instid1(VALU_DEP_2)
	v_cvt_u32_f32_e32 v3, v5
	v_dual_mov_b32 v5, v4 :: v_dual_bitop2_b32 v17, v1, v4 bitop3:0x14
	s_delay_alu instid0(VALU_DEP_2) | instskip(NEXT) | instid1(VALU_DEP_1)
	v_xor_b32_e32 v16, v3, v4
	v_sub_nc_u64_e32 v[4:5], v[16:17], v[4:5]
.LBB127_873:
	s_or_b32 exec_lo, exec_lo, s1
	s_mov_b32 s1, 0
	s_branch .LBB127_879
.LBB127_874:
	s_mov_b32 s1, -1
                                        ; implicit-def: $vgpr4_vgpr5
	s_branch .LBB127_885
.LBB127_875:
	s_and_not1_saveexec_b32 s1, s1
	s_cbranch_execz .LBB127_860
.LBB127_876:
	v_cmp_ne_u16_e32 vcc_lo, 0, v1
	s_and_not1_b32 s36, s45, exec_lo
	s_and_b32 s37, vcc_lo, exec_lo
	s_delay_alu instid0(SALU_CYCLE_1)
	s_or_b32 s45, s36, s37
	s_or_b32 exec_lo, exec_lo, s1
	v_mov_b64_e32 v[4:5], 0
	s_and_saveexec_b32 s1, s45
	s_cbranch_execnz .LBB127_861
	s_branch .LBB127_862
.LBB127_877:
	s_mov_b32 s1, -1
                                        ; implicit-def: $vgpr4_vgpr5
	s_branch .LBB127_882
.LBB127_878:
	s_mov_b32 s1, -1
                                        ; implicit-def: $vgpr4_vgpr5
.LBB127_879:
	s_delay_alu instid0(SALU_CYCLE_1)
	s_and_b32 vcc_lo, exec_lo, s1
	s_cbranch_vccz .LBB127_881
; %bb.880:
	global_load_u8 v1, v[14:15], off
	s_wait_loadcnt 0x0
	v_lshlrev_b32_e32 v1, 24, v1
	s_delay_alu instid0(VALU_DEP_1) | instskip(NEXT) | instid1(VALU_DEP_1)
	v_and_b32_e32 v3, 0x7f000000, v1
	v_clz_i32_u32_e32 v4, v3
	v_add_nc_u32_e32 v7, 0x1000000, v3
	v_cmp_ne_u32_e32 vcc_lo, 0, v3
	s_delay_alu instid0(VALU_DEP_3) | instskip(NEXT) | instid1(VALU_DEP_1)
	v_min_u32_e32 v4, 32, v4
	v_sub_nc_u32_e64 v4, v4, 4 clamp
	s_delay_alu instid0(VALU_DEP_1) | instskip(NEXT) | instid1(VALU_DEP_1)
	v_dual_lshlrev_b32 v5, v4, v3 :: v_dual_lshlrev_b32 v4, 23, v4
	v_lshrrev_b32_e32 v5, 4, v5
	s_delay_alu instid0(VALU_DEP_1) | instskip(NEXT) | instid1(VALU_DEP_1)
	v_dual_sub_nc_u32 v4, v5, v4 :: v_dual_ashrrev_i32 v5, 8, v7
	v_add_nc_u32_e32 v4, 0x3c000000, v4
	s_delay_alu instid0(VALU_DEP_1) | instskip(NEXT) | instid1(VALU_DEP_1)
	v_and_or_b32 v4, 0x7f800000, v5, v4
	v_cndmask_b32_e32 v3, 0, v4, vcc_lo
	s_delay_alu instid0(VALU_DEP_1) | instskip(NEXT) | instid1(VALU_DEP_1)
	v_and_or_b32 v1, 0x80000000, v1, v3
	v_trunc_f32_e32 v1, v1
	s_delay_alu instid0(VALU_DEP_1) | instskip(SKIP_1) | instid1(VALU_DEP_2)
	v_mul_f32_e64 v3, 0x2f800000, |v1|
	v_ashrrev_i32_e32 v4, 31, v1
	v_floor_f32_e32 v3, v3
	s_delay_alu instid0(VALU_DEP_1) | instskip(SKIP_1) | instid1(VALU_DEP_2)
	v_fma_f32 v5, 0xcf800000, v3, |v1|
	v_cvt_u32_f32_e32 v1, v3
	v_cvt_u32_f32_e32 v3, v5
	s_delay_alu instid0(VALU_DEP_2) | instskip(NEXT) | instid1(VALU_DEP_2)
	v_dual_mov_b32 v5, v4 :: v_dual_bitop2_b32 v17, v1, v4 bitop3:0x14
	v_xor_b32_e32 v16, v3, v4
	s_delay_alu instid0(VALU_DEP_1)
	v_sub_nc_u64_e32 v[4:5], v[16:17], v[4:5]
.LBB127_881:
	s_mov_b32 s1, 0
.LBB127_882:
	s_delay_alu instid0(SALU_CYCLE_1)
	s_and_not1_b32 vcc_lo, exec_lo, s1
	s_cbranch_vccnz .LBB127_884
; %bb.883:
	global_load_u8 v1, v[14:15], off
	s_wait_loadcnt 0x0
	v_lshlrev_b32_e32 v3, 25, v1
	v_lshlrev_b16 v1, 8, v1
	s_delay_alu instid0(VALU_DEP_1) | instskip(NEXT) | instid1(VALU_DEP_3)
	v_and_or_b32 v5, 0x7f00, v1, 0.5
	v_lshrrev_b32_e32 v4, 4, v3
	v_bfe_i32 v1, v1, 0, 16
	s_delay_alu instid0(VALU_DEP_3) | instskip(NEXT) | instid1(VALU_DEP_3)
	v_add_f32_e32 v5, -0.5, v5
	v_or_b32_e32 v4, 0x70000000, v4
	s_delay_alu instid0(VALU_DEP_1) | instskip(SKIP_1) | instid1(VALU_DEP_2)
	v_mul_f32_e32 v4, 0x7800000, v4
	v_cmp_gt_u32_e32 vcc_lo, 0x8000000, v3
	v_cndmask_b32_e32 v3, v4, v5, vcc_lo
	s_delay_alu instid0(VALU_DEP_1) | instskip(NEXT) | instid1(VALU_DEP_1)
	v_and_or_b32 v1, 0x80000000, v1, v3
	v_trunc_f32_e32 v1, v1
	s_delay_alu instid0(VALU_DEP_1) | instskip(SKIP_1) | instid1(VALU_DEP_2)
	v_mul_f32_e64 v3, 0x2f800000, |v1|
	v_ashrrev_i32_e32 v4, 31, v1
	v_floor_f32_e32 v3, v3
	s_delay_alu instid0(VALU_DEP_1) | instskip(SKIP_1) | instid1(VALU_DEP_2)
	v_fma_f32 v5, 0xcf800000, v3, |v1|
	v_cvt_u32_f32_e32 v1, v3
	v_cvt_u32_f32_e32 v3, v5
	s_delay_alu instid0(VALU_DEP_2) | instskip(NEXT) | instid1(VALU_DEP_2)
	v_dual_mov_b32 v5, v4 :: v_dual_bitop2_b32 v17, v1, v4 bitop3:0x14
	v_xor_b32_e32 v16, v3, v4
	s_delay_alu instid0(VALU_DEP_1)
	v_sub_nc_u64_e32 v[4:5], v[16:17], v[4:5]
.LBB127_884:
	s_mov_b32 s1, 0
	s_mov_b32 s45, -1
.LBB127_885:
	s_and_not1_b32 vcc_lo, exec_lo, s1
	s_cbranch_vccnz .LBB127_898
; %bb.886:
	s_cmp_gt_i32 s35, 14
	s_cbranch_scc0 .LBB127_889
; %bb.887:
	s_cmp_eq_u32 s35, 15
	s_cbranch_scc0 .LBB127_892
; %bb.888:
	global_load_u16 v1, v[14:15], off
	s_mov_b32 s45, -1
	s_mov_b32 s49, 0
	s_wait_loadcnt 0x0
	v_lshlrev_b32_e32 v1, 16, v1
	s_delay_alu instid0(VALU_DEP_1) | instskip(NEXT) | instid1(VALU_DEP_1)
	v_trunc_f32_e32 v1, v1
	v_mul_f32_e64 v3, 0x2f800000, |v1|
	v_ashrrev_i32_e32 v4, 31, v1
	s_delay_alu instid0(VALU_DEP_2) | instskip(NEXT) | instid1(VALU_DEP_1)
	v_floor_f32_e32 v3, v3
	v_fma_f32 v5, 0xcf800000, v3, |v1|
	v_cvt_u32_f32_e32 v1, v3
	s_delay_alu instid0(VALU_DEP_2) | instskip(NEXT) | instid1(VALU_DEP_2)
	v_cvt_u32_f32_e32 v3, v5
	v_dual_mov_b32 v5, v4 :: v_dual_bitop2_b32 v17, v1, v4 bitop3:0x14
	s_delay_alu instid0(VALU_DEP_2) | instskip(NEXT) | instid1(VALU_DEP_1)
	v_xor_b32_e32 v16, v3, v4
	v_sub_nc_u64_e32 v[4:5], v[16:17], v[4:5]
	s_branch .LBB127_893
.LBB127_889:
	s_mov_b32 s1, -1
                                        ; implicit-def: $vgpr4_vgpr5
	s_branch .LBB127_894
.LBB127_890:
	s_and_not1_saveexec_b32 s1, s1
	s_cbranch_execz .LBB127_871
.LBB127_891:
	v_cmp_ne_u16_e32 vcc_lo, 0, v1
	s_and_not1_b32 s36, s45, exec_lo
	s_and_b32 s37, vcc_lo, exec_lo
	s_delay_alu instid0(SALU_CYCLE_1)
	s_or_b32 s45, s36, s37
	s_or_b32 exec_lo, exec_lo, s1
	v_mov_b64_e32 v[4:5], 0
	s_and_saveexec_b32 s1, s45
	s_cbranch_execnz .LBB127_872
	s_branch .LBB127_873
.LBB127_892:
	s_mov_b32 s49, -1
                                        ; implicit-def: $vgpr4_vgpr5
.LBB127_893:
	s_mov_b32 s1, 0
.LBB127_894:
	s_delay_alu instid0(SALU_CYCLE_1)
	s_and_b32 vcc_lo, exec_lo, s1
	s_cbranch_vccz .LBB127_898
; %bb.895:
	s_cmp_eq_u32 s35, 11
	s_cbranch_scc0 .LBB127_897
; %bb.896:
	global_load_u8 v1, v[14:15], off
	s_mov_b32 s49, 0
	s_mov_b32 s45, -1
	s_wait_loadcnt 0x1
	v_mov_b32_e32 v5, s49
	s_wait_loadcnt 0x0
	v_cmp_ne_u16_e32 vcc_lo, 0, v1
	v_cndmask_b32_e64 v4, 0, 1, vcc_lo
	s_branch .LBB127_898
.LBB127_897:
	s_mov_b32 s49, -1
                                        ; implicit-def: $vgpr4_vgpr5
.LBB127_898:
	s_mov_b32 s1, 0
.LBB127_899:
	s_delay_alu instid0(SALU_CYCLE_1)
	s_and_b32 vcc_lo, exec_lo, s1
	s_cbranch_vccz .LBB127_948
; %bb.900:
	s_and_b32 s0, 0xffff, s0
	s_delay_alu instid0(SALU_CYCLE_1)
	s_cmp_lt_i32 s0, 5
	s_cbranch_scc1 .LBB127_905
; %bb.901:
	s_cmp_lt_i32 s0, 8
	s_cbranch_scc1 .LBB127_906
; %bb.902:
	;; [unrolled: 3-line block ×3, first 2 shown]
	s_cmp_gt_i32 s0, 9
	s_cbranch_scc0 .LBB127_908
; %bb.904:
	s_wait_loadcnt 0x0
	global_load_b64 v[4:5], v[14:15], off
	s_mov_b32 s1, 0
	s_wait_loadcnt 0x0
	v_trunc_f64_e32 v[4:5], v[4:5]
	s_delay_alu instid0(VALU_DEP_1) | instskip(NEXT) | instid1(VALU_DEP_1)
	v_ldexp_f64 v[16:17], v[4:5], 0xffffffe0
	v_floor_f64_e32 v[16:17], v[16:17]
	s_delay_alu instid0(VALU_DEP_1) | instskip(SKIP_1) | instid1(VALU_DEP_2)
	v_fmamk_f64 v[18:19], v[16:17], 0xc1f00000, v[4:5]
	v_cvt_i32_f64_e32 v5, v[16:17]
	v_cvt_u32_f64_e32 v4, v[18:19]
	s_branch .LBB127_909
.LBB127_905:
	s_mov_b32 s1, -1
                                        ; implicit-def: $vgpr4_vgpr5
	s_branch .LBB127_927
.LBB127_906:
	s_mov_b32 s1, -1
                                        ; implicit-def: $vgpr4_vgpr5
	s_branch .LBB127_915
.LBB127_907:
	s_mov_b32 s1, -1
                                        ; implicit-def: $vgpr4_vgpr5
	s_branch .LBB127_912
.LBB127_908:
	s_mov_b32 s1, -1
                                        ; implicit-def: $vgpr4_vgpr5
.LBB127_909:
	s_delay_alu instid0(SALU_CYCLE_1)
	s_and_not1_b32 vcc_lo, exec_lo, s1
	s_cbranch_vccnz .LBB127_911
; %bb.910:
	global_load_b32 v1, v[14:15], off
	s_wait_loadcnt 0x0
	v_trunc_f32_e32 v1, v1
	s_delay_alu instid0(VALU_DEP_1) | instskip(SKIP_1) | instid1(VALU_DEP_2)
	v_mul_f32_e64 v3, 0x2f800000, |v1|
	v_ashrrev_i32_e32 v4, 31, v1
	v_floor_f32_e32 v3, v3
	s_delay_alu instid0(VALU_DEP_1) | instskip(SKIP_1) | instid1(VALU_DEP_2)
	v_fma_f32 v5, 0xcf800000, v3, |v1|
	v_cvt_u32_f32_e32 v1, v3
	v_cvt_u32_f32_e32 v3, v5
	s_delay_alu instid0(VALU_DEP_2) | instskip(NEXT) | instid1(VALU_DEP_2)
	v_dual_mov_b32 v5, v4 :: v_dual_bitop2_b32 v17, v1, v4 bitop3:0x14
	v_xor_b32_e32 v16, v3, v4
	s_delay_alu instid0(VALU_DEP_1)
	v_sub_nc_u64_e32 v[4:5], v[16:17], v[4:5]
.LBB127_911:
	s_mov_b32 s1, 0
.LBB127_912:
	s_delay_alu instid0(SALU_CYCLE_1)
	s_and_not1_b32 vcc_lo, exec_lo, s1
	s_cbranch_vccnz .LBB127_914
; %bb.913:
	global_load_b32 v1, v[14:15], off
	s_wait_loadcnt 0x0
	v_cvt_f32_f16_e32 v1, v1
	s_delay_alu instid0(VALU_DEP_1) | instskip(NEXT) | instid1(VALU_DEP_1)
	v_cvt_i32_f32_e32 v4, v1
	v_ashrrev_i32_e32 v5, 31, v4
.LBB127_914:
	s_mov_b32 s1, 0
.LBB127_915:
	s_delay_alu instid0(SALU_CYCLE_1)
	s_and_not1_b32 vcc_lo, exec_lo, s1
	s_cbranch_vccnz .LBB127_926
; %bb.916:
	s_cmp_lt_i32 s0, 6
	s_cbranch_scc1 .LBB127_919
; %bb.917:
	s_cmp_gt_i32 s0, 6
	s_cbranch_scc0 .LBB127_920
; %bb.918:
	s_wait_loadcnt 0x0
	global_load_b64 v[4:5], v[14:15], off
	s_mov_b32 s1, 0
	s_wait_loadcnt 0x0
	v_trunc_f64_e32 v[4:5], v[4:5]
	s_delay_alu instid0(VALU_DEP_1) | instskip(NEXT) | instid1(VALU_DEP_1)
	v_ldexp_f64 v[16:17], v[4:5], 0xffffffe0
	v_floor_f64_e32 v[16:17], v[16:17]
	s_delay_alu instid0(VALU_DEP_1) | instskip(SKIP_1) | instid1(VALU_DEP_2)
	v_fmamk_f64 v[18:19], v[16:17], 0xc1f00000, v[4:5]
	v_cvt_i32_f64_e32 v5, v[16:17]
	v_cvt_u32_f64_e32 v4, v[18:19]
	s_branch .LBB127_921
.LBB127_919:
	s_mov_b32 s1, -1
                                        ; implicit-def: $vgpr4_vgpr5
	s_branch .LBB127_924
.LBB127_920:
	s_mov_b32 s1, -1
                                        ; implicit-def: $vgpr4_vgpr5
.LBB127_921:
	s_delay_alu instid0(SALU_CYCLE_1)
	s_and_not1_b32 vcc_lo, exec_lo, s1
	s_cbranch_vccnz .LBB127_923
; %bb.922:
	global_load_b32 v1, v[14:15], off
	s_wait_loadcnt 0x0
	v_trunc_f32_e32 v1, v1
	s_delay_alu instid0(VALU_DEP_1) | instskip(SKIP_1) | instid1(VALU_DEP_2)
	v_mul_f32_e64 v3, 0x2f800000, |v1|
	v_ashrrev_i32_e32 v4, 31, v1
	v_floor_f32_e32 v3, v3
	s_delay_alu instid0(VALU_DEP_1) | instskip(SKIP_1) | instid1(VALU_DEP_2)
	v_fma_f32 v5, 0xcf800000, v3, |v1|
	v_cvt_u32_f32_e32 v1, v3
	v_cvt_u32_f32_e32 v3, v5
	s_delay_alu instid0(VALU_DEP_2) | instskip(NEXT) | instid1(VALU_DEP_2)
	v_dual_mov_b32 v5, v4 :: v_dual_bitop2_b32 v17, v1, v4 bitop3:0x14
	v_xor_b32_e32 v16, v3, v4
	s_delay_alu instid0(VALU_DEP_1)
	v_sub_nc_u64_e32 v[4:5], v[16:17], v[4:5]
.LBB127_923:
	s_mov_b32 s1, 0
.LBB127_924:
	s_delay_alu instid0(SALU_CYCLE_1)
	s_and_not1_b32 vcc_lo, exec_lo, s1
	s_cbranch_vccnz .LBB127_926
; %bb.925:
	global_load_u16 v1, v[14:15], off
	s_wait_loadcnt 0x0
	v_cvt_f32_f16_e32 v1, v1
	s_delay_alu instid0(VALU_DEP_1) | instskip(NEXT) | instid1(VALU_DEP_1)
	v_cvt_i32_f32_e32 v4, v1
	v_ashrrev_i32_e32 v5, 31, v4
.LBB127_926:
	s_mov_b32 s1, 0
.LBB127_927:
	s_delay_alu instid0(SALU_CYCLE_1)
	s_and_not1_b32 vcc_lo, exec_lo, s1
	s_cbranch_vccnz .LBB127_947
; %bb.928:
	s_cmp_lt_i32 s0, 2
	s_cbranch_scc1 .LBB127_932
; %bb.929:
	s_cmp_lt_i32 s0, 3
	s_cbranch_scc1 .LBB127_933
; %bb.930:
	s_cmp_gt_i32 s0, 3
	s_cbranch_scc0 .LBB127_934
; %bb.931:
	s_wait_loadcnt 0x0
	global_load_b64 v[4:5], v[14:15], off
	s_mov_b32 s1, 0
	s_branch .LBB127_935
.LBB127_932:
	s_mov_b32 s1, -1
                                        ; implicit-def: $vgpr4_vgpr5
	s_branch .LBB127_941
.LBB127_933:
	s_mov_b32 s1, -1
                                        ; implicit-def: $vgpr4_vgpr5
	s_branch .LBB127_938
.LBB127_934:
	s_mov_b32 s1, -1
                                        ; implicit-def: $vgpr4_vgpr5
.LBB127_935:
	s_delay_alu instid0(SALU_CYCLE_1)
	s_and_not1_b32 vcc_lo, exec_lo, s1
	s_cbranch_vccnz .LBB127_937
; %bb.936:
	s_wait_loadcnt 0x0
	global_load_b32 v4, v[14:15], off
	s_wait_loadcnt 0x0
	v_ashrrev_i32_e32 v5, 31, v4
.LBB127_937:
	s_mov_b32 s1, 0
.LBB127_938:
	s_delay_alu instid0(SALU_CYCLE_1)
	s_and_not1_b32 vcc_lo, exec_lo, s1
	s_cbranch_vccnz .LBB127_940
; %bb.939:
	global_load_u16 v1, v[14:15], off
	s_wait_loadcnt 0x0
	v_bfe_i32 v4, v1, 0, 16
	s_delay_alu instid0(VALU_DEP_1)
	v_ashrrev_i32_e32 v5, 31, v4
.LBB127_940:
	s_mov_b32 s1, 0
.LBB127_941:
	s_delay_alu instid0(SALU_CYCLE_1)
	s_and_not1_b32 vcc_lo, exec_lo, s1
	s_cbranch_vccnz .LBB127_947
; %bb.942:
	s_cmp_gt_i32 s0, 0
	s_mov_b32 s0, 0
	s_cbranch_scc0 .LBB127_944
; %bb.943:
	global_load_i8 v1, v[14:15], off
	s_wait_loadcnt 0x0
	v_bfe_i32 v4, v1, 0, 16
	s_delay_alu instid0(VALU_DEP_1)
	v_ashrrev_i32_e32 v5, 31, v4
	s_branch .LBB127_945
.LBB127_944:
	s_mov_b32 s0, -1
                                        ; implicit-def: $vgpr4_vgpr5
.LBB127_945:
	s_delay_alu instid0(SALU_CYCLE_1)
	s_and_not1_b32 vcc_lo, exec_lo, s0
	s_cbranch_vccnz .LBB127_947
; %bb.946:
	global_load_u8 v1, v[14:15], off
	s_mov_b32 s0, 0
	s_wait_loadcnt 0x1
	v_mov_b32_e32 v5, s0
	s_wait_loadcnt 0x0
	v_and_b32_e32 v4, 0xffff, v1
.LBB127_947:
	s_mov_b32 s45, -1
.LBB127_948:
	s_delay_alu instid0(SALU_CYCLE_1)
	s_and_not1_b32 vcc_lo, exec_lo, s45
	s_cbranch_vccnz .LBB127_956
; %bb.949:
	s_load_b512 s[4:19], s[2:3], 0x248
	v_mov_b32_e32 v9, 0
	s_and_b32 s0, s82, 0xff
	s_delay_alu instid0(SALU_CYCLE_1) | instskip(SKIP_1) | instid1(VALU_DEP_1)
	s_cmp_lt_i32 s0, 11
	s_wait_kmcnt 0x0
	v_add_nc_u64_e32 v[14:15], s[8:9], v[8:9]
	s_cbranch_scc1 .LBB127_958
; %bb.950:
	s_and_b32 s35, 0xffff, s0
	s_delay_alu instid0(SALU_CYCLE_1)
	s_cmp_gt_i32 s35, 25
	s_cbranch_scc0 .LBB127_959
; %bb.951:
	s_cmp_gt_i32 s35, 28
	s_mov_b64 s[14:15], s[78:79]
	s_mov_b32 s12, s76
	s_cbranch_scc0 .LBB127_960
; %bb.952:
	s_cmp_gt_i32 s35, 43
	s_cbranch_scc0 .LBB127_961
; %bb.953:
	s_cmp_gt_i32 s35, 45
	s_cbranch_scc0 .LBB127_962
; %bb.954:
	s_cmp_eq_u32 s35, 46
	s_mov_b32 s1, 0
	s_cbranch_scc0 .LBB127_969
; %bb.955:
	global_load_b32 v1, v[14:15], off
	s_mov_b32 s45, -1
	s_mov_b32 s4, 0
	s_wait_loadcnt 0x0
	v_lshlrev_b32_e32 v1, 16, v1
	s_delay_alu instid0(VALU_DEP_1) | instskip(NEXT) | instid1(VALU_DEP_1)
	v_trunc_f32_e32 v1, v1
	v_mul_f32_e64 v3, 0x2f800000, |v1|
	v_ashrrev_i32_e32 v8, 31, v1
	s_delay_alu instid0(VALU_DEP_2) | instskip(NEXT) | instid1(VALU_DEP_2)
	v_floor_f32_e32 v3, v3
	v_mov_b32_e32 v9, v8
	s_delay_alu instid0(VALU_DEP_2) | instskip(SKIP_1) | instid1(VALU_DEP_2)
	v_fma_f32 v7, 0xcf800000, v3, |v1|
	v_cvt_u32_f32_e32 v1, v3
	v_cvt_u32_f32_e32 v3, v7
	s_delay_alu instid0(VALU_DEP_2) | instskip(NEXT) | instid1(VALU_DEP_2)
	v_xor_b32_e32 v17, v1, v8
	v_xor_b32_e32 v16, v3, v8
	s_delay_alu instid0(VALU_DEP_1)
	v_sub_nc_u64_e32 v[8:9], v[16:17], v[8:9]
	s_branch .LBB127_971
.LBB127_956:
	s_mov_b32 s0, 0
	s_mov_b32 s1, s101
	;; [unrolled: 1-line block ×3, first 2 shown]
	s_mov_b32 s58, vcc_hi
	s_mov_b32 s60, s99
	s_mov_b32 s59, s100
	;; [unrolled: 1-line block ×6, first 2 shown]
.LBB127_957:
	s_mov_b64 s[14:15], s[78:79]
	s_mov_b32 s12, s76
	s_branch .LBB127_1210
.LBB127_958:
	s_mov_b32 s1, -1
	s_mov_b32 s45, 0
	s_mov_b32 s4, s96
                                        ; implicit-def: $vgpr8_vgpr9
	s_mov_b64 s[14:15], s[78:79]
	s_mov_b32 s12, s76
	s_branch .LBB127_1152
.LBB127_959:
	s_mov_b32 s1, -1
	s_mov_b32 s45, 0
	s_mov_b32 s4, s96
	s_mov_b64 s[14:15], s[78:79]
	s_mov_b32 s12, s76
                                        ; implicit-def: $vgpr8_vgpr9
	s_branch .LBB127_1118
.LBB127_960:
	s_mov_b32 s1, -1
	s_mov_b32 s45, 0
	s_mov_b32 s4, s96
                                        ; implicit-def: $vgpr8_vgpr9
	s_branch .LBB127_1101
.LBB127_961:
	s_mov_b32 s1, -1
	s_mov_b32 s45, 0
	s_mov_b32 s4, s96
                                        ; implicit-def: $vgpr8_vgpr9
	s_branch .LBB127_1096
.LBB127_962:
	s_mov_b32 s1, -1
	s_mov_b32 s45, 0
	s_mov_b32 s4, s96
	s_branch .LBB127_970
.LBB127_963:
	s_mov_b32 s1, -1
	s_mov_b32 s88, 0
	s_branch .LBB127_2717
.LBB127_964:
	s_mov_b32 s46, -1
	s_mov_b32 s47, 0
.LBB127_965:
                                        ; implicit-def: $vgpr12_vgpr13
.LBB127_966:
	s_and_b32 vcc_lo, exec_lo, s1
	s_cbranch_vccz .LBB127_975
; %bb.967:
	s_cmp_eq_u32 s35, 44
	s_cbranch_scc0 .LBB127_974
; %bb.968:
	global_load_u8 v1, v[14:15], off
	s_mov_b32 s46, 0
	s_mov_b32 s47, -1
	s_wait_loadcnt 0x0
	v_lshlrev_b32_e32 v3, 23, v1
	v_cmp_ne_u32_e32 vcc_lo, 0, v1
	s_delay_alu instid0(VALU_DEP_2) | instskip(NEXT) | instid1(VALU_DEP_1)
	v_trunc_f32_e32 v3, v3
	v_mul_f32_e64 v7, 0x2f800000, |v3|
	v_ashrrev_i32_e32 v12, 31, v3
	s_delay_alu instid0(VALU_DEP_2) | instskip(NEXT) | instid1(VALU_DEP_2)
	v_floor_f32_e32 v7, v7
	v_mov_b32_e32 v13, v12
	s_delay_alu instid0(VALU_DEP_2) | instskip(SKIP_1) | instid1(VALU_DEP_2)
	v_fma_f32 v11, 0xcf800000, v7, |v3|
	v_cvt_u32_f32_e32 v3, v7
	v_cvt_u32_f32_e32 v7, v11
	s_delay_alu instid0(VALU_DEP_2) | instskip(NEXT) | instid1(VALU_DEP_2)
	v_xor_b32_e32 v17, v3, v12
	v_xor_b32_e32 v16, v7, v12
	s_delay_alu instid0(VALU_DEP_1) | instskip(NEXT) | instid1(VALU_DEP_1)
	v_sub_nc_u64_e32 v[12:13], v[16:17], v[12:13]
	v_dual_cndmask_b32 v13, 0, v13 :: v_dual_cndmask_b32 v12, 0, v12
	s_branch .LBB127_975
.LBB127_969:
	s_mov_b32 s4, -1
	s_mov_b32 s45, 0
.LBB127_970:
                                        ; implicit-def: $vgpr8_vgpr9
.LBB127_971:
	s_and_b32 vcc_lo, exec_lo, s1
	s_cbranch_vccz .LBB127_1095
; %bb.972:
	s_cmp_eq_u32 s35, 44
	s_cbranch_scc0 .LBB127_1094
; %bb.973:
	global_load_u8 v1, v[14:15], off
	s_mov_b32 s4, 0
	s_mov_b32 s45, -1
	s_wait_loadcnt 0x0
	v_lshlrev_b32_e32 v3, 23, v1
	v_cmp_ne_u32_e32 vcc_lo, 0, v1
	s_delay_alu instid0(VALU_DEP_2) | instskip(NEXT) | instid1(VALU_DEP_1)
	v_trunc_f32_e32 v3, v3
	v_mul_f32_e64 v7, 0x2f800000, |v3|
	v_ashrrev_i32_e32 v8, 31, v3
	s_delay_alu instid0(VALU_DEP_2) | instskip(NEXT) | instid1(VALU_DEP_1)
	v_floor_f32_e32 v7, v7
	v_fma_f32 v9, 0xcf800000, v7, |v3|
	v_cvt_u32_f32_e32 v3, v7
	s_delay_alu instid0(VALU_DEP_2) | instskip(NEXT) | instid1(VALU_DEP_2)
	v_cvt_u32_f32_e32 v7, v9
	v_dual_mov_b32 v9, v8 :: v_dual_bitop2_b32 v17, v3, v8 bitop3:0x14
	s_delay_alu instid0(VALU_DEP_2) | instskip(NEXT) | instid1(VALU_DEP_1)
	v_xor_b32_e32 v16, v7, v8
	v_sub_nc_u64_e32 v[8:9], v[16:17], v[8:9]
	s_delay_alu instid0(VALU_DEP_1)
	v_dual_cndmask_b32 v9, 0, v9 :: v_dual_cndmask_b32 v8, 0, v8
	s_branch .LBB127_1095
.LBB127_974:
	s_mov_b32 s46, -1
                                        ; implicit-def: $vgpr12_vgpr13
.LBB127_975:
	s_mov_b32 s1, 0
.LBB127_976:
	s_delay_alu instid0(SALU_CYCLE_1)
	s_and_b32 vcc_lo, exec_lo, s1
	s_cbranch_vccz .LBB127_980
; %bb.977:
	s_cmp_eq_u32 s35, 29
	s_cbranch_scc0 .LBB127_979
; %bb.978:
	global_load_b64 v[12:13], v[14:15], off
	s_mov_b32 s47, -1
	s_mov_b32 s46, 0
	s_branch .LBB127_980
.LBB127_979:
	s_mov_b32 s46, -1
                                        ; implicit-def: $vgpr12_vgpr13
.LBB127_980:
	s_mov_b32 s1, 0
.LBB127_981:
	s_delay_alu instid0(SALU_CYCLE_1)
	s_and_b32 vcc_lo, exec_lo, s1
	s_cbranch_vccz .LBB127_997
; %bb.982:
	s_cmp_lt_i32 s35, 27
	s_cbranch_scc1 .LBB127_985
; %bb.983:
	s_cmp_gt_i32 s35, 27
	s_cbranch_scc0 .LBB127_986
; %bb.984:
	s_wait_loadcnt 0x0
	global_load_b32 v12, v[14:15], off
	v_mov_b32_e32 v13, 0
	s_mov_b32 s1, 0
	s_branch .LBB127_987
.LBB127_985:
	s_mov_b32 s1, -1
                                        ; implicit-def: $vgpr12_vgpr13
	s_branch .LBB127_990
.LBB127_986:
	s_mov_b32 s1, -1
                                        ; implicit-def: $vgpr12_vgpr13
.LBB127_987:
	s_delay_alu instid0(SALU_CYCLE_1)
	s_and_not1_b32 vcc_lo, exec_lo, s1
	s_cbranch_vccnz .LBB127_989
; %bb.988:
	global_load_u16 v1, v[14:15], off
	s_mov_b32 s1, 0
	s_wait_loadcnt 0x1
	v_mov_b32_e32 v13, s1
	s_wait_loadcnt 0x0
	v_and_b32_e32 v12, 0xffff, v1
.LBB127_989:
	s_mov_b32 s1, 0
.LBB127_990:
	s_delay_alu instid0(SALU_CYCLE_1)
	s_and_not1_b32 vcc_lo, exec_lo, s1
	s_cbranch_vccnz .LBB127_996
; %bb.991:
	global_load_u8 v1, v[14:15], off
	s_mov_b32 s47, 0
	s_mov_b32 s1, exec_lo
	s_wait_loadcnt 0x0
	v_cmpx_lt_i16_e32 0x7f, v1
	s_xor_b32 s1, exec_lo, s1
	s_cbranch_execz .LBB127_1008
; %bb.992:
	v_cmp_ne_u16_e32 vcc_lo, 0x80, v1
	s_and_b32 s47, vcc_lo, exec_lo
	s_and_not1_saveexec_b32 s1, s1
	s_cbranch_execnz .LBB127_1009
.LBB127_993:
	s_or_b32 exec_lo, exec_lo, s1
	v_mov_b64_e32 v[12:13], 0
	s_and_saveexec_b32 s1, s47
	s_cbranch_execz .LBB127_995
.LBB127_994:
	v_and_b32_e32 v3, 0xffff, v1
	s_delay_alu instid0(VALU_DEP_1) | instskip(SKIP_1) | instid1(VALU_DEP_2)
	v_dual_lshlrev_b32 v1, 24, v1 :: v_dual_bitop2_b32 v7, 7, v3 bitop3:0x40
	v_bfe_u32 v13, v3, 3, 4
	v_and_b32_e32 v1, 0x80000000, v1
	s_delay_alu instid0(VALU_DEP_3) | instskip(NEXT) | instid1(VALU_DEP_3)
	v_clz_i32_u32_e32 v11, v7
	v_cmp_eq_u32_e32 vcc_lo, 0, v13
	s_delay_alu instid0(VALU_DEP_2) | instskip(NEXT) | instid1(VALU_DEP_1)
	v_min_u32_e32 v11, 32, v11
	v_subrev_nc_u32_e32 v12, 28, v11
	v_sub_nc_u32_e32 v11, 29, v11
	s_delay_alu instid0(VALU_DEP_2) | instskip(NEXT) | instid1(VALU_DEP_2)
	v_lshlrev_b32_e32 v3, v12, v3
	v_cndmask_b32_e32 v11, v13, v11, vcc_lo
	s_delay_alu instid0(VALU_DEP_2) | instskip(NEXT) | instid1(VALU_DEP_1)
	v_and_b32_e32 v3, 7, v3
	v_cndmask_b32_e32 v3, v7, v3, vcc_lo
	s_delay_alu instid0(VALU_DEP_3) | instskip(NEXT) | instid1(VALU_DEP_2)
	v_lshl_add_u32 v7, v11, 23, 0x3b800000
	v_lshlrev_b32_e32 v3, 20, v3
	s_delay_alu instid0(VALU_DEP_1) | instskip(NEXT) | instid1(VALU_DEP_1)
	v_or3_b32 v1, v1, v7, v3
	v_trunc_f32_e32 v1, v1
	s_delay_alu instid0(VALU_DEP_1) | instskip(SKIP_1) | instid1(VALU_DEP_2)
	v_mul_f32_e64 v3, 0x2f800000, |v1|
	v_ashrrev_i32_e32 v12, 31, v1
	v_floor_f32_e32 v3, v3
	s_delay_alu instid0(VALU_DEP_2) | instskip(NEXT) | instid1(VALU_DEP_2)
	v_mov_b32_e32 v13, v12
	v_fma_f32 v7, 0xcf800000, v3, |v1|
	v_cvt_u32_f32_e32 v1, v3
	s_delay_alu instid0(VALU_DEP_2) | instskip(NEXT) | instid1(VALU_DEP_2)
	v_cvt_u32_f32_e32 v3, v7
	v_xor_b32_e32 v17, v1, v12
	s_delay_alu instid0(VALU_DEP_2) | instskip(NEXT) | instid1(VALU_DEP_1)
	v_xor_b32_e32 v16, v3, v12
	v_sub_nc_u64_e32 v[12:13], v[16:17], v[12:13]
.LBB127_995:
	s_or_b32 exec_lo, exec_lo, s1
.LBB127_996:
	s_mov_b32 s47, -1
.LBB127_997:
	s_mov_b32 s1, 0
.LBB127_998:
	s_delay_alu instid0(SALU_CYCLE_1)
	s_and_b32 vcc_lo, exec_lo, s1
	s_cbranch_vccz .LBB127_1031
; %bb.999:
	s_cmp_gt_i32 s35, 22
	s_cbranch_scc0 .LBB127_1007
; %bb.1000:
	s_cmp_lt_i32 s35, 24
	s_cbranch_scc1 .LBB127_1010
; %bb.1001:
	s_cmp_gt_i32 s35, 24
	s_cbranch_scc0 .LBB127_1011
; %bb.1002:
	global_load_u8 v1, v[14:15], off
	s_mov_b32 s47, 0
	s_mov_b32 s1, exec_lo
	s_wait_loadcnt 0x0
	v_cmpx_lt_i16_e32 0x7f, v1
	s_xor_b32 s1, exec_lo, s1
	s_cbranch_execz .LBB127_1023
; %bb.1003:
	v_cmp_ne_u16_e32 vcc_lo, 0x80, v1
	s_and_b32 s47, vcc_lo, exec_lo
	s_and_not1_saveexec_b32 s1, s1
	s_cbranch_execnz .LBB127_1024
.LBB127_1004:
	s_or_b32 exec_lo, exec_lo, s1
	v_mov_b64_e32 v[12:13], 0
	s_and_saveexec_b32 s1, s47
	s_cbranch_execz .LBB127_1006
.LBB127_1005:
	v_and_b32_e32 v3, 0xffff, v1
	s_delay_alu instid0(VALU_DEP_1) | instskip(SKIP_1) | instid1(VALU_DEP_2)
	v_dual_lshlrev_b32 v1, 24, v1 :: v_dual_bitop2_b32 v7, 3, v3 bitop3:0x40
	v_bfe_u32 v13, v3, 2, 5
	v_and_b32_e32 v1, 0x80000000, v1
	s_delay_alu instid0(VALU_DEP_3) | instskip(NEXT) | instid1(VALU_DEP_3)
	v_clz_i32_u32_e32 v11, v7
	v_cmp_eq_u32_e32 vcc_lo, 0, v13
	s_delay_alu instid0(VALU_DEP_2) | instskip(NEXT) | instid1(VALU_DEP_1)
	v_min_u32_e32 v11, 32, v11
	v_subrev_nc_u32_e32 v12, 29, v11
	v_sub_nc_u32_e32 v11, 30, v11
	s_delay_alu instid0(VALU_DEP_2) | instskip(NEXT) | instid1(VALU_DEP_2)
	v_lshlrev_b32_e32 v3, v12, v3
	v_cndmask_b32_e32 v11, v13, v11, vcc_lo
	s_delay_alu instid0(VALU_DEP_2) | instskip(NEXT) | instid1(VALU_DEP_1)
	v_and_b32_e32 v3, 3, v3
	v_cndmask_b32_e32 v3, v7, v3, vcc_lo
	s_delay_alu instid0(VALU_DEP_3) | instskip(NEXT) | instid1(VALU_DEP_2)
	v_lshl_add_u32 v7, v11, 23, 0x37800000
	v_lshlrev_b32_e32 v3, 21, v3
	s_delay_alu instid0(VALU_DEP_1) | instskip(NEXT) | instid1(VALU_DEP_1)
	v_or3_b32 v1, v1, v7, v3
	v_trunc_f32_e32 v1, v1
	s_delay_alu instid0(VALU_DEP_1) | instskip(SKIP_1) | instid1(VALU_DEP_2)
	v_mul_f32_e64 v3, 0x2f800000, |v1|
	v_ashrrev_i32_e32 v12, 31, v1
	v_floor_f32_e32 v3, v3
	s_delay_alu instid0(VALU_DEP_2) | instskip(NEXT) | instid1(VALU_DEP_2)
	v_mov_b32_e32 v13, v12
	v_fma_f32 v7, 0xcf800000, v3, |v1|
	v_cvt_u32_f32_e32 v1, v3
	s_delay_alu instid0(VALU_DEP_2) | instskip(NEXT) | instid1(VALU_DEP_2)
	v_cvt_u32_f32_e32 v3, v7
	v_xor_b32_e32 v17, v1, v12
	s_delay_alu instid0(VALU_DEP_2) | instskip(NEXT) | instid1(VALU_DEP_1)
	v_xor_b32_e32 v16, v3, v12
	v_sub_nc_u64_e32 v[12:13], v[16:17], v[12:13]
.LBB127_1006:
	s_or_b32 exec_lo, exec_lo, s1
	s_mov_b32 s1, 0
	s_branch .LBB127_1012
.LBB127_1007:
	s_mov_b32 s1, -1
                                        ; implicit-def: $vgpr12_vgpr13
	s_branch .LBB127_1018
.LBB127_1008:
	s_and_not1_saveexec_b32 s1, s1
	s_cbranch_execz .LBB127_993
.LBB127_1009:
	v_cmp_ne_u16_e32 vcc_lo, 0, v1
	s_and_not1_b32 s36, s47, exec_lo
	s_and_b32 s37, vcc_lo, exec_lo
	s_delay_alu instid0(SALU_CYCLE_1)
	s_or_b32 s47, s36, s37
	s_or_b32 exec_lo, exec_lo, s1
	v_mov_b64_e32 v[12:13], 0
	s_and_saveexec_b32 s1, s47
	s_cbranch_execnz .LBB127_994
	s_branch .LBB127_995
.LBB127_1010:
	s_mov_b32 s1, -1
                                        ; implicit-def: $vgpr12_vgpr13
	s_branch .LBB127_1015
.LBB127_1011:
	s_mov_b32 s1, -1
                                        ; implicit-def: $vgpr12_vgpr13
.LBB127_1012:
	s_delay_alu instid0(SALU_CYCLE_1)
	s_and_b32 vcc_lo, exec_lo, s1
	s_cbranch_vccz .LBB127_1014
; %bb.1013:
	global_load_u8 v1, v[14:15], off
	s_wait_loadcnt 0x0
	v_lshlrev_b32_e32 v1, 24, v1
	s_delay_alu instid0(VALU_DEP_1) | instskip(NEXT) | instid1(VALU_DEP_1)
	v_and_b32_e32 v3, 0x7f000000, v1
	v_clz_i32_u32_e32 v7, v3
	v_add_nc_u32_e32 v12, 0x1000000, v3
	v_cmp_ne_u32_e32 vcc_lo, 0, v3
	s_delay_alu instid0(VALU_DEP_3) | instskip(NEXT) | instid1(VALU_DEP_1)
	v_min_u32_e32 v7, 32, v7
	v_sub_nc_u32_e64 v7, v7, 4 clamp
	s_delay_alu instid0(VALU_DEP_1) | instskip(SKIP_1) | instid1(VALU_DEP_2)
	v_lshlrev_b32_e32 v11, v7, v3
	v_lshlrev_b32_e32 v7, 23, v7
	v_lshrrev_b32_e32 v11, 4, v11
	s_delay_alu instid0(VALU_DEP_1) | instskip(NEXT) | instid1(VALU_DEP_1)
	v_dual_sub_nc_u32 v7, v11, v7 :: v_dual_ashrrev_i32 v11, 8, v12
	v_add_nc_u32_e32 v7, 0x3c000000, v7
	s_delay_alu instid0(VALU_DEP_1) | instskip(NEXT) | instid1(VALU_DEP_1)
	v_and_or_b32 v7, 0x7f800000, v11, v7
	v_cndmask_b32_e32 v3, 0, v7, vcc_lo
	s_delay_alu instid0(VALU_DEP_1) | instskip(NEXT) | instid1(VALU_DEP_1)
	v_and_or_b32 v1, 0x80000000, v1, v3
	v_trunc_f32_e32 v1, v1
	s_delay_alu instid0(VALU_DEP_1) | instskip(SKIP_1) | instid1(VALU_DEP_2)
	v_mul_f32_e64 v3, 0x2f800000, |v1|
	v_ashrrev_i32_e32 v12, 31, v1
	v_floor_f32_e32 v3, v3
	s_delay_alu instid0(VALU_DEP_2) | instskip(NEXT) | instid1(VALU_DEP_2)
	v_mov_b32_e32 v13, v12
	v_fma_f32 v7, 0xcf800000, v3, |v1|
	v_cvt_u32_f32_e32 v1, v3
	s_delay_alu instid0(VALU_DEP_2) | instskip(NEXT) | instid1(VALU_DEP_2)
	v_cvt_u32_f32_e32 v3, v7
	v_xor_b32_e32 v17, v1, v12
	s_delay_alu instid0(VALU_DEP_2) | instskip(NEXT) | instid1(VALU_DEP_1)
	v_xor_b32_e32 v16, v3, v12
	v_sub_nc_u64_e32 v[12:13], v[16:17], v[12:13]
.LBB127_1014:
	s_mov_b32 s1, 0
.LBB127_1015:
	s_delay_alu instid0(SALU_CYCLE_1)
	s_and_not1_b32 vcc_lo, exec_lo, s1
	s_cbranch_vccnz .LBB127_1017
; %bb.1016:
	global_load_u8 v1, v[14:15], off
	s_wait_loadcnt 0x0
	v_lshlrev_b32_e32 v3, 25, v1
	v_lshlrev_b16 v1, 8, v1
	s_delay_alu instid0(VALU_DEP_1) | instskip(SKIP_1) | instid1(VALU_DEP_2)
	v_and_or_b32 v11, 0x7f00, v1, 0.5
	v_bfe_i32 v1, v1, 0, 16
	v_add_f32_e32 v11, -0.5, v11
	v_lshrrev_b32_e32 v7, 4, v3
	v_cmp_gt_u32_e32 vcc_lo, 0x8000000, v3
	s_delay_alu instid0(VALU_DEP_2) | instskip(NEXT) | instid1(VALU_DEP_1)
	v_or_b32_e32 v7, 0x70000000, v7
	v_mul_f32_e32 v7, 0x7800000, v7
	s_delay_alu instid0(VALU_DEP_1) | instskip(NEXT) | instid1(VALU_DEP_1)
	v_cndmask_b32_e32 v3, v7, v11, vcc_lo
	v_and_or_b32 v1, 0x80000000, v1, v3
	s_delay_alu instid0(VALU_DEP_1) | instskip(NEXT) | instid1(VALU_DEP_1)
	v_trunc_f32_e32 v1, v1
	v_mul_f32_e64 v3, 0x2f800000, |v1|
	v_ashrrev_i32_e32 v12, 31, v1
	s_delay_alu instid0(VALU_DEP_2) | instskip(NEXT) | instid1(VALU_DEP_2)
	v_floor_f32_e32 v3, v3
	v_mov_b32_e32 v13, v12
	s_delay_alu instid0(VALU_DEP_2) | instskip(SKIP_1) | instid1(VALU_DEP_2)
	v_fma_f32 v7, 0xcf800000, v3, |v1|
	v_cvt_u32_f32_e32 v1, v3
	v_cvt_u32_f32_e32 v3, v7
	s_delay_alu instid0(VALU_DEP_2) | instskip(NEXT) | instid1(VALU_DEP_2)
	v_xor_b32_e32 v17, v1, v12
	v_xor_b32_e32 v16, v3, v12
	s_delay_alu instid0(VALU_DEP_1)
	v_sub_nc_u64_e32 v[12:13], v[16:17], v[12:13]
.LBB127_1017:
	s_mov_b32 s1, 0
	s_mov_b32 s47, -1
.LBB127_1018:
	s_and_not1_b32 vcc_lo, exec_lo, s1
	s_cbranch_vccnz .LBB127_1031
; %bb.1019:
	s_cmp_gt_i32 s35, 14
	s_cbranch_scc0 .LBB127_1022
; %bb.1020:
	s_cmp_eq_u32 s35, 15
	s_cbranch_scc0 .LBB127_1025
; %bb.1021:
	global_load_u16 v1, v[14:15], off
	s_mov_b32 s47, -1
	s_mov_b32 s46, 0
	s_wait_loadcnt 0x0
	v_lshlrev_b32_e32 v1, 16, v1
	s_delay_alu instid0(VALU_DEP_1) | instskip(NEXT) | instid1(VALU_DEP_1)
	v_trunc_f32_e32 v1, v1
	v_mul_f32_e64 v3, 0x2f800000, |v1|
	v_ashrrev_i32_e32 v12, 31, v1
	s_delay_alu instid0(VALU_DEP_2) | instskip(NEXT) | instid1(VALU_DEP_2)
	v_floor_f32_e32 v3, v3
	v_mov_b32_e32 v13, v12
	s_delay_alu instid0(VALU_DEP_2) | instskip(SKIP_1) | instid1(VALU_DEP_2)
	v_fma_f32 v7, 0xcf800000, v3, |v1|
	v_cvt_u32_f32_e32 v1, v3
	v_cvt_u32_f32_e32 v3, v7
	s_delay_alu instid0(VALU_DEP_2) | instskip(NEXT) | instid1(VALU_DEP_2)
	v_xor_b32_e32 v17, v1, v12
	v_xor_b32_e32 v16, v3, v12
	s_delay_alu instid0(VALU_DEP_1)
	v_sub_nc_u64_e32 v[12:13], v[16:17], v[12:13]
	s_branch .LBB127_1026
.LBB127_1022:
	s_mov_b32 s1, -1
                                        ; implicit-def: $vgpr12_vgpr13
	s_branch .LBB127_1027
.LBB127_1023:
	s_and_not1_saveexec_b32 s1, s1
	s_cbranch_execz .LBB127_1004
.LBB127_1024:
	v_cmp_ne_u16_e32 vcc_lo, 0, v1
	s_and_not1_b32 s36, s47, exec_lo
	s_and_b32 s37, vcc_lo, exec_lo
	s_delay_alu instid0(SALU_CYCLE_1)
	s_or_b32 s47, s36, s37
	s_or_b32 exec_lo, exec_lo, s1
	v_mov_b64_e32 v[12:13], 0
	s_and_saveexec_b32 s1, s47
	s_cbranch_execnz .LBB127_1005
	s_branch .LBB127_1006
.LBB127_1025:
	s_mov_b32 s46, -1
                                        ; implicit-def: $vgpr12_vgpr13
.LBB127_1026:
	s_mov_b32 s1, 0
.LBB127_1027:
	s_delay_alu instid0(SALU_CYCLE_1)
	s_and_b32 vcc_lo, exec_lo, s1
	s_cbranch_vccz .LBB127_1031
; %bb.1028:
	s_cmp_eq_u32 s35, 11
	s_cbranch_scc0 .LBB127_1030
; %bb.1029:
	global_load_u8 v1, v[14:15], off
	s_mov_b32 s46, 0
	s_mov_b32 s47, -1
	s_wait_loadcnt 0x1
	v_mov_b32_e32 v13, s46
	s_wait_loadcnt 0x0
	v_cmp_ne_u16_e32 vcc_lo, 0, v1
	v_cndmask_b32_e64 v12, 0, 1, vcc_lo
	s_branch .LBB127_1031
.LBB127_1030:
	s_mov_b32 s46, -1
                                        ; implicit-def: $vgpr12_vgpr13
.LBB127_1031:
	s_mov_b32 s1, 0
.LBB127_1032:
	s_delay_alu instid0(SALU_CYCLE_1)
	s_and_b32 vcc_lo, exec_lo, s1
	s_cbranch_vccz .LBB127_1081
; %bb.1033:
	s_and_b32 s0, 0xffff, s0
	s_delay_alu instid0(SALU_CYCLE_1)
	s_cmp_lt_i32 s0, 5
	s_cbranch_scc1 .LBB127_1038
; %bb.1034:
	s_cmp_lt_i32 s0, 8
	s_cbranch_scc1 .LBB127_1039
; %bb.1035:
	;; [unrolled: 3-line block ×3, first 2 shown]
	s_cmp_gt_i32 s0, 9
	s_cbranch_scc0 .LBB127_1041
; %bb.1037:
	s_wait_loadcnt 0x0
	global_load_b64 v[12:13], v[14:15], off
	s_mov_b32 s1, 0
	s_wait_loadcnt 0x0
	v_trunc_f64_e32 v[12:13], v[12:13]
	s_delay_alu instid0(VALU_DEP_1) | instskip(NEXT) | instid1(VALU_DEP_1)
	v_ldexp_f64 v[16:17], v[12:13], 0xffffffe0
	v_floor_f64_e32 v[16:17], v[16:17]
	s_delay_alu instid0(VALU_DEP_1) | instskip(SKIP_1) | instid1(VALU_DEP_2)
	v_fmamk_f64 v[18:19], v[16:17], 0xc1f00000, v[12:13]
	v_cvt_i32_f64_e32 v13, v[16:17]
	v_cvt_u32_f64_e32 v12, v[18:19]
	s_branch .LBB127_1042
.LBB127_1038:
	s_mov_b32 s1, -1
                                        ; implicit-def: $vgpr12_vgpr13
	s_branch .LBB127_1060
.LBB127_1039:
	s_mov_b32 s1, -1
                                        ; implicit-def: $vgpr12_vgpr13
	s_branch .LBB127_1048
.LBB127_1040:
	s_mov_b32 s1, -1
                                        ; implicit-def: $vgpr12_vgpr13
	s_branch .LBB127_1045
.LBB127_1041:
	s_mov_b32 s1, -1
                                        ; implicit-def: $vgpr12_vgpr13
.LBB127_1042:
	s_delay_alu instid0(SALU_CYCLE_1)
	s_and_not1_b32 vcc_lo, exec_lo, s1
	s_cbranch_vccnz .LBB127_1044
; %bb.1043:
	global_load_b32 v1, v[14:15], off
	s_wait_loadcnt 0x0
	v_trunc_f32_e32 v1, v1
	s_delay_alu instid0(VALU_DEP_1) | instskip(SKIP_1) | instid1(VALU_DEP_2)
	v_mul_f32_e64 v3, 0x2f800000, |v1|
	v_ashrrev_i32_e32 v12, 31, v1
	v_floor_f32_e32 v3, v3
	s_delay_alu instid0(VALU_DEP_1) | instskip(SKIP_1) | instid1(VALU_DEP_4)
	v_fma_f32 v7, 0xcf800000, v3, |v1|
	v_cvt_u32_f32_e32 v1, v3
	v_mov_b32_e32 v13, v12
	s_delay_alu instid0(VALU_DEP_3) | instskip(NEXT) | instid1(VALU_DEP_3)
	v_cvt_u32_f32_e32 v3, v7
	v_xor_b32_e32 v17, v1, v12
	s_delay_alu instid0(VALU_DEP_2) | instskip(NEXT) | instid1(VALU_DEP_1)
	v_xor_b32_e32 v16, v3, v12
	v_sub_nc_u64_e32 v[12:13], v[16:17], v[12:13]
.LBB127_1044:
	s_mov_b32 s1, 0
.LBB127_1045:
	s_delay_alu instid0(SALU_CYCLE_1)
	s_and_not1_b32 vcc_lo, exec_lo, s1
	s_cbranch_vccnz .LBB127_1047
; %bb.1046:
	global_load_b32 v1, v[14:15], off
	s_wait_loadcnt 0x0
	v_cvt_f32_f16_e32 v1, v1
	s_delay_alu instid0(VALU_DEP_1) | instskip(NEXT) | instid1(VALU_DEP_1)
	v_cvt_i32_f32_e32 v12, v1
	v_ashrrev_i32_e32 v13, 31, v12
.LBB127_1047:
	s_mov_b32 s1, 0
.LBB127_1048:
	s_delay_alu instid0(SALU_CYCLE_1)
	s_and_not1_b32 vcc_lo, exec_lo, s1
	s_cbranch_vccnz .LBB127_1059
; %bb.1049:
	s_cmp_lt_i32 s0, 6
	s_cbranch_scc1 .LBB127_1052
; %bb.1050:
	s_cmp_gt_i32 s0, 6
	s_cbranch_scc0 .LBB127_1053
; %bb.1051:
	s_wait_loadcnt 0x0
	global_load_b64 v[12:13], v[14:15], off
	s_mov_b32 s1, 0
	s_wait_loadcnt 0x0
	v_trunc_f64_e32 v[12:13], v[12:13]
	s_delay_alu instid0(VALU_DEP_1) | instskip(NEXT) | instid1(VALU_DEP_1)
	v_ldexp_f64 v[16:17], v[12:13], 0xffffffe0
	v_floor_f64_e32 v[16:17], v[16:17]
	s_delay_alu instid0(VALU_DEP_1) | instskip(SKIP_1) | instid1(VALU_DEP_2)
	v_fmamk_f64 v[18:19], v[16:17], 0xc1f00000, v[12:13]
	v_cvt_i32_f64_e32 v13, v[16:17]
	v_cvt_u32_f64_e32 v12, v[18:19]
	s_branch .LBB127_1054
.LBB127_1052:
	s_mov_b32 s1, -1
                                        ; implicit-def: $vgpr12_vgpr13
	s_branch .LBB127_1057
.LBB127_1053:
	s_mov_b32 s1, -1
                                        ; implicit-def: $vgpr12_vgpr13
.LBB127_1054:
	s_delay_alu instid0(SALU_CYCLE_1)
	s_and_not1_b32 vcc_lo, exec_lo, s1
	s_cbranch_vccnz .LBB127_1056
; %bb.1055:
	global_load_b32 v1, v[14:15], off
	s_wait_loadcnt 0x0
	v_trunc_f32_e32 v1, v1
	s_delay_alu instid0(VALU_DEP_1) | instskip(SKIP_1) | instid1(VALU_DEP_2)
	v_mul_f32_e64 v3, 0x2f800000, |v1|
	v_ashrrev_i32_e32 v12, 31, v1
	v_floor_f32_e32 v3, v3
	s_delay_alu instid0(VALU_DEP_1) | instskip(SKIP_1) | instid1(VALU_DEP_4)
	v_fma_f32 v7, 0xcf800000, v3, |v1|
	v_cvt_u32_f32_e32 v1, v3
	v_mov_b32_e32 v13, v12
	s_delay_alu instid0(VALU_DEP_3) | instskip(NEXT) | instid1(VALU_DEP_3)
	v_cvt_u32_f32_e32 v3, v7
	v_xor_b32_e32 v17, v1, v12
	s_delay_alu instid0(VALU_DEP_2) | instskip(NEXT) | instid1(VALU_DEP_1)
	v_xor_b32_e32 v16, v3, v12
	v_sub_nc_u64_e32 v[12:13], v[16:17], v[12:13]
.LBB127_1056:
	s_mov_b32 s1, 0
.LBB127_1057:
	s_delay_alu instid0(SALU_CYCLE_1)
	s_and_not1_b32 vcc_lo, exec_lo, s1
	s_cbranch_vccnz .LBB127_1059
; %bb.1058:
	global_load_u16 v1, v[14:15], off
	s_wait_loadcnt 0x0
	v_cvt_f32_f16_e32 v1, v1
	s_delay_alu instid0(VALU_DEP_1) | instskip(NEXT) | instid1(VALU_DEP_1)
	v_cvt_i32_f32_e32 v12, v1
	v_ashrrev_i32_e32 v13, 31, v12
.LBB127_1059:
	s_mov_b32 s1, 0
.LBB127_1060:
	s_delay_alu instid0(SALU_CYCLE_1)
	s_and_not1_b32 vcc_lo, exec_lo, s1
	s_cbranch_vccnz .LBB127_1080
; %bb.1061:
	s_cmp_lt_i32 s0, 2
	s_cbranch_scc1 .LBB127_1065
; %bb.1062:
	s_cmp_lt_i32 s0, 3
	s_cbranch_scc1 .LBB127_1066
; %bb.1063:
	s_cmp_gt_i32 s0, 3
	s_cbranch_scc0 .LBB127_1067
; %bb.1064:
	s_wait_loadcnt 0x0
	global_load_b64 v[12:13], v[14:15], off
	s_mov_b32 s1, 0
	s_branch .LBB127_1068
.LBB127_1065:
	s_mov_b32 s1, -1
                                        ; implicit-def: $vgpr12_vgpr13
	s_branch .LBB127_1074
.LBB127_1066:
	s_mov_b32 s1, -1
                                        ; implicit-def: $vgpr12_vgpr13
	s_branch .LBB127_1071
.LBB127_1067:
	s_mov_b32 s1, -1
                                        ; implicit-def: $vgpr12_vgpr13
.LBB127_1068:
	s_delay_alu instid0(SALU_CYCLE_1)
	s_and_not1_b32 vcc_lo, exec_lo, s1
	s_cbranch_vccnz .LBB127_1070
; %bb.1069:
	s_wait_loadcnt 0x0
	global_load_b32 v12, v[14:15], off
	s_wait_loadcnt 0x0
	v_ashrrev_i32_e32 v13, 31, v12
.LBB127_1070:
	s_mov_b32 s1, 0
.LBB127_1071:
	s_delay_alu instid0(SALU_CYCLE_1)
	s_and_not1_b32 vcc_lo, exec_lo, s1
	s_cbranch_vccnz .LBB127_1073
; %bb.1072:
	global_load_u16 v1, v[14:15], off
	s_wait_loadcnt 0x0
	v_bfe_i32 v12, v1, 0, 16
	s_delay_alu instid0(VALU_DEP_1)
	v_ashrrev_i32_e32 v13, 31, v12
.LBB127_1073:
	s_mov_b32 s1, 0
.LBB127_1074:
	s_delay_alu instid0(SALU_CYCLE_1)
	s_and_not1_b32 vcc_lo, exec_lo, s1
	s_cbranch_vccnz .LBB127_1080
; %bb.1075:
	s_cmp_gt_i32 s0, 0
	s_mov_b32 s0, 0
	s_cbranch_scc0 .LBB127_1077
; %bb.1076:
	global_load_i8 v1, v[14:15], off
	s_wait_loadcnt 0x0
	v_bfe_i32 v12, v1, 0, 16
	s_delay_alu instid0(VALU_DEP_1)
	v_ashrrev_i32_e32 v13, 31, v12
	s_branch .LBB127_1078
.LBB127_1077:
	s_mov_b32 s0, -1
                                        ; implicit-def: $vgpr12_vgpr13
.LBB127_1078:
	s_delay_alu instid0(SALU_CYCLE_1)
	s_and_not1_b32 vcc_lo, exec_lo, s0
	s_cbranch_vccnz .LBB127_1080
; %bb.1079:
	global_load_u8 v1, v[14:15], off
	s_mov_b32 s0, 0
	s_wait_loadcnt 0x1
	v_mov_b32_e32 v13, s0
	s_wait_loadcnt 0x0
	v_and_b32_e32 v12, 0xffff, v1
.LBB127_1080:
	s_mov_b32 s47, -1
.LBB127_1081:
	s_delay_alu instid0(SALU_CYCLE_1)
	s_and_not1_b32 vcc_lo, exec_lo, s47
	s_cbranch_vccnz .LBB127_1089
; %bb.1082:
	s_load_b512 s[4:19], s[2:3], 0x248
	v_mov_b32_e32 v11, 0
	s_and_b32 s0, s31, 0xff
	s_delay_alu instid0(SALU_CYCLE_1) | instskip(SKIP_1) | instid1(VALU_DEP_1)
	s_cmp_lt_i32 s0, 11
	s_wait_kmcnt 0x0
	v_add_nc_u64_e32 v[14:15], s[12:13], v[10:11]
	s_cbranch_scc1 .LBB127_1090
; %bb.1083:
	s_and_b32 s35, 0xffff, s0
	s_delay_alu instid0(SALU_CYCLE_1)
	s_cmp_gt_i32 s35, 25
	s_cbranch_scc0 .LBB127_1091
; %bb.1084:
	s_cmp_gt_i32 s35, 28
	s_cbranch_scc0 .LBB127_1092
; %bb.1085:
	;; [unrolled: 3-line block ×4, first 2 shown]
	s_cmp_eq_u32 s35, 46
	s_mov_b32 s1, 0
	s_cbranch_scc0 .LBB127_2721
; %bb.1088:
	global_load_b32 v1, v[14:15], off
	s_mov_b32 s58, -1
	s_mov_b32 s47, 0
	s_wait_loadcnt 0x0
	v_lshlrev_b32_e32 v1, 16, v1
	s_delay_alu instid0(VALU_DEP_1) | instskip(NEXT) | instid1(VALU_DEP_1)
	v_trunc_f32_e32 v1, v1
	v_mul_f32_e64 v3, 0x2f800000, |v1|
	v_ashrrev_i32_e32 v10, 31, v1
	s_delay_alu instid0(VALU_DEP_2) | instskip(NEXT) | instid1(VALU_DEP_2)
	v_floor_f32_e32 v3, v3
	v_mov_b32_e32 v11, v10
	s_delay_alu instid0(VALU_DEP_2) | instskip(SKIP_1) | instid1(VALU_DEP_2)
	v_fma_f32 v7, 0xcf800000, v3, |v1|
	v_cvt_u32_f32_e32 v1, v3
	v_cvt_u32_f32_e32 v3, v7
	s_delay_alu instid0(VALU_DEP_2) | instskip(NEXT) | instid1(VALU_DEP_2)
	v_xor_b32_e32 v17, v1, v10
	v_xor_b32_e32 v16, v3, v10
	s_delay_alu instid0(VALU_DEP_1)
	v_sub_nc_u64_e32 v[10:11], v[16:17], v[10:11]
	s_branch .LBB127_2723
.LBB127_1089:
	s_mov_b32 s0, 0
	s_mov_b32 s1, s70
	;; [unrolled: 1-line block ×8, first 2 shown]
	s_branch .LBB127_679
.LBB127_1090:
	s_mov_b32 s1, -1
	s_mov_b32 s58, 0
	s_mov_b32 s47, s89
                                        ; implicit-def: $vgpr10_vgpr11
	s_branch .LBB127_2926
.LBB127_1091:
	s_mov_b32 s1, -1
	s_mov_b32 s58, 0
	s_mov_b32 s47, s89
                                        ; implicit-def: $vgpr10_vgpr11
	s_branch .LBB127_2892
.LBB127_1092:
	s_mov_b32 s1, -1
	s_mov_b32 s58, 0
	s_mov_b32 s47, s89
                                        ; implicit-def: $vgpr10_vgpr11
	s_branch .LBB127_2875
.LBB127_1093:
	s_mov_b32 s1, -1
	s_mov_b32 s58, 0
	s_mov_b32 s47, s89
                                        ; implicit-def: $vgpr10_vgpr11
	s_branch .LBB127_2870
.LBB127_1094:
	s_mov_b32 s4, -1
                                        ; implicit-def: $vgpr8_vgpr9
.LBB127_1095:
	s_mov_b32 s1, 0
.LBB127_1096:
	s_delay_alu instid0(SALU_CYCLE_1)
	s_and_b32 vcc_lo, exec_lo, s1
	s_cbranch_vccz .LBB127_1100
; %bb.1097:
	s_cmp_eq_u32 s35, 29
	s_cbranch_scc0 .LBB127_1099
; %bb.1098:
	global_load_b64 v[8:9], v[14:15], off
	s_mov_b32 s45, -1
	s_mov_b32 s4, 0
	s_branch .LBB127_1100
.LBB127_1099:
	s_mov_b32 s4, -1
                                        ; implicit-def: $vgpr8_vgpr9
.LBB127_1100:
	s_mov_b32 s1, 0
.LBB127_1101:
	s_delay_alu instid0(SALU_CYCLE_1)
	s_and_b32 vcc_lo, exec_lo, s1
	s_cbranch_vccz .LBB127_1117
; %bb.1102:
	s_cmp_lt_i32 s35, 27
	s_cbranch_scc1 .LBB127_1105
; %bb.1103:
	s_cmp_gt_i32 s35, 27
	s_cbranch_scc0 .LBB127_1106
; %bb.1104:
	s_wait_loadcnt 0x0
	global_load_b32 v8, v[14:15], off
	v_mov_b32_e32 v9, 0
	s_mov_b32 s1, 0
	s_branch .LBB127_1107
.LBB127_1105:
	s_mov_b32 s1, -1
                                        ; implicit-def: $vgpr8_vgpr9
	s_branch .LBB127_1110
.LBB127_1106:
	s_mov_b32 s1, -1
                                        ; implicit-def: $vgpr8_vgpr9
.LBB127_1107:
	s_delay_alu instid0(SALU_CYCLE_1)
	s_and_not1_b32 vcc_lo, exec_lo, s1
	s_cbranch_vccnz .LBB127_1109
; %bb.1108:
	global_load_u16 v1, v[14:15], off
	s_mov_b32 s1, 0
	s_wait_loadcnt 0x1
	v_mov_b32_e32 v9, s1
	s_wait_loadcnt 0x0
	v_and_b32_e32 v8, 0xffff, v1
.LBB127_1109:
	s_mov_b32 s1, 0
.LBB127_1110:
	s_delay_alu instid0(SALU_CYCLE_1)
	s_and_not1_b32 vcc_lo, exec_lo, s1
	s_cbranch_vccnz .LBB127_1116
; %bb.1111:
	global_load_u8 v1, v[14:15], off
	s_mov_b32 s45, 0
	s_mov_b32 s1, exec_lo
	s_wait_loadcnt 0x0
	v_cmpx_lt_i16_e32 0x7f, v1
	s_xor_b32 s1, exec_lo, s1
	s_cbranch_execz .LBB127_1128
; %bb.1112:
	v_cmp_ne_u16_e32 vcc_lo, 0x80, v1
	s_and_b32 s45, vcc_lo, exec_lo
	s_and_not1_saveexec_b32 s1, s1
	s_cbranch_execnz .LBB127_1129
.LBB127_1113:
	s_or_b32 exec_lo, exec_lo, s1
	v_mov_b64_e32 v[8:9], 0
	s_and_saveexec_b32 s1, s45
	s_cbranch_execz .LBB127_1115
.LBB127_1114:
	v_and_b32_e32 v3, 0xffff, v1
	s_delay_alu instid0(VALU_DEP_1) | instskip(SKIP_1) | instid1(VALU_DEP_2)
	v_and_b32_e32 v7, 7, v3
	v_bfe_u32 v11, v3, 3, 4
	v_clz_i32_u32_e32 v8, v7
	s_delay_alu instid0(VALU_DEP_2) | instskip(NEXT) | instid1(VALU_DEP_2)
	v_cmp_eq_u32_e32 vcc_lo, 0, v11
	v_min_u32_e32 v8, 32, v8
	s_delay_alu instid0(VALU_DEP_1) | instskip(NEXT) | instid1(VALU_DEP_1)
	v_subrev_nc_u32_e32 v9, 28, v8
	v_dual_lshlrev_b32 v3, v9, v3 :: v_dual_sub_nc_u32 v8, 29, v8
	s_delay_alu instid0(VALU_DEP_1) | instskip(NEXT) | instid1(VALU_DEP_2)
	v_dual_lshlrev_b32 v1, 24, v1 :: v_dual_bitop2_b32 v3, 7, v3 bitop3:0x40
	v_cndmask_b32_e32 v8, v11, v8, vcc_lo
	s_delay_alu instid0(VALU_DEP_2) | instskip(NEXT) | instid1(VALU_DEP_3)
	v_cndmask_b32_e32 v3, v7, v3, vcc_lo
	v_and_b32_e32 v1, 0x80000000, v1
	s_delay_alu instid0(VALU_DEP_3) | instskip(NEXT) | instid1(VALU_DEP_3)
	v_lshl_add_u32 v7, v8, 23, 0x3b800000
	v_lshlrev_b32_e32 v3, 20, v3
	s_delay_alu instid0(VALU_DEP_1) | instskip(NEXT) | instid1(VALU_DEP_1)
	v_or3_b32 v1, v1, v7, v3
	v_trunc_f32_e32 v1, v1
	s_delay_alu instid0(VALU_DEP_1) | instskip(SKIP_1) | instid1(VALU_DEP_2)
	v_mul_f32_e64 v3, 0x2f800000, |v1|
	v_ashrrev_i32_e32 v8, 31, v1
	v_floor_f32_e32 v3, v3
	s_delay_alu instid0(VALU_DEP_2) | instskip(NEXT) | instid1(VALU_DEP_2)
	v_mov_b32_e32 v9, v8
	v_fma_f32 v7, 0xcf800000, v3, |v1|
	v_cvt_u32_f32_e32 v1, v3
	s_delay_alu instid0(VALU_DEP_2) | instskip(NEXT) | instid1(VALU_DEP_2)
	v_cvt_u32_f32_e32 v3, v7
	v_xor_b32_e32 v17, v1, v8
	s_delay_alu instid0(VALU_DEP_2) | instskip(NEXT) | instid1(VALU_DEP_1)
	v_xor_b32_e32 v16, v3, v8
	v_sub_nc_u64_e32 v[8:9], v[16:17], v[8:9]
.LBB127_1115:
	s_or_b32 exec_lo, exec_lo, s1
.LBB127_1116:
	s_mov_b32 s45, -1
.LBB127_1117:
	s_mov_b32 s1, 0
.LBB127_1118:
	s_delay_alu instid0(SALU_CYCLE_1)
	s_and_b32 vcc_lo, exec_lo, s1
	s_cbranch_vccz .LBB127_1151
; %bb.1119:
	s_cmp_gt_i32 s35, 22
	s_cbranch_scc0 .LBB127_1127
; %bb.1120:
	s_cmp_lt_i32 s35, 24
	s_cbranch_scc1 .LBB127_1130
; %bb.1121:
	s_cmp_gt_i32 s35, 24
	s_cbranch_scc0 .LBB127_1131
; %bb.1122:
	global_load_u8 v1, v[14:15], off
	s_mov_b32 s45, 0
	s_mov_b32 s1, exec_lo
	s_wait_loadcnt 0x0
	v_cmpx_lt_i16_e32 0x7f, v1
	s_xor_b32 s1, exec_lo, s1
	s_cbranch_execz .LBB127_1143
; %bb.1123:
	v_cmp_ne_u16_e32 vcc_lo, 0x80, v1
	s_and_b32 s45, vcc_lo, exec_lo
	s_and_not1_saveexec_b32 s1, s1
	s_cbranch_execnz .LBB127_1144
.LBB127_1124:
	s_or_b32 exec_lo, exec_lo, s1
	v_mov_b64_e32 v[8:9], 0
	s_and_saveexec_b32 s1, s45
	s_cbranch_execz .LBB127_1126
.LBB127_1125:
	v_and_b32_e32 v3, 0xffff, v1
	s_delay_alu instid0(VALU_DEP_1) | instskip(SKIP_1) | instid1(VALU_DEP_2)
	v_and_b32_e32 v7, 3, v3
	v_bfe_u32 v11, v3, 2, 5
	v_clz_i32_u32_e32 v8, v7
	s_delay_alu instid0(VALU_DEP_2) | instskip(NEXT) | instid1(VALU_DEP_2)
	v_cmp_eq_u32_e32 vcc_lo, 0, v11
	v_min_u32_e32 v8, 32, v8
	s_delay_alu instid0(VALU_DEP_1) | instskip(NEXT) | instid1(VALU_DEP_1)
	v_subrev_nc_u32_e32 v9, 29, v8
	v_dual_lshlrev_b32 v3, v9, v3 :: v_dual_sub_nc_u32 v8, 30, v8
	s_delay_alu instid0(VALU_DEP_1) | instskip(NEXT) | instid1(VALU_DEP_2)
	v_dual_lshlrev_b32 v1, 24, v1 :: v_dual_bitop2_b32 v3, 3, v3 bitop3:0x40
	v_cndmask_b32_e32 v8, v11, v8, vcc_lo
	s_delay_alu instid0(VALU_DEP_2) | instskip(NEXT) | instid1(VALU_DEP_3)
	v_cndmask_b32_e32 v3, v7, v3, vcc_lo
	v_and_b32_e32 v1, 0x80000000, v1
	s_delay_alu instid0(VALU_DEP_3) | instskip(NEXT) | instid1(VALU_DEP_3)
	v_lshl_add_u32 v7, v8, 23, 0x37800000
	v_lshlrev_b32_e32 v3, 21, v3
	s_delay_alu instid0(VALU_DEP_1) | instskip(NEXT) | instid1(VALU_DEP_1)
	v_or3_b32 v1, v1, v7, v3
	v_trunc_f32_e32 v1, v1
	s_delay_alu instid0(VALU_DEP_1) | instskip(SKIP_1) | instid1(VALU_DEP_2)
	v_mul_f32_e64 v3, 0x2f800000, |v1|
	v_ashrrev_i32_e32 v8, 31, v1
	v_floor_f32_e32 v3, v3
	s_delay_alu instid0(VALU_DEP_2) | instskip(NEXT) | instid1(VALU_DEP_2)
	v_mov_b32_e32 v9, v8
	v_fma_f32 v7, 0xcf800000, v3, |v1|
	v_cvt_u32_f32_e32 v1, v3
	s_delay_alu instid0(VALU_DEP_2) | instskip(NEXT) | instid1(VALU_DEP_2)
	v_cvt_u32_f32_e32 v3, v7
	v_xor_b32_e32 v17, v1, v8
	s_delay_alu instid0(VALU_DEP_2) | instskip(NEXT) | instid1(VALU_DEP_1)
	v_xor_b32_e32 v16, v3, v8
	v_sub_nc_u64_e32 v[8:9], v[16:17], v[8:9]
.LBB127_1126:
	s_or_b32 exec_lo, exec_lo, s1
	s_mov_b32 s1, 0
	s_branch .LBB127_1132
.LBB127_1127:
	s_mov_b32 s1, -1
                                        ; implicit-def: $vgpr8_vgpr9
	s_branch .LBB127_1138
.LBB127_1128:
	s_and_not1_saveexec_b32 s1, s1
	s_cbranch_execz .LBB127_1113
.LBB127_1129:
	v_cmp_ne_u16_e32 vcc_lo, 0, v1
	s_and_not1_b32 s36, s45, exec_lo
	s_and_b32 s37, vcc_lo, exec_lo
	s_delay_alu instid0(SALU_CYCLE_1)
	s_or_b32 s45, s36, s37
	s_or_b32 exec_lo, exec_lo, s1
	v_mov_b64_e32 v[8:9], 0
	s_and_saveexec_b32 s1, s45
	s_cbranch_execnz .LBB127_1114
	s_branch .LBB127_1115
.LBB127_1130:
	s_mov_b32 s1, -1
                                        ; implicit-def: $vgpr8_vgpr9
	s_branch .LBB127_1135
.LBB127_1131:
	s_mov_b32 s1, -1
                                        ; implicit-def: $vgpr8_vgpr9
.LBB127_1132:
	s_delay_alu instid0(SALU_CYCLE_1)
	s_and_b32 vcc_lo, exec_lo, s1
	s_cbranch_vccz .LBB127_1134
; %bb.1133:
	global_load_u8 v1, v[14:15], off
	s_wait_loadcnt 0x0
	v_lshlrev_b32_e32 v1, 24, v1
	s_delay_alu instid0(VALU_DEP_1) | instskip(NEXT) | instid1(VALU_DEP_1)
	v_and_b32_e32 v3, 0x7f000000, v1
	v_clz_i32_u32_e32 v7, v3
	v_add_nc_u32_e32 v9, 0x1000000, v3
	v_cmp_ne_u32_e32 vcc_lo, 0, v3
	s_delay_alu instid0(VALU_DEP_3) | instskip(NEXT) | instid1(VALU_DEP_1)
	v_min_u32_e32 v7, 32, v7
	v_sub_nc_u32_e64 v7, v7, 4 clamp
	s_delay_alu instid0(VALU_DEP_1) | instskip(NEXT) | instid1(VALU_DEP_1)
	v_lshlrev_b32_e32 v8, v7, v3
	v_dual_lshlrev_b32 v7, 23, v7 :: v_dual_lshrrev_b32 v8, 4, v8
	s_delay_alu instid0(VALU_DEP_1) | instskip(NEXT) | instid1(VALU_DEP_1)
	v_dual_sub_nc_u32 v7, v8, v7 :: v_dual_ashrrev_i32 v8, 8, v9
	v_add_nc_u32_e32 v7, 0x3c000000, v7
	s_delay_alu instid0(VALU_DEP_1) | instskip(NEXT) | instid1(VALU_DEP_1)
	v_and_or_b32 v7, 0x7f800000, v8, v7
	v_cndmask_b32_e32 v3, 0, v7, vcc_lo
	s_delay_alu instid0(VALU_DEP_1) | instskip(NEXT) | instid1(VALU_DEP_1)
	v_and_or_b32 v1, 0x80000000, v1, v3
	v_trunc_f32_e32 v1, v1
	s_delay_alu instid0(VALU_DEP_1) | instskip(SKIP_1) | instid1(VALU_DEP_2)
	v_mul_f32_e64 v3, 0x2f800000, |v1|
	v_ashrrev_i32_e32 v8, 31, v1
	v_floor_f32_e32 v3, v3
	s_delay_alu instid0(VALU_DEP_1) | instskip(SKIP_1) | instid1(VALU_DEP_4)
	v_fma_f32 v7, 0xcf800000, v3, |v1|
	v_cvt_u32_f32_e32 v1, v3
	v_mov_b32_e32 v9, v8
	s_delay_alu instid0(VALU_DEP_3) | instskip(NEXT) | instid1(VALU_DEP_3)
	v_cvt_u32_f32_e32 v3, v7
	v_xor_b32_e32 v17, v1, v8
	s_delay_alu instid0(VALU_DEP_2) | instskip(NEXT) | instid1(VALU_DEP_1)
	v_xor_b32_e32 v16, v3, v8
	v_sub_nc_u64_e32 v[8:9], v[16:17], v[8:9]
.LBB127_1134:
	s_mov_b32 s1, 0
.LBB127_1135:
	s_delay_alu instid0(SALU_CYCLE_1)
	s_and_not1_b32 vcc_lo, exec_lo, s1
	s_cbranch_vccnz .LBB127_1137
; %bb.1136:
	global_load_u8 v1, v[14:15], off
	s_wait_loadcnt 0x0
	v_lshlrev_b32_e32 v3, 25, v1
	v_lshlrev_b16 v1, 8, v1
	s_delay_alu instid0(VALU_DEP_1) | instskip(SKIP_1) | instid1(VALU_DEP_2)
	v_and_or_b32 v8, 0x7f00, v1, 0.5
	v_bfe_i32 v1, v1, 0, 16
	v_dual_add_f32 v8, -0.5, v8 :: v_dual_lshrrev_b32 v7, 4, v3
	v_cmp_gt_u32_e32 vcc_lo, 0x8000000, v3
	s_delay_alu instid0(VALU_DEP_2) | instskip(NEXT) | instid1(VALU_DEP_1)
	v_or_b32_e32 v7, 0x70000000, v7
	v_mul_f32_e32 v7, 0x7800000, v7
	s_delay_alu instid0(VALU_DEP_1) | instskip(NEXT) | instid1(VALU_DEP_1)
	v_cndmask_b32_e32 v3, v7, v8, vcc_lo
	v_and_or_b32 v1, 0x80000000, v1, v3
	s_delay_alu instid0(VALU_DEP_1) | instskip(NEXT) | instid1(VALU_DEP_1)
	v_trunc_f32_e32 v1, v1
	v_mul_f32_e64 v3, 0x2f800000, |v1|
	v_ashrrev_i32_e32 v8, 31, v1
	s_delay_alu instid0(VALU_DEP_2) | instskip(NEXT) | instid1(VALU_DEP_2)
	v_floor_f32_e32 v3, v3
	v_mov_b32_e32 v9, v8
	s_delay_alu instid0(VALU_DEP_2) | instskip(SKIP_1) | instid1(VALU_DEP_2)
	v_fma_f32 v7, 0xcf800000, v3, |v1|
	v_cvt_u32_f32_e32 v1, v3
	v_cvt_u32_f32_e32 v3, v7
	s_delay_alu instid0(VALU_DEP_2) | instskip(NEXT) | instid1(VALU_DEP_2)
	v_xor_b32_e32 v17, v1, v8
	v_xor_b32_e32 v16, v3, v8
	s_delay_alu instid0(VALU_DEP_1)
	v_sub_nc_u64_e32 v[8:9], v[16:17], v[8:9]
.LBB127_1137:
	s_mov_b32 s1, 0
	s_mov_b32 s45, -1
.LBB127_1138:
	s_and_not1_b32 vcc_lo, exec_lo, s1
	s_cbranch_vccnz .LBB127_1151
; %bb.1139:
	s_cmp_gt_i32 s35, 14
	s_cbranch_scc0 .LBB127_1142
; %bb.1140:
	s_cmp_eq_u32 s35, 15
	s_cbranch_scc0 .LBB127_1145
; %bb.1141:
	global_load_u16 v1, v[14:15], off
	s_mov_b32 s45, -1
	s_mov_b32 s4, 0
	s_wait_loadcnt 0x0
	v_lshlrev_b32_e32 v1, 16, v1
	s_delay_alu instid0(VALU_DEP_1) | instskip(NEXT) | instid1(VALU_DEP_1)
	v_trunc_f32_e32 v1, v1
	v_mul_f32_e64 v3, 0x2f800000, |v1|
	v_ashrrev_i32_e32 v8, 31, v1
	s_delay_alu instid0(VALU_DEP_2) | instskip(NEXT) | instid1(VALU_DEP_2)
	v_floor_f32_e32 v3, v3
	v_mov_b32_e32 v9, v8
	s_delay_alu instid0(VALU_DEP_2) | instskip(SKIP_1) | instid1(VALU_DEP_2)
	v_fma_f32 v7, 0xcf800000, v3, |v1|
	v_cvt_u32_f32_e32 v1, v3
	v_cvt_u32_f32_e32 v3, v7
	s_delay_alu instid0(VALU_DEP_2) | instskip(NEXT) | instid1(VALU_DEP_2)
	v_xor_b32_e32 v17, v1, v8
	v_xor_b32_e32 v16, v3, v8
	s_delay_alu instid0(VALU_DEP_1)
	v_sub_nc_u64_e32 v[8:9], v[16:17], v[8:9]
	s_branch .LBB127_1146
.LBB127_1142:
	s_mov_b32 s1, -1
                                        ; implicit-def: $vgpr8_vgpr9
	s_branch .LBB127_1147
.LBB127_1143:
	s_and_not1_saveexec_b32 s1, s1
	s_cbranch_execz .LBB127_1124
.LBB127_1144:
	v_cmp_ne_u16_e32 vcc_lo, 0, v1
	s_and_not1_b32 s36, s45, exec_lo
	s_and_b32 s37, vcc_lo, exec_lo
	s_delay_alu instid0(SALU_CYCLE_1)
	s_or_b32 s45, s36, s37
	s_or_b32 exec_lo, exec_lo, s1
	v_mov_b64_e32 v[8:9], 0
	s_and_saveexec_b32 s1, s45
	s_cbranch_execnz .LBB127_1125
	s_branch .LBB127_1126
.LBB127_1145:
	s_mov_b32 s4, -1
                                        ; implicit-def: $vgpr8_vgpr9
.LBB127_1146:
	s_mov_b32 s1, 0
.LBB127_1147:
	s_delay_alu instid0(SALU_CYCLE_1)
	s_and_b32 vcc_lo, exec_lo, s1
	s_cbranch_vccz .LBB127_1151
; %bb.1148:
	s_cmp_eq_u32 s35, 11
	s_cbranch_scc0 .LBB127_1150
; %bb.1149:
	global_load_u8 v1, v[14:15], off
	s_mov_b32 s4, 0
	s_mov_b32 s45, -1
	s_wait_loadcnt 0x1
	v_mov_b32_e32 v9, s4
	s_wait_loadcnt 0x0
	v_cmp_ne_u16_e32 vcc_lo, 0, v1
	v_cndmask_b32_e64 v8, 0, 1, vcc_lo
	s_branch .LBB127_1151
.LBB127_1150:
	s_mov_b32 s4, -1
                                        ; implicit-def: $vgpr8_vgpr9
.LBB127_1151:
	s_mov_b32 s1, 0
.LBB127_1152:
	s_delay_alu instid0(SALU_CYCLE_1)
	s_and_b32 vcc_lo, exec_lo, s1
	s_cbranch_vccz .LBB127_1201
; %bb.1153:
	s_and_b32 s0, 0xffff, s0
	s_delay_alu instid0(SALU_CYCLE_1)
	s_cmp_lt_i32 s0, 5
	s_cbranch_scc1 .LBB127_1158
; %bb.1154:
	s_cmp_lt_i32 s0, 8
	s_cbranch_scc1 .LBB127_1159
; %bb.1155:
	;; [unrolled: 3-line block ×3, first 2 shown]
	s_cmp_gt_i32 s0, 9
	s_cbranch_scc0 .LBB127_1161
; %bb.1157:
	s_wait_loadcnt 0x0
	global_load_b64 v[8:9], v[14:15], off
	s_mov_b32 s1, 0
	s_wait_loadcnt 0x0
	v_trunc_f64_e32 v[8:9], v[8:9]
	s_delay_alu instid0(VALU_DEP_1) | instskip(NEXT) | instid1(VALU_DEP_1)
	v_ldexp_f64 v[16:17], v[8:9], 0xffffffe0
	v_floor_f64_e32 v[16:17], v[16:17]
	s_delay_alu instid0(VALU_DEP_1) | instskip(SKIP_1) | instid1(VALU_DEP_2)
	v_fmamk_f64 v[18:19], v[16:17], 0xc1f00000, v[8:9]
	v_cvt_i32_f64_e32 v9, v[16:17]
	v_cvt_u32_f64_e32 v8, v[18:19]
	s_branch .LBB127_1162
.LBB127_1158:
	s_mov_b32 s1, -1
                                        ; implicit-def: $vgpr8_vgpr9
	s_branch .LBB127_1180
.LBB127_1159:
	s_mov_b32 s1, -1
                                        ; implicit-def: $vgpr8_vgpr9
	s_branch .LBB127_1168
.LBB127_1160:
	s_mov_b32 s1, -1
                                        ; implicit-def: $vgpr8_vgpr9
	s_branch .LBB127_1165
.LBB127_1161:
	s_mov_b32 s1, -1
                                        ; implicit-def: $vgpr8_vgpr9
.LBB127_1162:
	s_delay_alu instid0(SALU_CYCLE_1)
	s_and_not1_b32 vcc_lo, exec_lo, s1
	s_cbranch_vccnz .LBB127_1164
; %bb.1163:
	global_load_b32 v1, v[14:15], off
	s_wait_loadcnt 0x0
	v_trunc_f32_e32 v1, v1
	s_delay_alu instid0(VALU_DEP_1) | instskip(SKIP_1) | instid1(VALU_DEP_2)
	v_mul_f32_e64 v3, 0x2f800000, |v1|
	v_ashrrev_i32_e32 v8, 31, v1
	v_floor_f32_e32 v3, v3
	s_delay_alu instid0(VALU_DEP_1) | instskip(SKIP_1) | instid1(VALU_DEP_4)
	v_fma_f32 v7, 0xcf800000, v3, |v1|
	v_cvt_u32_f32_e32 v1, v3
	v_mov_b32_e32 v9, v8
	s_delay_alu instid0(VALU_DEP_3) | instskip(NEXT) | instid1(VALU_DEP_3)
	v_cvt_u32_f32_e32 v3, v7
	v_xor_b32_e32 v17, v1, v8
	s_delay_alu instid0(VALU_DEP_2) | instskip(NEXT) | instid1(VALU_DEP_1)
	v_xor_b32_e32 v16, v3, v8
	v_sub_nc_u64_e32 v[8:9], v[16:17], v[8:9]
.LBB127_1164:
	s_mov_b32 s1, 0
.LBB127_1165:
	s_delay_alu instid0(SALU_CYCLE_1)
	s_and_not1_b32 vcc_lo, exec_lo, s1
	s_cbranch_vccnz .LBB127_1167
; %bb.1166:
	global_load_b32 v1, v[14:15], off
	s_wait_loadcnt 0x0
	v_cvt_f32_f16_e32 v1, v1
	s_delay_alu instid0(VALU_DEP_1) | instskip(NEXT) | instid1(VALU_DEP_1)
	v_cvt_i32_f32_e32 v8, v1
	v_ashrrev_i32_e32 v9, 31, v8
.LBB127_1167:
	s_mov_b32 s1, 0
.LBB127_1168:
	s_delay_alu instid0(SALU_CYCLE_1)
	s_and_not1_b32 vcc_lo, exec_lo, s1
	s_cbranch_vccnz .LBB127_1179
; %bb.1169:
	s_cmp_lt_i32 s0, 6
	s_cbranch_scc1 .LBB127_1172
; %bb.1170:
	s_cmp_gt_i32 s0, 6
	s_cbranch_scc0 .LBB127_1173
; %bb.1171:
	s_wait_loadcnt 0x0
	global_load_b64 v[8:9], v[14:15], off
	s_mov_b32 s1, 0
	s_wait_loadcnt 0x0
	v_trunc_f64_e32 v[8:9], v[8:9]
	s_delay_alu instid0(VALU_DEP_1) | instskip(NEXT) | instid1(VALU_DEP_1)
	v_ldexp_f64 v[16:17], v[8:9], 0xffffffe0
	v_floor_f64_e32 v[16:17], v[16:17]
	s_delay_alu instid0(VALU_DEP_1) | instskip(SKIP_1) | instid1(VALU_DEP_2)
	v_fmamk_f64 v[18:19], v[16:17], 0xc1f00000, v[8:9]
	v_cvt_i32_f64_e32 v9, v[16:17]
	v_cvt_u32_f64_e32 v8, v[18:19]
	s_branch .LBB127_1174
.LBB127_1172:
	s_mov_b32 s1, -1
                                        ; implicit-def: $vgpr8_vgpr9
	s_branch .LBB127_1177
.LBB127_1173:
	s_mov_b32 s1, -1
                                        ; implicit-def: $vgpr8_vgpr9
.LBB127_1174:
	s_delay_alu instid0(SALU_CYCLE_1)
	s_and_not1_b32 vcc_lo, exec_lo, s1
	s_cbranch_vccnz .LBB127_1176
; %bb.1175:
	global_load_b32 v1, v[14:15], off
	s_wait_loadcnt 0x0
	v_trunc_f32_e32 v1, v1
	s_delay_alu instid0(VALU_DEP_1) | instskip(SKIP_1) | instid1(VALU_DEP_2)
	v_mul_f32_e64 v3, 0x2f800000, |v1|
	v_ashrrev_i32_e32 v8, 31, v1
	v_floor_f32_e32 v3, v3
	s_delay_alu instid0(VALU_DEP_1) | instskip(SKIP_1) | instid1(VALU_DEP_4)
	v_fma_f32 v7, 0xcf800000, v3, |v1|
	v_cvt_u32_f32_e32 v1, v3
	v_mov_b32_e32 v9, v8
	s_delay_alu instid0(VALU_DEP_3) | instskip(NEXT) | instid1(VALU_DEP_3)
	v_cvt_u32_f32_e32 v3, v7
	v_xor_b32_e32 v17, v1, v8
	s_delay_alu instid0(VALU_DEP_2) | instskip(NEXT) | instid1(VALU_DEP_1)
	v_xor_b32_e32 v16, v3, v8
	v_sub_nc_u64_e32 v[8:9], v[16:17], v[8:9]
.LBB127_1176:
	s_mov_b32 s1, 0
.LBB127_1177:
	s_delay_alu instid0(SALU_CYCLE_1)
	s_and_not1_b32 vcc_lo, exec_lo, s1
	s_cbranch_vccnz .LBB127_1179
; %bb.1178:
	global_load_u16 v1, v[14:15], off
	s_wait_loadcnt 0x0
	v_cvt_f32_f16_e32 v1, v1
	s_delay_alu instid0(VALU_DEP_1) | instskip(NEXT) | instid1(VALU_DEP_1)
	v_cvt_i32_f32_e32 v8, v1
	v_ashrrev_i32_e32 v9, 31, v8
.LBB127_1179:
	s_mov_b32 s1, 0
.LBB127_1180:
	s_delay_alu instid0(SALU_CYCLE_1)
	s_and_not1_b32 vcc_lo, exec_lo, s1
	s_cbranch_vccnz .LBB127_1200
; %bb.1181:
	s_cmp_lt_i32 s0, 2
	s_cbranch_scc1 .LBB127_1185
; %bb.1182:
	s_cmp_lt_i32 s0, 3
	s_cbranch_scc1 .LBB127_1186
; %bb.1183:
	s_cmp_gt_i32 s0, 3
	s_cbranch_scc0 .LBB127_1187
; %bb.1184:
	s_wait_loadcnt 0x0
	global_load_b64 v[8:9], v[14:15], off
	s_mov_b32 s1, 0
	s_branch .LBB127_1188
.LBB127_1185:
	s_mov_b32 s1, -1
                                        ; implicit-def: $vgpr8_vgpr9
	s_branch .LBB127_1194
.LBB127_1186:
	s_mov_b32 s1, -1
                                        ; implicit-def: $vgpr8_vgpr9
	s_branch .LBB127_1191
.LBB127_1187:
	s_mov_b32 s1, -1
                                        ; implicit-def: $vgpr8_vgpr9
.LBB127_1188:
	s_delay_alu instid0(SALU_CYCLE_1)
	s_and_not1_b32 vcc_lo, exec_lo, s1
	s_cbranch_vccnz .LBB127_1190
; %bb.1189:
	s_wait_loadcnt 0x0
	global_load_b32 v8, v[14:15], off
	s_wait_loadcnt 0x0
	v_ashrrev_i32_e32 v9, 31, v8
.LBB127_1190:
	s_mov_b32 s1, 0
.LBB127_1191:
	s_delay_alu instid0(SALU_CYCLE_1)
	s_and_not1_b32 vcc_lo, exec_lo, s1
	s_cbranch_vccnz .LBB127_1193
; %bb.1192:
	global_load_u16 v1, v[14:15], off
	s_wait_loadcnt 0x0
	v_bfe_i32 v8, v1, 0, 16
	s_delay_alu instid0(VALU_DEP_1)
	v_ashrrev_i32_e32 v9, 31, v8
.LBB127_1193:
	s_mov_b32 s1, 0
.LBB127_1194:
	s_delay_alu instid0(SALU_CYCLE_1)
	s_and_not1_b32 vcc_lo, exec_lo, s1
	s_cbranch_vccnz .LBB127_1200
; %bb.1195:
	s_cmp_gt_i32 s0, 0
	s_mov_b32 s0, 0
	s_cbranch_scc0 .LBB127_1197
; %bb.1196:
	global_load_i8 v1, v[14:15], off
	s_wait_loadcnt 0x0
	v_bfe_i32 v8, v1, 0, 16
	s_delay_alu instid0(VALU_DEP_1)
	v_ashrrev_i32_e32 v9, 31, v8
	s_branch .LBB127_1198
.LBB127_1197:
	s_mov_b32 s0, -1
                                        ; implicit-def: $vgpr8_vgpr9
.LBB127_1198:
	s_delay_alu instid0(SALU_CYCLE_1)
	s_and_not1_b32 vcc_lo, exec_lo, s0
	s_cbranch_vccnz .LBB127_1200
; %bb.1199:
	global_load_u8 v1, v[14:15], off
	s_mov_b32 s0, 0
	s_wait_loadcnt 0x1
	v_mov_b32_e32 v9, s0
	s_wait_loadcnt 0x0
	v_and_b32_e32 v8, 0xffff, v1
.LBB127_1200:
	s_mov_b32 s45, -1
.LBB127_1201:
	s_delay_alu instid0(SALU_CYCLE_1)
	s_and_not1_b32 vcc_lo, exec_lo, s45
	s_cbranch_vccnz .LBB127_1209
; %bb.1202:
                                        ; implicit-def: $vgpr66 : SGPR spill to VGPR lane
	v_mov_b32_e32 v13, 0
	v_writelane_b32 v66, s4, 0
	s_load_b512 s[4:19], s[2:3], 0x248
	s_and_b32 s0, s80, 0xff
	s_delay_alu instid0(SALU_CYCLE_1)
	s_cmp_lt_i32 s0, 11
	s_wait_kmcnt 0x0
	v_add_nc_u64_e32 v[14:15], s[10:11], v[12:13]
	s_cbranch_scc1 .LBB127_1223
; %bb.1203:
	s_and_b32 s35, 0xffff, s0
	s_delay_alu instid0(SALU_CYCLE_1)
	s_cmp_gt_i32 s35, 25
	s_cbranch_scc0 .LBB127_1238
; %bb.1204:
	v_readlane_b32 s4, v66, 0
	s_cmp_gt_i32 s35, 28
	s_cbranch_scc0 .LBB127_1240
; %bb.1205:
	s_cmp_gt_i32 s35, 43
	s_cbranch_scc0 .LBB127_1242
; %bb.1206:
	;; [unrolled: 3-line block ×3, first 2 shown]
	s_cmp_eq_u32 s35, 46
	s_mov_b32 s1, 0
	s_cbranch_scc0 .LBB127_2726
; %bb.1208:
	global_load_b32 v1, v[14:15], off
	s_mov_b32 s45, -1
	s_mov_b32 s47, 0
	s_wait_loadcnt 0x0
	v_lshlrev_b32_e32 v1, 16, v1
	s_delay_alu instid0(VALU_DEP_1) | instskip(NEXT) | instid1(VALU_DEP_1)
	v_trunc_f32_e32 v1, v1
	v_mul_f32_e64 v3, 0x2f800000, |v1|
	v_ashrrev_i32_e32 v12, 31, v1
	s_delay_alu instid0(VALU_DEP_2) | instskip(NEXT) | instid1(VALU_DEP_2)
	v_floor_f32_e32 v3, v3
	v_mov_b32_e32 v13, v12
	s_delay_alu instid0(VALU_DEP_2) | instskip(SKIP_1) | instid1(VALU_DEP_2)
	v_fma_f32 v7, 0xcf800000, v3, |v1|
	v_cvt_u32_f32_e32 v1, v3
	v_cvt_u32_f32_e32 v3, v7
	s_delay_alu instid0(VALU_DEP_2) | instskip(NEXT) | instid1(VALU_DEP_2)
	v_xor_b32_e32 v17, v1, v12
	v_xor_b32_e32 v16, v3, v12
	s_delay_alu instid0(VALU_DEP_1)
	v_sub_nc_u64_e32 v[12:13], v[16:17], v[12:13]
	s_branch .LBB127_2728
.LBB127_1209:
	s_mov_b32 s0, 0
	s_mov_b32 s1, s101
	;; [unrolled: 1-line block ×3, first 2 shown]
	s_mov_b32 s58, vcc_hi
	s_mov_b32 s60, s99
	s_mov_b32 s59, s100
	;; [unrolled: 1-line block ×5, first 2 shown]
.LBB127_1210:
                                        ; implicit-def: $vgpr0
.LBB127_1211:
	s_load_b64 s[78:79], s[2:3], 0x14
	s_mov_b32 s76, s51
.LBB127_1212:
	s_and_not1_b32 s36, s101, exec_lo
	s_and_b32 s1, s1, exec_lo
	s_and_not1_b32 s37, s104, exec_lo
	s_and_b32 s35, s35, exec_lo
	s_or_b32 s67, s36, s1
	s_or_b32 s64, s37, s35
	s_and_not1_b32 s1, vcc_hi, exec_lo
	s_and_b32 s35, s58, exec_lo
	s_and_not1_b32 s36, s99, exec_lo
	s_and_b32 s37, s60, exec_lo
	s_or_b32 s66, s1, s35
	s_or_b32 s62, s36, s37
	s_and_not1_b32 s1, s100, exec_lo
	s_and_b32 s35, s59, exec_lo
	s_and_not1_b32 s36, s97, exec_lo
	s_and_b32 s37, s46, exec_lo
	s_or_b32 s65, s1, s35
	s_or_b32 s46, s36, s37
	s_and_not1_b32 s1, s98, exec_lo
	;; [unrolled: 6-line block ×3, first 2 shown]
	s_and_b32 s35, s4, exec_lo
	s_and_not1_b32 s36, s94, exec_lo
	s_and_b32 s37, s49, exec_lo
	s_or_b32 s47, s1, s35
	s_or_b32 s35, s36, s37
	s_or_not1_b32 s60, s0, exec_lo
.LBB127_1213:
	s_or_b32 exec_lo, exec_lo, s44
	s_mov_b32 s1, 0
	s_mov_b32 s58, 0
	;; [unrolled: 1-line block ×3, first 2 shown]
                                        ; implicit-def: $sgpr0
                                        ; implicit-def: $vgpr14_vgpr15
                                        ; implicit-def: $vgpr2
                                        ; implicit-def: $vgpr12
                                        ; implicit-def: $vgpr10
                                        ; implicit-def: $vgpr6
                                        ; implicit-def: $vgpr8
                                        ; implicit-def: $vgpr4_vgpr5
	s_and_saveexec_b32 s44, s60
	s_cbranch_execz .LBB127_1309
; %bb.1214:
	s_mov_b32 s17, s68
	s_mov_b32 s60, s35
	s_mov_b32 s68, exec_lo
                                        ; implicit-def: $sgpr0
                                        ; implicit-def: $vgpr14_vgpr15
                                        ; implicit-def: $vgpr2
                                        ; implicit-def: $vgpr12
                                        ; implicit-def: $vgpr10
                                        ; implicit-def: $vgpr6
                                        ; implicit-def: $vgpr8
                                        ; implicit-def: $vgpr4_vgpr5
	v_cmpx_gt_i32_e64 s83, v0
	s_cbranch_execz .LBB127_1308
; %bb.1215:
	s_and_not1_b32 vcc_lo, exec_lo, s74
	s_cbranch_vccnz .LBB127_1222
; %bb.1216:
	s_and_not1_b32 vcc_lo, exec_lo, s84
	s_cbranch_vccnz .LBB127_1224
; %bb.1217:
	s_wait_loadcnt 0x0
	v_dual_mov_b32 v8, 0 :: v_dual_mov_b32 v1, v0
	v_dual_mov_b32 v6, 0 :: v_dual_mov_b32 v10, 0
	;; [unrolled: 1-line block ×3, first 2 shown]
	v_mov_b32_e32 v4, 0
	s_add_co_i32 s0, s17, 1
	s_mov_b64 s[36:37], 0xffffffffffffffd0
	s_mov_b64 s[18:19], s[14:15]
	s_mov_b32 s16, s12
	s_mov_b64 s[12:13], s[40:41]
	s_mov_b64 s[4:5], s[28:29]
	s_mov_b32 s10, s48
	s_wait_kmcnt 0x0
	s_mov_b32 s11, s79
	s_mov_b64 s[14:15], s[42:43]
	s_mov_b32 s9, s50
	s_mov_b32 s8, s82
	s_mov_b64 s[6:7], s[30:31]
	s_mov_b32 s28, s80
	s_mov_b32 s80, s53
	;; [unrolled: 1-line block ×5, first 2 shown]
	s_and_b32 s0, s0, 30
	s_add_nc_u64 s[58:59], s[2:3], s[36:37]
	s_mov_b64 s[60:61], s[2:3]
.LBB127_1218:                           ; =>This Inner Loop Header: Depth=1
	s_clause 0x1
	s_load_b128 s[48:51], s[60:61], 0x4
	s_load_b64 s[52:53], s[60:61], 0x14
	s_clause 0x1
	s_load_b256 s[36:43], s[58:59], 0xf4
	s_load_b128 s[76:79], s[58:59], 0x114
	s_add_co_i32 s0, s0, -2
	s_wait_xcnt 0x0
	s_add_nc_u64 s[60:61], s[60:61], 24
	s_cmp_eq_u32 s0, 0
	s_add_nc_u64 s[58:59], s[58:59], 48
	s_wait_kmcnt 0x0
	v_mul_hi_u32 v3, s49, v1
	s_delay_alu instid0(VALU_DEP_1) | instskip(NEXT) | instid1(VALU_DEP_1)
	v_add_nc_u32_e32 v3, v1, v3
	v_lshrrev_b32_e32 v3, s50, v3
	s_delay_alu instid0(VALU_DEP_1) | instskip(SKIP_1) | instid1(VALU_DEP_1)
	v_mul_hi_u32 v5, s52, v3
	v_mul_lo_u32 v7, v3, s48
	v_dual_add_nc_u32 v5, v3, v5 :: v_dual_sub_nc_u32 v7, v1, v7
	s_delay_alu instid0(VALU_DEP_1) | instskip(NEXT) | instid1(VALU_DEP_2)
	v_lshrrev_b32_e32 v1, s53, v5
	v_mad_u32 v4, v7, s37, v4
	v_mad_u32 v2, v7, s36, v2
	;; [unrolled: 1-line block ×4, first 2 shown]
	v_mul_lo_u32 v5, v1, s51
	v_mad_u32 v6, s41, v7, v6
	v_mad_u32 v7, s40, v7, v8
	s_delay_alu instid0(VALU_DEP_3) | instskip(NEXT) | instid1(VALU_DEP_1)
	v_sub_nc_u32_e32 v3, v3, v5
	v_mad_u32 v4, v3, s43, v4
	v_mad_u32 v2, v3, s42, v2
	;; [unrolled: 1-line block ×6, first 2 shown]
	s_cbranch_scc0 .LBB127_1218
; %bb.1219:
	s_bitcmp1_b32 s17, 0
	s_cselect_b32 s0, -1, 0
	s_delay_alu instid0(SALU_CYCLE_1)
	s_and_b32 vcc_lo, exec_lo, s0
	s_cbranch_vccnz .LBB127_1221
; %bb.1220:
	s_load_b96 s[40:42], s[60:61], 0x4
	s_clause 0x1
	s_load_b128 s[36:39], s[58:59], 0xf4
	s_load_b64 s[0:1], s[58:59], 0x104
	s_wait_kmcnt 0x0
	v_mul_hi_u32 v3, s41, v1
	s_delay_alu instid0(VALU_DEP_1) | instskip(NEXT) | instid1(VALU_DEP_1)
	v_add_nc_u32_e32 v3, v1, v3
	v_lshrrev_b32_e32 v3, s42, v3
	s_delay_alu instid0(VALU_DEP_1) | instskip(NEXT) | instid1(VALU_DEP_1)
	v_mul_lo_u32 v3, v3, s40
	v_sub_nc_u32_e32 v1, v1, v3
	s_delay_alu instid0(VALU_DEP_1)
	v_mad_u32 v2, v1, s36, v2
	v_mad_u32 v4, v1, s37, v4
	;; [unrolled: 1-line block ×6, first 2 shown]
.LBB127_1221:
	s_mov_b32 s53, s80
	s_mov_b32 s80, s28
	s_mov_b64 s[30:31], s[6:7]
	s_mov_b64 s[42:43], s[14:15]
	s_mov_b32 s50, s9
	s_mov_b32 s79, s11
	;; [unrolled: 1-line block ×6, first 2 shown]
	s_mov_b64 s[28:29], s[4:5]
	s_mov_b32 s82, s8
	s_mov_b64 s[40:41], s[12:13]
	s_mov_b64 s[14:15], s[18:19]
	s_mov_b32 s12, s16
	s_branch .LBB127_1225
.LBB127_1222:
	s_mov_b32 s0, -1
                                        ; implicit-def: $vgpr4
                                        ; implicit-def: $vgpr2
                                        ; implicit-def: $vgpr12
                                        ; implicit-def: $vgpr10
                                        ; implicit-def: $vgpr6
                                        ; implicit-def: $vgpr8
	s_branch .LBB127_1226
.LBB127_1223:
	s_mov_b32 s1, -1
	s_mov_b32 s45, 0
	s_mov_b32 s47, s95
                                        ; implicit-def: $vgpr12_vgpr13
	v_readlane_b32 s4, v66, 0
	s_branch .LBB127_3046
.LBB127_1224:
	s_wait_loadcnt 0x0
	v_dual_mov_b32 v4, 0 :: v_dual_mov_b32 v2, 0
	v_dual_mov_b32 v12, 0 :: v_dual_mov_b32 v10, 0
	v_dual_mov_b32 v6, 0 :: v_dual_mov_b32 v8, 0
.LBB127_1225:
	s_mov_b32 s0, 0
.LBB127_1226:
	s_delay_alu instid0(SALU_CYCLE_1)
	s_and_not1_b32 vcc_lo, exec_lo, s0
	s_cbranch_vccnz .LBB127_1229
; %bb.1227:
	v_mov_b32_e32 v1, 0
	s_load_b256 s[4:11], s[2:3], 0xc4
	s_and_not1_b32 vcc_lo, exec_lo, s48
	s_delay_alu instid0(VALU_DEP_1) | instskip(NEXT) | instid1(VALU_DEP_1)
	v_mul_u64_e32 v[2:3], s[54:55], v[0:1]
	v_add_nc_u32_e32 v2, v0, v3
	s_wait_loadcnt 0x0
	s_delay_alu instid0(VALU_DEP_1) | instskip(NEXT) | instid1(VALU_DEP_1)
	v_lshrrev_b32_e32 v14, s14, v2
	v_mul_lo_u32 v2, v14, s12
	s_delay_alu instid0(VALU_DEP_1) | instskip(SKIP_1) | instid1(VALU_DEP_1)
	v_sub_nc_u32_e32 v0, v0, v2
	s_wait_kmcnt 0x0
	v_mul_lo_u32 v4, v0, s5
	v_mul_lo_u32 v2, v0, s4
	;; [unrolled: 1-line block ×6, first 2 shown]
	s_cbranch_vccnz .LBB127_1229
; %bb.1228:
	v_mov_b32_e32 v15, v1
	s_delay_alu instid0(VALU_DEP_1) | instskip(NEXT) | instid1(VALU_DEP_1)
	v_mul_u64_e32 v[0:1], s[56:57], v[14:15]
	v_add_nc_u32_e32 v0, v14, v1
	s_delay_alu instid0(VALU_DEP_1) | instskip(NEXT) | instid1(VALU_DEP_1)
	v_lshrrev_b32_e32 v0, s79, v0
	v_mul_lo_u32 v0, v0, s15
	s_delay_alu instid0(VALU_DEP_1) | instskip(NEXT) | instid1(VALU_DEP_1)
	v_sub_nc_u32_e32 v0, v14, v0
	v_mad_u32 v2, v0, s10, v2
	v_mad_u32 v4, v0, s11, v4
	;; [unrolled: 1-line block ×6, first 2 shown]
.LBB127_1229:
	s_load_b512 s[4:19], s[2:3], 0x248
	s_wait_loadcnt 0x0
	v_mov_b32_e32 v5, 0
	s_and_b32 s0, s50, 0xff
	s_delay_alu instid0(SALU_CYCLE_1) | instskip(SKIP_1) | instid1(VALU_DEP_1)
	s_cmp_lt_i32 s0, 11
	s_wait_kmcnt 0x0
	v_add_nc_u64_e32 v[14:15], s[6:7], v[4:5]
	s_cbranch_scc1 .LBB127_1236
; %bb.1230:
	s_and_b32 s1, 0xffff, s0
	s_mov_b32 s7, 0
	s_cmp_gt_i32 s1, 25
	s_cbranch_scc0 .LBB127_1237
; %bb.1231:
	s_cmp_gt_i32 s1, 28
	s_cbranch_scc0 .LBB127_1239
; %bb.1232:
	;; [unrolled: 3-line block ×4, first 2 shown]
	s_cmp_eq_u32 s1, 46
	s_mov_b32 s37, 0
	s_cbranch_scc0 .LBB127_1246
; %bb.1235:
	global_load_b32 v0, v[14:15], off
	s_mov_b32 s6, 0
	s_mov_b32 s36, -1
	s_wait_loadcnt 0x0
	v_lshlrev_b32_e32 v0, 16, v0
	s_delay_alu instid0(VALU_DEP_1) | instskip(NEXT) | instid1(VALU_DEP_1)
	v_trunc_f32_e32 v0, v0
	v_mul_f32_e64 v1, 0x2f800000, |v0|
	s_delay_alu instid0(VALU_DEP_1) | instskip(NEXT) | instid1(VALU_DEP_1)
	v_floor_f32_e32 v1, v1
	v_fma_f32 v3, 0xcf800000, v1, |v0|
	v_ashrrev_i32_e32 v0, 31, v0
	v_cvt_u32_f32_e32 v4, v1
	s_delay_alu instid0(VALU_DEP_3) | instskip(NEXT) | instid1(VALU_DEP_3)
	v_cvt_u32_f32_e32 v3, v3
	v_mov_b32_e32 v1, v0
	s_delay_alu instid0(VALU_DEP_3) | instskip(NEXT) | instid1(VALU_DEP_3)
	v_xor_b32_e32 v5, v4, v0
	v_xor_b32_e32 v4, v3, v0
	s_delay_alu instid0(VALU_DEP_1)
	v_sub_nc_u64_e32 v[4:5], v[4:5], v[0:1]
	s_branch .LBB127_1248
.LBB127_1236:
	s_mov_b32 s1, -1
	s_mov_b32 s36, 0
	s_mov_b32 s7, 0
	;; [unrolled: 1-line block ×3, first 2 shown]
                                        ; implicit-def: $vgpr4_vgpr5
	s_branch .LBB127_1307
.LBB127_1237:
	s_mov_b32 s37, -1
	s_mov_b32 s36, 0
	s_mov_b32 s6, s35
                                        ; implicit-def: $vgpr4_vgpr5
	s_branch .LBB127_1275
.LBB127_1238:
	v_readlane_b32 s4, v66, 0
	s_mov_b32 s1, -1
	s_mov_b32 s45, 0
	s_mov_b32 s47, s95
                                        ; implicit-def: $vgpr12_vgpr13
	s_branch .LBB127_3012
.LBB127_1239:
	s_mov_b32 s37, -1
	s_mov_b32 s36, 0
	s_mov_b32 s6, s35
                                        ; implicit-def: $vgpr4_vgpr5
	s_branch .LBB127_1258
.LBB127_1240:
	s_mov_b32 s1, -1
	s_mov_b32 s45, 0
	s_mov_b32 s47, s95
                                        ; implicit-def: $vgpr12_vgpr13
	s_branch .LBB127_2995
.LBB127_1241:
	s_mov_b32 s37, -1
	s_mov_b32 s36, 0
	s_mov_b32 s6, s35
                                        ; implicit-def: $vgpr4_vgpr5
	s_branch .LBB127_1253
.LBB127_1242:
	s_mov_b32 s1, -1
	s_mov_b32 s45, 0
	s_mov_b32 s47, s95
                                        ; implicit-def: $vgpr12_vgpr13
	s_branch .LBB127_2990
.LBB127_1243:
	s_mov_b32 s37, -1
	s_mov_b32 s36, 0
	s_mov_b32 s6, s35
	s_branch .LBB127_1247
.LBB127_1244:
	s_mov_b32 s1, -1
	s_mov_b32 s58, 0
	s_mov_b32 s47, s89
	s_branch .LBB127_2722
.LBB127_1245:
	s_mov_b32 s1, -1
	s_mov_b32 s45, 0
	s_mov_b32 s47, s95
	s_branch .LBB127_2727
.LBB127_1246:
	s_mov_b32 s6, -1
	s_mov_b32 s36, 0
.LBB127_1247:
                                        ; implicit-def: $vgpr4_vgpr5
.LBB127_1248:
	s_and_b32 vcc_lo, exec_lo, s37
	s_cbranch_vccz .LBB127_1252
; %bb.1249:
	s_cmp_eq_u32 s1, 44
	s_cbranch_scc0 .LBB127_1251
; %bb.1250:
	global_load_u8 v3, v[14:15], off
	s_mov_b32 s6, 0
	s_mov_b32 s36, -1
	s_wait_loadcnt 0x0
	v_cmp_ne_u32_e32 vcc_lo, 0, v3
	v_lshlrev_b32_e32 v0, 23, v3
	s_delay_alu instid0(VALU_DEP_1) | instskip(NEXT) | instid1(VALU_DEP_1)
	v_trunc_f32_e32 v0, v0
	v_mul_f32_e64 v1, 0x2f800000, |v0|
	s_delay_alu instid0(VALU_DEP_1) | instskip(NEXT) | instid1(VALU_DEP_1)
	v_floor_f32_e32 v1, v1
	v_fma_f32 v4, 0xcf800000, v1, |v0|
	v_ashrrev_i32_e32 v0, 31, v0
	v_cvt_u32_f32_e32 v5, v1
	s_delay_alu instid0(VALU_DEP_3) | instskip(NEXT) | instid1(VALU_DEP_2)
	v_cvt_u32_f32_e32 v4, v4
	v_dual_mov_b32 v1, v0 :: v_dual_bitop2_b32 v5, v5, v0 bitop3:0x14
	s_delay_alu instid0(VALU_DEP_2) | instskip(NEXT) | instid1(VALU_DEP_1)
	v_xor_b32_e32 v4, v4, v0
	v_sub_nc_u64_e32 v[0:1], v[4:5], v[0:1]
	s_delay_alu instid0(VALU_DEP_1)
	v_dual_cndmask_b32 v5, 0, v1 :: v_dual_cndmask_b32 v4, 0, v0
	s_branch .LBB127_1252
.LBB127_1251:
	s_mov_b32 s6, -1
                                        ; implicit-def: $vgpr4_vgpr5
.LBB127_1252:
	s_mov_b32 s37, 0
.LBB127_1253:
	s_delay_alu instid0(SALU_CYCLE_1)
	s_and_b32 vcc_lo, exec_lo, s37
	s_cbranch_vccz .LBB127_1257
; %bb.1254:
	s_cmp_eq_u32 s1, 29
	s_cbranch_scc0 .LBB127_1256
; %bb.1255:
	global_load_b64 v[4:5], v[14:15], off
	s_mov_b32 s6, 0
	s_mov_b32 s36, -1
	s_branch .LBB127_1257
.LBB127_1256:
	s_mov_b32 s6, -1
                                        ; implicit-def: $vgpr4_vgpr5
.LBB127_1257:
	s_mov_b32 s37, 0
.LBB127_1258:
	s_delay_alu instid0(SALU_CYCLE_1)
	s_and_b32 vcc_lo, exec_lo, s37
	s_cbranch_vccz .LBB127_1274
; %bb.1259:
	s_cmp_lt_i32 s1, 27
	s_cbranch_scc1 .LBB127_1262
; %bb.1260:
	s_cmp_gt_i32 s1, 27
	s_cbranch_scc0 .LBB127_1263
; %bb.1261:
	s_wait_loadcnt 0x0
	global_load_b32 v4, v[14:15], off
	v_mov_b32_e32 v5, 0
	s_mov_b32 s36, 0
	s_branch .LBB127_1264
.LBB127_1262:
	s_mov_b32 s36, -1
                                        ; implicit-def: $vgpr4_vgpr5
	s_branch .LBB127_1267
.LBB127_1263:
	s_mov_b32 s36, -1
                                        ; implicit-def: $vgpr4_vgpr5
.LBB127_1264:
	s_delay_alu instid0(SALU_CYCLE_1)
	s_and_not1_b32 vcc_lo, exec_lo, s36
	s_cbranch_vccnz .LBB127_1266
; %bb.1265:
	global_load_u16 v0, v[14:15], off
	s_mov_b32 s36, 0
	s_wait_loadcnt 0x1
	v_mov_b32_e32 v5, s36
	s_wait_loadcnt 0x0
	v_and_b32_e32 v4, 0xffff, v0
.LBB127_1266:
	s_mov_b32 s36, 0
.LBB127_1267:
	s_delay_alu instid0(SALU_CYCLE_1)
	s_and_not1_b32 vcc_lo, exec_lo, s36
	s_cbranch_vccnz .LBB127_1273
; %bb.1268:
	global_load_u8 v0, v[14:15], off
	s_mov_b32 s37, 0
	s_mov_b32 s36, exec_lo
	s_wait_loadcnt 0x0
	v_cmpx_lt_i16_e32 0x7f, v0
	s_xor_b32 s36, exec_lo, s36
	s_cbranch_execz .LBB127_1285
; %bb.1269:
	v_cmp_ne_u16_e32 vcc_lo, 0x80, v0
	s_and_b32 s37, vcc_lo, exec_lo
	s_and_not1_saveexec_b32 s36, s36
	s_cbranch_execnz .LBB127_1286
.LBB127_1270:
	s_or_b32 exec_lo, exec_lo, s36
	v_mov_b64_e32 v[4:5], 0
	s_and_saveexec_b32 s36, s37
	s_cbranch_execz .LBB127_1272
.LBB127_1271:
	v_and_b32_e32 v1, 0xffff, v0
	s_delay_alu instid0(VALU_DEP_1) | instskip(SKIP_1) | instid1(VALU_DEP_2)
	v_and_b32_e32 v3, 7, v1
	v_bfe_u32 v7, v1, 3, 4
	v_clz_i32_u32_e32 v4, v3
	s_delay_alu instid0(VALU_DEP_2) | instskip(NEXT) | instid1(VALU_DEP_2)
	v_cmp_eq_u32_e32 vcc_lo, 0, v7
	v_min_u32_e32 v4, 32, v4
	s_delay_alu instid0(VALU_DEP_1) | instskip(NEXT) | instid1(VALU_DEP_1)
	v_subrev_nc_u32_e32 v5, 28, v4
	v_dual_lshlrev_b32 v1, v5, v1 :: v_dual_sub_nc_u32 v4, 29, v4
	s_delay_alu instid0(VALU_DEP_1) | instskip(NEXT) | instid1(VALU_DEP_1)
	v_dual_lshlrev_b32 v0, 24, v0 :: v_dual_bitop2_b32 v1, 7, v1 bitop3:0x40
	v_cndmask_b32_e32 v1, v3, v1, vcc_lo
	s_delay_alu instid0(VALU_DEP_3) | instskip(NEXT) | instid1(VALU_DEP_3)
	v_cndmask_b32_e32 v4, v7, v4, vcc_lo
	v_and_b32_e32 v0, 0x80000000, v0
	s_delay_alu instid0(VALU_DEP_3) | instskip(NEXT) | instid1(VALU_DEP_3)
	v_lshlrev_b32_e32 v1, 20, v1
	v_lshl_add_u32 v3, v4, 23, 0x3b800000
	s_delay_alu instid0(VALU_DEP_1) | instskip(NEXT) | instid1(VALU_DEP_1)
	v_or3_b32 v0, v0, v3, v1
	v_trunc_f32_e32 v0, v0
	s_delay_alu instid0(VALU_DEP_1) | instskip(NEXT) | instid1(VALU_DEP_1)
	v_mul_f32_e64 v1, 0x2f800000, |v0|
	v_floor_f32_e32 v1, v1
	s_delay_alu instid0(VALU_DEP_1) | instskip(SKIP_2) | instid1(VALU_DEP_3)
	v_fma_f32 v3, 0xcf800000, v1, |v0|
	v_ashrrev_i32_e32 v0, 31, v0
	v_cvt_u32_f32_e32 v4, v1
	v_cvt_u32_f32_e32 v3, v3
	s_delay_alu instid0(VALU_DEP_3) | instskip(NEXT) | instid1(VALU_DEP_3)
	v_mov_b32_e32 v1, v0
	v_xor_b32_e32 v5, v4, v0
	s_delay_alu instid0(VALU_DEP_3) | instskip(NEXT) | instid1(VALU_DEP_1)
	v_xor_b32_e32 v4, v3, v0
	v_sub_nc_u64_e32 v[4:5], v[4:5], v[0:1]
.LBB127_1272:
	s_or_b32 exec_lo, exec_lo, s36
.LBB127_1273:
	s_mov_b32 s36, -1
.LBB127_1274:
	s_mov_b32 s37, 0
.LBB127_1275:
	s_delay_alu instid0(SALU_CYCLE_1)
	s_and_b32 vcc_lo, exec_lo, s37
	s_cbranch_vccz .LBB127_1306
; %bb.1276:
	s_cmp_gt_i32 s1, 22
	s_cbranch_scc0 .LBB127_1284
; %bb.1277:
	s_cmp_lt_i32 s1, 24
	s_cbranch_scc1 .LBB127_1287
; %bb.1278:
	s_cmp_gt_i32 s1, 24
	s_cbranch_scc0 .LBB127_1288
; %bb.1279:
	global_load_u8 v0, v[14:15], off
	s_mov_b32 s36, 0
	s_mov_b32 s7, exec_lo
	s_wait_loadcnt 0x0
	v_cmpx_lt_i16_e32 0x7f, v0
	s_xor_b32 s7, exec_lo, s7
	s_cbranch_execz .LBB127_1300
; %bb.1280:
	v_cmp_ne_u16_e32 vcc_lo, 0x80, v0
	s_and_b32 s36, vcc_lo, exec_lo
	s_and_not1_saveexec_b32 s7, s7
	s_cbranch_execnz .LBB127_1301
.LBB127_1281:
	s_or_b32 exec_lo, exec_lo, s7
	v_mov_b64_e32 v[4:5], 0
	s_and_saveexec_b32 s7, s36
	s_cbranch_execz .LBB127_1283
.LBB127_1282:
	v_and_b32_e32 v1, 0xffff, v0
	s_delay_alu instid0(VALU_DEP_1) | instskip(SKIP_1) | instid1(VALU_DEP_2)
	v_and_b32_e32 v3, 3, v1
	v_bfe_u32 v7, v1, 2, 5
	v_clz_i32_u32_e32 v4, v3
	s_delay_alu instid0(VALU_DEP_2) | instskip(NEXT) | instid1(VALU_DEP_2)
	v_cmp_eq_u32_e32 vcc_lo, 0, v7
	v_min_u32_e32 v4, 32, v4
	s_delay_alu instid0(VALU_DEP_1) | instskip(NEXT) | instid1(VALU_DEP_1)
	v_subrev_nc_u32_e32 v5, 29, v4
	v_dual_lshlrev_b32 v1, v5, v1 :: v_dual_sub_nc_u32 v4, 30, v4
	s_delay_alu instid0(VALU_DEP_1) | instskip(NEXT) | instid1(VALU_DEP_1)
	v_dual_lshlrev_b32 v0, 24, v0 :: v_dual_bitop2_b32 v1, 3, v1 bitop3:0x40
	v_cndmask_b32_e32 v1, v3, v1, vcc_lo
	s_delay_alu instid0(VALU_DEP_3) | instskip(NEXT) | instid1(VALU_DEP_3)
	v_cndmask_b32_e32 v4, v7, v4, vcc_lo
	v_and_b32_e32 v0, 0x80000000, v0
	s_delay_alu instid0(VALU_DEP_3) | instskip(NEXT) | instid1(VALU_DEP_3)
	v_lshlrev_b32_e32 v1, 21, v1
	v_lshl_add_u32 v3, v4, 23, 0x37800000
	s_delay_alu instid0(VALU_DEP_1) | instskip(NEXT) | instid1(VALU_DEP_1)
	v_or3_b32 v0, v0, v3, v1
	v_trunc_f32_e32 v0, v0
	s_delay_alu instid0(VALU_DEP_1) | instskip(NEXT) | instid1(VALU_DEP_1)
	v_mul_f32_e64 v1, 0x2f800000, |v0|
	v_floor_f32_e32 v1, v1
	s_delay_alu instid0(VALU_DEP_1) | instskip(SKIP_2) | instid1(VALU_DEP_3)
	v_fma_f32 v3, 0xcf800000, v1, |v0|
	v_ashrrev_i32_e32 v0, 31, v0
	v_cvt_u32_f32_e32 v4, v1
	v_cvt_u32_f32_e32 v3, v3
	s_delay_alu instid0(VALU_DEP_3) | instskip(NEXT) | instid1(VALU_DEP_3)
	v_mov_b32_e32 v1, v0
	v_xor_b32_e32 v5, v4, v0
	s_delay_alu instid0(VALU_DEP_3) | instskip(NEXT) | instid1(VALU_DEP_1)
	v_xor_b32_e32 v4, v3, v0
	v_sub_nc_u64_e32 v[4:5], v[4:5], v[0:1]
.LBB127_1283:
	s_or_b32 exec_lo, exec_lo, s7
	s_mov_b32 s7, 0
	s_branch .LBB127_1289
.LBB127_1284:
	s_mov_b32 s7, -1
                                        ; implicit-def: $vgpr4_vgpr5
	s_branch .LBB127_1295
.LBB127_1285:
	s_and_not1_saveexec_b32 s36, s36
	s_cbranch_execz .LBB127_1270
.LBB127_1286:
	v_cmp_ne_u16_e32 vcc_lo, 0, v0
	s_and_not1_b32 s37, s37, exec_lo
	s_and_b32 s38, vcc_lo, exec_lo
	s_delay_alu instid0(SALU_CYCLE_1)
	s_or_b32 s37, s37, s38
	s_or_b32 exec_lo, exec_lo, s36
	v_mov_b64_e32 v[4:5], 0
	s_and_saveexec_b32 s36, s37
	s_cbranch_execnz .LBB127_1271
	s_branch .LBB127_1272
.LBB127_1287:
	s_mov_b32 s7, -1
                                        ; implicit-def: $vgpr4_vgpr5
	s_branch .LBB127_1292
.LBB127_1288:
	s_mov_b32 s7, -1
                                        ; implicit-def: $vgpr4_vgpr5
.LBB127_1289:
	s_delay_alu instid0(SALU_CYCLE_1)
	s_and_b32 vcc_lo, exec_lo, s7
	s_cbranch_vccz .LBB127_1291
; %bb.1290:
	global_load_u8 v0, v[14:15], off
	s_wait_loadcnt 0x0
	v_lshlrev_b32_e32 v0, 24, v0
	s_delay_alu instid0(VALU_DEP_1) | instskip(NEXT) | instid1(VALU_DEP_1)
	v_and_b32_e32 v1, 0x7f000000, v0
	v_clz_i32_u32_e32 v3, v1
	v_add_nc_u32_e32 v5, 0x1000000, v1
	v_cmp_ne_u32_e32 vcc_lo, 0, v1
	s_delay_alu instid0(VALU_DEP_3) | instskip(NEXT) | instid1(VALU_DEP_1)
	v_min_u32_e32 v3, 32, v3
	v_sub_nc_u32_e64 v3, v3, 4 clamp
	s_delay_alu instid0(VALU_DEP_1) | instskip(NEXT) | instid1(VALU_DEP_1)
	v_dual_lshlrev_b32 v4, v3, v1 :: v_dual_lshlrev_b32 v3, 23, v3
	v_lshrrev_b32_e32 v4, 4, v4
	s_delay_alu instid0(VALU_DEP_1) | instskip(NEXT) | instid1(VALU_DEP_1)
	v_dual_sub_nc_u32 v3, v4, v3 :: v_dual_ashrrev_i32 v4, 8, v5
	v_add_nc_u32_e32 v3, 0x3c000000, v3
	s_delay_alu instid0(VALU_DEP_1) | instskip(NEXT) | instid1(VALU_DEP_1)
	v_and_or_b32 v3, 0x7f800000, v4, v3
	v_cndmask_b32_e32 v1, 0, v3, vcc_lo
	s_delay_alu instid0(VALU_DEP_1) | instskip(NEXT) | instid1(VALU_DEP_1)
	v_and_or_b32 v0, 0x80000000, v0, v1
	v_trunc_f32_e32 v0, v0
	s_delay_alu instid0(VALU_DEP_1) | instskip(NEXT) | instid1(VALU_DEP_1)
	v_mul_f32_e64 v1, 0x2f800000, |v0|
	v_floor_f32_e32 v1, v1
	s_delay_alu instid0(VALU_DEP_1) | instskip(SKIP_2) | instid1(VALU_DEP_3)
	v_fma_f32 v3, 0xcf800000, v1, |v0|
	v_ashrrev_i32_e32 v0, 31, v0
	v_cvt_u32_f32_e32 v4, v1
	v_cvt_u32_f32_e32 v3, v3
	s_delay_alu instid0(VALU_DEP_3) | instskip(NEXT) | instid1(VALU_DEP_3)
	v_mov_b32_e32 v1, v0
	v_xor_b32_e32 v5, v4, v0
	s_delay_alu instid0(VALU_DEP_3) | instskip(NEXT) | instid1(VALU_DEP_1)
	v_xor_b32_e32 v4, v3, v0
	v_sub_nc_u64_e32 v[4:5], v[4:5], v[0:1]
.LBB127_1291:
	s_mov_b32 s7, 0
.LBB127_1292:
	s_delay_alu instid0(SALU_CYCLE_1)
	s_and_not1_b32 vcc_lo, exec_lo, s7
	s_cbranch_vccnz .LBB127_1294
; %bb.1293:
	global_load_u8 v0, v[14:15], off
	s_wait_loadcnt 0x0
	v_lshlrev_b32_e32 v1, 25, v0
	v_lshlrev_b16 v0, 8, v0
	s_delay_alu instid0(VALU_DEP_2) | instskip(NEXT) | instid1(VALU_DEP_2)
	v_cmp_gt_u32_e32 vcc_lo, 0x8000000, v1
	v_and_or_b32 v4, 0x7f00, v0, 0.5
	v_lshrrev_b32_e32 v3, 4, v1
	v_bfe_i32 v0, v0, 0, 16
	s_delay_alu instid0(VALU_DEP_3) | instskip(NEXT) | instid1(VALU_DEP_3)
	v_add_f32_e32 v4, -0.5, v4
	v_or_b32_e32 v3, 0x70000000, v3
	s_delay_alu instid0(VALU_DEP_1) | instskip(NEXT) | instid1(VALU_DEP_1)
	v_mul_f32_e32 v3, 0x7800000, v3
	v_cndmask_b32_e32 v1, v3, v4, vcc_lo
	s_delay_alu instid0(VALU_DEP_1) | instskip(NEXT) | instid1(VALU_DEP_1)
	v_and_or_b32 v0, 0x80000000, v0, v1
	v_trunc_f32_e32 v0, v0
	s_delay_alu instid0(VALU_DEP_1) | instskip(NEXT) | instid1(VALU_DEP_1)
	v_mul_f32_e64 v1, 0x2f800000, |v0|
	v_floor_f32_e32 v1, v1
	s_delay_alu instid0(VALU_DEP_1) | instskip(SKIP_2) | instid1(VALU_DEP_3)
	v_fma_f32 v3, 0xcf800000, v1, |v0|
	v_ashrrev_i32_e32 v0, 31, v0
	v_cvt_u32_f32_e32 v4, v1
	v_cvt_u32_f32_e32 v3, v3
	s_delay_alu instid0(VALU_DEP_3) | instskip(NEXT) | instid1(VALU_DEP_3)
	v_mov_b32_e32 v1, v0
	v_xor_b32_e32 v5, v4, v0
	s_delay_alu instid0(VALU_DEP_3) | instskip(NEXT) | instid1(VALU_DEP_1)
	v_xor_b32_e32 v4, v3, v0
	v_sub_nc_u64_e32 v[4:5], v[4:5], v[0:1]
.LBB127_1294:
	s_mov_b32 s7, 0
	s_mov_b32 s36, -1
.LBB127_1295:
	s_and_not1_b32 vcc_lo, exec_lo, s7
	s_mov_b32 s7, 0
	s_cbranch_vccnz .LBB127_1306
; %bb.1296:
	s_cmp_gt_i32 s1, 14
	s_cbranch_scc0 .LBB127_1299
; %bb.1297:
	s_cmp_eq_u32 s1, 15
	s_cbranch_scc0 .LBB127_1302
; %bb.1298:
	global_load_u16 v0, v[14:15], off
	s_mov_b32 s6, 0
	s_mov_b32 s36, -1
	s_wait_loadcnt 0x0
	v_lshlrev_b32_e32 v0, 16, v0
	s_delay_alu instid0(VALU_DEP_1) | instskip(NEXT) | instid1(VALU_DEP_1)
	v_trunc_f32_e32 v0, v0
	v_mul_f32_e64 v1, 0x2f800000, |v0|
	s_delay_alu instid0(VALU_DEP_1) | instskip(NEXT) | instid1(VALU_DEP_1)
	v_floor_f32_e32 v1, v1
	v_fma_f32 v3, 0xcf800000, v1, |v0|
	v_ashrrev_i32_e32 v0, 31, v0
	v_cvt_u32_f32_e32 v4, v1
	s_delay_alu instid0(VALU_DEP_3) | instskip(NEXT) | instid1(VALU_DEP_3)
	v_cvt_u32_f32_e32 v3, v3
	v_mov_b32_e32 v1, v0
	s_delay_alu instid0(VALU_DEP_3) | instskip(NEXT) | instid1(VALU_DEP_3)
	v_xor_b32_e32 v5, v4, v0
	v_xor_b32_e32 v4, v3, v0
	s_delay_alu instid0(VALU_DEP_1)
	v_sub_nc_u64_e32 v[4:5], v[4:5], v[0:1]
	s_branch .LBB127_1304
.LBB127_1299:
	s_mov_b32 s7, -1
	s_branch .LBB127_1303
.LBB127_1300:
	s_and_not1_saveexec_b32 s7, s7
	s_cbranch_execz .LBB127_1281
.LBB127_1301:
	v_cmp_ne_u16_e32 vcc_lo, 0, v0
	s_and_not1_b32 s36, s36, exec_lo
	s_and_b32 s37, vcc_lo, exec_lo
	s_delay_alu instid0(SALU_CYCLE_1)
	s_or_b32 s36, s36, s37
	s_or_b32 exec_lo, exec_lo, s7
	v_mov_b64_e32 v[4:5], 0
	s_and_saveexec_b32 s7, s36
	s_cbranch_execnz .LBB127_1282
	s_branch .LBB127_1283
.LBB127_1302:
	s_mov_b32 s6, -1
.LBB127_1303:
                                        ; implicit-def: $vgpr4_vgpr5
.LBB127_1304:
	s_and_b32 vcc_lo, exec_lo, s7
	s_mov_b32 s7, 0
	s_cbranch_vccz .LBB127_1306
; %bb.1305:
	s_cmp_lg_u32 s1, 11
	s_mov_b32 s7, -1
	s_cselect_b32 s1, -1, 0
	s_and_not1_b32 s6, s6, exec_lo
	s_and_b32 s1, s1, exec_lo
	s_delay_alu instid0(SALU_CYCLE_1)
	s_or_b32 s6, s6, s1
.LBB127_1306:
	s_mov_b32 s1, 0
.LBB127_1307:
	s_and_b32 s59, s36, exec_lo
	s_and_not1_b32 s36, s35, exec_lo
	s_and_b32 s6, s6, exec_lo
	s_and_b32 s58, s1, exec_lo
	;; [unrolled: 1-line block ×3, first 2 shown]
	s_or_b32 s60, s36, s6
.LBB127_1308:
	s_wait_xcnt 0x0
	s_or_b32 exec_lo, exec_lo, s68
	s_delay_alu instid0(SALU_CYCLE_1)
	s_and_not1_b32 s6, s35, exec_lo
	s_and_b32 s7, s60, exec_lo
	s_and_b32 s59, s59, exec_lo
	;; [unrolled: 1-line block ×4, first 2 shown]
	s_or_b32 s35, s6, s7
.LBB127_1309:
	s_or_b32 exec_lo, exec_lo, s44
	s_delay_alu instid0(SALU_CYCLE_1)
	s_and_not1_b32 s6, s101, exec_lo
	s_and_b32 s7, s67, exec_lo
	s_and_not1_b32 s36, vcc_hi, exec_lo
	s_or_b32 s101, s6, s7
	s_and_not1_b32 s6, s104, exec_lo
	s_and_b32 s7, s64, exec_lo
	s_and_b32 s37, s66, exec_lo
	s_or_b32 s104, s6, s7
	s_and_not1_b32 s6, s99, exec_lo
	s_and_b32 s7, s62, exec_lo
	s_or_b32 vcc_hi, s36, s37
	s_and_not1_b32 s36, s100, exec_lo
	s_and_b32 s37, s65, exec_lo
	s_or_b32 s99, s6, s7
	s_and_not1_b32 s6, s97, exec_lo
	s_and_b32 s7, s46, exec_lo
	s_or_b32 s100, s36, s37
	;; [unrolled: 3-line block ×6, first 2 shown]
	s_and_b32 s45, s59, exec_lo
	s_and_b32 s44, s58, exec_lo
	;; [unrolled: 1-line block ×3, first 2 shown]
	s_or_b32 s94, s6, s7
.LBB127_1310:
	s_or_b32 exec_lo, exec_lo, s23
	s_delay_alu instid0(SALU_CYCLE_1)
	s_and_not1_b32 s6, s70, exec_lo
	s_and_b32 s7, s101, exec_lo
	s_and_not1_b32 s23, s85, exec_lo
	s_or_b32 s70, s6, s7
	s_and_not1_b32 s6, s71, exec_lo
	s_and_b32 s7, s104, exec_lo
	s_and_b32 s35, vcc_hi, exec_lo
	s_or_b32 s71, s6, s7
	s_and_not1_b32 s6, s86, exec_lo
	s_and_b32 s7, s99, exec_lo
	s_or_b32 s85, s23, s35
	s_and_not1_b32 s23, s87, exec_lo
	s_and_b32 s35, s100, exec_lo
	;; [unrolled: 3-line block ×7, first 2 shown]
	s_or_b32 s91, s23, s35
	s_and_b32 s23, s45, exec_lo
	s_and_b32 s44, s44, exec_lo
	;; [unrolled: 1-line block ×3, first 2 shown]
	s_or_b32 s92, s6, s7
	s_or_b32 exec_lo, exec_lo, s93
	s_mov_b32 s1, 0
	s_and_saveexec_b32 s6, s92
	s_cbranch_execz .LBB127_533
.LBB127_1311:
	s_mov_b32 s1, exec_lo
	s_and_not1_b32 s55, s55, exec_lo
	s_trap 2
	s_or_b32 exec_lo, exec_lo, s6
	s_and_saveexec_b32 s6, s55
	s_delay_alu instid0(SALU_CYCLE_1)
	s_xor_b32 s6, exec_lo, s6
	s_cbranch_execnz .LBB127_534
.LBB127_1312:
	s_or_b32 exec_lo, exec_lo, s6
	s_and_saveexec_b32 s6, s44
	s_cbranch_execz .LBB127_1358
.LBB127_1313:
	s_sext_i32_i16 s7, s0
	s_delay_alu instid0(SALU_CYCLE_1)
	s_cmp_lt_i32 s7, 5
	s_cbranch_scc1 .LBB127_1318
; %bb.1314:
	s_cmp_lt_i32 s7, 8
	s_cbranch_scc1 .LBB127_1319
; %bb.1315:
	;; [unrolled: 3-line block ×3, first 2 shown]
	s_cmp_gt_i32 s7, 9
	s_cbranch_scc0 .LBB127_1321
; %bb.1317:
	s_wait_loadcnt 0x0
	global_load_b64 v[0:1], v[14:15], off
	s_mov_b32 s7, 0
	s_wait_loadcnt 0x0
	v_trunc_f64_e32 v[0:1], v[0:1]
	s_delay_alu instid0(VALU_DEP_1) | instskip(NEXT) | instid1(VALU_DEP_1)
	v_ldexp_f64 v[4:5], v[0:1], 0xffffffe0
	v_floor_f64_e32 v[4:5], v[4:5]
	s_delay_alu instid0(VALU_DEP_1) | instskip(SKIP_1) | instid1(VALU_DEP_2)
	v_fmamk_f64 v[0:1], v[4:5], 0xc1f00000, v[0:1]
	v_cvt_i32_f64_e32 v5, v[4:5]
	v_cvt_u32_f64_e32 v4, v[0:1]
	s_branch .LBB127_1322
.LBB127_1318:
                                        ; implicit-def: $vgpr4_vgpr5
	s_branch .LBB127_1339
.LBB127_1319:
                                        ; implicit-def: $vgpr4_vgpr5
	s_branch .LBB127_1328
.LBB127_1320:
	s_mov_b32 s7, -1
                                        ; implicit-def: $vgpr4_vgpr5
	s_branch .LBB127_1325
.LBB127_1321:
	s_mov_b32 s7, -1
                                        ; implicit-def: $vgpr4_vgpr5
.LBB127_1322:
	s_delay_alu instid0(SALU_CYCLE_1)
	s_and_not1_b32 vcc_lo, exec_lo, s7
	s_cbranch_vccnz .LBB127_1324
; %bb.1323:
	s_wait_loadcnt 0x0
	global_load_b32 v0, v[14:15], off
	s_wait_loadcnt 0x0
	v_trunc_f32_e32 v0, v0
	s_delay_alu instid0(VALU_DEP_1) | instskip(NEXT) | instid1(VALU_DEP_1)
	v_mul_f32_e64 v1, 0x2f800000, |v0|
	v_floor_f32_e32 v1, v1
	s_delay_alu instid0(VALU_DEP_1) | instskip(SKIP_2) | instid1(VALU_DEP_3)
	v_fma_f32 v3, 0xcf800000, v1, |v0|
	v_ashrrev_i32_e32 v0, 31, v0
	v_cvt_u32_f32_e32 v4, v1
	v_cvt_u32_f32_e32 v3, v3
	s_delay_alu instid0(VALU_DEP_3) | instskip(NEXT) | instid1(VALU_DEP_3)
	v_mov_b32_e32 v1, v0
	v_xor_b32_e32 v5, v4, v0
	s_delay_alu instid0(VALU_DEP_3) | instskip(NEXT) | instid1(VALU_DEP_1)
	v_xor_b32_e32 v4, v3, v0
	v_sub_nc_u64_e32 v[4:5], v[4:5], v[0:1]
.LBB127_1324:
	s_mov_b32 s7, 0
.LBB127_1325:
	s_delay_alu instid0(SALU_CYCLE_1)
	s_and_not1_b32 vcc_lo, exec_lo, s7
	s_cbranch_vccnz .LBB127_1327
; %bb.1326:
	s_wait_loadcnt 0x0
	global_load_b32 v0, v[14:15], off
	s_wait_loadcnt 0x0
	v_cvt_f32_f16_e32 v0, v0
	s_delay_alu instid0(VALU_DEP_1) | instskip(NEXT) | instid1(VALU_DEP_1)
	v_cvt_i32_f32_e32 v4, v0
	v_ashrrev_i32_e32 v5, 31, v4
.LBB127_1327:
	s_cbranch_execnz .LBB127_1338
.LBB127_1328:
	s_sext_i32_i16 s7, s0
	s_delay_alu instid0(SALU_CYCLE_1)
	s_cmp_lt_i32 s7, 6
	s_cbranch_scc1 .LBB127_1331
; %bb.1329:
	s_cmp_gt_i32 s7, 6
	s_cbranch_scc0 .LBB127_1332
; %bb.1330:
	s_wait_loadcnt 0x0
	global_load_b64 v[0:1], v[14:15], off
	s_mov_b32 s7, 0
	s_wait_loadcnt 0x0
	v_trunc_f64_e32 v[0:1], v[0:1]
	s_delay_alu instid0(VALU_DEP_1) | instskip(NEXT) | instid1(VALU_DEP_1)
	v_ldexp_f64 v[4:5], v[0:1], 0xffffffe0
	v_floor_f64_e32 v[4:5], v[4:5]
	s_delay_alu instid0(VALU_DEP_1) | instskip(SKIP_1) | instid1(VALU_DEP_2)
	v_fmamk_f64 v[0:1], v[4:5], 0xc1f00000, v[0:1]
	v_cvt_i32_f64_e32 v5, v[4:5]
	v_cvt_u32_f64_e32 v4, v[0:1]
	s_branch .LBB127_1333
.LBB127_1331:
	s_mov_b32 s7, -1
                                        ; implicit-def: $vgpr4_vgpr5
	s_branch .LBB127_1336
.LBB127_1332:
	s_mov_b32 s7, -1
                                        ; implicit-def: $vgpr4_vgpr5
.LBB127_1333:
	s_delay_alu instid0(SALU_CYCLE_1)
	s_and_not1_b32 vcc_lo, exec_lo, s7
	s_cbranch_vccnz .LBB127_1335
; %bb.1334:
	s_wait_loadcnt 0x0
	global_load_b32 v0, v[14:15], off
	s_wait_loadcnt 0x0
	v_trunc_f32_e32 v0, v0
	s_delay_alu instid0(VALU_DEP_1) | instskip(NEXT) | instid1(VALU_DEP_1)
	v_mul_f32_e64 v1, 0x2f800000, |v0|
	v_floor_f32_e32 v1, v1
	s_delay_alu instid0(VALU_DEP_1) | instskip(SKIP_2) | instid1(VALU_DEP_3)
	v_fma_f32 v3, 0xcf800000, v1, |v0|
	v_ashrrev_i32_e32 v0, 31, v0
	v_cvt_u32_f32_e32 v4, v1
	v_cvt_u32_f32_e32 v3, v3
	s_delay_alu instid0(VALU_DEP_3) | instskip(NEXT) | instid1(VALU_DEP_3)
	v_mov_b32_e32 v1, v0
	v_xor_b32_e32 v5, v4, v0
	s_delay_alu instid0(VALU_DEP_3) | instskip(NEXT) | instid1(VALU_DEP_1)
	v_xor_b32_e32 v4, v3, v0
	v_sub_nc_u64_e32 v[4:5], v[4:5], v[0:1]
.LBB127_1335:
	s_mov_b32 s7, 0
.LBB127_1336:
	s_delay_alu instid0(SALU_CYCLE_1)
	s_and_not1_b32 vcc_lo, exec_lo, s7
	s_cbranch_vccnz .LBB127_1338
; %bb.1337:
	s_wait_loadcnt 0x0
	global_load_u16 v0, v[14:15], off
	s_wait_loadcnt 0x0
	v_cvt_f32_f16_e32 v0, v0
	s_delay_alu instid0(VALU_DEP_1) | instskip(NEXT) | instid1(VALU_DEP_1)
	v_cvt_i32_f32_e32 v4, v0
	v_ashrrev_i32_e32 v5, 31, v4
.LBB127_1338:
	s_cbranch_execnz .LBB127_1357
.LBB127_1339:
	s_sext_i32_i16 s7, s0
	s_delay_alu instid0(SALU_CYCLE_1)
	s_cmp_lt_i32 s7, 2
	s_cbranch_scc1 .LBB127_1343
; %bb.1340:
	s_cmp_lt_i32 s7, 3
	s_cbranch_scc1 .LBB127_1344
; %bb.1341:
	s_cmp_gt_i32 s7, 3
	s_cbranch_scc0 .LBB127_1345
; %bb.1342:
	s_wait_loadcnt 0x0
	global_load_b64 v[4:5], v[14:15], off
	s_mov_b32 s7, 0
	s_branch .LBB127_1346
.LBB127_1343:
                                        ; implicit-def: $vgpr4_vgpr5
	s_branch .LBB127_1352
.LBB127_1344:
	s_mov_b32 s7, -1
                                        ; implicit-def: $vgpr4_vgpr5
	s_branch .LBB127_1349
.LBB127_1345:
	s_mov_b32 s7, -1
                                        ; implicit-def: $vgpr4_vgpr5
.LBB127_1346:
	s_delay_alu instid0(SALU_CYCLE_1)
	s_and_not1_b32 vcc_lo, exec_lo, s7
	s_cbranch_vccnz .LBB127_1348
; %bb.1347:
	s_wait_loadcnt 0x0
	global_load_b32 v4, v[14:15], off
	s_wait_loadcnt 0x0
	v_ashrrev_i32_e32 v5, 31, v4
.LBB127_1348:
	s_mov_b32 s7, 0
.LBB127_1349:
	s_delay_alu instid0(SALU_CYCLE_1)
	s_and_not1_b32 vcc_lo, exec_lo, s7
	s_cbranch_vccnz .LBB127_1351
; %bb.1350:
	s_wait_loadcnt 0x0
	global_load_u16 v0, v[14:15], off
	s_wait_loadcnt 0x0
	v_bfe_i32 v4, v0, 0, 16
	s_delay_alu instid0(VALU_DEP_1)
	v_ashrrev_i32_e32 v5, 31, v4
.LBB127_1351:
	s_cbranch_execnz .LBB127_1357
.LBB127_1352:
	s_sext_i32_i16 s0, s0
	s_delay_alu instid0(SALU_CYCLE_1)
	s_cmp_gt_i32 s0, 0
	s_mov_b32 s0, 0
	s_cbranch_scc0 .LBB127_1354
; %bb.1353:
	s_wait_loadcnt 0x0
	global_load_i8 v0, v[14:15], off
	s_wait_loadcnt 0x0
	v_bfe_i32 v4, v0, 0, 16
	s_delay_alu instid0(VALU_DEP_1)
	v_ashrrev_i32_e32 v5, 31, v4
	s_branch .LBB127_1355
.LBB127_1354:
	s_mov_b32 s0, -1
                                        ; implicit-def: $vgpr4_vgpr5
.LBB127_1355:
	s_delay_alu instid0(SALU_CYCLE_1)
	s_and_not1_b32 vcc_lo, exec_lo, s0
	s_cbranch_vccnz .LBB127_1357
; %bb.1356:
	s_wait_loadcnt 0x0
	global_load_u8 v0, v[14:15], off
	s_mov_b32 s0, 0
	s_delay_alu instid0(SALU_CYCLE_1)
	v_mov_b32_e32 v5, s0
	s_wait_loadcnt 0x0
	v_and_b32_e32 v4, 0xffff, v0
.LBB127_1357:
	s_or_b32 s23, s23, exec_lo
.LBB127_1358:
	s_wait_xcnt 0x0
	s_or_b32 exec_lo, exec_lo, s6
	s_mov_b32 s36, 0
	s_mov_b32 s35, 0
	;; [unrolled: 1-line block ×3, first 2 shown]
                                        ; implicit-def: $sgpr0
                                        ; implicit-def: $vgpr14_vgpr15
                                        ; implicit-def: $vgpr0_vgpr1
	s_and_saveexec_b32 s6, s23
	s_cbranch_execz .LBB127_1366
; %bb.1359:
	s_load_b512 s[36:51], s[2:3], 0x248
	s_wait_loadcnt 0x0
	v_mov_b32_e32 v11, 0
	s_and_b32 s0, s82, 0xff
	s_delay_alu instid0(SALU_CYCLE_1) | instskip(SKIP_1) | instid1(VALU_DEP_1)
	s_cmp_lt_i32 s0, 11
	s_wait_kmcnt 0x0
	v_add_nc_u64_e32 v[14:15], s[40:41], v[10:11]
	s_cbranch_scc1 .LBB127_1369
; %bb.1360:
	s_and_b32 s7, 0xffff, s0
	s_mov_b32 s9, 0
	s_cmp_gt_i32 s7, 25
	s_cbranch_scc0 .LBB127_1370
; %bb.1361:
	s_cmp_gt_i32 s7, 28
	s_cbranch_scc0 .LBB127_1371
; %bb.1362:
	;; [unrolled: 3-line block ×4, first 2 shown]
	s_cmp_eq_u32 s7, 46
	s_cbranch_scc0 .LBB127_1374
; %bb.1365:
	global_load_b32 v0, v[14:15], off
	s_mov_b32 s8, 0
	s_mov_b32 s23, -1
	s_wait_loadcnt 0x0
	v_lshlrev_b32_e32 v0, 16, v0
	s_delay_alu instid0(VALU_DEP_1) | instskip(NEXT) | instid1(VALU_DEP_1)
	v_trunc_f32_e32 v0, v0
	v_mul_f32_e64 v1, 0x2f800000, |v0|
	s_delay_alu instid0(VALU_DEP_1) | instskip(NEXT) | instid1(VALU_DEP_1)
	v_floor_f32_e32 v1, v1
	v_fma_f32 v3, 0xcf800000, v1, |v0|
	v_ashrrev_i32_e32 v0, 31, v0
	v_cvt_u32_f32_e32 v7, v1
	s_delay_alu instid0(VALU_DEP_3) | instskip(NEXT) | instid1(VALU_DEP_2)
	v_cvt_u32_f32_e32 v3, v3
	v_dual_mov_b32 v1, v0 :: v_dual_bitop2_b32 v11, v7, v0 bitop3:0x14
	s_delay_alu instid0(VALU_DEP_2) | instskip(NEXT) | instid1(VALU_DEP_1)
	v_xor_b32_e32 v10, v3, v0
	v_sub_nc_u64_e32 v[0:1], v[10:11], v[0:1]
	s_branch .LBB127_1376
.LBB127_1366:
	s_or_b32 exec_lo, exec_lo, s6
	s_and_saveexec_b32 s6, s91
	s_cbranch_execnz .LBB127_1435
.LBB127_1367:
	s_or_b32 exec_lo, exec_lo, s6
	s_and_saveexec_b32 s6, s36
	s_delay_alu instid0(SALU_CYCLE_1)
	s_xor_b32 s6, exec_lo, s6
	s_cbranch_execz .LBB127_1436
.LBB127_1368:
	s_wait_loadcnt 0x0
	global_load_u8 v0, v[14:15], off
	s_mov_b32 s8, 0
	s_or_b32 s7, s7, exec_lo
	v_mov_b32_e32 v1, s8
	s_wait_loadcnt 0x0
	v_cmp_ne_u16_e32 vcc_lo, 0, v0
	v_cndmask_b32_e64 v0, 0, 1, vcc_lo
	s_wait_xcnt 0x0
	s_or_b32 exec_lo, exec_lo, s6
	s_and_saveexec_b32 s6, s35
	s_cbranch_execz .LBB127_1482
	s_branch .LBB127_1437
.LBB127_1369:
	s_mov_b32 s35, -1
	s_mov_b32 s23, 0
	s_mov_b32 s9, 0
	;; [unrolled: 1-line block ×3, first 2 shown]
                                        ; implicit-def: $vgpr0_vgpr1
	s_branch .LBB127_1434
.LBB127_1370:
	s_mov_b32 s23, 0
	s_mov_b32 s8, s91
                                        ; implicit-def: $vgpr0_vgpr1
	s_cbranch_execnz .LBB127_1403
	s_branch .LBB127_1433
.LBB127_1371:
	s_mov_b32 s35, -1
	s_mov_b32 s23, 0
	s_mov_b32 s8, s91
                                        ; implicit-def: $vgpr0_vgpr1
	s_branch .LBB127_1386
.LBB127_1372:
	s_mov_b32 s35, -1
	s_mov_b32 s23, 0
	s_mov_b32 s8, s91
                                        ; implicit-def: $vgpr0_vgpr1
	s_branch .LBB127_1381
.LBB127_1373:
	s_mov_b32 s35, -1
	s_mov_b32 s23, 0
	s_mov_b32 s8, s91
	s_branch .LBB127_1375
.LBB127_1374:
	s_mov_b32 s8, -1
	s_mov_b32 s23, 0
.LBB127_1375:
                                        ; implicit-def: $vgpr0_vgpr1
.LBB127_1376:
	s_and_b32 vcc_lo, exec_lo, s35
	s_cbranch_vccz .LBB127_1380
; %bb.1377:
	s_cmp_eq_u32 s7, 44
	s_cbranch_scc0 .LBB127_1379
; %bb.1378:
	global_load_u8 v3, v[14:15], off
	s_mov_b32 s8, 0
	s_mov_b32 s23, -1
	s_wait_loadcnt 0x0
	v_cmp_ne_u32_e32 vcc_lo, 0, v3
	v_lshlrev_b32_e32 v0, 23, v3
	s_delay_alu instid0(VALU_DEP_1) | instskip(NEXT) | instid1(VALU_DEP_1)
	v_trunc_f32_e32 v0, v0
	v_mul_f32_e64 v1, 0x2f800000, |v0|
	s_delay_alu instid0(VALU_DEP_1) | instskip(NEXT) | instid1(VALU_DEP_1)
	v_floor_f32_e32 v1, v1
	v_fma_f32 v7, 0xcf800000, v1, |v0|
	v_ashrrev_i32_e32 v0, 31, v0
	v_cvt_u32_f32_e32 v9, v1
	s_delay_alu instid0(VALU_DEP_3) | instskip(NEXT) | instid1(VALU_DEP_2)
	v_cvt_u32_f32_e32 v7, v7
	v_dual_mov_b32 v1, v0 :: v_dual_bitop2_b32 v11, v9, v0 bitop3:0x14
	s_delay_alu instid0(VALU_DEP_2) | instskip(NEXT) | instid1(VALU_DEP_1)
	v_xor_b32_e32 v10, v7, v0
	v_sub_nc_u64_e32 v[0:1], v[10:11], v[0:1]
	s_delay_alu instid0(VALU_DEP_1)
	v_dual_cndmask_b32 v1, 0, v1 :: v_dual_cndmask_b32 v0, 0, v0
	s_branch .LBB127_1380
.LBB127_1379:
	s_mov_b32 s8, -1
                                        ; implicit-def: $vgpr0_vgpr1
.LBB127_1380:
	s_mov_b32 s35, 0
.LBB127_1381:
	s_delay_alu instid0(SALU_CYCLE_1)
	s_and_b32 vcc_lo, exec_lo, s35
	s_cbranch_vccz .LBB127_1385
; %bb.1382:
	s_cmp_eq_u32 s7, 29
	s_cbranch_scc0 .LBB127_1384
; %bb.1383:
	global_load_b64 v[0:1], v[14:15], off
	s_mov_b32 s8, 0
	s_mov_b32 s23, -1
	s_branch .LBB127_1385
.LBB127_1384:
	s_mov_b32 s8, -1
                                        ; implicit-def: $vgpr0_vgpr1
.LBB127_1385:
	s_mov_b32 s35, 0
.LBB127_1386:
	s_delay_alu instid0(SALU_CYCLE_1)
	s_and_b32 vcc_lo, exec_lo, s35
	s_cbranch_vccz .LBB127_1402
; %bb.1387:
	s_cmp_lt_i32 s7, 27
	s_cbranch_scc1 .LBB127_1390
; %bb.1388:
	s_cmp_gt_i32 s7, 27
	s_cbranch_scc0 .LBB127_1391
; %bb.1389:
	s_wait_loadcnt 0x0
	global_load_b32 v0, v[14:15], off
	v_mov_b32_e32 v1, 0
	s_mov_b32 s23, 0
	s_branch .LBB127_1392
.LBB127_1390:
	s_mov_b32 s23, -1
                                        ; implicit-def: $vgpr0_vgpr1
	s_branch .LBB127_1395
.LBB127_1391:
	s_mov_b32 s23, -1
                                        ; implicit-def: $vgpr0_vgpr1
.LBB127_1392:
	s_delay_alu instid0(SALU_CYCLE_1)
	s_and_not1_b32 vcc_lo, exec_lo, s23
	s_cbranch_vccnz .LBB127_1394
; %bb.1393:
	s_wait_loadcnt 0x0
	global_load_u16 v0, v[14:15], off
	s_mov_b32 s23, 0
	s_delay_alu instid0(SALU_CYCLE_1)
	v_mov_b32_e32 v1, s23
	s_wait_loadcnt 0x0
	v_and_b32_e32 v0, 0xffff, v0
.LBB127_1394:
	s_mov_b32 s23, 0
.LBB127_1395:
	s_delay_alu instid0(SALU_CYCLE_1)
	s_and_not1_b32 vcc_lo, exec_lo, s23
	s_cbranch_vccnz .LBB127_1401
; %bb.1396:
	global_load_u8 v3, v[14:15], off
	s_mov_b32 s35, 0
	s_mov_b32 s23, exec_lo
	s_wait_loadcnt 0x0
	v_cmpx_lt_i16_e32 0x7f, v3
	s_xor_b32 s23, exec_lo, s23
	s_cbranch_execz .LBB127_1412
; %bb.1397:
	v_cmp_ne_u16_e32 vcc_lo, 0x80, v3
	s_and_b32 s35, vcc_lo, exec_lo
	s_and_not1_saveexec_b32 s23, s23
	s_cbranch_execnz .LBB127_1413
.LBB127_1398:
	s_or_b32 exec_lo, exec_lo, s23
	v_mov_b64_e32 v[0:1], 0
	s_and_saveexec_b32 s23, s35
	s_cbranch_execz .LBB127_1400
.LBB127_1399:
	v_and_b32_e32 v0, 0xffff, v3
	s_delay_alu instid0(VALU_DEP_1) | instskip(SKIP_1) | instid1(VALU_DEP_2)
	v_and_b32_e32 v1, 7, v0
	v_bfe_u32 v10, v0, 3, 4
	v_clz_i32_u32_e32 v7, v1
	s_delay_alu instid0(VALU_DEP_2) | instskip(NEXT) | instid1(VALU_DEP_2)
	v_cmp_eq_u32_e32 vcc_lo, 0, v10
	v_min_u32_e32 v7, 32, v7
	s_delay_alu instid0(VALU_DEP_1) | instskip(NEXT) | instid1(VALU_DEP_1)
	v_subrev_nc_u32_e32 v9, 28, v7
	v_dual_lshlrev_b32 v0, v9, v0 :: v_dual_sub_nc_u32 v7, 29, v7
	s_delay_alu instid0(VALU_DEP_1) | instskip(NEXT) | instid1(VALU_DEP_1)
	v_dual_lshlrev_b32 v3, 24, v3 :: v_dual_bitop2_b32 v0, 7, v0 bitop3:0x40
	v_dual_cndmask_b32 v0, v1, v0 :: v_dual_cndmask_b32 v7, v10, v7
	s_delay_alu instid0(VALU_DEP_2) | instskip(NEXT) | instid1(VALU_DEP_2)
	v_and_b32_e32 v1, 0x80000000, v3
	v_lshlrev_b32_e32 v0, 20, v0
	s_delay_alu instid0(VALU_DEP_3) | instskip(NEXT) | instid1(VALU_DEP_1)
	v_lshl_add_u32 v3, v7, 23, 0x3b800000
	v_or3_b32 v0, v1, v3, v0
	s_delay_alu instid0(VALU_DEP_1) | instskip(NEXT) | instid1(VALU_DEP_1)
	v_trunc_f32_e32 v0, v0
	v_mul_f32_e64 v1, 0x2f800000, |v0|
	s_delay_alu instid0(VALU_DEP_1) | instskip(NEXT) | instid1(VALU_DEP_1)
	v_floor_f32_e32 v1, v1
	v_fma_f32 v3, 0xcf800000, v1, |v0|
	v_ashrrev_i32_e32 v0, 31, v0
	v_cvt_u32_f32_e32 v7, v1
	s_delay_alu instid0(VALU_DEP_3) | instskip(NEXT) | instid1(VALU_DEP_2)
	v_cvt_u32_f32_e32 v3, v3
	v_dual_mov_b32 v1, v0 :: v_dual_bitop2_b32 v11, v7, v0 bitop3:0x14
	s_delay_alu instid0(VALU_DEP_2) | instskip(NEXT) | instid1(VALU_DEP_1)
	v_xor_b32_e32 v10, v3, v0
	v_sub_nc_u64_e32 v[0:1], v[10:11], v[0:1]
.LBB127_1400:
	s_or_b32 exec_lo, exec_lo, s23
.LBB127_1401:
	s_mov_b32 s23, -1
.LBB127_1402:
	s_branch .LBB127_1433
.LBB127_1403:
	s_cmp_gt_i32 s7, 22
	s_cbranch_scc0 .LBB127_1411
; %bb.1404:
	s_cmp_lt_i32 s7, 24
	s_cbranch_scc1 .LBB127_1414
; %bb.1405:
	s_cmp_gt_i32 s7, 24
	s_cbranch_scc0 .LBB127_1415
; %bb.1406:
	global_load_u8 v3, v[14:15], off
	s_mov_b32 s23, 0
	s_mov_b32 s9, exec_lo
	s_wait_loadcnt 0x0
	v_cmpx_lt_i16_e32 0x7f, v3
	s_xor_b32 s9, exec_lo, s9
	s_cbranch_execz .LBB127_1427
; %bb.1407:
	v_cmp_ne_u16_e32 vcc_lo, 0x80, v3
	s_and_b32 s23, vcc_lo, exec_lo
	s_and_not1_saveexec_b32 s9, s9
	s_cbranch_execnz .LBB127_1428
.LBB127_1408:
	s_or_b32 exec_lo, exec_lo, s9
	v_mov_b64_e32 v[0:1], 0
	s_and_saveexec_b32 s9, s23
	s_cbranch_execz .LBB127_1410
.LBB127_1409:
	v_and_b32_e32 v0, 0xffff, v3
	s_delay_alu instid0(VALU_DEP_1) | instskip(SKIP_1) | instid1(VALU_DEP_2)
	v_and_b32_e32 v1, 3, v0
	v_bfe_u32 v10, v0, 2, 5
	v_clz_i32_u32_e32 v7, v1
	s_delay_alu instid0(VALU_DEP_2) | instskip(NEXT) | instid1(VALU_DEP_2)
	v_cmp_eq_u32_e32 vcc_lo, 0, v10
	v_min_u32_e32 v7, 32, v7
	s_delay_alu instid0(VALU_DEP_1) | instskip(NEXT) | instid1(VALU_DEP_1)
	v_subrev_nc_u32_e32 v9, 29, v7
	v_dual_lshlrev_b32 v0, v9, v0 :: v_dual_sub_nc_u32 v7, 30, v7
	s_delay_alu instid0(VALU_DEP_1) | instskip(NEXT) | instid1(VALU_DEP_1)
	v_dual_lshlrev_b32 v3, 24, v3 :: v_dual_bitop2_b32 v0, 3, v0 bitop3:0x40
	v_dual_cndmask_b32 v0, v1, v0 :: v_dual_cndmask_b32 v7, v10, v7
	s_delay_alu instid0(VALU_DEP_2) | instskip(NEXT) | instid1(VALU_DEP_2)
	v_and_b32_e32 v1, 0x80000000, v3
	v_lshlrev_b32_e32 v0, 21, v0
	s_delay_alu instid0(VALU_DEP_3) | instskip(NEXT) | instid1(VALU_DEP_1)
	v_lshl_add_u32 v3, v7, 23, 0x37800000
	v_or3_b32 v0, v1, v3, v0
	s_delay_alu instid0(VALU_DEP_1) | instskip(NEXT) | instid1(VALU_DEP_1)
	v_trunc_f32_e32 v0, v0
	v_mul_f32_e64 v1, 0x2f800000, |v0|
	s_delay_alu instid0(VALU_DEP_1) | instskip(NEXT) | instid1(VALU_DEP_1)
	v_floor_f32_e32 v1, v1
	v_fma_f32 v3, 0xcf800000, v1, |v0|
	v_ashrrev_i32_e32 v0, 31, v0
	v_cvt_u32_f32_e32 v7, v1
	s_delay_alu instid0(VALU_DEP_3) | instskip(NEXT) | instid1(VALU_DEP_2)
	v_cvt_u32_f32_e32 v3, v3
	v_dual_mov_b32 v1, v0 :: v_dual_bitop2_b32 v11, v7, v0 bitop3:0x14
	s_delay_alu instid0(VALU_DEP_2) | instskip(NEXT) | instid1(VALU_DEP_1)
	v_xor_b32_e32 v10, v3, v0
	v_sub_nc_u64_e32 v[0:1], v[10:11], v[0:1]
.LBB127_1410:
	s_or_b32 exec_lo, exec_lo, s9
	s_mov_b32 s9, 0
	s_branch .LBB127_1416
.LBB127_1411:
	s_mov_b32 s9, -1
                                        ; implicit-def: $vgpr0_vgpr1
	s_branch .LBB127_1422
.LBB127_1412:
	s_and_not1_saveexec_b32 s23, s23
	s_cbranch_execz .LBB127_1398
.LBB127_1413:
	v_cmp_ne_u16_e32 vcc_lo, 0, v3
	s_and_not1_b32 s35, s35, exec_lo
	s_and_b32 s36, vcc_lo, exec_lo
	s_delay_alu instid0(SALU_CYCLE_1)
	s_or_b32 s35, s35, s36
	s_or_b32 exec_lo, exec_lo, s23
	v_mov_b64_e32 v[0:1], 0
	s_and_saveexec_b32 s23, s35
	s_cbranch_execnz .LBB127_1399
	s_branch .LBB127_1400
.LBB127_1414:
	s_mov_b32 s9, -1
                                        ; implicit-def: $vgpr0_vgpr1
	s_branch .LBB127_1419
.LBB127_1415:
	s_mov_b32 s9, -1
                                        ; implicit-def: $vgpr0_vgpr1
.LBB127_1416:
	s_delay_alu instid0(SALU_CYCLE_1)
	s_and_b32 vcc_lo, exec_lo, s9
	s_cbranch_vccz .LBB127_1418
; %bb.1417:
	s_wait_loadcnt 0x0
	global_load_u8 v0, v[14:15], off
	s_wait_loadcnt 0x0
	v_lshlrev_b32_e32 v0, 24, v0
	s_delay_alu instid0(VALU_DEP_1) | instskip(NEXT) | instid1(VALU_DEP_1)
	v_and_b32_e32 v1, 0x7f000000, v0
	v_clz_i32_u32_e32 v3, v1
	v_add_nc_u32_e32 v9, 0x1000000, v1
	v_cmp_ne_u32_e32 vcc_lo, 0, v1
	s_delay_alu instid0(VALU_DEP_3) | instskip(NEXT) | instid1(VALU_DEP_1)
	v_min_u32_e32 v3, 32, v3
	v_sub_nc_u32_e64 v3, v3, 4 clamp
	s_delay_alu instid0(VALU_DEP_1) | instskip(NEXT) | instid1(VALU_DEP_1)
	v_dual_lshlrev_b32 v7, v3, v1 :: v_dual_lshlrev_b32 v3, 23, v3
	v_lshrrev_b32_e32 v7, 4, v7
	s_delay_alu instid0(VALU_DEP_1) | instskip(NEXT) | instid1(VALU_DEP_1)
	v_dual_sub_nc_u32 v3, v7, v3 :: v_dual_ashrrev_i32 v7, 8, v9
	v_add_nc_u32_e32 v3, 0x3c000000, v3
	s_delay_alu instid0(VALU_DEP_1) | instskip(NEXT) | instid1(VALU_DEP_1)
	v_and_or_b32 v3, 0x7f800000, v7, v3
	v_cndmask_b32_e32 v1, 0, v3, vcc_lo
	s_delay_alu instid0(VALU_DEP_1) | instskip(NEXT) | instid1(VALU_DEP_1)
	v_and_or_b32 v0, 0x80000000, v0, v1
	v_trunc_f32_e32 v0, v0
	s_delay_alu instid0(VALU_DEP_1) | instskip(NEXT) | instid1(VALU_DEP_1)
	v_mul_f32_e64 v1, 0x2f800000, |v0|
	v_floor_f32_e32 v1, v1
	s_delay_alu instid0(VALU_DEP_1) | instskip(SKIP_2) | instid1(VALU_DEP_3)
	v_fma_f32 v3, 0xcf800000, v1, |v0|
	v_ashrrev_i32_e32 v0, 31, v0
	v_cvt_u32_f32_e32 v7, v1
	v_cvt_u32_f32_e32 v3, v3
	s_delay_alu instid0(VALU_DEP_2) | instskip(NEXT) | instid1(VALU_DEP_2)
	v_dual_mov_b32 v1, v0 :: v_dual_bitop2_b32 v11, v7, v0 bitop3:0x14
	v_xor_b32_e32 v10, v3, v0
	s_delay_alu instid0(VALU_DEP_1)
	v_sub_nc_u64_e32 v[0:1], v[10:11], v[0:1]
.LBB127_1418:
	s_mov_b32 s9, 0
.LBB127_1419:
	s_delay_alu instid0(SALU_CYCLE_1)
	s_and_not1_b32 vcc_lo, exec_lo, s9
	s_cbranch_vccnz .LBB127_1421
; %bb.1420:
	s_wait_loadcnt 0x0
	global_load_u8 v0, v[14:15], off
	s_wait_loadcnt 0x0
	v_lshlrev_b32_e32 v1, 25, v0
	v_lshlrev_b16 v0, 8, v0
	s_delay_alu instid0(VALU_DEP_1) | instskip(SKIP_1) | instid1(VALU_DEP_2)
	v_and_or_b32 v7, 0x7f00, v0, 0.5
	v_bfe_i32 v0, v0, 0, 16
	v_dual_add_f32 v7, -0.5, v7 :: v_dual_lshrrev_b32 v3, 4, v1
	v_cmp_gt_u32_e32 vcc_lo, 0x8000000, v1
	s_delay_alu instid0(VALU_DEP_2) | instskip(NEXT) | instid1(VALU_DEP_1)
	v_or_b32_e32 v3, 0x70000000, v3
	v_mul_f32_e32 v3, 0x7800000, v3
	s_delay_alu instid0(VALU_DEP_1) | instskip(NEXT) | instid1(VALU_DEP_1)
	v_cndmask_b32_e32 v1, v3, v7, vcc_lo
	v_and_or_b32 v0, 0x80000000, v0, v1
	s_delay_alu instid0(VALU_DEP_1) | instskip(NEXT) | instid1(VALU_DEP_1)
	v_trunc_f32_e32 v0, v0
	v_mul_f32_e64 v1, 0x2f800000, |v0|
	s_delay_alu instid0(VALU_DEP_1) | instskip(NEXT) | instid1(VALU_DEP_1)
	v_floor_f32_e32 v1, v1
	v_fma_f32 v3, 0xcf800000, v1, |v0|
	v_ashrrev_i32_e32 v0, 31, v0
	v_cvt_u32_f32_e32 v7, v1
	s_delay_alu instid0(VALU_DEP_3) | instskip(NEXT) | instid1(VALU_DEP_2)
	v_cvt_u32_f32_e32 v3, v3
	v_dual_mov_b32 v1, v0 :: v_dual_bitop2_b32 v11, v7, v0 bitop3:0x14
	s_delay_alu instid0(VALU_DEP_2) | instskip(NEXT) | instid1(VALU_DEP_1)
	v_xor_b32_e32 v10, v3, v0
	v_sub_nc_u64_e32 v[0:1], v[10:11], v[0:1]
.LBB127_1421:
	s_mov_b32 s9, 0
	s_mov_b32 s23, -1
.LBB127_1422:
	s_and_not1_b32 vcc_lo, exec_lo, s9
	s_mov_b32 s9, 0
	s_cbranch_vccnz .LBB127_1433
; %bb.1423:
	s_cmp_gt_i32 s7, 14
	s_cbranch_scc0 .LBB127_1426
; %bb.1424:
	s_cmp_eq_u32 s7, 15
	s_cbranch_scc0 .LBB127_1429
; %bb.1425:
	s_wait_loadcnt 0x0
	global_load_u16 v0, v[14:15], off
	s_mov_b32 s8, 0
	s_mov_b32 s23, -1
	s_wait_loadcnt 0x0
	v_lshlrev_b32_e32 v0, 16, v0
	s_delay_alu instid0(VALU_DEP_1) | instskip(NEXT) | instid1(VALU_DEP_1)
	v_trunc_f32_e32 v0, v0
	v_mul_f32_e64 v1, 0x2f800000, |v0|
	s_delay_alu instid0(VALU_DEP_1) | instskip(NEXT) | instid1(VALU_DEP_1)
	v_floor_f32_e32 v1, v1
	v_fma_f32 v3, 0xcf800000, v1, |v0|
	v_ashrrev_i32_e32 v0, 31, v0
	v_cvt_u32_f32_e32 v7, v1
	s_delay_alu instid0(VALU_DEP_3) | instskip(NEXT) | instid1(VALU_DEP_2)
	v_cvt_u32_f32_e32 v3, v3
	v_dual_mov_b32 v1, v0 :: v_dual_bitop2_b32 v11, v7, v0 bitop3:0x14
	s_delay_alu instid0(VALU_DEP_2) | instskip(NEXT) | instid1(VALU_DEP_1)
	v_xor_b32_e32 v10, v3, v0
	v_sub_nc_u64_e32 v[0:1], v[10:11], v[0:1]
	s_branch .LBB127_1431
.LBB127_1426:
	s_mov_b32 s9, -1
	s_branch .LBB127_1430
.LBB127_1427:
	s_and_not1_saveexec_b32 s9, s9
	s_cbranch_execz .LBB127_1408
.LBB127_1428:
	v_cmp_ne_u16_e32 vcc_lo, 0, v3
	s_and_not1_b32 s23, s23, exec_lo
	s_and_b32 s35, vcc_lo, exec_lo
	s_delay_alu instid0(SALU_CYCLE_1)
	s_or_b32 s23, s23, s35
	s_or_b32 exec_lo, exec_lo, s9
	v_mov_b64_e32 v[0:1], 0
	s_and_saveexec_b32 s9, s23
	s_cbranch_execnz .LBB127_1409
	s_branch .LBB127_1410
.LBB127_1429:
	s_mov_b32 s8, -1
.LBB127_1430:
                                        ; implicit-def: $vgpr0_vgpr1
.LBB127_1431:
	s_and_b32 vcc_lo, exec_lo, s9
	s_mov_b32 s9, 0
	s_cbranch_vccz .LBB127_1433
; %bb.1432:
	s_cmp_lg_u32 s7, 11
	s_mov_b32 s9, -1
	s_cselect_b32 s7, -1, 0
	s_and_not1_b32 s8, s8, exec_lo
	s_and_b32 s7, s7, exec_lo
	s_delay_alu instid0(SALU_CYCLE_1)
	s_or_b32 s8, s8, s7
.LBB127_1433:
	s_mov_b32 s35, 0
.LBB127_1434:
	s_and_b32 s7, s23, exec_lo
	s_and_not1_b32 s23, s91, exec_lo
	s_and_b32 s8, s8, exec_lo
	s_and_b32 s35, s35, exec_lo
	;; [unrolled: 1-line block ×3, first 2 shown]
	s_or_b32 s91, s23, s8
	s_wait_xcnt 0x0
	s_or_b32 exec_lo, exec_lo, s6
	s_and_saveexec_b32 s6, s91
	s_cbranch_execz .LBB127_1367
.LBB127_1435:
	s_or_b32 s1, s1, exec_lo
	s_and_not1_b32 s36, s36, exec_lo
	s_trap 2
	s_or_b32 exec_lo, exec_lo, s6
	s_and_saveexec_b32 s6, s36
	s_delay_alu instid0(SALU_CYCLE_1)
	s_xor_b32 s6, exec_lo, s6
	s_cbranch_execnz .LBB127_1368
.LBB127_1436:
	s_or_b32 exec_lo, exec_lo, s6
	s_and_saveexec_b32 s6, s35
	s_cbranch_execz .LBB127_1482
.LBB127_1437:
	s_sext_i32_i16 s8, s0
	s_delay_alu instid0(SALU_CYCLE_1)
	s_cmp_lt_i32 s8, 5
	s_cbranch_scc1 .LBB127_1442
; %bb.1438:
	s_cmp_lt_i32 s8, 8
	s_cbranch_scc1 .LBB127_1443
; %bb.1439:
	;; [unrolled: 3-line block ×3, first 2 shown]
	s_cmp_gt_i32 s8, 9
	s_cbranch_scc0 .LBB127_1445
; %bb.1441:
	s_wait_loadcnt 0x0
	global_load_b64 v[0:1], v[14:15], off
	s_mov_b32 s8, 0
	s_wait_loadcnt 0x0
	v_trunc_f64_e32 v[0:1], v[0:1]
	s_delay_alu instid0(VALU_DEP_1) | instskip(NEXT) | instid1(VALU_DEP_1)
	v_ldexp_f64 v[10:11], v[0:1], 0xffffffe0
	v_floor_f64_e32 v[10:11], v[10:11]
	s_delay_alu instid0(VALU_DEP_1) | instskip(SKIP_1) | instid1(VALU_DEP_2)
	v_fmamk_f64 v[16:17], v[10:11], 0xc1f00000, v[0:1]
	v_cvt_i32_f64_e32 v1, v[10:11]
	v_cvt_u32_f64_e32 v0, v[16:17]
	s_branch .LBB127_1446
.LBB127_1442:
                                        ; implicit-def: $vgpr0_vgpr1
	s_branch .LBB127_1463
.LBB127_1443:
                                        ; implicit-def: $vgpr0_vgpr1
	s_branch .LBB127_1452
.LBB127_1444:
	s_mov_b32 s8, -1
                                        ; implicit-def: $vgpr0_vgpr1
	s_branch .LBB127_1449
.LBB127_1445:
	s_mov_b32 s8, -1
                                        ; implicit-def: $vgpr0_vgpr1
.LBB127_1446:
	s_delay_alu instid0(SALU_CYCLE_1)
	s_and_not1_b32 vcc_lo, exec_lo, s8
	s_cbranch_vccnz .LBB127_1448
; %bb.1447:
	s_wait_loadcnt 0x0
	global_load_b32 v0, v[14:15], off
	s_wait_loadcnt 0x0
	v_trunc_f32_e32 v0, v0
	s_delay_alu instid0(VALU_DEP_1) | instskip(NEXT) | instid1(VALU_DEP_1)
	v_mul_f32_e64 v1, 0x2f800000, |v0|
	v_floor_f32_e32 v1, v1
	s_delay_alu instid0(VALU_DEP_1) | instskip(SKIP_2) | instid1(VALU_DEP_3)
	v_fma_f32 v3, 0xcf800000, v1, |v0|
	v_ashrrev_i32_e32 v0, 31, v0
	v_cvt_u32_f32_e32 v7, v1
	v_cvt_u32_f32_e32 v3, v3
	s_delay_alu instid0(VALU_DEP_2) | instskip(NEXT) | instid1(VALU_DEP_2)
	v_dual_mov_b32 v1, v0 :: v_dual_bitop2_b32 v11, v7, v0 bitop3:0x14
	v_xor_b32_e32 v10, v3, v0
	s_delay_alu instid0(VALU_DEP_1)
	v_sub_nc_u64_e32 v[0:1], v[10:11], v[0:1]
.LBB127_1448:
	s_mov_b32 s8, 0
.LBB127_1449:
	s_delay_alu instid0(SALU_CYCLE_1)
	s_and_not1_b32 vcc_lo, exec_lo, s8
	s_cbranch_vccnz .LBB127_1451
; %bb.1450:
	s_wait_loadcnt 0x0
	global_load_b32 v0, v[14:15], off
	s_wait_loadcnt 0x0
	v_cvt_f32_f16_e32 v0, v0
	s_delay_alu instid0(VALU_DEP_1) | instskip(NEXT) | instid1(VALU_DEP_1)
	v_cvt_i32_f32_e32 v0, v0
	v_ashrrev_i32_e32 v1, 31, v0
.LBB127_1451:
	s_cbranch_execnz .LBB127_1462
.LBB127_1452:
	s_sext_i32_i16 s8, s0
	s_delay_alu instid0(SALU_CYCLE_1)
	s_cmp_lt_i32 s8, 6
	s_cbranch_scc1 .LBB127_1455
; %bb.1453:
	s_cmp_gt_i32 s8, 6
	s_cbranch_scc0 .LBB127_1456
; %bb.1454:
	s_wait_loadcnt 0x0
	global_load_b64 v[0:1], v[14:15], off
	s_mov_b32 s8, 0
	s_wait_loadcnt 0x0
	v_trunc_f64_e32 v[0:1], v[0:1]
	s_delay_alu instid0(VALU_DEP_1) | instskip(NEXT) | instid1(VALU_DEP_1)
	v_ldexp_f64 v[10:11], v[0:1], 0xffffffe0
	v_floor_f64_e32 v[10:11], v[10:11]
	s_delay_alu instid0(VALU_DEP_1) | instskip(SKIP_1) | instid1(VALU_DEP_2)
	v_fmamk_f64 v[16:17], v[10:11], 0xc1f00000, v[0:1]
	v_cvt_i32_f64_e32 v1, v[10:11]
	v_cvt_u32_f64_e32 v0, v[16:17]
	s_branch .LBB127_1457
.LBB127_1455:
	s_mov_b32 s8, -1
                                        ; implicit-def: $vgpr0_vgpr1
	s_branch .LBB127_1460
.LBB127_1456:
	s_mov_b32 s8, -1
                                        ; implicit-def: $vgpr0_vgpr1
.LBB127_1457:
	s_delay_alu instid0(SALU_CYCLE_1)
	s_and_not1_b32 vcc_lo, exec_lo, s8
	s_cbranch_vccnz .LBB127_1459
; %bb.1458:
	s_wait_loadcnt 0x0
	global_load_b32 v0, v[14:15], off
	s_wait_loadcnt 0x0
	v_trunc_f32_e32 v0, v0
	s_delay_alu instid0(VALU_DEP_1) | instskip(NEXT) | instid1(VALU_DEP_1)
	v_mul_f32_e64 v1, 0x2f800000, |v0|
	v_floor_f32_e32 v1, v1
	s_delay_alu instid0(VALU_DEP_1) | instskip(SKIP_2) | instid1(VALU_DEP_3)
	v_fma_f32 v3, 0xcf800000, v1, |v0|
	v_ashrrev_i32_e32 v0, 31, v0
	v_cvt_u32_f32_e32 v7, v1
	v_cvt_u32_f32_e32 v3, v3
	s_delay_alu instid0(VALU_DEP_2) | instskip(NEXT) | instid1(VALU_DEP_2)
	v_dual_mov_b32 v1, v0 :: v_dual_bitop2_b32 v11, v7, v0 bitop3:0x14
	v_xor_b32_e32 v10, v3, v0
	s_delay_alu instid0(VALU_DEP_1)
	v_sub_nc_u64_e32 v[0:1], v[10:11], v[0:1]
.LBB127_1459:
	s_mov_b32 s8, 0
.LBB127_1460:
	s_delay_alu instid0(SALU_CYCLE_1)
	s_and_not1_b32 vcc_lo, exec_lo, s8
	s_cbranch_vccnz .LBB127_1462
; %bb.1461:
	s_wait_loadcnt 0x0
	global_load_u16 v0, v[14:15], off
	s_wait_loadcnt 0x0
	v_cvt_f32_f16_e32 v0, v0
	s_delay_alu instid0(VALU_DEP_1) | instskip(NEXT) | instid1(VALU_DEP_1)
	v_cvt_i32_f32_e32 v0, v0
	v_ashrrev_i32_e32 v1, 31, v0
.LBB127_1462:
	s_cbranch_execnz .LBB127_1481
.LBB127_1463:
	s_sext_i32_i16 s8, s0
	s_delay_alu instid0(SALU_CYCLE_1)
	s_cmp_lt_i32 s8, 2
	s_cbranch_scc1 .LBB127_1467
; %bb.1464:
	s_cmp_lt_i32 s8, 3
	s_cbranch_scc1 .LBB127_1468
; %bb.1465:
	s_cmp_gt_i32 s8, 3
	s_cbranch_scc0 .LBB127_1469
; %bb.1466:
	s_wait_loadcnt 0x0
	global_load_b64 v[0:1], v[14:15], off
	s_mov_b32 s8, 0
	s_branch .LBB127_1470
.LBB127_1467:
                                        ; implicit-def: $vgpr0_vgpr1
	s_branch .LBB127_1476
.LBB127_1468:
	s_mov_b32 s8, -1
                                        ; implicit-def: $vgpr0_vgpr1
	s_branch .LBB127_1473
.LBB127_1469:
	s_mov_b32 s8, -1
                                        ; implicit-def: $vgpr0_vgpr1
.LBB127_1470:
	s_delay_alu instid0(SALU_CYCLE_1)
	s_and_not1_b32 vcc_lo, exec_lo, s8
	s_cbranch_vccnz .LBB127_1472
; %bb.1471:
	s_wait_loadcnt 0x0
	global_load_b32 v0, v[14:15], off
	s_wait_loadcnt 0x0
	v_ashrrev_i32_e32 v1, 31, v0
.LBB127_1472:
	s_mov_b32 s8, 0
.LBB127_1473:
	s_delay_alu instid0(SALU_CYCLE_1)
	s_and_not1_b32 vcc_lo, exec_lo, s8
	s_cbranch_vccnz .LBB127_1475
; %bb.1474:
	s_wait_loadcnt 0x0
	global_load_u16 v0, v[14:15], off
	s_wait_loadcnt 0x0
	v_bfe_i32 v0, v0, 0, 16
	s_delay_alu instid0(VALU_DEP_1)
	v_ashrrev_i32_e32 v1, 31, v0
.LBB127_1475:
	s_cbranch_execnz .LBB127_1481
.LBB127_1476:
	s_sext_i32_i16 s0, s0
	s_delay_alu instid0(SALU_CYCLE_1)
	s_cmp_gt_i32 s0, 0
	s_mov_b32 s0, 0
	s_cbranch_scc0 .LBB127_1478
; %bb.1477:
	s_wait_loadcnt 0x0
	global_load_i8 v0, v[14:15], off
	s_wait_loadcnt 0x0
	v_bfe_i32 v0, v0, 0, 16
	s_delay_alu instid0(VALU_DEP_1)
	v_ashrrev_i32_e32 v1, 31, v0
	s_branch .LBB127_1479
.LBB127_1478:
	s_mov_b32 s0, -1
                                        ; implicit-def: $vgpr0_vgpr1
.LBB127_1479:
	s_delay_alu instid0(SALU_CYCLE_1)
	s_and_not1_b32 vcc_lo, exec_lo, s0
	s_cbranch_vccnz .LBB127_1481
; %bb.1480:
	s_wait_loadcnt 0x0
	global_load_u8 v0, v[14:15], off
	s_mov_b32 s0, 0
	s_delay_alu instid0(SALU_CYCLE_1)
	v_mov_b32_e32 v1, s0
	s_wait_loadcnt 0x0
	v_and_b32_e32 v0, 0xffff, v0
.LBB127_1481:
	s_or_b32 s7, s7, exec_lo
.LBB127_1482:
	s_wait_xcnt 0x0
	s_or_b32 exec_lo, exec_lo, s6
	s_mov_b32 s8, 0
	s_mov_b32 s23, 0
	;; [unrolled: 1-line block ×3, first 2 shown]
                                        ; implicit-def: $sgpr0
                                        ; implicit-def: $vgpr14_vgpr15
                                        ; implicit-def: $vgpr10_vgpr11
	s_and_saveexec_b32 s6, s7
	s_cbranch_execz .LBB127_1490
; %bb.1483:
	s_load_b512 s[36:51], s[2:3], 0x248
	s_wait_loadcnt 0x0
	v_mov_b32_e32 v13, 0
	s_and_b32 s0, s80, 0xff
	s_delay_alu instid0(SALU_CYCLE_1) | instskip(SKIP_1) | instid1(VALU_DEP_1)
	s_cmp_lt_i32 s0, 11
	s_wait_kmcnt 0x0
	v_add_nc_u64_e32 v[14:15], s[42:43], v[12:13]
	s_cbranch_scc1 .LBB127_1493
; %bb.1484:
	s_and_b32 s7, 0xffff, s0
	s_mov_b32 s10, 0
	s_cmp_gt_i32 s7, 25
	s_cbranch_scc0 .LBB127_1494
; %bb.1485:
	s_cmp_gt_i32 s7, 28
	s_cbranch_scc0 .LBB127_1495
; %bb.1486:
	;; [unrolled: 3-line block ×4, first 2 shown]
	s_cmp_eq_u32 s7, 46
	s_mov_b32 s11, 0
	s_cbranch_scc0 .LBB127_1498
; %bb.1489:
	global_load_b32 v3, v[14:15], off
	s_mov_b32 s9, -1
	s_wait_loadcnt 0x0
	v_lshlrev_b32_e32 v3, 16, v3
	s_delay_alu instid0(VALU_DEP_1) | instskip(NEXT) | instid1(VALU_DEP_1)
	v_trunc_f32_e32 v3, v3
	v_mul_f32_e64 v7, 0x2f800000, |v3|
	v_ashrrev_i32_e32 v10, 31, v3
	s_delay_alu instid0(VALU_DEP_2) | instskip(NEXT) | instid1(VALU_DEP_2)
	v_floor_f32_e32 v7, v7
	v_mov_b32_e32 v11, v10
	s_delay_alu instid0(VALU_DEP_2) | instskip(SKIP_1) | instid1(VALU_DEP_2)
	v_fma_f32 v9, 0xcf800000, v7, |v3|
	v_cvt_u32_f32_e32 v3, v7
	v_cvt_u32_f32_e32 v7, v9
	s_delay_alu instid0(VALU_DEP_2) | instskip(NEXT) | instid1(VALU_DEP_2)
	v_xor_b32_e32 v13, v3, v10
	v_xor_b32_e32 v12, v7, v10
	s_delay_alu instid0(VALU_DEP_1)
	v_sub_nc_u64_e32 v[10:11], v[12:13], v[10:11]
	s_branch .LBB127_1500
.LBB127_1490:
	s_or_b32 exec_lo, exec_lo, s6
	s_and_saveexec_b32 s6, s90
	s_cbranch_execnz .LBB127_1559
.LBB127_1491:
	s_or_b32 exec_lo, exec_lo, s6
	s_and_saveexec_b32 s6, s8
	s_delay_alu instid0(SALU_CYCLE_1)
	s_xor_b32 s6, exec_lo, s6
	s_cbranch_execz .LBB127_1560
.LBB127_1492:
	s_wait_loadcnt 0x0
	global_load_u8 v3, v[14:15], off
	s_mov_b32 s7, 0
	s_or_b32 s9, s9, exec_lo
	v_mov_b32_e32 v11, s7
	s_wait_loadcnt 0x0
	v_cmp_ne_u16_e32 vcc_lo, 0, v3
	v_cndmask_b32_e64 v10, 0, 1, vcc_lo
	s_wait_xcnt 0x0
	s_or_b32 exec_lo, exec_lo, s6
	s_and_saveexec_b32 s6, s23
	s_cbranch_execz .LBB127_1606
	s_branch .LBB127_1561
.LBB127_1493:
	s_mov_b32 s7, -1
	s_mov_b32 s10, 0
	s_mov_b32 s8, s90
                                        ; implicit-def: $vgpr10_vgpr11
	s_branch .LBB127_1558
.LBB127_1494:
	s_mov_b32 s8, s90
                                        ; implicit-def: $vgpr10_vgpr11
	s_cbranch_execnz .LBB127_1527
	s_branch .LBB127_1557
.LBB127_1495:
	s_mov_b32 s11, -1
	s_mov_b32 s8, s90
                                        ; implicit-def: $vgpr10_vgpr11
	s_branch .LBB127_1510
.LBB127_1496:
	s_mov_b32 s11, -1
	s_mov_b32 s8, s90
                                        ; implicit-def: $vgpr10_vgpr11
	s_branch .LBB127_1505
.LBB127_1497:
	s_mov_b32 s11, -1
	s_mov_b32 s8, s90
	s_branch .LBB127_1499
.LBB127_1498:
	s_mov_b32 s8, -1
.LBB127_1499:
                                        ; implicit-def: $vgpr10_vgpr11
.LBB127_1500:
	s_and_b32 vcc_lo, exec_lo, s11
	s_cbranch_vccz .LBB127_1504
; %bb.1501:
	s_cmp_eq_u32 s7, 44
	s_cbranch_scc0 .LBB127_1503
; %bb.1502:
	global_load_u8 v3, v[14:15], off
	s_mov_b32 s8, 0
	s_mov_b32 s9, -1
	s_wait_loadcnt 0x0
	v_lshlrev_b32_e32 v7, 23, v3
	v_cmp_ne_u32_e32 vcc_lo, 0, v3
	s_delay_alu instid0(VALU_DEP_2) | instskip(NEXT) | instid1(VALU_DEP_1)
	v_trunc_f32_e32 v7, v7
	v_mul_f32_e64 v9, 0x2f800000, |v7|
	v_ashrrev_i32_e32 v10, 31, v7
	s_delay_alu instid0(VALU_DEP_2) | instskip(NEXT) | instid1(VALU_DEP_1)
	v_floor_f32_e32 v9, v9
	v_fma_f32 v11, 0xcf800000, v9, |v7|
	v_cvt_u32_f32_e32 v7, v9
	s_delay_alu instid0(VALU_DEP_2) | instskip(NEXT) | instid1(VALU_DEP_2)
	v_cvt_u32_f32_e32 v9, v11
	v_dual_mov_b32 v11, v10 :: v_dual_bitop2_b32 v13, v7, v10 bitop3:0x14
	s_delay_alu instid0(VALU_DEP_2) | instskip(NEXT) | instid1(VALU_DEP_1)
	v_xor_b32_e32 v12, v9, v10
	v_sub_nc_u64_e32 v[10:11], v[12:13], v[10:11]
	s_delay_alu instid0(VALU_DEP_1)
	v_dual_cndmask_b32 v11, 0, v11 :: v_dual_cndmask_b32 v10, 0, v10
	s_branch .LBB127_1504
.LBB127_1503:
	s_mov_b32 s8, -1
                                        ; implicit-def: $vgpr10_vgpr11
.LBB127_1504:
	s_mov_b32 s11, 0
.LBB127_1505:
	s_delay_alu instid0(SALU_CYCLE_1)
	s_and_b32 vcc_lo, exec_lo, s11
	s_cbranch_vccz .LBB127_1509
; %bb.1506:
	s_cmp_eq_u32 s7, 29
	s_cbranch_scc0 .LBB127_1508
; %bb.1507:
	global_load_b64 v[10:11], v[14:15], off
	s_mov_b32 s8, 0
	s_mov_b32 s9, -1
	s_branch .LBB127_1509
.LBB127_1508:
	s_mov_b32 s8, -1
                                        ; implicit-def: $vgpr10_vgpr11
.LBB127_1509:
	s_mov_b32 s11, 0
.LBB127_1510:
	s_delay_alu instid0(SALU_CYCLE_1)
	s_and_b32 vcc_lo, exec_lo, s11
	s_cbranch_vccz .LBB127_1526
; %bb.1511:
	s_cmp_lt_i32 s7, 27
	s_cbranch_scc1 .LBB127_1514
; %bb.1512:
	s_cmp_gt_i32 s7, 27
	s_cbranch_scc0 .LBB127_1515
; %bb.1513:
	s_wait_loadcnt 0x0
	global_load_b32 v10, v[14:15], off
	v_mov_b32_e32 v11, 0
	s_mov_b32 s9, 0
	s_branch .LBB127_1516
.LBB127_1514:
	s_mov_b32 s9, -1
                                        ; implicit-def: $vgpr10_vgpr11
	s_branch .LBB127_1519
.LBB127_1515:
	s_mov_b32 s9, -1
                                        ; implicit-def: $vgpr10_vgpr11
.LBB127_1516:
	s_delay_alu instid0(SALU_CYCLE_1)
	s_and_not1_b32 vcc_lo, exec_lo, s9
	s_cbranch_vccnz .LBB127_1518
; %bb.1517:
	global_load_u16 v3, v[14:15], off
	s_mov_b32 s9, 0
	s_wait_loadcnt 0x1
	v_mov_b32_e32 v11, s9
	s_wait_loadcnt 0x0
	v_and_b32_e32 v10, 0xffff, v3
.LBB127_1518:
	s_mov_b32 s9, 0
.LBB127_1519:
	s_delay_alu instid0(SALU_CYCLE_1)
	s_and_not1_b32 vcc_lo, exec_lo, s9
	s_cbranch_vccnz .LBB127_1525
; %bb.1520:
	global_load_u8 v3, v[14:15], off
	s_mov_b32 s11, 0
	s_mov_b32 s9, exec_lo
	s_wait_loadcnt 0x0
	v_cmpx_lt_i16_e32 0x7f, v3
	s_xor_b32 s9, exec_lo, s9
	s_cbranch_execz .LBB127_1536
; %bb.1521:
	v_cmp_ne_u16_e32 vcc_lo, 0x80, v3
	s_and_b32 s11, vcc_lo, exec_lo
	s_and_not1_saveexec_b32 s9, s9
	s_cbranch_execnz .LBB127_1537
.LBB127_1522:
	s_or_b32 exec_lo, exec_lo, s9
	v_mov_b64_e32 v[10:11], 0
	s_and_saveexec_b32 s9, s11
	s_cbranch_execz .LBB127_1524
.LBB127_1523:
	v_and_b32_e32 v7, 0xffff, v3
	s_delay_alu instid0(VALU_DEP_1) | instskip(SKIP_1) | instid1(VALU_DEP_2)
	v_and_b32_e32 v9, 7, v7
	v_bfe_u32 v12, v7, 3, 4
	v_clz_i32_u32_e32 v10, v9
	s_delay_alu instid0(VALU_DEP_2) | instskip(NEXT) | instid1(VALU_DEP_2)
	v_cmp_eq_u32_e32 vcc_lo, 0, v12
	v_min_u32_e32 v10, 32, v10
	s_delay_alu instid0(VALU_DEP_1) | instskip(NEXT) | instid1(VALU_DEP_1)
	v_subrev_nc_u32_e32 v11, 28, v10
	v_dual_lshlrev_b32 v7, v11, v7 :: v_dual_sub_nc_u32 v10, 29, v10
	s_delay_alu instid0(VALU_DEP_1) | instskip(NEXT) | instid1(VALU_DEP_2)
	v_and_b32_e32 v7, 7, v7
	v_dual_cndmask_b32 v10, v12, v10 :: v_dual_lshlrev_b32 v3, 24, v3
	s_delay_alu instid0(VALU_DEP_2) | instskip(NEXT) | instid1(VALU_DEP_2)
	v_cndmask_b32_e32 v7, v9, v7, vcc_lo
	v_and_b32_e32 v3, 0x80000000, v3
	s_delay_alu instid0(VALU_DEP_3) | instskip(NEXT) | instid1(VALU_DEP_3)
	v_lshl_add_u32 v9, v10, 23, 0x3b800000
	v_lshlrev_b32_e32 v7, 20, v7
	s_delay_alu instid0(VALU_DEP_1) | instskip(NEXT) | instid1(VALU_DEP_1)
	v_or3_b32 v3, v3, v9, v7
	v_trunc_f32_e32 v3, v3
	s_delay_alu instid0(VALU_DEP_1) | instskip(SKIP_1) | instid1(VALU_DEP_2)
	v_mul_f32_e64 v7, 0x2f800000, |v3|
	v_ashrrev_i32_e32 v10, 31, v3
	v_floor_f32_e32 v7, v7
	s_delay_alu instid0(VALU_DEP_2) | instskip(NEXT) | instid1(VALU_DEP_2)
	v_mov_b32_e32 v11, v10
	v_fma_f32 v9, 0xcf800000, v7, |v3|
	v_cvt_u32_f32_e32 v3, v7
	s_delay_alu instid0(VALU_DEP_2) | instskip(NEXT) | instid1(VALU_DEP_2)
	v_cvt_u32_f32_e32 v7, v9
	v_xor_b32_e32 v13, v3, v10
	s_delay_alu instid0(VALU_DEP_2) | instskip(NEXT) | instid1(VALU_DEP_1)
	v_xor_b32_e32 v12, v7, v10
	v_sub_nc_u64_e32 v[10:11], v[12:13], v[10:11]
.LBB127_1524:
	s_or_b32 exec_lo, exec_lo, s9
.LBB127_1525:
	s_mov_b32 s9, -1
.LBB127_1526:
	s_branch .LBB127_1557
.LBB127_1527:
	s_cmp_gt_i32 s7, 22
	s_cbranch_scc0 .LBB127_1535
; %bb.1528:
	s_cmp_lt_i32 s7, 24
	s_cbranch_scc1 .LBB127_1538
; %bb.1529:
	s_cmp_gt_i32 s7, 24
	s_cbranch_scc0 .LBB127_1539
; %bb.1530:
	global_load_u8 v3, v[14:15], off
	s_mov_b32 s9, exec_lo
	s_wait_loadcnt 0x0
	v_cmpx_lt_i16_e32 0x7f, v3
	s_xor_b32 s9, exec_lo, s9
	s_cbranch_execz .LBB127_1551
; %bb.1531:
	v_cmp_ne_u16_e32 vcc_lo, 0x80, v3
	s_and_b32 s10, vcc_lo, exec_lo
	s_and_not1_saveexec_b32 s9, s9
	s_cbranch_execnz .LBB127_1552
.LBB127_1532:
	s_or_b32 exec_lo, exec_lo, s9
	v_mov_b64_e32 v[10:11], 0
	s_and_saveexec_b32 s9, s10
	s_cbranch_execz .LBB127_1534
.LBB127_1533:
	v_and_b32_e32 v7, 0xffff, v3
	s_delay_alu instid0(VALU_DEP_1) | instskip(SKIP_1) | instid1(VALU_DEP_2)
	v_and_b32_e32 v9, 3, v7
	v_bfe_u32 v12, v7, 2, 5
	v_clz_i32_u32_e32 v10, v9
	s_delay_alu instid0(VALU_DEP_2) | instskip(NEXT) | instid1(VALU_DEP_2)
	v_cmp_eq_u32_e32 vcc_lo, 0, v12
	v_min_u32_e32 v10, 32, v10
	s_delay_alu instid0(VALU_DEP_1) | instskip(NEXT) | instid1(VALU_DEP_1)
	v_subrev_nc_u32_e32 v11, 29, v10
	v_dual_lshlrev_b32 v7, v11, v7 :: v_dual_sub_nc_u32 v10, 30, v10
	s_delay_alu instid0(VALU_DEP_1) | instskip(NEXT) | instid1(VALU_DEP_2)
	v_and_b32_e32 v7, 3, v7
	v_dual_cndmask_b32 v10, v12, v10 :: v_dual_lshlrev_b32 v3, 24, v3
	s_delay_alu instid0(VALU_DEP_2) | instskip(NEXT) | instid1(VALU_DEP_2)
	v_cndmask_b32_e32 v7, v9, v7, vcc_lo
	v_and_b32_e32 v3, 0x80000000, v3
	s_delay_alu instid0(VALU_DEP_3) | instskip(NEXT) | instid1(VALU_DEP_3)
	v_lshl_add_u32 v9, v10, 23, 0x37800000
	v_lshlrev_b32_e32 v7, 21, v7
	s_delay_alu instid0(VALU_DEP_1) | instskip(NEXT) | instid1(VALU_DEP_1)
	v_or3_b32 v3, v3, v9, v7
	v_trunc_f32_e32 v3, v3
	s_delay_alu instid0(VALU_DEP_1) | instskip(SKIP_1) | instid1(VALU_DEP_2)
	v_mul_f32_e64 v7, 0x2f800000, |v3|
	v_ashrrev_i32_e32 v10, 31, v3
	v_floor_f32_e32 v7, v7
	s_delay_alu instid0(VALU_DEP_2) | instskip(NEXT) | instid1(VALU_DEP_2)
	v_mov_b32_e32 v11, v10
	v_fma_f32 v9, 0xcf800000, v7, |v3|
	v_cvt_u32_f32_e32 v3, v7
	s_delay_alu instid0(VALU_DEP_2) | instskip(NEXT) | instid1(VALU_DEP_2)
	v_cvt_u32_f32_e32 v7, v9
	v_xor_b32_e32 v13, v3, v10
	s_delay_alu instid0(VALU_DEP_2) | instskip(NEXT) | instid1(VALU_DEP_1)
	v_xor_b32_e32 v12, v7, v10
	v_sub_nc_u64_e32 v[10:11], v[12:13], v[10:11]
.LBB127_1534:
	s_or_b32 exec_lo, exec_lo, s9
	s_mov_b32 s9, 0
	s_branch .LBB127_1540
.LBB127_1535:
	s_mov_b32 s10, -1
                                        ; implicit-def: $vgpr10_vgpr11
	s_branch .LBB127_1546
.LBB127_1536:
	s_and_not1_saveexec_b32 s9, s9
	s_cbranch_execz .LBB127_1522
.LBB127_1537:
	v_cmp_ne_u16_e32 vcc_lo, 0, v3
	s_and_not1_b32 s11, s11, exec_lo
	s_and_b32 s23, vcc_lo, exec_lo
	s_delay_alu instid0(SALU_CYCLE_1)
	s_or_b32 s11, s11, s23
	s_or_b32 exec_lo, exec_lo, s9
	v_mov_b64_e32 v[10:11], 0
	s_and_saveexec_b32 s9, s11
	s_cbranch_execnz .LBB127_1523
	s_branch .LBB127_1524
.LBB127_1538:
	s_mov_b32 s9, -1
                                        ; implicit-def: $vgpr10_vgpr11
	s_branch .LBB127_1543
.LBB127_1539:
	s_mov_b32 s9, -1
                                        ; implicit-def: $vgpr10_vgpr11
.LBB127_1540:
	s_delay_alu instid0(SALU_CYCLE_1)
	s_and_b32 vcc_lo, exec_lo, s9
	s_cbranch_vccz .LBB127_1542
; %bb.1541:
	global_load_u8 v3, v[14:15], off
	s_wait_loadcnt 0x0
	v_lshlrev_b32_e32 v3, 24, v3
	s_delay_alu instid0(VALU_DEP_1) | instskip(NEXT) | instid1(VALU_DEP_1)
	v_and_b32_e32 v7, 0x7f000000, v3
	v_clz_i32_u32_e32 v9, v7
	v_add_nc_u32_e32 v11, 0x1000000, v7
	v_cmp_ne_u32_e32 vcc_lo, 0, v7
	s_delay_alu instid0(VALU_DEP_3) | instskip(NEXT) | instid1(VALU_DEP_1)
	v_min_u32_e32 v9, 32, v9
	v_sub_nc_u32_e64 v9, v9, 4 clamp
	s_delay_alu instid0(VALU_DEP_1) | instskip(NEXT) | instid1(VALU_DEP_1)
	v_dual_lshlrev_b32 v10, v9, v7 :: v_dual_lshlrev_b32 v9, 23, v9
	v_lshrrev_b32_e32 v10, 4, v10
	s_delay_alu instid0(VALU_DEP_1) | instskip(NEXT) | instid1(VALU_DEP_1)
	v_dual_sub_nc_u32 v9, v10, v9 :: v_dual_ashrrev_i32 v10, 8, v11
	v_add_nc_u32_e32 v9, 0x3c000000, v9
	s_delay_alu instid0(VALU_DEP_1) | instskip(NEXT) | instid1(VALU_DEP_1)
	v_and_or_b32 v9, 0x7f800000, v10, v9
	v_cndmask_b32_e32 v7, 0, v9, vcc_lo
	s_delay_alu instid0(VALU_DEP_1) | instskip(NEXT) | instid1(VALU_DEP_1)
	v_and_or_b32 v3, 0x80000000, v3, v7
	v_trunc_f32_e32 v3, v3
	s_delay_alu instid0(VALU_DEP_1) | instskip(SKIP_1) | instid1(VALU_DEP_2)
	v_mul_f32_e64 v7, 0x2f800000, |v3|
	v_ashrrev_i32_e32 v10, 31, v3
	v_floor_f32_e32 v7, v7
	s_delay_alu instid0(VALU_DEP_1) | instskip(SKIP_1) | instid1(VALU_DEP_4)
	v_fma_f32 v9, 0xcf800000, v7, |v3|
	v_cvt_u32_f32_e32 v3, v7
	v_mov_b32_e32 v11, v10
	s_delay_alu instid0(VALU_DEP_3) | instskip(NEXT) | instid1(VALU_DEP_3)
	v_cvt_u32_f32_e32 v7, v9
	v_xor_b32_e32 v13, v3, v10
	s_delay_alu instid0(VALU_DEP_2) | instskip(NEXT) | instid1(VALU_DEP_1)
	v_xor_b32_e32 v12, v7, v10
	v_sub_nc_u64_e32 v[10:11], v[12:13], v[10:11]
.LBB127_1542:
	s_mov_b32 s9, 0
.LBB127_1543:
	s_delay_alu instid0(SALU_CYCLE_1)
	s_and_not1_b32 vcc_lo, exec_lo, s9
	s_cbranch_vccnz .LBB127_1545
; %bb.1544:
	global_load_u8 v3, v[14:15], off
	s_wait_loadcnt 0x0
	v_lshlrev_b32_e32 v7, 25, v3
	v_lshlrev_b16 v3, 8, v3
	s_delay_alu instid0(VALU_DEP_1) | instskip(SKIP_1) | instid1(VALU_DEP_2)
	v_and_or_b32 v10, 0x7f00, v3, 0.5
	v_bfe_i32 v3, v3, 0, 16
	v_dual_add_f32 v10, -0.5, v10 :: v_dual_lshrrev_b32 v9, 4, v7
	v_cmp_gt_u32_e32 vcc_lo, 0x8000000, v7
	s_delay_alu instid0(VALU_DEP_2) | instskip(NEXT) | instid1(VALU_DEP_1)
	v_or_b32_e32 v9, 0x70000000, v9
	v_mul_f32_e32 v9, 0x7800000, v9
	s_delay_alu instid0(VALU_DEP_1) | instskip(NEXT) | instid1(VALU_DEP_1)
	v_cndmask_b32_e32 v7, v9, v10, vcc_lo
	v_and_or_b32 v3, 0x80000000, v3, v7
	s_delay_alu instid0(VALU_DEP_1) | instskip(NEXT) | instid1(VALU_DEP_1)
	v_trunc_f32_e32 v3, v3
	v_mul_f32_e64 v7, 0x2f800000, |v3|
	v_ashrrev_i32_e32 v10, 31, v3
	s_delay_alu instid0(VALU_DEP_2) | instskip(NEXT) | instid1(VALU_DEP_2)
	v_floor_f32_e32 v7, v7
	v_mov_b32_e32 v11, v10
	s_delay_alu instid0(VALU_DEP_2) | instskip(SKIP_1) | instid1(VALU_DEP_2)
	v_fma_f32 v9, 0xcf800000, v7, |v3|
	v_cvt_u32_f32_e32 v3, v7
	v_cvt_u32_f32_e32 v7, v9
	s_delay_alu instid0(VALU_DEP_2) | instskip(NEXT) | instid1(VALU_DEP_2)
	v_xor_b32_e32 v13, v3, v10
	v_xor_b32_e32 v12, v7, v10
	s_delay_alu instid0(VALU_DEP_1)
	v_sub_nc_u64_e32 v[10:11], v[12:13], v[10:11]
.LBB127_1545:
	s_mov_b32 s10, 0
	s_mov_b32 s9, -1
.LBB127_1546:
	s_and_not1_b32 vcc_lo, exec_lo, s10
	s_mov_b32 s10, 0
	s_cbranch_vccnz .LBB127_1557
; %bb.1547:
	s_cmp_gt_i32 s7, 14
	s_cbranch_scc0 .LBB127_1550
; %bb.1548:
	s_cmp_eq_u32 s7, 15
	s_cbranch_scc0 .LBB127_1553
; %bb.1549:
	global_load_u16 v3, v[14:15], off
	s_mov_b32 s8, 0
	s_mov_b32 s9, -1
	s_wait_loadcnt 0x0
	v_lshlrev_b32_e32 v3, 16, v3
	s_delay_alu instid0(VALU_DEP_1) | instskip(NEXT) | instid1(VALU_DEP_1)
	v_trunc_f32_e32 v3, v3
	v_mul_f32_e64 v7, 0x2f800000, |v3|
	v_ashrrev_i32_e32 v10, 31, v3
	s_delay_alu instid0(VALU_DEP_2) | instskip(NEXT) | instid1(VALU_DEP_2)
	v_floor_f32_e32 v7, v7
	v_mov_b32_e32 v11, v10
	s_delay_alu instid0(VALU_DEP_2) | instskip(SKIP_1) | instid1(VALU_DEP_2)
	v_fma_f32 v9, 0xcf800000, v7, |v3|
	v_cvt_u32_f32_e32 v3, v7
	v_cvt_u32_f32_e32 v7, v9
	s_delay_alu instid0(VALU_DEP_2) | instskip(NEXT) | instid1(VALU_DEP_2)
	v_xor_b32_e32 v13, v3, v10
	v_xor_b32_e32 v12, v7, v10
	s_delay_alu instid0(VALU_DEP_1)
	v_sub_nc_u64_e32 v[10:11], v[12:13], v[10:11]
	s_branch .LBB127_1555
.LBB127_1550:
	s_mov_b32 s10, -1
	s_branch .LBB127_1554
.LBB127_1551:
	s_and_not1_saveexec_b32 s9, s9
	s_cbranch_execz .LBB127_1532
.LBB127_1552:
	v_cmp_ne_u16_e32 vcc_lo, 0, v3
	s_and_not1_b32 s10, s10, exec_lo
	s_and_b32 s11, vcc_lo, exec_lo
	s_delay_alu instid0(SALU_CYCLE_1)
	s_or_b32 s10, s10, s11
	s_or_b32 exec_lo, exec_lo, s9
	v_mov_b64_e32 v[10:11], 0
	s_and_saveexec_b32 s9, s10
	s_cbranch_execnz .LBB127_1533
	s_branch .LBB127_1534
.LBB127_1553:
	s_mov_b32 s8, -1
.LBB127_1554:
                                        ; implicit-def: $vgpr10_vgpr11
.LBB127_1555:
	s_and_b32 vcc_lo, exec_lo, s10
	s_mov_b32 s10, 0
	s_cbranch_vccz .LBB127_1557
; %bb.1556:
	s_cmp_lg_u32 s7, 11
	s_mov_b32 s10, -1
	s_cselect_b32 s7, -1, 0
	s_and_not1_b32 s8, s8, exec_lo
	s_and_b32 s7, s7, exec_lo
	s_delay_alu instid0(SALU_CYCLE_1)
	s_or_b32 s8, s8, s7
.LBB127_1557:
	s_mov_b32 s7, 0
.LBB127_1558:
	s_delay_alu instid0(SALU_CYCLE_1)
	s_and_b32 s23, s7, exec_lo
	s_and_not1_b32 s7, s90, exec_lo
	s_and_b32 s11, s8, exec_lo
	s_and_b32 s9, s9, exec_lo
	;; [unrolled: 1-line block ×3, first 2 shown]
	s_or_b32 s90, s7, s11
	s_wait_xcnt 0x0
	s_or_b32 exec_lo, exec_lo, s6
	s_and_saveexec_b32 s6, s90
	s_cbranch_execz .LBB127_1491
.LBB127_1559:
	s_or_b32 s1, s1, exec_lo
	s_and_not1_b32 s8, s8, exec_lo
	s_trap 2
	s_or_b32 exec_lo, exec_lo, s6
	s_and_saveexec_b32 s6, s8
	s_delay_alu instid0(SALU_CYCLE_1)
	s_xor_b32 s6, exec_lo, s6
	s_cbranch_execnz .LBB127_1492
.LBB127_1560:
	s_or_b32 exec_lo, exec_lo, s6
	s_and_saveexec_b32 s6, s23
	s_cbranch_execz .LBB127_1606
.LBB127_1561:
	s_sext_i32_i16 s7, s0
	s_delay_alu instid0(SALU_CYCLE_1)
	s_cmp_lt_i32 s7, 5
	s_cbranch_scc1 .LBB127_1566
; %bb.1562:
	s_cmp_lt_i32 s7, 8
	s_cbranch_scc1 .LBB127_1567
; %bb.1563:
	;; [unrolled: 3-line block ×3, first 2 shown]
	s_cmp_gt_i32 s7, 9
	s_cbranch_scc0 .LBB127_1569
; %bb.1565:
	s_wait_loadcnt 0x0
	global_load_b64 v[10:11], v[14:15], off
	s_mov_b32 s7, 0
	s_wait_loadcnt 0x0
	v_trunc_f64_e32 v[10:11], v[10:11]
	s_delay_alu instid0(VALU_DEP_1) | instskip(NEXT) | instid1(VALU_DEP_1)
	v_ldexp_f64 v[12:13], v[10:11], 0xffffffe0
	v_floor_f64_e32 v[12:13], v[12:13]
	s_delay_alu instid0(VALU_DEP_1) | instskip(SKIP_1) | instid1(VALU_DEP_2)
	v_fmamk_f64 v[16:17], v[12:13], 0xc1f00000, v[10:11]
	v_cvt_i32_f64_e32 v11, v[12:13]
	v_cvt_u32_f64_e32 v10, v[16:17]
	s_branch .LBB127_1570
.LBB127_1566:
                                        ; implicit-def: $vgpr10_vgpr11
	s_branch .LBB127_1587
.LBB127_1567:
                                        ; implicit-def: $vgpr10_vgpr11
	s_branch .LBB127_1576
.LBB127_1568:
	s_mov_b32 s7, -1
                                        ; implicit-def: $vgpr10_vgpr11
	s_branch .LBB127_1573
.LBB127_1569:
	s_mov_b32 s7, -1
                                        ; implicit-def: $vgpr10_vgpr11
.LBB127_1570:
	s_delay_alu instid0(SALU_CYCLE_1)
	s_and_not1_b32 vcc_lo, exec_lo, s7
	s_cbranch_vccnz .LBB127_1572
; %bb.1571:
	s_wait_loadcnt 0x0
	global_load_b32 v3, v[14:15], off
	s_wait_loadcnt 0x0
	v_trunc_f32_e32 v3, v3
	s_delay_alu instid0(VALU_DEP_1) | instskip(SKIP_1) | instid1(VALU_DEP_2)
	v_mul_f32_e64 v7, 0x2f800000, |v3|
	v_ashrrev_i32_e32 v10, 31, v3
	v_floor_f32_e32 v7, v7
	s_delay_alu instid0(VALU_DEP_1) | instskip(SKIP_1) | instid1(VALU_DEP_4)
	v_fma_f32 v9, 0xcf800000, v7, |v3|
	v_cvt_u32_f32_e32 v3, v7
	v_mov_b32_e32 v11, v10
	s_delay_alu instid0(VALU_DEP_3) | instskip(NEXT) | instid1(VALU_DEP_3)
	v_cvt_u32_f32_e32 v7, v9
	v_xor_b32_e32 v13, v3, v10
	s_delay_alu instid0(VALU_DEP_2) | instskip(NEXT) | instid1(VALU_DEP_1)
	v_xor_b32_e32 v12, v7, v10
	v_sub_nc_u64_e32 v[10:11], v[12:13], v[10:11]
.LBB127_1572:
	s_mov_b32 s7, 0
.LBB127_1573:
	s_delay_alu instid0(SALU_CYCLE_1)
	s_and_not1_b32 vcc_lo, exec_lo, s7
	s_cbranch_vccnz .LBB127_1575
; %bb.1574:
	s_wait_loadcnt 0x0
	global_load_b32 v3, v[14:15], off
	s_wait_loadcnt 0x0
	v_cvt_f32_f16_e32 v3, v3
	s_delay_alu instid0(VALU_DEP_1) | instskip(NEXT) | instid1(VALU_DEP_1)
	v_cvt_i32_f32_e32 v10, v3
	v_ashrrev_i32_e32 v11, 31, v10
.LBB127_1575:
	s_cbranch_execnz .LBB127_1586
.LBB127_1576:
	s_sext_i32_i16 s7, s0
	s_delay_alu instid0(SALU_CYCLE_1)
	s_cmp_lt_i32 s7, 6
	s_cbranch_scc1 .LBB127_1579
; %bb.1577:
	s_cmp_gt_i32 s7, 6
	s_cbranch_scc0 .LBB127_1580
; %bb.1578:
	s_wait_loadcnt 0x0
	global_load_b64 v[10:11], v[14:15], off
	s_mov_b32 s7, 0
	s_wait_loadcnt 0x0
	v_trunc_f64_e32 v[10:11], v[10:11]
	s_delay_alu instid0(VALU_DEP_1) | instskip(NEXT) | instid1(VALU_DEP_1)
	v_ldexp_f64 v[12:13], v[10:11], 0xffffffe0
	v_floor_f64_e32 v[12:13], v[12:13]
	s_delay_alu instid0(VALU_DEP_1) | instskip(SKIP_1) | instid1(VALU_DEP_2)
	v_fmamk_f64 v[16:17], v[12:13], 0xc1f00000, v[10:11]
	v_cvt_i32_f64_e32 v11, v[12:13]
	v_cvt_u32_f64_e32 v10, v[16:17]
	s_branch .LBB127_1581
.LBB127_1579:
	s_mov_b32 s7, -1
                                        ; implicit-def: $vgpr10_vgpr11
	s_branch .LBB127_1584
.LBB127_1580:
	s_mov_b32 s7, -1
                                        ; implicit-def: $vgpr10_vgpr11
.LBB127_1581:
	s_delay_alu instid0(SALU_CYCLE_1)
	s_and_not1_b32 vcc_lo, exec_lo, s7
	s_cbranch_vccnz .LBB127_1583
; %bb.1582:
	s_wait_loadcnt 0x0
	global_load_b32 v3, v[14:15], off
	s_wait_loadcnt 0x0
	v_trunc_f32_e32 v3, v3
	s_delay_alu instid0(VALU_DEP_1) | instskip(SKIP_1) | instid1(VALU_DEP_2)
	v_mul_f32_e64 v7, 0x2f800000, |v3|
	v_ashrrev_i32_e32 v10, 31, v3
	v_floor_f32_e32 v7, v7
	s_delay_alu instid0(VALU_DEP_1) | instskip(SKIP_1) | instid1(VALU_DEP_4)
	v_fma_f32 v9, 0xcf800000, v7, |v3|
	v_cvt_u32_f32_e32 v3, v7
	v_mov_b32_e32 v11, v10
	s_delay_alu instid0(VALU_DEP_3) | instskip(NEXT) | instid1(VALU_DEP_3)
	v_cvt_u32_f32_e32 v7, v9
	v_xor_b32_e32 v13, v3, v10
	s_delay_alu instid0(VALU_DEP_2) | instskip(NEXT) | instid1(VALU_DEP_1)
	v_xor_b32_e32 v12, v7, v10
	v_sub_nc_u64_e32 v[10:11], v[12:13], v[10:11]
.LBB127_1583:
	s_mov_b32 s7, 0
.LBB127_1584:
	s_delay_alu instid0(SALU_CYCLE_1)
	s_and_not1_b32 vcc_lo, exec_lo, s7
	s_cbranch_vccnz .LBB127_1586
; %bb.1585:
	s_wait_loadcnt 0x0
	global_load_u16 v3, v[14:15], off
	s_wait_loadcnt 0x0
	v_cvt_f32_f16_e32 v3, v3
	s_delay_alu instid0(VALU_DEP_1) | instskip(NEXT) | instid1(VALU_DEP_1)
	v_cvt_i32_f32_e32 v10, v3
	v_ashrrev_i32_e32 v11, 31, v10
.LBB127_1586:
	s_cbranch_execnz .LBB127_1605
.LBB127_1587:
	s_sext_i32_i16 s7, s0
	s_delay_alu instid0(SALU_CYCLE_1)
	s_cmp_lt_i32 s7, 2
	s_cbranch_scc1 .LBB127_1591
; %bb.1588:
	s_cmp_lt_i32 s7, 3
	s_cbranch_scc1 .LBB127_1592
; %bb.1589:
	s_cmp_gt_i32 s7, 3
	s_cbranch_scc0 .LBB127_1593
; %bb.1590:
	s_wait_loadcnt 0x0
	global_load_b64 v[10:11], v[14:15], off
	s_mov_b32 s7, 0
	s_branch .LBB127_1594
.LBB127_1591:
                                        ; implicit-def: $vgpr10_vgpr11
	s_branch .LBB127_1600
.LBB127_1592:
	s_mov_b32 s7, -1
                                        ; implicit-def: $vgpr10_vgpr11
	s_branch .LBB127_1597
.LBB127_1593:
	s_mov_b32 s7, -1
                                        ; implicit-def: $vgpr10_vgpr11
.LBB127_1594:
	s_delay_alu instid0(SALU_CYCLE_1)
	s_and_not1_b32 vcc_lo, exec_lo, s7
	s_cbranch_vccnz .LBB127_1596
; %bb.1595:
	s_wait_loadcnt 0x0
	global_load_b32 v10, v[14:15], off
	s_wait_loadcnt 0x0
	v_ashrrev_i32_e32 v11, 31, v10
.LBB127_1596:
	s_mov_b32 s7, 0
.LBB127_1597:
	s_delay_alu instid0(SALU_CYCLE_1)
	s_and_not1_b32 vcc_lo, exec_lo, s7
	s_cbranch_vccnz .LBB127_1599
; %bb.1598:
	s_wait_loadcnt 0x0
	global_load_u16 v3, v[14:15], off
	s_wait_loadcnt 0x0
	v_bfe_i32 v10, v3, 0, 16
	s_delay_alu instid0(VALU_DEP_1)
	v_ashrrev_i32_e32 v11, 31, v10
.LBB127_1599:
	s_cbranch_execnz .LBB127_1605
.LBB127_1600:
	s_sext_i32_i16 s0, s0
	s_delay_alu instid0(SALU_CYCLE_1)
	s_cmp_gt_i32 s0, 0
	s_mov_b32 s0, 0
	s_cbranch_scc0 .LBB127_1602
; %bb.1601:
	s_wait_loadcnt 0x0
	global_load_i8 v3, v[14:15], off
	s_wait_loadcnt 0x0
	v_bfe_i32 v10, v3, 0, 16
	s_delay_alu instid0(VALU_DEP_1)
	v_ashrrev_i32_e32 v11, 31, v10
	s_branch .LBB127_1603
.LBB127_1602:
	s_mov_b32 s0, -1
                                        ; implicit-def: $vgpr10_vgpr11
.LBB127_1603:
	s_delay_alu instid0(SALU_CYCLE_1)
	s_and_not1_b32 vcc_lo, exec_lo, s0
	s_cbranch_vccnz .LBB127_1605
; %bb.1604:
	s_wait_loadcnt 0x0
	global_load_u8 v3, v[14:15], off
	s_mov_b32 s0, 0
	s_delay_alu instid0(SALU_CYCLE_1)
	v_mov_b32_e32 v11, s0
	s_wait_loadcnt 0x0
	v_and_b32_e32 v10, 0xffff, v3
.LBB127_1605:
	s_or_b32 s9, s9, exec_lo
.LBB127_1606:
	s_wait_xcnt 0x0
	s_or_b32 exec_lo, exec_lo, s6
	s_mov_b32 s8, 0
	s_mov_b32 s10, 0
	;; [unrolled: 1-line block ×3, first 2 shown]
                                        ; implicit-def: $sgpr0
                                        ; implicit-def: $vgpr14_vgpr15
                                        ; implicit-def: $vgpr12_vgpr13
	s_and_saveexec_b32 s6, s9
	s_cbranch_execz .LBB127_1614
; %bb.1607:
	s_load_b512 s[36:51], s[2:3], 0x248
	s_wait_loadcnt 0x0
	v_mov_b32_e32 v9, 0
	s_and_b32 s0, s31, 0xff
	s_delay_alu instid0(SALU_CYCLE_1) | instskip(SKIP_1) | instid1(VALU_DEP_1)
	s_cmp_lt_i32 s0, 11
	s_wait_kmcnt 0x0
	v_add_nc_u64_e32 v[14:15], s[44:45], v[8:9]
	s_cbranch_scc1 .LBB127_1617
; %bb.1608:
	s_and_b32 s7, 0xffff, s0
	s_mov_b32 s9, 0
	s_cmp_gt_i32 s7, 25
	s_cbranch_scc0 .LBB127_1618
; %bb.1609:
	s_cmp_gt_i32 s7, 28
	s_cbranch_scc0 .LBB127_1619
; %bb.1610:
	;; [unrolled: 3-line block ×4, first 2 shown]
	s_cmp_eq_u32 s7, 46
	s_mov_b32 s11, 0
	s_cbranch_scc0 .LBB127_1622
; %bb.1613:
	global_load_b32 v3, v[14:15], off
	s_mov_b32 s10, -1
	s_wait_loadcnt 0x0
	v_lshlrev_b32_e32 v3, 16, v3
	s_delay_alu instid0(VALU_DEP_1) | instskip(NEXT) | instid1(VALU_DEP_1)
	v_trunc_f32_e32 v3, v3
	v_mul_f32_e64 v7, 0x2f800000, |v3|
	v_ashrrev_i32_e32 v8, 31, v3
	s_delay_alu instid0(VALU_DEP_2) | instskip(NEXT) | instid1(VALU_DEP_1)
	v_floor_f32_e32 v7, v7
	v_fma_f32 v9, 0xcf800000, v7, |v3|
	v_cvt_u32_f32_e32 v3, v7
	s_delay_alu instid0(VALU_DEP_2) | instskip(NEXT) | instid1(VALU_DEP_2)
	v_cvt_u32_f32_e32 v7, v9
	v_dual_mov_b32 v9, v8 :: v_dual_bitop2_b32 v13, v3, v8 bitop3:0x14
	s_delay_alu instid0(VALU_DEP_2) | instskip(NEXT) | instid1(VALU_DEP_1)
	v_xor_b32_e32 v12, v7, v8
	v_sub_nc_u64_e32 v[12:13], v[12:13], v[8:9]
	s_branch .LBB127_1624
.LBB127_1614:
	s_or_b32 exec_lo, exec_lo, s6
	s_and_saveexec_b32 s6, s89
	s_cbranch_execnz .LBB127_1683
.LBB127_1615:
	s_or_b32 exec_lo, exec_lo, s6
	s_and_saveexec_b32 s6, s8
	s_delay_alu instid0(SALU_CYCLE_1)
	s_xor_b32 s6, exec_lo, s6
	s_cbranch_execz .LBB127_1684
.LBB127_1616:
	s_wait_loadcnt 0x0
	global_load_u8 v3, v[14:15], off
	s_mov_b32 s8, 0
	s_or_b32 s7, s7, exec_lo
	v_mov_b32_e32 v13, s8
	s_wait_loadcnt 0x0
	v_cmp_ne_u16_e32 vcc_lo, 0, v3
	v_cndmask_b32_e64 v12, 0, 1, vcc_lo
	s_wait_xcnt 0x0
	s_or_b32 exec_lo, exec_lo, s6
	s_and_saveexec_b32 s6, s10
	s_cbranch_execz .LBB127_1730
	s_branch .LBB127_1685
.LBB127_1617:
	s_mov_b32 s11, -1
	s_mov_b32 s9, 0
	s_mov_b32 s8, s89
                                        ; implicit-def: $vgpr12_vgpr13
	s_branch .LBB127_1682
.LBB127_1618:
	s_mov_b32 s8, s89
                                        ; implicit-def: $vgpr12_vgpr13
	s_cbranch_execnz .LBB127_1651
	s_branch .LBB127_1681
.LBB127_1619:
	s_mov_b32 s11, -1
	s_mov_b32 s8, s89
                                        ; implicit-def: $vgpr12_vgpr13
	s_branch .LBB127_1634
.LBB127_1620:
	s_mov_b32 s11, -1
	s_mov_b32 s8, s89
                                        ; implicit-def: $vgpr12_vgpr13
	s_branch .LBB127_1629
.LBB127_1621:
	s_mov_b32 s11, -1
	s_mov_b32 s8, s89
	s_branch .LBB127_1623
.LBB127_1622:
	s_mov_b32 s8, -1
.LBB127_1623:
                                        ; implicit-def: $vgpr12_vgpr13
.LBB127_1624:
	s_and_b32 vcc_lo, exec_lo, s11
	s_cbranch_vccz .LBB127_1628
; %bb.1625:
	s_cmp_eq_u32 s7, 44
	s_cbranch_scc0 .LBB127_1627
; %bb.1626:
	global_load_u8 v3, v[14:15], off
	s_mov_b32 s8, 0
	s_mov_b32 s10, -1
	s_wait_loadcnt 0x0
	v_lshlrev_b32_e32 v7, 23, v3
	v_cmp_ne_u32_e32 vcc_lo, 0, v3
	s_delay_alu instid0(VALU_DEP_2) | instskip(NEXT) | instid1(VALU_DEP_1)
	v_trunc_f32_e32 v7, v7
	v_mul_f32_e64 v8, 0x2f800000, |v7|
	s_delay_alu instid0(VALU_DEP_1) | instskip(SKIP_1) | instid1(VALU_DEP_2)
	v_floor_f32_e32 v9, v8
	v_ashrrev_i32_e32 v8, 31, v7
	v_fma_f32 v12, 0xcf800000, v9, |v7|
	v_cvt_u32_f32_e32 v7, v9
	s_delay_alu instid0(VALU_DEP_3) | instskip(NEXT) | instid1(VALU_DEP_3)
	v_mov_b32_e32 v9, v8
	v_cvt_u32_f32_e32 v12, v12
	s_delay_alu instid0(VALU_DEP_3) | instskip(NEXT) | instid1(VALU_DEP_2)
	v_xor_b32_e32 v13, v7, v8
	v_xor_b32_e32 v12, v12, v8
	s_delay_alu instid0(VALU_DEP_1) | instskip(NEXT) | instid1(VALU_DEP_1)
	v_sub_nc_u64_e32 v[8:9], v[12:13], v[8:9]
	v_dual_cndmask_b32 v13, 0, v9 :: v_dual_cndmask_b32 v12, 0, v8
	s_branch .LBB127_1628
.LBB127_1627:
	s_mov_b32 s8, -1
                                        ; implicit-def: $vgpr12_vgpr13
.LBB127_1628:
	s_mov_b32 s11, 0
.LBB127_1629:
	s_delay_alu instid0(SALU_CYCLE_1)
	s_and_b32 vcc_lo, exec_lo, s11
	s_cbranch_vccz .LBB127_1633
; %bb.1630:
	s_cmp_eq_u32 s7, 29
	s_cbranch_scc0 .LBB127_1632
; %bb.1631:
	global_load_b64 v[12:13], v[14:15], off
	s_mov_b32 s8, 0
	s_mov_b32 s10, -1
	s_branch .LBB127_1633
.LBB127_1632:
	s_mov_b32 s8, -1
                                        ; implicit-def: $vgpr12_vgpr13
.LBB127_1633:
	s_mov_b32 s11, 0
.LBB127_1634:
	s_delay_alu instid0(SALU_CYCLE_1)
	s_and_b32 vcc_lo, exec_lo, s11
	s_cbranch_vccz .LBB127_1650
; %bb.1635:
	s_cmp_lt_i32 s7, 27
	s_cbranch_scc1 .LBB127_1638
; %bb.1636:
	s_cmp_gt_i32 s7, 27
	s_cbranch_scc0 .LBB127_1639
; %bb.1637:
	s_wait_loadcnt 0x0
	global_load_b32 v12, v[14:15], off
	v_mov_b32_e32 v13, 0
	s_mov_b32 s10, 0
	s_branch .LBB127_1640
.LBB127_1638:
	s_mov_b32 s10, -1
                                        ; implicit-def: $vgpr12_vgpr13
	s_branch .LBB127_1643
.LBB127_1639:
	s_mov_b32 s10, -1
                                        ; implicit-def: $vgpr12_vgpr13
.LBB127_1640:
	s_delay_alu instid0(SALU_CYCLE_1)
	s_and_not1_b32 vcc_lo, exec_lo, s10
	s_cbranch_vccnz .LBB127_1642
; %bb.1641:
	global_load_u16 v3, v[14:15], off
	s_mov_b32 s10, 0
	s_wait_loadcnt 0x1
	v_mov_b32_e32 v13, s10
	s_wait_loadcnt 0x0
	v_and_b32_e32 v12, 0xffff, v3
.LBB127_1642:
	s_mov_b32 s10, 0
.LBB127_1643:
	s_delay_alu instid0(SALU_CYCLE_1)
	s_and_not1_b32 vcc_lo, exec_lo, s10
	s_cbranch_vccnz .LBB127_1649
; %bb.1644:
	global_load_u8 v3, v[14:15], off
	s_mov_b32 s11, 0
	s_mov_b32 s10, exec_lo
	s_wait_loadcnt 0x0
	v_cmpx_lt_i16_e32 0x7f, v3
	s_xor_b32 s10, exec_lo, s10
	s_cbranch_execz .LBB127_1660
; %bb.1645:
	v_cmp_ne_u16_e32 vcc_lo, 0x80, v3
	s_and_b32 s11, vcc_lo, exec_lo
	s_and_not1_saveexec_b32 s10, s10
	s_cbranch_execnz .LBB127_1661
.LBB127_1646:
	s_or_b32 exec_lo, exec_lo, s10
	v_mov_b64_e32 v[12:13], 0
	s_and_saveexec_b32 s10, s11
	s_cbranch_execz .LBB127_1648
.LBB127_1647:
	v_and_b32_e32 v7, 0xffff, v3
	s_delay_alu instid0(VALU_DEP_1) | instskip(SKIP_1) | instid1(VALU_DEP_2)
	v_and_b32_e32 v8, 7, v7
	v_bfe_u32 v13, v7, 3, 4
	v_clz_i32_u32_e32 v9, v8
	s_delay_alu instid0(VALU_DEP_2) | instskip(NEXT) | instid1(VALU_DEP_2)
	v_cmp_eq_u32_e32 vcc_lo, 0, v13
	v_min_u32_e32 v9, 32, v9
	s_delay_alu instid0(VALU_DEP_1) | instskip(NEXT) | instid1(VALU_DEP_1)
	v_subrev_nc_u32_e32 v12, 28, v9
	v_dual_lshlrev_b32 v7, v12, v7 :: v_dual_sub_nc_u32 v9, 29, v9
	s_delay_alu instid0(VALU_DEP_1) | instskip(NEXT) | instid1(VALU_DEP_2)
	v_and_b32_e32 v7, 7, v7
	v_dual_lshlrev_b32 v3, 24, v3 :: v_dual_cndmask_b32 v9, v13, v9, vcc_lo
	s_delay_alu instid0(VALU_DEP_2) | instskip(NEXT) | instid1(VALU_DEP_2)
	v_cndmask_b32_e32 v7, v8, v7, vcc_lo
	v_and_b32_e32 v3, 0x80000000, v3
	s_delay_alu instid0(VALU_DEP_3) | instskip(NEXT) | instid1(VALU_DEP_3)
	v_lshl_add_u32 v8, v9, 23, 0x3b800000
	v_lshlrev_b32_e32 v7, 20, v7
	s_delay_alu instid0(VALU_DEP_1) | instskip(NEXT) | instid1(VALU_DEP_1)
	v_or3_b32 v3, v3, v8, v7
	v_trunc_f32_e32 v3, v3
	s_delay_alu instid0(VALU_DEP_1) | instskip(SKIP_1) | instid1(VALU_DEP_2)
	v_mul_f32_e64 v7, 0x2f800000, |v3|
	v_ashrrev_i32_e32 v8, 31, v3
	v_floor_f32_e32 v7, v7
	s_delay_alu instid0(VALU_DEP_1) | instskip(SKIP_1) | instid1(VALU_DEP_2)
	v_fma_f32 v9, 0xcf800000, v7, |v3|
	v_cvt_u32_f32_e32 v3, v7
	v_cvt_u32_f32_e32 v7, v9
	s_delay_alu instid0(VALU_DEP_2) | instskip(NEXT) | instid1(VALU_DEP_2)
	v_dual_mov_b32 v9, v8 :: v_dual_bitop2_b32 v13, v3, v8 bitop3:0x14
	v_xor_b32_e32 v12, v7, v8
	s_delay_alu instid0(VALU_DEP_1)
	v_sub_nc_u64_e32 v[12:13], v[12:13], v[8:9]
.LBB127_1648:
	s_or_b32 exec_lo, exec_lo, s10
.LBB127_1649:
	s_mov_b32 s10, -1
.LBB127_1650:
	s_branch .LBB127_1681
.LBB127_1651:
	s_cmp_gt_i32 s7, 22
	s_cbranch_scc0 .LBB127_1659
; %bb.1652:
	s_cmp_lt_i32 s7, 24
	s_cbranch_scc1 .LBB127_1662
; %bb.1653:
	s_cmp_gt_i32 s7, 24
	s_cbranch_scc0 .LBB127_1663
; %bb.1654:
	global_load_u8 v3, v[14:15], off
	s_mov_b32 s10, 0
	s_mov_b32 s9, exec_lo
	s_wait_loadcnt 0x0
	v_cmpx_lt_i16_e32 0x7f, v3
	s_xor_b32 s9, exec_lo, s9
	s_cbranch_execz .LBB127_1675
; %bb.1655:
	v_cmp_ne_u16_e32 vcc_lo, 0x80, v3
	s_and_b32 s10, vcc_lo, exec_lo
	s_and_not1_saveexec_b32 s9, s9
	s_cbranch_execnz .LBB127_1676
.LBB127_1656:
	s_or_b32 exec_lo, exec_lo, s9
	v_mov_b64_e32 v[12:13], 0
	s_and_saveexec_b32 s9, s10
	s_cbranch_execz .LBB127_1658
.LBB127_1657:
	v_and_b32_e32 v7, 0xffff, v3
	s_delay_alu instid0(VALU_DEP_1) | instskip(SKIP_1) | instid1(VALU_DEP_2)
	v_and_b32_e32 v8, 3, v7
	v_bfe_u32 v13, v7, 2, 5
	v_clz_i32_u32_e32 v9, v8
	s_delay_alu instid0(VALU_DEP_2) | instskip(NEXT) | instid1(VALU_DEP_2)
	v_cmp_eq_u32_e32 vcc_lo, 0, v13
	v_min_u32_e32 v9, 32, v9
	s_delay_alu instid0(VALU_DEP_1) | instskip(NEXT) | instid1(VALU_DEP_1)
	v_subrev_nc_u32_e32 v12, 29, v9
	v_dual_lshlrev_b32 v7, v12, v7 :: v_dual_sub_nc_u32 v9, 30, v9
	s_delay_alu instid0(VALU_DEP_1) | instskip(NEXT) | instid1(VALU_DEP_2)
	v_and_b32_e32 v7, 3, v7
	v_dual_lshlrev_b32 v3, 24, v3 :: v_dual_cndmask_b32 v9, v13, v9, vcc_lo
	s_delay_alu instid0(VALU_DEP_2) | instskip(NEXT) | instid1(VALU_DEP_2)
	v_cndmask_b32_e32 v7, v8, v7, vcc_lo
	v_and_b32_e32 v3, 0x80000000, v3
	s_delay_alu instid0(VALU_DEP_3) | instskip(NEXT) | instid1(VALU_DEP_3)
	v_lshl_add_u32 v8, v9, 23, 0x37800000
	v_lshlrev_b32_e32 v7, 21, v7
	s_delay_alu instid0(VALU_DEP_1) | instskip(NEXT) | instid1(VALU_DEP_1)
	v_or3_b32 v3, v3, v8, v7
	v_trunc_f32_e32 v3, v3
	s_delay_alu instid0(VALU_DEP_1) | instskip(SKIP_1) | instid1(VALU_DEP_2)
	v_mul_f32_e64 v7, 0x2f800000, |v3|
	v_ashrrev_i32_e32 v8, 31, v3
	v_floor_f32_e32 v7, v7
	s_delay_alu instid0(VALU_DEP_1) | instskip(SKIP_1) | instid1(VALU_DEP_2)
	v_fma_f32 v9, 0xcf800000, v7, |v3|
	v_cvt_u32_f32_e32 v3, v7
	v_cvt_u32_f32_e32 v7, v9
	s_delay_alu instid0(VALU_DEP_2) | instskip(NEXT) | instid1(VALU_DEP_2)
	v_dual_mov_b32 v9, v8 :: v_dual_bitop2_b32 v13, v3, v8 bitop3:0x14
	v_xor_b32_e32 v12, v7, v8
	s_delay_alu instid0(VALU_DEP_1)
	v_sub_nc_u64_e32 v[12:13], v[12:13], v[8:9]
.LBB127_1658:
	s_or_b32 exec_lo, exec_lo, s9
	s_mov_b32 s9, 0
	s_branch .LBB127_1664
.LBB127_1659:
	s_mov_b32 s9, -1
                                        ; implicit-def: $vgpr12_vgpr13
	s_branch .LBB127_1670
.LBB127_1660:
	s_and_not1_saveexec_b32 s10, s10
	s_cbranch_execz .LBB127_1646
.LBB127_1661:
	v_cmp_ne_u16_e32 vcc_lo, 0, v3
	s_and_not1_b32 s11, s11, exec_lo
	s_and_b32 s12, vcc_lo, exec_lo
	s_delay_alu instid0(SALU_CYCLE_1)
	s_or_b32 s11, s11, s12
	s_or_b32 exec_lo, exec_lo, s10
	v_mov_b64_e32 v[12:13], 0
	s_and_saveexec_b32 s10, s11
	s_cbranch_execnz .LBB127_1647
	s_branch .LBB127_1648
.LBB127_1662:
	s_mov_b32 s9, -1
                                        ; implicit-def: $vgpr12_vgpr13
	s_branch .LBB127_1667
.LBB127_1663:
	s_mov_b32 s9, -1
                                        ; implicit-def: $vgpr12_vgpr13
.LBB127_1664:
	s_delay_alu instid0(SALU_CYCLE_1)
	s_and_b32 vcc_lo, exec_lo, s9
	s_cbranch_vccz .LBB127_1666
; %bb.1665:
	global_load_u8 v3, v[14:15], off
	s_wait_loadcnt 0x0
	v_lshlrev_b32_e32 v3, 24, v3
	s_delay_alu instid0(VALU_DEP_1) | instskip(NEXT) | instid1(VALU_DEP_1)
	v_and_b32_e32 v7, 0x7f000000, v3
	v_clz_i32_u32_e32 v8, v7
	v_cmp_ne_u32_e32 vcc_lo, 0, v7
	v_add_nc_u32_e32 v12, 0x1000000, v7
	s_delay_alu instid0(VALU_DEP_3) | instskip(NEXT) | instid1(VALU_DEP_1)
	v_min_u32_e32 v8, 32, v8
	v_sub_nc_u32_e64 v8, v8, 4 clamp
	s_delay_alu instid0(VALU_DEP_1) | instskip(NEXT) | instid1(VALU_DEP_1)
	v_dual_lshlrev_b32 v9, v8, v7 :: v_dual_lshlrev_b32 v8, 23, v8
	v_lshrrev_b32_e32 v9, 4, v9
	s_delay_alu instid0(VALU_DEP_1) | instskip(SKIP_1) | instid1(VALU_DEP_2)
	v_sub_nc_u32_e32 v8, v9, v8
	v_ashrrev_i32_e32 v9, 8, v12
	v_add_nc_u32_e32 v8, 0x3c000000, v8
	s_delay_alu instid0(VALU_DEP_1) | instskip(NEXT) | instid1(VALU_DEP_1)
	v_and_or_b32 v8, 0x7f800000, v9, v8
	v_cndmask_b32_e32 v7, 0, v8, vcc_lo
	s_delay_alu instid0(VALU_DEP_1) | instskip(NEXT) | instid1(VALU_DEP_1)
	v_and_or_b32 v3, 0x80000000, v3, v7
	v_trunc_f32_e32 v3, v3
	s_delay_alu instid0(VALU_DEP_1) | instskip(SKIP_1) | instid1(VALU_DEP_2)
	v_mul_f32_e64 v7, 0x2f800000, |v3|
	v_ashrrev_i32_e32 v8, 31, v3
	v_floor_f32_e32 v7, v7
	s_delay_alu instid0(VALU_DEP_1) | instskip(SKIP_1) | instid1(VALU_DEP_2)
	v_fma_f32 v9, 0xcf800000, v7, |v3|
	v_cvt_u32_f32_e32 v3, v7
	v_cvt_u32_f32_e32 v7, v9
	s_delay_alu instid0(VALU_DEP_2) | instskip(NEXT) | instid1(VALU_DEP_2)
	v_dual_mov_b32 v9, v8 :: v_dual_bitop2_b32 v13, v3, v8 bitop3:0x14
	v_xor_b32_e32 v12, v7, v8
	s_delay_alu instid0(VALU_DEP_1)
	v_sub_nc_u64_e32 v[12:13], v[12:13], v[8:9]
.LBB127_1666:
	s_mov_b32 s9, 0
.LBB127_1667:
	s_delay_alu instid0(SALU_CYCLE_1)
	s_and_not1_b32 vcc_lo, exec_lo, s9
	s_cbranch_vccnz .LBB127_1669
; %bb.1668:
	global_load_u8 v3, v[14:15], off
	s_wait_loadcnt 0x0
	v_lshlrev_b32_e32 v7, 25, v3
	v_lshlrev_b16 v3, 8, v3
	s_delay_alu instid0(VALU_DEP_1) | instskip(SKIP_1) | instid1(VALU_DEP_2)
	v_and_or_b32 v9, 0x7f00, v3, 0.5
	v_bfe_i32 v3, v3, 0, 16
	v_dual_add_f32 v9, -0.5, v9 :: v_dual_lshrrev_b32 v8, 4, v7
	v_cmp_gt_u32_e32 vcc_lo, 0x8000000, v7
	s_delay_alu instid0(VALU_DEP_2) | instskip(NEXT) | instid1(VALU_DEP_1)
	v_or_b32_e32 v8, 0x70000000, v8
	v_mul_f32_e32 v8, 0x7800000, v8
	s_delay_alu instid0(VALU_DEP_1) | instskip(NEXT) | instid1(VALU_DEP_1)
	v_cndmask_b32_e32 v7, v8, v9, vcc_lo
	v_and_or_b32 v3, 0x80000000, v3, v7
	s_delay_alu instid0(VALU_DEP_1) | instskip(NEXT) | instid1(VALU_DEP_1)
	v_trunc_f32_e32 v3, v3
	v_mul_f32_e64 v7, 0x2f800000, |v3|
	v_ashrrev_i32_e32 v8, 31, v3
	s_delay_alu instid0(VALU_DEP_2) | instskip(NEXT) | instid1(VALU_DEP_1)
	v_floor_f32_e32 v7, v7
	v_fma_f32 v9, 0xcf800000, v7, |v3|
	v_cvt_u32_f32_e32 v3, v7
	s_delay_alu instid0(VALU_DEP_2) | instskip(NEXT) | instid1(VALU_DEP_2)
	v_cvt_u32_f32_e32 v7, v9
	v_dual_mov_b32 v9, v8 :: v_dual_bitop2_b32 v13, v3, v8 bitop3:0x14
	s_delay_alu instid0(VALU_DEP_2) | instskip(NEXT) | instid1(VALU_DEP_1)
	v_xor_b32_e32 v12, v7, v8
	v_sub_nc_u64_e32 v[12:13], v[12:13], v[8:9]
.LBB127_1669:
	s_mov_b32 s9, 0
	s_mov_b32 s10, -1
.LBB127_1670:
	s_and_not1_b32 vcc_lo, exec_lo, s9
	s_mov_b32 s9, 0
	s_cbranch_vccnz .LBB127_1681
; %bb.1671:
	s_cmp_gt_i32 s7, 14
	s_cbranch_scc0 .LBB127_1674
; %bb.1672:
	s_cmp_eq_u32 s7, 15
	s_cbranch_scc0 .LBB127_1677
; %bb.1673:
	global_load_u16 v3, v[14:15], off
	s_mov_b32 s8, 0
	s_mov_b32 s10, -1
	s_wait_loadcnt 0x0
	v_lshlrev_b32_e32 v3, 16, v3
	s_delay_alu instid0(VALU_DEP_1) | instskip(NEXT) | instid1(VALU_DEP_1)
	v_trunc_f32_e32 v3, v3
	v_mul_f32_e64 v7, 0x2f800000, |v3|
	v_ashrrev_i32_e32 v8, 31, v3
	s_delay_alu instid0(VALU_DEP_2) | instskip(NEXT) | instid1(VALU_DEP_1)
	v_floor_f32_e32 v7, v7
	v_fma_f32 v9, 0xcf800000, v7, |v3|
	v_cvt_u32_f32_e32 v3, v7
	s_delay_alu instid0(VALU_DEP_2) | instskip(NEXT) | instid1(VALU_DEP_2)
	v_cvt_u32_f32_e32 v7, v9
	v_dual_mov_b32 v9, v8 :: v_dual_bitop2_b32 v13, v3, v8 bitop3:0x14
	s_delay_alu instid0(VALU_DEP_2) | instskip(NEXT) | instid1(VALU_DEP_1)
	v_xor_b32_e32 v12, v7, v8
	v_sub_nc_u64_e32 v[12:13], v[12:13], v[8:9]
	s_branch .LBB127_1679
.LBB127_1674:
	s_mov_b32 s9, -1
	s_branch .LBB127_1678
.LBB127_1675:
	s_and_not1_saveexec_b32 s9, s9
	s_cbranch_execz .LBB127_1656
.LBB127_1676:
	v_cmp_ne_u16_e32 vcc_lo, 0, v3
	s_and_not1_b32 s10, s10, exec_lo
	s_and_b32 s11, vcc_lo, exec_lo
	s_delay_alu instid0(SALU_CYCLE_1)
	s_or_b32 s10, s10, s11
	s_or_b32 exec_lo, exec_lo, s9
	v_mov_b64_e32 v[12:13], 0
	s_and_saveexec_b32 s9, s10
	s_cbranch_execnz .LBB127_1657
	s_branch .LBB127_1658
.LBB127_1677:
	s_mov_b32 s8, -1
.LBB127_1678:
                                        ; implicit-def: $vgpr12_vgpr13
.LBB127_1679:
	s_and_b32 vcc_lo, exec_lo, s9
	s_mov_b32 s9, 0
	s_cbranch_vccz .LBB127_1681
; %bb.1680:
	s_cmp_lg_u32 s7, 11
	s_mov_b32 s9, -1
	s_cselect_b32 s7, -1, 0
	s_and_not1_b32 s8, s8, exec_lo
	s_and_b32 s7, s7, exec_lo
	s_delay_alu instid0(SALU_CYCLE_1)
	s_or_b32 s8, s8, s7
.LBB127_1681:
	s_mov_b32 s11, 0
.LBB127_1682:
	s_and_b32 s7, s10, exec_lo
	s_and_b32 s10, s11, exec_lo
	s_and_not1_b32 s11, s89, exec_lo
	s_and_b32 s12, s8, exec_lo
	s_and_b32 s8, s9, exec_lo
	s_or_b32 s89, s11, s12
	s_wait_xcnt 0x0
	s_or_b32 exec_lo, exec_lo, s6
	s_and_saveexec_b32 s6, s89
	s_cbranch_execz .LBB127_1615
.LBB127_1683:
	s_or_b32 s1, s1, exec_lo
	s_and_not1_b32 s8, s8, exec_lo
	s_trap 2
	s_or_b32 exec_lo, exec_lo, s6
	s_and_saveexec_b32 s6, s8
	s_delay_alu instid0(SALU_CYCLE_1)
	s_xor_b32 s6, exec_lo, s6
	s_cbranch_execnz .LBB127_1616
.LBB127_1684:
	s_or_b32 exec_lo, exec_lo, s6
	s_and_saveexec_b32 s6, s10
	s_cbranch_execz .LBB127_1730
.LBB127_1685:
	s_sext_i32_i16 s8, s0
	s_delay_alu instid0(SALU_CYCLE_1)
	s_cmp_lt_i32 s8, 5
	s_cbranch_scc1 .LBB127_1690
; %bb.1686:
	s_cmp_lt_i32 s8, 8
	s_cbranch_scc1 .LBB127_1691
; %bb.1687:
	;; [unrolled: 3-line block ×3, first 2 shown]
	s_cmp_gt_i32 s8, 9
	s_cbranch_scc0 .LBB127_1693
; %bb.1689:
	s_wait_loadcnt 0x0
	global_load_b64 v[8:9], v[14:15], off
	s_mov_b32 s8, 0
	s_wait_loadcnt 0x0
	v_trunc_f64_e32 v[8:9], v[8:9]
	s_delay_alu instid0(VALU_DEP_1) | instskip(NEXT) | instid1(VALU_DEP_1)
	v_ldexp_f64 v[12:13], v[8:9], 0xffffffe0
	v_floor_f64_e32 v[12:13], v[12:13]
	s_delay_alu instid0(VALU_DEP_1) | instskip(SKIP_1) | instid1(VALU_DEP_2)
	v_fmamk_f64 v[8:9], v[12:13], 0xc1f00000, v[8:9]
	v_cvt_i32_f64_e32 v13, v[12:13]
	v_cvt_u32_f64_e32 v12, v[8:9]
	s_branch .LBB127_1694
.LBB127_1690:
                                        ; implicit-def: $vgpr12_vgpr13
	s_branch .LBB127_1711
.LBB127_1691:
                                        ; implicit-def: $vgpr12_vgpr13
	s_branch .LBB127_1700
.LBB127_1692:
	s_mov_b32 s8, -1
                                        ; implicit-def: $vgpr12_vgpr13
	s_branch .LBB127_1697
.LBB127_1693:
	s_mov_b32 s8, -1
                                        ; implicit-def: $vgpr12_vgpr13
.LBB127_1694:
	s_delay_alu instid0(SALU_CYCLE_1)
	s_and_not1_b32 vcc_lo, exec_lo, s8
	s_cbranch_vccnz .LBB127_1696
; %bb.1695:
	s_wait_loadcnt 0x0
	global_load_b32 v3, v[14:15], off
	s_wait_loadcnt 0x0
	v_trunc_f32_e32 v3, v3
	s_delay_alu instid0(VALU_DEP_1) | instskip(SKIP_1) | instid1(VALU_DEP_2)
	v_mul_f32_e64 v7, 0x2f800000, |v3|
	v_ashrrev_i32_e32 v8, 31, v3
	v_floor_f32_e32 v7, v7
	s_delay_alu instid0(VALU_DEP_1) | instskip(SKIP_1) | instid1(VALU_DEP_2)
	v_fma_f32 v9, 0xcf800000, v7, |v3|
	v_cvt_u32_f32_e32 v3, v7
	v_cvt_u32_f32_e32 v7, v9
	s_delay_alu instid0(VALU_DEP_2) | instskip(NEXT) | instid1(VALU_DEP_2)
	v_dual_mov_b32 v9, v8 :: v_dual_bitop2_b32 v13, v3, v8 bitop3:0x14
	v_xor_b32_e32 v12, v7, v8
	s_delay_alu instid0(VALU_DEP_1)
	v_sub_nc_u64_e32 v[12:13], v[12:13], v[8:9]
.LBB127_1696:
	s_mov_b32 s8, 0
.LBB127_1697:
	s_delay_alu instid0(SALU_CYCLE_1)
	s_and_not1_b32 vcc_lo, exec_lo, s8
	s_cbranch_vccnz .LBB127_1699
; %bb.1698:
	s_wait_loadcnt 0x0
	global_load_b32 v3, v[14:15], off
	s_wait_loadcnt 0x0
	v_cvt_f32_f16_e32 v3, v3
	s_delay_alu instid0(VALU_DEP_1) | instskip(NEXT) | instid1(VALU_DEP_1)
	v_cvt_i32_f32_e32 v12, v3
	v_ashrrev_i32_e32 v13, 31, v12
.LBB127_1699:
	s_cbranch_execnz .LBB127_1710
.LBB127_1700:
	s_sext_i32_i16 s8, s0
	s_delay_alu instid0(SALU_CYCLE_1)
	s_cmp_lt_i32 s8, 6
	s_cbranch_scc1 .LBB127_1703
; %bb.1701:
	s_cmp_gt_i32 s8, 6
	s_cbranch_scc0 .LBB127_1704
; %bb.1702:
	s_wait_loadcnt 0x0
	global_load_b64 v[8:9], v[14:15], off
	s_mov_b32 s8, 0
	s_wait_loadcnt 0x0
	v_trunc_f64_e32 v[8:9], v[8:9]
	s_delay_alu instid0(VALU_DEP_1) | instskip(NEXT) | instid1(VALU_DEP_1)
	v_ldexp_f64 v[12:13], v[8:9], 0xffffffe0
	v_floor_f64_e32 v[12:13], v[12:13]
	s_delay_alu instid0(VALU_DEP_1) | instskip(SKIP_1) | instid1(VALU_DEP_2)
	v_fmamk_f64 v[8:9], v[12:13], 0xc1f00000, v[8:9]
	v_cvt_i32_f64_e32 v13, v[12:13]
	v_cvt_u32_f64_e32 v12, v[8:9]
	s_branch .LBB127_1705
.LBB127_1703:
	s_mov_b32 s8, -1
                                        ; implicit-def: $vgpr12_vgpr13
	s_branch .LBB127_1708
.LBB127_1704:
	s_mov_b32 s8, -1
                                        ; implicit-def: $vgpr12_vgpr13
.LBB127_1705:
	s_delay_alu instid0(SALU_CYCLE_1)
	s_and_not1_b32 vcc_lo, exec_lo, s8
	s_cbranch_vccnz .LBB127_1707
; %bb.1706:
	s_wait_loadcnt 0x0
	global_load_b32 v3, v[14:15], off
	s_wait_loadcnt 0x0
	v_trunc_f32_e32 v3, v3
	s_delay_alu instid0(VALU_DEP_1) | instskip(SKIP_1) | instid1(VALU_DEP_2)
	v_mul_f32_e64 v7, 0x2f800000, |v3|
	v_ashrrev_i32_e32 v8, 31, v3
	v_floor_f32_e32 v7, v7
	s_delay_alu instid0(VALU_DEP_1) | instskip(SKIP_1) | instid1(VALU_DEP_2)
	v_fma_f32 v9, 0xcf800000, v7, |v3|
	v_cvt_u32_f32_e32 v3, v7
	v_cvt_u32_f32_e32 v7, v9
	s_delay_alu instid0(VALU_DEP_2) | instskip(NEXT) | instid1(VALU_DEP_2)
	v_dual_mov_b32 v9, v8 :: v_dual_bitop2_b32 v13, v3, v8 bitop3:0x14
	v_xor_b32_e32 v12, v7, v8
	s_delay_alu instid0(VALU_DEP_1)
	v_sub_nc_u64_e32 v[12:13], v[12:13], v[8:9]
.LBB127_1707:
	s_mov_b32 s8, 0
.LBB127_1708:
	s_delay_alu instid0(SALU_CYCLE_1)
	s_and_not1_b32 vcc_lo, exec_lo, s8
	s_cbranch_vccnz .LBB127_1710
; %bb.1709:
	s_wait_loadcnt 0x0
	global_load_u16 v3, v[14:15], off
	s_wait_loadcnt 0x0
	v_cvt_f32_f16_e32 v3, v3
	s_delay_alu instid0(VALU_DEP_1) | instskip(NEXT) | instid1(VALU_DEP_1)
	v_cvt_i32_f32_e32 v12, v3
	v_ashrrev_i32_e32 v13, 31, v12
.LBB127_1710:
	s_cbranch_execnz .LBB127_1729
.LBB127_1711:
	s_sext_i32_i16 s8, s0
	s_delay_alu instid0(SALU_CYCLE_1)
	s_cmp_lt_i32 s8, 2
	s_cbranch_scc1 .LBB127_1715
; %bb.1712:
	s_cmp_lt_i32 s8, 3
	s_cbranch_scc1 .LBB127_1716
; %bb.1713:
	s_cmp_gt_i32 s8, 3
	s_cbranch_scc0 .LBB127_1717
; %bb.1714:
	s_wait_loadcnt 0x0
	global_load_b64 v[12:13], v[14:15], off
	s_mov_b32 s8, 0
	s_branch .LBB127_1718
.LBB127_1715:
                                        ; implicit-def: $vgpr12_vgpr13
	s_branch .LBB127_1724
.LBB127_1716:
	s_mov_b32 s8, -1
                                        ; implicit-def: $vgpr12_vgpr13
	s_branch .LBB127_1721
.LBB127_1717:
	s_mov_b32 s8, -1
                                        ; implicit-def: $vgpr12_vgpr13
.LBB127_1718:
	s_delay_alu instid0(SALU_CYCLE_1)
	s_and_not1_b32 vcc_lo, exec_lo, s8
	s_cbranch_vccnz .LBB127_1720
; %bb.1719:
	s_wait_loadcnt 0x0
	global_load_b32 v12, v[14:15], off
	s_wait_loadcnt 0x0
	v_ashrrev_i32_e32 v13, 31, v12
.LBB127_1720:
	s_mov_b32 s8, 0
.LBB127_1721:
	s_delay_alu instid0(SALU_CYCLE_1)
	s_and_not1_b32 vcc_lo, exec_lo, s8
	s_cbranch_vccnz .LBB127_1723
; %bb.1722:
	s_wait_loadcnt 0x0
	global_load_u16 v3, v[14:15], off
	s_wait_loadcnt 0x0
	v_bfe_i32 v12, v3, 0, 16
	s_delay_alu instid0(VALU_DEP_1)
	v_ashrrev_i32_e32 v13, 31, v12
.LBB127_1723:
	s_cbranch_execnz .LBB127_1729
.LBB127_1724:
	s_sext_i32_i16 s0, s0
	s_delay_alu instid0(SALU_CYCLE_1)
	s_cmp_gt_i32 s0, 0
	s_mov_b32 s0, 0
	s_cbranch_scc0 .LBB127_1726
; %bb.1725:
	s_wait_loadcnt 0x0
	global_load_i8 v3, v[14:15], off
	s_wait_loadcnt 0x0
	v_bfe_i32 v12, v3, 0, 16
	s_delay_alu instid0(VALU_DEP_1)
	v_ashrrev_i32_e32 v13, 31, v12
	s_branch .LBB127_1727
.LBB127_1726:
	s_mov_b32 s0, -1
                                        ; implicit-def: $vgpr12_vgpr13
.LBB127_1727:
	s_delay_alu instid0(SALU_CYCLE_1)
	s_and_not1_b32 vcc_lo, exec_lo, s0
	s_cbranch_vccnz .LBB127_1729
; %bb.1728:
	s_wait_loadcnt 0x0
	global_load_u8 v3, v[14:15], off
	s_mov_b32 s0, 0
	s_delay_alu instid0(SALU_CYCLE_1)
	v_mov_b32_e32 v13, s0
	s_wait_loadcnt 0x0
	v_and_b32_e32 v12, 0xffff, v3
.LBB127_1729:
	s_or_b32 s7, s7, exec_lo
.LBB127_1730:
	s_wait_xcnt 0x0
	s_or_b32 exec_lo, exec_lo, s6
	s_mov_b32 s8, 0
	s_mov_b32 s11, 0
	;; [unrolled: 1-line block ×3, first 2 shown]
                                        ; implicit-def: $sgpr0
                                        ; implicit-def: $vgpr8_vgpr9
                                        ; implicit-def: $vgpr14_vgpr15
	s_and_saveexec_b32 s6, s7
	s_cbranch_execz .LBB127_1738
; %bb.1731:
	s_load_b512 s[36:51], s[2:3], 0x248
	v_mov_b32_e32 v7, 0
	s_and_b32 s0, s53, 0xff
	s_delay_alu instid0(SALU_CYCLE_1)
	s_cmp_lt_i32 s0, 11
	s_wait_loadcnt 0x0
	s_wait_kmcnt 0x0
	v_add_nc_u64_e32 v[8:9], s[46:47], v[6:7]
	s_cbranch_scc1 .LBB127_1741
; %bb.1732:
	s_and_b32 s7, 0xffff, s0
	s_mov_b32 s10, 0
	s_cmp_gt_i32 s7, 25
	s_cbranch_scc0 .LBB127_1742
; %bb.1733:
	s_cmp_gt_i32 s7, 28
	s_cbranch_scc0 .LBB127_1743
; %bb.1734:
	;; [unrolled: 3-line block ×4, first 2 shown]
	s_cmp_eq_u32 s7, 46
	s_cbranch_scc0 .LBB127_1746
; %bb.1737:
	global_load_b32 v3, v[8:9], off
	s_mov_b32 s9, -1
	s_wait_loadcnt 0x0
	v_lshlrev_b32_e32 v3, 16, v3
	s_delay_alu instid0(VALU_DEP_1) | instskip(NEXT) | instid1(VALU_DEP_1)
	v_trunc_f32_e32 v3, v3
	v_mul_f32_e64 v6, 0x2f800000, |v3|
	s_delay_alu instid0(VALU_DEP_1) | instskip(SKIP_1) | instid1(VALU_DEP_2)
	v_floor_f32_e32 v7, v6
	v_ashrrev_i32_e32 v6, 31, v3
	v_fma_f32 v14, 0xcf800000, v7, |v3|
	v_cvt_u32_f32_e32 v3, v7
	s_delay_alu instid0(VALU_DEP_3) | instskip(NEXT) | instid1(VALU_DEP_3)
	v_mov_b32_e32 v7, v6
	v_cvt_u32_f32_e32 v14, v14
	s_delay_alu instid0(VALU_DEP_3) | instskip(NEXT) | instid1(VALU_DEP_2)
	v_xor_b32_e32 v15, v3, v6
	v_xor_b32_e32 v14, v14, v6
	s_delay_alu instid0(VALU_DEP_1)
	v_sub_nc_u64_e32 v[14:15], v[14:15], v[6:7]
	s_branch .LBB127_1748
.LBB127_1738:
	s_or_b32 exec_lo, exec_lo, s6
	s_and_saveexec_b32 s6, s88
	s_cbranch_execnz .LBB127_1807
.LBB127_1739:
	s_or_b32 exec_lo, exec_lo, s6
	s_and_saveexec_b32 s6, s8
	s_delay_alu instid0(SALU_CYCLE_1)
	s_xor_b32 s6, exec_lo, s6
	s_cbranch_execz .LBB127_1808
.LBB127_1740:
	s_wait_loadcnt 0x0
	global_load_u8 v3, v[8:9], off
	s_mov_b32 s7, 0
	s_or_b32 s9, s9, exec_lo
	v_mov_b32_e32 v15, s7
	s_wait_loadcnt 0x0
	v_cmp_ne_u16_e32 vcc_lo, 0, v3
	v_cndmask_b32_e64 v14, 0, 1, vcc_lo
	s_wait_xcnt 0x0
	s_or_b32 exec_lo, exec_lo, s6
	s_and_saveexec_b32 s6, s11
	s_cbranch_execz .LBB127_1854
	s_branch .LBB127_1809
.LBB127_1741:
	s_mov_b32 s7, -1
	s_mov_b32 s10, 0
	s_mov_b32 s8, s88
                                        ; implicit-def: $vgpr14_vgpr15
	s_branch .LBB127_1806
.LBB127_1742:
	s_mov_b32 s8, s88
                                        ; implicit-def: $vgpr14_vgpr15
	s_cbranch_execnz .LBB127_1775
	s_branch .LBB127_1805
.LBB127_1743:
	s_mov_b32 s11, -1
	s_mov_b32 s8, s88
                                        ; implicit-def: $vgpr14_vgpr15
	s_branch .LBB127_1758
.LBB127_1744:
	s_mov_b32 s11, -1
	s_mov_b32 s8, s88
                                        ; implicit-def: $vgpr14_vgpr15
	s_branch .LBB127_1753
.LBB127_1745:
	s_mov_b32 s11, -1
	s_mov_b32 s8, s88
	s_branch .LBB127_1747
.LBB127_1746:
	s_mov_b32 s8, -1
.LBB127_1747:
                                        ; implicit-def: $vgpr14_vgpr15
.LBB127_1748:
	s_and_b32 vcc_lo, exec_lo, s11
	s_cbranch_vccz .LBB127_1752
; %bb.1749:
	s_cmp_eq_u32 s7, 44
	s_cbranch_scc0 .LBB127_1751
; %bb.1750:
	global_load_u8 v3, v[8:9], off
	s_mov_b32 s8, 0
	s_mov_b32 s9, -1
	s_wait_loadcnt 0x0
	v_lshlrev_b32_e32 v6, 23, v3
	v_cmp_ne_u32_e32 vcc_lo, 0, v3
	s_delay_alu instid0(VALU_DEP_2) | instskip(NEXT) | instid1(VALU_DEP_1)
	v_trunc_f32_e32 v6, v6
	v_mul_f32_e64 v7, 0x2f800000, |v6|
	s_delay_alu instid0(VALU_DEP_1) | instskip(NEXT) | instid1(VALU_DEP_1)
	v_floor_f32_e32 v7, v7
	v_fma_f32 v14, 0xcf800000, v7, |v6|
	v_ashrrev_i32_e32 v6, 31, v6
	v_cvt_u32_f32_e32 v15, v7
	s_delay_alu instid0(VALU_DEP_3) | instskip(NEXT) | instid1(VALU_DEP_2)
	v_cvt_u32_f32_e32 v14, v14
	v_dual_mov_b32 v7, v6 :: v_dual_bitop2_b32 v15, v15, v6 bitop3:0x14
	s_delay_alu instid0(VALU_DEP_2) | instskip(NEXT) | instid1(VALU_DEP_1)
	v_xor_b32_e32 v14, v14, v6
	v_sub_nc_u64_e32 v[6:7], v[14:15], v[6:7]
	s_delay_alu instid0(VALU_DEP_1)
	v_dual_cndmask_b32 v15, 0, v7 :: v_dual_cndmask_b32 v14, 0, v6
	s_branch .LBB127_1752
.LBB127_1751:
	s_mov_b32 s8, -1
                                        ; implicit-def: $vgpr14_vgpr15
.LBB127_1752:
	s_mov_b32 s11, 0
.LBB127_1753:
	s_delay_alu instid0(SALU_CYCLE_1)
	s_and_b32 vcc_lo, exec_lo, s11
	s_cbranch_vccz .LBB127_1757
; %bb.1754:
	s_cmp_eq_u32 s7, 29
	s_cbranch_scc0 .LBB127_1756
; %bb.1755:
	global_load_b64 v[14:15], v[8:9], off
	s_mov_b32 s8, 0
	s_mov_b32 s9, -1
	s_branch .LBB127_1757
.LBB127_1756:
	s_mov_b32 s8, -1
                                        ; implicit-def: $vgpr14_vgpr15
.LBB127_1757:
	s_mov_b32 s11, 0
.LBB127_1758:
	s_delay_alu instid0(SALU_CYCLE_1)
	s_and_b32 vcc_lo, exec_lo, s11
	s_cbranch_vccz .LBB127_1774
; %bb.1759:
	s_cmp_lt_i32 s7, 27
	s_cbranch_scc1 .LBB127_1762
; %bb.1760:
	s_cmp_gt_i32 s7, 27
	s_cbranch_scc0 .LBB127_1763
; %bb.1761:
	s_wait_loadcnt 0x0
	global_load_b32 v14, v[8:9], off
	v_mov_b32_e32 v15, 0
	s_mov_b32 s9, 0
	s_branch .LBB127_1764
.LBB127_1762:
	s_mov_b32 s9, -1
                                        ; implicit-def: $vgpr14_vgpr15
	s_branch .LBB127_1767
.LBB127_1763:
	s_mov_b32 s9, -1
                                        ; implicit-def: $vgpr14_vgpr15
.LBB127_1764:
	s_delay_alu instid0(SALU_CYCLE_1)
	s_and_not1_b32 vcc_lo, exec_lo, s9
	s_cbranch_vccnz .LBB127_1766
; %bb.1765:
	global_load_u16 v3, v[8:9], off
	s_mov_b32 s9, 0
	s_wait_loadcnt 0x1
	v_mov_b32_e32 v15, s9
	s_wait_loadcnt 0x0
	v_and_b32_e32 v14, 0xffff, v3
.LBB127_1766:
	s_mov_b32 s9, 0
.LBB127_1767:
	s_delay_alu instid0(SALU_CYCLE_1)
	s_and_not1_b32 vcc_lo, exec_lo, s9
	s_cbranch_vccnz .LBB127_1773
; %bb.1768:
	global_load_u8 v3, v[8:9], off
	s_mov_b32 s11, 0
	s_mov_b32 s9, exec_lo
	s_wait_loadcnt 0x0
	v_cmpx_lt_i16_e32 0x7f, v3
	s_xor_b32 s9, exec_lo, s9
	s_cbranch_execz .LBB127_1784
; %bb.1769:
	v_cmp_ne_u16_e32 vcc_lo, 0x80, v3
	s_and_b32 s11, vcc_lo, exec_lo
	s_and_not1_saveexec_b32 s9, s9
	s_cbranch_execnz .LBB127_1785
.LBB127_1770:
	s_or_b32 exec_lo, exec_lo, s9
	v_mov_b64_e32 v[14:15], 0
	s_and_saveexec_b32 s9, s11
	s_cbranch_execz .LBB127_1772
.LBB127_1771:
	v_and_b32_e32 v6, 0xffff, v3
	s_delay_alu instid0(VALU_DEP_1) | instskip(SKIP_1) | instid1(VALU_DEP_2)
	v_dual_lshlrev_b32 v3, 24, v3 :: v_dual_bitop2_b32 v7, 7, v6 bitop3:0x40
	v_bfe_u32 v16, v6, 3, 4
	v_and_b32_e32 v3, 0x80000000, v3
	s_delay_alu instid0(VALU_DEP_3) | instskip(NEXT) | instid1(VALU_DEP_3)
	v_clz_i32_u32_e32 v14, v7
	v_cmp_eq_u32_e32 vcc_lo, 0, v16
	s_delay_alu instid0(VALU_DEP_2) | instskip(NEXT) | instid1(VALU_DEP_1)
	v_min_u32_e32 v14, 32, v14
	v_subrev_nc_u32_e32 v15, 28, v14
	v_sub_nc_u32_e32 v14, 29, v14
	s_delay_alu instid0(VALU_DEP_2) | instskip(NEXT) | instid1(VALU_DEP_2)
	v_lshlrev_b32_e32 v6, v15, v6
	v_cndmask_b32_e32 v14, v16, v14, vcc_lo
	s_delay_alu instid0(VALU_DEP_2) | instskip(NEXT) | instid1(VALU_DEP_1)
	v_and_b32_e32 v6, 7, v6
	v_cndmask_b32_e32 v6, v7, v6, vcc_lo
	s_delay_alu instid0(VALU_DEP_3) | instskip(NEXT) | instid1(VALU_DEP_2)
	v_lshl_add_u32 v7, v14, 23, 0x3b800000
	v_lshlrev_b32_e32 v6, 20, v6
	s_delay_alu instid0(VALU_DEP_1) | instskip(NEXT) | instid1(VALU_DEP_1)
	v_or3_b32 v3, v3, v7, v6
	v_trunc_f32_e32 v3, v3
	s_delay_alu instid0(VALU_DEP_1) | instskip(NEXT) | instid1(VALU_DEP_1)
	v_mul_f32_e64 v6, 0x2f800000, |v3|
	v_floor_f32_e32 v7, v6
	v_ashrrev_i32_e32 v6, 31, v3
	s_delay_alu instid0(VALU_DEP_2) | instskip(SKIP_1) | instid1(VALU_DEP_3)
	v_fma_f32 v14, 0xcf800000, v7, |v3|
	v_cvt_u32_f32_e32 v3, v7
	v_mov_b32_e32 v7, v6
	s_delay_alu instid0(VALU_DEP_3) | instskip(NEXT) | instid1(VALU_DEP_3)
	v_cvt_u32_f32_e32 v14, v14
	v_xor_b32_e32 v15, v3, v6
	s_delay_alu instid0(VALU_DEP_2) | instskip(NEXT) | instid1(VALU_DEP_1)
	v_xor_b32_e32 v14, v14, v6
	v_sub_nc_u64_e32 v[14:15], v[14:15], v[6:7]
.LBB127_1772:
	s_or_b32 exec_lo, exec_lo, s9
.LBB127_1773:
	s_mov_b32 s9, -1
.LBB127_1774:
	s_branch .LBB127_1805
.LBB127_1775:
	s_cmp_gt_i32 s7, 22
	s_cbranch_scc0 .LBB127_1783
; %bb.1776:
	s_cmp_lt_i32 s7, 24
	s_cbranch_scc1 .LBB127_1786
; %bb.1777:
	s_cmp_gt_i32 s7, 24
	s_cbranch_scc0 .LBB127_1787
; %bb.1778:
	global_load_u8 v3, v[8:9], off
	s_mov_b32 s9, exec_lo
	s_wait_loadcnt 0x0
	v_cmpx_lt_i16_e32 0x7f, v3
	s_xor_b32 s9, exec_lo, s9
	s_cbranch_execz .LBB127_1799
; %bb.1779:
	v_cmp_ne_u16_e32 vcc_lo, 0x80, v3
	s_and_b32 s10, vcc_lo, exec_lo
	s_and_not1_saveexec_b32 s9, s9
	s_cbranch_execnz .LBB127_1800
.LBB127_1780:
	s_or_b32 exec_lo, exec_lo, s9
	v_mov_b64_e32 v[14:15], 0
	s_and_saveexec_b32 s9, s10
	s_cbranch_execz .LBB127_1782
.LBB127_1781:
	v_and_b32_e32 v6, 0xffff, v3
	s_delay_alu instid0(VALU_DEP_1) | instskip(SKIP_1) | instid1(VALU_DEP_2)
	v_dual_lshlrev_b32 v3, 24, v3 :: v_dual_bitop2_b32 v7, 3, v6 bitop3:0x40
	v_bfe_u32 v16, v6, 2, 5
	v_and_b32_e32 v3, 0x80000000, v3
	s_delay_alu instid0(VALU_DEP_3) | instskip(NEXT) | instid1(VALU_DEP_3)
	v_clz_i32_u32_e32 v14, v7
	v_cmp_eq_u32_e32 vcc_lo, 0, v16
	s_delay_alu instid0(VALU_DEP_2) | instskip(NEXT) | instid1(VALU_DEP_1)
	v_min_u32_e32 v14, 32, v14
	v_subrev_nc_u32_e32 v15, 29, v14
	v_sub_nc_u32_e32 v14, 30, v14
	s_delay_alu instid0(VALU_DEP_2) | instskip(NEXT) | instid1(VALU_DEP_2)
	v_lshlrev_b32_e32 v6, v15, v6
	v_cndmask_b32_e32 v14, v16, v14, vcc_lo
	s_delay_alu instid0(VALU_DEP_2) | instskip(NEXT) | instid1(VALU_DEP_1)
	v_and_b32_e32 v6, 3, v6
	v_cndmask_b32_e32 v6, v7, v6, vcc_lo
	s_delay_alu instid0(VALU_DEP_3) | instskip(NEXT) | instid1(VALU_DEP_2)
	v_lshl_add_u32 v7, v14, 23, 0x37800000
	v_lshlrev_b32_e32 v6, 21, v6
	s_delay_alu instid0(VALU_DEP_1) | instskip(NEXT) | instid1(VALU_DEP_1)
	v_or3_b32 v3, v3, v7, v6
	v_trunc_f32_e32 v3, v3
	s_delay_alu instid0(VALU_DEP_1) | instskip(NEXT) | instid1(VALU_DEP_1)
	v_mul_f32_e64 v6, 0x2f800000, |v3|
	v_floor_f32_e32 v7, v6
	v_ashrrev_i32_e32 v6, 31, v3
	s_delay_alu instid0(VALU_DEP_2) | instskip(SKIP_1) | instid1(VALU_DEP_3)
	v_fma_f32 v14, 0xcf800000, v7, |v3|
	v_cvt_u32_f32_e32 v3, v7
	v_mov_b32_e32 v7, v6
	s_delay_alu instid0(VALU_DEP_3) | instskip(NEXT) | instid1(VALU_DEP_3)
	v_cvt_u32_f32_e32 v14, v14
	v_xor_b32_e32 v15, v3, v6
	s_delay_alu instid0(VALU_DEP_2) | instskip(NEXT) | instid1(VALU_DEP_1)
	v_xor_b32_e32 v14, v14, v6
	v_sub_nc_u64_e32 v[14:15], v[14:15], v[6:7]
.LBB127_1782:
	s_or_b32 exec_lo, exec_lo, s9
	s_mov_b32 s9, 0
	s_branch .LBB127_1788
.LBB127_1783:
	s_mov_b32 s10, -1
                                        ; implicit-def: $vgpr14_vgpr15
	s_branch .LBB127_1794
.LBB127_1784:
	s_and_not1_saveexec_b32 s9, s9
	s_cbranch_execz .LBB127_1770
.LBB127_1785:
	v_cmp_ne_u16_e32 vcc_lo, 0, v3
	s_and_not1_b32 s11, s11, exec_lo
	s_and_b32 s12, vcc_lo, exec_lo
	s_delay_alu instid0(SALU_CYCLE_1)
	s_or_b32 s11, s11, s12
	s_or_b32 exec_lo, exec_lo, s9
	v_mov_b64_e32 v[14:15], 0
	s_and_saveexec_b32 s9, s11
	s_cbranch_execnz .LBB127_1771
	s_branch .LBB127_1772
.LBB127_1786:
	s_mov_b32 s9, -1
                                        ; implicit-def: $vgpr14_vgpr15
	s_branch .LBB127_1791
.LBB127_1787:
	s_mov_b32 s9, -1
                                        ; implicit-def: $vgpr14_vgpr15
.LBB127_1788:
	s_delay_alu instid0(SALU_CYCLE_1)
	s_and_b32 vcc_lo, exec_lo, s9
	s_cbranch_vccz .LBB127_1790
; %bb.1789:
	global_load_u8 v3, v[8:9], off
	s_wait_loadcnt 0x0
	v_lshlrev_b32_e32 v3, 24, v3
	s_delay_alu instid0(VALU_DEP_1) | instskip(NEXT) | instid1(VALU_DEP_1)
	v_and_b32_e32 v6, 0x7f000000, v3
	v_clz_i32_u32_e32 v7, v6
	v_cmp_ne_u32_e32 vcc_lo, 0, v6
	v_add_nc_u32_e32 v15, 0x1000000, v6
	s_delay_alu instid0(VALU_DEP_3) | instskip(NEXT) | instid1(VALU_DEP_1)
	v_min_u32_e32 v7, 32, v7
	v_sub_nc_u32_e64 v7, v7, 4 clamp
	s_delay_alu instid0(VALU_DEP_1) | instskip(NEXT) | instid1(VALU_DEP_1)
	v_dual_lshlrev_b32 v14, v7, v6 :: v_dual_lshlrev_b32 v7, 23, v7
	v_lshrrev_b32_e32 v14, 4, v14
	s_delay_alu instid0(VALU_DEP_1) | instskip(SKIP_1) | instid1(VALU_DEP_2)
	v_sub_nc_u32_e32 v7, v14, v7
	v_ashrrev_i32_e32 v14, 8, v15
	v_add_nc_u32_e32 v7, 0x3c000000, v7
	s_delay_alu instid0(VALU_DEP_1) | instskip(NEXT) | instid1(VALU_DEP_1)
	v_and_or_b32 v7, 0x7f800000, v14, v7
	v_cndmask_b32_e32 v6, 0, v7, vcc_lo
	s_delay_alu instid0(VALU_DEP_1) | instskip(NEXT) | instid1(VALU_DEP_1)
	v_and_or_b32 v3, 0x80000000, v3, v6
	v_trunc_f32_e32 v3, v3
	s_delay_alu instid0(VALU_DEP_1) | instskip(NEXT) | instid1(VALU_DEP_1)
	v_mul_f32_e64 v6, 0x2f800000, |v3|
	v_floor_f32_e32 v7, v6
	v_ashrrev_i32_e32 v6, 31, v3
	s_delay_alu instid0(VALU_DEP_2) | instskip(SKIP_1) | instid1(VALU_DEP_3)
	v_fma_f32 v14, 0xcf800000, v7, |v3|
	v_cvt_u32_f32_e32 v3, v7
	v_mov_b32_e32 v7, v6
	s_delay_alu instid0(VALU_DEP_3) | instskip(NEXT) | instid1(VALU_DEP_3)
	v_cvt_u32_f32_e32 v14, v14
	v_xor_b32_e32 v15, v3, v6
	s_delay_alu instid0(VALU_DEP_2) | instskip(NEXT) | instid1(VALU_DEP_1)
	v_xor_b32_e32 v14, v14, v6
	v_sub_nc_u64_e32 v[14:15], v[14:15], v[6:7]
.LBB127_1790:
	s_mov_b32 s9, 0
.LBB127_1791:
	s_delay_alu instid0(SALU_CYCLE_1)
	s_and_not1_b32 vcc_lo, exec_lo, s9
	s_cbranch_vccnz .LBB127_1793
; %bb.1792:
	global_load_u8 v3, v[8:9], off
	s_wait_loadcnt 0x0
	v_lshlrev_b32_e32 v6, 25, v3
	v_lshlrev_b16 v3, 8, v3
	s_delay_alu instid0(VALU_DEP_1) | instskip(SKIP_1) | instid1(VALU_DEP_2)
	v_and_or_b32 v14, 0x7f00, v3, 0.5
	v_bfe_i32 v3, v3, 0, 16
	v_add_f32_e32 v14, -0.5, v14
	v_lshrrev_b32_e32 v7, 4, v6
	v_cmp_gt_u32_e32 vcc_lo, 0x8000000, v6
	s_delay_alu instid0(VALU_DEP_2) | instskip(NEXT) | instid1(VALU_DEP_1)
	v_or_b32_e32 v7, 0x70000000, v7
	v_mul_f32_e32 v7, 0x7800000, v7
	s_delay_alu instid0(VALU_DEP_1) | instskip(NEXT) | instid1(VALU_DEP_1)
	v_cndmask_b32_e32 v6, v7, v14, vcc_lo
	v_and_or_b32 v3, 0x80000000, v3, v6
	s_delay_alu instid0(VALU_DEP_1) | instskip(NEXT) | instid1(VALU_DEP_1)
	v_trunc_f32_e32 v3, v3
	v_mul_f32_e64 v6, 0x2f800000, |v3|
	s_delay_alu instid0(VALU_DEP_1) | instskip(SKIP_1) | instid1(VALU_DEP_2)
	v_floor_f32_e32 v7, v6
	v_ashrrev_i32_e32 v6, 31, v3
	v_fma_f32 v14, 0xcf800000, v7, |v3|
	v_cvt_u32_f32_e32 v3, v7
	s_delay_alu instid0(VALU_DEP_3) | instskip(NEXT) | instid1(VALU_DEP_3)
	v_mov_b32_e32 v7, v6
	v_cvt_u32_f32_e32 v14, v14
	s_delay_alu instid0(VALU_DEP_3) | instskip(NEXT) | instid1(VALU_DEP_2)
	v_xor_b32_e32 v15, v3, v6
	v_xor_b32_e32 v14, v14, v6
	s_delay_alu instid0(VALU_DEP_1)
	v_sub_nc_u64_e32 v[14:15], v[14:15], v[6:7]
.LBB127_1793:
	s_mov_b32 s10, 0
	s_mov_b32 s9, -1
.LBB127_1794:
	s_and_not1_b32 vcc_lo, exec_lo, s10
	s_mov_b32 s10, 0
	s_cbranch_vccnz .LBB127_1805
; %bb.1795:
	s_cmp_gt_i32 s7, 14
	s_cbranch_scc0 .LBB127_1798
; %bb.1796:
	s_cmp_eq_u32 s7, 15
	s_cbranch_scc0 .LBB127_1801
; %bb.1797:
	global_load_u16 v3, v[8:9], off
	s_mov_b32 s8, 0
	s_mov_b32 s9, -1
	s_wait_loadcnt 0x0
	v_lshlrev_b32_e32 v3, 16, v3
	s_delay_alu instid0(VALU_DEP_1) | instskip(NEXT) | instid1(VALU_DEP_1)
	v_trunc_f32_e32 v3, v3
	v_mul_f32_e64 v6, 0x2f800000, |v3|
	s_delay_alu instid0(VALU_DEP_1) | instskip(SKIP_1) | instid1(VALU_DEP_2)
	v_floor_f32_e32 v7, v6
	v_ashrrev_i32_e32 v6, 31, v3
	v_fma_f32 v14, 0xcf800000, v7, |v3|
	v_cvt_u32_f32_e32 v3, v7
	s_delay_alu instid0(VALU_DEP_3) | instskip(NEXT) | instid1(VALU_DEP_3)
	v_mov_b32_e32 v7, v6
	v_cvt_u32_f32_e32 v14, v14
	s_delay_alu instid0(VALU_DEP_3) | instskip(NEXT) | instid1(VALU_DEP_2)
	v_xor_b32_e32 v15, v3, v6
	v_xor_b32_e32 v14, v14, v6
	s_delay_alu instid0(VALU_DEP_1)
	v_sub_nc_u64_e32 v[14:15], v[14:15], v[6:7]
	s_branch .LBB127_1803
.LBB127_1798:
	s_mov_b32 s10, -1
	s_branch .LBB127_1802
.LBB127_1799:
	s_and_not1_saveexec_b32 s9, s9
	s_cbranch_execz .LBB127_1780
.LBB127_1800:
	v_cmp_ne_u16_e32 vcc_lo, 0, v3
	s_and_not1_b32 s10, s10, exec_lo
	s_and_b32 s11, vcc_lo, exec_lo
	s_delay_alu instid0(SALU_CYCLE_1)
	s_or_b32 s10, s10, s11
	s_or_b32 exec_lo, exec_lo, s9
	v_mov_b64_e32 v[14:15], 0
	s_and_saveexec_b32 s9, s10
	s_cbranch_execnz .LBB127_1781
	s_branch .LBB127_1782
.LBB127_1801:
	s_mov_b32 s8, -1
.LBB127_1802:
                                        ; implicit-def: $vgpr14_vgpr15
.LBB127_1803:
	s_and_b32 vcc_lo, exec_lo, s10
	s_mov_b32 s10, 0
	s_cbranch_vccz .LBB127_1805
; %bb.1804:
	s_cmp_lg_u32 s7, 11
	s_mov_b32 s10, -1
	s_cselect_b32 s7, -1, 0
	s_and_not1_b32 s8, s8, exec_lo
	s_and_b32 s7, s7, exec_lo
	s_delay_alu instid0(SALU_CYCLE_1)
	s_or_b32 s8, s8, s7
.LBB127_1805:
	s_mov_b32 s7, 0
.LBB127_1806:
	s_delay_alu instid0(SALU_CYCLE_1)
	s_and_b32 s11, s7, exec_lo
	s_and_not1_b32 s7, s88, exec_lo
	s_and_b32 s12, s8, exec_lo
	s_and_b32 s9, s9, exec_lo
	s_and_b32 s8, s10, exec_lo
	s_or_b32 s88, s7, s12
	s_wait_xcnt 0x0
	s_or_b32 exec_lo, exec_lo, s6
	s_and_saveexec_b32 s6, s88
	s_cbranch_execz .LBB127_1739
.LBB127_1807:
	s_or_b32 s1, s1, exec_lo
	s_and_not1_b32 s8, s8, exec_lo
	s_trap 2
	s_or_b32 exec_lo, exec_lo, s6
	s_and_saveexec_b32 s6, s8
	s_delay_alu instid0(SALU_CYCLE_1)
	s_xor_b32 s6, exec_lo, s6
	s_cbranch_execnz .LBB127_1740
.LBB127_1808:
	s_or_b32 exec_lo, exec_lo, s6
	s_and_saveexec_b32 s6, s11
	s_cbranch_execz .LBB127_1854
.LBB127_1809:
	s_sext_i32_i16 s7, s0
	s_delay_alu instid0(SALU_CYCLE_1)
	s_cmp_lt_i32 s7, 5
	s_cbranch_scc1 .LBB127_1814
; %bb.1810:
	s_cmp_lt_i32 s7, 8
	s_cbranch_scc1 .LBB127_1815
; %bb.1811:
	;; [unrolled: 3-line block ×3, first 2 shown]
	s_cmp_gt_i32 s7, 9
	s_cbranch_scc0 .LBB127_1817
; %bb.1813:
	s_wait_loadcnt 0x0
	global_load_b64 v[6:7], v[8:9], off
	s_mov_b32 s7, 0
	s_wait_loadcnt 0x0
	v_trunc_f64_e32 v[6:7], v[6:7]
	s_delay_alu instid0(VALU_DEP_1) | instskip(NEXT) | instid1(VALU_DEP_1)
	v_ldexp_f64 v[14:15], v[6:7], 0xffffffe0
	v_floor_f64_e32 v[14:15], v[14:15]
	s_delay_alu instid0(VALU_DEP_1) | instskip(SKIP_1) | instid1(VALU_DEP_2)
	v_fmamk_f64 v[6:7], v[14:15], 0xc1f00000, v[6:7]
	v_cvt_i32_f64_e32 v15, v[14:15]
	v_cvt_u32_f64_e32 v14, v[6:7]
	s_branch .LBB127_1818
.LBB127_1814:
                                        ; implicit-def: $vgpr14_vgpr15
	s_branch .LBB127_1835
.LBB127_1815:
                                        ; implicit-def: $vgpr14_vgpr15
	s_branch .LBB127_1824
.LBB127_1816:
	s_mov_b32 s7, -1
                                        ; implicit-def: $vgpr14_vgpr15
	s_branch .LBB127_1821
.LBB127_1817:
	s_mov_b32 s7, -1
                                        ; implicit-def: $vgpr14_vgpr15
.LBB127_1818:
	s_delay_alu instid0(SALU_CYCLE_1)
	s_and_not1_b32 vcc_lo, exec_lo, s7
	s_cbranch_vccnz .LBB127_1820
; %bb.1819:
	s_wait_loadcnt 0x0
	global_load_b32 v3, v[8:9], off
	s_wait_loadcnt 0x0
	v_trunc_f32_e32 v3, v3
	s_delay_alu instid0(VALU_DEP_1) | instskip(NEXT) | instid1(VALU_DEP_1)
	v_mul_f32_e64 v6, 0x2f800000, |v3|
	v_floor_f32_e32 v7, v6
	v_ashrrev_i32_e32 v6, 31, v3
	s_delay_alu instid0(VALU_DEP_2) | instskip(SKIP_1) | instid1(VALU_DEP_3)
	v_fma_f32 v14, 0xcf800000, v7, |v3|
	v_cvt_u32_f32_e32 v3, v7
	v_mov_b32_e32 v7, v6
	s_delay_alu instid0(VALU_DEP_3) | instskip(NEXT) | instid1(VALU_DEP_3)
	v_cvt_u32_f32_e32 v14, v14
	v_xor_b32_e32 v15, v3, v6
	s_delay_alu instid0(VALU_DEP_2) | instskip(NEXT) | instid1(VALU_DEP_1)
	v_xor_b32_e32 v14, v14, v6
	v_sub_nc_u64_e32 v[14:15], v[14:15], v[6:7]
.LBB127_1820:
	s_mov_b32 s7, 0
.LBB127_1821:
	s_delay_alu instid0(SALU_CYCLE_1)
	s_and_not1_b32 vcc_lo, exec_lo, s7
	s_cbranch_vccnz .LBB127_1823
; %bb.1822:
	s_wait_loadcnt 0x0
	global_load_b32 v3, v[8:9], off
	s_wait_loadcnt 0x0
	v_cvt_f32_f16_e32 v3, v3
	s_delay_alu instid0(VALU_DEP_1) | instskip(NEXT) | instid1(VALU_DEP_1)
	v_cvt_i32_f32_e32 v14, v3
	v_ashrrev_i32_e32 v15, 31, v14
.LBB127_1823:
	s_cbranch_execnz .LBB127_1834
.LBB127_1824:
	s_sext_i32_i16 s7, s0
	s_delay_alu instid0(SALU_CYCLE_1)
	s_cmp_lt_i32 s7, 6
	s_cbranch_scc1 .LBB127_1827
; %bb.1825:
	s_cmp_gt_i32 s7, 6
	s_cbranch_scc0 .LBB127_1828
; %bb.1826:
	s_wait_loadcnt 0x0
	global_load_b64 v[6:7], v[8:9], off
	s_mov_b32 s7, 0
	s_wait_loadcnt 0x0
	v_trunc_f64_e32 v[6:7], v[6:7]
	s_delay_alu instid0(VALU_DEP_1) | instskip(NEXT) | instid1(VALU_DEP_1)
	v_ldexp_f64 v[14:15], v[6:7], 0xffffffe0
	v_floor_f64_e32 v[14:15], v[14:15]
	s_delay_alu instid0(VALU_DEP_1) | instskip(SKIP_1) | instid1(VALU_DEP_2)
	v_fmamk_f64 v[6:7], v[14:15], 0xc1f00000, v[6:7]
	v_cvt_i32_f64_e32 v15, v[14:15]
	v_cvt_u32_f64_e32 v14, v[6:7]
	s_branch .LBB127_1829
.LBB127_1827:
	s_mov_b32 s7, -1
                                        ; implicit-def: $vgpr14_vgpr15
	s_branch .LBB127_1832
.LBB127_1828:
	s_mov_b32 s7, -1
                                        ; implicit-def: $vgpr14_vgpr15
.LBB127_1829:
	s_delay_alu instid0(SALU_CYCLE_1)
	s_and_not1_b32 vcc_lo, exec_lo, s7
	s_cbranch_vccnz .LBB127_1831
; %bb.1830:
	s_wait_loadcnt 0x0
	global_load_b32 v3, v[8:9], off
	s_wait_loadcnt 0x0
	v_trunc_f32_e32 v3, v3
	s_delay_alu instid0(VALU_DEP_1) | instskip(NEXT) | instid1(VALU_DEP_1)
	v_mul_f32_e64 v6, 0x2f800000, |v3|
	v_floor_f32_e32 v7, v6
	v_ashrrev_i32_e32 v6, 31, v3
	s_delay_alu instid0(VALU_DEP_2) | instskip(SKIP_1) | instid1(VALU_DEP_3)
	v_fma_f32 v14, 0xcf800000, v7, |v3|
	v_cvt_u32_f32_e32 v3, v7
	v_mov_b32_e32 v7, v6
	s_delay_alu instid0(VALU_DEP_3) | instskip(NEXT) | instid1(VALU_DEP_3)
	v_cvt_u32_f32_e32 v14, v14
	v_xor_b32_e32 v15, v3, v6
	s_delay_alu instid0(VALU_DEP_2) | instskip(NEXT) | instid1(VALU_DEP_1)
	v_xor_b32_e32 v14, v14, v6
	v_sub_nc_u64_e32 v[14:15], v[14:15], v[6:7]
.LBB127_1831:
	s_mov_b32 s7, 0
.LBB127_1832:
	s_delay_alu instid0(SALU_CYCLE_1)
	s_and_not1_b32 vcc_lo, exec_lo, s7
	s_cbranch_vccnz .LBB127_1834
; %bb.1833:
	s_wait_loadcnt 0x0
	global_load_u16 v3, v[8:9], off
	s_wait_loadcnt 0x0
	v_cvt_f32_f16_e32 v3, v3
	s_delay_alu instid0(VALU_DEP_1) | instskip(NEXT) | instid1(VALU_DEP_1)
	v_cvt_i32_f32_e32 v14, v3
	v_ashrrev_i32_e32 v15, 31, v14
.LBB127_1834:
	s_cbranch_execnz .LBB127_1853
.LBB127_1835:
	s_sext_i32_i16 s7, s0
	s_delay_alu instid0(SALU_CYCLE_1)
	s_cmp_lt_i32 s7, 2
	s_cbranch_scc1 .LBB127_1839
; %bb.1836:
	s_cmp_lt_i32 s7, 3
	s_cbranch_scc1 .LBB127_1840
; %bb.1837:
	s_cmp_gt_i32 s7, 3
	s_cbranch_scc0 .LBB127_1841
; %bb.1838:
	s_wait_loadcnt 0x0
	global_load_b64 v[14:15], v[8:9], off
	s_mov_b32 s7, 0
	s_branch .LBB127_1842
.LBB127_1839:
                                        ; implicit-def: $vgpr14_vgpr15
	s_branch .LBB127_1848
.LBB127_1840:
	s_mov_b32 s7, -1
                                        ; implicit-def: $vgpr14_vgpr15
	s_branch .LBB127_1845
.LBB127_1841:
	s_mov_b32 s7, -1
                                        ; implicit-def: $vgpr14_vgpr15
.LBB127_1842:
	s_delay_alu instid0(SALU_CYCLE_1)
	s_and_not1_b32 vcc_lo, exec_lo, s7
	s_cbranch_vccnz .LBB127_1844
; %bb.1843:
	s_wait_loadcnt 0x0
	global_load_b32 v14, v[8:9], off
	s_wait_loadcnt 0x0
	v_ashrrev_i32_e32 v15, 31, v14
.LBB127_1844:
	s_mov_b32 s7, 0
.LBB127_1845:
	s_delay_alu instid0(SALU_CYCLE_1)
	s_and_not1_b32 vcc_lo, exec_lo, s7
	s_cbranch_vccnz .LBB127_1847
; %bb.1846:
	s_wait_loadcnt 0x0
	global_load_u16 v3, v[8:9], off
	s_wait_loadcnt 0x0
	v_bfe_i32 v14, v3, 0, 16
	s_delay_alu instid0(VALU_DEP_1)
	v_ashrrev_i32_e32 v15, 31, v14
.LBB127_1847:
	s_cbranch_execnz .LBB127_1853
.LBB127_1848:
	s_sext_i32_i16 s0, s0
	s_delay_alu instid0(SALU_CYCLE_1)
	s_cmp_gt_i32 s0, 0
	s_mov_b32 s0, 0
	s_cbranch_scc0 .LBB127_1850
; %bb.1849:
	s_wait_loadcnt 0x0
	global_load_i8 v3, v[8:9], off
	s_wait_loadcnt 0x0
	v_bfe_i32 v14, v3, 0, 16
	s_delay_alu instid0(VALU_DEP_1)
	v_ashrrev_i32_e32 v15, 31, v14
	s_branch .LBB127_1851
.LBB127_1850:
	s_mov_b32 s0, -1
                                        ; implicit-def: $vgpr14_vgpr15
.LBB127_1851:
	s_delay_alu instid0(SALU_CYCLE_1)
	s_and_not1_b32 vcc_lo, exec_lo, s0
	s_cbranch_vccnz .LBB127_1853
; %bb.1852:
	s_wait_loadcnt 0x0
	global_load_u8 v3, v[8:9], off
	s_mov_b32 s0, 0
	s_delay_alu instid0(SALU_CYCLE_1)
	v_mov_b32_e32 v15, s0
	s_wait_loadcnt 0x0
	v_and_b32_e32 v14, 0xffff, v3
.LBB127_1853:
	s_or_b32 s9, s9, exec_lo
.LBB127_1854:
	s_wait_xcnt 0x0
	s_or_b32 exec_lo, exec_lo, s6
	s_mov_b32 s0, 0
	s_and_saveexec_b32 s6, s9
	s_delay_alu instid0(SALU_CYCLE_1)
	s_xor_b32 s6, exec_lo, s6
	s_cbranch_execz .LBB127_1856
; %bb.1855:
	s_load_b512 s[36:51], s[2:3], 0x248
	s_xor_b32 s7, s81, -1
	s_and_not1_b32 s8, s87, exec_lo
	s_mov_b32 s0, exec_lo
	s_wait_loadcnt 0x0
	s_wait_kmcnt 0x0
	v_cmp_ne_u64_e32 vcc_lo, s[48:49], v[4:5]
	s_or_b32 s7, s7, vcc_lo
	s_delay_alu instid0(SALU_CYCLE_1) | instskip(NEXT) | instid1(SALU_CYCLE_1)
	s_and_b32 s7, s7, exec_lo
	s_or_b32 s87, s8, s7
.LBB127_1856:
	s_or_b32 exec_lo, exec_lo, s6
	s_and_saveexec_b32 s6, s87
	s_cbranch_execnz .LBB127_1893
.LBB127_1857:
	s_or_b32 exec_lo, exec_lo, s6
	s_mov_b32 s7, 0
	s_and_saveexec_b32 s6, s0
	s_delay_alu instid0(SALU_CYCLE_1)
	s_xor_b32 s0, exec_lo, s6
	s_cbranch_execz .LBB127_1859
; %bb.1858:
	s_wait_loadcnt 0x0
	v_cmp_ne_u64_e32 vcc_lo, s[20:21], v[0:1]
	s_xor_b32 s6, s52, -1
	s_and_not1_b32 s8, s86, exec_lo
	s_mov_b32 s7, exec_lo
	s_or_b32 s6, s6, vcc_lo
	s_delay_alu instid0(SALU_CYCLE_1) | instskip(NEXT) | instid1(SALU_CYCLE_1)
	s_and_b32 s6, s6, exec_lo
	s_or_b32 s86, s8, s6
.LBB127_1859:
	s_or_b32 exec_lo, exec_lo, s0
	s_and_saveexec_b32 s0, s86
	s_cbranch_execnz .LBB127_1894
.LBB127_1860:
	s_or_b32 exec_lo, exec_lo, s0
	s_mov_b32 s6, 0
	s_and_saveexec_b32 s0, s7
	s_delay_alu instid0(SALU_CYCLE_1)
	s_xor_b32 s7, exec_lo, s0
	s_cbranch_execz .LBB127_1872
; %bb.1861:
	s_load_b512 s[36:51], s[2:3], 0x248
	s_wait_loadcnt 0x0
	v_sub_nc_u64_e32 v[0:1], v[12:13], v[10:11]
	s_and_not1_b32 s8, s85, exec_lo
	s_mov_b32 s6, exec_lo
	s_wait_kmcnt 0x0
	s_mov_b64 s[16:17], s[48:49]
	s_mov_b64 s[18:19], s[50:51]
	s_delay_alu instid0(VALU_DEP_1) | instskip(SKIP_2) | instid1(SALU_CYCLE_1)
	v_cmp_le_i64_e32 vcc_lo, s[16:17], v[0:1]
	v_cmp_ge_i64_e64 s0, s[18:19], v[0:1]
	s_and_b32 s0, vcc_lo, s0
	s_and_b32 s0, s77, s0
	s_delay_alu instid0(SALU_CYCLE_1) | instskip(NEXT) | instid1(SALU_CYCLE_1)
	s_xor_b32 s0, s0, -1
	s_and_b32 s0, s0, exec_lo
	s_delay_alu instid0(SALU_CYCLE_1)
	s_or_b32 s85, s8, s0
	s_or_b32 exec_lo, exec_lo, s7
	s_and_saveexec_b32 s0, s85
	s_cbranch_execz .LBB127_1873
.LBB127_1862:
	s_or_b32 s1, s1, exec_lo
	s_and_not1_b32 s6, s6, exec_lo
	s_trap 2
	s_or_b32 exec_lo, exec_lo, s0
	s_mov_b32 s8, 0
	s_and_saveexec_b32 s18, s6
	s_cbranch_execnz .LBB127_1874
.LBB127_1863:
	s_or_b32 exec_lo, exec_lo, s18
	s_and_saveexec_b32 s0, s71
	s_cbranch_execnz .LBB127_1892
.LBB127_1864:
	s_or_b32 exec_lo, exec_lo, s0
	s_mov_b32 s9, 0
	s_mov_b32 s7, 0
                                        ; implicit-def: $sgpr0
                                        ; implicit-def: $vgpr0_vgpr1
	s_and_saveexec_b32 s6, s8
	s_cbranch_execz .LBB127_1881
; %bb.1865:
	s_load_b512 s[8:23], s[2:3], 0x248
	v_mov_b32_e32 v3, 0
	s_and_b32 s0, s30, 0xff
	s_delay_alu instid0(SALU_CYCLE_1)
	s_cmp_lt_i32 s0, 11
	s_wait_loadcnt 0x0
	s_wait_kmcnt 0x0
	v_add_nc_u64_e32 v[0:1], s[8:9], v[2:3]
	s_cbranch_scc1 .LBB127_1889
; %bb.1866:
	s_and_b32 s5, 0xffff, s0
	s_mov_b32 s7, -1
	s_cmp_gt_i32 s5, 25
	s_mov_b32 s4, s70
	s_cbranch_scc0 .LBB127_1914
; %bb.1867:
	s_cmp_gt_i32 s5, 28
	s_mov_b32 s4, s70
	s_cbranch_scc0 .LBB127_1904
; %bb.1868:
	;; [unrolled: 4-line block ×4, first 2 shown]
	s_cmp_eq_u32 s5, 46
	s_mov_b32 s4, -1
	s_cbranch_scc0 .LBB127_1895
; %bb.1871:
	v_mov_b32_e32 v2, 0
	s_mov_b32 s4, 0
	s_mov_b32 s7, 0
	global_store_b32 v[0:1], v2, off
	s_branch .LBB127_1896
.LBB127_1872:
	s_or_b32 exec_lo, exec_lo, s7
	s_and_saveexec_b32 s0, s85
	s_cbranch_execnz .LBB127_1862
.LBB127_1873:
	s_or_b32 exec_lo, exec_lo, s0
	s_mov_b32 s8, 0
	s_and_saveexec_b32 s18, s6
	s_cbranch_execz .LBB127_1863
.LBB127_1874:
	v_cmp_lt_i64_e64 s0, s[20:21], 1
	s_wait_loadcnt 0x0
	v_mov_b64_e32 v[0:1], 0
	s_xor_b32 s6, s76, -1
	s_delay_alu instid0(SALU_CYCLE_1) | instskip(NEXT) | instid1(SALU_CYCLE_1)
	s_or_b32 s0, s0, s6
	s_and_b32 vcc_lo, exec_lo, s0
	s_cbranch_vccnz .LBB127_1884
; %bb.1875:
	v_mul_u64_e32 v[6:7], s[20:21], v[14:15]
	v_mov_b64_e32 v[0:1], 0
	s_mov_b32 s35, 0
	v_mov_b32_e32 v4, 0
	s_lshl_b64 s[10:11], s[34:35], 3
	s_mov_b64 s[6:7], 0xffffffff
	s_add_nc_u64 s[8:9], s[24:25], s[10:11]
	s_add_nc_u64 s[10:11], s[26:27], s[10:11]
	s_branch .LBB127_1877
.LBB127_1876:                           ;   in Loop: Header=BB127_1877 Depth=1
	s_or_b32 exec_lo, exec_lo, s0
	global_load_b64 v[14:15], v4, s[10:11]
	v_mul_u64_e32 v[16:17], s[12:13], v[8:9]
	s_add_co_i32 s22, s22, -1
	s_add_nc_u64 s[8:9], s[8:9], -8
	s_cmp_lg_u32 s22, 0
	s_wait_xcnt 0x0
	s_add_nc_u64 s[10:11], s[10:11], -8
	s_delay_alu instid0(VALU_DEP_1) | instskip(SKIP_1) | instid1(VALU_DEP_1)
	v_sub_nc_u64_e32 v[6:7], v[6:7], v[16:17]
	s_wait_loadcnt 0x0
	v_mad_nc_u64_u32 v[0:1], v6, v14, v[0:1]
	s_delay_alu instid0(VALU_DEP_1) | instskip(NEXT) | instid1(VALU_DEP_1)
	v_mad_u32 v1, v7, v14, v1
	v_mad_u32 v1, v6, v15, v1
	v_mov_b64_e32 v[6:7], v[8:9]
	s_cbranch_scc0 .LBB127_1884
.LBB127_1877:                           ; =>This Inner Loop Header: Depth=1
	global_load_b64 v[8:9], v4, s[8:9]
	s_mov_b32 s0, exec_lo
	s_wait_loadcnt 0x0
	v_or_b32_e32 v5, v7, v9
	v_readfirstlane_b32 s12, v8
	v_readfirstlane_b32 s13, v9
                                        ; implicit-def: $vgpr8_vgpr9
	s_wait_xcnt 0x0
	s_delay_alu instid0(VALU_DEP_3)
	v_cmpx_ne_u64_e32 0, v[4:5]
	s_xor_b32 s19, exec_lo, s0
	s_cbranch_execz .LBB127_1879
; %bb.1878:                             ;   in Loop: Header=BB127_1877 Depth=1
	s_ashr_i32 s14, s13, 31
	v_dual_mov_b32 v17, v4 :: v_dual_ashrrev_i32 v8, 31, v7
	s_mov_b32 s15, s14
	v_mov_b32_e32 v25, v4
	s_add_nc_u64 s[16:17], s[12:13], s[14:15]
	s_delay_alu instid0(VALU_DEP_2) | instskip(SKIP_1) | instid1(SALU_CYCLE_1)
	v_mov_b32_e32 v9, v8
	s_xor_b64 s[16:17], s[16:17], s[14:15]
	s_cvt_f32_u32 s0, s16
	s_cvt_f32_u32 s15, s17
	s_sub_nc_u64 s[24:25], 0, s[16:17]
	v_add_nc_u64_e32 v[14:15], v[6:7], v[8:9]
	v_mov_b32_e32 v21, v4
	s_fmamk_f32 s0, s15, 0x4f800000, s0
	s_delay_alu instid0(SALU_CYCLE_3) | instskip(NEXT) | instid1(VALU_DEP_2)
	v_s_rcp_f32 s0, s0
	v_xor_b32_e32 v16, v14, v8
	s_delay_alu instid0(VALU_DEP_3) | instskip(SKIP_1) | instid1(TRANS32_DEP_1)
	v_xor_b32_e32 v20, v15, v8
	v_xor_b32_e32 v8, s14, v8
	s_mul_f32 s0, s0, 0x5f7ffffc
	s_delay_alu instid0(SALU_CYCLE_3) | instskip(NEXT) | instid1(SALU_CYCLE_3)
	s_mul_f32 s15, s0, 0x2f800000
	s_trunc_f32 s15, s15
	s_delay_alu instid0(SALU_CYCLE_3) | instskip(SKIP_1) | instid1(SALU_CYCLE_2)
	s_fmamk_f32 s0, s15, 0xcf800000, s0
	s_cvt_u32_f32 s21, s15
	s_cvt_u32_f32 s20, s0
	s_delay_alu instid0(SALU_CYCLE_3) | instskip(NEXT) | instid1(SALU_CYCLE_1)
	s_mul_u64 s[26:27], s[24:25], s[20:21]
	s_mul_hi_u32 s37, s20, s27
	s_mul_i32 s36, s20, s27
	s_mul_hi_u32 s34, s20, s26
	s_mul_i32 s15, s21, s26
	s_add_nc_u64 s[36:37], s[34:35], s[36:37]
	s_mul_hi_u32 s0, s21, s26
	s_mul_hi_u32 s23, s21, s27
	s_add_co_u32 s15, s36, s15
	s_add_co_ci_u32 s34, s37, s0
	s_mul_i32 s26, s21, s27
	s_add_co_ci_u32 s27, s23, 0
	s_delay_alu instid0(SALU_CYCLE_1) | instskip(NEXT) | instid1(SALU_CYCLE_1)
	s_add_nc_u64 s[26:27], s[34:35], s[26:27]
	s_add_co_u32 s20, s20, s26
	s_cselect_b32 s0, -1, 0
	s_delay_alu instid0(SALU_CYCLE_1) | instskip(SKIP_1) | instid1(SALU_CYCLE_1)
	s_cmp_lg_u32 s0, 0
	s_add_co_ci_u32 s21, s21, s27
	s_mul_u64 s[24:25], s[24:25], s[20:21]
	s_delay_alu instid0(SALU_CYCLE_1)
	s_mul_hi_u32 s27, s20, s25
	s_mul_i32 s26, s20, s25
	s_mul_hi_u32 s34, s20, s24
	s_mul_i32 s15, s21, s24
	s_add_nc_u64 s[26:27], s[34:35], s[26:27]
	s_mul_hi_u32 s0, s21, s24
	s_mul_hi_u32 s23, s21, s25
	s_add_co_u32 s15, s26, s15
	s_add_co_ci_u32 s34, s27, s0
	s_mul_i32 s24, s21, s25
	s_add_co_ci_u32 s25, s23, 0
	s_delay_alu instid0(SALU_CYCLE_1) | instskip(NEXT) | instid1(SALU_CYCLE_1)
	s_add_nc_u64 s[24:25], s[34:35], s[24:25]
	s_add_co_u32 s0, s20, s24
	s_cselect_b32 s15, -1, 0
	v_mul_hi_u32 v24, v16, s0
	s_cmp_lg_u32 s15, 0
	s_add_co_ci_u32 s34, s21, s25
	s_and_b64 s[20:21], s[0:1], s[6:7]
	v_mul_u64_e32 v[18:19], s[34:35], v[16:17]
	v_mul_u64_e32 v[14:15], s[20:21], v[20:21]
	v_mul_u64_e32 v[22:23], s[34:35], v[20:21]
	s_delay_alu instid0(VALU_DEP_3) | instskip(NEXT) | instid1(VALU_DEP_1)
	v_add_nc_u64_e32 v[18:19], v[24:25], v[18:19]
	v_add_co_u32 v3, vcc_lo, v18, v14
	s_delay_alu instid0(VALU_DEP_2) | instskip(NEXT) | instid1(VALU_DEP_4)
	v_add_co_ci_u32_e32 v24, vcc_lo, v19, v15, vcc_lo
	v_add_co_ci_u32_e32 v23, vcc_lo, 0, v23, vcc_lo
	s_delay_alu instid0(VALU_DEP_1) | instskip(NEXT) | instid1(VALU_DEP_1)
	v_add_nc_u64_e32 v[14:15], v[24:25], v[22:23]
	v_mul_u64_e32 v[18:19], s[16:17], v[14:15]
	s_delay_alu instid0(VALU_DEP_1) | instskip(NEXT) | instid1(VALU_DEP_2)
	v_sub_nc_u32_e32 v3, v20, v19
	v_sub_co_u32 v5, vcc_lo, v16, v18
	s_delay_alu instid0(VALU_DEP_1) | instskip(NEXT) | instid1(VALU_DEP_3)
	v_sub_co_ci_u32_e64 v20, null, v20, v19, vcc_lo
	v_subrev_co_ci_u32_e64 v3, null, s17, v3, vcc_lo
	s_delay_alu instid0(VALU_DEP_3) | instskip(SKIP_1) | instid1(VALU_DEP_3)
	v_sub_co_u32 v9, s0, v5, s16
	v_add_nc_u64_e32 v[18:19], 1, v[14:15]
	v_subrev_co_ci_u32_e64 v3, null, 0, v3, s0
	s_delay_alu instid0(VALU_DEP_3) | instskip(SKIP_1) | instid1(VALU_DEP_3)
	v_cmp_le_u32_e32 vcc_lo, s16, v9
	v_cndmask_b32_e64 v9, 0, -1, vcc_lo
	v_cmp_le_u32_e32 vcc_lo, s17, v3
	v_cndmask_b32_e64 v16, 0, -1, vcc_lo
	;; [unrolled: 2-line block ×4, first 2 shown]
	v_cmp_eq_u32_e32 vcc_lo, s17, v3
	v_cndmask_b32_e32 v3, v16, v9, vcc_lo
	v_cmp_eq_u32_e32 vcc_lo, s17, v20
	v_add_nc_u64_e32 v[16:17], 2, v[14:15]
	v_dual_mov_b32 v9, v8 :: v_dual_cndmask_b32 v5, v21, v5, vcc_lo
	s_delay_alu instid0(VALU_DEP_4) | instskip(NEXT) | instid1(VALU_DEP_2)
	v_cmp_ne_u32_e32 vcc_lo, 0, v3
	v_cmp_ne_u32_e64 s0, 0, v5
	s_delay_alu instid0(VALU_DEP_4) | instskip(NEXT) | instid1(VALU_DEP_1)
	v_dual_cndmask_b32 v3, v19, v17, vcc_lo :: v_dual_cndmask_b32 v5, v18, v16, vcc_lo
	v_dual_cndmask_b32 v3, v15, v3, s0 :: v_dual_cndmask_b32 v5, v14, v5, s0
	s_delay_alu instid0(VALU_DEP_1) | instskip(NEXT) | instid1(VALU_DEP_2)
	v_xor_b32_e32 v15, v3, v8
	v_xor_b32_e32 v14, v5, v8
	s_delay_alu instid0(VALU_DEP_1)
	v_sub_nc_u64_e32 v[8:9], v[14:15], v[8:9]
.LBB127_1879:                           ;   in Loop: Header=BB127_1877 Depth=1
	s_and_not1_saveexec_b32 s0, s19
	s_cbranch_execz .LBB127_1876
; %bb.1880:                             ;   in Loop: Header=BB127_1877 Depth=1
	v_cvt_f32_u32_e32 v3, s12
	s_sub_co_i32 s14, 0, s12
	s_delay_alu instid0(VALU_DEP_1) | instskip(SKIP_1) | instid1(TRANS32_DEP_1)
	v_rcp_iflag_f32_e32 v3, v3
	v_nop
	v_mul_f32_e32 v3, 0x4f7ffffe, v3
	s_delay_alu instid0(VALU_DEP_1) | instskip(NEXT) | instid1(VALU_DEP_1)
	v_cvt_u32_f32_e32 v3, v3
	v_mul_lo_u32 v5, s14, v3
	s_delay_alu instid0(VALU_DEP_1) | instskip(NEXT) | instid1(VALU_DEP_1)
	v_mul_hi_u32 v5, v3, v5
	v_add_nc_u32_e32 v3, v3, v5
	s_delay_alu instid0(VALU_DEP_1) | instskip(NEXT) | instid1(VALU_DEP_1)
	v_mul_hi_u32 v3, v6, v3
	v_mul_lo_u32 v5, v3, s12
	s_delay_alu instid0(VALU_DEP_1) | instskip(NEXT) | instid1(VALU_DEP_1)
	v_sub_nc_u32_e32 v5, v6, v5
	v_subrev_nc_u32_e32 v9, s12, v5
	v_cmp_le_u32_e32 vcc_lo, s12, v5
	s_delay_alu instid0(VALU_DEP_2) | instskip(NEXT) | instid1(VALU_DEP_1)
	v_dual_cndmask_b32 v5, v5, v9 :: v_dual_add_nc_u32 v8, 1, v3
	v_dual_cndmask_b32 v3, v3, v8, vcc_lo :: v_dual_mov_b32 v9, v4
	s_delay_alu instid0(VALU_DEP_2) | instskip(NEXT) | instid1(VALU_DEP_2)
	v_cmp_le_u32_e32 vcc_lo, s12, v5
	v_add_nc_u32_e32 v8, 1, v3
	s_delay_alu instid0(VALU_DEP_1)
	v_cndmask_b32_e32 v8, v3, v8, vcc_lo
	s_branch .LBB127_1876
.LBB127_1881:
	s_or_b32 exec_lo, exec_lo, s6
	s_and_saveexec_b32 s4, s70
	s_cbranch_execnz .LBB127_1934
.LBB127_1882:
	s_or_b32 exec_lo, exec_lo, s4
	s_and_saveexec_b32 s4, s9
	s_delay_alu instid0(SALU_CYCLE_1)
	s_xor_b32 s4, exec_lo, s4
	s_cbranch_execz .LBB127_1935
.LBB127_1883:
	v_mov_b32_e32 v2, 0
	s_wait_loadcnt 0x0
	global_store_b8 v[0:1], v2, off
	s_wait_xcnt 0x0
	s_or_b32 exec_lo, exec_lo, s4
	s_and_saveexec_b32 s4, s7
	s_delay_alu instid0(SALU_CYCLE_1)
	s_xor_b32 s4, exec_lo, s4
	s_cbranch_execz .LBB127_1973
	s_branch .LBB127_1936
.LBB127_1884:
	s_mov_b32 s6, s71
	s_mov_b32 s0, exec_lo
	v_cmpx_gt_i64_e64 v[12:13], v[10:11]
	s_cbranch_execz .LBB127_1891
; %bb.1885:
	s_delay_alu instid0(VALU_DEP_2) | instskip(SKIP_2) | instid1(VALU_DEP_1)
	v_lshlrev_b64_e32 v[0:1], 3, v[0:1]
	s_mov_b32 s6, 0
	s_xor_b32 s8, s69, -1
                                        ; implicit-def: $sgpr7
                                        ; implicit-def: $sgpr10
                                        ; implicit-def: $sgpr9
	v_lshl_add_u64 v[4:5], v[10:11], 3, v[0:1]
	v_add_nc_u64_e32 v[6:7], s[28:29], v[0:1]
	s_delay_alu instid0(VALU_DEP_2) | instskip(NEXT) | instid1(VALU_DEP_1)
	v_add_nc_u64_e32 v[4:5], s[28:29], v[4:5]
	v_add_nc_u64_e32 v[0:1], 8, v[4:5]
	s_delay_alu instid0(VALU_DEP_3)
	v_lshl_add_u64 v[4:5], v[12:13], 3, v[6:7]
	s_branch .LBB127_1887
.LBB127_1886:                           ;   in Loop: Header=BB127_1887 Depth=1
	s_or_b32 exec_lo, exec_lo, s11
	s_xor_b32 s11, s9, -1
	s_and_b32 s12, exec_lo, s10
	s_delay_alu instid0(SALU_CYCLE_1) | instskip(SKIP_2) | instid1(SALU_CYCLE_1)
	s_or_b32 s6, s12, s6
	s_and_not1_b32 s7, s7, exec_lo
	s_and_b32 s11, s11, exec_lo
	s_or_b32 s7, s7, s11
	s_and_not1_b32 exec_lo, exec_lo, s6
	s_cbranch_execz .LBB127_1890
.LBB127_1887:                           ; =>This Inner Loop Header: Depth=1
	s_or_b32 s9, s9, exec_lo
	s_or_b32 s10, s10, exec_lo
	s_mov_b32 s11, exec_lo
	s_delay_alu instid0(VALU_DEP_2)
	v_cmpx_lt_u64_e64 v[0:1], v[4:5]
	s_cbranch_execz .LBB127_1886
; %bb.1888:                             ;   in Loop: Header=BB127_1887 Depth=1
	global_load_b128 v[6:9], v[0:1], off offset:-8
	s_wait_xcnt 0x0
	v_add_nc_u64_e32 v[0:1], 8, v[0:1]
	s_and_not1_b32 s10, s10, exec_lo
	s_and_not1_b32 s9, s9, exec_lo
	s_wait_loadcnt 0x0
	v_cmp_ge_i64_e32 vcc_lo, v[6:7], v[8:9]
	s_or_b32 s12, s8, vcc_lo
	s_delay_alu instid0(SALU_CYCLE_1) | instskip(NEXT) | instid1(SALU_CYCLE_1)
	s_and_b32 s12, s12, exec_lo
	s_or_b32 s10, s10, s12
	s_branch .LBB127_1886
.LBB127_1889:
	s_mov_b32 s8, 0
	s_mov_b32 s7, -1
	s_mov_b32 s4, s70
	s_branch .LBB127_1933
.LBB127_1890:
	s_or_b32 exec_lo, exec_lo, s6
	s_delay_alu instid0(SALU_CYCLE_1) | instskip(SKIP_1) | instid1(SALU_CYCLE_1)
	s_and_not1_b32 s6, s71, exec_lo
	s_and_b32 s7, s7, exec_lo
	s_or_b32 s6, s6, s7
.LBB127_1891:
	s_or_b32 exec_lo, exec_lo, s0
	s_delay_alu instid0(SALU_CYCLE_1)
	s_and_not1_b32 s0, s71, exec_lo
	s_and_b32 s6, s6, exec_lo
	s_mov_b32 s8, exec_lo
	s_or_b32 s71, s0, s6
	s_or_b32 exec_lo, exec_lo, s18
	s_and_saveexec_b32 s0, s71
	s_cbranch_execz .LBB127_1864
.LBB127_1892:
	s_or_b32 s1, s1, exec_lo
	s_and_not1_b32 s8, s8, exec_lo
	s_trap 2
	s_branch .LBB127_1864
.LBB127_1893:
	s_or_b32 s1, s1, exec_lo
	s_and_not1_b32 s0, s0, exec_lo
	s_trap 2
	s_branch .LBB127_1857
.LBB127_1894:
	s_or_b32 s1, s1, exec_lo
	s_and_not1_b32 s7, s7, exec_lo
	s_trap 2
	s_branch .LBB127_1860
.LBB127_1895:
	s_mov_b32 s7, 0
.LBB127_1896:
	s_delay_alu instid0(SALU_CYCLE_1)
	s_and_b32 vcc_lo, exec_lo, s7
	s_cbranch_vccz .LBB127_1899
; %bb.1897:
	s_cmp_eq_u32 s5, 44
	s_mov_b32 s4, -1
	s_cbranch_scc0 .LBB127_1899
; %bb.1898:
	s_wait_xcnt 0x0
	v_mov_b32_e32 v2, 0
	s_mov_b32 s4, 0
	s_mov_b32 s7, 0
	global_store_b8 v[0:1], v2, off
	s_branch .LBB127_1900
.LBB127_1899:
	s_mov_b32 s7, 0
.LBB127_1900:
	s_delay_alu instid0(SALU_CYCLE_1)
	s_and_b32 vcc_lo, exec_lo, s7
	s_cbranch_vccz .LBB127_1903
; %bb.1901:
	s_cmp_eq_u32 s5, 29
	s_mov_b32 s4, -1
	s_cbranch_scc0 .LBB127_1903
; %bb.1902:
	s_wait_xcnt 0x0
	v_mov_b64_e32 v[2:3], 0
	s_mov_b32 s4, 0
	s_mov_b32 s7, 0
	global_store_b64 v[0:1], v[2:3], off
	s_branch .LBB127_1904
.LBB127_1903:
	s_mov_b32 s7, 0
.LBB127_1904:
	s_delay_alu instid0(SALU_CYCLE_1)
	s_and_b32 vcc_lo, exec_lo, s7
	s_cbranch_vccz .LBB127_1913
; %bb.1905:
	s_cmp_lt_i32 s5, 27
	s_mov_b32 s7, -1
	s_cbranch_scc1 .LBB127_1911
; %bb.1906:
	s_cmp_gt_i32 s5, 27
	s_cbranch_scc0 .LBB127_1908
; %bb.1907:
	s_wait_xcnt 0x0
	v_mov_b32_e32 v2, 0
	s_mov_b32 s7, 0
	global_store_b32 v[0:1], v2, off
.LBB127_1908:
	s_and_not1_b32 vcc_lo, exec_lo, s7
	s_cbranch_vccnz .LBB127_1910
; %bb.1909:
	s_wait_xcnt 0x0
	v_mov_b32_e32 v2, 0
	global_store_b16 v[0:1], v2, off
.LBB127_1910:
	s_mov_b32 s7, 0
.LBB127_1911:
	s_delay_alu instid0(SALU_CYCLE_1)
	s_and_not1_b32 vcc_lo, exec_lo, s7
	s_cbranch_vccnz .LBB127_1913
; %bb.1912:
	s_wait_xcnt 0x0
	v_mov_b32_e32 v2, 0
	global_store_b8 v[0:1], v2, off
.LBB127_1913:
	s_mov_b32 s7, 0
.LBB127_1914:
	s_delay_alu instid0(SALU_CYCLE_1)
	s_and_b32 vcc_lo, exec_lo, s7
	s_mov_b32 s7, 0
	s_cbranch_vccz .LBB127_1932
; %bb.1915:
	s_cmp_gt_i32 s5, 22
	s_mov_b32 s8, -1
	s_cbranch_scc0 .LBB127_1925
; %bb.1916:
	s_cmp_lt_i32 s5, 24
	s_cbranch_scc1 .LBB127_1922
; %bb.1917:
	s_cmp_gt_i32 s5, 24
	s_cbranch_scc0 .LBB127_1919
; %bb.1918:
	s_wait_xcnt 0x0
	v_mov_b32_e32 v2, 0
	s_mov_b32 s8, 0
	global_store_b8 v[0:1], v2, off
.LBB127_1919:
	s_and_not1_b32 vcc_lo, exec_lo, s8
	s_cbranch_vccnz .LBB127_1921
; %bb.1920:
	s_wait_xcnt 0x0
	v_mov_b32_e32 v2, 0
	global_store_b8 v[0:1], v2, off
.LBB127_1921:
	s_mov_b32 s8, 0
.LBB127_1922:
	s_delay_alu instid0(SALU_CYCLE_1)
	s_and_not1_b32 vcc_lo, exec_lo, s8
	s_cbranch_vccnz .LBB127_1924
; %bb.1923:
	s_wait_xcnt 0x0
	v_mov_b32_e32 v2, 0
	global_store_b8 v[0:1], v2, off
.LBB127_1924:
	s_mov_b32 s8, 0
.LBB127_1925:
	s_delay_alu instid0(SALU_CYCLE_1)
	s_and_not1_b32 vcc_lo, exec_lo, s8
	s_mov_b32 s8, 0
	s_cbranch_vccnz .LBB127_1933
; %bb.1926:
	s_cmp_gt_i32 s5, 14
	s_mov_b32 s8, -1
	s_cbranch_scc0 .LBB127_1930
; %bb.1927:
	s_cmp_eq_u32 s5, 15
	s_mov_b32 s4, -1
	s_cbranch_scc0 .LBB127_1929
; %bb.1928:
	s_wait_xcnt 0x0
	v_mov_b32_e32 v2, 0
	s_mov_b32 s4, 0
	global_store_b16 v[0:1], v2, off
.LBB127_1929:
	s_mov_b32 s8, 0
.LBB127_1930:
	s_delay_alu instid0(SALU_CYCLE_1)
	s_and_b32 vcc_lo, exec_lo, s8
	s_mov_b32 s8, 0
	s_cbranch_vccz .LBB127_1933
; %bb.1931:
	s_cmp_lg_u32 s5, 11
	s_mov_b32 s8, -1
	s_cselect_b32 s5, -1, 0
	s_and_not1_b32 s4, s4, exec_lo
	s_and_b32 s5, s5, exec_lo
	s_delay_alu instid0(SALU_CYCLE_1)
	s_or_b32 s4, s4, s5
	s_branch .LBB127_1933
.LBB127_1932:
	s_mov_b32 s8, 0
.LBB127_1933:
	s_and_not1_b32 s5, s70, exec_lo
	s_and_b32 s4, s4, exec_lo
	s_and_b32 s7, s7, exec_lo
	;; [unrolled: 1-line block ×3, first 2 shown]
	s_or_b32 s70, s5, s4
	s_wait_xcnt 0x0
	s_or_b32 exec_lo, exec_lo, s6
	s_and_saveexec_b32 s4, s70
	s_cbranch_execz .LBB127_1882
.LBB127_1934:
	s_or_b32 s1, s1, exec_lo
	s_and_not1_b32 s9, s9, exec_lo
	s_trap 2
	s_or_b32 exec_lo, exec_lo, s4
	s_and_saveexec_b32 s4, s9
	s_delay_alu instid0(SALU_CYCLE_1)
	s_xor_b32 s4, exec_lo, s4
	s_cbranch_execnz .LBB127_1883
.LBB127_1935:
	s_or_b32 exec_lo, exec_lo, s4
	s_and_saveexec_b32 s4, s7
	s_delay_alu instid0(SALU_CYCLE_1)
	s_xor_b32 s4, exec_lo, s4
	s_cbranch_execz .LBB127_1973
.LBB127_1936:
	s_sext_i32_i16 s6, s0
	s_mov_b32 s5, -1
	s_cmp_lt_i32 s6, 5
	s_cbranch_scc1 .LBB127_1957
; %bb.1937:
	s_cmp_lt_i32 s6, 8
	s_cbranch_scc1 .LBB127_1947
; %bb.1938:
	;; [unrolled: 3-line block ×3, first 2 shown]
	s_cmp_gt_i32 s6, 9
	s_cbranch_scc0 .LBB127_1941
; %bb.1940:
	v_mov_b32_e32 v2, 0
	s_mov_b32 s5, 0
	s_wait_loadcnt 0x0
	s_delay_alu instid0(VALU_DEP_1)
	v_dual_mov_b32 v3, v2 :: v_dual_mov_b32 v4, v2
	v_mov_b32_e32 v5, v2
	global_store_b128 v[0:1], v[2:5], off
.LBB127_1941:
	s_and_not1_b32 vcc_lo, exec_lo, s5
	s_cbranch_vccnz .LBB127_1943
; %bb.1942:
	s_wait_xcnt 0x0
	v_mov_b64_e32 v[2:3], 0
	s_wait_loadcnt 0x0
	global_store_b64 v[0:1], v[2:3], off
.LBB127_1943:
	s_mov_b32 s5, 0
.LBB127_1944:
	s_delay_alu instid0(SALU_CYCLE_1)
	s_and_not1_b32 vcc_lo, exec_lo, s5
	s_cbranch_vccnz .LBB127_1946
; %bb.1945:
	s_wait_xcnt 0x0
	v_mov_b32_e32 v2, 0
	s_wait_loadcnt 0x0
	global_store_b32 v[0:1], v2, off
.LBB127_1946:
	s_mov_b32 s5, 0
.LBB127_1947:
	s_delay_alu instid0(SALU_CYCLE_1)
	s_and_not1_b32 vcc_lo, exec_lo, s5
	s_cbranch_vccnz .LBB127_1956
; %bb.1948:
	s_sext_i32_i16 s6, s0
	s_mov_b32 s5, -1
	s_cmp_lt_i32 s6, 6
	s_cbranch_scc1 .LBB127_1954
; %bb.1949:
	s_cmp_gt_i32 s6, 6
	s_cbranch_scc0 .LBB127_1951
; %bb.1950:
	s_wait_xcnt 0x0
	v_mov_b64_e32 v[2:3], 0
	s_mov_b32 s5, 0
	s_wait_loadcnt 0x0
	global_store_b64 v[0:1], v[2:3], off
.LBB127_1951:
	s_and_not1_b32 vcc_lo, exec_lo, s5
	s_cbranch_vccnz .LBB127_1953
; %bb.1952:
	s_wait_xcnt 0x0
	v_mov_b32_e32 v2, 0
	s_wait_loadcnt 0x0
	global_store_b32 v[0:1], v2, off
.LBB127_1953:
	s_mov_b32 s5, 0
.LBB127_1954:
	s_delay_alu instid0(SALU_CYCLE_1)
	s_and_not1_b32 vcc_lo, exec_lo, s5
	s_cbranch_vccnz .LBB127_1956
; %bb.1955:
	s_wait_xcnt 0x0
	v_mov_b32_e32 v2, 0
	s_wait_loadcnt 0x0
	global_store_b16 v[0:1], v2, off
.LBB127_1956:
	s_mov_b32 s5, 0
.LBB127_1957:
	s_delay_alu instid0(SALU_CYCLE_1)
	s_and_not1_b32 vcc_lo, exec_lo, s5
	s_cbranch_vccnz .LBB127_1973
; %bb.1958:
	s_sext_i32_i16 s6, s0
	s_mov_b32 s5, -1
	s_cmp_lt_i32 s6, 2
	s_cbranch_scc1 .LBB127_1968
; %bb.1959:
	s_cmp_lt_i32 s6, 3
	s_cbranch_scc1 .LBB127_1965
; %bb.1960:
	s_cmp_gt_i32 s6, 3
	s_cbranch_scc0 .LBB127_1962
; %bb.1961:
	s_wait_xcnt 0x0
	v_mov_b64_e32 v[2:3], 0
	s_mov_b32 s5, 0
	s_wait_loadcnt 0x0
	global_store_b64 v[0:1], v[2:3], off
.LBB127_1962:
	s_and_not1_b32 vcc_lo, exec_lo, s5
	s_cbranch_vccnz .LBB127_1964
; %bb.1963:
	s_wait_xcnt 0x0
	v_mov_b32_e32 v2, 0
	s_wait_loadcnt 0x0
	global_store_b32 v[0:1], v2, off
.LBB127_1964:
	s_mov_b32 s5, 0
.LBB127_1965:
	s_delay_alu instid0(SALU_CYCLE_1)
	s_and_not1_b32 vcc_lo, exec_lo, s5
	s_cbranch_vccnz .LBB127_1967
; %bb.1966:
	s_wait_xcnt 0x0
	v_mov_b32_e32 v2, 0
	s_wait_loadcnt 0x0
	global_store_b16 v[0:1], v2, off
.LBB127_1967:
	s_mov_b32 s5, 0
.LBB127_1968:
	s_delay_alu instid0(SALU_CYCLE_1)
	s_and_not1_b32 vcc_lo, exec_lo, s5
	s_cbranch_vccnz .LBB127_1973
; %bb.1969:
	s_sext_i32_i16 s0, s0
	s_delay_alu instid0(SALU_CYCLE_1)
	s_cmp_gt_i32 s0, 0
	s_mov_b32 s0, -1
	s_cbranch_scc0 .LBB127_1971
; %bb.1970:
	s_wait_xcnt 0x0
	v_mov_b32_e32 v2, 0
	s_mov_b32 s0, 0
	s_wait_loadcnt 0x0
	global_store_b8 v[0:1], v2, off
.LBB127_1971:
	s_and_not1_b32 vcc_lo, exec_lo, s0
	s_cbranch_vccnz .LBB127_1973
; %bb.1972:
	s_wait_xcnt 0x0
	v_mov_b32_e32 v2, 0
	s_wait_loadcnt 0x0
	global_store_b8 v[0:1], v2, off
.LBB127_1973:
	s_wait_xcnt 0x0
	s_or_b32 exec_lo, exec_lo, s4
	s_delay_alu instid0(SALU_CYCLE_1)
	s_and_b32 s36, s1, exec_lo
                                        ; implicit-def: $vgpr1
                                        ; implicit-def: $vgpr0
.LBB127_1974:
	s_or_saveexec_b32 s37, s75
	s_mov_b32 s4, 0
                                        ; implicit-def: $vgpr42_vgpr43
                                        ; implicit-def: $sgpr0
	s_xor_b32 exec_lo, exec_lo, s37
	s_cbranch_execz .LBB127_2651
; %bb.1975:
	v_cndmask_b32_e64 v3, 0, 1, s74
	s_and_not1_b32 vcc_lo, exec_lo, s74
	s_cbranch_vccnz .LBB127_1981
; %bb.1976:
	s_cmp_lg_u32 s33, 0
	s_mov_b32 s6, 0
	s_cbranch_scc0 .LBB127_1985
; %bb.1977:
	s_min_u32 s7, s72, 15
	s_wait_loadcnt 0x0
	v_dual_mov_b32 v44, 0 :: v_dual_mov_b32 v2, v0
	v_dual_mov_b32 v42, 0 :: v_dual_mov_b32 v12, 0
	;; [unrolled: 1-line block ×3, first 2 shown]
	v_mov_b32_e32 v8, 0
	s_add_co_i32 s4, s7, 1
	s_mov_b64 s[0:1], 0xffffffffffffffd0
	s_and_b32 s8, s4, 30
	s_add_nc_u64 s[0:1], s[2:3], s[0:1]
	s_mov_b64 s[4:5], s[2:3]
.LBB127_1978:                           ; =>This Inner Loop Header: Depth=1
	s_clause 0x1
	s_load_b128 s[20:23], s[4:5], 0x4
	s_load_b64 s[10:11], s[4:5], 0x14
	s_clause 0x1
	s_load_b256 s[12:19], s[0:1], 0xf4
	s_load_b128 s[24:27], s[0:1], 0x114
	s_add_co_i32 s8, s8, -2
	s_wait_xcnt 0x0
	s_add_nc_u64 s[4:5], s[4:5], 24
	s_cmp_lg_u32 s8, 0
	s_add_nc_u64 s[0:1], s[0:1], 48
	s_wait_kmcnt 0x0
	v_mul_hi_u32 v4, s21, v2
	s_delay_alu instid0(VALU_DEP_1) | instskip(NEXT) | instid1(VALU_DEP_1)
	v_add_nc_u32_e32 v4, v2, v4
	v_lshrrev_b32_e32 v4, s22, v4
	s_delay_alu instid0(VALU_DEP_1) | instskip(SKIP_1) | instid1(VALU_DEP_1)
	v_mul_hi_u32 v5, s10, v4
	v_mul_lo_u32 v7, v4, s20
	v_dual_add_nc_u32 v5, v4, v5 :: v_dual_sub_nc_u32 v7, v2, v7
	s_delay_alu instid0(VALU_DEP_1) | instskip(NEXT) | instid1(VALU_DEP_2)
	v_lshrrev_b32_e32 v2, s11, v5
	v_mad_u32 v5, v7, s13, v8
	v_mad_u32 v6, v7, s12, v6
	;; [unrolled: 1-line block ×4, first 2 shown]
	v_mul_lo_u32 v8, v2, s23
	v_mad_u32 v11, s17, v7, v42
	v_mad_u32 v7, s16, v7, v44
	s_delay_alu instid0(VALU_DEP_3) | instskip(NEXT) | instid1(VALU_DEP_1)
	v_sub_nc_u32_e32 v4, v4, v8
	v_mad_u32 v8, v4, s19, v5
	v_mad_u32 v6, v4, s18, v6
	;; [unrolled: 1-line block ×6, first 2 shown]
	s_cbranch_scc1 .LBB127_1978
; %bb.1979:
	s_bitcmp1_b32 s7, 0
	s_cselect_b32 s7, -1, 0
	s_delay_alu instid0(SALU_CYCLE_1)
	s_and_b32 vcc_lo, exec_lo, s7
	s_cbranch_vccnz .LBB127_1982
; %bb.1980:
	s_load_b96 s[12:14], s[4:5], 0x4
	s_load_b128 s[8:11], s[0:1], 0xf4
	s_wait_xcnt 0x0
	s_load_b64 s[4:5], s[0:1], 0x104
	s_wait_kmcnt 0x0
	v_mul_hi_u32 v4, s13, v2
	s_delay_alu instid0(VALU_DEP_1) | instskip(NEXT) | instid1(VALU_DEP_1)
	v_add_nc_u32_e32 v4, v2, v4
	v_lshrrev_b32_e32 v4, s14, v4
	s_delay_alu instid0(VALU_DEP_1) | instskip(NEXT) | instid1(VALU_DEP_1)
	v_mul_lo_u32 v4, v4, s12
	v_sub_nc_u32_e32 v2, v2, v4
	s_delay_alu instid0(VALU_DEP_1)
	v_mad_u32 v6, v2, s8, v6
	v_mad_u32 v8, v2, s9, v8
	;; [unrolled: 1-line block ×6, first 2 shown]
	s_and_not1_b32 vcc_lo, exec_lo, s6
	s_cbranch_vccz .LBB127_1983
	s_branch .LBB127_1986
.LBB127_1981:
	s_mov_b32 s6, -1
                                        ; implicit-def: $vgpr8
                                        ; implicit-def: $vgpr6
                                        ; implicit-def: $vgpr46
                                        ; implicit-def: $vgpr12
                                        ; implicit-def: $vgpr42
                                        ; implicit-def: $vgpr44
.LBB127_1982:
	s_delay_alu instid0(SALU_CYCLE_1)
	s_and_not1_b32 vcc_lo, exec_lo, s6
	s_cbranch_vccnz .LBB127_1986
.LBB127_1983:
	s_clause 0x2
	s_load_b96 s[8:10], s[2:3], 0x4
	s_load_b128 s[4:7], s[2:3], 0xc4
	s_load_b64 s[0:1], s[2:3], 0xd4
	s_cmp_lt_u32 s33, 2
	s_wait_loadcnt 0x0
	s_wait_kmcnt 0x0
	v_mul_hi_u32 v2, s9, v0
	s_delay_alu instid0(VALU_DEP_1) | instskip(NEXT) | instid1(VALU_DEP_1)
	v_add_nc_u32_e32 v2, v0, v2
	v_lshrrev_b32_e32 v2, s10, v2
	s_delay_alu instid0(VALU_DEP_1) | instskip(NEXT) | instid1(VALU_DEP_1)
	v_mul_lo_u32 v4, v2, s8
	v_sub_nc_u32_e32 v4, v0, v4
	s_delay_alu instid0(VALU_DEP_1)
	v_mul_lo_u32 v8, v4, s5
	v_mul_lo_u32 v6, v4, s4
	;; [unrolled: 1-line block ×6, first 2 shown]
	s_cbranch_scc1 .LBB127_1986
; %bb.1984:
	s_clause 0x2
	s_load_b96 s[8:10], s[2:3], 0x10
	s_load_b128 s[4:7], s[2:3], 0xdc
	s_load_b64 s[0:1], s[2:3], 0xec
	s_wait_kmcnt 0x0
	v_mul_hi_u32 v4, s9, v2
	s_delay_alu instid0(VALU_DEP_1) | instskip(NEXT) | instid1(VALU_DEP_1)
	v_add_nc_u32_e32 v4, v2, v4
	v_lshrrev_b32_e32 v4, s10, v4
	s_delay_alu instid0(VALU_DEP_1) | instskip(NEXT) | instid1(VALU_DEP_1)
	v_mul_lo_u32 v4, v4, s8
	v_sub_nc_u32_e32 v2, v2, v4
	s_delay_alu instid0(VALU_DEP_1)
	v_mad_u32 v6, v2, s4, v6
	v_mad_u32 v8, v2, s5, v8
	;; [unrolled: 1-line block ×6, first 2 shown]
	s_branch .LBB127_1986
.LBB127_1985:
	s_wait_loadcnt 0x0
	v_dual_mov_b32 v8, 0 :: v_dual_mov_b32 v6, 0
	v_dual_mov_b32 v46, 0 :: v_dual_mov_b32 v12, 0
	;; [unrolled: 1-line block ×3, first 2 shown]
	s_and_not1_b32 vcc_lo, exec_lo, s6
	s_cbranch_vccz .LBB127_1983
.LBB127_1986:
	v_cmp_ne_u32_e32 vcc_lo, 1, v3
	s_wait_loadcnt 0x0
	v_add_nc_u32_e32 v2, 0x80, v0
	s_cbranch_vccnz .LBB127_1992
; %bb.1987:
	s_cmp_lg_u32 s33, 0
	s_mov_b32 s6, 0
	s_cbranch_scc0 .LBB127_1996
; %bb.1988:
	s_min_u32 s7, s72, 15
	v_dual_mov_b32 v34, 0 :: v_dual_mov_b32 v5, v2
	v_dual_mov_b32 v32, 0 :: v_dual_mov_b32 v38, 0
	;; [unrolled: 1-line block ×3, first 2 shown]
	v_mov_b32_e32 v40, 0
	s_add_co_i32 s4, s7, 1
	s_mov_b64 s[0:1], 0xffffffffffffffd0
	s_and_b32 s8, s4, 30
	s_add_nc_u64 s[0:1], s[2:3], s[0:1]
	s_mov_b64 s[4:5], s[2:3]
.LBB127_1989:                           ; =>This Inner Loop Header: Depth=1
	s_clause 0x1
	s_load_b128 s[20:23], s[4:5], 0x4
	s_load_b64 s[10:11], s[4:5], 0x14
	s_clause 0x1
	s_load_b256 s[12:19], s[0:1], 0xf4
	s_load_b128 s[24:27], s[0:1], 0x114
	s_add_co_i32 s8, s8, -2
	s_wait_xcnt 0x0
	s_add_nc_u64 s[4:5], s[4:5], 24
	s_cmp_lg_u32 s8, 0
	s_add_nc_u64 s[0:1], s[0:1], 48
	s_wait_kmcnt 0x0
	v_mul_hi_u32 v7, s21, v5
	s_delay_alu instid0(VALU_DEP_1) | instskip(NEXT) | instid1(VALU_DEP_1)
	v_add_nc_u32_e32 v7, v5, v7
	v_lshrrev_b32_e32 v7, s22, v7
	s_delay_alu instid0(VALU_DEP_1) | instskip(SKIP_1) | instid1(VALU_DEP_1)
	v_mul_hi_u32 v9, s10, v7
	v_mul_lo_u32 v10, v7, s20
	v_dual_add_nc_u32 v9, v7, v9 :: v_dual_sub_nc_u32 v10, v5, v10
	s_delay_alu instid0(VALU_DEP_1) | instskip(NEXT) | instid1(VALU_DEP_2)
	v_lshrrev_b32_e32 v5, s11, v9
	v_mad_u32 v9, v10, s13, v40
	v_mad_u32 v4, v10, s12, v4
	;; [unrolled: 1-line block ×4, first 2 shown]
	v_mul_lo_u32 v11, v5, s23
	v_mad_u32 v15, s17, v10, v32
	v_mad_u32 v10, s16, v10, v34
	s_delay_alu instid0(VALU_DEP_3) | instskip(NEXT) | instid1(VALU_DEP_1)
	v_sub_nc_u32_e32 v7, v7, v11
	v_mad_u32 v40, v7, s19, v9
	v_mad_u32 v4, v7, s18, v4
	;; [unrolled: 1-line block ×6, first 2 shown]
	s_cbranch_scc1 .LBB127_1989
; %bb.1990:
	s_bitcmp1_b32 s7, 0
	s_cselect_b32 s7, -1, 0
	s_delay_alu instid0(SALU_CYCLE_1)
	s_and_b32 vcc_lo, exec_lo, s7
	s_cbranch_vccnz .LBB127_1993
; %bb.1991:
	s_load_b96 s[12:14], s[4:5], 0x4
	s_load_b128 s[8:11], s[0:1], 0xf4
	s_wait_xcnt 0x0
	s_load_b64 s[4:5], s[0:1], 0x104
	s_wait_kmcnt 0x0
	v_mul_hi_u32 v7, s13, v5
	s_delay_alu instid0(VALU_DEP_1) | instskip(NEXT) | instid1(VALU_DEP_1)
	v_add_nc_u32_e32 v7, v5, v7
	v_lshrrev_b32_e32 v7, s14, v7
	s_delay_alu instid0(VALU_DEP_1) | instskip(NEXT) | instid1(VALU_DEP_1)
	v_mul_lo_u32 v7, v7, s12
	v_sub_nc_u32_e32 v5, v5, v7
	s_delay_alu instid0(VALU_DEP_1)
	v_mad_u32 v4, v5, s8, v4
	v_mad_u32 v40, v5, s9, v40
	v_mad_u32 v38, v5, s10, v38
	v_mad_u32 v36, v5, s11, v36
	v_mad_u32 v34, s4, v5, v34
	v_mad_u32 v32, s5, v5, v32
	s_and_not1_b32 vcc_lo, exec_lo, s6
	s_cbranch_vccz .LBB127_1994
	s_branch .LBB127_1997
.LBB127_1992:
	s_mov_b32 s6, -1
                                        ; implicit-def: $vgpr40
                                        ; implicit-def: $vgpr4
                                        ; implicit-def: $vgpr36
                                        ; implicit-def: $vgpr38
                                        ; implicit-def: $vgpr32
                                        ; implicit-def: $vgpr34
.LBB127_1993:
	s_delay_alu instid0(SALU_CYCLE_1)
	s_and_not1_b32 vcc_lo, exec_lo, s6
	s_cbranch_vccnz .LBB127_1997
.LBB127_1994:
	s_clause 0x2
	s_load_b96 s[8:10], s[2:3], 0x4
	s_load_b128 s[4:7], s[2:3], 0xc4
	s_load_b64 s[0:1], s[2:3], 0xd4
	s_cmp_lt_u32 s33, 2
	s_wait_kmcnt 0x0
	v_mul_hi_u32 v4, s9, v2
	s_delay_alu instid0(VALU_DEP_1) | instskip(NEXT) | instid1(VALU_DEP_1)
	v_add_nc_u32_e32 v4, v2, v4
	v_lshrrev_b32_e32 v5, s10, v4
	s_delay_alu instid0(VALU_DEP_1) | instskip(NEXT) | instid1(VALU_DEP_1)
	v_mul_lo_u32 v4, v5, s8
	v_sub_nc_u32_e32 v2, v2, v4
	s_delay_alu instid0(VALU_DEP_1)
	v_mul_lo_u32 v40, v2, s5
	v_mul_lo_u32 v4, v2, s4
	;; [unrolled: 1-line block ×6, first 2 shown]
	s_cbranch_scc1 .LBB127_1997
; %bb.1995:
	s_clause 0x2
	s_load_b96 s[8:10], s[2:3], 0x10
	s_load_b128 s[4:7], s[2:3], 0xdc
	s_load_b64 s[0:1], s[2:3], 0xec
	s_wait_kmcnt 0x0
	v_mul_hi_u32 v2, s9, v5
	s_delay_alu instid0(VALU_DEP_1) | instskip(NEXT) | instid1(VALU_DEP_1)
	v_add_nc_u32_e32 v2, v5, v2
	v_lshrrev_b32_e32 v2, s10, v2
	s_delay_alu instid0(VALU_DEP_1) | instskip(NEXT) | instid1(VALU_DEP_1)
	v_mul_lo_u32 v2, v2, s8
	v_sub_nc_u32_e32 v2, v5, v2
	s_delay_alu instid0(VALU_DEP_1)
	v_mad_u32 v4, v2, s4, v4
	v_mad_u32 v40, v2, s5, v40
	;; [unrolled: 1-line block ×6, first 2 shown]
	s_branch .LBB127_1997
.LBB127_1996:
	v_dual_mov_b32 v40, 0 :: v_dual_mov_b32 v4, 0
	v_dual_mov_b32 v36, 0 :: v_dual_mov_b32 v38, 0
	;; [unrolled: 1-line block ×3, first 2 shown]
	s_and_not1_b32 vcc_lo, exec_lo, s6
	s_cbranch_vccz .LBB127_1994
.LBB127_1997:
	v_cmp_ne_u32_e32 vcc_lo, 1, v3
	v_add_nc_u32_e32 v0, 0x100, v0
	s_cbranch_vccnz .LBB127_2003
; %bb.1998:
	s_cmp_lg_u32 s33, 0
	s_mov_b32 s6, 0
	s_cbranch_scc0 .LBB127_2007
; %bb.1999:
	s_min_u32 s7, s72, 15
	v_dual_mov_b32 v24, 0 :: v_dual_mov_b32 v5, v0
	v_dual_mov_b32 v22, 0 :: v_dual_mov_b32 v28, 0
	;; [unrolled: 1-line block ×3, first 2 shown]
	v_mov_b32_e32 v30, 0
	s_add_co_i32 s4, s7, 1
	s_mov_b64 s[0:1], 0xffffffffffffffd0
	s_and_b32 s8, s4, 30
	s_add_nc_u64 s[0:1], s[2:3], s[0:1]
	s_mov_b64 s[4:5], s[2:3]
.LBB127_2000:                           ; =>This Inner Loop Header: Depth=1
	s_clause 0x1
	s_load_b128 s[20:23], s[4:5], 0x4
	s_load_b64 s[10:11], s[4:5], 0x14
	s_clause 0x1
	s_load_b256 s[12:19], s[0:1], 0xf4
	s_load_b128 s[24:27], s[0:1], 0x114
	s_add_co_i32 s8, s8, -2
	s_wait_xcnt 0x0
	s_add_nc_u64 s[4:5], s[4:5], 24
	s_cmp_lg_u32 s8, 0
	s_add_nc_u64 s[0:1], s[0:1], 48
	s_wait_kmcnt 0x0
	v_mul_hi_u32 v7, s21, v5
	s_delay_alu instid0(VALU_DEP_1) | instskip(NEXT) | instid1(VALU_DEP_1)
	v_add_nc_u32_e32 v7, v5, v7
	v_lshrrev_b32_e32 v7, s22, v7
	s_delay_alu instid0(VALU_DEP_1) | instskip(SKIP_1) | instid1(VALU_DEP_1)
	v_mul_hi_u32 v9, s10, v7
	v_mul_lo_u32 v10, v7, s20
	v_dual_add_nc_u32 v9, v7, v9 :: v_dual_sub_nc_u32 v10, v5, v10
	s_delay_alu instid0(VALU_DEP_1) | instskip(NEXT) | instid1(VALU_DEP_2)
	v_lshrrev_b32_e32 v5, s11, v9
	v_mad_u32 v9, v10, s13, v30
	v_mad_u32 v2, v10, s12, v2
	;; [unrolled: 1-line block ×4, first 2 shown]
	v_mul_lo_u32 v11, v5, s23
	v_mad_u32 v15, s17, v10, v22
	v_mad_u32 v10, s16, v10, v24
	s_delay_alu instid0(VALU_DEP_3) | instskip(NEXT) | instid1(VALU_DEP_1)
	v_sub_nc_u32_e32 v7, v7, v11
	v_mad_u32 v30, v7, s19, v9
	v_mad_u32 v2, v7, s18, v2
	;; [unrolled: 1-line block ×6, first 2 shown]
	s_cbranch_scc1 .LBB127_2000
; %bb.2001:
	s_bitcmp1_b32 s7, 0
	s_cselect_b32 s7, -1, 0
	s_delay_alu instid0(SALU_CYCLE_1)
	s_and_b32 vcc_lo, exec_lo, s7
	s_cbranch_vccnz .LBB127_2004
; %bb.2002:
	s_load_b96 s[12:14], s[4:5], 0x4
	s_load_b128 s[8:11], s[0:1], 0xf4
	s_wait_xcnt 0x0
	s_load_b64 s[4:5], s[0:1], 0x104
	s_wait_kmcnt 0x0
	v_mul_hi_u32 v7, s13, v5
	s_delay_alu instid0(VALU_DEP_1) | instskip(NEXT) | instid1(VALU_DEP_1)
	v_add_nc_u32_e32 v7, v5, v7
	v_lshrrev_b32_e32 v7, s14, v7
	s_delay_alu instid0(VALU_DEP_1) | instskip(NEXT) | instid1(VALU_DEP_1)
	v_mul_lo_u32 v7, v7, s12
	v_sub_nc_u32_e32 v5, v5, v7
	s_delay_alu instid0(VALU_DEP_1)
	v_mad_u32 v2, v5, s8, v2
	v_mad_u32 v30, v5, s9, v30
	;; [unrolled: 1-line block ×6, first 2 shown]
	s_and_not1_b32 vcc_lo, exec_lo, s6
	s_cbranch_vccz .LBB127_2005
	s_branch .LBB127_2008
.LBB127_2003:
	s_mov_b32 s6, -1
                                        ; implicit-def: $vgpr30
                                        ; implicit-def: $vgpr2
                                        ; implicit-def: $vgpr26
                                        ; implicit-def: $vgpr28
                                        ; implicit-def: $vgpr22
                                        ; implicit-def: $vgpr24
.LBB127_2004:
	s_delay_alu instid0(SALU_CYCLE_1)
	s_and_not1_b32 vcc_lo, exec_lo, s6
	s_cbranch_vccnz .LBB127_2008
.LBB127_2005:
	s_clause 0x2
	s_load_b96 s[8:10], s[2:3], 0x4
	s_load_b128 s[4:7], s[2:3], 0xc4
	s_load_b64 s[0:1], s[2:3], 0xd4
	s_cmp_lt_u32 s33, 2
	s_wait_kmcnt 0x0
	v_mul_hi_u32 v2, s9, v0
	s_delay_alu instid0(VALU_DEP_1) | instskip(NEXT) | instid1(VALU_DEP_1)
	v_add_nc_u32_e32 v2, v0, v2
	v_lshrrev_b32_e32 v5, s10, v2
	s_delay_alu instid0(VALU_DEP_1) | instskip(NEXT) | instid1(VALU_DEP_1)
	v_mul_lo_u32 v2, v5, s8
	v_sub_nc_u32_e32 v0, v0, v2
	s_delay_alu instid0(VALU_DEP_1)
	v_mul_lo_u32 v30, v0, s5
	v_mul_lo_u32 v2, v0, s4
	;; [unrolled: 1-line block ×6, first 2 shown]
	s_cbranch_scc1 .LBB127_2008
; %bb.2006:
	s_clause 0x2
	s_load_b96 s[8:10], s[2:3], 0x10
	s_load_b128 s[4:7], s[2:3], 0xdc
	s_load_b64 s[0:1], s[2:3], 0xec
	s_wait_kmcnt 0x0
	v_mul_hi_u32 v0, s9, v5
	s_delay_alu instid0(VALU_DEP_1) | instskip(NEXT) | instid1(VALU_DEP_1)
	v_add_nc_u32_e32 v0, v5, v0
	v_lshrrev_b32_e32 v0, s10, v0
	s_delay_alu instid0(VALU_DEP_1) | instskip(NEXT) | instid1(VALU_DEP_1)
	v_mul_lo_u32 v0, v0, s8
	v_sub_nc_u32_e32 v0, v5, v0
	s_delay_alu instid0(VALU_DEP_1)
	v_mad_u32 v2, v0, s4, v2
	v_mad_u32 v30, v0, s5, v30
	;; [unrolled: 1-line block ×6, first 2 shown]
	s_branch .LBB127_2008
.LBB127_2007:
	v_dual_mov_b32 v30, 0 :: v_dual_mov_b32 v2, 0
	v_dual_mov_b32 v26, 0 :: v_dual_mov_b32 v28, 0
	;; [unrolled: 1-line block ×3, first 2 shown]
	s_and_not1_b32 vcc_lo, exec_lo, s6
	s_cbranch_vccz .LBB127_2005
.LBB127_2008:
	v_cmp_ne_u32_e32 vcc_lo, 1, v3
	s_cbranch_vccnz .LBB127_2014
; %bb.2009:
	s_cmp_lg_u32 s33, 0
	s_mov_b32 s6, 0
	s_cbranch_scc0 .LBB127_2018
; %bb.2010:
	s_min_u32 s7, s72, 15
	v_dual_mov_b32 v14, 0 :: v_dual_mov_b32 v3, v1
	v_dual_mov_b32 v10, 0 :: v_dual_mov_b32 v18, 0
	;; [unrolled: 1-line block ×3, first 2 shown]
	v_mov_b32_e32 v20, 0
	s_add_co_i32 s4, s7, 1
	s_mov_b64 s[0:1], 0xffffffffffffffd0
	s_and_b32 s8, s4, 30
	s_add_nc_u64 s[0:1], s[2:3], s[0:1]
	s_mov_b64 s[4:5], s[2:3]
.LBB127_2011:                           ; =>This Inner Loop Header: Depth=1
	s_clause 0x1
	s_load_b128 s[20:23], s[4:5], 0x4
	s_load_b64 s[10:11], s[4:5], 0x14
	s_clause 0x1
	s_load_b256 s[12:19], s[0:1], 0xf4
	s_load_b128 s[24:27], s[0:1], 0x114
	s_add_co_i32 s8, s8, -2
	s_wait_xcnt 0x0
	s_add_nc_u64 s[4:5], s[4:5], 24
	s_cmp_lg_u32 s8, 0
	s_add_nc_u64 s[0:1], s[0:1], 48
	s_wait_kmcnt 0x0
	v_mul_hi_u32 v5, s21, v3
	s_delay_alu instid0(VALU_DEP_1) | instskip(NEXT) | instid1(VALU_DEP_1)
	v_add_nc_u32_e32 v5, v3, v5
	v_lshrrev_b32_e32 v5, s22, v5
	s_delay_alu instid0(VALU_DEP_1) | instskip(SKIP_1) | instid1(VALU_DEP_1)
	v_mul_hi_u32 v7, s10, v5
	v_mul_lo_u32 v9, v5, s20
	v_dual_add_nc_u32 v7, v5, v7 :: v_dual_sub_nc_u32 v9, v3, v9
	s_delay_alu instid0(VALU_DEP_1) | instskip(NEXT) | instid1(VALU_DEP_2)
	v_lshrrev_b32_e32 v3, s11, v7
	v_mad_u32 v7, v9, s13, v20
	v_mad_u32 v0, v9, s12, v0
	v_mad_u32 v13, v9, s15, v16
	v_mad_u32 v15, v9, s14, v18
	v_mul_lo_u32 v11, v3, s23
	v_mad_u32 v10, s17, v9, v10
	v_mad_u32 v9, s16, v9, v14
	s_delay_alu instid0(VALU_DEP_3) | instskip(NEXT) | instid1(VALU_DEP_1)
	v_sub_nc_u32_e32 v5, v5, v11
	v_mad_u32 v20, v5, s19, v7
	v_mad_u32 v0, v5, s18, v0
	;; [unrolled: 1-line block ×6, first 2 shown]
	s_cbranch_scc1 .LBB127_2011
; %bb.2012:
	s_bitcmp1_b32 s7, 0
	s_cselect_b32 s7, -1, 0
	s_delay_alu instid0(SALU_CYCLE_1)
	s_and_b32 vcc_lo, exec_lo, s7
	s_cbranch_vccnz .LBB127_2015
; %bb.2013:
	s_load_b96 s[12:14], s[4:5], 0x4
	s_load_b128 s[8:11], s[0:1], 0xf4
	s_wait_xcnt 0x0
	s_load_b64 s[4:5], s[0:1], 0x104
	s_wait_kmcnt 0x0
	v_mul_hi_u32 v5, s13, v3
	s_delay_alu instid0(VALU_DEP_1) | instskip(NEXT) | instid1(VALU_DEP_1)
	v_add_nc_u32_e32 v5, v3, v5
	v_lshrrev_b32_e32 v5, s14, v5
	s_delay_alu instid0(VALU_DEP_1) | instskip(NEXT) | instid1(VALU_DEP_1)
	v_mul_lo_u32 v5, v5, s12
	v_sub_nc_u32_e32 v3, v3, v5
	s_delay_alu instid0(VALU_DEP_1)
	v_mad_u32 v0, v3, s8, v0
	v_mad_u32 v20, v3, s9, v20
	;; [unrolled: 1-line block ×6, first 2 shown]
	s_and_not1_b32 vcc_lo, exec_lo, s6
	s_cbranch_vccz .LBB127_2016
	s_branch .LBB127_2019
.LBB127_2014:
	s_mov_b32 s6, -1
                                        ; implicit-def: $vgpr20
                                        ; implicit-def: $vgpr0
                                        ; implicit-def: $vgpr16
                                        ; implicit-def: $vgpr18
                                        ; implicit-def: $vgpr10
                                        ; implicit-def: $vgpr14
.LBB127_2015:
	s_delay_alu instid0(SALU_CYCLE_1)
	s_and_not1_b32 vcc_lo, exec_lo, s6
	s_cbranch_vccnz .LBB127_2019
.LBB127_2016:
	s_clause 0x2
	s_load_b96 s[8:10], s[2:3], 0x4
	s_load_b128 s[4:7], s[2:3], 0xc4
	s_load_b64 s[0:1], s[2:3], 0xd4
	s_cmp_lt_u32 s33, 2
	s_wait_kmcnt 0x0
	v_mul_hi_u32 v0, s9, v1
	s_delay_alu instid0(VALU_DEP_1) | instskip(NEXT) | instid1(VALU_DEP_1)
	v_add_nc_u32_e32 v0, v1, v0
	v_lshrrev_b32_e32 v3, s10, v0
	s_delay_alu instid0(VALU_DEP_1) | instskip(NEXT) | instid1(VALU_DEP_1)
	v_mul_lo_u32 v0, v3, s8
	v_sub_nc_u32_e32 v1, v1, v0
	s_delay_alu instid0(VALU_DEP_1)
	v_mul_lo_u32 v20, v1, s5
	v_mul_lo_u32 v0, v1, s4
	;; [unrolled: 1-line block ×6, first 2 shown]
	s_cbranch_scc1 .LBB127_2019
; %bb.2017:
	s_clause 0x2
	s_load_b96 s[8:10], s[2:3], 0x10
	s_load_b128 s[4:7], s[2:3], 0xdc
	s_load_b64 s[0:1], s[2:3], 0xec
	s_wait_kmcnt 0x0
	v_mul_hi_u32 v1, s9, v3
	s_delay_alu instid0(VALU_DEP_1) | instskip(NEXT) | instid1(VALU_DEP_1)
	v_add_nc_u32_e32 v1, v3, v1
	v_lshrrev_b32_e32 v1, s10, v1
	s_delay_alu instid0(VALU_DEP_1) | instskip(NEXT) | instid1(VALU_DEP_1)
	v_mul_lo_u32 v1, v1, s8
	v_sub_nc_u32_e32 v1, v3, v1
	s_delay_alu instid0(VALU_DEP_1)
	v_mad_u32 v0, v1, s4, v0
	v_mad_u32 v20, v1, s5, v20
	;; [unrolled: 1-line block ×6, first 2 shown]
	s_branch .LBB127_2019
.LBB127_2018:
	v_dual_mov_b32 v20, 0 :: v_dual_mov_b32 v0, 0
	v_dual_mov_b32 v16, 0 :: v_dual_mov_b32 v18, 0
	;; [unrolled: 1-line block ×3, first 2 shown]
	s_and_not1_b32 vcc_lo, exec_lo, s6
	s_cbranch_vccz .LBB127_2016
.LBB127_2019:
	v_mov_b32_e32 v9, 0
	s_load_b128 s[4:7], s[2:3], 0x248
	global_load_u8 v1, v9, s[2:3] offset:689
	s_wait_kmcnt 0x0
	v_add_nc_u64_e32 v[48:49], s[6:7], v[8:9]
	s_wait_loadcnt 0x0
	v_and_b32_e32 v3, 0xffff, v1
	v_readfirstlane_b32 s34, v1
	s_delay_alu instid0(VALU_DEP_2)
	v_cmp_gt_i32_e32 vcc_lo, 11, v3
	s_cbranch_vccnz .LBB127_2026
; %bb.2020:
	s_and_b32 s0, 0xffff, s34
	s_mov_b32 s8, 0
	s_cmp_gt_i32 s0, 25
	s_cbranch_scc0 .LBB127_2028
; %bb.2021:
	s_cmp_gt_i32 s0, 28
	s_cbranch_scc0 .LBB127_2029
; %bb.2022:
	;; [unrolled: 3-line block ×4, first 2 shown]
	s_cmp_eq_u32 s0, 46
	s_mov_b32 s10, 0
	s_cbranch_scc0 .LBB127_2032
; %bb.2025:
	global_load_b32 v1, v[48:49], off
	s_mov_b32 s1, 0
	s_mov_b32 s9, -1
	s_wait_loadcnt 0x0
	v_lshlrev_b32_e32 v1, 16, v1
	s_delay_alu instid0(VALU_DEP_1) | instskip(NEXT) | instid1(VALU_DEP_1)
	v_trunc_f32_e32 v1, v1
	v_mul_f32_e64 v3, 0x2f800000, |v1|
	v_ashrrev_i32_e32 v8, 31, v1
	s_delay_alu instid0(VALU_DEP_2) | instskip(SKIP_1) | instid1(VALU_DEP_2)
	v_floor_f32_e32 v3, v3
	s_wait_xcnt 0x1
	v_mov_b32_e32 v9, v8
	s_delay_alu instid0(VALU_DEP_2) | instskip(SKIP_1) | instid1(VALU_DEP_2)
	v_fma_f32 v5, 0xcf800000, v3, |v1|
	v_cvt_u32_f32_e32 v1, v3
	v_cvt_u32_f32_e32 v3, v5
	s_delay_alu instid0(VALU_DEP_2) | instskip(NEXT) | instid1(VALU_DEP_2)
	v_xor_b32_e32 v51, v1, v8
	v_xor_b32_e32 v50, v3, v8
	s_delay_alu instid0(VALU_DEP_1)
	v_sub_nc_u64_e32 v[8:9], v[50:51], v[8:9]
	s_branch .LBB127_2034
.LBB127_2026:
	s_mov_b32 s9, 0
	s_mov_b32 s33, s36
                                        ; implicit-def: $vgpr8_vgpr9
	s_cbranch_execnz .LBB127_2092
.LBB127_2027:
	s_and_not1_b32 vcc_lo, exec_lo, s9
	s_cbranch_vccz .LBB127_2137
	s_branch .LBB127_2649
.LBB127_2028:
	s_mov_b32 s9, 0
	s_mov_b32 s1, 0
                                        ; implicit-def: $vgpr8_vgpr9
	s_cbranch_execnz .LBB127_2059
	s_branch .LBB127_2088
.LBB127_2029:
	s_mov_b32 s9, 0
	s_mov_b32 s1, 0
                                        ; implicit-def: $vgpr8_vgpr9
	s_cbranch_execz .LBB127_2058
	s_branch .LBB127_2043
.LBB127_2030:
	s_mov_b32 s9, 0
	s_mov_b32 s1, 0
                                        ; implicit-def: $vgpr8_vgpr9
	s_cbranch_execnz .LBB127_2039
	s_branch .LBB127_2042
.LBB127_2031:
	s_mov_b32 s10, -1
	s_mov_b32 s9, 0
	s_mov_b32 s1, 0
	s_branch .LBB127_2033
.LBB127_2032:
	s_mov_b32 s1, -1
	s_mov_b32 s9, 0
.LBB127_2033:
                                        ; implicit-def: $vgpr8_vgpr9
.LBB127_2034:
	s_and_b32 vcc_lo, exec_lo, s10
	s_cbranch_vccz .LBB127_2037
; %bb.2035:
	s_cmp_eq_u32 s0, 44
	s_cbranch_scc0 .LBB127_2038
; %bb.2036:
	global_load_u8 v1, v[48:49], off
	s_mov_b32 s1, 0
	s_mov_b32 s9, -1
	s_wait_loadcnt 0x0
	v_lshlrev_b32_e32 v3, 23, v1
	v_cmp_ne_u32_e32 vcc_lo, 0, v1
	s_delay_alu instid0(VALU_DEP_2) | instskip(NEXT) | instid1(VALU_DEP_1)
	v_trunc_f32_e32 v3, v3
	v_mul_f32_e64 v5, 0x2f800000, |v3|
	v_ashrrev_i32_e32 v8, 31, v3
	s_delay_alu instid0(VALU_DEP_2) | instskip(SKIP_1) | instid1(VALU_DEP_2)
	v_floor_f32_e32 v5, v5
	s_wait_xcnt 0x1
	v_mov_b32_e32 v9, v8
	s_delay_alu instid0(VALU_DEP_2) | instskip(SKIP_1) | instid1(VALU_DEP_2)
	v_fma_f32 v7, 0xcf800000, v5, |v3|
	v_cvt_u32_f32_e32 v3, v5
	v_cvt_u32_f32_e32 v5, v7
	s_delay_alu instid0(VALU_DEP_2) | instskip(NEXT) | instid1(VALU_DEP_2)
	v_xor_b32_e32 v51, v3, v8
	v_xor_b32_e32 v50, v5, v8
	s_delay_alu instid0(VALU_DEP_1) | instskip(NEXT) | instid1(VALU_DEP_1)
	v_sub_nc_u64_e32 v[8:9], v[50:51], v[8:9]
	v_dual_cndmask_b32 v9, 0, v9 :: v_dual_cndmask_b32 v8, 0, v8
.LBB127_2037:
	s_branch .LBB127_2042
.LBB127_2038:
	s_mov_b32 s1, -1
                                        ; implicit-def: $vgpr8_vgpr9
	s_branch .LBB127_2042
.LBB127_2039:
	s_cmp_eq_u32 s0, 29
	s_cbranch_scc0 .LBB127_2041
; %bb.2040:
	global_load_b64 v[8:9], v[48:49], off
	s_mov_b32 s1, 0
	s_mov_b32 s9, -1
	s_branch .LBB127_2042
.LBB127_2041:
	s_mov_b32 s1, -1
                                        ; implicit-def: $vgpr8_vgpr9
.LBB127_2042:
	s_branch .LBB127_2058
.LBB127_2043:
	s_cmp_lt_i32 s0, 27
	s_cbranch_scc1 .LBB127_2046
; %bb.2044:
	s_cmp_gt_i32 s0, 27
	s_cbranch_scc0 .LBB127_2047
; %bb.2045:
	s_wait_loadcnt 0x0
	global_load_b32 v8, v[48:49], off
	s_wait_xcnt 0x1
	v_mov_b32_e32 v9, 0
	s_mov_b32 s9, 0
	s_branch .LBB127_2048
.LBB127_2046:
	s_mov_b32 s9, -1
                                        ; implicit-def: $vgpr8_vgpr9
	s_branch .LBB127_2051
.LBB127_2047:
	s_mov_b32 s9, -1
                                        ; implicit-def: $vgpr8_vgpr9
.LBB127_2048:
	s_delay_alu instid0(SALU_CYCLE_1)
	s_and_not1_b32 vcc_lo, exec_lo, s9
	s_cbranch_vccnz .LBB127_2050
; %bb.2049:
	global_load_u16 v1, v[48:49], off
	s_mov_b32 s9, 0
	s_wait_loadcnt 0x1
	s_wait_xcnt 0x1
	v_mov_b32_e32 v9, s9
	s_wait_loadcnt 0x0
	v_and_b32_e32 v8, 0xffff, v1
.LBB127_2050:
	s_mov_b32 s9, 0
.LBB127_2051:
	s_delay_alu instid0(SALU_CYCLE_1)
	s_and_not1_b32 vcc_lo, exec_lo, s9
	s_cbranch_vccnz .LBB127_2057
; %bb.2052:
	global_load_u8 v1, v[48:49], off
	s_mov_b32 s10, 0
	s_mov_b32 s9, exec_lo
	s_wait_loadcnt 0x0
	v_cmpx_lt_i16_e32 0x7f, v1
	s_xor_b32 s9, exec_lo, s9
	s_cbranch_execz .LBB127_2068
; %bb.2053:
	v_cmp_ne_u16_e32 vcc_lo, 0x80, v1
	s_and_b32 s10, vcc_lo, exec_lo
	s_and_not1_saveexec_b32 s9, s9
	s_cbranch_execnz .LBB127_2069
.LBB127_2054:
	s_or_b32 exec_lo, exec_lo, s9
	v_mov_b64_e32 v[8:9], 0
	s_and_saveexec_b32 s9, s10
	s_cbranch_execz .LBB127_2056
.LBB127_2055:
	v_and_b32_e32 v3, 0xffff, v1
	s_delay_alu instid0(VALU_DEP_1) | instskip(SKIP_1) | instid1(VALU_DEP_2)
	v_dual_lshlrev_b32 v1, 24, v1 :: v_dual_bitop2_b32 v5, 7, v3 bitop3:0x40
	v_bfe_u32 v9, v3, 3, 4
	v_and_b32_e32 v1, 0x80000000, v1
	s_delay_alu instid0(VALU_DEP_3) | instskip(NEXT) | instid1(VALU_DEP_3)
	v_clz_i32_u32_e32 v7, v5
	v_cmp_eq_u32_e32 vcc_lo, 0, v9
	s_delay_alu instid0(VALU_DEP_2) | instskip(NEXT) | instid1(VALU_DEP_1)
	v_min_u32_e32 v7, 32, v7
	v_subrev_nc_u32_e32 v8, 28, v7
	v_sub_nc_u32_e32 v7, 29, v7
	s_delay_alu instid0(VALU_DEP_2) | instskip(NEXT) | instid1(VALU_DEP_2)
	v_lshlrev_b32_e32 v3, v8, v3
	v_cndmask_b32_e32 v7, v9, v7, vcc_lo
	s_delay_alu instid0(VALU_DEP_2) | instskip(NEXT) | instid1(VALU_DEP_1)
	v_and_b32_e32 v3, 7, v3
	v_cndmask_b32_e32 v3, v5, v3, vcc_lo
	s_delay_alu instid0(VALU_DEP_3) | instskip(NEXT) | instid1(VALU_DEP_2)
	v_lshl_add_u32 v5, v7, 23, 0x3b800000
	v_lshlrev_b32_e32 v3, 20, v3
	s_delay_alu instid0(VALU_DEP_1) | instskip(NEXT) | instid1(VALU_DEP_1)
	v_or3_b32 v1, v1, v5, v3
	v_trunc_f32_e32 v1, v1
	s_delay_alu instid0(VALU_DEP_1) | instskip(SKIP_1) | instid1(VALU_DEP_2)
	v_mul_f32_e64 v3, 0x2f800000, |v1|
	v_ashrrev_i32_e32 v8, 31, v1
	v_floor_f32_e32 v3, v3
	s_delay_alu instid0(VALU_DEP_2) | instskip(NEXT) | instid1(VALU_DEP_2)
	v_mov_b32_e32 v9, v8
	v_fma_f32 v5, 0xcf800000, v3, |v1|
	v_cvt_u32_f32_e32 v1, v3
	s_delay_alu instid0(VALU_DEP_2) | instskip(NEXT) | instid1(VALU_DEP_2)
	v_cvt_u32_f32_e32 v3, v5
	v_xor_b32_e32 v51, v1, v8
	s_delay_alu instid0(VALU_DEP_2) | instskip(NEXT) | instid1(VALU_DEP_1)
	v_xor_b32_e32 v50, v3, v8
	v_sub_nc_u64_e32 v[8:9], v[50:51], v[8:9]
.LBB127_2056:
	s_or_b32 exec_lo, exec_lo, s9
.LBB127_2057:
	s_mov_b32 s9, -1
.LBB127_2058:
	s_branch .LBB127_2088
.LBB127_2059:
	s_cmp_gt_i32 s0, 22
	s_cbranch_scc0 .LBB127_2067
; %bb.2060:
	s_cmp_lt_i32 s0, 24
	s_cbranch_scc1 .LBB127_2070
; %bb.2061:
	s_cmp_gt_i32 s0, 24
	s_cbranch_scc0 .LBB127_2071
; %bb.2062:
	global_load_u8 v1, v[48:49], off
	s_mov_b32 s9, 0
	s_mov_b32 s8, exec_lo
	s_wait_loadcnt 0x0
	v_cmpx_lt_i16_e32 0x7f, v1
	s_xor_b32 s8, exec_lo, s8
	s_cbranch_execz .LBB127_2082
; %bb.2063:
	v_cmp_ne_u16_e32 vcc_lo, 0x80, v1
	s_and_b32 s9, vcc_lo, exec_lo
	s_and_not1_saveexec_b32 s8, s8
	s_cbranch_execnz .LBB127_2083
.LBB127_2064:
	s_or_b32 exec_lo, exec_lo, s8
	v_mov_b64_e32 v[8:9], 0
	s_and_saveexec_b32 s8, s9
	s_cbranch_execz .LBB127_2066
.LBB127_2065:
	v_and_b32_e32 v3, 0xffff, v1
	s_delay_alu instid0(VALU_DEP_1) | instskip(SKIP_1) | instid1(VALU_DEP_2)
	v_dual_lshlrev_b32 v1, 24, v1 :: v_dual_bitop2_b32 v5, 3, v3 bitop3:0x40
	v_bfe_u32 v9, v3, 2, 5
	v_and_b32_e32 v1, 0x80000000, v1
	s_delay_alu instid0(VALU_DEP_3) | instskip(NEXT) | instid1(VALU_DEP_3)
	v_clz_i32_u32_e32 v7, v5
	v_cmp_eq_u32_e32 vcc_lo, 0, v9
	s_delay_alu instid0(VALU_DEP_2) | instskip(NEXT) | instid1(VALU_DEP_1)
	v_min_u32_e32 v7, 32, v7
	v_subrev_nc_u32_e32 v8, 29, v7
	v_sub_nc_u32_e32 v7, 30, v7
	s_delay_alu instid0(VALU_DEP_2) | instskip(NEXT) | instid1(VALU_DEP_2)
	v_lshlrev_b32_e32 v3, v8, v3
	v_cndmask_b32_e32 v7, v9, v7, vcc_lo
	s_delay_alu instid0(VALU_DEP_2) | instskip(NEXT) | instid1(VALU_DEP_1)
	v_and_b32_e32 v3, 3, v3
	v_cndmask_b32_e32 v3, v5, v3, vcc_lo
	s_delay_alu instid0(VALU_DEP_3) | instskip(NEXT) | instid1(VALU_DEP_2)
	v_lshl_add_u32 v5, v7, 23, 0x37800000
	v_lshlrev_b32_e32 v3, 21, v3
	s_delay_alu instid0(VALU_DEP_1) | instskip(NEXT) | instid1(VALU_DEP_1)
	v_or3_b32 v1, v1, v5, v3
	v_trunc_f32_e32 v1, v1
	s_delay_alu instid0(VALU_DEP_1) | instskip(SKIP_1) | instid1(VALU_DEP_2)
	v_mul_f32_e64 v3, 0x2f800000, |v1|
	v_ashrrev_i32_e32 v8, 31, v1
	v_floor_f32_e32 v3, v3
	s_delay_alu instid0(VALU_DEP_2) | instskip(NEXT) | instid1(VALU_DEP_2)
	v_mov_b32_e32 v9, v8
	v_fma_f32 v5, 0xcf800000, v3, |v1|
	v_cvt_u32_f32_e32 v1, v3
	s_delay_alu instid0(VALU_DEP_2) | instskip(NEXT) | instid1(VALU_DEP_2)
	v_cvt_u32_f32_e32 v3, v5
	v_xor_b32_e32 v51, v1, v8
	s_delay_alu instid0(VALU_DEP_2) | instskip(NEXT) | instid1(VALU_DEP_1)
	v_xor_b32_e32 v50, v3, v8
	v_sub_nc_u64_e32 v[8:9], v[50:51], v[8:9]
.LBB127_2066:
	s_or_b32 exec_lo, exec_lo, s8
	s_mov_b32 s8, 0
	s_branch .LBB127_2072
.LBB127_2067:
                                        ; implicit-def: $vgpr8_vgpr9
	s_mov_b32 s8, 0
	s_branch .LBB127_2078
.LBB127_2068:
	s_and_not1_saveexec_b32 s9, s9
	s_cbranch_execz .LBB127_2054
.LBB127_2069:
	v_cmp_ne_u16_e32 vcc_lo, 0, v1
	s_and_not1_b32 s10, s10, exec_lo
	s_and_b32 s11, vcc_lo, exec_lo
	s_delay_alu instid0(SALU_CYCLE_1)
	s_or_b32 s10, s10, s11
	s_or_b32 exec_lo, exec_lo, s9
	v_mov_b64_e32 v[8:9], 0
	s_and_saveexec_b32 s9, s10
	s_cbranch_execnz .LBB127_2055
	s_branch .LBB127_2056
.LBB127_2070:
	s_mov_b32 s8, -1
                                        ; implicit-def: $vgpr8_vgpr9
	s_branch .LBB127_2075
.LBB127_2071:
	s_mov_b32 s8, -1
                                        ; implicit-def: $vgpr8_vgpr9
.LBB127_2072:
	s_delay_alu instid0(SALU_CYCLE_1)
	s_and_b32 vcc_lo, exec_lo, s8
	s_cbranch_vccz .LBB127_2074
; %bb.2073:
	global_load_u8 v1, v[48:49], off
	s_wait_loadcnt 0x0
	v_lshlrev_b32_e32 v1, 24, v1
	s_delay_alu instid0(VALU_DEP_1) | instskip(NEXT) | instid1(VALU_DEP_1)
	v_and_b32_e32 v3, 0x7f000000, v1
	v_clz_i32_u32_e32 v5, v3
	v_cmp_ne_u32_e32 vcc_lo, 0, v3
	v_add_nc_u32_e32 v8, 0x1000000, v3
	s_delay_alu instid0(VALU_DEP_3) | instskip(NEXT) | instid1(VALU_DEP_1)
	v_min_u32_e32 v5, 32, v5
	v_sub_nc_u32_e64 v5, v5, 4 clamp
	s_delay_alu instid0(VALU_DEP_1) | instskip(NEXT) | instid1(VALU_DEP_1)
	v_dual_lshlrev_b32 v7, v5, v3 :: v_dual_lshlrev_b32 v5, 23, v5
	v_lshrrev_b32_e32 v7, 4, v7
	s_delay_alu instid0(VALU_DEP_1) | instskip(NEXT) | instid1(VALU_DEP_1)
	v_dual_sub_nc_u32 v5, v7, v5 :: v_dual_ashrrev_i32 v7, 8, v8
	v_add_nc_u32_e32 v5, 0x3c000000, v5
	s_delay_alu instid0(VALU_DEP_1) | instskip(NEXT) | instid1(VALU_DEP_1)
	v_and_or_b32 v5, 0x7f800000, v7, v5
	v_cndmask_b32_e32 v3, 0, v5, vcc_lo
	s_delay_alu instid0(VALU_DEP_1) | instskip(NEXT) | instid1(VALU_DEP_1)
	v_and_or_b32 v1, 0x80000000, v1, v3
	v_trunc_f32_e32 v1, v1
	s_delay_alu instid0(VALU_DEP_1) | instskip(SKIP_1) | instid1(VALU_DEP_2)
	v_mul_f32_e64 v3, 0x2f800000, |v1|
	v_ashrrev_i32_e32 v8, 31, v1
	v_floor_f32_e32 v3, v3
	s_delay_alu instid0(VALU_DEP_1) | instskip(SKIP_3) | instid1(VALU_DEP_3)
	v_fma_f32 v5, 0xcf800000, v3, |v1|
	v_cvt_u32_f32_e32 v1, v3
	s_wait_xcnt 0x1
	v_mov_b32_e32 v9, v8
	v_cvt_u32_f32_e32 v3, v5
	s_delay_alu instid0(VALU_DEP_3) | instskip(NEXT) | instid1(VALU_DEP_2)
	v_xor_b32_e32 v51, v1, v8
	v_xor_b32_e32 v50, v3, v8
	s_delay_alu instid0(VALU_DEP_1)
	v_sub_nc_u64_e32 v[8:9], v[50:51], v[8:9]
.LBB127_2074:
	s_mov_b32 s8, 0
.LBB127_2075:
	s_delay_alu instid0(SALU_CYCLE_1)
	s_and_not1_b32 vcc_lo, exec_lo, s8
	s_cbranch_vccnz .LBB127_2077
; %bb.2076:
	global_load_u8 v1, v[48:49], off
	s_wait_loadcnt 0x0
	v_lshlrev_b32_e32 v3, 25, v1
	v_lshlrev_b16 v1, 8, v1
	s_delay_alu instid0(VALU_DEP_1) | instskip(SKIP_1) | instid1(VALU_DEP_2)
	v_and_or_b32 v7, 0x7f00, v1, 0.5
	v_bfe_i32 v1, v1, 0, 16
	v_add_f32_e32 v7, -0.5, v7
	v_lshrrev_b32_e32 v5, 4, v3
	v_cmp_gt_u32_e32 vcc_lo, 0x8000000, v3
	s_delay_alu instid0(VALU_DEP_2) | instskip(NEXT) | instid1(VALU_DEP_1)
	v_or_b32_e32 v5, 0x70000000, v5
	v_mul_f32_e32 v5, 0x7800000, v5
	s_delay_alu instid0(VALU_DEP_1) | instskip(NEXT) | instid1(VALU_DEP_1)
	v_cndmask_b32_e32 v3, v5, v7, vcc_lo
	v_and_or_b32 v1, 0x80000000, v1, v3
	s_delay_alu instid0(VALU_DEP_1) | instskip(NEXT) | instid1(VALU_DEP_1)
	v_trunc_f32_e32 v1, v1
	v_mul_f32_e64 v3, 0x2f800000, |v1|
	v_ashrrev_i32_e32 v8, 31, v1
	s_delay_alu instid0(VALU_DEP_2) | instskip(SKIP_1) | instid1(VALU_DEP_2)
	v_floor_f32_e32 v3, v3
	s_wait_xcnt 0x1
	v_mov_b32_e32 v9, v8
	s_delay_alu instid0(VALU_DEP_2) | instskip(SKIP_1) | instid1(VALU_DEP_2)
	v_fma_f32 v5, 0xcf800000, v3, |v1|
	v_cvt_u32_f32_e32 v1, v3
	v_cvt_u32_f32_e32 v3, v5
	s_delay_alu instid0(VALU_DEP_2) | instskip(NEXT) | instid1(VALU_DEP_2)
	v_xor_b32_e32 v51, v1, v8
	v_xor_b32_e32 v50, v3, v8
	s_delay_alu instid0(VALU_DEP_1)
	v_sub_nc_u64_e32 v[8:9], v[50:51], v[8:9]
.LBB127_2077:
	s_mov_b32 s9, -1
	s_mov_b32 s8, 0
	s_cbranch_execnz .LBB127_2088
.LBB127_2078:
	s_cmp_gt_i32 s0, 14
	s_cbranch_scc0 .LBB127_2081
; %bb.2079:
	s_cmp_eq_u32 s0, 15
	s_cbranch_scc0 .LBB127_2084
; %bb.2080:
	global_load_u16 v1, v[48:49], off
	s_mov_b32 s1, 0
	s_mov_b32 s9, -1
	s_wait_loadcnt 0x0
	v_lshlrev_b32_e32 v1, 16, v1
	s_delay_alu instid0(VALU_DEP_1) | instskip(NEXT) | instid1(VALU_DEP_1)
	v_trunc_f32_e32 v1, v1
	v_mul_f32_e64 v3, 0x2f800000, |v1|
	v_ashrrev_i32_e32 v8, 31, v1
	s_delay_alu instid0(VALU_DEP_2) | instskip(SKIP_1) | instid1(VALU_DEP_2)
	v_floor_f32_e32 v3, v3
	s_wait_xcnt 0x1
	v_mov_b32_e32 v9, v8
	s_delay_alu instid0(VALU_DEP_2) | instskip(SKIP_1) | instid1(VALU_DEP_2)
	v_fma_f32 v5, 0xcf800000, v3, |v1|
	v_cvt_u32_f32_e32 v1, v3
	v_cvt_u32_f32_e32 v3, v5
	s_delay_alu instid0(VALU_DEP_2) | instskip(NEXT) | instid1(VALU_DEP_2)
	v_xor_b32_e32 v51, v1, v8
	v_xor_b32_e32 v50, v3, v8
	s_delay_alu instid0(VALU_DEP_1)
	v_sub_nc_u64_e32 v[8:9], v[50:51], v[8:9]
	s_branch .LBB127_2086
.LBB127_2081:
	s_mov_b32 s8, -1
	s_branch .LBB127_2085
.LBB127_2082:
	s_and_not1_saveexec_b32 s8, s8
	s_cbranch_execz .LBB127_2064
.LBB127_2083:
	v_cmp_ne_u16_e32 vcc_lo, 0, v1
	s_and_not1_b32 s9, s9, exec_lo
	s_and_b32 s10, vcc_lo, exec_lo
	s_delay_alu instid0(SALU_CYCLE_1)
	s_or_b32 s9, s9, s10
	s_or_b32 exec_lo, exec_lo, s8
	v_mov_b64_e32 v[8:9], 0
	s_and_saveexec_b32 s8, s9
	s_cbranch_execnz .LBB127_2065
	s_branch .LBB127_2066
.LBB127_2084:
	s_mov_b32 s1, -1
.LBB127_2085:
                                        ; implicit-def: $vgpr8_vgpr9
.LBB127_2086:
	s_and_b32 vcc_lo, exec_lo, s8
	s_mov_b32 s8, 0
	s_cbranch_vccz .LBB127_2088
; %bb.2087:
	s_cmp_lg_u32 s0, 11
	s_mov_b32 s8, -1
	s_cselect_b32 s1, -1, 0
.LBB127_2088:
	s_delay_alu instid0(SALU_CYCLE_1)
	s_and_b32 vcc_lo, exec_lo, s1
	s_mov_b32 s33, s36
	s_cbranch_vccnz .LBB127_2149
; %bb.2089:
	s_and_not1_b32 vcc_lo, exec_lo, s8
	s_cbranch_vccnz .LBB127_2091
.LBB127_2090:
	global_load_u8 v1, v[48:49], off
	s_mov_b32 s0, 0
	s_mov_b32 s9, -1
	s_wait_loadcnt 0x1
	s_wait_xcnt 0x1
	v_mov_b32_e32 v9, s0
	s_wait_loadcnt 0x0
	v_cmp_ne_u16_e32 vcc_lo, 0, v1
	v_cndmask_b32_e64 v8, 0, 1, vcc_lo
.LBB127_2091:
	s_branch .LBB127_2027
.LBB127_2092:
	s_and_b32 s0, 0xffff, s34
	s_delay_alu instid0(SALU_CYCLE_1)
	s_cmp_lt_i32 s0, 5
	s_cbranch_scc1 .LBB127_2097
; %bb.2093:
	s_cmp_lt_i32 s0, 8
	s_cbranch_scc1 .LBB127_2098
; %bb.2094:
	s_cmp_lt_i32 s0, 9
	s_cbranch_scc1 .LBB127_2099
; %bb.2095:
	s_cmp_gt_i32 s0, 9
	s_cbranch_scc0 .LBB127_2100
; %bb.2096:
	s_wait_loadcnt 0x0
	global_load_b64 v[8:9], v[48:49], off
	s_mov_b32 s1, 0
	s_wait_loadcnt 0x0
	v_trunc_f64_e32 v[8:9], v[8:9]
	s_delay_alu instid0(VALU_DEP_1) | instskip(NEXT) | instid1(VALU_DEP_1)
	v_ldexp_f64 v[50:51], v[8:9], 0xffffffe0
	v_floor_f64_e32 v[50:51], v[50:51]
	s_delay_alu instid0(VALU_DEP_1) | instskip(SKIP_1) | instid1(VALU_DEP_2)
	v_fmamk_f64 v[52:53], v[50:51], 0xc1f00000, v[8:9]
	v_cvt_i32_f64_e32 v9, v[50:51]
	v_cvt_u32_f64_e32 v8, v[52:53]
	s_branch .LBB127_2101
.LBB127_2097:
                                        ; implicit-def: $vgpr8_vgpr9
	s_branch .LBB127_2118
.LBB127_2098:
                                        ; implicit-def: $vgpr8_vgpr9
	s_branch .LBB127_2107
.LBB127_2099:
	s_mov_b32 s1, -1
                                        ; implicit-def: $vgpr8_vgpr9
	s_branch .LBB127_2104
.LBB127_2100:
	s_mov_b32 s1, -1
                                        ; implicit-def: $vgpr8_vgpr9
.LBB127_2101:
	s_delay_alu instid0(SALU_CYCLE_1)
	s_and_not1_b32 vcc_lo, exec_lo, s1
	s_cbranch_vccnz .LBB127_2103
; %bb.2102:
	global_load_b32 v1, v[48:49], off
	s_wait_loadcnt 0x0
	v_trunc_f32_e32 v1, v1
	s_delay_alu instid0(VALU_DEP_1) | instskip(SKIP_1) | instid1(VALU_DEP_2)
	v_mul_f32_e64 v3, 0x2f800000, |v1|
	v_ashrrev_i32_e32 v8, 31, v1
	v_floor_f32_e32 v3, v3
	s_delay_alu instid0(VALU_DEP_1) | instskip(SKIP_3) | instid1(VALU_DEP_3)
	v_fma_f32 v5, 0xcf800000, v3, |v1|
	v_cvt_u32_f32_e32 v1, v3
	s_wait_xcnt 0x1
	v_mov_b32_e32 v9, v8
	v_cvt_u32_f32_e32 v3, v5
	s_delay_alu instid0(VALU_DEP_3) | instskip(NEXT) | instid1(VALU_DEP_2)
	v_xor_b32_e32 v51, v1, v8
	v_xor_b32_e32 v50, v3, v8
	s_delay_alu instid0(VALU_DEP_1)
	v_sub_nc_u64_e32 v[8:9], v[50:51], v[8:9]
.LBB127_2103:
	s_mov_b32 s1, 0
.LBB127_2104:
	s_delay_alu instid0(SALU_CYCLE_1)
	s_and_not1_b32 vcc_lo, exec_lo, s1
	s_cbranch_vccnz .LBB127_2106
; %bb.2105:
	global_load_b32 v1, v[48:49], off
	s_wait_loadcnt 0x0
	v_cvt_f32_f16_e32 v1, v1
	s_delay_alu instid0(VALU_DEP_1) | instskip(SKIP_1) | instid1(VALU_DEP_1)
	v_cvt_i32_f32_e32 v8, v1
	s_wait_xcnt 0x1
	v_ashrrev_i32_e32 v9, 31, v8
.LBB127_2106:
	s_cbranch_execnz .LBB127_2117
.LBB127_2107:
	s_cmp_lt_i32 s0, 6
	s_cbranch_scc1 .LBB127_2110
; %bb.2108:
	s_cmp_gt_i32 s0, 6
	s_cbranch_scc0 .LBB127_2111
; %bb.2109:
	s_wait_loadcnt 0x0
	global_load_b64 v[8:9], v[48:49], off
	s_mov_b32 s1, 0
	s_wait_loadcnt 0x0
	v_trunc_f64_e32 v[8:9], v[8:9]
	s_delay_alu instid0(VALU_DEP_1) | instskip(NEXT) | instid1(VALU_DEP_1)
	v_ldexp_f64 v[50:51], v[8:9], 0xffffffe0
	v_floor_f64_e32 v[50:51], v[50:51]
	s_delay_alu instid0(VALU_DEP_1) | instskip(SKIP_1) | instid1(VALU_DEP_2)
	v_fmamk_f64 v[52:53], v[50:51], 0xc1f00000, v[8:9]
	v_cvt_i32_f64_e32 v9, v[50:51]
	v_cvt_u32_f64_e32 v8, v[52:53]
	s_branch .LBB127_2112
.LBB127_2110:
	s_mov_b32 s1, -1
                                        ; implicit-def: $vgpr8_vgpr9
	s_branch .LBB127_2115
.LBB127_2111:
	s_mov_b32 s1, -1
                                        ; implicit-def: $vgpr8_vgpr9
.LBB127_2112:
	s_delay_alu instid0(SALU_CYCLE_1)
	s_and_not1_b32 vcc_lo, exec_lo, s1
	s_cbranch_vccnz .LBB127_2114
; %bb.2113:
	global_load_b32 v1, v[48:49], off
	s_wait_loadcnt 0x0
	v_trunc_f32_e32 v1, v1
	s_delay_alu instid0(VALU_DEP_1) | instskip(SKIP_1) | instid1(VALU_DEP_2)
	v_mul_f32_e64 v3, 0x2f800000, |v1|
	v_ashrrev_i32_e32 v8, 31, v1
	v_floor_f32_e32 v3, v3
	s_delay_alu instid0(VALU_DEP_1) | instskip(SKIP_3) | instid1(VALU_DEP_3)
	v_fma_f32 v5, 0xcf800000, v3, |v1|
	v_cvt_u32_f32_e32 v1, v3
	s_wait_xcnt 0x1
	v_mov_b32_e32 v9, v8
	v_cvt_u32_f32_e32 v3, v5
	s_delay_alu instid0(VALU_DEP_3) | instskip(NEXT) | instid1(VALU_DEP_2)
	v_xor_b32_e32 v51, v1, v8
	v_xor_b32_e32 v50, v3, v8
	s_delay_alu instid0(VALU_DEP_1)
	v_sub_nc_u64_e32 v[8:9], v[50:51], v[8:9]
.LBB127_2114:
	s_mov_b32 s1, 0
.LBB127_2115:
	s_delay_alu instid0(SALU_CYCLE_1)
	s_and_not1_b32 vcc_lo, exec_lo, s1
	s_cbranch_vccnz .LBB127_2117
; %bb.2116:
	global_load_u16 v1, v[48:49], off
	s_wait_loadcnt 0x0
	v_cvt_f32_f16_e32 v1, v1
	s_delay_alu instid0(VALU_DEP_1) | instskip(SKIP_1) | instid1(VALU_DEP_1)
	v_cvt_i32_f32_e32 v8, v1
	s_wait_xcnt 0x1
	v_ashrrev_i32_e32 v9, 31, v8
.LBB127_2117:
	s_cbranch_execnz .LBB127_2136
.LBB127_2118:
	s_cmp_lt_i32 s0, 2
	s_cbranch_scc1 .LBB127_2122
; %bb.2119:
	s_cmp_lt_i32 s0, 3
	s_cbranch_scc1 .LBB127_2123
; %bb.2120:
	s_cmp_gt_i32 s0, 3
	s_cbranch_scc0 .LBB127_2124
; %bb.2121:
	s_wait_loadcnt 0x0
	global_load_b64 v[8:9], v[48:49], off
	s_mov_b32 s1, 0
	s_branch .LBB127_2125
.LBB127_2122:
                                        ; implicit-def: $vgpr8_vgpr9
	s_branch .LBB127_2131
.LBB127_2123:
	s_mov_b32 s1, -1
                                        ; implicit-def: $vgpr8_vgpr9
	s_branch .LBB127_2128
.LBB127_2124:
	s_mov_b32 s1, -1
                                        ; implicit-def: $vgpr8_vgpr9
.LBB127_2125:
	s_delay_alu instid0(SALU_CYCLE_1)
	s_and_not1_b32 vcc_lo, exec_lo, s1
	s_cbranch_vccnz .LBB127_2127
; %bb.2126:
	s_wait_loadcnt 0x0
	global_load_b32 v8, v[48:49], off
	s_wait_loadcnt 0x0
	s_wait_xcnt 0x1
	v_ashrrev_i32_e32 v9, 31, v8
.LBB127_2127:
	s_mov_b32 s1, 0
.LBB127_2128:
	s_delay_alu instid0(SALU_CYCLE_1)
	s_and_not1_b32 vcc_lo, exec_lo, s1
	s_cbranch_vccnz .LBB127_2130
; %bb.2129:
	global_load_u16 v1, v[48:49], off
	s_wait_loadcnt 0x0
	v_bfe_i32 v8, v1, 0, 16
	s_wait_xcnt 0x1
	s_delay_alu instid0(VALU_DEP_1)
	v_ashrrev_i32_e32 v9, 31, v8
.LBB127_2130:
	s_cbranch_execnz .LBB127_2136
.LBB127_2131:
	s_cmp_gt_i32 s0, 0
	s_mov_b32 s0, 0
	s_cbranch_scc0 .LBB127_2133
; %bb.2132:
	global_load_i8 v1, v[48:49], off
	s_wait_loadcnt 0x0
	v_bfe_i32 v8, v1, 0, 16
	s_wait_xcnt 0x1
	s_delay_alu instid0(VALU_DEP_1)
	v_ashrrev_i32_e32 v9, 31, v8
	s_branch .LBB127_2134
.LBB127_2133:
	s_mov_b32 s0, -1
                                        ; implicit-def: $vgpr8_vgpr9
.LBB127_2134:
	s_delay_alu instid0(SALU_CYCLE_1)
	s_and_not1_b32 vcc_lo, exec_lo, s0
	s_cbranch_vccnz .LBB127_2136
; %bb.2135:
	global_load_u8 v1, v[48:49], off
	s_mov_b32 s0, 0
	s_wait_loadcnt 0x1
	s_wait_xcnt 0x1
	v_mov_b32_e32 v9, s0
	s_wait_loadcnt 0x0
	v_and_b32_e32 v8, 0xffff, v1
.LBB127_2136:
.LBB127_2137:
	v_mov_b32_e32 v13, 0
	s_load_b64 s[10:11], s[2:3], 0x258
	global_load_u8 v1, v13, s[2:3] offset:690
	s_wait_kmcnt 0x0
	v_add_nc_u64_e32 v[48:49], s[10:11], v[12:13]
	s_wait_loadcnt 0x0
	v_and_b32_e32 v3, 0xffff, v1
	v_readfirstlane_b32 s35, v1
	s_delay_alu instid0(VALU_DEP_2)
	v_cmp_gt_i32_e32 vcc_lo, 11, v3
	s_cbranch_vccnz .LBB127_2144
; %bb.2138:
	s_and_b32 s0, 0xffff, s35
	s_mov_b32 s8, 0
	s_cmp_gt_i32 s0, 25
	s_cbranch_scc0 .LBB127_2146
; %bb.2139:
	s_cmp_gt_i32 s0, 28
	s_cbranch_scc0 .LBB127_2147
; %bb.2140:
	;; [unrolled: 3-line block ×4, first 2 shown]
	s_cmp_eq_u32 s0, 46
	s_mov_b32 s12, 0
	s_cbranch_scc0 .LBB127_2151
; %bb.2143:
	global_load_b32 v1, v[48:49], off
	s_mov_b32 s1, 0
	s_mov_b32 s9, -1
	s_wait_loadcnt 0x0
	v_lshlrev_b32_e32 v1, 16, v1
	s_delay_alu instid0(VALU_DEP_1) | instskip(NEXT) | instid1(VALU_DEP_1)
	v_trunc_f32_e32 v1, v1
	v_mul_f32_e64 v3, 0x2f800000, |v1|
	v_ashrrev_i32_e32 v12, 31, v1
	s_delay_alu instid0(VALU_DEP_2) | instskip(SKIP_1) | instid1(VALU_DEP_2)
	v_floor_f32_e32 v3, v3
	s_wait_xcnt 0x1
	v_mov_b32_e32 v13, v12
	s_delay_alu instid0(VALU_DEP_2) | instskip(SKIP_1) | instid1(VALU_DEP_2)
	v_fma_f32 v5, 0xcf800000, v3, |v1|
	v_cvt_u32_f32_e32 v1, v3
	v_cvt_u32_f32_e32 v3, v5
	s_delay_alu instid0(VALU_DEP_2) | instskip(NEXT) | instid1(VALU_DEP_2)
	v_xor_b32_e32 v51, v1, v12
	v_xor_b32_e32 v50, v3, v12
	s_delay_alu instid0(VALU_DEP_1)
	v_sub_nc_u64_e32 v[12:13], v[50:51], v[12:13]
	s_branch .LBB127_2153
.LBB127_2144:
	s_mov_b32 s9, 0
                                        ; implicit-def: $vgpr12_vgpr13
	s_cbranch_execnz .LBB127_2214
.LBB127_2145:
	s_and_not1_b32 vcc_lo, exec_lo, s9
	s_cbranch_vccnz .LBB127_2649
	s_branch .LBB127_2261
.LBB127_2146:
	s_mov_b32 s9, 0
	s_mov_b32 s1, 0
                                        ; implicit-def: $vgpr12_vgpr13
	s_cbranch_execnz .LBB127_2180
	s_branch .LBB127_2210
.LBB127_2147:
	s_mov_b32 s12, -1
	s_mov_b32 s9, 0
	s_mov_b32 s1, 0
                                        ; implicit-def: $vgpr12_vgpr13
	s_branch .LBB127_2163
.LBB127_2148:
	s_mov_b32 s12, -1
	s_mov_b32 s9, 0
	s_mov_b32 s1, 0
                                        ; implicit-def: $vgpr12_vgpr13
	s_branch .LBB127_2158
.LBB127_2149:
	s_or_b32 s33, s36, exec_lo
	s_trap 2
	s_cbranch_execz .LBB127_2090
	s_branch .LBB127_2091
.LBB127_2150:
	s_mov_b32 s12, -1
	s_mov_b32 s9, 0
	s_mov_b32 s1, 0
	s_branch .LBB127_2152
.LBB127_2151:
	s_mov_b32 s1, -1
	s_mov_b32 s9, 0
.LBB127_2152:
                                        ; implicit-def: $vgpr12_vgpr13
.LBB127_2153:
	s_and_b32 vcc_lo, exec_lo, s12
	s_cbranch_vccz .LBB127_2157
; %bb.2154:
	s_cmp_eq_u32 s0, 44
	s_cbranch_scc0 .LBB127_2156
; %bb.2155:
	global_load_u8 v1, v[48:49], off
	s_mov_b32 s1, 0
	s_mov_b32 s9, -1
	s_wait_loadcnt 0x0
	v_lshlrev_b32_e32 v3, 23, v1
	v_cmp_ne_u32_e32 vcc_lo, 0, v1
	s_delay_alu instid0(VALU_DEP_2) | instskip(NEXT) | instid1(VALU_DEP_1)
	v_trunc_f32_e32 v3, v3
	v_mul_f32_e64 v5, 0x2f800000, |v3|
	v_ashrrev_i32_e32 v12, 31, v3
	s_delay_alu instid0(VALU_DEP_2) | instskip(SKIP_1) | instid1(VALU_DEP_2)
	v_floor_f32_e32 v5, v5
	s_wait_xcnt 0x1
	v_mov_b32_e32 v13, v12
	s_delay_alu instid0(VALU_DEP_2) | instskip(SKIP_1) | instid1(VALU_DEP_2)
	v_fma_f32 v7, 0xcf800000, v5, |v3|
	v_cvt_u32_f32_e32 v3, v5
	v_cvt_u32_f32_e32 v5, v7
	s_delay_alu instid0(VALU_DEP_2) | instskip(NEXT) | instid1(VALU_DEP_2)
	v_xor_b32_e32 v51, v3, v12
	v_xor_b32_e32 v50, v5, v12
	s_delay_alu instid0(VALU_DEP_1) | instskip(NEXT) | instid1(VALU_DEP_1)
	v_sub_nc_u64_e32 v[12:13], v[50:51], v[12:13]
	v_dual_cndmask_b32 v13, 0, v13 :: v_dual_cndmask_b32 v12, 0, v12
	s_branch .LBB127_2157
.LBB127_2156:
	s_mov_b32 s1, -1
                                        ; implicit-def: $vgpr12_vgpr13
.LBB127_2157:
	s_mov_b32 s12, 0
.LBB127_2158:
	s_delay_alu instid0(SALU_CYCLE_1)
	s_and_b32 vcc_lo, exec_lo, s12
	s_cbranch_vccz .LBB127_2162
; %bb.2159:
	s_cmp_eq_u32 s0, 29
	s_cbranch_scc0 .LBB127_2161
; %bb.2160:
	global_load_b64 v[12:13], v[48:49], off
	s_mov_b32 s1, 0
	s_mov_b32 s9, -1
	s_branch .LBB127_2162
.LBB127_2161:
	s_mov_b32 s1, -1
                                        ; implicit-def: $vgpr12_vgpr13
.LBB127_2162:
	s_mov_b32 s12, 0
.LBB127_2163:
	s_delay_alu instid0(SALU_CYCLE_1)
	s_and_b32 vcc_lo, exec_lo, s12
	s_cbranch_vccz .LBB127_2179
; %bb.2164:
	s_cmp_lt_i32 s0, 27
	s_cbranch_scc1 .LBB127_2167
; %bb.2165:
	s_cmp_gt_i32 s0, 27
	s_cbranch_scc0 .LBB127_2168
; %bb.2166:
	s_wait_loadcnt 0x0
	global_load_b32 v12, v[48:49], off
	s_wait_xcnt 0x1
	v_mov_b32_e32 v13, 0
	s_mov_b32 s9, 0
	s_branch .LBB127_2169
.LBB127_2167:
	s_mov_b32 s9, -1
                                        ; implicit-def: $vgpr12_vgpr13
	s_branch .LBB127_2172
.LBB127_2168:
	s_mov_b32 s9, -1
                                        ; implicit-def: $vgpr12_vgpr13
.LBB127_2169:
	s_delay_alu instid0(SALU_CYCLE_1)
	s_and_not1_b32 vcc_lo, exec_lo, s9
	s_cbranch_vccnz .LBB127_2171
; %bb.2170:
	global_load_u16 v1, v[48:49], off
	s_mov_b32 s9, 0
	s_wait_loadcnt 0x1
	s_wait_xcnt 0x1
	v_mov_b32_e32 v13, s9
	s_wait_loadcnt 0x0
	v_and_b32_e32 v12, 0xffff, v1
.LBB127_2171:
	s_mov_b32 s9, 0
.LBB127_2172:
	s_delay_alu instid0(SALU_CYCLE_1)
	s_and_not1_b32 vcc_lo, exec_lo, s9
	s_cbranch_vccnz .LBB127_2178
; %bb.2173:
	global_load_u8 v1, v[48:49], off
	s_mov_b32 s12, 0
	s_mov_b32 s9, exec_lo
	s_wait_loadcnt 0x0
	v_cmpx_lt_i16_e32 0x7f, v1
	s_xor_b32 s9, exec_lo, s9
	s_cbranch_execz .LBB127_2189
; %bb.2174:
	v_cmp_ne_u16_e32 vcc_lo, 0x80, v1
	s_and_b32 s12, vcc_lo, exec_lo
	s_and_not1_saveexec_b32 s9, s9
	s_cbranch_execnz .LBB127_2190
.LBB127_2175:
	s_or_b32 exec_lo, exec_lo, s9
	v_mov_b64_e32 v[12:13], 0
	s_and_saveexec_b32 s9, s12
	s_cbranch_execz .LBB127_2177
.LBB127_2176:
	v_and_b32_e32 v3, 0xffff, v1
	s_delay_alu instid0(VALU_DEP_1) | instskip(SKIP_1) | instid1(VALU_DEP_2)
	v_dual_lshlrev_b32 v1, 24, v1 :: v_dual_bitop2_b32 v5, 7, v3 bitop3:0x40
	v_bfe_u32 v12, v3, 3, 4
	v_and_b32_e32 v1, 0x80000000, v1
	s_delay_alu instid0(VALU_DEP_3) | instskip(NEXT) | instid1(VALU_DEP_3)
	v_clz_i32_u32_e32 v7, v5
	v_cmp_eq_u32_e32 vcc_lo, 0, v12
	s_delay_alu instid0(VALU_DEP_2) | instskip(NEXT) | instid1(VALU_DEP_1)
	v_min_u32_e32 v7, 32, v7
	v_subrev_nc_u32_e32 v11, 28, v7
	v_sub_nc_u32_e32 v7, 29, v7
	s_delay_alu instid0(VALU_DEP_2) | instskip(NEXT) | instid1(VALU_DEP_2)
	v_lshlrev_b32_e32 v3, v11, v3
	v_cndmask_b32_e32 v7, v12, v7, vcc_lo
	s_delay_alu instid0(VALU_DEP_2) | instskip(NEXT) | instid1(VALU_DEP_1)
	v_and_b32_e32 v3, 7, v3
	v_cndmask_b32_e32 v3, v5, v3, vcc_lo
	s_delay_alu instid0(VALU_DEP_3) | instskip(NEXT) | instid1(VALU_DEP_2)
	v_lshl_add_u32 v5, v7, 23, 0x3b800000
	v_lshlrev_b32_e32 v3, 20, v3
	s_delay_alu instid0(VALU_DEP_1) | instskip(NEXT) | instid1(VALU_DEP_1)
	v_or3_b32 v1, v1, v5, v3
	v_trunc_f32_e32 v1, v1
	s_delay_alu instid0(VALU_DEP_1) | instskip(SKIP_1) | instid1(VALU_DEP_2)
	v_mul_f32_e64 v3, 0x2f800000, |v1|
	v_ashrrev_i32_e32 v12, 31, v1
	v_floor_f32_e32 v3, v3
	s_delay_alu instid0(VALU_DEP_2) | instskip(NEXT) | instid1(VALU_DEP_2)
	v_mov_b32_e32 v13, v12
	v_fma_f32 v5, 0xcf800000, v3, |v1|
	v_cvt_u32_f32_e32 v1, v3
	s_delay_alu instid0(VALU_DEP_2) | instskip(NEXT) | instid1(VALU_DEP_2)
	v_cvt_u32_f32_e32 v3, v5
	v_xor_b32_e32 v51, v1, v12
	s_delay_alu instid0(VALU_DEP_2) | instskip(NEXT) | instid1(VALU_DEP_1)
	v_xor_b32_e32 v50, v3, v12
	v_sub_nc_u64_e32 v[12:13], v[50:51], v[12:13]
.LBB127_2177:
	s_or_b32 exec_lo, exec_lo, s9
.LBB127_2178:
	s_mov_b32 s9, -1
.LBB127_2179:
	s_branch .LBB127_2210
.LBB127_2180:
	s_cmp_gt_i32 s0, 22
	s_cbranch_scc0 .LBB127_2188
; %bb.2181:
	s_cmp_lt_i32 s0, 24
	s_cbranch_scc1 .LBB127_2191
; %bb.2182:
	s_cmp_gt_i32 s0, 24
	s_cbranch_scc0 .LBB127_2192
; %bb.2183:
	global_load_u8 v1, v[48:49], off
	s_mov_b32 s9, 0
	s_mov_b32 s8, exec_lo
	s_wait_loadcnt 0x0
	v_cmpx_lt_i16_e32 0x7f, v1
	s_xor_b32 s8, exec_lo, s8
	s_cbranch_execz .LBB127_2204
; %bb.2184:
	v_cmp_ne_u16_e32 vcc_lo, 0x80, v1
	s_and_b32 s9, vcc_lo, exec_lo
	s_and_not1_saveexec_b32 s8, s8
	s_cbranch_execnz .LBB127_2205
.LBB127_2185:
	s_or_b32 exec_lo, exec_lo, s8
	v_mov_b64_e32 v[12:13], 0
	s_and_saveexec_b32 s8, s9
	s_cbranch_execz .LBB127_2187
.LBB127_2186:
	v_and_b32_e32 v3, 0xffff, v1
	s_delay_alu instid0(VALU_DEP_1) | instskip(SKIP_1) | instid1(VALU_DEP_2)
	v_dual_lshlrev_b32 v1, 24, v1 :: v_dual_bitop2_b32 v5, 3, v3 bitop3:0x40
	v_bfe_u32 v12, v3, 2, 5
	v_and_b32_e32 v1, 0x80000000, v1
	s_delay_alu instid0(VALU_DEP_3) | instskip(NEXT) | instid1(VALU_DEP_3)
	v_clz_i32_u32_e32 v7, v5
	v_cmp_eq_u32_e32 vcc_lo, 0, v12
	s_delay_alu instid0(VALU_DEP_2) | instskip(NEXT) | instid1(VALU_DEP_1)
	v_min_u32_e32 v7, 32, v7
	v_subrev_nc_u32_e32 v11, 29, v7
	v_sub_nc_u32_e32 v7, 30, v7
	s_delay_alu instid0(VALU_DEP_2) | instskip(NEXT) | instid1(VALU_DEP_2)
	v_lshlrev_b32_e32 v3, v11, v3
	v_cndmask_b32_e32 v7, v12, v7, vcc_lo
	s_delay_alu instid0(VALU_DEP_2) | instskip(NEXT) | instid1(VALU_DEP_1)
	v_and_b32_e32 v3, 3, v3
	v_cndmask_b32_e32 v3, v5, v3, vcc_lo
	s_delay_alu instid0(VALU_DEP_3) | instskip(NEXT) | instid1(VALU_DEP_2)
	v_lshl_add_u32 v5, v7, 23, 0x37800000
	v_lshlrev_b32_e32 v3, 21, v3
	s_delay_alu instid0(VALU_DEP_1) | instskip(NEXT) | instid1(VALU_DEP_1)
	v_or3_b32 v1, v1, v5, v3
	v_trunc_f32_e32 v1, v1
	s_delay_alu instid0(VALU_DEP_1) | instskip(SKIP_1) | instid1(VALU_DEP_2)
	v_mul_f32_e64 v3, 0x2f800000, |v1|
	v_ashrrev_i32_e32 v12, 31, v1
	v_floor_f32_e32 v3, v3
	s_delay_alu instid0(VALU_DEP_2) | instskip(NEXT) | instid1(VALU_DEP_2)
	v_mov_b32_e32 v13, v12
	v_fma_f32 v5, 0xcf800000, v3, |v1|
	v_cvt_u32_f32_e32 v1, v3
	s_delay_alu instid0(VALU_DEP_2) | instskip(NEXT) | instid1(VALU_DEP_2)
	v_cvt_u32_f32_e32 v3, v5
	v_xor_b32_e32 v51, v1, v12
	s_delay_alu instid0(VALU_DEP_2) | instskip(NEXT) | instid1(VALU_DEP_1)
	v_xor_b32_e32 v50, v3, v12
	v_sub_nc_u64_e32 v[12:13], v[50:51], v[12:13]
.LBB127_2187:
	s_or_b32 exec_lo, exec_lo, s8
	s_mov_b32 s8, 0
	s_branch .LBB127_2193
.LBB127_2188:
	s_mov_b32 s8, -1
                                        ; implicit-def: $vgpr12_vgpr13
	s_branch .LBB127_2199
.LBB127_2189:
	s_and_not1_saveexec_b32 s9, s9
	s_cbranch_execz .LBB127_2175
.LBB127_2190:
	v_cmp_ne_u16_e32 vcc_lo, 0, v1
	s_and_not1_b32 s12, s12, exec_lo
	s_and_b32 s13, vcc_lo, exec_lo
	s_delay_alu instid0(SALU_CYCLE_1)
	s_or_b32 s12, s12, s13
	s_or_b32 exec_lo, exec_lo, s9
	v_mov_b64_e32 v[12:13], 0
	s_and_saveexec_b32 s9, s12
	s_cbranch_execnz .LBB127_2176
	s_branch .LBB127_2177
.LBB127_2191:
	s_mov_b32 s8, -1
                                        ; implicit-def: $vgpr12_vgpr13
	s_branch .LBB127_2196
.LBB127_2192:
	s_mov_b32 s8, -1
                                        ; implicit-def: $vgpr12_vgpr13
.LBB127_2193:
	s_delay_alu instid0(SALU_CYCLE_1)
	s_and_b32 vcc_lo, exec_lo, s8
	s_cbranch_vccz .LBB127_2195
; %bb.2194:
	global_load_u8 v1, v[48:49], off
	s_wait_loadcnt 0x0
	v_lshlrev_b32_e32 v1, 24, v1
	s_delay_alu instid0(VALU_DEP_1) | instskip(NEXT) | instid1(VALU_DEP_1)
	v_and_b32_e32 v3, 0x7f000000, v1
	v_clz_i32_u32_e32 v5, v3
	v_add_nc_u32_e32 v11, 0x1000000, v3
	v_cmp_ne_u32_e32 vcc_lo, 0, v3
	s_delay_alu instid0(VALU_DEP_3) | instskip(NEXT) | instid1(VALU_DEP_1)
	v_min_u32_e32 v5, 32, v5
	v_sub_nc_u32_e64 v5, v5, 4 clamp
	s_delay_alu instid0(VALU_DEP_1) | instskip(NEXT) | instid1(VALU_DEP_1)
	v_dual_lshlrev_b32 v7, v5, v3 :: v_dual_lshlrev_b32 v5, 23, v5
	v_lshrrev_b32_e32 v7, 4, v7
	s_delay_alu instid0(VALU_DEP_1) | instskip(NEXT) | instid1(VALU_DEP_1)
	v_dual_sub_nc_u32 v5, v7, v5 :: v_dual_ashrrev_i32 v7, 8, v11
	v_add_nc_u32_e32 v5, 0x3c000000, v5
	s_delay_alu instid0(VALU_DEP_1) | instskip(NEXT) | instid1(VALU_DEP_1)
	v_and_or_b32 v5, 0x7f800000, v7, v5
	v_cndmask_b32_e32 v3, 0, v5, vcc_lo
	s_delay_alu instid0(VALU_DEP_1) | instskip(NEXT) | instid1(VALU_DEP_1)
	v_and_or_b32 v1, 0x80000000, v1, v3
	v_trunc_f32_e32 v1, v1
	s_delay_alu instid0(VALU_DEP_1) | instskip(SKIP_1) | instid1(VALU_DEP_2)
	v_mul_f32_e64 v3, 0x2f800000, |v1|
	v_ashrrev_i32_e32 v12, 31, v1
	v_floor_f32_e32 v3, v3
	s_wait_xcnt 0x1
	s_delay_alu instid0(VALU_DEP_2) | instskip(NEXT) | instid1(VALU_DEP_2)
	v_mov_b32_e32 v13, v12
	v_fma_f32 v5, 0xcf800000, v3, |v1|
	v_cvt_u32_f32_e32 v1, v3
	s_delay_alu instid0(VALU_DEP_2) | instskip(NEXT) | instid1(VALU_DEP_2)
	v_cvt_u32_f32_e32 v3, v5
	v_xor_b32_e32 v51, v1, v12
	s_delay_alu instid0(VALU_DEP_2) | instskip(NEXT) | instid1(VALU_DEP_1)
	v_xor_b32_e32 v50, v3, v12
	v_sub_nc_u64_e32 v[12:13], v[50:51], v[12:13]
.LBB127_2195:
	s_mov_b32 s8, 0
.LBB127_2196:
	s_delay_alu instid0(SALU_CYCLE_1)
	s_and_not1_b32 vcc_lo, exec_lo, s8
	s_cbranch_vccnz .LBB127_2198
; %bb.2197:
	global_load_u8 v1, v[48:49], off
	s_wait_loadcnt 0x0
	v_lshlrev_b32_e32 v3, 25, v1
	v_lshlrev_b16 v1, 8, v1
	s_delay_alu instid0(VALU_DEP_1) | instskip(SKIP_1) | instid1(VALU_DEP_2)
	v_and_or_b32 v7, 0x7f00, v1, 0.5
	v_bfe_i32 v1, v1, 0, 16
	v_add_f32_e32 v7, -0.5, v7
	v_lshrrev_b32_e32 v5, 4, v3
	v_cmp_gt_u32_e32 vcc_lo, 0x8000000, v3
	s_delay_alu instid0(VALU_DEP_2) | instskip(NEXT) | instid1(VALU_DEP_1)
	v_or_b32_e32 v5, 0x70000000, v5
	v_mul_f32_e32 v5, 0x7800000, v5
	s_delay_alu instid0(VALU_DEP_1) | instskip(NEXT) | instid1(VALU_DEP_1)
	v_cndmask_b32_e32 v3, v5, v7, vcc_lo
	v_and_or_b32 v1, 0x80000000, v1, v3
	s_delay_alu instid0(VALU_DEP_1) | instskip(NEXT) | instid1(VALU_DEP_1)
	v_trunc_f32_e32 v1, v1
	v_mul_f32_e64 v3, 0x2f800000, |v1|
	v_ashrrev_i32_e32 v12, 31, v1
	s_delay_alu instid0(VALU_DEP_2) | instskip(SKIP_1) | instid1(VALU_DEP_2)
	v_floor_f32_e32 v3, v3
	s_wait_xcnt 0x1
	v_mov_b32_e32 v13, v12
	s_delay_alu instid0(VALU_DEP_2) | instskip(SKIP_1) | instid1(VALU_DEP_2)
	v_fma_f32 v5, 0xcf800000, v3, |v1|
	v_cvt_u32_f32_e32 v1, v3
	v_cvt_u32_f32_e32 v3, v5
	s_delay_alu instid0(VALU_DEP_2) | instskip(NEXT) | instid1(VALU_DEP_2)
	v_xor_b32_e32 v51, v1, v12
	v_xor_b32_e32 v50, v3, v12
	s_delay_alu instid0(VALU_DEP_1)
	v_sub_nc_u64_e32 v[12:13], v[50:51], v[12:13]
.LBB127_2198:
	s_mov_b32 s8, 0
	s_mov_b32 s9, -1
.LBB127_2199:
	s_and_not1_b32 vcc_lo, exec_lo, s8
	s_mov_b32 s8, 0
	s_cbranch_vccnz .LBB127_2210
; %bb.2200:
	s_cmp_gt_i32 s0, 14
	s_cbranch_scc0 .LBB127_2203
; %bb.2201:
	s_cmp_eq_u32 s0, 15
	s_cbranch_scc0 .LBB127_2206
; %bb.2202:
	global_load_u16 v1, v[48:49], off
	s_mov_b32 s1, 0
	s_mov_b32 s9, -1
	s_wait_loadcnt 0x0
	v_lshlrev_b32_e32 v1, 16, v1
	s_delay_alu instid0(VALU_DEP_1) | instskip(NEXT) | instid1(VALU_DEP_1)
	v_trunc_f32_e32 v1, v1
	v_mul_f32_e64 v3, 0x2f800000, |v1|
	v_ashrrev_i32_e32 v12, 31, v1
	s_delay_alu instid0(VALU_DEP_2) | instskip(SKIP_1) | instid1(VALU_DEP_2)
	v_floor_f32_e32 v3, v3
	s_wait_xcnt 0x1
	v_mov_b32_e32 v13, v12
	s_delay_alu instid0(VALU_DEP_2) | instskip(SKIP_1) | instid1(VALU_DEP_2)
	v_fma_f32 v5, 0xcf800000, v3, |v1|
	v_cvt_u32_f32_e32 v1, v3
	v_cvt_u32_f32_e32 v3, v5
	s_delay_alu instid0(VALU_DEP_2) | instskip(NEXT) | instid1(VALU_DEP_2)
	v_xor_b32_e32 v51, v1, v12
	v_xor_b32_e32 v50, v3, v12
	s_delay_alu instid0(VALU_DEP_1)
	v_sub_nc_u64_e32 v[12:13], v[50:51], v[12:13]
	s_branch .LBB127_2208
.LBB127_2203:
	s_mov_b32 s8, -1
	s_branch .LBB127_2207
.LBB127_2204:
	s_and_not1_saveexec_b32 s8, s8
	s_cbranch_execz .LBB127_2185
.LBB127_2205:
	v_cmp_ne_u16_e32 vcc_lo, 0, v1
	s_and_not1_b32 s9, s9, exec_lo
	s_and_b32 s12, vcc_lo, exec_lo
	s_delay_alu instid0(SALU_CYCLE_1)
	s_or_b32 s9, s9, s12
	s_or_b32 exec_lo, exec_lo, s8
	v_mov_b64_e32 v[12:13], 0
	s_and_saveexec_b32 s8, s9
	s_cbranch_execnz .LBB127_2186
	s_branch .LBB127_2187
.LBB127_2206:
	s_mov_b32 s1, -1
.LBB127_2207:
                                        ; implicit-def: $vgpr12_vgpr13
.LBB127_2208:
	s_and_b32 vcc_lo, exec_lo, s8
	s_mov_b32 s8, 0
	s_cbranch_vccz .LBB127_2210
; %bb.2209:
	s_cmp_lg_u32 s0, 11
	s_mov_b32 s8, -1
	s_cselect_b32 s1, -1, 0
.LBB127_2210:
	s_delay_alu instid0(SALU_CYCLE_1)
	s_and_b32 vcc_lo, exec_lo, s1
	s_cbranch_vccnz .LBB127_2273
; %bb.2211:
	s_and_not1_b32 vcc_lo, exec_lo, s8
	s_cbranch_vccnz .LBB127_2213
.LBB127_2212:
	global_load_u8 v1, v[48:49], off
	s_mov_b32 s0, 0
	s_mov_b32 s9, -1
	s_wait_loadcnt 0x1
	s_wait_xcnt 0x1
	v_mov_b32_e32 v13, s0
	s_wait_loadcnt 0x0
	v_cmp_ne_u16_e32 vcc_lo, 0, v1
	v_cndmask_b32_e64 v12, 0, 1, vcc_lo
.LBB127_2213:
	s_branch .LBB127_2145
.LBB127_2214:
	s_and_b32 s0, 0xffff, s35
	s_delay_alu instid0(SALU_CYCLE_1)
	s_cmp_lt_i32 s0, 5
	s_cbranch_scc1 .LBB127_2219
; %bb.2215:
	s_cmp_lt_i32 s0, 8
	s_cbranch_scc1 .LBB127_2220
; %bb.2216:
	;; [unrolled: 3-line block ×3, first 2 shown]
	s_cmp_gt_i32 s0, 9
	s_cbranch_scc0 .LBB127_2222
; %bb.2218:
	s_wait_loadcnt 0x0
	global_load_b64 v[12:13], v[48:49], off
	s_mov_b32 s1, 0
	s_wait_loadcnt 0x0
	v_trunc_f64_e32 v[12:13], v[12:13]
	s_delay_alu instid0(VALU_DEP_1) | instskip(NEXT) | instid1(VALU_DEP_1)
	v_ldexp_f64 v[50:51], v[12:13], 0xffffffe0
	v_floor_f64_e32 v[50:51], v[50:51]
	s_delay_alu instid0(VALU_DEP_1) | instskip(SKIP_1) | instid1(VALU_DEP_2)
	v_fmamk_f64 v[52:53], v[50:51], 0xc1f00000, v[12:13]
	v_cvt_i32_f64_e32 v13, v[50:51]
	v_cvt_u32_f64_e32 v12, v[52:53]
	s_branch .LBB127_2223
.LBB127_2219:
                                        ; implicit-def: $vgpr12_vgpr13
	s_branch .LBB127_2241
.LBB127_2220:
	s_mov_b32 s1, -1
                                        ; implicit-def: $vgpr12_vgpr13
	s_branch .LBB127_2229
.LBB127_2221:
	s_mov_b32 s1, -1
                                        ; implicit-def: $vgpr12_vgpr13
	s_branch .LBB127_2226
.LBB127_2222:
	s_mov_b32 s1, -1
                                        ; implicit-def: $vgpr12_vgpr13
.LBB127_2223:
	s_delay_alu instid0(SALU_CYCLE_1)
	s_and_not1_b32 vcc_lo, exec_lo, s1
	s_cbranch_vccnz .LBB127_2225
; %bb.2224:
	global_load_b32 v1, v[48:49], off
	s_wait_loadcnt 0x0
	v_trunc_f32_e32 v1, v1
	s_delay_alu instid0(VALU_DEP_1) | instskip(SKIP_1) | instid1(VALU_DEP_2)
	v_mul_f32_e64 v3, 0x2f800000, |v1|
	v_ashrrev_i32_e32 v12, 31, v1
	v_floor_f32_e32 v3, v3
	s_delay_alu instid0(VALU_DEP_1) | instskip(SKIP_3) | instid1(VALU_DEP_3)
	v_fma_f32 v5, 0xcf800000, v3, |v1|
	v_cvt_u32_f32_e32 v1, v3
	s_wait_xcnt 0x1
	v_mov_b32_e32 v13, v12
	v_cvt_u32_f32_e32 v3, v5
	s_delay_alu instid0(VALU_DEP_3) | instskip(NEXT) | instid1(VALU_DEP_2)
	v_xor_b32_e32 v51, v1, v12
	v_xor_b32_e32 v50, v3, v12
	s_delay_alu instid0(VALU_DEP_1)
	v_sub_nc_u64_e32 v[12:13], v[50:51], v[12:13]
.LBB127_2225:
	s_mov_b32 s1, 0
.LBB127_2226:
	s_delay_alu instid0(SALU_CYCLE_1)
	s_and_not1_b32 vcc_lo, exec_lo, s1
	s_cbranch_vccnz .LBB127_2228
; %bb.2227:
	global_load_b32 v1, v[48:49], off
	s_wait_loadcnt 0x0
	v_cvt_f32_f16_e32 v1, v1
	s_delay_alu instid0(VALU_DEP_1) | instskip(SKIP_1) | instid1(VALU_DEP_1)
	v_cvt_i32_f32_e32 v12, v1
	s_wait_xcnt 0x1
	v_ashrrev_i32_e32 v13, 31, v12
.LBB127_2228:
	s_mov_b32 s1, 0
.LBB127_2229:
	s_delay_alu instid0(SALU_CYCLE_1)
	s_and_not1_b32 vcc_lo, exec_lo, s1
	s_cbranch_vccnz .LBB127_2240
; %bb.2230:
	s_cmp_lt_i32 s0, 6
	s_cbranch_scc1 .LBB127_2233
; %bb.2231:
	s_cmp_gt_i32 s0, 6
	s_cbranch_scc0 .LBB127_2234
; %bb.2232:
	s_wait_loadcnt 0x0
	global_load_b64 v[12:13], v[48:49], off
	s_mov_b32 s1, 0
	s_wait_loadcnt 0x0
	v_trunc_f64_e32 v[12:13], v[12:13]
	s_delay_alu instid0(VALU_DEP_1) | instskip(NEXT) | instid1(VALU_DEP_1)
	v_ldexp_f64 v[50:51], v[12:13], 0xffffffe0
	v_floor_f64_e32 v[50:51], v[50:51]
	s_delay_alu instid0(VALU_DEP_1) | instskip(SKIP_1) | instid1(VALU_DEP_2)
	v_fmamk_f64 v[52:53], v[50:51], 0xc1f00000, v[12:13]
	v_cvt_i32_f64_e32 v13, v[50:51]
	v_cvt_u32_f64_e32 v12, v[52:53]
	s_branch .LBB127_2235
.LBB127_2233:
	s_mov_b32 s1, -1
                                        ; implicit-def: $vgpr12_vgpr13
	s_branch .LBB127_2238
.LBB127_2234:
	s_mov_b32 s1, -1
                                        ; implicit-def: $vgpr12_vgpr13
.LBB127_2235:
	s_delay_alu instid0(SALU_CYCLE_1)
	s_and_not1_b32 vcc_lo, exec_lo, s1
	s_cbranch_vccnz .LBB127_2237
; %bb.2236:
	global_load_b32 v1, v[48:49], off
	s_wait_loadcnt 0x0
	v_trunc_f32_e32 v1, v1
	s_delay_alu instid0(VALU_DEP_1) | instskip(SKIP_1) | instid1(VALU_DEP_2)
	v_mul_f32_e64 v3, 0x2f800000, |v1|
	v_ashrrev_i32_e32 v12, 31, v1
	v_floor_f32_e32 v3, v3
	s_delay_alu instid0(VALU_DEP_1) | instskip(SKIP_3) | instid1(VALU_DEP_3)
	v_fma_f32 v5, 0xcf800000, v3, |v1|
	v_cvt_u32_f32_e32 v1, v3
	s_wait_xcnt 0x1
	v_mov_b32_e32 v13, v12
	v_cvt_u32_f32_e32 v3, v5
	s_delay_alu instid0(VALU_DEP_3) | instskip(NEXT) | instid1(VALU_DEP_2)
	v_xor_b32_e32 v51, v1, v12
	v_xor_b32_e32 v50, v3, v12
	s_delay_alu instid0(VALU_DEP_1)
	v_sub_nc_u64_e32 v[12:13], v[50:51], v[12:13]
.LBB127_2237:
	s_mov_b32 s1, 0
.LBB127_2238:
	s_delay_alu instid0(SALU_CYCLE_1)
	s_and_not1_b32 vcc_lo, exec_lo, s1
	s_cbranch_vccnz .LBB127_2240
; %bb.2239:
	global_load_u16 v1, v[48:49], off
	s_wait_loadcnt 0x0
	v_cvt_f32_f16_e32 v1, v1
	s_delay_alu instid0(VALU_DEP_1) | instskip(SKIP_1) | instid1(VALU_DEP_1)
	v_cvt_i32_f32_e32 v12, v1
	s_wait_xcnt 0x1
	v_ashrrev_i32_e32 v13, 31, v12
.LBB127_2240:
	s_cbranch_execnz .LBB127_2260
.LBB127_2241:
	s_cmp_lt_i32 s0, 2
	s_cbranch_scc1 .LBB127_2245
; %bb.2242:
	s_cmp_lt_i32 s0, 3
	s_cbranch_scc1 .LBB127_2246
; %bb.2243:
	s_cmp_gt_i32 s0, 3
	s_cbranch_scc0 .LBB127_2247
; %bb.2244:
	s_wait_loadcnt 0x0
	global_load_b64 v[12:13], v[48:49], off
	s_mov_b32 s1, 0
	s_branch .LBB127_2248
.LBB127_2245:
	s_mov_b32 s1, -1
                                        ; implicit-def: $vgpr12_vgpr13
	s_branch .LBB127_2254
.LBB127_2246:
	s_mov_b32 s1, -1
                                        ; implicit-def: $vgpr12_vgpr13
	s_branch .LBB127_2251
.LBB127_2247:
	s_mov_b32 s1, -1
                                        ; implicit-def: $vgpr12_vgpr13
.LBB127_2248:
	s_delay_alu instid0(SALU_CYCLE_1)
	s_and_not1_b32 vcc_lo, exec_lo, s1
	s_cbranch_vccnz .LBB127_2250
; %bb.2249:
	s_wait_loadcnt 0x0
	global_load_b32 v12, v[48:49], off
	s_wait_loadcnt 0x0
	s_wait_xcnt 0x1
	v_ashrrev_i32_e32 v13, 31, v12
.LBB127_2250:
	s_mov_b32 s1, 0
.LBB127_2251:
	s_delay_alu instid0(SALU_CYCLE_1)
	s_and_not1_b32 vcc_lo, exec_lo, s1
	s_cbranch_vccnz .LBB127_2253
; %bb.2252:
	global_load_u16 v1, v[48:49], off
	s_wait_loadcnt 0x0
	v_bfe_i32 v12, v1, 0, 16
	s_wait_xcnt 0x1
	s_delay_alu instid0(VALU_DEP_1)
	v_ashrrev_i32_e32 v13, 31, v12
.LBB127_2253:
	s_mov_b32 s1, 0
.LBB127_2254:
	s_delay_alu instid0(SALU_CYCLE_1)
	s_and_not1_b32 vcc_lo, exec_lo, s1
	s_cbranch_vccnz .LBB127_2260
; %bb.2255:
	s_cmp_gt_i32 s0, 0
	s_mov_b32 s0, 0
	s_cbranch_scc0 .LBB127_2257
; %bb.2256:
	global_load_i8 v1, v[48:49], off
	s_wait_loadcnt 0x0
	v_bfe_i32 v12, v1, 0, 16
	s_wait_xcnt 0x1
	s_delay_alu instid0(VALU_DEP_1)
	v_ashrrev_i32_e32 v13, 31, v12
	s_branch .LBB127_2258
.LBB127_2257:
	s_mov_b32 s0, -1
                                        ; implicit-def: $vgpr12_vgpr13
.LBB127_2258:
	s_delay_alu instid0(SALU_CYCLE_1)
	s_and_not1_b32 vcc_lo, exec_lo, s0
	s_cbranch_vccnz .LBB127_2260
; %bb.2259:
	global_load_u8 v1, v[48:49], off
	s_mov_b32 s0, 0
	s_wait_loadcnt 0x1
	s_wait_xcnt 0x1
	v_mov_b32_e32 v13, s0
	s_wait_loadcnt 0x0
	v_and_b32_e32 v12, 0xffff, v1
.LBB127_2260:
.LBB127_2261:
	v_mov_b32_e32 v47, 0
	s_load_b64 s[12:13], s[2:3], 0x260
	global_load_u8 v1, v47, s[2:3] offset:691
	s_wait_kmcnt 0x0
	v_add_nc_u64_e32 v[48:49], s[12:13], v[46:47]
	s_wait_loadcnt 0x0
	v_and_b32_e32 v3, 0xffff, v1
	v_readfirstlane_b32 s49, v1
	s_delay_alu instid0(VALU_DEP_2)
	v_cmp_gt_i32_e32 vcc_lo, 11, v3
	s_cbranch_vccnz .LBB127_2268
; %bb.2262:
	s_and_b32 s0, 0xffff, s49
	s_mov_b32 s8, 0
	s_cmp_gt_i32 s0, 25
	s_cbranch_scc0 .LBB127_2270
; %bb.2263:
	s_cmp_gt_i32 s0, 28
	s_cbranch_scc0 .LBB127_2271
; %bb.2264:
	;; [unrolled: 3-line block ×4, first 2 shown]
	s_cmp_eq_u32 s0, 46
	s_mov_b32 s14, 0
	s_cbranch_scc0 .LBB127_2275
; %bb.2267:
	global_load_b32 v1, v[48:49], off
	s_mov_b32 s1, 0
	s_mov_b32 s9, -1
	s_wait_loadcnt 0x0
	v_lshlrev_b32_e32 v1, 16, v1
	s_delay_alu instid0(VALU_DEP_1) | instskip(NEXT) | instid1(VALU_DEP_1)
	v_trunc_f32_e32 v1, v1
	v_mul_f32_e64 v3, 0x2f800000, |v1|
	v_ashrrev_i32_e32 v46, 31, v1
	s_delay_alu instid0(VALU_DEP_2) | instskip(SKIP_1) | instid1(VALU_DEP_2)
	v_floor_f32_e32 v3, v3
	s_wait_xcnt 0x1
	v_mov_b32_e32 v47, v46
	s_delay_alu instid0(VALU_DEP_2) | instskip(SKIP_1) | instid1(VALU_DEP_2)
	v_fma_f32 v5, 0xcf800000, v3, |v1|
	v_cvt_u32_f32_e32 v1, v3
	v_cvt_u32_f32_e32 v3, v5
	s_delay_alu instid0(VALU_DEP_2) | instskip(NEXT) | instid1(VALU_DEP_2)
	v_xor_b32_e32 v51, v1, v46
	v_xor_b32_e32 v50, v3, v46
	s_delay_alu instid0(VALU_DEP_1)
	v_sub_nc_u64_e32 v[46:47], v[50:51], v[46:47]
	s_branch .LBB127_2277
.LBB127_2268:
	s_mov_b32 s9, 0
                                        ; implicit-def: $vgpr46_vgpr47
	s_cbranch_execnz .LBB127_2339
.LBB127_2269:
	s_and_not1_b32 vcc_lo, exec_lo, s9
	s_cbranch_vccnz .LBB127_2649
	s_branch .LBB127_2387
.LBB127_2270:
	s_mov_b32 s14, -1
	s_mov_b32 s9, 0
	s_mov_b32 s1, 0
                                        ; implicit-def: $vgpr46_vgpr47
	s_branch .LBB127_2304
.LBB127_2271:
	s_mov_b32 s14, -1
	s_mov_b32 s9, 0
	s_mov_b32 s1, 0
                                        ; implicit-def: $vgpr46_vgpr47
	s_branch .LBB127_2287
.LBB127_2272:
	s_mov_b32 s14, -1
	s_mov_b32 s9, 0
	s_mov_b32 s1, 0
                                        ; implicit-def: $vgpr46_vgpr47
	s_branch .LBB127_2282
.LBB127_2273:
	s_or_b32 s33, s33, exec_lo
	s_trap 2
	s_cbranch_execz .LBB127_2212
	s_branch .LBB127_2213
.LBB127_2274:
	s_mov_b32 s14, -1
	s_mov_b32 s9, 0
	s_mov_b32 s1, 0
	s_branch .LBB127_2276
.LBB127_2275:
	s_mov_b32 s1, -1
	s_mov_b32 s9, 0
.LBB127_2276:
                                        ; implicit-def: $vgpr46_vgpr47
.LBB127_2277:
	s_and_b32 vcc_lo, exec_lo, s14
	s_cbranch_vccz .LBB127_2281
; %bb.2278:
	s_cmp_eq_u32 s0, 44
	s_cbranch_scc0 .LBB127_2280
; %bb.2279:
	global_load_u8 v1, v[48:49], off
	s_mov_b32 s1, 0
	s_mov_b32 s9, -1
	s_wait_loadcnt 0x0
	v_lshlrev_b32_e32 v3, 23, v1
	v_cmp_ne_u32_e32 vcc_lo, 0, v1
	s_delay_alu instid0(VALU_DEP_2) | instskip(NEXT) | instid1(VALU_DEP_1)
	v_trunc_f32_e32 v3, v3
	v_mul_f32_e64 v5, 0x2f800000, |v3|
	v_ashrrev_i32_e32 v46, 31, v3
	s_delay_alu instid0(VALU_DEP_2) | instskip(SKIP_1) | instid1(VALU_DEP_2)
	v_floor_f32_e32 v5, v5
	s_wait_xcnt 0x1
	v_mov_b32_e32 v47, v46
	s_delay_alu instid0(VALU_DEP_2) | instskip(SKIP_1) | instid1(VALU_DEP_2)
	v_fma_f32 v7, 0xcf800000, v5, |v3|
	v_cvt_u32_f32_e32 v3, v5
	v_cvt_u32_f32_e32 v5, v7
	s_delay_alu instid0(VALU_DEP_2) | instskip(NEXT) | instid1(VALU_DEP_2)
	v_xor_b32_e32 v51, v3, v46
	v_xor_b32_e32 v50, v5, v46
	s_delay_alu instid0(VALU_DEP_1) | instskip(NEXT) | instid1(VALU_DEP_1)
	v_sub_nc_u64_e32 v[46:47], v[50:51], v[46:47]
	v_dual_cndmask_b32 v47, 0, v47 :: v_dual_cndmask_b32 v46, 0, v46
	s_branch .LBB127_2281
.LBB127_2280:
	s_mov_b32 s1, -1
                                        ; implicit-def: $vgpr46_vgpr47
.LBB127_2281:
	s_mov_b32 s14, 0
.LBB127_2282:
	s_delay_alu instid0(SALU_CYCLE_1)
	s_and_b32 vcc_lo, exec_lo, s14
	s_cbranch_vccz .LBB127_2286
; %bb.2283:
	s_cmp_eq_u32 s0, 29
	s_cbranch_scc0 .LBB127_2285
; %bb.2284:
	global_load_b64 v[46:47], v[48:49], off
	s_mov_b32 s1, 0
	s_mov_b32 s9, -1
	s_branch .LBB127_2286
.LBB127_2285:
	s_mov_b32 s1, -1
                                        ; implicit-def: $vgpr46_vgpr47
.LBB127_2286:
	s_mov_b32 s14, 0
.LBB127_2287:
	s_delay_alu instid0(SALU_CYCLE_1)
	s_and_b32 vcc_lo, exec_lo, s14
	s_cbranch_vccz .LBB127_2303
; %bb.2288:
	s_cmp_lt_i32 s0, 27
	s_cbranch_scc1 .LBB127_2291
; %bb.2289:
	s_cmp_gt_i32 s0, 27
	s_cbranch_scc0 .LBB127_2292
; %bb.2290:
	s_wait_loadcnt 0x0
	global_load_b32 v46, v[48:49], off
	s_wait_xcnt 0x1
	v_mov_b32_e32 v47, 0
	s_mov_b32 s9, 0
	s_branch .LBB127_2293
.LBB127_2291:
	s_mov_b32 s9, -1
                                        ; implicit-def: $vgpr46_vgpr47
	s_branch .LBB127_2296
.LBB127_2292:
	s_mov_b32 s9, -1
                                        ; implicit-def: $vgpr46_vgpr47
.LBB127_2293:
	s_delay_alu instid0(SALU_CYCLE_1)
	s_and_not1_b32 vcc_lo, exec_lo, s9
	s_cbranch_vccnz .LBB127_2295
; %bb.2294:
	global_load_u16 v1, v[48:49], off
	s_mov_b32 s9, 0
	s_wait_loadcnt 0x1
	s_wait_xcnt 0x1
	v_mov_b32_e32 v47, s9
	s_wait_loadcnt 0x0
	v_and_b32_e32 v46, 0xffff, v1
.LBB127_2295:
	s_mov_b32 s9, 0
.LBB127_2296:
	s_delay_alu instid0(SALU_CYCLE_1)
	s_and_not1_b32 vcc_lo, exec_lo, s9
	s_cbranch_vccnz .LBB127_2302
; %bb.2297:
	global_load_u8 v1, v[48:49], off
	s_mov_b32 s14, 0
	s_mov_b32 s9, exec_lo
	s_wait_loadcnt 0x0
	v_cmpx_lt_i16_e32 0x7f, v1
	s_xor_b32 s9, exec_lo, s9
	s_cbranch_execz .LBB127_2314
; %bb.2298:
	v_cmp_ne_u16_e32 vcc_lo, 0x80, v1
	s_and_b32 s14, vcc_lo, exec_lo
	s_and_not1_saveexec_b32 s9, s9
	s_cbranch_execnz .LBB127_2315
.LBB127_2299:
	s_or_b32 exec_lo, exec_lo, s9
	v_mov_b64_e32 v[46:47], 0
	s_and_saveexec_b32 s9, s14
	s_cbranch_execz .LBB127_2301
.LBB127_2300:
	v_and_b32_e32 v3, 0xffff, v1
	s_delay_alu instid0(VALU_DEP_1) | instskip(SKIP_1) | instid1(VALU_DEP_2)
	v_dual_lshlrev_b32 v1, 24, v1 :: v_dual_bitop2_b32 v5, 7, v3 bitop3:0x40
	v_bfe_u32 v15, v3, 3, 4
	v_and_b32_e32 v1, 0x80000000, v1
	s_delay_alu instid0(VALU_DEP_3) | instskip(NEXT) | instid1(VALU_DEP_3)
	v_clz_i32_u32_e32 v7, v5
	v_cmp_eq_u32_e32 vcc_lo, 0, v15
	s_delay_alu instid0(VALU_DEP_2) | instskip(NEXT) | instid1(VALU_DEP_1)
	v_min_u32_e32 v7, 32, v7
	v_subrev_nc_u32_e32 v11, 28, v7
	v_sub_nc_u32_e32 v7, 29, v7
	s_delay_alu instid0(VALU_DEP_2) | instskip(NEXT) | instid1(VALU_DEP_2)
	v_lshlrev_b32_e32 v3, v11, v3
	v_cndmask_b32_e32 v7, v15, v7, vcc_lo
	s_delay_alu instid0(VALU_DEP_2) | instskip(NEXT) | instid1(VALU_DEP_1)
	v_and_b32_e32 v3, 7, v3
	v_cndmask_b32_e32 v3, v5, v3, vcc_lo
	s_delay_alu instid0(VALU_DEP_3) | instskip(NEXT) | instid1(VALU_DEP_2)
	v_lshl_add_u32 v5, v7, 23, 0x3b800000
	v_lshlrev_b32_e32 v3, 20, v3
	s_delay_alu instid0(VALU_DEP_1) | instskip(NEXT) | instid1(VALU_DEP_1)
	v_or3_b32 v1, v1, v5, v3
	v_trunc_f32_e32 v1, v1
	s_delay_alu instid0(VALU_DEP_1) | instskip(SKIP_1) | instid1(VALU_DEP_2)
	v_mul_f32_e64 v3, 0x2f800000, |v1|
	v_ashrrev_i32_e32 v46, 31, v1
	v_floor_f32_e32 v3, v3
	s_delay_alu instid0(VALU_DEP_2) | instskip(NEXT) | instid1(VALU_DEP_2)
	v_mov_b32_e32 v47, v46
	v_fma_f32 v5, 0xcf800000, v3, |v1|
	v_cvt_u32_f32_e32 v1, v3
	s_delay_alu instid0(VALU_DEP_2) | instskip(NEXT) | instid1(VALU_DEP_2)
	v_cvt_u32_f32_e32 v3, v5
	v_xor_b32_e32 v51, v1, v46
	s_delay_alu instid0(VALU_DEP_2) | instskip(NEXT) | instid1(VALU_DEP_1)
	v_xor_b32_e32 v50, v3, v46
	v_sub_nc_u64_e32 v[46:47], v[50:51], v[46:47]
.LBB127_2301:
	s_or_b32 exec_lo, exec_lo, s9
.LBB127_2302:
	s_mov_b32 s9, -1
.LBB127_2303:
	s_mov_b32 s14, 0
.LBB127_2304:
	s_delay_alu instid0(SALU_CYCLE_1)
	s_and_b32 vcc_lo, exec_lo, s14
	s_cbranch_vccz .LBB127_2335
; %bb.2305:
	s_cmp_gt_i32 s0, 22
	s_cbranch_scc0 .LBB127_2313
; %bb.2306:
	s_cmp_lt_i32 s0, 24
	s_cbranch_scc1 .LBB127_2316
; %bb.2307:
	s_cmp_gt_i32 s0, 24
	s_cbranch_scc0 .LBB127_2317
; %bb.2308:
	global_load_u8 v1, v[48:49], off
	s_mov_b32 s9, 0
	s_mov_b32 s8, exec_lo
	s_wait_loadcnt 0x0
	v_cmpx_lt_i16_e32 0x7f, v1
	s_xor_b32 s8, exec_lo, s8
	s_cbranch_execz .LBB127_2329
; %bb.2309:
	v_cmp_ne_u16_e32 vcc_lo, 0x80, v1
	s_and_b32 s9, vcc_lo, exec_lo
	s_and_not1_saveexec_b32 s8, s8
	s_cbranch_execnz .LBB127_2330
.LBB127_2310:
	s_or_b32 exec_lo, exec_lo, s8
	v_mov_b64_e32 v[46:47], 0
	s_and_saveexec_b32 s8, s9
	s_cbranch_execz .LBB127_2312
.LBB127_2311:
	v_and_b32_e32 v3, 0xffff, v1
	s_delay_alu instid0(VALU_DEP_1) | instskip(SKIP_1) | instid1(VALU_DEP_2)
	v_dual_lshlrev_b32 v1, 24, v1 :: v_dual_bitop2_b32 v5, 3, v3 bitop3:0x40
	v_bfe_u32 v15, v3, 2, 5
	v_and_b32_e32 v1, 0x80000000, v1
	s_delay_alu instid0(VALU_DEP_3) | instskip(NEXT) | instid1(VALU_DEP_3)
	v_clz_i32_u32_e32 v7, v5
	v_cmp_eq_u32_e32 vcc_lo, 0, v15
	s_delay_alu instid0(VALU_DEP_2) | instskip(NEXT) | instid1(VALU_DEP_1)
	v_min_u32_e32 v7, 32, v7
	v_subrev_nc_u32_e32 v11, 29, v7
	v_sub_nc_u32_e32 v7, 30, v7
	s_delay_alu instid0(VALU_DEP_2) | instskip(NEXT) | instid1(VALU_DEP_2)
	v_lshlrev_b32_e32 v3, v11, v3
	v_cndmask_b32_e32 v7, v15, v7, vcc_lo
	s_delay_alu instid0(VALU_DEP_2) | instskip(NEXT) | instid1(VALU_DEP_1)
	v_and_b32_e32 v3, 3, v3
	v_cndmask_b32_e32 v3, v5, v3, vcc_lo
	s_delay_alu instid0(VALU_DEP_3) | instskip(NEXT) | instid1(VALU_DEP_2)
	v_lshl_add_u32 v5, v7, 23, 0x37800000
	v_lshlrev_b32_e32 v3, 21, v3
	s_delay_alu instid0(VALU_DEP_1) | instskip(NEXT) | instid1(VALU_DEP_1)
	v_or3_b32 v1, v1, v5, v3
	v_trunc_f32_e32 v1, v1
	s_delay_alu instid0(VALU_DEP_1) | instskip(SKIP_1) | instid1(VALU_DEP_2)
	v_mul_f32_e64 v3, 0x2f800000, |v1|
	v_ashrrev_i32_e32 v46, 31, v1
	v_floor_f32_e32 v3, v3
	s_delay_alu instid0(VALU_DEP_2) | instskip(NEXT) | instid1(VALU_DEP_2)
	v_mov_b32_e32 v47, v46
	v_fma_f32 v5, 0xcf800000, v3, |v1|
	v_cvt_u32_f32_e32 v1, v3
	s_delay_alu instid0(VALU_DEP_2) | instskip(NEXT) | instid1(VALU_DEP_2)
	v_cvt_u32_f32_e32 v3, v5
	v_xor_b32_e32 v51, v1, v46
	s_delay_alu instid0(VALU_DEP_2) | instskip(NEXT) | instid1(VALU_DEP_1)
	v_xor_b32_e32 v50, v3, v46
	v_sub_nc_u64_e32 v[46:47], v[50:51], v[46:47]
.LBB127_2312:
	s_or_b32 exec_lo, exec_lo, s8
	s_mov_b32 s8, 0
	s_branch .LBB127_2318
.LBB127_2313:
	s_mov_b32 s8, -1
                                        ; implicit-def: $vgpr46_vgpr47
	s_branch .LBB127_2324
.LBB127_2314:
	s_and_not1_saveexec_b32 s9, s9
	s_cbranch_execz .LBB127_2299
.LBB127_2315:
	v_cmp_ne_u16_e32 vcc_lo, 0, v1
	s_and_not1_b32 s14, s14, exec_lo
	s_and_b32 s15, vcc_lo, exec_lo
	s_delay_alu instid0(SALU_CYCLE_1)
	s_or_b32 s14, s14, s15
	s_or_b32 exec_lo, exec_lo, s9
	v_mov_b64_e32 v[46:47], 0
	s_and_saveexec_b32 s9, s14
	s_cbranch_execnz .LBB127_2300
	s_branch .LBB127_2301
.LBB127_2316:
	s_mov_b32 s8, -1
                                        ; implicit-def: $vgpr46_vgpr47
	s_branch .LBB127_2321
.LBB127_2317:
	s_mov_b32 s8, -1
                                        ; implicit-def: $vgpr46_vgpr47
.LBB127_2318:
	s_delay_alu instid0(SALU_CYCLE_1)
	s_and_b32 vcc_lo, exec_lo, s8
	s_cbranch_vccz .LBB127_2320
; %bb.2319:
	global_load_u8 v1, v[48:49], off
	s_wait_loadcnt 0x0
	v_lshlrev_b32_e32 v1, 24, v1
	s_delay_alu instid0(VALU_DEP_1) | instskip(NEXT) | instid1(VALU_DEP_1)
	v_and_b32_e32 v3, 0x7f000000, v1
	v_clz_i32_u32_e32 v5, v3
	v_add_nc_u32_e32 v11, 0x1000000, v3
	v_cmp_ne_u32_e32 vcc_lo, 0, v3
	s_delay_alu instid0(VALU_DEP_3) | instskip(NEXT) | instid1(VALU_DEP_1)
	v_min_u32_e32 v5, 32, v5
	v_sub_nc_u32_e64 v5, v5, 4 clamp
	s_delay_alu instid0(VALU_DEP_1) | instskip(NEXT) | instid1(VALU_DEP_1)
	v_dual_lshlrev_b32 v7, v5, v3 :: v_dual_lshlrev_b32 v5, 23, v5
	v_lshrrev_b32_e32 v7, 4, v7
	s_delay_alu instid0(VALU_DEP_1) | instskip(NEXT) | instid1(VALU_DEP_1)
	v_dual_sub_nc_u32 v5, v7, v5 :: v_dual_ashrrev_i32 v7, 8, v11
	v_add_nc_u32_e32 v5, 0x3c000000, v5
	s_delay_alu instid0(VALU_DEP_1) | instskip(NEXT) | instid1(VALU_DEP_1)
	v_and_or_b32 v5, 0x7f800000, v7, v5
	v_cndmask_b32_e32 v3, 0, v5, vcc_lo
	s_delay_alu instid0(VALU_DEP_1) | instskip(NEXT) | instid1(VALU_DEP_1)
	v_and_or_b32 v1, 0x80000000, v1, v3
	v_trunc_f32_e32 v1, v1
	s_delay_alu instid0(VALU_DEP_1) | instskip(SKIP_1) | instid1(VALU_DEP_2)
	v_mul_f32_e64 v3, 0x2f800000, |v1|
	v_ashrrev_i32_e32 v46, 31, v1
	v_floor_f32_e32 v3, v3
	s_wait_xcnt 0x1
	s_delay_alu instid0(VALU_DEP_2) | instskip(NEXT) | instid1(VALU_DEP_2)
	v_mov_b32_e32 v47, v46
	v_fma_f32 v5, 0xcf800000, v3, |v1|
	v_cvt_u32_f32_e32 v1, v3
	s_delay_alu instid0(VALU_DEP_2) | instskip(NEXT) | instid1(VALU_DEP_2)
	v_cvt_u32_f32_e32 v3, v5
	v_xor_b32_e32 v51, v1, v46
	s_delay_alu instid0(VALU_DEP_2) | instskip(NEXT) | instid1(VALU_DEP_1)
	v_xor_b32_e32 v50, v3, v46
	v_sub_nc_u64_e32 v[46:47], v[50:51], v[46:47]
.LBB127_2320:
	s_mov_b32 s8, 0
.LBB127_2321:
	s_delay_alu instid0(SALU_CYCLE_1)
	s_and_not1_b32 vcc_lo, exec_lo, s8
	s_cbranch_vccnz .LBB127_2323
; %bb.2322:
	global_load_u8 v1, v[48:49], off
	s_wait_loadcnt 0x0
	v_lshlrev_b32_e32 v3, 25, v1
	v_lshlrev_b16 v1, 8, v1
	s_delay_alu instid0(VALU_DEP_1) | instskip(SKIP_1) | instid1(VALU_DEP_2)
	v_and_or_b32 v7, 0x7f00, v1, 0.5
	v_bfe_i32 v1, v1, 0, 16
	v_add_f32_e32 v7, -0.5, v7
	v_lshrrev_b32_e32 v5, 4, v3
	v_cmp_gt_u32_e32 vcc_lo, 0x8000000, v3
	s_delay_alu instid0(VALU_DEP_2) | instskip(NEXT) | instid1(VALU_DEP_1)
	v_or_b32_e32 v5, 0x70000000, v5
	v_mul_f32_e32 v5, 0x7800000, v5
	s_delay_alu instid0(VALU_DEP_1) | instskip(NEXT) | instid1(VALU_DEP_1)
	v_cndmask_b32_e32 v3, v5, v7, vcc_lo
	v_and_or_b32 v1, 0x80000000, v1, v3
	s_delay_alu instid0(VALU_DEP_1) | instskip(NEXT) | instid1(VALU_DEP_1)
	v_trunc_f32_e32 v1, v1
	v_mul_f32_e64 v3, 0x2f800000, |v1|
	v_ashrrev_i32_e32 v46, 31, v1
	s_delay_alu instid0(VALU_DEP_2) | instskip(SKIP_1) | instid1(VALU_DEP_2)
	v_floor_f32_e32 v3, v3
	s_wait_xcnt 0x1
	v_mov_b32_e32 v47, v46
	s_delay_alu instid0(VALU_DEP_2) | instskip(SKIP_1) | instid1(VALU_DEP_2)
	v_fma_f32 v5, 0xcf800000, v3, |v1|
	v_cvt_u32_f32_e32 v1, v3
	v_cvt_u32_f32_e32 v3, v5
	s_delay_alu instid0(VALU_DEP_2) | instskip(NEXT) | instid1(VALU_DEP_2)
	v_xor_b32_e32 v51, v1, v46
	v_xor_b32_e32 v50, v3, v46
	s_delay_alu instid0(VALU_DEP_1)
	v_sub_nc_u64_e32 v[46:47], v[50:51], v[46:47]
.LBB127_2323:
	s_mov_b32 s8, 0
	s_mov_b32 s9, -1
.LBB127_2324:
	s_and_not1_b32 vcc_lo, exec_lo, s8
	s_mov_b32 s8, 0
	s_cbranch_vccnz .LBB127_2335
; %bb.2325:
	s_cmp_gt_i32 s0, 14
	s_cbranch_scc0 .LBB127_2328
; %bb.2326:
	s_cmp_eq_u32 s0, 15
	s_cbranch_scc0 .LBB127_2331
; %bb.2327:
	global_load_u16 v1, v[48:49], off
	s_mov_b32 s1, 0
	s_mov_b32 s9, -1
	s_wait_loadcnt 0x0
	v_lshlrev_b32_e32 v1, 16, v1
	s_delay_alu instid0(VALU_DEP_1) | instskip(NEXT) | instid1(VALU_DEP_1)
	v_trunc_f32_e32 v1, v1
	v_mul_f32_e64 v3, 0x2f800000, |v1|
	v_ashrrev_i32_e32 v46, 31, v1
	s_delay_alu instid0(VALU_DEP_2) | instskip(SKIP_1) | instid1(VALU_DEP_2)
	v_floor_f32_e32 v3, v3
	s_wait_xcnt 0x1
	v_mov_b32_e32 v47, v46
	s_delay_alu instid0(VALU_DEP_2) | instskip(SKIP_1) | instid1(VALU_DEP_2)
	v_fma_f32 v5, 0xcf800000, v3, |v1|
	v_cvt_u32_f32_e32 v1, v3
	v_cvt_u32_f32_e32 v3, v5
	s_delay_alu instid0(VALU_DEP_2) | instskip(NEXT) | instid1(VALU_DEP_2)
	v_xor_b32_e32 v51, v1, v46
	v_xor_b32_e32 v50, v3, v46
	s_delay_alu instid0(VALU_DEP_1)
	v_sub_nc_u64_e32 v[46:47], v[50:51], v[46:47]
	s_branch .LBB127_2333
.LBB127_2328:
	s_mov_b32 s8, -1
	s_branch .LBB127_2332
.LBB127_2329:
	s_and_not1_saveexec_b32 s8, s8
	s_cbranch_execz .LBB127_2310
.LBB127_2330:
	v_cmp_ne_u16_e32 vcc_lo, 0, v1
	s_and_not1_b32 s9, s9, exec_lo
	s_and_b32 s14, vcc_lo, exec_lo
	s_delay_alu instid0(SALU_CYCLE_1)
	s_or_b32 s9, s9, s14
	s_or_b32 exec_lo, exec_lo, s8
	v_mov_b64_e32 v[46:47], 0
	s_and_saveexec_b32 s8, s9
	s_cbranch_execnz .LBB127_2311
	s_branch .LBB127_2312
.LBB127_2331:
	s_mov_b32 s1, -1
.LBB127_2332:
                                        ; implicit-def: $vgpr46_vgpr47
.LBB127_2333:
	s_and_b32 vcc_lo, exec_lo, s8
	s_mov_b32 s8, 0
	s_cbranch_vccz .LBB127_2335
; %bb.2334:
	s_cmp_lg_u32 s0, 11
	s_mov_b32 s8, -1
	s_cselect_b32 s1, -1, 0
.LBB127_2335:
	s_delay_alu instid0(SALU_CYCLE_1)
	s_and_b32 vcc_lo, exec_lo, s1
	s_cbranch_vccnz .LBB127_2398
; %bb.2336:
	s_and_not1_b32 vcc_lo, exec_lo, s8
	s_cbranch_vccnz .LBB127_2338
.LBB127_2337:
	global_load_u8 v1, v[48:49], off
	s_mov_b32 s0, 0
	s_mov_b32 s9, -1
	s_wait_loadcnt 0x1
	s_wait_xcnt 0x1
	v_mov_b32_e32 v47, s0
	s_wait_loadcnt 0x0
	v_cmp_ne_u16_e32 vcc_lo, 0, v1
	v_cndmask_b32_e64 v46, 0, 1, vcc_lo
.LBB127_2338:
	s_branch .LBB127_2269
.LBB127_2339:
	s_and_b32 s0, 0xffff, s49
	s_delay_alu instid0(SALU_CYCLE_1)
	s_cmp_lt_i32 s0, 5
	s_cbranch_scc1 .LBB127_2344
; %bb.2340:
	s_cmp_lt_i32 s0, 8
	s_cbranch_scc1 .LBB127_2345
; %bb.2341:
	s_cmp_lt_i32 s0, 9
	s_cbranch_scc1 .LBB127_2346
; %bb.2342:
	s_cmp_gt_i32 s0, 9
	s_cbranch_scc0 .LBB127_2347
; %bb.2343:
	s_wait_loadcnt 0x0
	global_load_b64 v[46:47], v[48:49], off
	s_mov_b32 s1, 0
	s_wait_loadcnt 0x0
	v_trunc_f64_e32 v[46:47], v[46:47]
	s_delay_alu instid0(VALU_DEP_1) | instskip(NEXT) | instid1(VALU_DEP_1)
	v_ldexp_f64 v[50:51], v[46:47], 0xffffffe0
	v_floor_f64_e32 v[50:51], v[50:51]
	s_delay_alu instid0(VALU_DEP_1) | instskip(SKIP_1) | instid1(VALU_DEP_2)
	v_fmamk_f64 v[52:53], v[50:51], 0xc1f00000, v[46:47]
	v_cvt_i32_f64_e32 v47, v[50:51]
	v_cvt_u32_f64_e32 v46, v[52:53]
	s_branch .LBB127_2348
.LBB127_2344:
	s_mov_b32 s1, -1
                                        ; implicit-def: $vgpr46_vgpr47
	s_branch .LBB127_2366
.LBB127_2345:
	s_mov_b32 s1, -1
                                        ; implicit-def: $vgpr46_vgpr47
	s_branch .LBB127_2354
.LBB127_2346:
	s_mov_b32 s1, -1
                                        ; implicit-def: $vgpr46_vgpr47
	s_branch .LBB127_2351
.LBB127_2347:
	s_mov_b32 s1, -1
                                        ; implicit-def: $vgpr46_vgpr47
.LBB127_2348:
	s_delay_alu instid0(SALU_CYCLE_1)
	s_and_not1_b32 vcc_lo, exec_lo, s1
	s_cbranch_vccnz .LBB127_2350
; %bb.2349:
	global_load_b32 v1, v[48:49], off
	s_wait_loadcnt 0x0
	v_trunc_f32_e32 v1, v1
	s_delay_alu instid0(VALU_DEP_1) | instskip(SKIP_1) | instid1(VALU_DEP_2)
	v_mul_f32_e64 v3, 0x2f800000, |v1|
	v_ashrrev_i32_e32 v46, 31, v1
	v_floor_f32_e32 v3, v3
	s_delay_alu instid0(VALU_DEP_1) | instskip(SKIP_3) | instid1(VALU_DEP_3)
	v_fma_f32 v5, 0xcf800000, v3, |v1|
	v_cvt_u32_f32_e32 v1, v3
	s_wait_xcnt 0x1
	v_mov_b32_e32 v47, v46
	v_cvt_u32_f32_e32 v3, v5
	s_delay_alu instid0(VALU_DEP_3) | instskip(NEXT) | instid1(VALU_DEP_2)
	v_xor_b32_e32 v51, v1, v46
	v_xor_b32_e32 v50, v3, v46
	s_delay_alu instid0(VALU_DEP_1)
	v_sub_nc_u64_e32 v[46:47], v[50:51], v[46:47]
.LBB127_2350:
	s_mov_b32 s1, 0
.LBB127_2351:
	s_delay_alu instid0(SALU_CYCLE_1)
	s_and_not1_b32 vcc_lo, exec_lo, s1
	s_cbranch_vccnz .LBB127_2353
; %bb.2352:
	global_load_b32 v1, v[48:49], off
	s_wait_loadcnt 0x0
	v_cvt_f32_f16_e32 v1, v1
	s_delay_alu instid0(VALU_DEP_1) | instskip(SKIP_1) | instid1(VALU_DEP_1)
	v_cvt_i32_f32_e32 v46, v1
	s_wait_xcnt 0x1
	v_ashrrev_i32_e32 v47, 31, v46
.LBB127_2353:
	s_mov_b32 s1, 0
.LBB127_2354:
	s_delay_alu instid0(SALU_CYCLE_1)
	s_and_not1_b32 vcc_lo, exec_lo, s1
	s_cbranch_vccnz .LBB127_2365
; %bb.2355:
	s_cmp_lt_i32 s0, 6
	s_cbranch_scc1 .LBB127_2358
; %bb.2356:
	s_cmp_gt_i32 s0, 6
	s_cbranch_scc0 .LBB127_2359
; %bb.2357:
	s_wait_loadcnt 0x0
	global_load_b64 v[46:47], v[48:49], off
	s_mov_b32 s1, 0
	s_wait_loadcnt 0x0
	v_trunc_f64_e32 v[46:47], v[46:47]
	s_delay_alu instid0(VALU_DEP_1) | instskip(NEXT) | instid1(VALU_DEP_1)
	v_ldexp_f64 v[50:51], v[46:47], 0xffffffe0
	v_floor_f64_e32 v[50:51], v[50:51]
	s_delay_alu instid0(VALU_DEP_1) | instskip(SKIP_1) | instid1(VALU_DEP_2)
	v_fmamk_f64 v[52:53], v[50:51], 0xc1f00000, v[46:47]
	v_cvt_i32_f64_e32 v47, v[50:51]
	v_cvt_u32_f64_e32 v46, v[52:53]
	s_branch .LBB127_2360
.LBB127_2358:
	s_mov_b32 s1, -1
                                        ; implicit-def: $vgpr46_vgpr47
	s_branch .LBB127_2363
.LBB127_2359:
	s_mov_b32 s1, -1
                                        ; implicit-def: $vgpr46_vgpr47
.LBB127_2360:
	s_delay_alu instid0(SALU_CYCLE_1)
	s_and_not1_b32 vcc_lo, exec_lo, s1
	s_cbranch_vccnz .LBB127_2362
; %bb.2361:
	global_load_b32 v1, v[48:49], off
	s_wait_loadcnt 0x0
	v_trunc_f32_e32 v1, v1
	s_delay_alu instid0(VALU_DEP_1) | instskip(SKIP_1) | instid1(VALU_DEP_2)
	v_mul_f32_e64 v3, 0x2f800000, |v1|
	v_ashrrev_i32_e32 v46, 31, v1
	v_floor_f32_e32 v3, v3
	s_delay_alu instid0(VALU_DEP_1) | instskip(SKIP_3) | instid1(VALU_DEP_3)
	v_fma_f32 v5, 0xcf800000, v3, |v1|
	v_cvt_u32_f32_e32 v1, v3
	s_wait_xcnt 0x1
	v_mov_b32_e32 v47, v46
	v_cvt_u32_f32_e32 v3, v5
	s_delay_alu instid0(VALU_DEP_3) | instskip(NEXT) | instid1(VALU_DEP_2)
	v_xor_b32_e32 v51, v1, v46
	v_xor_b32_e32 v50, v3, v46
	s_delay_alu instid0(VALU_DEP_1)
	v_sub_nc_u64_e32 v[46:47], v[50:51], v[46:47]
.LBB127_2362:
	s_mov_b32 s1, 0
.LBB127_2363:
	s_delay_alu instid0(SALU_CYCLE_1)
	s_and_not1_b32 vcc_lo, exec_lo, s1
	s_cbranch_vccnz .LBB127_2365
; %bb.2364:
	global_load_u16 v1, v[48:49], off
	s_wait_loadcnt 0x0
	v_cvt_f32_f16_e32 v1, v1
	s_delay_alu instid0(VALU_DEP_1) | instskip(SKIP_1) | instid1(VALU_DEP_1)
	v_cvt_i32_f32_e32 v46, v1
	s_wait_xcnt 0x1
	v_ashrrev_i32_e32 v47, 31, v46
.LBB127_2365:
	s_mov_b32 s1, 0
.LBB127_2366:
	s_delay_alu instid0(SALU_CYCLE_1)
	s_and_not1_b32 vcc_lo, exec_lo, s1
	s_cbranch_vccnz .LBB127_2386
; %bb.2367:
	s_cmp_lt_i32 s0, 2
	s_cbranch_scc1 .LBB127_2371
; %bb.2368:
	s_cmp_lt_i32 s0, 3
	s_cbranch_scc1 .LBB127_2372
; %bb.2369:
	s_cmp_gt_i32 s0, 3
	s_cbranch_scc0 .LBB127_2373
; %bb.2370:
	s_wait_loadcnt 0x0
	global_load_b64 v[46:47], v[48:49], off
	s_mov_b32 s1, 0
	s_branch .LBB127_2374
.LBB127_2371:
	s_mov_b32 s1, -1
                                        ; implicit-def: $vgpr46_vgpr47
	s_branch .LBB127_2380
.LBB127_2372:
	s_mov_b32 s1, -1
                                        ; implicit-def: $vgpr46_vgpr47
	s_branch .LBB127_2377
.LBB127_2373:
	s_mov_b32 s1, -1
                                        ; implicit-def: $vgpr46_vgpr47
.LBB127_2374:
	s_delay_alu instid0(SALU_CYCLE_1)
	s_and_not1_b32 vcc_lo, exec_lo, s1
	s_cbranch_vccnz .LBB127_2376
; %bb.2375:
	s_wait_loadcnt 0x0
	global_load_b32 v46, v[48:49], off
	s_wait_loadcnt 0x0
	s_wait_xcnt 0x1
	v_ashrrev_i32_e32 v47, 31, v46
.LBB127_2376:
	s_mov_b32 s1, 0
.LBB127_2377:
	s_delay_alu instid0(SALU_CYCLE_1)
	s_and_not1_b32 vcc_lo, exec_lo, s1
	s_cbranch_vccnz .LBB127_2379
; %bb.2378:
	global_load_u16 v1, v[48:49], off
	s_wait_loadcnt 0x0
	v_bfe_i32 v46, v1, 0, 16
	s_wait_xcnt 0x1
	s_delay_alu instid0(VALU_DEP_1)
	v_ashrrev_i32_e32 v47, 31, v46
.LBB127_2379:
	s_mov_b32 s1, 0
.LBB127_2380:
	s_delay_alu instid0(SALU_CYCLE_1)
	s_and_not1_b32 vcc_lo, exec_lo, s1
	s_cbranch_vccnz .LBB127_2386
; %bb.2381:
	s_cmp_gt_i32 s0, 0
	s_mov_b32 s0, 0
	s_cbranch_scc0 .LBB127_2383
; %bb.2382:
	global_load_i8 v1, v[48:49], off
	s_wait_loadcnt 0x0
	v_bfe_i32 v46, v1, 0, 16
	s_wait_xcnt 0x1
	s_delay_alu instid0(VALU_DEP_1)
	v_ashrrev_i32_e32 v47, 31, v46
	s_branch .LBB127_2384
.LBB127_2383:
	s_mov_b32 s0, -1
                                        ; implicit-def: $vgpr46_vgpr47
.LBB127_2384:
	s_delay_alu instid0(SALU_CYCLE_1)
	s_and_not1_b32 vcc_lo, exec_lo, s0
	s_cbranch_vccnz .LBB127_2386
; %bb.2385:
	global_load_u8 v1, v[48:49], off
	s_mov_b32 s0, 0
	s_wait_loadcnt 0x1
	s_wait_xcnt 0x1
	v_mov_b32_e32 v47, s0
	s_wait_loadcnt 0x0
	v_and_b32_e32 v46, 0xffff, v1
.LBB127_2386:
.LBB127_2387:
	s_clause 0x1
	s_load_b64 s[14:15], s[2:3], 0x268
	s_load_b32 s0, s[2:3], 0x2b4
	v_mov_b32_e32 v45, 0
	s_wait_kmcnt 0x0
	s_delay_alu instid0(VALU_DEP_1) | instskip(SKIP_1) | instid1(SALU_CYCLE_1)
	v_add_nc_u64_e32 v[48:49], s[14:15], v[44:45]
	s_and_b32 s50, s0, 0xff
	s_cmp_lt_i32 s50, 11
	s_cbranch_scc1 .LBB127_2394
; %bb.2388:
	s_and_b32 s0, 0xffff, s50
	s_mov_b32 s8, 0
	s_cmp_gt_i32 s0, 25
	s_cbranch_scc0 .LBB127_2395
; %bb.2389:
	s_cmp_gt_i32 s0, 28
	s_cbranch_scc0 .LBB127_2396
; %bb.2390:
	;; [unrolled: 3-line block ×4, first 2 shown]
	s_cmp_eq_u32 s0, 46
	s_mov_b32 s16, 0
	s_cbranch_scc0 .LBB127_2400
; %bb.2393:
	global_load_b32 v1, v[48:49], off
	s_mov_b32 s1, 0
	s_mov_b32 s9, -1
	s_wait_loadcnt 0x0
	v_lshlrev_b32_e32 v1, 16, v1
	s_delay_alu instid0(VALU_DEP_1) | instskip(NEXT) | instid1(VALU_DEP_1)
	v_trunc_f32_e32 v1, v1
	v_mul_f32_e64 v3, 0x2f800000, |v1|
	v_ashrrev_i32_e32 v44, 31, v1
	s_delay_alu instid0(VALU_DEP_2) | instskip(NEXT) | instid1(VALU_DEP_2)
	v_floor_f32_e32 v3, v3
	v_mov_b32_e32 v45, v44
	s_delay_alu instid0(VALU_DEP_2) | instskip(SKIP_1) | instid1(VALU_DEP_2)
	v_fma_f32 v5, 0xcf800000, v3, |v1|
	v_cvt_u32_f32_e32 v1, v3
	v_cvt_u32_f32_e32 v3, v5
	s_delay_alu instid0(VALU_DEP_2) | instskip(NEXT) | instid1(VALU_DEP_2)
	v_xor_b32_e32 v51, v1, v44
	v_xor_b32_e32 v50, v3, v44
	s_delay_alu instid0(VALU_DEP_1)
	v_sub_nc_u64_e32 v[44:45], v[50:51], v[44:45]
	s_branch .LBB127_2402
.LBB127_2394:
	s_mov_b32 s0, -1
	s_mov_b32 s9, 0
                                        ; implicit-def: $vgpr44_vgpr45
	s_branch .LBB127_2464
.LBB127_2395:
	s_mov_b32 s16, -1
	s_mov_b32 s9, 0
	s_mov_b32 s1, 0
                                        ; implicit-def: $vgpr44_vgpr45
	s_branch .LBB127_2429
.LBB127_2396:
	s_mov_b32 s16, -1
	s_mov_b32 s9, 0
	s_mov_b32 s1, 0
                                        ; implicit-def: $vgpr44_vgpr45
	s_branch .LBB127_2412
.LBB127_2397:
	s_mov_b32 s16, -1
	s_mov_b32 s9, 0
	s_mov_b32 s1, 0
                                        ; implicit-def: $vgpr44_vgpr45
	s_branch .LBB127_2407
.LBB127_2398:
	s_or_b32 s33, s33, exec_lo
	s_trap 2
	s_cbranch_execz .LBB127_2337
	s_branch .LBB127_2338
.LBB127_2399:
	s_mov_b32 s16, -1
	s_mov_b32 s9, 0
	s_mov_b32 s1, 0
	s_branch .LBB127_2401
.LBB127_2400:
	s_mov_b32 s1, -1
	s_mov_b32 s9, 0
.LBB127_2401:
                                        ; implicit-def: $vgpr44_vgpr45
.LBB127_2402:
	s_and_b32 vcc_lo, exec_lo, s16
	s_cbranch_vccz .LBB127_2406
; %bb.2403:
	s_cmp_eq_u32 s0, 44
	s_cbranch_scc0 .LBB127_2405
; %bb.2404:
	global_load_u8 v1, v[48:49], off
	s_mov_b32 s1, 0
	s_mov_b32 s9, -1
	s_wait_loadcnt 0x0
	v_lshlrev_b32_e32 v3, 23, v1
	v_cmp_ne_u32_e32 vcc_lo, 0, v1
	s_delay_alu instid0(VALU_DEP_2) | instskip(NEXT) | instid1(VALU_DEP_1)
	v_trunc_f32_e32 v3, v3
	v_mul_f32_e64 v5, 0x2f800000, |v3|
	v_ashrrev_i32_e32 v44, 31, v3
	s_delay_alu instid0(VALU_DEP_2) | instskip(NEXT) | instid1(VALU_DEP_2)
	v_floor_f32_e32 v5, v5
	v_mov_b32_e32 v45, v44
	s_delay_alu instid0(VALU_DEP_2) | instskip(SKIP_1) | instid1(VALU_DEP_2)
	v_fma_f32 v7, 0xcf800000, v5, |v3|
	v_cvt_u32_f32_e32 v3, v5
	v_cvt_u32_f32_e32 v5, v7
	s_delay_alu instid0(VALU_DEP_2) | instskip(NEXT) | instid1(VALU_DEP_2)
	v_xor_b32_e32 v51, v3, v44
	v_xor_b32_e32 v50, v5, v44
	s_delay_alu instid0(VALU_DEP_1) | instskip(NEXT) | instid1(VALU_DEP_1)
	v_sub_nc_u64_e32 v[44:45], v[50:51], v[44:45]
	v_dual_cndmask_b32 v45, 0, v45 :: v_dual_cndmask_b32 v44, 0, v44
	s_branch .LBB127_2406
.LBB127_2405:
	s_mov_b32 s1, -1
                                        ; implicit-def: $vgpr44_vgpr45
.LBB127_2406:
	s_mov_b32 s16, 0
.LBB127_2407:
	s_delay_alu instid0(SALU_CYCLE_1)
	s_and_b32 vcc_lo, exec_lo, s16
	s_cbranch_vccz .LBB127_2411
; %bb.2408:
	s_cmp_eq_u32 s0, 29
	s_cbranch_scc0 .LBB127_2410
; %bb.2409:
	global_load_b64 v[44:45], v[48:49], off
	s_mov_b32 s1, 0
	s_mov_b32 s9, -1
	s_branch .LBB127_2411
.LBB127_2410:
	s_mov_b32 s1, -1
                                        ; implicit-def: $vgpr44_vgpr45
.LBB127_2411:
	s_mov_b32 s16, 0
.LBB127_2412:
	s_delay_alu instid0(SALU_CYCLE_1)
	s_and_b32 vcc_lo, exec_lo, s16
	s_cbranch_vccz .LBB127_2428
; %bb.2413:
	s_cmp_lt_i32 s0, 27
	s_cbranch_scc1 .LBB127_2416
; %bb.2414:
	s_cmp_gt_i32 s0, 27
	s_cbranch_scc0 .LBB127_2417
; %bb.2415:
	s_wait_loadcnt 0x0
	global_load_b32 v44, v[48:49], off
	v_mov_b32_e32 v45, 0
	s_mov_b32 s9, 0
	s_branch .LBB127_2418
.LBB127_2416:
	s_mov_b32 s9, -1
                                        ; implicit-def: $vgpr44_vgpr45
	s_branch .LBB127_2421
.LBB127_2417:
	s_mov_b32 s9, -1
                                        ; implicit-def: $vgpr44_vgpr45
.LBB127_2418:
	s_delay_alu instid0(SALU_CYCLE_1)
	s_and_not1_b32 vcc_lo, exec_lo, s9
	s_cbranch_vccnz .LBB127_2420
; %bb.2419:
	global_load_u16 v1, v[48:49], off
	s_mov_b32 s9, 0
	s_wait_loadcnt 0x1
	v_mov_b32_e32 v45, s9
	s_wait_loadcnt 0x0
	v_and_b32_e32 v44, 0xffff, v1
.LBB127_2420:
	s_mov_b32 s9, 0
.LBB127_2421:
	s_delay_alu instid0(SALU_CYCLE_1)
	s_and_not1_b32 vcc_lo, exec_lo, s9
	s_cbranch_vccnz .LBB127_2427
; %bb.2422:
	global_load_u8 v1, v[48:49], off
	s_mov_b32 s16, 0
	s_mov_b32 s9, exec_lo
	s_wait_loadcnt 0x0
	v_cmpx_lt_i16_e32 0x7f, v1
	s_xor_b32 s9, exec_lo, s9
	s_cbranch_execz .LBB127_2439
; %bb.2423:
	v_cmp_ne_u16_e32 vcc_lo, 0x80, v1
	s_and_b32 s16, vcc_lo, exec_lo
	s_and_not1_saveexec_b32 s9, s9
	s_cbranch_execnz .LBB127_2440
.LBB127_2424:
	s_or_b32 exec_lo, exec_lo, s9
	v_mov_b64_e32 v[44:45], 0
	s_and_saveexec_b32 s9, s16
	s_cbranch_execz .LBB127_2426
.LBB127_2425:
	v_and_b32_e32 v3, 0xffff, v1
	s_delay_alu instid0(VALU_DEP_1) | instskip(SKIP_1) | instid1(VALU_DEP_2)
	v_dual_lshlrev_b32 v1, 24, v1 :: v_dual_bitop2_b32 v5, 7, v3 bitop3:0x40
	v_bfe_u32 v15, v3, 3, 4
	v_and_b32_e32 v1, 0x80000000, v1
	s_delay_alu instid0(VALU_DEP_3) | instskip(NEXT) | instid1(VALU_DEP_3)
	v_clz_i32_u32_e32 v7, v5
	v_cmp_eq_u32_e32 vcc_lo, 0, v15
	s_delay_alu instid0(VALU_DEP_2) | instskip(NEXT) | instid1(VALU_DEP_1)
	v_min_u32_e32 v7, 32, v7
	v_subrev_nc_u32_e32 v11, 28, v7
	v_sub_nc_u32_e32 v7, 29, v7
	s_delay_alu instid0(VALU_DEP_2) | instskip(NEXT) | instid1(VALU_DEP_2)
	v_lshlrev_b32_e32 v3, v11, v3
	v_cndmask_b32_e32 v7, v15, v7, vcc_lo
	s_delay_alu instid0(VALU_DEP_2) | instskip(NEXT) | instid1(VALU_DEP_1)
	v_and_b32_e32 v3, 7, v3
	v_cndmask_b32_e32 v3, v5, v3, vcc_lo
	s_delay_alu instid0(VALU_DEP_3) | instskip(NEXT) | instid1(VALU_DEP_2)
	v_lshl_add_u32 v5, v7, 23, 0x3b800000
	v_lshlrev_b32_e32 v3, 20, v3
	s_delay_alu instid0(VALU_DEP_1) | instskip(NEXT) | instid1(VALU_DEP_1)
	v_or3_b32 v1, v1, v5, v3
	v_trunc_f32_e32 v1, v1
	s_delay_alu instid0(VALU_DEP_1) | instskip(SKIP_1) | instid1(VALU_DEP_2)
	v_mul_f32_e64 v3, 0x2f800000, |v1|
	v_ashrrev_i32_e32 v44, 31, v1
	v_floor_f32_e32 v3, v3
	s_delay_alu instid0(VALU_DEP_2) | instskip(NEXT) | instid1(VALU_DEP_2)
	v_mov_b32_e32 v45, v44
	v_fma_f32 v5, 0xcf800000, v3, |v1|
	v_cvt_u32_f32_e32 v1, v3
	s_delay_alu instid0(VALU_DEP_2) | instskip(NEXT) | instid1(VALU_DEP_2)
	v_cvt_u32_f32_e32 v3, v5
	v_xor_b32_e32 v51, v1, v44
	s_delay_alu instid0(VALU_DEP_2) | instskip(NEXT) | instid1(VALU_DEP_1)
	v_xor_b32_e32 v50, v3, v44
	v_sub_nc_u64_e32 v[44:45], v[50:51], v[44:45]
.LBB127_2426:
	s_or_b32 exec_lo, exec_lo, s9
.LBB127_2427:
	s_mov_b32 s9, -1
.LBB127_2428:
	s_mov_b32 s16, 0
.LBB127_2429:
	s_delay_alu instid0(SALU_CYCLE_1)
	s_and_b32 vcc_lo, exec_lo, s16
	s_cbranch_vccz .LBB127_2460
; %bb.2430:
	s_cmp_gt_i32 s0, 22
	s_cbranch_scc0 .LBB127_2438
; %bb.2431:
	s_cmp_lt_i32 s0, 24
	s_cbranch_scc1 .LBB127_2441
; %bb.2432:
	s_cmp_gt_i32 s0, 24
	s_cbranch_scc0 .LBB127_2442
; %bb.2433:
	global_load_u8 v1, v[48:49], off
	s_mov_b32 s9, 0
	s_mov_b32 s8, exec_lo
	s_wait_loadcnt 0x0
	v_cmpx_lt_i16_e32 0x7f, v1
	s_xor_b32 s8, exec_lo, s8
	s_cbranch_execz .LBB127_2454
; %bb.2434:
	v_cmp_ne_u16_e32 vcc_lo, 0x80, v1
	s_and_b32 s9, vcc_lo, exec_lo
	s_and_not1_saveexec_b32 s8, s8
	s_cbranch_execnz .LBB127_2455
.LBB127_2435:
	s_or_b32 exec_lo, exec_lo, s8
	v_mov_b64_e32 v[44:45], 0
	s_and_saveexec_b32 s8, s9
	s_cbranch_execz .LBB127_2437
.LBB127_2436:
	v_and_b32_e32 v3, 0xffff, v1
	s_delay_alu instid0(VALU_DEP_1) | instskip(SKIP_1) | instid1(VALU_DEP_2)
	v_dual_lshlrev_b32 v1, 24, v1 :: v_dual_bitop2_b32 v5, 3, v3 bitop3:0x40
	v_bfe_u32 v15, v3, 2, 5
	v_and_b32_e32 v1, 0x80000000, v1
	s_delay_alu instid0(VALU_DEP_3) | instskip(NEXT) | instid1(VALU_DEP_3)
	v_clz_i32_u32_e32 v7, v5
	v_cmp_eq_u32_e32 vcc_lo, 0, v15
	s_delay_alu instid0(VALU_DEP_2) | instskip(NEXT) | instid1(VALU_DEP_1)
	v_min_u32_e32 v7, 32, v7
	v_subrev_nc_u32_e32 v11, 29, v7
	v_sub_nc_u32_e32 v7, 30, v7
	s_delay_alu instid0(VALU_DEP_2) | instskip(NEXT) | instid1(VALU_DEP_2)
	v_lshlrev_b32_e32 v3, v11, v3
	v_cndmask_b32_e32 v7, v15, v7, vcc_lo
	s_delay_alu instid0(VALU_DEP_2) | instskip(NEXT) | instid1(VALU_DEP_1)
	v_and_b32_e32 v3, 3, v3
	v_cndmask_b32_e32 v3, v5, v3, vcc_lo
	s_delay_alu instid0(VALU_DEP_3) | instskip(NEXT) | instid1(VALU_DEP_2)
	v_lshl_add_u32 v5, v7, 23, 0x37800000
	v_lshlrev_b32_e32 v3, 21, v3
	s_delay_alu instid0(VALU_DEP_1) | instskip(NEXT) | instid1(VALU_DEP_1)
	v_or3_b32 v1, v1, v5, v3
	v_trunc_f32_e32 v1, v1
	s_delay_alu instid0(VALU_DEP_1) | instskip(SKIP_1) | instid1(VALU_DEP_2)
	v_mul_f32_e64 v3, 0x2f800000, |v1|
	v_ashrrev_i32_e32 v44, 31, v1
	v_floor_f32_e32 v3, v3
	s_delay_alu instid0(VALU_DEP_2) | instskip(NEXT) | instid1(VALU_DEP_2)
	v_mov_b32_e32 v45, v44
	v_fma_f32 v5, 0xcf800000, v3, |v1|
	v_cvt_u32_f32_e32 v1, v3
	s_delay_alu instid0(VALU_DEP_2) | instskip(NEXT) | instid1(VALU_DEP_2)
	v_cvt_u32_f32_e32 v3, v5
	v_xor_b32_e32 v51, v1, v44
	s_delay_alu instid0(VALU_DEP_2) | instskip(NEXT) | instid1(VALU_DEP_1)
	v_xor_b32_e32 v50, v3, v44
	v_sub_nc_u64_e32 v[44:45], v[50:51], v[44:45]
.LBB127_2437:
	s_or_b32 exec_lo, exec_lo, s8
	s_mov_b32 s8, 0
	s_branch .LBB127_2443
.LBB127_2438:
	s_mov_b32 s8, -1
                                        ; implicit-def: $vgpr44_vgpr45
	s_branch .LBB127_2449
.LBB127_2439:
	s_and_not1_saveexec_b32 s9, s9
	s_cbranch_execz .LBB127_2424
.LBB127_2440:
	v_cmp_ne_u16_e32 vcc_lo, 0, v1
	s_and_not1_b32 s16, s16, exec_lo
	s_and_b32 s17, vcc_lo, exec_lo
	s_delay_alu instid0(SALU_CYCLE_1)
	s_or_b32 s16, s16, s17
	s_or_b32 exec_lo, exec_lo, s9
	v_mov_b64_e32 v[44:45], 0
	s_and_saveexec_b32 s9, s16
	s_cbranch_execnz .LBB127_2425
	s_branch .LBB127_2426
.LBB127_2441:
	s_mov_b32 s8, -1
                                        ; implicit-def: $vgpr44_vgpr45
	s_branch .LBB127_2446
.LBB127_2442:
	s_mov_b32 s8, -1
                                        ; implicit-def: $vgpr44_vgpr45
.LBB127_2443:
	s_delay_alu instid0(SALU_CYCLE_1)
	s_and_b32 vcc_lo, exec_lo, s8
	s_cbranch_vccz .LBB127_2445
; %bb.2444:
	global_load_u8 v1, v[48:49], off
	s_wait_loadcnt 0x0
	v_lshlrev_b32_e32 v1, 24, v1
	s_delay_alu instid0(VALU_DEP_1) | instskip(NEXT) | instid1(VALU_DEP_1)
	v_and_b32_e32 v3, 0x7f000000, v1
	v_clz_i32_u32_e32 v5, v3
	v_add_nc_u32_e32 v11, 0x1000000, v3
	v_cmp_ne_u32_e32 vcc_lo, 0, v3
	s_delay_alu instid0(VALU_DEP_3) | instskip(NEXT) | instid1(VALU_DEP_1)
	v_min_u32_e32 v5, 32, v5
	v_sub_nc_u32_e64 v5, v5, 4 clamp
	s_delay_alu instid0(VALU_DEP_1) | instskip(NEXT) | instid1(VALU_DEP_1)
	v_dual_lshlrev_b32 v7, v5, v3 :: v_dual_lshlrev_b32 v5, 23, v5
	v_lshrrev_b32_e32 v7, 4, v7
	s_delay_alu instid0(VALU_DEP_1) | instskip(NEXT) | instid1(VALU_DEP_1)
	v_dual_sub_nc_u32 v5, v7, v5 :: v_dual_ashrrev_i32 v7, 8, v11
	v_add_nc_u32_e32 v5, 0x3c000000, v5
	s_delay_alu instid0(VALU_DEP_1) | instskip(NEXT) | instid1(VALU_DEP_1)
	v_and_or_b32 v5, 0x7f800000, v7, v5
	v_cndmask_b32_e32 v3, 0, v5, vcc_lo
	s_delay_alu instid0(VALU_DEP_1) | instskip(NEXT) | instid1(VALU_DEP_1)
	v_and_or_b32 v1, 0x80000000, v1, v3
	v_trunc_f32_e32 v1, v1
	s_delay_alu instid0(VALU_DEP_1) | instskip(SKIP_1) | instid1(VALU_DEP_2)
	v_mul_f32_e64 v3, 0x2f800000, |v1|
	v_ashrrev_i32_e32 v44, 31, v1
	v_floor_f32_e32 v3, v3
	s_delay_alu instid0(VALU_DEP_2) | instskip(NEXT) | instid1(VALU_DEP_2)
	v_mov_b32_e32 v45, v44
	v_fma_f32 v5, 0xcf800000, v3, |v1|
	v_cvt_u32_f32_e32 v1, v3
	s_delay_alu instid0(VALU_DEP_2) | instskip(NEXT) | instid1(VALU_DEP_2)
	v_cvt_u32_f32_e32 v3, v5
	v_xor_b32_e32 v51, v1, v44
	s_delay_alu instid0(VALU_DEP_2) | instskip(NEXT) | instid1(VALU_DEP_1)
	v_xor_b32_e32 v50, v3, v44
	v_sub_nc_u64_e32 v[44:45], v[50:51], v[44:45]
.LBB127_2445:
	s_mov_b32 s8, 0
.LBB127_2446:
	s_delay_alu instid0(SALU_CYCLE_1)
	s_and_not1_b32 vcc_lo, exec_lo, s8
	s_cbranch_vccnz .LBB127_2448
; %bb.2447:
	global_load_u8 v1, v[48:49], off
	s_wait_loadcnt 0x0
	v_lshlrev_b32_e32 v3, 25, v1
	v_lshlrev_b16 v1, 8, v1
	s_delay_alu instid0(VALU_DEP_1) | instskip(SKIP_1) | instid1(VALU_DEP_2)
	v_and_or_b32 v7, 0x7f00, v1, 0.5
	v_bfe_i32 v1, v1, 0, 16
	v_add_f32_e32 v7, -0.5, v7
	v_lshrrev_b32_e32 v5, 4, v3
	v_cmp_gt_u32_e32 vcc_lo, 0x8000000, v3
	s_delay_alu instid0(VALU_DEP_2) | instskip(NEXT) | instid1(VALU_DEP_1)
	v_or_b32_e32 v5, 0x70000000, v5
	v_mul_f32_e32 v5, 0x7800000, v5
	s_delay_alu instid0(VALU_DEP_1) | instskip(NEXT) | instid1(VALU_DEP_1)
	v_cndmask_b32_e32 v3, v5, v7, vcc_lo
	v_and_or_b32 v1, 0x80000000, v1, v3
	s_delay_alu instid0(VALU_DEP_1) | instskip(NEXT) | instid1(VALU_DEP_1)
	v_trunc_f32_e32 v1, v1
	v_mul_f32_e64 v3, 0x2f800000, |v1|
	v_ashrrev_i32_e32 v44, 31, v1
	s_delay_alu instid0(VALU_DEP_2) | instskip(NEXT) | instid1(VALU_DEP_2)
	v_floor_f32_e32 v3, v3
	v_mov_b32_e32 v45, v44
	s_delay_alu instid0(VALU_DEP_2) | instskip(SKIP_1) | instid1(VALU_DEP_2)
	v_fma_f32 v5, 0xcf800000, v3, |v1|
	v_cvt_u32_f32_e32 v1, v3
	v_cvt_u32_f32_e32 v3, v5
	s_delay_alu instid0(VALU_DEP_2) | instskip(NEXT) | instid1(VALU_DEP_2)
	v_xor_b32_e32 v51, v1, v44
	v_xor_b32_e32 v50, v3, v44
	s_delay_alu instid0(VALU_DEP_1)
	v_sub_nc_u64_e32 v[44:45], v[50:51], v[44:45]
.LBB127_2448:
	s_mov_b32 s8, 0
	s_mov_b32 s9, -1
.LBB127_2449:
	s_and_not1_b32 vcc_lo, exec_lo, s8
	s_mov_b32 s8, 0
	s_cbranch_vccnz .LBB127_2460
; %bb.2450:
	s_cmp_gt_i32 s0, 14
	s_cbranch_scc0 .LBB127_2453
; %bb.2451:
	s_cmp_eq_u32 s0, 15
	s_cbranch_scc0 .LBB127_2456
; %bb.2452:
	global_load_u16 v1, v[48:49], off
	s_mov_b32 s1, 0
	s_mov_b32 s9, -1
	s_wait_loadcnt 0x0
	v_lshlrev_b32_e32 v1, 16, v1
	s_delay_alu instid0(VALU_DEP_1) | instskip(NEXT) | instid1(VALU_DEP_1)
	v_trunc_f32_e32 v1, v1
	v_mul_f32_e64 v3, 0x2f800000, |v1|
	v_ashrrev_i32_e32 v44, 31, v1
	s_delay_alu instid0(VALU_DEP_2) | instskip(NEXT) | instid1(VALU_DEP_2)
	v_floor_f32_e32 v3, v3
	v_mov_b32_e32 v45, v44
	s_delay_alu instid0(VALU_DEP_2) | instskip(SKIP_1) | instid1(VALU_DEP_2)
	v_fma_f32 v5, 0xcf800000, v3, |v1|
	v_cvt_u32_f32_e32 v1, v3
	v_cvt_u32_f32_e32 v3, v5
	s_delay_alu instid0(VALU_DEP_2) | instskip(NEXT) | instid1(VALU_DEP_2)
	v_xor_b32_e32 v51, v1, v44
	v_xor_b32_e32 v50, v3, v44
	s_delay_alu instid0(VALU_DEP_1)
	v_sub_nc_u64_e32 v[44:45], v[50:51], v[44:45]
	s_branch .LBB127_2458
.LBB127_2453:
	s_mov_b32 s8, -1
	s_branch .LBB127_2457
.LBB127_2454:
	s_and_not1_saveexec_b32 s8, s8
	s_cbranch_execz .LBB127_2435
.LBB127_2455:
	v_cmp_ne_u16_e32 vcc_lo, 0, v1
	s_and_not1_b32 s9, s9, exec_lo
	s_and_b32 s16, vcc_lo, exec_lo
	s_delay_alu instid0(SALU_CYCLE_1)
	s_or_b32 s9, s9, s16
	s_or_b32 exec_lo, exec_lo, s8
	v_mov_b64_e32 v[44:45], 0
	s_and_saveexec_b32 s8, s9
	s_cbranch_execnz .LBB127_2436
	s_branch .LBB127_2437
.LBB127_2456:
	s_mov_b32 s1, -1
.LBB127_2457:
                                        ; implicit-def: $vgpr44_vgpr45
.LBB127_2458:
	s_and_b32 vcc_lo, exec_lo, s8
	s_mov_b32 s8, 0
	s_cbranch_vccz .LBB127_2460
; %bb.2459:
	s_cmp_lg_u32 s0, 11
	s_mov_b32 s8, -1
	s_cselect_b32 s1, -1, 0
.LBB127_2460:
	s_delay_alu instid0(SALU_CYCLE_1)
	s_and_b32 vcc_lo, exec_lo, s1
	s_cbranch_vccnz .LBB127_2525
; %bb.2461:
	s_and_not1_b32 vcc_lo, exec_lo, s8
	s_cbranch_vccnz .LBB127_2463
.LBB127_2462:
	global_load_u8 v1, v[48:49], off
	s_mov_b32 s0, 0
	s_mov_b32 s9, -1
	s_wait_loadcnt 0x1
	v_mov_b32_e32 v45, s0
	s_wait_loadcnt 0x0
	v_cmp_ne_u16_e32 vcc_lo, 0, v1
	v_cndmask_b32_e64 v44, 0, 1, vcc_lo
.LBB127_2463:
	s_mov_b32 s0, 0
.LBB127_2464:
	s_delay_alu instid0(SALU_CYCLE_1)
	s_and_b32 vcc_lo, exec_lo, s0
	s_cbranch_vccz .LBB127_2513
; %bb.2465:
	s_and_b32 s0, 0xffff, s50
	s_delay_alu instid0(SALU_CYCLE_1)
	s_cmp_lt_i32 s0, 5
	s_cbranch_scc1 .LBB127_2470
; %bb.2466:
	s_cmp_lt_i32 s0, 8
	s_cbranch_scc1 .LBB127_2471
; %bb.2467:
	;; [unrolled: 3-line block ×3, first 2 shown]
	s_cmp_gt_i32 s0, 9
	s_cbranch_scc0 .LBB127_2473
; %bb.2469:
	s_wait_loadcnt 0x0
	global_load_b64 v[44:45], v[48:49], off
	s_mov_b32 s1, 0
	s_wait_loadcnt 0x0
	v_trunc_f64_e32 v[44:45], v[44:45]
	s_delay_alu instid0(VALU_DEP_1) | instskip(NEXT) | instid1(VALU_DEP_1)
	v_ldexp_f64 v[50:51], v[44:45], 0xffffffe0
	v_floor_f64_e32 v[50:51], v[50:51]
	s_delay_alu instid0(VALU_DEP_1) | instskip(SKIP_1) | instid1(VALU_DEP_2)
	v_fmamk_f64 v[52:53], v[50:51], 0xc1f00000, v[44:45]
	v_cvt_i32_f64_e32 v45, v[50:51]
	v_cvt_u32_f64_e32 v44, v[52:53]
	s_branch .LBB127_2474
.LBB127_2470:
	s_mov_b32 s1, -1
                                        ; implicit-def: $vgpr44_vgpr45
	s_branch .LBB127_2492
.LBB127_2471:
	s_mov_b32 s1, -1
                                        ; implicit-def: $vgpr44_vgpr45
	s_branch .LBB127_2480
.LBB127_2472:
	s_mov_b32 s1, -1
                                        ; implicit-def: $vgpr44_vgpr45
	s_branch .LBB127_2477
.LBB127_2473:
	s_mov_b32 s1, -1
                                        ; implicit-def: $vgpr44_vgpr45
.LBB127_2474:
	s_delay_alu instid0(SALU_CYCLE_1)
	s_and_not1_b32 vcc_lo, exec_lo, s1
	s_cbranch_vccnz .LBB127_2476
; %bb.2475:
	global_load_b32 v1, v[48:49], off
	s_wait_loadcnt 0x0
	v_trunc_f32_e32 v1, v1
	s_delay_alu instid0(VALU_DEP_1) | instskip(SKIP_1) | instid1(VALU_DEP_2)
	v_mul_f32_e64 v3, 0x2f800000, |v1|
	v_ashrrev_i32_e32 v44, 31, v1
	v_floor_f32_e32 v3, v3
	s_delay_alu instid0(VALU_DEP_1) | instskip(SKIP_1) | instid1(VALU_DEP_4)
	v_fma_f32 v5, 0xcf800000, v3, |v1|
	v_cvt_u32_f32_e32 v1, v3
	v_mov_b32_e32 v45, v44
	s_delay_alu instid0(VALU_DEP_3) | instskip(NEXT) | instid1(VALU_DEP_3)
	v_cvt_u32_f32_e32 v3, v5
	v_xor_b32_e32 v51, v1, v44
	s_delay_alu instid0(VALU_DEP_2) | instskip(NEXT) | instid1(VALU_DEP_1)
	v_xor_b32_e32 v50, v3, v44
	v_sub_nc_u64_e32 v[44:45], v[50:51], v[44:45]
.LBB127_2476:
	s_mov_b32 s1, 0
.LBB127_2477:
	s_delay_alu instid0(SALU_CYCLE_1)
	s_and_not1_b32 vcc_lo, exec_lo, s1
	s_cbranch_vccnz .LBB127_2479
; %bb.2478:
	global_load_b32 v1, v[48:49], off
	s_wait_loadcnt 0x0
	v_cvt_f32_f16_e32 v1, v1
	s_delay_alu instid0(VALU_DEP_1) | instskip(NEXT) | instid1(VALU_DEP_1)
	v_cvt_i32_f32_e32 v44, v1
	v_ashrrev_i32_e32 v45, 31, v44
.LBB127_2479:
	s_mov_b32 s1, 0
.LBB127_2480:
	s_delay_alu instid0(SALU_CYCLE_1)
	s_and_not1_b32 vcc_lo, exec_lo, s1
	s_cbranch_vccnz .LBB127_2491
; %bb.2481:
	s_cmp_lt_i32 s0, 6
	s_cbranch_scc1 .LBB127_2484
; %bb.2482:
	s_cmp_gt_i32 s0, 6
	s_cbranch_scc0 .LBB127_2485
; %bb.2483:
	s_wait_loadcnt 0x0
	global_load_b64 v[44:45], v[48:49], off
	s_mov_b32 s1, 0
	s_wait_loadcnt 0x0
	v_trunc_f64_e32 v[44:45], v[44:45]
	s_delay_alu instid0(VALU_DEP_1) | instskip(NEXT) | instid1(VALU_DEP_1)
	v_ldexp_f64 v[50:51], v[44:45], 0xffffffe0
	v_floor_f64_e32 v[50:51], v[50:51]
	s_delay_alu instid0(VALU_DEP_1) | instskip(SKIP_1) | instid1(VALU_DEP_2)
	v_fmamk_f64 v[52:53], v[50:51], 0xc1f00000, v[44:45]
	v_cvt_i32_f64_e32 v45, v[50:51]
	v_cvt_u32_f64_e32 v44, v[52:53]
	s_branch .LBB127_2486
.LBB127_2484:
	s_mov_b32 s1, -1
                                        ; implicit-def: $vgpr44_vgpr45
	s_branch .LBB127_2489
.LBB127_2485:
	s_mov_b32 s1, -1
                                        ; implicit-def: $vgpr44_vgpr45
.LBB127_2486:
	s_delay_alu instid0(SALU_CYCLE_1)
	s_and_not1_b32 vcc_lo, exec_lo, s1
	s_cbranch_vccnz .LBB127_2488
; %bb.2487:
	global_load_b32 v1, v[48:49], off
	s_wait_loadcnt 0x0
	v_trunc_f32_e32 v1, v1
	s_delay_alu instid0(VALU_DEP_1) | instskip(SKIP_1) | instid1(VALU_DEP_2)
	v_mul_f32_e64 v3, 0x2f800000, |v1|
	v_ashrrev_i32_e32 v44, 31, v1
	v_floor_f32_e32 v3, v3
	s_delay_alu instid0(VALU_DEP_1) | instskip(SKIP_1) | instid1(VALU_DEP_4)
	v_fma_f32 v5, 0xcf800000, v3, |v1|
	v_cvt_u32_f32_e32 v1, v3
	v_mov_b32_e32 v45, v44
	s_delay_alu instid0(VALU_DEP_3) | instskip(NEXT) | instid1(VALU_DEP_3)
	v_cvt_u32_f32_e32 v3, v5
	v_xor_b32_e32 v51, v1, v44
	s_delay_alu instid0(VALU_DEP_2) | instskip(NEXT) | instid1(VALU_DEP_1)
	v_xor_b32_e32 v50, v3, v44
	v_sub_nc_u64_e32 v[44:45], v[50:51], v[44:45]
.LBB127_2488:
	s_mov_b32 s1, 0
.LBB127_2489:
	s_delay_alu instid0(SALU_CYCLE_1)
	s_and_not1_b32 vcc_lo, exec_lo, s1
	s_cbranch_vccnz .LBB127_2491
; %bb.2490:
	global_load_u16 v1, v[48:49], off
	s_wait_loadcnt 0x0
	v_cvt_f32_f16_e32 v1, v1
	s_delay_alu instid0(VALU_DEP_1) | instskip(NEXT) | instid1(VALU_DEP_1)
	v_cvt_i32_f32_e32 v44, v1
	v_ashrrev_i32_e32 v45, 31, v44
.LBB127_2491:
	s_mov_b32 s1, 0
.LBB127_2492:
	s_delay_alu instid0(SALU_CYCLE_1)
	s_and_not1_b32 vcc_lo, exec_lo, s1
	s_cbranch_vccnz .LBB127_2512
; %bb.2493:
	s_cmp_lt_i32 s0, 2
	s_cbranch_scc1 .LBB127_2497
; %bb.2494:
	s_cmp_lt_i32 s0, 3
	s_cbranch_scc1 .LBB127_2498
; %bb.2495:
	s_cmp_gt_i32 s0, 3
	s_cbranch_scc0 .LBB127_2499
; %bb.2496:
	s_wait_loadcnt 0x0
	global_load_b64 v[44:45], v[48:49], off
	s_mov_b32 s1, 0
	s_branch .LBB127_2500
.LBB127_2497:
	s_mov_b32 s1, -1
                                        ; implicit-def: $vgpr44_vgpr45
	s_branch .LBB127_2506
.LBB127_2498:
	s_mov_b32 s1, -1
                                        ; implicit-def: $vgpr44_vgpr45
	s_branch .LBB127_2503
.LBB127_2499:
	s_mov_b32 s1, -1
                                        ; implicit-def: $vgpr44_vgpr45
.LBB127_2500:
	s_delay_alu instid0(SALU_CYCLE_1)
	s_and_not1_b32 vcc_lo, exec_lo, s1
	s_cbranch_vccnz .LBB127_2502
; %bb.2501:
	s_wait_loadcnt 0x0
	global_load_b32 v44, v[48:49], off
	s_wait_loadcnt 0x0
	v_ashrrev_i32_e32 v45, 31, v44
.LBB127_2502:
	s_mov_b32 s1, 0
.LBB127_2503:
	s_delay_alu instid0(SALU_CYCLE_1)
	s_and_not1_b32 vcc_lo, exec_lo, s1
	s_cbranch_vccnz .LBB127_2505
; %bb.2504:
	global_load_u16 v1, v[48:49], off
	s_wait_loadcnt 0x0
	v_bfe_i32 v44, v1, 0, 16
	s_delay_alu instid0(VALU_DEP_1)
	v_ashrrev_i32_e32 v45, 31, v44
.LBB127_2505:
	s_mov_b32 s1, 0
.LBB127_2506:
	s_delay_alu instid0(SALU_CYCLE_1)
	s_and_not1_b32 vcc_lo, exec_lo, s1
	s_cbranch_vccnz .LBB127_2512
; %bb.2507:
	s_cmp_gt_i32 s0, 0
	s_mov_b32 s0, 0
	s_cbranch_scc0 .LBB127_2509
; %bb.2508:
	global_load_i8 v1, v[48:49], off
	s_wait_loadcnt 0x0
	v_bfe_i32 v44, v1, 0, 16
	s_delay_alu instid0(VALU_DEP_1)
	v_ashrrev_i32_e32 v45, 31, v44
	s_branch .LBB127_2510
.LBB127_2509:
	s_mov_b32 s0, -1
                                        ; implicit-def: $vgpr44_vgpr45
.LBB127_2510:
	s_delay_alu instid0(SALU_CYCLE_1)
	s_and_not1_b32 vcc_lo, exec_lo, s0
	s_cbranch_vccnz .LBB127_2512
; %bb.2511:
	global_load_u8 v1, v[48:49], off
	s_mov_b32 s0, 0
	s_wait_loadcnt 0x1
	v_mov_b32_e32 v45, s0
	s_wait_loadcnt 0x0
	v_and_b32_e32 v44, 0xffff, v1
.LBB127_2512:
	s_mov_b32 s9, -1
.LBB127_2513:
	s_delay_alu instid0(SALU_CYCLE_1)
	s_and_not1_b32 vcc_lo, exec_lo, s9
	s_cbranch_vccnz .LBB127_2649
; %bb.2514:
	v_mov_b32_e32 v43, 0
	s_load_b64 s[16:17], s[2:3], 0x270
	global_load_u8 v1, v43, s[2:3] offset:693
	s_wait_kmcnt 0x0
	v_add_nc_u64_e32 v[42:43], s[16:17], v[42:43]
	s_wait_loadcnt 0x0
	v_and_b32_e32 v3, 0xffff, v1
	v_readfirstlane_b32 s51, v1
	s_delay_alu instid0(VALU_DEP_2)
	v_cmp_gt_i32_e32 vcc_lo, 11, v3
	s_cbranch_vccnz .LBB127_2521
; %bb.2515:
	s_and_b32 s0, 0xffff, s51
	s_mov_b32 s8, 0
	s_cmp_gt_i32 s0, 25
	s_cbranch_scc0 .LBB127_2522
; %bb.2516:
	s_cmp_gt_i32 s0, 28
	s_cbranch_scc0 .LBB127_2523
; %bb.2517:
	;; [unrolled: 3-line block ×4, first 2 shown]
	s_cmp_eq_u32 s0, 46
	s_mov_b32 s18, 0
	s_cbranch_scc0 .LBB127_2527
; %bb.2520:
	global_load_b32 v1, v[42:43], off
	s_mov_b32 s1, 0
	s_mov_b32 s9, -1
	s_wait_loadcnt 0x0
	v_lshlrev_b32_e32 v1, 16, v1
	s_delay_alu instid0(VALU_DEP_1) | instskip(NEXT) | instid1(VALU_DEP_1)
	v_trunc_f32_e32 v1, v1
	v_mul_f32_e64 v3, 0x2f800000, |v1|
	v_ashrrev_i32_e32 v48, 31, v1
	s_delay_alu instid0(VALU_DEP_2) | instskip(NEXT) | instid1(VALU_DEP_2)
	v_floor_f32_e32 v3, v3
	v_mov_b32_e32 v49, v48
	s_delay_alu instid0(VALU_DEP_2) | instskip(SKIP_1) | instid1(VALU_DEP_2)
	v_fma_f32 v5, 0xcf800000, v3, |v1|
	v_cvt_u32_f32_e32 v1, v3
	v_cvt_u32_f32_e32 v3, v5
	s_delay_alu instid0(VALU_DEP_2) | instskip(NEXT) | instid1(VALU_DEP_2)
	v_xor_b32_e32 v51, v1, v48
	v_xor_b32_e32 v50, v3, v48
	s_delay_alu instid0(VALU_DEP_1)
	v_sub_nc_u64_e32 v[48:49], v[50:51], v[48:49]
	s_branch .LBB127_2529
.LBB127_2521:
	s_mov_b32 s0, -1
	s_mov_b32 s9, 0
                                        ; implicit-def: $vgpr48_vgpr49
	s_branch .LBB127_2591
.LBB127_2522:
	s_mov_b32 s18, -1
	s_mov_b32 s9, 0
	s_mov_b32 s1, 0
                                        ; implicit-def: $vgpr48_vgpr49
	s_branch .LBB127_2556
.LBB127_2523:
	s_mov_b32 s18, -1
	s_mov_b32 s9, 0
	s_mov_b32 s1, 0
                                        ; implicit-def: $vgpr48_vgpr49
	s_branch .LBB127_2539
.LBB127_2524:
	s_mov_b32 s18, -1
	s_mov_b32 s9, 0
	s_mov_b32 s1, 0
                                        ; implicit-def: $vgpr48_vgpr49
	s_branch .LBB127_2534
.LBB127_2525:
	s_or_b32 s33, s33, exec_lo
	s_trap 2
	s_cbranch_execz .LBB127_2462
	s_branch .LBB127_2463
.LBB127_2526:
	s_mov_b32 s18, -1
	s_mov_b32 s9, 0
	s_mov_b32 s1, 0
	s_branch .LBB127_2528
.LBB127_2527:
	s_mov_b32 s1, -1
	s_mov_b32 s9, 0
.LBB127_2528:
                                        ; implicit-def: $vgpr48_vgpr49
.LBB127_2529:
	s_and_b32 vcc_lo, exec_lo, s18
	s_cbranch_vccz .LBB127_2533
; %bb.2530:
	s_cmp_eq_u32 s0, 44
	s_cbranch_scc0 .LBB127_2532
; %bb.2531:
	global_load_u8 v1, v[42:43], off
	s_mov_b32 s1, 0
	s_mov_b32 s9, -1
	s_wait_loadcnt 0x0
	v_lshlrev_b32_e32 v3, 23, v1
	v_cmp_ne_u32_e32 vcc_lo, 0, v1
	s_delay_alu instid0(VALU_DEP_2) | instskip(NEXT) | instid1(VALU_DEP_1)
	v_trunc_f32_e32 v3, v3
	v_mul_f32_e64 v5, 0x2f800000, |v3|
	v_ashrrev_i32_e32 v48, 31, v3
	s_delay_alu instid0(VALU_DEP_2) | instskip(NEXT) | instid1(VALU_DEP_2)
	v_floor_f32_e32 v5, v5
	v_mov_b32_e32 v49, v48
	s_delay_alu instid0(VALU_DEP_2) | instskip(SKIP_1) | instid1(VALU_DEP_2)
	v_fma_f32 v7, 0xcf800000, v5, |v3|
	v_cvt_u32_f32_e32 v3, v5
	v_cvt_u32_f32_e32 v5, v7
	s_delay_alu instid0(VALU_DEP_2) | instskip(NEXT) | instid1(VALU_DEP_2)
	v_xor_b32_e32 v51, v3, v48
	v_xor_b32_e32 v50, v5, v48
	s_delay_alu instid0(VALU_DEP_1) | instskip(NEXT) | instid1(VALU_DEP_1)
	v_sub_nc_u64_e32 v[48:49], v[50:51], v[48:49]
	v_dual_cndmask_b32 v49, 0, v49 :: v_dual_cndmask_b32 v48, 0, v48
	s_branch .LBB127_2533
.LBB127_2532:
	s_mov_b32 s1, -1
                                        ; implicit-def: $vgpr48_vgpr49
.LBB127_2533:
	s_mov_b32 s18, 0
.LBB127_2534:
	s_delay_alu instid0(SALU_CYCLE_1)
	s_and_b32 vcc_lo, exec_lo, s18
	s_cbranch_vccz .LBB127_2538
; %bb.2535:
	s_cmp_eq_u32 s0, 29
	s_cbranch_scc0 .LBB127_2537
; %bb.2536:
	global_load_b64 v[48:49], v[42:43], off
	s_mov_b32 s1, 0
	s_mov_b32 s9, -1
	s_branch .LBB127_2538
.LBB127_2537:
	s_mov_b32 s1, -1
                                        ; implicit-def: $vgpr48_vgpr49
.LBB127_2538:
	s_mov_b32 s18, 0
.LBB127_2539:
	s_delay_alu instid0(SALU_CYCLE_1)
	s_and_b32 vcc_lo, exec_lo, s18
	s_cbranch_vccz .LBB127_2555
; %bb.2540:
	s_cmp_lt_i32 s0, 27
	s_cbranch_scc1 .LBB127_2543
; %bb.2541:
	s_cmp_gt_i32 s0, 27
	s_cbranch_scc0 .LBB127_2544
; %bb.2542:
	s_wait_loadcnt 0x0
	global_load_b32 v48, v[42:43], off
	v_mov_b32_e32 v49, 0
	s_mov_b32 s9, 0
	s_branch .LBB127_2545
.LBB127_2543:
	s_mov_b32 s9, -1
                                        ; implicit-def: $vgpr48_vgpr49
	s_branch .LBB127_2548
.LBB127_2544:
	s_mov_b32 s9, -1
                                        ; implicit-def: $vgpr48_vgpr49
.LBB127_2545:
	s_delay_alu instid0(SALU_CYCLE_1)
	s_and_not1_b32 vcc_lo, exec_lo, s9
	s_cbranch_vccnz .LBB127_2547
; %bb.2546:
	global_load_u16 v1, v[42:43], off
	s_mov_b32 s9, 0
	s_wait_loadcnt 0x1
	v_mov_b32_e32 v49, s9
	s_wait_loadcnt 0x0
	v_and_b32_e32 v48, 0xffff, v1
.LBB127_2547:
	s_mov_b32 s9, 0
.LBB127_2548:
	s_delay_alu instid0(SALU_CYCLE_1)
	s_and_not1_b32 vcc_lo, exec_lo, s9
	s_cbranch_vccnz .LBB127_2554
; %bb.2549:
	global_load_u8 v1, v[42:43], off
	s_mov_b32 s18, 0
	s_mov_b32 s9, exec_lo
	s_wait_loadcnt 0x0
	v_cmpx_lt_i16_e32 0x7f, v1
	s_xor_b32 s9, exec_lo, s9
	s_cbranch_execz .LBB127_2566
; %bb.2550:
	v_cmp_ne_u16_e32 vcc_lo, 0x80, v1
	s_and_b32 s18, vcc_lo, exec_lo
	s_and_not1_saveexec_b32 s9, s9
	s_cbranch_execnz .LBB127_2567
.LBB127_2551:
	s_or_b32 exec_lo, exec_lo, s9
	v_mov_b64_e32 v[48:49], 0
	s_and_saveexec_b32 s9, s18
	s_cbranch_execz .LBB127_2553
.LBB127_2552:
	v_and_b32_e32 v3, 0xffff, v1
	s_delay_alu instid0(VALU_DEP_1) | instskip(SKIP_1) | instid1(VALU_DEP_2)
	v_dual_lshlrev_b32 v1, 24, v1 :: v_dual_bitop2_b32 v5, 7, v3 bitop3:0x40
	v_bfe_u32 v15, v3, 3, 4
	v_and_b32_e32 v1, 0x80000000, v1
	s_delay_alu instid0(VALU_DEP_3) | instskip(NEXT) | instid1(VALU_DEP_3)
	v_clz_i32_u32_e32 v7, v5
	v_cmp_eq_u32_e32 vcc_lo, 0, v15
	s_delay_alu instid0(VALU_DEP_2) | instskip(NEXT) | instid1(VALU_DEP_1)
	v_min_u32_e32 v7, 32, v7
	v_subrev_nc_u32_e32 v11, 28, v7
	v_sub_nc_u32_e32 v7, 29, v7
	s_delay_alu instid0(VALU_DEP_2) | instskip(NEXT) | instid1(VALU_DEP_2)
	v_lshlrev_b32_e32 v3, v11, v3
	v_cndmask_b32_e32 v7, v15, v7, vcc_lo
	s_delay_alu instid0(VALU_DEP_2) | instskip(NEXT) | instid1(VALU_DEP_1)
	v_and_b32_e32 v3, 7, v3
	v_cndmask_b32_e32 v3, v5, v3, vcc_lo
	s_delay_alu instid0(VALU_DEP_3) | instskip(NEXT) | instid1(VALU_DEP_2)
	v_lshl_add_u32 v5, v7, 23, 0x3b800000
	v_lshlrev_b32_e32 v3, 20, v3
	s_delay_alu instid0(VALU_DEP_1) | instskip(NEXT) | instid1(VALU_DEP_1)
	v_or3_b32 v1, v1, v5, v3
	v_trunc_f32_e32 v1, v1
	s_delay_alu instid0(VALU_DEP_1) | instskip(SKIP_1) | instid1(VALU_DEP_2)
	v_mul_f32_e64 v3, 0x2f800000, |v1|
	v_ashrrev_i32_e32 v48, 31, v1
	v_floor_f32_e32 v3, v3
	s_delay_alu instid0(VALU_DEP_2) | instskip(NEXT) | instid1(VALU_DEP_2)
	v_mov_b32_e32 v49, v48
	v_fma_f32 v5, 0xcf800000, v3, |v1|
	v_cvt_u32_f32_e32 v1, v3
	s_delay_alu instid0(VALU_DEP_2) | instskip(NEXT) | instid1(VALU_DEP_2)
	v_cvt_u32_f32_e32 v3, v5
	v_xor_b32_e32 v51, v1, v48
	s_delay_alu instid0(VALU_DEP_2) | instskip(NEXT) | instid1(VALU_DEP_1)
	v_xor_b32_e32 v50, v3, v48
	v_sub_nc_u64_e32 v[48:49], v[50:51], v[48:49]
.LBB127_2553:
	s_or_b32 exec_lo, exec_lo, s9
.LBB127_2554:
	s_mov_b32 s9, -1
.LBB127_2555:
	s_mov_b32 s18, 0
.LBB127_2556:
	s_delay_alu instid0(SALU_CYCLE_1)
	s_and_b32 vcc_lo, exec_lo, s18
	s_cbranch_vccz .LBB127_2587
; %bb.2557:
	s_cmp_gt_i32 s0, 22
	s_cbranch_scc0 .LBB127_2565
; %bb.2558:
	s_cmp_lt_i32 s0, 24
	s_cbranch_scc1 .LBB127_2568
; %bb.2559:
	s_cmp_gt_i32 s0, 24
	s_cbranch_scc0 .LBB127_2569
; %bb.2560:
	global_load_u8 v1, v[42:43], off
	s_mov_b32 s9, 0
	s_mov_b32 s8, exec_lo
	s_wait_loadcnt 0x0
	v_cmpx_lt_i16_e32 0x7f, v1
	s_xor_b32 s8, exec_lo, s8
	s_cbranch_execz .LBB127_2581
; %bb.2561:
	v_cmp_ne_u16_e32 vcc_lo, 0x80, v1
	s_and_b32 s9, vcc_lo, exec_lo
	s_and_not1_saveexec_b32 s8, s8
	s_cbranch_execnz .LBB127_2582
.LBB127_2562:
	s_or_b32 exec_lo, exec_lo, s8
	v_mov_b64_e32 v[48:49], 0
	s_and_saveexec_b32 s8, s9
	s_cbranch_execz .LBB127_2564
.LBB127_2563:
	v_and_b32_e32 v3, 0xffff, v1
	s_delay_alu instid0(VALU_DEP_1) | instskip(SKIP_1) | instid1(VALU_DEP_2)
	v_dual_lshlrev_b32 v1, 24, v1 :: v_dual_bitop2_b32 v5, 3, v3 bitop3:0x40
	v_bfe_u32 v15, v3, 2, 5
	v_and_b32_e32 v1, 0x80000000, v1
	s_delay_alu instid0(VALU_DEP_3) | instskip(NEXT) | instid1(VALU_DEP_3)
	v_clz_i32_u32_e32 v7, v5
	v_cmp_eq_u32_e32 vcc_lo, 0, v15
	s_delay_alu instid0(VALU_DEP_2) | instskip(NEXT) | instid1(VALU_DEP_1)
	v_min_u32_e32 v7, 32, v7
	v_subrev_nc_u32_e32 v11, 29, v7
	v_sub_nc_u32_e32 v7, 30, v7
	s_delay_alu instid0(VALU_DEP_2) | instskip(NEXT) | instid1(VALU_DEP_2)
	v_lshlrev_b32_e32 v3, v11, v3
	v_cndmask_b32_e32 v7, v15, v7, vcc_lo
	s_delay_alu instid0(VALU_DEP_2) | instskip(NEXT) | instid1(VALU_DEP_1)
	v_and_b32_e32 v3, 3, v3
	v_cndmask_b32_e32 v3, v5, v3, vcc_lo
	s_delay_alu instid0(VALU_DEP_3) | instskip(NEXT) | instid1(VALU_DEP_2)
	v_lshl_add_u32 v5, v7, 23, 0x37800000
	v_lshlrev_b32_e32 v3, 21, v3
	s_delay_alu instid0(VALU_DEP_1) | instskip(NEXT) | instid1(VALU_DEP_1)
	v_or3_b32 v1, v1, v5, v3
	v_trunc_f32_e32 v1, v1
	s_delay_alu instid0(VALU_DEP_1) | instskip(SKIP_1) | instid1(VALU_DEP_2)
	v_mul_f32_e64 v3, 0x2f800000, |v1|
	v_ashrrev_i32_e32 v48, 31, v1
	v_floor_f32_e32 v3, v3
	s_delay_alu instid0(VALU_DEP_2) | instskip(NEXT) | instid1(VALU_DEP_2)
	v_mov_b32_e32 v49, v48
	v_fma_f32 v5, 0xcf800000, v3, |v1|
	v_cvt_u32_f32_e32 v1, v3
	s_delay_alu instid0(VALU_DEP_2) | instskip(NEXT) | instid1(VALU_DEP_2)
	v_cvt_u32_f32_e32 v3, v5
	v_xor_b32_e32 v51, v1, v48
	s_delay_alu instid0(VALU_DEP_2) | instskip(NEXT) | instid1(VALU_DEP_1)
	v_xor_b32_e32 v50, v3, v48
	v_sub_nc_u64_e32 v[48:49], v[50:51], v[48:49]
.LBB127_2564:
	s_or_b32 exec_lo, exec_lo, s8
	s_mov_b32 s8, 0
	s_branch .LBB127_2570
.LBB127_2565:
	s_mov_b32 s8, -1
                                        ; implicit-def: $vgpr48_vgpr49
	s_branch .LBB127_2576
.LBB127_2566:
	s_and_not1_saveexec_b32 s9, s9
	s_cbranch_execz .LBB127_2551
.LBB127_2567:
	v_cmp_ne_u16_e32 vcc_lo, 0, v1
	s_and_not1_b32 s18, s18, exec_lo
	s_and_b32 s19, vcc_lo, exec_lo
	s_delay_alu instid0(SALU_CYCLE_1)
	s_or_b32 s18, s18, s19
	s_or_b32 exec_lo, exec_lo, s9
	v_mov_b64_e32 v[48:49], 0
	s_and_saveexec_b32 s9, s18
	s_cbranch_execnz .LBB127_2552
	s_branch .LBB127_2553
.LBB127_2568:
	s_mov_b32 s8, -1
                                        ; implicit-def: $vgpr48_vgpr49
	s_branch .LBB127_2573
.LBB127_2569:
	s_mov_b32 s8, -1
                                        ; implicit-def: $vgpr48_vgpr49
.LBB127_2570:
	s_delay_alu instid0(SALU_CYCLE_1)
	s_and_b32 vcc_lo, exec_lo, s8
	s_cbranch_vccz .LBB127_2572
; %bb.2571:
	global_load_u8 v1, v[42:43], off
	s_wait_loadcnt 0x0
	v_lshlrev_b32_e32 v1, 24, v1
	s_delay_alu instid0(VALU_DEP_1) | instskip(NEXT) | instid1(VALU_DEP_1)
	v_and_b32_e32 v3, 0x7f000000, v1
	v_clz_i32_u32_e32 v5, v3
	v_add_nc_u32_e32 v11, 0x1000000, v3
	v_cmp_ne_u32_e32 vcc_lo, 0, v3
	s_delay_alu instid0(VALU_DEP_3) | instskip(NEXT) | instid1(VALU_DEP_1)
	v_min_u32_e32 v5, 32, v5
	v_sub_nc_u32_e64 v5, v5, 4 clamp
	s_delay_alu instid0(VALU_DEP_1) | instskip(NEXT) | instid1(VALU_DEP_1)
	v_dual_lshlrev_b32 v7, v5, v3 :: v_dual_lshlrev_b32 v5, 23, v5
	v_lshrrev_b32_e32 v7, 4, v7
	s_delay_alu instid0(VALU_DEP_1) | instskip(NEXT) | instid1(VALU_DEP_1)
	v_dual_sub_nc_u32 v5, v7, v5 :: v_dual_ashrrev_i32 v7, 8, v11
	v_add_nc_u32_e32 v5, 0x3c000000, v5
	s_delay_alu instid0(VALU_DEP_1) | instskip(NEXT) | instid1(VALU_DEP_1)
	v_and_or_b32 v5, 0x7f800000, v7, v5
	v_cndmask_b32_e32 v3, 0, v5, vcc_lo
	s_delay_alu instid0(VALU_DEP_1) | instskip(NEXT) | instid1(VALU_DEP_1)
	v_and_or_b32 v1, 0x80000000, v1, v3
	v_trunc_f32_e32 v1, v1
	s_delay_alu instid0(VALU_DEP_1) | instskip(SKIP_1) | instid1(VALU_DEP_2)
	v_mul_f32_e64 v3, 0x2f800000, |v1|
	v_ashrrev_i32_e32 v48, 31, v1
	v_floor_f32_e32 v3, v3
	s_delay_alu instid0(VALU_DEP_2) | instskip(NEXT) | instid1(VALU_DEP_2)
	v_mov_b32_e32 v49, v48
	v_fma_f32 v5, 0xcf800000, v3, |v1|
	v_cvt_u32_f32_e32 v1, v3
	s_delay_alu instid0(VALU_DEP_2) | instskip(NEXT) | instid1(VALU_DEP_2)
	v_cvt_u32_f32_e32 v3, v5
	v_xor_b32_e32 v51, v1, v48
	s_delay_alu instid0(VALU_DEP_2) | instskip(NEXT) | instid1(VALU_DEP_1)
	v_xor_b32_e32 v50, v3, v48
	v_sub_nc_u64_e32 v[48:49], v[50:51], v[48:49]
.LBB127_2572:
	s_mov_b32 s8, 0
.LBB127_2573:
	s_delay_alu instid0(SALU_CYCLE_1)
	s_and_not1_b32 vcc_lo, exec_lo, s8
	s_cbranch_vccnz .LBB127_2575
; %bb.2574:
	global_load_u8 v1, v[42:43], off
	s_wait_loadcnt 0x0
	v_lshlrev_b32_e32 v3, 25, v1
	v_lshlrev_b16 v1, 8, v1
	s_delay_alu instid0(VALU_DEP_1) | instskip(SKIP_1) | instid1(VALU_DEP_2)
	v_and_or_b32 v7, 0x7f00, v1, 0.5
	v_bfe_i32 v1, v1, 0, 16
	v_add_f32_e32 v7, -0.5, v7
	v_lshrrev_b32_e32 v5, 4, v3
	v_cmp_gt_u32_e32 vcc_lo, 0x8000000, v3
	s_delay_alu instid0(VALU_DEP_2) | instskip(NEXT) | instid1(VALU_DEP_1)
	v_or_b32_e32 v5, 0x70000000, v5
	v_mul_f32_e32 v5, 0x7800000, v5
	s_delay_alu instid0(VALU_DEP_1) | instskip(NEXT) | instid1(VALU_DEP_1)
	v_cndmask_b32_e32 v3, v5, v7, vcc_lo
	v_and_or_b32 v1, 0x80000000, v1, v3
	s_delay_alu instid0(VALU_DEP_1) | instskip(NEXT) | instid1(VALU_DEP_1)
	v_trunc_f32_e32 v1, v1
	v_mul_f32_e64 v3, 0x2f800000, |v1|
	v_ashrrev_i32_e32 v48, 31, v1
	s_delay_alu instid0(VALU_DEP_2) | instskip(NEXT) | instid1(VALU_DEP_2)
	v_floor_f32_e32 v3, v3
	v_mov_b32_e32 v49, v48
	s_delay_alu instid0(VALU_DEP_2) | instskip(SKIP_1) | instid1(VALU_DEP_2)
	v_fma_f32 v5, 0xcf800000, v3, |v1|
	v_cvt_u32_f32_e32 v1, v3
	v_cvt_u32_f32_e32 v3, v5
	s_delay_alu instid0(VALU_DEP_2) | instskip(NEXT) | instid1(VALU_DEP_2)
	v_xor_b32_e32 v51, v1, v48
	v_xor_b32_e32 v50, v3, v48
	s_delay_alu instid0(VALU_DEP_1)
	v_sub_nc_u64_e32 v[48:49], v[50:51], v[48:49]
.LBB127_2575:
	s_mov_b32 s8, 0
	s_mov_b32 s9, -1
.LBB127_2576:
	s_and_not1_b32 vcc_lo, exec_lo, s8
	s_mov_b32 s8, 0
	s_cbranch_vccnz .LBB127_2587
; %bb.2577:
	s_cmp_gt_i32 s0, 14
	s_cbranch_scc0 .LBB127_2580
; %bb.2578:
	s_cmp_eq_u32 s0, 15
	s_cbranch_scc0 .LBB127_2583
; %bb.2579:
	global_load_u16 v1, v[42:43], off
	s_mov_b32 s1, 0
	s_mov_b32 s9, -1
	s_wait_loadcnt 0x0
	v_lshlrev_b32_e32 v1, 16, v1
	s_delay_alu instid0(VALU_DEP_1) | instskip(NEXT) | instid1(VALU_DEP_1)
	v_trunc_f32_e32 v1, v1
	v_mul_f32_e64 v3, 0x2f800000, |v1|
	v_ashrrev_i32_e32 v48, 31, v1
	s_delay_alu instid0(VALU_DEP_2) | instskip(NEXT) | instid1(VALU_DEP_2)
	v_floor_f32_e32 v3, v3
	v_mov_b32_e32 v49, v48
	s_delay_alu instid0(VALU_DEP_2) | instskip(SKIP_1) | instid1(VALU_DEP_2)
	v_fma_f32 v5, 0xcf800000, v3, |v1|
	v_cvt_u32_f32_e32 v1, v3
	v_cvt_u32_f32_e32 v3, v5
	s_delay_alu instid0(VALU_DEP_2) | instskip(NEXT) | instid1(VALU_DEP_2)
	v_xor_b32_e32 v51, v1, v48
	v_xor_b32_e32 v50, v3, v48
	s_delay_alu instid0(VALU_DEP_1)
	v_sub_nc_u64_e32 v[48:49], v[50:51], v[48:49]
	s_branch .LBB127_2585
.LBB127_2580:
	s_mov_b32 s8, -1
	s_branch .LBB127_2584
.LBB127_2581:
	s_and_not1_saveexec_b32 s8, s8
	s_cbranch_execz .LBB127_2562
.LBB127_2582:
	v_cmp_ne_u16_e32 vcc_lo, 0, v1
	s_and_not1_b32 s9, s9, exec_lo
	s_and_b32 s18, vcc_lo, exec_lo
	s_delay_alu instid0(SALU_CYCLE_1)
	s_or_b32 s9, s9, s18
	s_or_b32 exec_lo, exec_lo, s8
	v_mov_b64_e32 v[48:49], 0
	s_and_saveexec_b32 s8, s9
	s_cbranch_execnz .LBB127_2563
	s_branch .LBB127_2564
.LBB127_2583:
	s_mov_b32 s1, -1
.LBB127_2584:
                                        ; implicit-def: $vgpr48_vgpr49
.LBB127_2585:
	s_and_b32 vcc_lo, exec_lo, s8
	s_mov_b32 s8, 0
	s_cbranch_vccz .LBB127_2587
; %bb.2586:
	s_cmp_lg_u32 s0, 11
	s_mov_b32 s8, -1
	s_cselect_b32 s1, -1, 0
.LBB127_2587:
	s_delay_alu instid0(SALU_CYCLE_1)
	s_and_b32 vcc_lo, exec_lo, s1
	s_cbranch_vccnz .LBB127_2714
; %bb.2588:
	s_and_not1_b32 vcc_lo, exec_lo, s8
	s_cbranch_vccnz .LBB127_2590
.LBB127_2589:
	global_load_u8 v1, v[42:43], off
	s_mov_b32 s0, 0
	s_mov_b32 s9, -1
	s_wait_loadcnt 0x1
	v_mov_b32_e32 v49, s0
	s_wait_loadcnt 0x0
	v_cmp_ne_u16_e32 vcc_lo, 0, v1
	v_cndmask_b32_e64 v48, 0, 1, vcc_lo
.LBB127_2590:
	s_mov_b32 s0, 0
.LBB127_2591:
	s_delay_alu instid0(SALU_CYCLE_1)
	s_and_b32 vcc_lo, exec_lo, s0
	s_cbranch_vccz .LBB127_2640
; %bb.2592:
	s_and_b32 s0, 0xffff, s51
	s_delay_alu instid0(SALU_CYCLE_1)
	s_cmp_lt_i32 s0, 5
	s_cbranch_scc1 .LBB127_2597
; %bb.2593:
	s_cmp_lt_i32 s0, 8
	s_cbranch_scc1 .LBB127_2598
; %bb.2594:
	;; [unrolled: 3-line block ×3, first 2 shown]
	s_cmp_gt_i32 s0, 9
	s_cbranch_scc0 .LBB127_2600
; %bb.2596:
	s_wait_loadcnt 0x0
	global_load_b64 v[48:49], v[42:43], off
	s_mov_b32 s1, 0
	s_wait_loadcnt 0x0
	v_trunc_f64_e32 v[48:49], v[48:49]
	s_delay_alu instid0(VALU_DEP_1) | instskip(NEXT) | instid1(VALU_DEP_1)
	v_ldexp_f64 v[50:51], v[48:49], 0xffffffe0
	v_floor_f64_e32 v[50:51], v[50:51]
	s_delay_alu instid0(VALU_DEP_1) | instskip(SKIP_1) | instid1(VALU_DEP_2)
	v_fmamk_f64 v[52:53], v[50:51], 0xc1f00000, v[48:49]
	v_cvt_i32_f64_e32 v49, v[50:51]
	v_cvt_u32_f64_e32 v48, v[52:53]
	s_branch .LBB127_2601
.LBB127_2597:
	s_mov_b32 s1, -1
                                        ; implicit-def: $vgpr48_vgpr49
	s_branch .LBB127_2619
.LBB127_2598:
	s_mov_b32 s1, -1
                                        ; implicit-def: $vgpr48_vgpr49
	s_branch .LBB127_2607
.LBB127_2599:
	s_mov_b32 s1, -1
                                        ; implicit-def: $vgpr48_vgpr49
	s_branch .LBB127_2604
.LBB127_2600:
	s_mov_b32 s1, -1
                                        ; implicit-def: $vgpr48_vgpr49
.LBB127_2601:
	s_delay_alu instid0(SALU_CYCLE_1)
	s_and_not1_b32 vcc_lo, exec_lo, s1
	s_cbranch_vccnz .LBB127_2603
; %bb.2602:
	global_load_b32 v1, v[42:43], off
	s_wait_loadcnt 0x0
	v_trunc_f32_e32 v1, v1
	s_delay_alu instid0(VALU_DEP_1) | instskip(SKIP_1) | instid1(VALU_DEP_2)
	v_mul_f32_e64 v3, 0x2f800000, |v1|
	v_ashrrev_i32_e32 v48, 31, v1
	v_floor_f32_e32 v3, v3
	s_delay_alu instid0(VALU_DEP_1) | instskip(SKIP_1) | instid1(VALU_DEP_4)
	v_fma_f32 v5, 0xcf800000, v3, |v1|
	v_cvt_u32_f32_e32 v1, v3
	v_mov_b32_e32 v49, v48
	s_delay_alu instid0(VALU_DEP_3) | instskip(NEXT) | instid1(VALU_DEP_3)
	v_cvt_u32_f32_e32 v3, v5
	v_xor_b32_e32 v51, v1, v48
	s_delay_alu instid0(VALU_DEP_2) | instskip(NEXT) | instid1(VALU_DEP_1)
	v_xor_b32_e32 v50, v3, v48
	v_sub_nc_u64_e32 v[48:49], v[50:51], v[48:49]
.LBB127_2603:
	s_mov_b32 s1, 0
.LBB127_2604:
	s_delay_alu instid0(SALU_CYCLE_1)
	s_and_not1_b32 vcc_lo, exec_lo, s1
	s_cbranch_vccnz .LBB127_2606
; %bb.2605:
	global_load_b32 v1, v[42:43], off
	s_wait_loadcnt 0x0
	v_cvt_f32_f16_e32 v1, v1
	s_delay_alu instid0(VALU_DEP_1) | instskip(NEXT) | instid1(VALU_DEP_1)
	v_cvt_i32_f32_e32 v48, v1
	v_ashrrev_i32_e32 v49, 31, v48
.LBB127_2606:
	s_mov_b32 s1, 0
.LBB127_2607:
	s_delay_alu instid0(SALU_CYCLE_1)
	s_and_not1_b32 vcc_lo, exec_lo, s1
	s_cbranch_vccnz .LBB127_2618
; %bb.2608:
	s_cmp_lt_i32 s0, 6
	s_cbranch_scc1 .LBB127_2611
; %bb.2609:
	s_cmp_gt_i32 s0, 6
	s_cbranch_scc0 .LBB127_2612
; %bb.2610:
	s_wait_loadcnt 0x0
	global_load_b64 v[48:49], v[42:43], off
	s_mov_b32 s1, 0
	s_wait_loadcnt 0x0
	v_trunc_f64_e32 v[48:49], v[48:49]
	s_delay_alu instid0(VALU_DEP_1) | instskip(NEXT) | instid1(VALU_DEP_1)
	v_ldexp_f64 v[50:51], v[48:49], 0xffffffe0
	v_floor_f64_e32 v[50:51], v[50:51]
	s_delay_alu instid0(VALU_DEP_1) | instskip(SKIP_1) | instid1(VALU_DEP_2)
	v_fmamk_f64 v[52:53], v[50:51], 0xc1f00000, v[48:49]
	v_cvt_i32_f64_e32 v49, v[50:51]
	v_cvt_u32_f64_e32 v48, v[52:53]
	s_branch .LBB127_2613
.LBB127_2611:
	s_mov_b32 s1, -1
                                        ; implicit-def: $vgpr48_vgpr49
	s_branch .LBB127_2616
.LBB127_2612:
	s_mov_b32 s1, -1
                                        ; implicit-def: $vgpr48_vgpr49
.LBB127_2613:
	s_delay_alu instid0(SALU_CYCLE_1)
	s_and_not1_b32 vcc_lo, exec_lo, s1
	s_cbranch_vccnz .LBB127_2615
; %bb.2614:
	global_load_b32 v1, v[42:43], off
	s_wait_loadcnt 0x0
	v_trunc_f32_e32 v1, v1
	s_delay_alu instid0(VALU_DEP_1) | instskip(SKIP_1) | instid1(VALU_DEP_2)
	v_mul_f32_e64 v3, 0x2f800000, |v1|
	v_ashrrev_i32_e32 v48, 31, v1
	v_floor_f32_e32 v3, v3
	s_delay_alu instid0(VALU_DEP_1) | instskip(SKIP_1) | instid1(VALU_DEP_4)
	v_fma_f32 v5, 0xcf800000, v3, |v1|
	v_cvt_u32_f32_e32 v1, v3
	v_mov_b32_e32 v49, v48
	s_delay_alu instid0(VALU_DEP_3) | instskip(NEXT) | instid1(VALU_DEP_3)
	v_cvt_u32_f32_e32 v3, v5
	v_xor_b32_e32 v51, v1, v48
	s_delay_alu instid0(VALU_DEP_2) | instskip(NEXT) | instid1(VALU_DEP_1)
	v_xor_b32_e32 v50, v3, v48
	v_sub_nc_u64_e32 v[48:49], v[50:51], v[48:49]
.LBB127_2615:
	s_mov_b32 s1, 0
.LBB127_2616:
	s_delay_alu instid0(SALU_CYCLE_1)
	s_and_not1_b32 vcc_lo, exec_lo, s1
	s_cbranch_vccnz .LBB127_2618
; %bb.2617:
	global_load_u16 v1, v[42:43], off
	s_wait_loadcnt 0x0
	v_cvt_f32_f16_e32 v1, v1
	s_delay_alu instid0(VALU_DEP_1) | instskip(NEXT) | instid1(VALU_DEP_1)
	v_cvt_i32_f32_e32 v48, v1
	v_ashrrev_i32_e32 v49, 31, v48
.LBB127_2618:
	s_mov_b32 s1, 0
.LBB127_2619:
	s_delay_alu instid0(SALU_CYCLE_1)
	s_and_not1_b32 vcc_lo, exec_lo, s1
	s_cbranch_vccnz .LBB127_2639
; %bb.2620:
	s_cmp_lt_i32 s0, 2
	s_cbranch_scc1 .LBB127_2624
; %bb.2621:
	s_cmp_lt_i32 s0, 3
	s_cbranch_scc1 .LBB127_2625
; %bb.2622:
	s_cmp_gt_i32 s0, 3
	s_cbranch_scc0 .LBB127_2626
; %bb.2623:
	s_wait_loadcnt 0x0
	global_load_b64 v[48:49], v[42:43], off
	s_mov_b32 s1, 0
	s_branch .LBB127_2627
.LBB127_2624:
	s_mov_b32 s1, -1
                                        ; implicit-def: $vgpr48_vgpr49
	s_branch .LBB127_2633
.LBB127_2625:
	s_mov_b32 s1, -1
                                        ; implicit-def: $vgpr48_vgpr49
	s_branch .LBB127_2630
.LBB127_2626:
	s_mov_b32 s1, -1
                                        ; implicit-def: $vgpr48_vgpr49
.LBB127_2627:
	s_delay_alu instid0(SALU_CYCLE_1)
	s_and_not1_b32 vcc_lo, exec_lo, s1
	s_cbranch_vccnz .LBB127_2629
; %bb.2628:
	s_wait_loadcnt 0x0
	global_load_b32 v48, v[42:43], off
	s_wait_loadcnt 0x0
	v_ashrrev_i32_e32 v49, 31, v48
.LBB127_2629:
	s_mov_b32 s1, 0
.LBB127_2630:
	s_delay_alu instid0(SALU_CYCLE_1)
	s_and_not1_b32 vcc_lo, exec_lo, s1
	s_cbranch_vccnz .LBB127_2632
; %bb.2631:
	global_load_u16 v1, v[42:43], off
	s_wait_loadcnt 0x0
	v_bfe_i32 v48, v1, 0, 16
	s_delay_alu instid0(VALU_DEP_1)
	v_ashrrev_i32_e32 v49, 31, v48
.LBB127_2632:
	s_mov_b32 s1, 0
.LBB127_2633:
	s_delay_alu instid0(SALU_CYCLE_1)
	s_and_not1_b32 vcc_lo, exec_lo, s1
	s_cbranch_vccnz .LBB127_2639
; %bb.2634:
	s_cmp_gt_i32 s0, 0
	s_mov_b32 s0, 0
	s_cbranch_scc0 .LBB127_2636
; %bb.2635:
	global_load_i8 v1, v[42:43], off
	s_wait_loadcnt 0x0
	v_bfe_i32 v48, v1, 0, 16
	s_delay_alu instid0(VALU_DEP_1)
	v_ashrrev_i32_e32 v49, 31, v48
	s_branch .LBB127_2637
.LBB127_2636:
	s_mov_b32 s0, -1
                                        ; implicit-def: $vgpr48_vgpr49
.LBB127_2637:
	s_delay_alu instid0(SALU_CYCLE_1)
	s_and_not1_b32 vcc_lo, exec_lo, s0
	s_cbranch_vccnz .LBB127_2639
; %bb.2638:
	global_load_u8 v1, v[42:43], off
	s_mov_b32 s0, 0
	s_wait_loadcnt 0x1
	v_mov_b32_e32 v49, s0
	s_wait_loadcnt 0x0
	v_and_b32_e32 v48, 0xffff, v1
.LBB127_2639:
	s_mov_b32 s9, -1
.LBB127_2640:
	s_delay_alu instid0(SALU_CYCLE_1)
	s_and_not1_b32 vcc_lo, exec_lo, s9
	s_cbranch_vccnz .LBB127_2649
; %bb.2641:
	s_load_b64 s[0:1], s[2:3], 0x278
	s_get_pc_i64 s[8:9]
	s_add_nc_u64 s[8:9], s[8:9], .str.6@rel64+4
	s_delay_alu instid0(SALU_CYCLE_1) | instskip(SKIP_3) | instid1(SALU_CYCLE_1)
	s_cmp_eq_u64 s[8:9], 0
	s_wait_kmcnt 0x0
	v_cmp_ne_u64_e32 vcc_lo, s[0:1], v[8:9]
	s_cselect_b32 s0, -1, 0
	s_or_b32 s0, s0, vcc_lo
	s_delay_alu instid0(SALU_CYCLE_1) | instskip(NEXT) | instid1(SALU_CYCLE_1)
	s_and_saveexec_b32 s1, s0
	s_xor_b32 s0, exec_lo, s1
	s_cbranch_execnz .LBB127_3915
.LBB127_2642:
	s_or_saveexec_b32 s38, s0
	s_mov_b32 s1, 0
	s_mov_b32 s8, 0
                                        ; implicit-def: $vgpr42_vgpr43
                                        ; implicit-def: $sgpr0
	s_xor_b32 exec_lo, exec_lo, s38
	s_cbranch_execz .LBB127_4429
; %bb.2643:
	s_load_b64 s[0:1], s[2:3], 0x288
	s_get_pc_i64 s[8:9]
	s_add_nc_u64 s[8:9], s[8:9], .str.7@rel64+4
	s_mov_b32 s39, s33
	s_cmp_eq_u64 s[8:9], 0
	s_wait_kmcnt 0x0
	v_cmp_ne_u64_e32 vcc_lo, s[0:1], v[12:13]
	s_cselect_b32 s0, -1, 0
	s_delay_alu instid0(SALU_CYCLE_1) | instskip(NEXT) | instid1(SALU_CYCLE_1)
	s_or_b32 s0, s0, vcc_lo
	s_and_saveexec_b32 s1, s0
	s_delay_alu instid0(SALU_CYCLE_1)
	s_xor_b32 s0, exec_lo, s1
	s_cbranch_execnz .LBB127_4043
.LBB127_2644:
	s_or_saveexec_b32 s40, s0
	s_mov_b32 s1, 0
	s_mov_b32 s8, 0
                                        ; implicit-def: $vgpr42_vgpr43
                                        ; implicit-def: $sgpr0
	s_xor_b32 exec_lo, exec_lo, s40
	s_cbranch_execz .LBB127_4428
; %bb.2645:
	s_load_b64 s[18:19], s[2:3], 0x280
	v_sub_nc_u64_e32 v[42:43], v[44:45], v[46:47]
	s_get_pc_i64 s[8:9]
	s_add_nc_u64 s[8:9], s[8:9], .str.8@rel64+4
	s_mov_b32 s41, s39
	s_delay_alu instid0(VALU_DEP_1)
	v_cmp_gt_i64_e32 vcc_lo, v[8:9], v[42:43]
	s_wait_kmcnt 0x0
	v_cmp_lt_i64_e64 s0, s[18:19], v[42:43]
	s_or_b32 s0, vcc_lo, s0
	s_cmp_eq_u64 s[8:9], 0
	s_cselect_b32 s1, -1, 0
	s_delay_alu instid0(SALU_CYCLE_1) | instskip(NEXT) | instid1(SALU_CYCLE_1)
	s_or_b32 s0, s1, s0
	s_and_saveexec_b32 s1, s0
	s_delay_alu instid0(SALU_CYCLE_1)
	s_xor_b32 s0, exec_lo, s1
	s_cbranch_execnz .LBB127_4172
.LBB127_2646:
	s_or_saveexec_b32 s42, s0
	s_mov_b32 s1, 0
	s_mov_b32 s8, 0
                                        ; implicit-def: $vgpr42_vgpr43
                                        ; implicit-def: $sgpr0
	s_xor_b32 exec_lo, exec_lo, s42
	s_cbranch_execz .LBB127_4427
; %bb.2647:
	s_load_b32 s46, s[2:3], 0x290
	v_cmp_lt_i64_e32 vcc_lo, 0, v[12:13]
	v_mov_b64_e32 v[42:43], 0
	s_wait_kmcnt 0x0
	s_add_co_i32 s8, s46, -1
	s_delay_alu instid0(SALU_CYCLE_1) | instskip(SKIP_1) | instid1(SALU_CYCLE_1)
	s_cmp_gt_i32 s8, -1
	s_cselect_b32 s0, -1, 0
	s_and_b32 s48, vcc_lo, s0
	s_delay_alu instid0(SALU_CYCLE_1)
	s_and_saveexec_b32 s43, s48
	s_cbranch_execz .LBB127_2699
; %bb.2648:
	s_wait_loadcnt 0x0
	v_mul_u64_e32 v[48:49], v[48:49], v[12:13]
	s_load_b128 s[24:27], s[2:3], 0x298
	v_mov_b64_e32 v[42:43], 0
	s_mov_b32 s9, s1
	v_mov_b32_e32 v50, 0
	s_lshl_b64 s[28:29], s[8:9], 3
	s_mov_b64 s[20:21], 0xffffffff
	s_mov_b32 s9, s46
	s_wait_kmcnt 0x0
	s_add_nc_u64 s[22:23], s[24:25], s[28:29]
	s_add_nc_u64 s[24:25], s[26:27], s[28:29]
	s_branch .LBB127_2695
.LBB127_2649:
	s_mov_b32 s1, 0
	s_mov_b32 s8, 0
                                        ; implicit-def: $vgpr42_vgpr43
                                        ; implicit-def: $sgpr0
.LBB127_2650:
	s_wait_xcnt 0x0
	s_and_not1_b32 s2, s36, exec_lo
	s_and_b32 s3, s33, exec_lo
	s_and_b32 s4, s8, exec_lo
	;; [unrolled: 1-line block ×3, first 2 shown]
	s_or_b32 s36, s2, s3
.LBB127_2651:
	s_or_b32 exec_lo, exec_lo, s37
	s_and_saveexec_b32 s1, s36
	s_cbranch_execz .LBB127_2654
; %bb.2652:
	; divergent unreachable
	s_or_b32 exec_lo, exec_lo, s1
	s_and_saveexec_b32 s1, s73
	s_delay_alu instid0(SALU_CYCLE_1)
	s_xor_b32 s1, exec_lo, s1
	s_cbranch_execnz .LBB127_2655
.LBB127_2653:
	s_or_b32 exec_lo, exec_lo, s1
	s_and_saveexec_b32 s1, s4
	s_cbranch_execnz .LBB127_2656
	s_branch .LBB127_2693
.LBB127_2654:
	s_or_b32 exec_lo, exec_lo, s1
	s_and_saveexec_b32 s1, s73
	s_delay_alu instid0(SALU_CYCLE_1)
	s_xor_b32 s1, exec_lo, s1
	s_cbranch_execz .LBB127_2653
.LBB127_2655:
	s_wait_loadcnt 0x0
	v_mov_b32_e32 v0, 0
	global_store_b8 v[42:43], v0, off
	s_wait_xcnt 0x0
	s_or_b32 exec_lo, exec_lo, s1
	s_and_saveexec_b32 s1, s4
	s_cbranch_execz .LBB127_2693
.LBB127_2656:
	s_sext_i32_i16 s2, s0
	s_mov_b32 s1, -1
	s_cmp_lt_i32 s2, 5
	s_cbranch_scc1 .LBB127_2677
; %bb.2657:
	s_cmp_lt_i32 s2, 8
	s_cbranch_scc1 .LBB127_2667
; %bb.2658:
	;; [unrolled: 3-line block ×3, first 2 shown]
	s_cmp_gt_i32 s2, 9
	s_cbranch_scc0 .LBB127_2661
; %bb.2660:
	s_wait_loadcnt 0x0
	v_mov_b32_e32 v0, 0
	s_mov_b32 s1, 0
	s_delay_alu instid0(VALU_DEP_1)
	v_dual_mov_b32 v1, v0 :: v_dual_mov_b32 v2, v0
	v_mov_b32_e32 v3, v0
	global_store_b128 v[42:43], v[0:3], off
.LBB127_2661:
	s_and_not1_b32 vcc_lo, exec_lo, s1
	s_cbranch_vccnz .LBB127_2663
; %bb.2662:
	s_wait_loadcnt 0x0
	v_mov_b64_e32 v[0:1], 0
	global_store_b64 v[42:43], v[0:1], off
.LBB127_2663:
	s_mov_b32 s1, 0
.LBB127_2664:
	s_delay_alu instid0(SALU_CYCLE_1)
	s_and_not1_b32 vcc_lo, exec_lo, s1
	s_cbranch_vccnz .LBB127_2666
; %bb.2665:
	s_wait_loadcnt 0x0
	v_mov_b32_e32 v0, 0
	global_store_b32 v[42:43], v0, off
.LBB127_2666:
	s_mov_b32 s1, 0
.LBB127_2667:
	s_delay_alu instid0(SALU_CYCLE_1)
	s_and_not1_b32 vcc_lo, exec_lo, s1
	s_cbranch_vccnz .LBB127_2676
; %bb.2668:
	s_sext_i32_i16 s2, s0
	s_mov_b32 s1, -1
	s_cmp_lt_i32 s2, 6
	s_cbranch_scc1 .LBB127_2674
; %bb.2669:
	s_cmp_gt_i32 s2, 6
	s_cbranch_scc0 .LBB127_2671
; %bb.2670:
	s_wait_loadcnt 0x0
	v_mov_b64_e32 v[0:1], 0
	s_mov_b32 s1, 0
	global_store_b64 v[42:43], v[0:1], off
.LBB127_2671:
	s_and_not1_b32 vcc_lo, exec_lo, s1
	s_cbranch_vccnz .LBB127_2673
; %bb.2672:
	s_wait_loadcnt 0x0
	v_mov_b32_e32 v0, 0
	global_store_b32 v[42:43], v0, off
.LBB127_2673:
	s_mov_b32 s1, 0
.LBB127_2674:
	s_delay_alu instid0(SALU_CYCLE_1)
	s_and_not1_b32 vcc_lo, exec_lo, s1
	s_cbranch_vccnz .LBB127_2676
; %bb.2675:
	s_wait_loadcnt 0x0
	v_mov_b32_e32 v0, 0
	global_store_b16 v[42:43], v0, off
.LBB127_2676:
	s_mov_b32 s1, 0
.LBB127_2677:
	s_delay_alu instid0(SALU_CYCLE_1)
	s_and_not1_b32 vcc_lo, exec_lo, s1
	s_cbranch_vccnz .LBB127_2693
; %bb.2678:
	s_sext_i32_i16 s2, s0
	s_mov_b32 s1, -1
	s_cmp_lt_i32 s2, 2
	s_cbranch_scc1 .LBB127_2688
; %bb.2679:
	s_cmp_lt_i32 s2, 3
	s_cbranch_scc1 .LBB127_2685
; %bb.2680:
	s_cmp_gt_i32 s2, 3
	s_cbranch_scc0 .LBB127_2682
; %bb.2681:
	s_wait_loadcnt 0x0
	v_mov_b64_e32 v[0:1], 0
	s_mov_b32 s1, 0
	global_store_b64 v[42:43], v[0:1], off
.LBB127_2682:
	s_and_not1_b32 vcc_lo, exec_lo, s1
	s_cbranch_vccnz .LBB127_2684
; %bb.2683:
	s_wait_loadcnt 0x0
	v_mov_b32_e32 v0, 0
	global_store_b32 v[42:43], v0, off
.LBB127_2684:
	s_mov_b32 s1, 0
.LBB127_2685:
	s_delay_alu instid0(SALU_CYCLE_1)
	s_and_not1_b32 vcc_lo, exec_lo, s1
	s_cbranch_vccnz .LBB127_2687
; %bb.2686:
	s_wait_loadcnt 0x0
	v_mov_b32_e32 v0, 0
	global_store_b16 v[42:43], v0, off
.LBB127_2687:
	s_mov_b32 s1, 0
.LBB127_2688:
	s_delay_alu instid0(SALU_CYCLE_1)
	s_and_not1_b32 vcc_lo, exec_lo, s1
	s_cbranch_vccnz .LBB127_2693
; %bb.2689:
	s_sext_i32_i16 s0, s0
	s_delay_alu instid0(SALU_CYCLE_1)
	s_cmp_gt_i32 s0, 0
	s_mov_b32 s0, -1
	s_cbranch_scc0 .LBB127_2691
; %bb.2690:
	s_wait_loadcnt 0x0
	v_mov_b32_e32 v0, 0
	s_mov_b32 s0, 0
	global_store_b8 v[42:43], v0, off
.LBB127_2691:
	s_and_not1_b32 vcc_lo, exec_lo, s0
	s_cbranch_vccnz .LBB127_2693
; %bb.2692:
	s_wait_loadcnt 0x0
	v_mov_b32_e32 v0, 0
	global_store_b8 v[42:43], v0, off
	s_sendmsg sendmsg(MSG_DEALLOC_VGPRS)
	s_endpgm
.LBB127_2693:
	s_sendmsg sendmsg(MSG_DEALLOC_VGPRS)
	s_endpgm
.LBB127_2694:                           ;   in Loop: Header=BB127_2695 Depth=1
	s_or_b32 exec_lo, exec_lo, s0
	global_load_b64 v[54:55], v50, s[24:25]
	v_mul_u64_e32 v[56:57], s[26:27], v[52:53]
	s_add_co_i32 s9, s9, -1
	s_add_nc_u64 s[22:23], s[22:23], -8
	s_cmp_eq_u32 s9, 0
	s_wait_xcnt 0x0
	s_add_nc_u64 s[24:25], s[24:25], -8
	s_delay_alu instid0(VALU_DEP_1) | instskip(SKIP_1) | instid1(VALU_DEP_1)
	v_sub_nc_u64_e32 v[48:49], v[48:49], v[56:57]
	s_wait_loadcnt 0x0
	v_mad_nc_u64_u32 v[42:43], v48, v54, v[42:43]
	s_delay_alu instid0(VALU_DEP_1) | instskip(NEXT) | instid1(VALU_DEP_1)
	v_mad_u32 v1, v49, v54, v43
	v_mad_u32 v43, v48, v55, v1
	v_mov_b64_e32 v[48:49], v[52:53]
	s_cbranch_scc1 .LBB127_2699
.LBB127_2695:                           ; =>This Inner Loop Header: Depth=1
	global_load_b64 v[52:53], v50, s[22:23]
	s_mov_b32 s0, exec_lo
	s_wait_loadcnt 0x0
	v_or_b32_e32 v51, v49, v53
	v_readfirstlane_b32 s26, v52
	v_readfirstlane_b32 s27, v53
                                        ; implicit-def: $vgpr52_vgpr53
	s_wait_xcnt 0x0
	s_delay_alu instid0(VALU_DEP_3)
	v_cmpx_ne_u64_e32 0, v[50:51]
	s_xor_b32 s44, exec_lo, s0
	s_cbranch_execz .LBB127_2697
; %bb.2696:                             ;   in Loop: Header=BB127_2695 Depth=1
	s_ashr_i32 s28, s27, 31
	v_dual_mov_b32 v57, v50 :: v_dual_ashrrev_i32 v52, 31, v49
	s_mov_b32 s29, s28
	s_delay_alu instid0(SALU_CYCLE_1) | instskip(NEXT) | instid1(VALU_DEP_1)
	s_add_nc_u64 s[30:31], s[26:27], s[28:29]
	v_mov_b32_e32 v53, v52
	s_xor_b64 s[30:31], s[30:31], s[28:29]
	s_delay_alu instid0(SALU_CYCLE_1)
	s_cvt_f32_u32 s0, s30
	s_cvt_f32_u32 s29, s31
	s_sub_nc_u64 s[54:55], 0, s[30:31]
	v_add_nc_u64_e32 v[54:55], v[48:49], v[52:53]
	v_mov_b32_e32 v61, v50
	s_fmamk_f32 s0, s29, 0x4f800000, s0
	s_delay_alu instid0(SALU_CYCLE_3) | instskip(NEXT) | instid1(VALU_DEP_2)
	v_s_rcp_f32 s0, s0
	v_xor_b32_e32 v56, v54, v52
	s_delay_alu instid0(VALU_DEP_3) | instskip(SKIP_1) | instid1(TRANS32_DEP_1)
	v_dual_mov_b32 v65, v50 :: v_dual_bitop2_b32 v60, v55, v52 bitop3:0x14
	v_xor_b32_e32 v52, s28, v52
	s_mul_f32 s0, s0, 0x5f7ffffc
	s_delay_alu instid0(VALU_DEP_1) | instskip(NEXT) | instid1(SALU_CYCLE_2)
	v_mov_b32_e32 v53, v52
	s_mul_f32 s29, s0, 0x2f800000
	s_delay_alu instid0(SALU_CYCLE_3) | instskip(NEXT) | instid1(SALU_CYCLE_3)
	s_trunc_f32 s29, s29
	s_fmamk_f32 s0, s29, 0xcf800000, s0
	s_cvt_u32_f32 s53, s29
	s_delay_alu instid0(SALU_CYCLE_2) | instskip(NEXT) | instid1(SALU_CYCLE_3)
	s_cvt_u32_f32 s52, s0
	s_mul_u64 s[56:57], s[54:55], s[52:53]
	s_delay_alu instid0(SALU_CYCLE_1)
	s_mul_hi_u32 s59, s52, s57
	s_mul_i32 s58, s52, s57
	s_mul_hi_u32 s0, s52, s56
	s_mul_i32 s45, s53, s56
	s_add_nc_u64 s[58:59], s[0:1], s[58:59]
	s_mul_hi_u32 s29, s53, s56
	s_mul_hi_u32 s47, s53, s57
	s_add_co_u32 s0, s58, s45
	s_add_co_ci_u32 s0, s59, s29
	s_mul_i32 s56, s53, s57
	s_add_co_ci_u32 s57, s47, 0
	s_delay_alu instid0(SALU_CYCLE_1) | instskip(NEXT) | instid1(SALU_CYCLE_1)
	s_add_nc_u64 s[56:57], s[0:1], s[56:57]
	s_add_co_u32 s52, s52, s56
	s_cselect_b32 s0, -1, 0
	s_delay_alu instid0(SALU_CYCLE_1) | instskip(SKIP_1) | instid1(SALU_CYCLE_1)
	s_cmp_lg_u32 s0, 0
	s_add_co_ci_u32 s53, s53, s57
	s_mul_u64 s[54:55], s[54:55], s[52:53]
	s_delay_alu instid0(SALU_CYCLE_1)
	s_mul_hi_u32 s57, s52, s55
	s_mul_i32 s56, s52, s55
	s_mul_hi_u32 s0, s52, s54
	s_mul_i32 s45, s53, s54
	s_add_nc_u64 s[56:57], s[0:1], s[56:57]
	s_mul_hi_u32 s29, s53, s54
	s_mul_hi_u32 s47, s53, s55
	s_add_co_u32 s0, s56, s45
	s_add_co_ci_u32 s0, s57, s29
	s_mul_i32 s54, s53, s55
	s_add_co_ci_u32 s55, s47, 0
	s_delay_alu instid0(SALU_CYCLE_1) | instskip(NEXT) | instid1(SALU_CYCLE_1)
	s_add_nc_u64 s[54:55], s[0:1], s[54:55]
	s_add_co_u32 s52, s52, s54
	s_cselect_b32 s0, -1, 0
	v_mul_hi_u32 v64, v56, s52
	s_cmp_lg_u32 s0, 0
	s_add_co_ci_u32 s0, s53, s55
	s_and_b64 s[54:55], s[52:53], s[20:21]
	v_mul_u64_e32 v[58:59], s[0:1], v[56:57]
	v_mul_u64_e32 v[54:55], s[54:55], v[60:61]
	;; [unrolled: 1-line block ×3, first 2 shown]
	s_delay_alu instid0(VALU_DEP_3) | instskip(NEXT) | instid1(VALU_DEP_1)
	v_add_nc_u64_e32 v[58:59], v[64:65], v[58:59]
	v_add_co_u32 v1, vcc_lo, v58, v54
	s_delay_alu instid0(VALU_DEP_2) | instskip(NEXT) | instid1(VALU_DEP_4)
	v_add_co_ci_u32_e32 v64, vcc_lo, v59, v55, vcc_lo
	v_add_co_ci_u32_e32 v63, vcc_lo, 0, v63, vcc_lo
	s_delay_alu instid0(VALU_DEP_1) | instskip(NEXT) | instid1(VALU_DEP_1)
	v_add_nc_u64_e32 v[54:55], v[64:65], v[62:63]
	v_mul_u64_e32 v[58:59], s[30:31], v[54:55]
	s_delay_alu instid0(VALU_DEP_1) | instskip(NEXT) | instid1(VALU_DEP_2)
	v_sub_nc_u32_e32 v1, v60, v59
	v_sub_co_u32 v3, vcc_lo, v56, v58
	s_delay_alu instid0(VALU_DEP_1) | instskip(NEXT) | instid1(VALU_DEP_3)
	v_sub_co_ci_u32_e64 v7, null, v60, v59, vcc_lo
	v_subrev_co_ci_u32_e64 v1, null, s31, v1, vcc_lo
	s_delay_alu instid0(VALU_DEP_3) | instskip(SKIP_1) | instid1(VALU_DEP_3)
	v_sub_co_u32 v5, s0, v3, s30
	v_add_nc_u64_e32 v[56:57], 2, v[54:55]
	v_subrev_co_ci_u32_e64 v1, null, 0, v1, s0
	s_delay_alu instid0(VALU_DEP_3) | instskip(SKIP_2) | instid1(VALU_DEP_4)
	v_cmp_le_u32_e32 vcc_lo, s30, v5
	v_add_nc_u64_e32 v[58:59], 1, v[54:55]
	v_cndmask_b32_e64 v5, 0, -1, vcc_lo
	v_cmp_le_u32_e32 vcc_lo, s31, v1
	v_cndmask_b32_e64 v11, 0, -1, vcc_lo
	v_cmp_le_u32_e32 vcc_lo, s30, v3
	;; [unrolled: 2-line block ×3, first 2 shown]
	v_cndmask_b32_e64 v15, 0, -1, vcc_lo
	v_cmp_eq_u32_e32 vcc_lo, s31, v1
	v_cndmask_b32_e32 v1, v11, v5, vcc_lo
	v_cmp_eq_u32_e32 vcc_lo, s31, v7
	s_delay_alu instid0(VALU_DEP_4) | instskip(NEXT) | instid1(VALU_DEP_3)
	v_cndmask_b32_e32 v3, v15, v3, vcc_lo
	v_cmp_ne_u32_e32 vcc_lo, 0, v1
	s_delay_alu instid0(VALU_DEP_2) | instskip(SKIP_1) | instid1(VALU_DEP_1)
	v_cmp_ne_u32_e64 s0, 0, v3
	v_dual_cndmask_b32 v3, v58, v56, vcc_lo :: v_dual_cndmask_b32 v1, v59, v57, vcc_lo
	v_dual_cndmask_b32 v3, v54, v3, s0 :: v_dual_cndmask_b32 v1, v55, v1, s0
	s_delay_alu instid0(VALU_DEP_1) | instskip(NEXT) | instid1(VALU_DEP_2)
	v_xor_b32_e32 v54, v3, v52
	v_xor_b32_e32 v55, v1, v52
	s_delay_alu instid0(VALU_DEP_1)
	v_sub_nc_u64_e32 v[52:53], v[54:55], v[52:53]
.LBB127_2697:                           ;   in Loop: Header=BB127_2695 Depth=1
	s_and_not1_saveexec_b32 s0, s44
	s_cbranch_execz .LBB127_2694
; %bb.2698:                             ;   in Loop: Header=BB127_2695 Depth=1
	v_cvt_f32_u32_e32 v1, s26
	s_sub_co_i32 s28, 0, s26
	v_mov_b32_e32 v53, v50
	s_delay_alu instid0(VALU_DEP_2) | instskip(SKIP_1) | instid1(TRANS32_DEP_1)
	v_rcp_iflag_f32_e32 v1, v1
	v_nop
	v_mul_f32_e32 v1, 0x4f7ffffe, v1
	s_delay_alu instid0(VALU_DEP_1) | instskip(NEXT) | instid1(VALU_DEP_1)
	v_cvt_u32_f32_e32 v1, v1
	v_mul_lo_u32 v3, s28, v1
	s_delay_alu instid0(VALU_DEP_1) | instskip(NEXT) | instid1(VALU_DEP_1)
	v_mul_hi_u32 v3, v1, v3
	v_add_nc_u32_e32 v1, v1, v3
	s_delay_alu instid0(VALU_DEP_1) | instskip(NEXT) | instid1(VALU_DEP_1)
	v_mul_hi_u32 v1, v48, v1
	v_mul_lo_u32 v3, v1, s26
	s_delay_alu instid0(VALU_DEP_1) | instskip(NEXT) | instid1(VALU_DEP_1)
	v_sub_nc_u32_e32 v3, v48, v3
	v_subrev_nc_u32_e32 v7, s26, v3
	v_cmp_le_u32_e32 vcc_lo, s26, v3
	s_delay_alu instid0(VALU_DEP_2) | instskip(NEXT) | instid1(VALU_DEP_1)
	v_dual_add_nc_u32 v5, 1, v1 :: v_dual_cndmask_b32 v3, v3, v7, vcc_lo
	v_cndmask_b32_e32 v1, v1, v5, vcc_lo
	s_delay_alu instid0(VALU_DEP_2) | instskip(NEXT) | instid1(VALU_DEP_2)
	v_cmp_le_u32_e32 vcc_lo, s26, v3
	v_add_nc_u32_e32 v5, 1, v1
	s_delay_alu instid0(VALU_DEP_1)
	v_cndmask_b32_e32 v52, v1, v5, vcc_lo
	s_branch .LBB127_2694
.LBB127_2699:
	s_or_b32 exec_lo, exec_lo, s43
	s_load_b64 s[20:21], s[2:3], 0x2a8
	s_get_pc_i64 s[0:1]
	s_add_nc_u64 s[0:1], s[0:1], .str.9@rel64+4
	s_mov_b32 s22, -1
	s_cmp_lg_u64 s[0:1], 0
	s_mov_b32 s43, s41
	s_cselect_b32 s47, -1, 0
	s_mov_b32 s0, exec_lo
	v_cmpx_gt_i64_e64 v[44:45], v[46:47]
	s_cbranch_execz .LBB127_2706
; %bb.2700:
	v_lshlrev_b64_e32 v[42:43], 3, v[42:43]
	s_mov_b32 s9, 0
	s_xor_b32 s22, s47, -1
                                        ; implicit-def: $sgpr1
                                        ; implicit-def: $sgpr24
                                        ; implicit-def: $sgpr23
	s_delay_alu instid0(VALU_DEP_1) | instskip(SKIP_3) | instid1(VALU_DEP_2)
	v_lshl_add_u64 v[46:47], v[46:47], 3, v[42:43]
	s_wait_loadcnt 0x0
	s_wait_kmcnt 0x0
	v_add_nc_u64_e32 v[48:49], s[20:21], v[42:43]
	v_add_nc_u64_e32 v[46:47], s[20:21], v[46:47]
	s_delay_alu instid0(VALU_DEP_2) | instskip(NEXT) | instid1(VALU_DEP_2)
	v_lshl_add_u64 v[44:45], v[44:45], 3, v[48:49]
	v_add_nc_u64_e32 v[42:43], 8, v[46:47]
	s_branch .LBB127_2702
.LBB127_2701:                           ;   in Loop: Header=BB127_2702 Depth=1
	s_or_b32 exec_lo, exec_lo, s25
	s_xor_b32 s25, s23, -1
	s_and_b32 s26, exec_lo, s24
	s_delay_alu instid0(SALU_CYCLE_1) | instskip(SKIP_2) | instid1(SALU_CYCLE_1)
	s_or_b32 s9, s26, s9
	s_and_not1_b32 s1, s1, exec_lo
	s_and_b32 s25, s25, exec_lo
	s_or_b32 s1, s1, s25
	s_and_not1_b32 exec_lo, exec_lo, s9
	s_cbranch_execz .LBB127_2704
.LBB127_2702:                           ; =>This Inner Loop Header: Depth=1
	s_or_b32 s23, s23, exec_lo
	s_or_b32 s24, s24, exec_lo
	s_mov_b32 s25, exec_lo
	s_delay_alu instid0(VALU_DEP_1)
	v_cmpx_lt_u64_e64 v[42:43], v[44:45]
	s_cbranch_execz .LBB127_2701
; %bb.2703:                             ;   in Loop: Header=BB127_2702 Depth=1
	global_load_b128 v[46:49], v[42:43], off offset:-8
	s_wait_xcnt 0x0
	v_add_nc_u64_e32 v[42:43], 8, v[42:43]
	s_and_not1_b32 s24, s24, exec_lo
	s_and_not1_b32 s23, s23, exec_lo
	s_wait_loadcnt 0x0
	v_cmp_ge_i64_e32 vcc_lo, v[46:47], v[48:49]
	s_or_b32 s26, s22, vcc_lo
	s_delay_alu instid0(SALU_CYCLE_1) | instskip(NEXT) | instid1(SALU_CYCLE_1)
	s_and_b32 s26, s26, exec_lo
	s_or_b32 s24, s24, s26
	s_branch .LBB127_2701
.LBB127_2704:
	s_or_b32 exec_lo, exec_lo, s9
	s_mov_b32 s9, -1
	s_mov_b32 s22, s41
	s_and_saveexec_b32 s23, s1
	s_delay_alu instid0(SALU_CYCLE_1)
	s_xor_b32 s1, exec_lo, s23
	s_cbranch_execnz .LBB127_3697
.LBB127_2705:
	s_or_b32 exec_lo, exec_lo, s1
	s_delay_alu instid0(SALU_CYCLE_1) | instskip(SKIP_1) | instid1(SALU_CYCLE_1)
	s_and_not1_b32 s1, s41, exec_lo
	s_and_b32 s22, s22, exec_lo
	s_or_b32 s43, s1, s22
	s_or_not1_b32 s22, s9, exec_lo
.LBB127_2706:
	s_or_b32 exec_lo, exec_lo, s0
	s_mov_b32 s1, 0
	s_mov_b32 s9, 0
                                        ; implicit-def: $vgpr42_vgpr43
                                        ; implicit-def: $sgpr0
	s_and_saveexec_b32 s44, s22
	s_cbranch_execz .LBB127_4426
; %bb.2707:
	v_mov_b32_e32 v41, 0
	s_and_b32 s57, 0xffff, s34
	s_delay_alu instid0(SALU_CYCLE_1) | instskip(NEXT) | instid1(VALU_DEP_1)
	s_cmp_lt_i32 s57, 11
	v_add_nc_u64_e32 v[42:43], s[6:7], v[40:41]
	s_cbranch_scc1 .LBB127_2715
; %bb.2708:
	s_cmp_gt_i32 s57, 25
	s_cbranch_scc0 .LBB127_2731
; %bb.2709:
	s_cmp_gt_i32 s57, 28
	s_cbranch_scc0 .LBB127_3111
	;; [unrolled: 3-line block ×4, first 2 shown]
; %bb.2712:
	s_cmp_eq_u32 s57, 46
	s_mov_b32 s22, 0
	s_cbranch_scc0 .LBB127_3788
; %bb.2713:
	global_load_b32 v1, v[42:43], off
	s_mov_b32 s0, 0
	s_mov_b32 s9, -1
	s_wait_loadcnt 0x0
	v_lshlrev_b32_e32 v1, 16, v1
	s_delay_alu instid0(VALU_DEP_1) | instskip(NEXT) | instid1(VALU_DEP_1)
	v_trunc_f32_e32 v1, v1
	v_mul_f32_e64 v3, 0x2f800000, |v1|
	v_ashrrev_i32_e32 v40, 31, v1
	s_delay_alu instid0(VALU_DEP_2) | instskip(NEXT) | instid1(VALU_DEP_2)
	v_floor_f32_e32 v3, v3
	v_mov_b32_e32 v41, v40
	s_delay_alu instid0(VALU_DEP_2) | instskip(SKIP_1) | instid1(VALU_DEP_2)
	v_fma_f32 v5, 0xcf800000, v3, |v1|
	v_cvt_u32_f32_e32 v1, v3
	v_cvt_u32_f32_e32 v3, v5
	s_delay_alu instid0(VALU_DEP_2) | instskip(NEXT) | instid1(VALU_DEP_2)
	v_xor_b32_e32 v45, v1, v40
	v_xor_b32_e32 v44, v3, v40
	s_delay_alu instid0(VALU_DEP_1)
	v_sub_nc_u64_e32 v[40:41], v[44:45], v[40:41]
	s_branch .LBB127_3790
.LBB127_2714:
	s_or_b32 s33, s33, exec_lo
	s_trap 2
	s_cbranch_execz .LBB127_2589
	s_branch .LBB127_2590
.LBB127_2715:
	s_mov_b32 s0, -1
	s_mov_b32 s45, s43
                                        ; implicit-def: $vgpr40_vgpr41
	s_branch .LBB127_3852
.LBB127_2716:
	s_mov_b32 s88, -1
.LBB127_2717:
	s_mov_b32 s58, 0
                                        ; implicit-def: $vgpr14_vgpr15
.LBB127_2718:
	s_and_b32 vcc_lo, exec_lo, s1
	s_cbranch_vccz .LBB127_2733
; %bb.2719:
	s_cmp_eq_u32 s35, 44
	s_cbranch_scc0 .LBB127_2732
; %bb.2720:
	global_load_u8 v1, v[6:7], off
	s_mov_b32 s88, 0
	s_mov_b32 s58, -1
	s_wait_loadcnt 0x0
	v_lshlrev_b32_e32 v3, 23, v1
	v_cmp_ne_u32_e32 vcc_lo, 0, v1
	s_delay_alu instid0(VALU_DEP_2) | instskip(NEXT) | instid1(VALU_DEP_1)
	v_trunc_f32_e32 v3, v3
	v_mul_f32_e64 v14, 0x2f800000, |v3|
	s_delay_alu instid0(VALU_DEP_1) | instskip(SKIP_1) | instid1(VALU_DEP_2)
	v_floor_f32_e32 v15, v14
	v_ashrrev_i32_e32 v14, 31, v3
	v_fma_f32 v16, 0xcf800000, v15, |v3|
	v_cvt_u32_f32_e32 v3, v15
	s_delay_alu instid0(VALU_DEP_3) | instskip(NEXT) | instid1(VALU_DEP_3)
	v_mov_b32_e32 v15, v14
	v_cvt_u32_f32_e32 v16, v16
	s_delay_alu instid0(VALU_DEP_3) | instskip(NEXT) | instid1(VALU_DEP_2)
	v_xor_b32_e32 v17, v3, v14
	v_xor_b32_e32 v16, v16, v14
	s_delay_alu instid0(VALU_DEP_1) | instskip(NEXT) | instid1(VALU_DEP_1)
	v_sub_nc_u64_e32 v[14:15], v[16:17], v[14:15]
	v_dual_cndmask_b32 v15, 0, v15 :: v_dual_cndmask_b32 v14, 0, v14
	s_branch .LBB127_2733
.LBB127_2721:
	s_mov_b32 s47, -1
	s_mov_b32 s58, 0
.LBB127_2722:
                                        ; implicit-def: $vgpr10_vgpr11
.LBB127_2723:
	s_and_b32 vcc_lo, exec_lo, s1
	s_cbranch_vccz .LBB127_2869
; %bb.2724:
	s_cmp_eq_u32 s35, 44
	s_cbranch_scc0 .LBB127_2868
; %bb.2725:
	global_load_u8 v1, v[14:15], off
	s_mov_b32 s47, 0
	s_mov_b32 s58, -1
	s_wait_loadcnt 0x0
	v_lshlrev_b32_e32 v3, 23, v1
	v_cmp_ne_u32_e32 vcc_lo, 0, v1
	s_delay_alu instid0(VALU_DEP_2) | instskip(NEXT) | instid1(VALU_DEP_1)
	v_trunc_f32_e32 v3, v3
	v_mul_f32_e64 v7, 0x2f800000, |v3|
	v_ashrrev_i32_e32 v10, 31, v3
	s_delay_alu instid0(VALU_DEP_2) | instskip(NEXT) | instid1(VALU_DEP_1)
	v_floor_f32_e32 v7, v7
	v_fma_f32 v11, 0xcf800000, v7, |v3|
	v_cvt_u32_f32_e32 v3, v7
	s_delay_alu instid0(VALU_DEP_2) | instskip(NEXT) | instid1(VALU_DEP_2)
	v_cvt_u32_f32_e32 v7, v11
	v_dual_mov_b32 v11, v10 :: v_dual_bitop2_b32 v17, v3, v10 bitop3:0x14
	s_delay_alu instid0(VALU_DEP_2) | instskip(NEXT) | instid1(VALU_DEP_1)
	v_xor_b32_e32 v16, v7, v10
	v_sub_nc_u64_e32 v[10:11], v[16:17], v[10:11]
	s_delay_alu instid0(VALU_DEP_1)
	v_dual_cndmask_b32 v11, 0, v11 :: v_dual_cndmask_b32 v10, 0, v10
	s_branch .LBB127_2869
.LBB127_2726:
	s_mov_b32 s47, -1
	s_mov_b32 s45, 0
.LBB127_2727:
                                        ; implicit-def: $vgpr12_vgpr13
.LBB127_2728:
	s_and_b32 vcc_lo, exec_lo, s1
	s_cbranch_vccz .LBB127_2989
; %bb.2729:
	s_cmp_eq_u32 s35, 44
	s_cbranch_scc0 .LBB127_2988
; %bb.2730:
	global_load_u8 v1, v[14:15], off
	s_mov_b32 s47, 0
	s_mov_b32 s45, -1
	s_wait_loadcnt 0x0
	v_lshlrev_b32_e32 v3, 23, v1
	v_cmp_ne_u32_e32 vcc_lo, 0, v1
	s_delay_alu instid0(VALU_DEP_2) | instskip(NEXT) | instid1(VALU_DEP_1)
	v_trunc_f32_e32 v3, v3
	v_mul_f32_e64 v7, 0x2f800000, |v3|
	v_ashrrev_i32_e32 v12, 31, v3
	s_delay_alu instid0(VALU_DEP_2) | instskip(NEXT) | instid1(VALU_DEP_2)
	v_floor_f32_e32 v7, v7
	v_mov_b32_e32 v13, v12
	s_delay_alu instid0(VALU_DEP_2) | instskip(SKIP_1) | instid1(VALU_DEP_2)
	v_fma_f32 v11, 0xcf800000, v7, |v3|
	v_cvt_u32_f32_e32 v3, v7
	v_cvt_u32_f32_e32 v7, v11
	s_delay_alu instid0(VALU_DEP_2) | instskip(NEXT) | instid1(VALU_DEP_2)
	v_xor_b32_e32 v17, v3, v12
	v_xor_b32_e32 v16, v7, v12
	s_delay_alu instid0(VALU_DEP_1) | instskip(NEXT) | instid1(VALU_DEP_1)
	v_sub_nc_u64_e32 v[12:13], v[16:17], v[12:13]
	v_dual_cndmask_b32 v13, 0, v13 :: v_dual_cndmask_b32 v12, 0, v12
	s_branch .LBB127_2989
.LBB127_2731:
	s_mov_b32 s22, -1
	s_mov_b32 s0, 0
                                        ; implicit-def: $vgpr40_vgpr41
	s_branch .LBB127_3817
.LBB127_2732:
	s_mov_b32 s88, -1
                                        ; implicit-def: $vgpr14_vgpr15
.LBB127_2733:
	s_mov_b32 s1, 0
.LBB127_2734:
	s_delay_alu instid0(SALU_CYCLE_1)
	s_and_b32 vcc_lo, exec_lo, s1
	s_cbranch_vccz .LBB127_2738
; %bb.2735:
	s_cmp_eq_u32 s35, 29
	s_cbranch_scc0 .LBB127_2737
; %bb.2736:
	global_load_b64 v[14:15], v[6:7], off
	s_mov_b32 s58, -1
	s_mov_b32 s88, 0
	s_branch .LBB127_2738
.LBB127_2737:
	s_mov_b32 s88, -1
                                        ; implicit-def: $vgpr14_vgpr15
.LBB127_2738:
	s_mov_b32 s1, 0
.LBB127_2739:
	s_delay_alu instid0(SALU_CYCLE_1)
	s_and_b32 vcc_lo, exec_lo, s1
	s_cbranch_vccz .LBB127_2755
; %bb.2740:
	s_cmp_lt_i32 s35, 27
	s_cbranch_scc1 .LBB127_2743
; %bb.2741:
	s_cmp_gt_i32 s35, 27
	s_cbranch_scc0 .LBB127_2744
; %bb.2742:
	s_wait_loadcnt 0x0
	global_load_b32 v14, v[6:7], off
	v_mov_b32_e32 v15, 0
	s_mov_b32 s1, 0
	s_branch .LBB127_2745
.LBB127_2743:
	s_mov_b32 s1, -1
                                        ; implicit-def: $vgpr14_vgpr15
	s_branch .LBB127_2748
.LBB127_2744:
	s_mov_b32 s1, -1
                                        ; implicit-def: $vgpr14_vgpr15
.LBB127_2745:
	s_delay_alu instid0(SALU_CYCLE_1)
	s_and_not1_b32 vcc_lo, exec_lo, s1
	s_cbranch_vccnz .LBB127_2747
; %bb.2746:
	global_load_u16 v1, v[6:7], off
	s_mov_b32 s1, 0
	s_wait_loadcnt 0x1
	v_mov_b32_e32 v15, s1
	s_wait_loadcnt 0x0
	v_and_b32_e32 v14, 0xffff, v1
.LBB127_2747:
	s_mov_b32 s1, 0
.LBB127_2748:
	s_delay_alu instid0(SALU_CYCLE_1)
	s_and_not1_b32 vcc_lo, exec_lo, s1
	s_cbranch_vccnz .LBB127_2754
; %bb.2749:
	global_load_u8 v1, v[6:7], off
	s_mov_b32 s58, 0
	s_mov_b32 s1, exec_lo
	s_wait_loadcnt 0x0
	v_cmpx_lt_i16_e32 0x7f, v1
	s_xor_b32 s1, exec_lo, s1
	s_cbranch_execz .LBB127_2766
; %bb.2750:
	v_cmp_ne_u16_e32 vcc_lo, 0x80, v1
	s_and_b32 s58, vcc_lo, exec_lo
	s_and_not1_saveexec_b32 s1, s1
	s_cbranch_execnz .LBB127_2767
.LBB127_2751:
	s_or_b32 exec_lo, exec_lo, s1
	v_mov_b64_e32 v[14:15], 0
	s_and_saveexec_b32 s1, s58
	s_cbranch_execz .LBB127_2753
.LBB127_2752:
	v_and_b32_e32 v3, 0xffff, v1
	s_delay_alu instid0(VALU_DEP_1) | instskip(SKIP_1) | instid1(VALU_DEP_2)
	v_dual_lshlrev_b32 v1, 24, v1 :: v_dual_bitop2_b32 v14, 7, v3 bitop3:0x40
	v_bfe_u32 v17, v3, 3, 4
	v_and_b32_e32 v1, 0x80000000, v1
	s_delay_alu instid0(VALU_DEP_3) | instskip(NEXT) | instid1(VALU_DEP_3)
	v_clz_i32_u32_e32 v15, v14
	v_cmp_eq_u32_e32 vcc_lo, 0, v17
	s_delay_alu instid0(VALU_DEP_2) | instskip(NEXT) | instid1(VALU_DEP_1)
	v_min_u32_e32 v15, 32, v15
	v_subrev_nc_u32_e32 v16, 28, v15
	v_sub_nc_u32_e32 v15, 29, v15
	s_delay_alu instid0(VALU_DEP_2) | instskip(NEXT) | instid1(VALU_DEP_2)
	v_lshlrev_b32_e32 v3, v16, v3
	v_cndmask_b32_e32 v15, v17, v15, vcc_lo
	s_delay_alu instid0(VALU_DEP_2) | instskip(NEXT) | instid1(VALU_DEP_1)
	v_and_b32_e32 v3, 7, v3
	v_cndmask_b32_e32 v3, v14, v3, vcc_lo
	s_delay_alu instid0(VALU_DEP_3) | instskip(NEXT) | instid1(VALU_DEP_2)
	v_lshl_add_u32 v14, v15, 23, 0x3b800000
	v_lshlrev_b32_e32 v3, 20, v3
	s_delay_alu instid0(VALU_DEP_1) | instskip(NEXT) | instid1(VALU_DEP_1)
	v_or3_b32 v1, v1, v14, v3
	v_trunc_f32_e32 v1, v1
	s_delay_alu instid0(VALU_DEP_1) | instskip(SKIP_1) | instid1(VALU_DEP_2)
	v_mul_f32_e64 v3, 0x2f800000, |v1|
	v_ashrrev_i32_e32 v14, 31, v1
	v_floor_f32_e32 v3, v3
	s_delay_alu instid0(VALU_DEP_1) | instskip(SKIP_1) | instid1(VALU_DEP_2)
	v_fma_f32 v15, 0xcf800000, v3, |v1|
	v_cvt_u32_f32_e32 v1, v3
	v_cvt_u32_f32_e32 v3, v15
	s_delay_alu instid0(VALU_DEP_2) | instskip(NEXT) | instid1(VALU_DEP_2)
	v_dual_mov_b32 v15, v14 :: v_dual_bitop2_b32 v17, v1, v14 bitop3:0x14
	v_xor_b32_e32 v16, v3, v14
	s_delay_alu instid0(VALU_DEP_1)
	v_sub_nc_u64_e32 v[14:15], v[16:17], v[14:15]
.LBB127_2753:
	s_or_b32 exec_lo, exec_lo, s1
.LBB127_2754:
	s_mov_b32 s58, -1
.LBB127_2755:
	s_mov_b32 s1, 0
.LBB127_2756:
	s_delay_alu instid0(SALU_CYCLE_1)
	s_and_b32 vcc_lo, exec_lo, s1
	s_cbranch_vccz .LBB127_2789
; %bb.2757:
	s_cmp_gt_i32 s35, 22
	s_cbranch_scc0 .LBB127_2765
; %bb.2758:
	s_cmp_lt_i32 s35, 24
	s_cbranch_scc1 .LBB127_2768
; %bb.2759:
	s_cmp_gt_i32 s35, 24
	s_cbranch_scc0 .LBB127_2769
; %bb.2760:
	global_load_u8 v1, v[6:7], off
	s_mov_b32 s58, 0
	s_mov_b32 s1, exec_lo
	s_wait_loadcnt 0x0
	v_cmpx_lt_i16_e32 0x7f, v1
	s_xor_b32 s1, exec_lo, s1
	s_cbranch_execz .LBB127_2781
; %bb.2761:
	v_cmp_ne_u16_e32 vcc_lo, 0x80, v1
	s_and_b32 s58, vcc_lo, exec_lo
	s_and_not1_saveexec_b32 s1, s1
	s_cbranch_execnz .LBB127_2782
.LBB127_2762:
	s_or_b32 exec_lo, exec_lo, s1
	v_mov_b64_e32 v[14:15], 0
	s_and_saveexec_b32 s1, s58
	s_cbranch_execz .LBB127_2764
.LBB127_2763:
	v_and_b32_e32 v3, 0xffff, v1
	s_delay_alu instid0(VALU_DEP_1) | instskip(SKIP_1) | instid1(VALU_DEP_2)
	v_dual_lshlrev_b32 v1, 24, v1 :: v_dual_bitop2_b32 v14, 3, v3 bitop3:0x40
	v_bfe_u32 v17, v3, 2, 5
	v_and_b32_e32 v1, 0x80000000, v1
	s_delay_alu instid0(VALU_DEP_3) | instskip(NEXT) | instid1(VALU_DEP_3)
	v_clz_i32_u32_e32 v15, v14
	v_cmp_eq_u32_e32 vcc_lo, 0, v17
	s_delay_alu instid0(VALU_DEP_2) | instskip(NEXT) | instid1(VALU_DEP_1)
	v_min_u32_e32 v15, 32, v15
	v_subrev_nc_u32_e32 v16, 29, v15
	v_sub_nc_u32_e32 v15, 30, v15
	s_delay_alu instid0(VALU_DEP_2) | instskip(NEXT) | instid1(VALU_DEP_2)
	v_lshlrev_b32_e32 v3, v16, v3
	v_cndmask_b32_e32 v15, v17, v15, vcc_lo
	s_delay_alu instid0(VALU_DEP_2) | instskip(NEXT) | instid1(VALU_DEP_1)
	v_and_b32_e32 v3, 3, v3
	v_cndmask_b32_e32 v3, v14, v3, vcc_lo
	s_delay_alu instid0(VALU_DEP_3) | instskip(NEXT) | instid1(VALU_DEP_2)
	v_lshl_add_u32 v14, v15, 23, 0x37800000
	v_lshlrev_b32_e32 v3, 21, v3
	s_delay_alu instid0(VALU_DEP_1) | instskip(NEXT) | instid1(VALU_DEP_1)
	v_or3_b32 v1, v1, v14, v3
	v_trunc_f32_e32 v1, v1
	s_delay_alu instid0(VALU_DEP_1) | instskip(SKIP_1) | instid1(VALU_DEP_2)
	v_mul_f32_e64 v3, 0x2f800000, |v1|
	v_ashrrev_i32_e32 v14, 31, v1
	v_floor_f32_e32 v3, v3
	s_delay_alu instid0(VALU_DEP_1) | instskip(SKIP_1) | instid1(VALU_DEP_2)
	v_fma_f32 v15, 0xcf800000, v3, |v1|
	v_cvt_u32_f32_e32 v1, v3
	v_cvt_u32_f32_e32 v3, v15
	s_delay_alu instid0(VALU_DEP_2) | instskip(NEXT) | instid1(VALU_DEP_2)
	v_dual_mov_b32 v15, v14 :: v_dual_bitop2_b32 v17, v1, v14 bitop3:0x14
	v_xor_b32_e32 v16, v3, v14
	s_delay_alu instid0(VALU_DEP_1)
	v_sub_nc_u64_e32 v[14:15], v[16:17], v[14:15]
.LBB127_2764:
	s_or_b32 exec_lo, exec_lo, s1
	s_mov_b32 s1, 0
	s_branch .LBB127_2770
.LBB127_2765:
	s_mov_b32 s1, -1
                                        ; implicit-def: $vgpr14_vgpr15
	s_branch .LBB127_2776
.LBB127_2766:
	s_and_not1_saveexec_b32 s1, s1
	s_cbranch_execz .LBB127_2751
.LBB127_2767:
	v_cmp_ne_u16_e32 vcc_lo, 0, v1
	s_and_not1_b32 s36, s58, exec_lo
	s_and_b32 s37, vcc_lo, exec_lo
	s_delay_alu instid0(SALU_CYCLE_1)
	s_or_b32 s58, s36, s37
	s_or_b32 exec_lo, exec_lo, s1
	v_mov_b64_e32 v[14:15], 0
	s_and_saveexec_b32 s1, s58
	s_cbranch_execnz .LBB127_2752
	s_branch .LBB127_2753
.LBB127_2768:
	s_mov_b32 s1, -1
                                        ; implicit-def: $vgpr14_vgpr15
	s_branch .LBB127_2773
.LBB127_2769:
	s_mov_b32 s1, -1
                                        ; implicit-def: $vgpr14_vgpr15
.LBB127_2770:
	s_delay_alu instid0(SALU_CYCLE_1)
	s_and_b32 vcc_lo, exec_lo, s1
	s_cbranch_vccz .LBB127_2772
; %bb.2771:
	global_load_u8 v1, v[6:7], off
	s_wait_loadcnt 0x0
	v_lshlrev_b32_e32 v1, 24, v1
	s_delay_alu instid0(VALU_DEP_1) | instskip(NEXT) | instid1(VALU_DEP_1)
	v_and_b32_e32 v3, 0x7f000000, v1
	v_clz_i32_u32_e32 v14, v3
	v_cmp_ne_u32_e32 vcc_lo, 0, v3
	v_add_nc_u32_e32 v16, 0x1000000, v3
	s_delay_alu instid0(VALU_DEP_3) | instskip(NEXT) | instid1(VALU_DEP_1)
	v_min_u32_e32 v14, 32, v14
	v_sub_nc_u32_e64 v14, v14, 4 clamp
	s_delay_alu instid0(VALU_DEP_1) | instskip(NEXT) | instid1(VALU_DEP_1)
	v_dual_lshlrev_b32 v15, v14, v3 :: v_dual_lshlrev_b32 v14, 23, v14
	v_lshrrev_b32_e32 v15, 4, v15
	s_delay_alu instid0(VALU_DEP_1) | instskip(NEXT) | instid1(VALU_DEP_1)
	v_dual_sub_nc_u32 v14, v15, v14 :: v_dual_ashrrev_i32 v15, 8, v16
	v_add_nc_u32_e32 v14, 0x3c000000, v14
	s_delay_alu instid0(VALU_DEP_1) | instskip(NEXT) | instid1(VALU_DEP_1)
	v_and_or_b32 v14, 0x7f800000, v15, v14
	v_cndmask_b32_e32 v3, 0, v14, vcc_lo
	s_delay_alu instid0(VALU_DEP_1) | instskip(NEXT) | instid1(VALU_DEP_1)
	v_and_or_b32 v1, 0x80000000, v1, v3
	v_trunc_f32_e32 v1, v1
	s_delay_alu instid0(VALU_DEP_1) | instskip(SKIP_1) | instid1(VALU_DEP_2)
	v_mul_f32_e64 v3, 0x2f800000, |v1|
	v_ashrrev_i32_e32 v14, 31, v1
	v_floor_f32_e32 v3, v3
	s_delay_alu instid0(VALU_DEP_1) | instskip(SKIP_1) | instid1(VALU_DEP_2)
	v_fma_f32 v15, 0xcf800000, v3, |v1|
	v_cvt_u32_f32_e32 v1, v3
	v_cvt_u32_f32_e32 v3, v15
	s_delay_alu instid0(VALU_DEP_2) | instskip(NEXT) | instid1(VALU_DEP_2)
	v_dual_mov_b32 v15, v14 :: v_dual_bitop2_b32 v17, v1, v14 bitop3:0x14
	v_xor_b32_e32 v16, v3, v14
	s_delay_alu instid0(VALU_DEP_1)
	v_sub_nc_u64_e32 v[14:15], v[16:17], v[14:15]
.LBB127_2772:
	s_mov_b32 s1, 0
.LBB127_2773:
	s_delay_alu instid0(SALU_CYCLE_1)
	s_and_not1_b32 vcc_lo, exec_lo, s1
	s_cbranch_vccnz .LBB127_2775
; %bb.2774:
	global_load_u8 v1, v[6:7], off
	s_wait_loadcnt 0x0
	v_lshlrev_b32_e32 v3, 25, v1
	v_lshlrev_b16 v1, 8, v1
	s_delay_alu instid0(VALU_DEP_1) | instskip(SKIP_1) | instid1(VALU_DEP_2)
	v_and_or_b32 v15, 0x7f00, v1, 0.5
	v_bfe_i32 v1, v1, 0, 16
	v_add_f32_e32 v15, -0.5, v15
	v_lshrrev_b32_e32 v14, 4, v3
	v_cmp_gt_u32_e32 vcc_lo, 0x8000000, v3
	s_delay_alu instid0(VALU_DEP_2) | instskip(NEXT) | instid1(VALU_DEP_1)
	v_or_b32_e32 v14, 0x70000000, v14
	v_mul_f32_e32 v14, 0x7800000, v14
	s_delay_alu instid0(VALU_DEP_1) | instskip(NEXT) | instid1(VALU_DEP_1)
	v_cndmask_b32_e32 v3, v14, v15, vcc_lo
	v_and_or_b32 v1, 0x80000000, v1, v3
	s_delay_alu instid0(VALU_DEP_1) | instskip(NEXT) | instid1(VALU_DEP_1)
	v_trunc_f32_e32 v1, v1
	v_mul_f32_e64 v3, 0x2f800000, |v1|
	v_ashrrev_i32_e32 v14, 31, v1
	s_delay_alu instid0(VALU_DEP_2) | instskip(NEXT) | instid1(VALU_DEP_1)
	v_floor_f32_e32 v3, v3
	v_fma_f32 v15, 0xcf800000, v3, |v1|
	v_cvt_u32_f32_e32 v1, v3
	s_delay_alu instid0(VALU_DEP_2) | instskip(NEXT) | instid1(VALU_DEP_2)
	v_cvt_u32_f32_e32 v3, v15
	v_dual_mov_b32 v15, v14 :: v_dual_bitop2_b32 v17, v1, v14 bitop3:0x14
	s_delay_alu instid0(VALU_DEP_2) | instskip(NEXT) | instid1(VALU_DEP_1)
	v_xor_b32_e32 v16, v3, v14
	v_sub_nc_u64_e32 v[14:15], v[16:17], v[14:15]
.LBB127_2775:
	s_mov_b32 s1, 0
	s_mov_b32 s58, -1
.LBB127_2776:
	s_and_not1_b32 vcc_lo, exec_lo, s1
	s_cbranch_vccnz .LBB127_2789
; %bb.2777:
	s_cmp_gt_i32 s35, 14
	s_cbranch_scc0 .LBB127_2780
; %bb.2778:
	s_cmp_eq_u32 s35, 15
	s_cbranch_scc0 .LBB127_2783
; %bb.2779:
	global_load_u16 v1, v[6:7], off
	s_mov_b32 s58, -1
	s_mov_b32 s88, 0
	s_wait_loadcnt 0x0
	v_lshlrev_b32_e32 v1, 16, v1
	s_delay_alu instid0(VALU_DEP_1) | instskip(NEXT) | instid1(VALU_DEP_1)
	v_trunc_f32_e32 v1, v1
	v_mul_f32_e64 v3, 0x2f800000, |v1|
	v_ashrrev_i32_e32 v14, 31, v1
	s_delay_alu instid0(VALU_DEP_2) | instskip(NEXT) | instid1(VALU_DEP_1)
	v_floor_f32_e32 v3, v3
	v_fma_f32 v15, 0xcf800000, v3, |v1|
	v_cvt_u32_f32_e32 v1, v3
	s_delay_alu instid0(VALU_DEP_2) | instskip(NEXT) | instid1(VALU_DEP_2)
	v_cvt_u32_f32_e32 v3, v15
	v_dual_mov_b32 v15, v14 :: v_dual_bitop2_b32 v17, v1, v14 bitop3:0x14
	s_delay_alu instid0(VALU_DEP_2) | instskip(NEXT) | instid1(VALU_DEP_1)
	v_xor_b32_e32 v16, v3, v14
	v_sub_nc_u64_e32 v[14:15], v[16:17], v[14:15]
	s_branch .LBB127_2784
.LBB127_2780:
	s_mov_b32 s1, -1
                                        ; implicit-def: $vgpr14_vgpr15
	s_branch .LBB127_2785
.LBB127_2781:
	s_and_not1_saveexec_b32 s1, s1
	s_cbranch_execz .LBB127_2762
.LBB127_2782:
	v_cmp_ne_u16_e32 vcc_lo, 0, v1
	s_and_not1_b32 s36, s58, exec_lo
	s_and_b32 s37, vcc_lo, exec_lo
	s_delay_alu instid0(SALU_CYCLE_1)
	s_or_b32 s58, s36, s37
	s_or_b32 exec_lo, exec_lo, s1
	v_mov_b64_e32 v[14:15], 0
	s_and_saveexec_b32 s1, s58
	s_cbranch_execnz .LBB127_2763
	s_branch .LBB127_2764
.LBB127_2783:
	s_mov_b32 s88, -1
                                        ; implicit-def: $vgpr14_vgpr15
.LBB127_2784:
	s_mov_b32 s1, 0
.LBB127_2785:
	s_delay_alu instid0(SALU_CYCLE_1)
	s_and_b32 vcc_lo, exec_lo, s1
	s_cbranch_vccz .LBB127_2789
; %bb.2786:
	s_cmp_eq_u32 s35, 11
	s_cbranch_scc0 .LBB127_2788
; %bb.2787:
	global_load_u8 v1, v[6:7], off
	s_mov_b32 s88, 0
	s_mov_b32 s58, -1
	s_wait_loadcnt 0x1
	v_mov_b32_e32 v15, s88
	s_wait_loadcnt 0x0
	v_cmp_ne_u16_e32 vcc_lo, 0, v1
	v_cndmask_b32_e64 v14, 0, 1, vcc_lo
	s_branch .LBB127_2789
.LBB127_2788:
	s_mov_b32 s88, -1
                                        ; implicit-def: $vgpr14_vgpr15
.LBB127_2789:
	s_mov_b32 s1, 0
.LBB127_2790:
	s_delay_alu instid0(SALU_CYCLE_1)
	s_and_b32 vcc_lo, exec_lo, s1
	s_cbranch_vccz .LBB127_2839
; %bb.2791:
	s_and_b32 s0, 0xffff, s0
	s_delay_alu instid0(SALU_CYCLE_1)
	s_cmp_lt_i32 s0, 5
	s_cbranch_scc1 .LBB127_2796
; %bb.2792:
	s_cmp_lt_i32 s0, 8
	s_cbranch_scc1 .LBB127_2797
; %bb.2793:
	;; [unrolled: 3-line block ×3, first 2 shown]
	s_cmp_gt_i32 s0, 9
	s_cbranch_scc0 .LBB127_2799
; %bb.2795:
	s_wait_loadcnt 0x0
	global_load_b64 v[14:15], v[6:7], off
	s_mov_b32 s1, 0
	s_wait_loadcnt 0x0
	v_trunc_f64_e32 v[14:15], v[14:15]
	s_delay_alu instid0(VALU_DEP_1) | instskip(NEXT) | instid1(VALU_DEP_1)
	v_ldexp_f64 v[16:17], v[14:15], 0xffffffe0
	v_floor_f64_e32 v[16:17], v[16:17]
	s_delay_alu instid0(VALU_DEP_1) | instskip(SKIP_1) | instid1(VALU_DEP_2)
	v_fmamk_f64 v[18:19], v[16:17], 0xc1f00000, v[14:15]
	v_cvt_i32_f64_e32 v15, v[16:17]
	v_cvt_u32_f64_e32 v14, v[18:19]
	s_branch .LBB127_2800
.LBB127_2796:
	s_mov_b32 s1, -1
                                        ; implicit-def: $vgpr14_vgpr15
	s_branch .LBB127_2818
.LBB127_2797:
	s_mov_b32 s1, -1
                                        ; implicit-def: $vgpr14_vgpr15
	s_branch .LBB127_2806
.LBB127_2798:
	s_mov_b32 s1, -1
                                        ; implicit-def: $vgpr14_vgpr15
	s_branch .LBB127_2803
.LBB127_2799:
	s_mov_b32 s1, -1
                                        ; implicit-def: $vgpr14_vgpr15
.LBB127_2800:
	s_delay_alu instid0(SALU_CYCLE_1)
	s_and_not1_b32 vcc_lo, exec_lo, s1
	s_cbranch_vccnz .LBB127_2802
; %bb.2801:
	global_load_b32 v1, v[6:7], off
	s_wait_loadcnt 0x0
	v_trunc_f32_e32 v1, v1
	s_delay_alu instid0(VALU_DEP_1) | instskip(SKIP_1) | instid1(VALU_DEP_2)
	v_mul_f32_e64 v3, 0x2f800000, |v1|
	v_ashrrev_i32_e32 v14, 31, v1
	v_floor_f32_e32 v3, v3
	s_delay_alu instid0(VALU_DEP_1) | instskip(SKIP_1) | instid1(VALU_DEP_2)
	v_fma_f32 v15, 0xcf800000, v3, |v1|
	v_cvt_u32_f32_e32 v1, v3
	v_cvt_u32_f32_e32 v3, v15
	s_delay_alu instid0(VALU_DEP_2) | instskip(NEXT) | instid1(VALU_DEP_2)
	v_dual_mov_b32 v15, v14 :: v_dual_bitop2_b32 v17, v1, v14 bitop3:0x14
	v_xor_b32_e32 v16, v3, v14
	s_delay_alu instid0(VALU_DEP_1)
	v_sub_nc_u64_e32 v[14:15], v[16:17], v[14:15]
.LBB127_2802:
	s_mov_b32 s1, 0
.LBB127_2803:
	s_delay_alu instid0(SALU_CYCLE_1)
	s_and_not1_b32 vcc_lo, exec_lo, s1
	s_cbranch_vccnz .LBB127_2805
; %bb.2804:
	global_load_b32 v1, v[6:7], off
	s_wait_loadcnt 0x0
	v_cvt_f32_f16_e32 v1, v1
	s_delay_alu instid0(VALU_DEP_1) | instskip(NEXT) | instid1(VALU_DEP_1)
	v_cvt_i32_f32_e32 v14, v1
	v_ashrrev_i32_e32 v15, 31, v14
.LBB127_2805:
	s_mov_b32 s1, 0
.LBB127_2806:
	s_delay_alu instid0(SALU_CYCLE_1)
	s_and_not1_b32 vcc_lo, exec_lo, s1
	s_cbranch_vccnz .LBB127_2817
; %bb.2807:
	s_cmp_lt_i32 s0, 6
	s_cbranch_scc1 .LBB127_2810
; %bb.2808:
	s_cmp_gt_i32 s0, 6
	s_cbranch_scc0 .LBB127_2811
; %bb.2809:
	s_wait_loadcnt 0x0
	global_load_b64 v[14:15], v[6:7], off
	s_mov_b32 s1, 0
	s_wait_loadcnt 0x0
	v_trunc_f64_e32 v[14:15], v[14:15]
	s_delay_alu instid0(VALU_DEP_1) | instskip(NEXT) | instid1(VALU_DEP_1)
	v_ldexp_f64 v[16:17], v[14:15], 0xffffffe0
	v_floor_f64_e32 v[16:17], v[16:17]
	s_delay_alu instid0(VALU_DEP_1) | instskip(SKIP_1) | instid1(VALU_DEP_2)
	v_fmamk_f64 v[18:19], v[16:17], 0xc1f00000, v[14:15]
	v_cvt_i32_f64_e32 v15, v[16:17]
	v_cvt_u32_f64_e32 v14, v[18:19]
	s_branch .LBB127_2812
.LBB127_2810:
	s_mov_b32 s1, -1
                                        ; implicit-def: $vgpr14_vgpr15
	s_branch .LBB127_2815
.LBB127_2811:
	s_mov_b32 s1, -1
                                        ; implicit-def: $vgpr14_vgpr15
.LBB127_2812:
	s_delay_alu instid0(SALU_CYCLE_1)
	s_and_not1_b32 vcc_lo, exec_lo, s1
	s_cbranch_vccnz .LBB127_2814
; %bb.2813:
	global_load_b32 v1, v[6:7], off
	s_wait_loadcnt 0x0
	v_trunc_f32_e32 v1, v1
	s_delay_alu instid0(VALU_DEP_1) | instskip(SKIP_1) | instid1(VALU_DEP_2)
	v_mul_f32_e64 v3, 0x2f800000, |v1|
	v_ashrrev_i32_e32 v14, 31, v1
	v_floor_f32_e32 v3, v3
	s_delay_alu instid0(VALU_DEP_1) | instskip(SKIP_1) | instid1(VALU_DEP_2)
	v_fma_f32 v15, 0xcf800000, v3, |v1|
	v_cvt_u32_f32_e32 v1, v3
	v_cvt_u32_f32_e32 v3, v15
	s_delay_alu instid0(VALU_DEP_2) | instskip(NEXT) | instid1(VALU_DEP_2)
	v_dual_mov_b32 v15, v14 :: v_dual_bitop2_b32 v17, v1, v14 bitop3:0x14
	v_xor_b32_e32 v16, v3, v14
	s_delay_alu instid0(VALU_DEP_1)
	v_sub_nc_u64_e32 v[14:15], v[16:17], v[14:15]
.LBB127_2814:
	s_mov_b32 s1, 0
.LBB127_2815:
	s_delay_alu instid0(SALU_CYCLE_1)
	s_and_not1_b32 vcc_lo, exec_lo, s1
	s_cbranch_vccnz .LBB127_2817
; %bb.2816:
	global_load_u16 v1, v[6:7], off
	s_wait_loadcnt 0x0
	v_cvt_f32_f16_e32 v1, v1
	s_delay_alu instid0(VALU_DEP_1) | instskip(NEXT) | instid1(VALU_DEP_1)
	v_cvt_i32_f32_e32 v14, v1
	v_ashrrev_i32_e32 v15, 31, v14
.LBB127_2817:
	s_mov_b32 s1, 0
.LBB127_2818:
	s_delay_alu instid0(SALU_CYCLE_1)
	s_and_not1_b32 vcc_lo, exec_lo, s1
	s_cbranch_vccnz .LBB127_2838
; %bb.2819:
	s_cmp_lt_i32 s0, 2
	s_cbranch_scc1 .LBB127_2823
; %bb.2820:
	s_cmp_lt_i32 s0, 3
	s_cbranch_scc1 .LBB127_2824
; %bb.2821:
	s_cmp_gt_i32 s0, 3
	s_cbranch_scc0 .LBB127_2825
; %bb.2822:
	s_wait_loadcnt 0x0
	global_load_b64 v[14:15], v[6:7], off
	s_mov_b32 s1, 0
	s_branch .LBB127_2826
.LBB127_2823:
	s_mov_b32 s1, -1
                                        ; implicit-def: $vgpr14_vgpr15
	s_branch .LBB127_2832
.LBB127_2824:
	s_mov_b32 s1, -1
                                        ; implicit-def: $vgpr14_vgpr15
	s_branch .LBB127_2829
.LBB127_2825:
	s_mov_b32 s1, -1
                                        ; implicit-def: $vgpr14_vgpr15
.LBB127_2826:
	s_delay_alu instid0(SALU_CYCLE_1)
	s_and_not1_b32 vcc_lo, exec_lo, s1
	s_cbranch_vccnz .LBB127_2828
; %bb.2827:
	s_wait_loadcnt 0x0
	global_load_b32 v14, v[6:7], off
	s_wait_loadcnt 0x0
	v_ashrrev_i32_e32 v15, 31, v14
.LBB127_2828:
	s_mov_b32 s1, 0
.LBB127_2829:
	s_delay_alu instid0(SALU_CYCLE_1)
	s_and_not1_b32 vcc_lo, exec_lo, s1
	s_cbranch_vccnz .LBB127_2831
; %bb.2830:
	global_load_u16 v1, v[6:7], off
	s_wait_loadcnt 0x0
	v_bfe_i32 v14, v1, 0, 16
	s_delay_alu instid0(VALU_DEP_1)
	v_ashrrev_i32_e32 v15, 31, v14
.LBB127_2831:
	s_mov_b32 s1, 0
.LBB127_2832:
	s_delay_alu instid0(SALU_CYCLE_1)
	s_and_not1_b32 vcc_lo, exec_lo, s1
	s_cbranch_vccnz .LBB127_2838
; %bb.2833:
	s_cmp_gt_i32 s0, 0
	s_mov_b32 s0, 0
	s_cbranch_scc0 .LBB127_2835
; %bb.2834:
	global_load_i8 v1, v[6:7], off
	s_wait_loadcnt 0x0
	v_bfe_i32 v14, v1, 0, 16
	s_delay_alu instid0(VALU_DEP_1)
	v_ashrrev_i32_e32 v15, 31, v14
	s_branch .LBB127_2836
.LBB127_2835:
	s_mov_b32 s0, -1
                                        ; implicit-def: $vgpr14_vgpr15
.LBB127_2836:
	s_delay_alu instid0(SALU_CYCLE_1)
	s_and_not1_b32 vcc_lo, exec_lo, s0
	s_cbranch_vccnz .LBB127_2838
; %bb.2837:
	global_load_u8 v1, v[6:7], off
	s_mov_b32 s0, 0
	s_wait_loadcnt 0x1
	v_mov_b32_e32 v15, s0
	s_wait_loadcnt 0x0
	v_and_b32_e32 v14, 0xffff, v1
.LBB127_2838:
	s_mov_b32 s58, -1
.LBB127_2839:
	s_delay_alu instid0(SALU_CYCLE_1)
	s_and_not1_b32 vcc_lo, exec_lo, s58
	s_cbranch_vccnz .LBB127_2850
; %bb.2840:
	s_load_b512 s[4:19], s[2:3], 0x248
	s_wait_kmcnt 0x0
	s_mov_b64 s[14:15], s[94:95]
	s_mov_b32 s12, s92
	s_mov_b32 s1, -1
	s_mov_b32 s0, 0
	s_mov_b32 s35, 0
	;; [unrolled: 1-line block ×5, first 2 shown]
	s_wait_loadcnt 0x0
	v_cmp_eq_u64_e32 vcc_lo, s[16:17], v[4:5]
	s_and_b32 s36, s81, vcc_lo
	s_delay_alu instid0(SALU_CYCLE_1)
	s_and_saveexec_b32 s85, s36
	s_cbranch_execz .LBB127_4044
; %bb.2841:
	v_cmp_eq_u64_e32 vcc_lo, s[20:21], v[8:9]
	s_and_b32 s35, s52, vcc_lo
	s_delay_alu instid0(SALU_CYCLE_1)
	s_and_saveexec_b32 s86, s35
	s_cbranch_execz .LBB127_3464
; %bb.2842:
	s_load_b512 s[4:19], s[2:3], 0x248
	v_sub_nc_u64_e32 v[4:5], v[10:11], v[12:13]
	s_mov_b32 s58, -1
	s_mov_b32 s35, 0
	s_wait_kmcnt 0x0
	s_delay_alu instid0(VALU_DEP_1) | instskip(SKIP_4) | instid1(SALU_CYCLE_1)
	v_cmp_le_i64_e32 vcc_lo, s[16:17], v[4:5]
	v_cmp_ge_i64_e64 s0, s[18:19], v[4:5]
	s_and_b32 s1, vcc_lo, s0
	s_mov_b32 s0, 0
	s_and_b32 s1, s77, s1
	s_and_saveexec_b32 s87, s1
	s_cbranch_execz .LBB127_3463
; %bb.2843:
	v_cmp_lt_i64_e64 s0, s[20:21], 1
	v_mov_b64_e32 v[4:5], 0
	s_xor_b32 s1, s76, -1
	s_delay_alu instid0(SALU_CYCLE_1) | instskip(NEXT) | instid1(SALU_CYCLE_1)
	s_or_b32 s0, s0, s1
	s_and_b32 vcc_lo, exec_lo, s0
	s_cbranch_vccnz .LBB127_2851
; %bb.2844:
	v_mul_u64_e32 v[8:9], s[20:21], v[14:15]
	v_mov_b64_e32 v[4:5], 0
	s_mov_b32 s35, s59
	v_mov_b32_e32 v6, 0
	s_lshl_b64 s[0:1], s[34:35], 3
	s_mov_b64 s[60:61], 0xffffffff
	s_add_nc_u64 s[62:63], s[24:25], s[0:1]
	s_add_nc_u64 s[64:65], s[26:27], s[0:1]
	s_mov_b32 s35, s22
	s_branch .LBB127_2846
.LBB127_2845:                           ;   in Loop: Header=BB127_2846 Depth=1
	s_or_b32 exec_lo, exec_lo, s0
	s_delay_alu instid0(VALU_DEP_1)
	v_mul_u64_e32 v[16:17], s[66:67], v[14:15]
	s_load_b64 s[0:1], s[64:65], 0x0
	s_add_co_i32 s35, s35, -1
	s_add_nc_u64 s[62:63], s[62:63], -8
	s_cmp_eq_u32 s35, 0
	s_wait_xcnt 0x0
	s_add_nc_u64 s[64:65], s[64:65], -8
	s_delay_alu instid0(VALU_DEP_1) | instskip(SKIP_1) | instid1(VALU_DEP_1)
	v_sub_nc_u64_e32 v[8:9], v[8:9], v[16:17]
	s_wait_kmcnt 0x0
	v_mad_nc_u64_u32 v[4:5], v8, s0, v[4:5]
	s_delay_alu instid0(VALU_DEP_1) | instskip(NEXT) | instid1(VALU_DEP_1)
	v_mad_u32 v1, v9, s0, v5
	v_mad_u32 v5, v8, s1, v1
	v_mov_b64_e32 v[8:9], v[14:15]
	s_cbranch_scc1 .LBB127_2851
.LBB127_2846:                           ; =>This Inner Loop Header: Depth=1
	s_load_b64 s[66:67], s[62:63], 0x0
                                        ; implicit-def: $vgpr14_vgpr15
	s_mov_b32 s0, exec_lo
	s_wait_kmcnt 0x0
	s_delay_alu instid0(VALU_DEP_1) | instskip(NEXT) | instid1(VALU_DEP_1)
	v_or_b32_e32 v7, s67, v9
	v_cmpx_ne_u64_e32 0, v[6:7]
	s_xor_b32 s1, exec_lo, s0
	s_cbranch_execz .LBB127_2848
; %bb.2847:                             ;   in Loop: Header=BB127_2846 Depth=1
	s_mov_b32 s9, s68
	s_ashr_i32 s68, s67, 31
	s_mov_b32 s0, s69
	s_mov_b32 s69, s68
	s_mov_b64 s[4:5], s[40:41]
	s_add_nc_u64 s[36:37], s[66:67], s[68:69]
	s_mov_b64 s[6:7], s[42:43]
	s_xor_b64 s[70:71], s[36:37], s[68:69]
	s_mov_b32 s69, s0
	s_cvt_f32_u32 s0, s70
	s_cvt_f32_u32 s36, s71
	s_sub_nc_u64 s[38:39], 0, s[70:71]
	s_mov_b32 s8, s48
	v_dual_mov_b32 v19, v6 :: v_dual_ashrrev_i32 v14, 31, v9
	s_fmamk_f32 s0, s36, 0x4f800000, s0
	s_delay_alu instid0(VALU_DEP_1) | instskip(NEXT) | instid1(SALU_CYCLE_2)
	v_dual_mov_b32 v27, v6 :: v_dual_mov_b32 v15, v14
	v_s_rcp_f32 s0, s0
	s_delay_alu instid0(VALU_DEP_1) | instskip(SKIP_1) | instid1(TRANS32_DEP_1)
	v_add_nc_u64_e32 v[16:17], v[8:9], v[14:15]
	v_mov_b32_e32 v23, v6
	s_mul_f32 s0, s0, 0x5f7ffffc
	s_delay_alu instid0(VALU_DEP_2) | instskip(NEXT) | instid1(SALU_CYCLE_2)
	v_xor_b32_e32 v18, v16, v14
	s_mul_f32 s36, s0, 0x2f800000
	s_delay_alu instid0(VALU_DEP_3) | instskip(NEXT) | instid1(SALU_CYCLE_2)
	v_xor_b32_e32 v22, v17, v14
	s_trunc_f32 s36, s36
	s_delay_alu instid0(SALU_CYCLE_3) | instskip(SKIP_1) | instid1(SALU_CYCLE_2)
	s_fmamk_f32 s0, s36, 0xcf800000, s0
	s_cvt_u32_f32 s37, s36
	s_cvt_u32_f32 s36, s0
	s_delay_alu instid0(SALU_CYCLE_3) | instskip(NEXT) | instid1(SALU_CYCLE_1)
	s_mul_u64 s[40:41], s[38:39], s[36:37]
	s_mul_hi_u32 s43, s36, s41
	s_mul_i32 s42, s36, s41
	s_mul_hi_u32 s58, s36, s40
	s_mul_i32 s48, s37, s40
	s_add_nc_u64 s[42:43], s[58:59], s[42:43]
	s_mul_hi_u32 s0, s37, s40
	s_mul_hi_u32 s49, s37, s41
	s_mul_i32 s40, s37, s41
	s_add_co_u32 s41, s42, s48
	s_add_co_ci_u32 s58, s43, s0
	s_add_co_ci_u32 s41, s49, 0
	s_mov_b32 s48, s8
	s_add_nc_u64 s[40:41], s[58:59], s[40:41]
	s_delay_alu instid0(SALU_CYCLE_1) | instskip(SKIP_1) | instid1(SALU_CYCLE_1)
	s_add_co_u32 s36, s36, s40
	s_cselect_b32 s0, -1, 0
	s_cmp_lg_u32 s0, 0
	s_add_co_ci_u32 s37, s37, s41
	s_delay_alu instid0(SALU_CYCLE_1) | instskip(NEXT) | instid1(SALU_CYCLE_1)
	s_mul_u64 s[38:39], s[38:39], s[36:37]
	s_mul_hi_u32 s41, s36, s39
	s_mul_i32 s40, s36, s39
	s_mul_hi_u32 s58, s36, s38
	s_mul_i32 s42, s37, s38
	s_add_nc_u64 s[40:41], s[58:59], s[40:41]
	s_mul_hi_u32 s0, s37, s38
	s_mul_hi_u32 s43, s37, s39
	s_mul_i32 s38, s37, s39
	s_add_co_u32 s39, s40, s42
	s_add_co_ci_u32 s58, s41, s0
	s_add_co_ci_u32 s39, s43, 0
	s_mov_b64 s[42:43], s[6:7]
	s_add_nc_u64 s[38:39], s[58:59], s[38:39]
	s_mov_b64 s[40:41], s[4:5]
	s_add_co_u32 s0, s36, s38
	s_cselect_b32 s36, -1, 0
	v_mul_hi_u32 v26, v18, s0
	s_cmp_lg_u32 s36, 0
	s_add_co_ci_u32 s58, s37, s39
	s_and_b64 s[36:37], s[0:1], s[60:61]
	v_mul_u64_e32 v[20:21], s[58:59], v[18:19]
	v_mul_u64_e32 v[16:17], s[36:37], v[22:23]
	;; [unrolled: 1-line block ×3, first 2 shown]
	s_delay_alu instid0(VALU_DEP_3) | instskip(NEXT) | instid1(VALU_DEP_1)
	v_add_nc_u64_e32 v[20:21], v[26:27], v[20:21]
	v_add_co_u32 v1, vcc_lo, v20, v16
	s_delay_alu instid0(VALU_DEP_2) | instskip(NEXT) | instid1(VALU_DEP_4)
	v_add_co_ci_u32_e32 v26, vcc_lo, v21, v17, vcc_lo
	v_add_co_ci_u32_e32 v25, vcc_lo, 0, v25, vcc_lo
	s_delay_alu instid0(VALU_DEP_1) | instskip(NEXT) | instid1(VALU_DEP_1)
	v_add_nc_u64_e32 v[16:17], v[26:27], v[24:25]
	v_mul_u64_e32 v[20:21], s[70:71], v[16:17]
	s_delay_alu instid0(VALU_DEP_1) | instskip(NEXT) | instid1(VALU_DEP_2)
	v_sub_nc_u32_e32 v1, v22, v21
	v_sub_co_u32 v3, vcc_lo, v18, v20
	s_delay_alu instid0(VALU_DEP_1) | instskip(NEXT) | instid1(VALU_DEP_3)
	v_sub_co_ci_u32_e64 v15, null, v22, v21, vcc_lo
	v_subrev_co_ci_u32_e64 v1, null, s71, v1, vcc_lo
	s_delay_alu instid0(VALU_DEP_3) | instskip(SKIP_1) | instid1(VALU_DEP_3)
	v_sub_co_u32 v7, s0, v3, s70
	v_add_nc_u64_e32 v[20:21], 1, v[16:17]
	v_subrev_co_ci_u32_e64 v1, null, 0, v1, s0
	s_delay_alu instid0(VALU_DEP_3) | instskip(SKIP_1) | instid1(VALU_DEP_3)
	v_cmp_le_u32_e32 vcc_lo, s70, v7
	v_cndmask_b32_e64 v7, 0, -1, vcc_lo
	v_cmp_le_u32_e32 vcc_lo, s71, v1
	v_cndmask_b32_e64 v18, 0, -1, vcc_lo
	v_cmp_le_u32_e32 vcc_lo, s70, v3
	v_cndmask_b32_e64 v3, 0, -1, vcc_lo
	v_cmp_le_u32_e32 vcc_lo, s71, v15
	v_cndmask_b32_e64 v22, 0, -1, vcc_lo
	v_cmp_eq_u32_e32 vcc_lo, s71, v1
	v_cndmask_b32_e32 v1, v18, v7, vcc_lo
	v_cmp_eq_u32_e32 vcc_lo, s71, v15
	v_add_nc_u64_e32 v[18:19], 2, v[16:17]
	v_cndmask_b32_e32 v3, v22, v3, vcc_lo
	s_delay_alu instid0(VALU_DEP_4) | instskip(NEXT) | instid1(VALU_DEP_2)
	v_cmp_ne_u32_e32 vcc_lo, 0, v1
	v_cmp_ne_u32_e64 s0, 0, v3
	s_delay_alu instid0(VALU_DEP_4) | instskip(SKIP_2) | instid1(VALU_DEP_2)
	v_dual_cndmask_b32 v1, v21, v19, vcc_lo :: v_dual_cndmask_b32 v3, v20, v18, vcc_lo
	v_xor_b32_e32 v14, s68, v14
	s_mov_b32 s68, s9
	v_dual_cndmask_b32 v1, v17, v1, s0 :: v_dual_cndmask_b32 v3, v16, v3, s0
	s_delay_alu instid0(VALU_DEP_1) | instskip(NEXT) | instid1(VALU_DEP_2)
	v_dual_mov_b32 v15, v14 :: v_dual_bitop2_b32 v17, v1, v14 bitop3:0x14
	v_xor_b32_e32 v16, v3, v14
	s_delay_alu instid0(VALU_DEP_1)
	v_sub_nc_u64_e32 v[14:15], v[16:17], v[14:15]
.LBB127_2848:                           ;   in Loop: Header=BB127_2846 Depth=1
	s_and_not1_saveexec_b32 s0, s1
	s_cbranch_execz .LBB127_2845
; %bb.2849:                             ;   in Loop: Header=BB127_2846 Depth=1
	v_cvt_f32_u32_e32 v1, s66
	s_sub_co_i32 s1, 0, s66
	v_mov_b32_e32 v15, v6
	s_delay_alu instid0(VALU_DEP_2) | instskip(SKIP_1) | instid1(TRANS32_DEP_1)
	v_rcp_iflag_f32_e32 v1, v1
	v_nop
	v_mul_f32_e32 v1, 0x4f7ffffe, v1
	s_delay_alu instid0(VALU_DEP_1) | instskip(NEXT) | instid1(VALU_DEP_1)
	v_cvt_u32_f32_e32 v1, v1
	v_mul_lo_u32 v3, s1, v1
	s_delay_alu instid0(VALU_DEP_1) | instskip(NEXT) | instid1(VALU_DEP_1)
	v_mul_hi_u32 v3, v1, v3
	v_add_nc_u32_e32 v1, v1, v3
	s_delay_alu instid0(VALU_DEP_1) | instskip(NEXT) | instid1(VALU_DEP_1)
	v_mul_hi_u32 v1, v8, v1
	v_mul_lo_u32 v3, v1, s66
	s_delay_alu instid0(VALU_DEP_1) | instskip(NEXT) | instid1(VALU_DEP_1)
	v_sub_nc_u32_e32 v3, v8, v3
	v_subrev_nc_u32_e32 v14, s66, v3
	v_cmp_le_u32_e32 vcc_lo, s66, v3
	s_delay_alu instid0(VALU_DEP_2) | instskip(NEXT) | instid1(VALU_DEP_1)
	v_dual_add_nc_u32 v7, 1, v1 :: v_dual_cndmask_b32 v3, v3, v14, vcc_lo
	v_cndmask_b32_e32 v1, v1, v7, vcc_lo
	s_delay_alu instid0(VALU_DEP_2) | instskip(NEXT) | instid1(VALU_DEP_2)
	v_cmp_le_u32_e32 vcc_lo, s66, v3
	v_add_nc_u32_e32 v7, 1, v1
	s_delay_alu instid0(VALU_DEP_1)
	v_cndmask_b32_e32 v14, v1, v7, vcc_lo
	s_branch .LBB127_2845
.LBB127_2850:
	s_mov_b32 s0, 0
	s_mov_b32 s1, 0
	;; [unrolled: 1-line block ×6, first 2 shown]
	s_branch .LBB127_521
.LBB127_2851:
	s_mov_b32 s59, -1
	s_mov_b32 s1, 0
	s_mov_b32 s0, 0
	s_mov_b32 s35, exec_lo
	v_cmpx_gt_i64_e64 v[10:11], v[12:13]
	s_cbranch_execz .LBB127_2857
; %bb.2852:
	s_delay_alu instid0(VALU_DEP_2) | instskip(SKIP_1) | instid1(VALU_DEP_1)
	v_lshlrev_b64_e32 v[4:5], 3, v[4:5]
	s_xor_b32 s59, s69, -1
                                        ; implicit-def: $sgpr58
                                        ; implicit-def: $sgpr61
                                        ; implicit-def: $sgpr60
	v_lshl_add_u64 v[6:7], v[12:13], 3, v[4:5]
	v_add_nc_u64_e32 v[8:9], s[28:29], v[4:5]
	s_delay_alu instid0(VALU_DEP_2) | instskip(NEXT) | instid1(VALU_DEP_1)
	v_add_nc_u64_e32 v[6:7], s[28:29], v[6:7]
	v_add_nc_u64_e32 v[4:5], 8, v[6:7]
	s_delay_alu instid0(VALU_DEP_3)
	v_lshl_add_u64 v[6:7], v[10:11], 3, v[8:9]
	s_branch .LBB127_2854
.LBB127_2853:                           ;   in Loop: Header=BB127_2854 Depth=1
	s_or_b32 exec_lo, exec_lo, s62
	s_delay_alu instid0(SALU_CYCLE_1) | instskip(NEXT) | instid1(SALU_CYCLE_1)
	s_and_b32 s36, exec_lo, s61
	s_or_b32 s0, s36, s0
	s_and_not1_b32 s36, s58, exec_lo
	s_and_b32 s37, s60, exec_lo
	s_delay_alu instid0(SALU_CYCLE_1)
	s_or_b32 s58, s36, s37
	s_and_not1_b32 exec_lo, exec_lo, s0
	s_cbranch_execz .LBB127_2856
.LBB127_2854:                           ; =>This Inner Loop Header: Depth=1
	s_or_b32 s60, s60, exec_lo
	s_or_b32 s61, s61, exec_lo
	s_mov_b32 s62, exec_lo
	s_delay_alu instid0(VALU_DEP_2)
	v_cmpx_lt_u64_e64 v[4:5], v[6:7]
	s_cbranch_execz .LBB127_2853
; %bb.2855:                             ;   in Loop: Header=BB127_2854 Depth=1
	global_load_b128 v[8:11], v[4:5], off offset:-8
	s_wait_xcnt 0x0
	v_add_nc_u64_e32 v[4:5], 8, v[4:5]
	s_and_not1_b32 s37, s61, exec_lo
	s_and_not1_b32 s60, s60, exec_lo
	s_wait_loadcnt 0x0
	v_cmp_ge_i64_e32 vcc_lo, v[8:9], v[10:11]
	s_or_b32 s36, s59, vcc_lo
	s_delay_alu instid0(SALU_CYCLE_1) | instskip(NEXT) | instid1(SALU_CYCLE_1)
	s_and_b32 s36, s36, exec_lo
	s_or_b32 s61, s37, s36
	s_branch .LBB127_2853
.LBB127_2856:
	s_or_b32 exec_lo, exec_lo, s0
	s_delay_alu instid0(SALU_CYCLE_1)
	s_mov_b32 s0, exec_lo
	s_or_not1_b32 s59, s58, exec_lo
.LBB127_2857:
	s_or_b32 exec_lo, exec_lo, s35
	s_mov_b32 s58, 0
	s_and_saveexec_b32 s35, s59
	s_cbranch_execz .LBB127_3462
; %bb.2858:
	s_load_b512 s[4:19], s[2:3], 0x248
	v_mov_b32_e32 v3, 0
	s_and_b32 s59, s30, 0xff
	s_delay_alu instid0(SALU_CYCLE_1) | instskip(SKIP_1) | instid1(VALU_DEP_1)
	s_cmp_lt_i32 s59, 11
	s_wait_kmcnt 0x0
	v_add_nc_u64_e32 v[2:3], s[4:5], v[2:3]
	s_cbranch_scc1 .LBB127_2865
; %bb.2859:
	s_and_b32 s60, 0xffff, s59
	s_delay_alu instid0(SALU_CYCLE_1)
	s_cmp_gt_i32 s60, 25
	s_cbranch_scc0 .LBB127_2866
; %bb.2860:
	s_cmp_gt_i32 s60, 28
	s_cbranch_scc0 .LBB127_2867
; %bb.2861:
	;; [unrolled: 3-line block ×3, first 2 shown]
	s_mov_b32 s7, s79
	s_mov_b32 s79, s53
	;; [unrolled: 1-line block ×5, first 2 shown]
	s_cmp_gt_i32 s60, 45
	s_cbranch_scc0 .LBB127_3379
; %bb.2863:
	s_mov_b32 s1, 0
	s_mov_b32 s58, -1
	s_cmp_eq_u32 s60, 46
	s_mov_b32 s61, 0
	s_cbranch_scc0 .LBB127_3380
; %bb.2864:
	v_mov_b32_e32 v1, 0
	s_mov_b32 s61, -1
	s_mov_b32 s58, 0
	global_store_b32 v[2:3], v1, off
	s_branch .LBB127_3380
.LBB127_2865:
	s_mov_b32 s1, -1
	s_mov_b32 s61, 0
	s_branch .LBB127_3419
.LBB127_2866:
	s_mov_b32 s1, -1
	s_mov_b32 s61, 0
	s_branch .LBB127_3399
.LBB127_2867:
	s_mov_b32 s1, -1
	s_mov_b32 s61, 0
	s_branch .LBB127_3388
.LBB127_2868:
	s_mov_b32 s47, -1
                                        ; implicit-def: $vgpr10_vgpr11
.LBB127_2869:
	s_mov_b32 s1, 0
.LBB127_2870:
	s_delay_alu instid0(SALU_CYCLE_1)
	s_and_b32 vcc_lo, exec_lo, s1
	s_cbranch_vccz .LBB127_2874
; %bb.2871:
	s_cmp_eq_u32 s35, 29
	s_cbranch_scc0 .LBB127_2873
; %bb.2872:
	global_load_b64 v[10:11], v[14:15], off
	s_mov_b32 s58, -1
	s_mov_b32 s47, 0
	s_branch .LBB127_2874
.LBB127_2873:
	s_mov_b32 s47, -1
                                        ; implicit-def: $vgpr10_vgpr11
.LBB127_2874:
	s_mov_b32 s1, 0
.LBB127_2875:
	s_delay_alu instid0(SALU_CYCLE_1)
	s_and_b32 vcc_lo, exec_lo, s1
	s_cbranch_vccz .LBB127_2891
; %bb.2876:
	s_cmp_lt_i32 s35, 27
	s_cbranch_scc1 .LBB127_2879
; %bb.2877:
	s_cmp_gt_i32 s35, 27
	s_cbranch_scc0 .LBB127_2880
; %bb.2878:
	s_wait_loadcnt 0x0
	global_load_b32 v10, v[14:15], off
	v_mov_b32_e32 v11, 0
	s_mov_b32 s1, 0
	s_branch .LBB127_2881
.LBB127_2879:
	s_mov_b32 s1, -1
                                        ; implicit-def: $vgpr10_vgpr11
	s_branch .LBB127_2884
.LBB127_2880:
	s_mov_b32 s1, -1
                                        ; implicit-def: $vgpr10_vgpr11
.LBB127_2881:
	s_delay_alu instid0(SALU_CYCLE_1)
	s_and_not1_b32 vcc_lo, exec_lo, s1
	s_cbranch_vccnz .LBB127_2883
; %bb.2882:
	global_load_u16 v1, v[14:15], off
	s_mov_b32 s1, 0
	s_wait_loadcnt 0x1
	v_mov_b32_e32 v11, s1
	s_wait_loadcnt 0x0
	v_and_b32_e32 v10, 0xffff, v1
.LBB127_2883:
	s_mov_b32 s1, 0
.LBB127_2884:
	s_delay_alu instid0(SALU_CYCLE_1)
	s_and_not1_b32 vcc_lo, exec_lo, s1
	s_cbranch_vccnz .LBB127_2890
; %bb.2885:
	global_load_u8 v1, v[14:15], off
	s_mov_b32 s58, 0
	s_mov_b32 s1, exec_lo
	s_wait_loadcnt 0x0
	v_cmpx_lt_i16_e32 0x7f, v1
	s_xor_b32 s1, exec_lo, s1
	s_cbranch_execz .LBB127_2902
; %bb.2886:
	v_cmp_ne_u16_e32 vcc_lo, 0x80, v1
	s_and_b32 s58, vcc_lo, exec_lo
	s_and_not1_saveexec_b32 s1, s1
	s_cbranch_execnz .LBB127_2903
.LBB127_2887:
	s_or_b32 exec_lo, exec_lo, s1
	v_mov_b64_e32 v[10:11], 0
	s_and_saveexec_b32 s1, s58
	s_cbranch_execz .LBB127_2889
.LBB127_2888:
	v_and_b32_e32 v3, 0xffff, v1
	s_delay_alu instid0(VALU_DEP_1) | instskip(SKIP_1) | instid1(VALU_DEP_2)
	v_and_b32_e32 v7, 7, v3
	v_bfe_u32 v16, v3, 3, 4
	v_clz_i32_u32_e32 v10, v7
	s_delay_alu instid0(VALU_DEP_2) | instskip(NEXT) | instid1(VALU_DEP_2)
	v_cmp_eq_u32_e32 vcc_lo, 0, v16
	v_min_u32_e32 v10, 32, v10
	s_delay_alu instid0(VALU_DEP_1) | instskip(NEXT) | instid1(VALU_DEP_1)
	v_subrev_nc_u32_e32 v11, 28, v10
	v_dual_lshlrev_b32 v3, v11, v3 :: v_dual_sub_nc_u32 v10, 29, v10
	s_delay_alu instid0(VALU_DEP_1) | instskip(NEXT) | instid1(VALU_DEP_1)
	v_dual_lshlrev_b32 v1, 24, v1 :: v_dual_bitop2_b32 v3, 7, v3 bitop3:0x40
	v_dual_cndmask_b32 v10, v16, v10 :: v_dual_cndmask_b32 v3, v7, v3
	s_delay_alu instid0(VALU_DEP_2) | instskip(NEXT) | instid1(VALU_DEP_2)
	v_and_b32_e32 v1, 0x80000000, v1
	v_lshl_add_u32 v7, v10, 23, 0x3b800000
	s_delay_alu instid0(VALU_DEP_3) | instskip(NEXT) | instid1(VALU_DEP_1)
	v_lshlrev_b32_e32 v3, 20, v3
	v_or3_b32 v1, v1, v7, v3
	s_delay_alu instid0(VALU_DEP_1) | instskip(NEXT) | instid1(VALU_DEP_1)
	v_trunc_f32_e32 v1, v1
	v_mul_f32_e64 v3, 0x2f800000, |v1|
	v_ashrrev_i32_e32 v10, 31, v1
	s_delay_alu instid0(VALU_DEP_2) | instskip(NEXT) | instid1(VALU_DEP_2)
	v_floor_f32_e32 v3, v3
	v_mov_b32_e32 v11, v10
	s_delay_alu instid0(VALU_DEP_2) | instskip(SKIP_1) | instid1(VALU_DEP_2)
	v_fma_f32 v7, 0xcf800000, v3, |v1|
	v_cvt_u32_f32_e32 v1, v3
	v_cvt_u32_f32_e32 v3, v7
	s_delay_alu instid0(VALU_DEP_2) | instskip(NEXT) | instid1(VALU_DEP_2)
	v_xor_b32_e32 v17, v1, v10
	v_xor_b32_e32 v16, v3, v10
	s_delay_alu instid0(VALU_DEP_1)
	v_sub_nc_u64_e32 v[10:11], v[16:17], v[10:11]
.LBB127_2889:
	s_or_b32 exec_lo, exec_lo, s1
.LBB127_2890:
	s_mov_b32 s58, -1
.LBB127_2891:
	s_mov_b32 s1, 0
.LBB127_2892:
	s_delay_alu instid0(SALU_CYCLE_1)
	s_and_b32 vcc_lo, exec_lo, s1
	s_cbranch_vccz .LBB127_2925
; %bb.2893:
	s_cmp_gt_i32 s35, 22
	s_cbranch_scc0 .LBB127_2901
; %bb.2894:
	s_cmp_lt_i32 s35, 24
	s_cbranch_scc1 .LBB127_2904
; %bb.2895:
	s_cmp_gt_i32 s35, 24
	s_cbranch_scc0 .LBB127_2905
; %bb.2896:
	global_load_u8 v1, v[14:15], off
	s_mov_b32 s58, 0
	s_mov_b32 s1, exec_lo
	s_wait_loadcnt 0x0
	v_cmpx_lt_i16_e32 0x7f, v1
	s_xor_b32 s1, exec_lo, s1
	s_cbranch_execz .LBB127_2917
; %bb.2897:
	v_cmp_ne_u16_e32 vcc_lo, 0x80, v1
	s_and_b32 s58, vcc_lo, exec_lo
	s_and_not1_saveexec_b32 s1, s1
	s_cbranch_execnz .LBB127_2918
.LBB127_2898:
	s_or_b32 exec_lo, exec_lo, s1
	v_mov_b64_e32 v[10:11], 0
	s_and_saveexec_b32 s1, s58
	s_cbranch_execz .LBB127_2900
.LBB127_2899:
	v_and_b32_e32 v3, 0xffff, v1
	s_delay_alu instid0(VALU_DEP_1) | instskip(SKIP_1) | instid1(VALU_DEP_2)
	v_and_b32_e32 v7, 3, v3
	v_bfe_u32 v16, v3, 2, 5
	v_clz_i32_u32_e32 v10, v7
	s_delay_alu instid0(VALU_DEP_2) | instskip(NEXT) | instid1(VALU_DEP_2)
	v_cmp_eq_u32_e32 vcc_lo, 0, v16
	v_min_u32_e32 v10, 32, v10
	s_delay_alu instid0(VALU_DEP_1) | instskip(NEXT) | instid1(VALU_DEP_1)
	v_subrev_nc_u32_e32 v11, 29, v10
	v_dual_lshlrev_b32 v3, v11, v3 :: v_dual_sub_nc_u32 v10, 30, v10
	s_delay_alu instid0(VALU_DEP_1) | instskip(NEXT) | instid1(VALU_DEP_1)
	v_dual_lshlrev_b32 v1, 24, v1 :: v_dual_bitop2_b32 v3, 3, v3 bitop3:0x40
	v_dual_cndmask_b32 v10, v16, v10 :: v_dual_cndmask_b32 v3, v7, v3
	s_delay_alu instid0(VALU_DEP_2) | instskip(NEXT) | instid1(VALU_DEP_2)
	v_and_b32_e32 v1, 0x80000000, v1
	v_lshl_add_u32 v7, v10, 23, 0x37800000
	s_delay_alu instid0(VALU_DEP_3) | instskip(NEXT) | instid1(VALU_DEP_1)
	v_lshlrev_b32_e32 v3, 21, v3
	v_or3_b32 v1, v1, v7, v3
	s_delay_alu instid0(VALU_DEP_1) | instskip(NEXT) | instid1(VALU_DEP_1)
	v_trunc_f32_e32 v1, v1
	v_mul_f32_e64 v3, 0x2f800000, |v1|
	v_ashrrev_i32_e32 v10, 31, v1
	s_delay_alu instid0(VALU_DEP_2) | instskip(NEXT) | instid1(VALU_DEP_2)
	v_floor_f32_e32 v3, v3
	v_mov_b32_e32 v11, v10
	s_delay_alu instid0(VALU_DEP_2) | instskip(SKIP_1) | instid1(VALU_DEP_2)
	v_fma_f32 v7, 0xcf800000, v3, |v1|
	v_cvt_u32_f32_e32 v1, v3
	v_cvt_u32_f32_e32 v3, v7
	s_delay_alu instid0(VALU_DEP_2) | instskip(NEXT) | instid1(VALU_DEP_2)
	v_xor_b32_e32 v17, v1, v10
	v_xor_b32_e32 v16, v3, v10
	s_delay_alu instid0(VALU_DEP_1)
	v_sub_nc_u64_e32 v[10:11], v[16:17], v[10:11]
.LBB127_2900:
	s_or_b32 exec_lo, exec_lo, s1
	s_mov_b32 s1, 0
	s_branch .LBB127_2906
.LBB127_2901:
	s_mov_b32 s1, -1
                                        ; implicit-def: $vgpr10_vgpr11
	s_branch .LBB127_2912
.LBB127_2902:
	s_and_not1_saveexec_b32 s1, s1
	s_cbranch_execz .LBB127_2887
.LBB127_2903:
	v_cmp_ne_u16_e32 vcc_lo, 0, v1
	s_and_not1_b32 s36, s58, exec_lo
	s_and_b32 s37, vcc_lo, exec_lo
	s_delay_alu instid0(SALU_CYCLE_1)
	s_or_b32 s58, s36, s37
	s_or_b32 exec_lo, exec_lo, s1
	v_mov_b64_e32 v[10:11], 0
	s_and_saveexec_b32 s1, s58
	s_cbranch_execnz .LBB127_2888
	s_branch .LBB127_2889
.LBB127_2904:
	s_mov_b32 s1, -1
                                        ; implicit-def: $vgpr10_vgpr11
	s_branch .LBB127_2909
.LBB127_2905:
	s_mov_b32 s1, -1
                                        ; implicit-def: $vgpr10_vgpr11
.LBB127_2906:
	s_delay_alu instid0(SALU_CYCLE_1)
	s_and_b32 vcc_lo, exec_lo, s1
	s_cbranch_vccz .LBB127_2908
; %bb.2907:
	global_load_u8 v1, v[14:15], off
	s_wait_loadcnt 0x0
	v_lshlrev_b32_e32 v1, 24, v1
	s_delay_alu instid0(VALU_DEP_1) | instskip(NEXT) | instid1(VALU_DEP_1)
	v_and_b32_e32 v3, 0x7f000000, v1
	v_clz_i32_u32_e32 v7, v3
	v_add_nc_u32_e32 v11, 0x1000000, v3
	v_cmp_ne_u32_e32 vcc_lo, 0, v3
	s_delay_alu instid0(VALU_DEP_3) | instskip(NEXT) | instid1(VALU_DEP_1)
	v_min_u32_e32 v7, 32, v7
	v_sub_nc_u32_e64 v7, v7, 4 clamp
	s_delay_alu instid0(VALU_DEP_1) | instskip(NEXT) | instid1(VALU_DEP_1)
	v_lshlrev_b32_e32 v10, v7, v3
	v_dual_lshlrev_b32 v7, 23, v7 :: v_dual_lshrrev_b32 v10, 4, v10
	s_delay_alu instid0(VALU_DEP_1) | instskip(SKIP_1) | instid1(VALU_DEP_2)
	v_sub_nc_u32_e32 v7, v10, v7
	v_ashrrev_i32_e32 v10, 8, v11
	v_add_nc_u32_e32 v7, 0x3c000000, v7
	s_delay_alu instid0(VALU_DEP_1) | instskip(NEXT) | instid1(VALU_DEP_1)
	v_and_or_b32 v7, 0x7f800000, v10, v7
	v_cndmask_b32_e32 v3, 0, v7, vcc_lo
	s_delay_alu instid0(VALU_DEP_1) | instskip(NEXT) | instid1(VALU_DEP_1)
	v_and_or_b32 v1, 0x80000000, v1, v3
	v_trunc_f32_e32 v1, v1
	s_delay_alu instid0(VALU_DEP_1) | instskip(SKIP_1) | instid1(VALU_DEP_2)
	v_mul_f32_e64 v3, 0x2f800000, |v1|
	v_ashrrev_i32_e32 v10, 31, v1
	v_floor_f32_e32 v3, v3
	s_delay_alu instid0(VALU_DEP_2) | instskip(NEXT) | instid1(VALU_DEP_2)
	v_mov_b32_e32 v11, v10
	v_fma_f32 v7, 0xcf800000, v3, |v1|
	v_cvt_u32_f32_e32 v1, v3
	s_delay_alu instid0(VALU_DEP_2) | instskip(NEXT) | instid1(VALU_DEP_2)
	v_cvt_u32_f32_e32 v3, v7
	v_xor_b32_e32 v17, v1, v10
	s_delay_alu instid0(VALU_DEP_2) | instskip(NEXT) | instid1(VALU_DEP_1)
	v_xor_b32_e32 v16, v3, v10
	v_sub_nc_u64_e32 v[10:11], v[16:17], v[10:11]
.LBB127_2908:
	s_mov_b32 s1, 0
.LBB127_2909:
	s_delay_alu instid0(SALU_CYCLE_1)
	s_and_not1_b32 vcc_lo, exec_lo, s1
	s_cbranch_vccnz .LBB127_2911
; %bb.2910:
	global_load_u8 v1, v[14:15], off
	s_wait_loadcnt 0x0
	v_lshlrev_b32_e32 v3, 25, v1
	v_lshlrev_b16 v1, 8, v1
	s_delay_alu instid0(VALU_DEP_1) | instskip(SKIP_1) | instid1(VALU_DEP_2)
	v_and_or_b32 v10, 0x7f00, v1, 0.5
	v_bfe_i32 v1, v1, 0, 16
	v_dual_add_f32 v10, -0.5, v10 :: v_dual_lshrrev_b32 v7, 4, v3
	v_cmp_gt_u32_e32 vcc_lo, 0x8000000, v3
	s_delay_alu instid0(VALU_DEP_2) | instskip(NEXT) | instid1(VALU_DEP_1)
	v_or_b32_e32 v7, 0x70000000, v7
	v_mul_f32_e32 v7, 0x7800000, v7
	s_delay_alu instid0(VALU_DEP_1) | instskip(NEXT) | instid1(VALU_DEP_1)
	v_cndmask_b32_e32 v3, v7, v10, vcc_lo
	v_and_or_b32 v1, 0x80000000, v1, v3
	s_delay_alu instid0(VALU_DEP_1) | instskip(NEXT) | instid1(VALU_DEP_1)
	v_trunc_f32_e32 v1, v1
	v_mul_f32_e64 v3, 0x2f800000, |v1|
	v_ashrrev_i32_e32 v10, 31, v1
	s_delay_alu instid0(VALU_DEP_2) | instskip(NEXT) | instid1(VALU_DEP_2)
	v_floor_f32_e32 v3, v3
	v_mov_b32_e32 v11, v10
	s_delay_alu instid0(VALU_DEP_2) | instskip(SKIP_1) | instid1(VALU_DEP_2)
	v_fma_f32 v7, 0xcf800000, v3, |v1|
	v_cvt_u32_f32_e32 v1, v3
	v_cvt_u32_f32_e32 v3, v7
	s_delay_alu instid0(VALU_DEP_2) | instskip(NEXT) | instid1(VALU_DEP_2)
	v_xor_b32_e32 v17, v1, v10
	v_xor_b32_e32 v16, v3, v10
	s_delay_alu instid0(VALU_DEP_1)
	v_sub_nc_u64_e32 v[10:11], v[16:17], v[10:11]
.LBB127_2911:
	s_mov_b32 s1, 0
	s_mov_b32 s58, -1
.LBB127_2912:
	s_and_not1_b32 vcc_lo, exec_lo, s1
	s_cbranch_vccnz .LBB127_2925
; %bb.2913:
	s_cmp_gt_i32 s35, 14
	s_cbranch_scc0 .LBB127_2916
; %bb.2914:
	s_cmp_eq_u32 s35, 15
	s_cbranch_scc0 .LBB127_2919
; %bb.2915:
	global_load_u16 v1, v[14:15], off
	s_mov_b32 s58, -1
	s_mov_b32 s47, 0
	s_wait_loadcnt 0x0
	v_lshlrev_b32_e32 v1, 16, v1
	s_delay_alu instid0(VALU_DEP_1) | instskip(NEXT) | instid1(VALU_DEP_1)
	v_trunc_f32_e32 v1, v1
	v_mul_f32_e64 v3, 0x2f800000, |v1|
	v_ashrrev_i32_e32 v10, 31, v1
	s_delay_alu instid0(VALU_DEP_2) | instskip(NEXT) | instid1(VALU_DEP_2)
	v_floor_f32_e32 v3, v3
	v_mov_b32_e32 v11, v10
	s_delay_alu instid0(VALU_DEP_2) | instskip(SKIP_1) | instid1(VALU_DEP_2)
	v_fma_f32 v7, 0xcf800000, v3, |v1|
	v_cvt_u32_f32_e32 v1, v3
	v_cvt_u32_f32_e32 v3, v7
	s_delay_alu instid0(VALU_DEP_2) | instskip(NEXT) | instid1(VALU_DEP_2)
	v_xor_b32_e32 v17, v1, v10
	v_xor_b32_e32 v16, v3, v10
	s_delay_alu instid0(VALU_DEP_1)
	v_sub_nc_u64_e32 v[10:11], v[16:17], v[10:11]
	s_branch .LBB127_2920
.LBB127_2916:
	s_mov_b32 s1, -1
                                        ; implicit-def: $vgpr10_vgpr11
	s_branch .LBB127_2921
.LBB127_2917:
	s_and_not1_saveexec_b32 s1, s1
	s_cbranch_execz .LBB127_2898
.LBB127_2918:
	v_cmp_ne_u16_e32 vcc_lo, 0, v1
	s_and_not1_b32 s36, s58, exec_lo
	s_and_b32 s37, vcc_lo, exec_lo
	s_delay_alu instid0(SALU_CYCLE_1)
	s_or_b32 s58, s36, s37
	s_or_b32 exec_lo, exec_lo, s1
	v_mov_b64_e32 v[10:11], 0
	s_and_saveexec_b32 s1, s58
	s_cbranch_execnz .LBB127_2899
	s_branch .LBB127_2900
.LBB127_2919:
	s_mov_b32 s47, -1
                                        ; implicit-def: $vgpr10_vgpr11
.LBB127_2920:
	s_mov_b32 s1, 0
.LBB127_2921:
	s_delay_alu instid0(SALU_CYCLE_1)
	s_and_b32 vcc_lo, exec_lo, s1
	s_cbranch_vccz .LBB127_2925
; %bb.2922:
	s_cmp_eq_u32 s35, 11
	s_cbranch_scc0 .LBB127_2924
; %bb.2923:
	global_load_u8 v1, v[14:15], off
	s_mov_b32 s47, 0
	s_mov_b32 s58, -1
	s_wait_loadcnt 0x1
	v_mov_b32_e32 v11, s47
	s_wait_loadcnt 0x0
	v_cmp_ne_u16_e32 vcc_lo, 0, v1
	v_cndmask_b32_e64 v10, 0, 1, vcc_lo
	s_branch .LBB127_2925
.LBB127_2924:
	s_mov_b32 s47, -1
                                        ; implicit-def: $vgpr10_vgpr11
.LBB127_2925:
	s_mov_b32 s1, 0
.LBB127_2926:
	s_delay_alu instid0(SALU_CYCLE_1)
	s_and_b32 vcc_lo, exec_lo, s1
	s_cbranch_vccz .LBB127_2975
; %bb.2927:
	s_and_b32 s0, 0xffff, s0
	s_delay_alu instid0(SALU_CYCLE_1)
	s_cmp_lt_i32 s0, 5
	s_cbranch_scc1 .LBB127_2932
; %bb.2928:
	s_cmp_lt_i32 s0, 8
	s_cbranch_scc1 .LBB127_2933
; %bb.2929:
	;; [unrolled: 3-line block ×3, first 2 shown]
	s_cmp_gt_i32 s0, 9
	s_cbranch_scc0 .LBB127_2935
; %bb.2931:
	s_wait_loadcnt 0x0
	global_load_b64 v[10:11], v[14:15], off
	s_mov_b32 s1, 0
	s_wait_loadcnt 0x0
	v_trunc_f64_e32 v[10:11], v[10:11]
	s_delay_alu instid0(VALU_DEP_1) | instskip(NEXT) | instid1(VALU_DEP_1)
	v_ldexp_f64 v[16:17], v[10:11], 0xffffffe0
	v_floor_f64_e32 v[16:17], v[16:17]
	s_delay_alu instid0(VALU_DEP_1) | instskip(SKIP_1) | instid1(VALU_DEP_2)
	v_fmamk_f64 v[18:19], v[16:17], 0xc1f00000, v[10:11]
	v_cvt_i32_f64_e32 v11, v[16:17]
	v_cvt_u32_f64_e32 v10, v[18:19]
	s_branch .LBB127_2936
.LBB127_2932:
	s_mov_b32 s1, -1
                                        ; implicit-def: $vgpr10_vgpr11
	s_branch .LBB127_2954
.LBB127_2933:
	s_mov_b32 s1, -1
                                        ; implicit-def: $vgpr10_vgpr11
	s_branch .LBB127_2942
.LBB127_2934:
	s_mov_b32 s1, -1
                                        ; implicit-def: $vgpr10_vgpr11
	s_branch .LBB127_2939
.LBB127_2935:
	s_mov_b32 s1, -1
                                        ; implicit-def: $vgpr10_vgpr11
.LBB127_2936:
	s_delay_alu instid0(SALU_CYCLE_1)
	s_and_not1_b32 vcc_lo, exec_lo, s1
	s_cbranch_vccnz .LBB127_2938
; %bb.2937:
	global_load_b32 v1, v[14:15], off
	s_wait_loadcnt 0x0
	v_trunc_f32_e32 v1, v1
	s_delay_alu instid0(VALU_DEP_1) | instskip(SKIP_1) | instid1(VALU_DEP_2)
	v_mul_f32_e64 v3, 0x2f800000, |v1|
	v_ashrrev_i32_e32 v10, 31, v1
	v_floor_f32_e32 v3, v3
	s_delay_alu instid0(VALU_DEP_1) | instskip(SKIP_1) | instid1(VALU_DEP_4)
	v_fma_f32 v7, 0xcf800000, v3, |v1|
	v_cvt_u32_f32_e32 v1, v3
	v_mov_b32_e32 v11, v10
	s_delay_alu instid0(VALU_DEP_3) | instskip(NEXT) | instid1(VALU_DEP_3)
	v_cvt_u32_f32_e32 v3, v7
	v_xor_b32_e32 v17, v1, v10
	s_delay_alu instid0(VALU_DEP_2) | instskip(NEXT) | instid1(VALU_DEP_1)
	v_xor_b32_e32 v16, v3, v10
	v_sub_nc_u64_e32 v[10:11], v[16:17], v[10:11]
.LBB127_2938:
	s_mov_b32 s1, 0
.LBB127_2939:
	s_delay_alu instid0(SALU_CYCLE_1)
	s_and_not1_b32 vcc_lo, exec_lo, s1
	s_cbranch_vccnz .LBB127_2941
; %bb.2940:
	global_load_b32 v1, v[14:15], off
	s_wait_loadcnt 0x0
	v_cvt_f32_f16_e32 v1, v1
	s_delay_alu instid0(VALU_DEP_1) | instskip(NEXT) | instid1(VALU_DEP_1)
	v_cvt_i32_f32_e32 v10, v1
	v_ashrrev_i32_e32 v11, 31, v10
.LBB127_2941:
	s_mov_b32 s1, 0
.LBB127_2942:
	s_delay_alu instid0(SALU_CYCLE_1)
	s_and_not1_b32 vcc_lo, exec_lo, s1
	s_cbranch_vccnz .LBB127_2953
; %bb.2943:
	s_cmp_lt_i32 s0, 6
	s_cbranch_scc1 .LBB127_2946
; %bb.2944:
	s_cmp_gt_i32 s0, 6
	s_cbranch_scc0 .LBB127_2947
; %bb.2945:
	s_wait_loadcnt 0x0
	global_load_b64 v[10:11], v[14:15], off
	s_mov_b32 s1, 0
	s_wait_loadcnt 0x0
	v_trunc_f64_e32 v[10:11], v[10:11]
	s_delay_alu instid0(VALU_DEP_1) | instskip(NEXT) | instid1(VALU_DEP_1)
	v_ldexp_f64 v[16:17], v[10:11], 0xffffffe0
	v_floor_f64_e32 v[16:17], v[16:17]
	s_delay_alu instid0(VALU_DEP_1) | instskip(SKIP_1) | instid1(VALU_DEP_2)
	v_fmamk_f64 v[18:19], v[16:17], 0xc1f00000, v[10:11]
	v_cvt_i32_f64_e32 v11, v[16:17]
	v_cvt_u32_f64_e32 v10, v[18:19]
	s_branch .LBB127_2948
.LBB127_2946:
	s_mov_b32 s1, -1
                                        ; implicit-def: $vgpr10_vgpr11
	s_branch .LBB127_2951
.LBB127_2947:
	s_mov_b32 s1, -1
                                        ; implicit-def: $vgpr10_vgpr11
.LBB127_2948:
	s_delay_alu instid0(SALU_CYCLE_1)
	s_and_not1_b32 vcc_lo, exec_lo, s1
	s_cbranch_vccnz .LBB127_2950
; %bb.2949:
	global_load_b32 v1, v[14:15], off
	s_wait_loadcnt 0x0
	v_trunc_f32_e32 v1, v1
	s_delay_alu instid0(VALU_DEP_1) | instskip(SKIP_1) | instid1(VALU_DEP_2)
	v_mul_f32_e64 v3, 0x2f800000, |v1|
	v_ashrrev_i32_e32 v10, 31, v1
	v_floor_f32_e32 v3, v3
	s_delay_alu instid0(VALU_DEP_1) | instskip(SKIP_1) | instid1(VALU_DEP_4)
	v_fma_f32 v7, 0xcf800000, v3, |v1|
	v_cvt_u32_f32_e32 v1, v3
	v_mov_b32_e32 v11, v10
	s_delay_alu instid0(VALU_DEP_3) | instskip(NEXT) | instid1(VALU_DEP_3)
	v_cvt_u32_f32_e32 v3, v7
	v_xor_b32_e32 v17, v1, v10
	s_delay_alu instid0(VALU_DEP_2) | instskip(NEXT) | instid1(VALU_DEP_1)
	v_xor_b32_e32 v16, v3, v10
	v_sub_nc_u64_e32 v[10:11], v[16:17], v[10:11]
.LBB127_2950:
	s_mov_b32 s1, 0
.LBB127_2951:
	s_delay_alu instid0(SALU_CYCLE_1)
	s_and_not1_b32 vcc_lo, exec_lo, s1
	s_cbranch_vccnz .LBB127_2953
; %bb.2952:
	global_load_u16 v1, v[14:15], off
	s_wait_loadcnt 0x0
	v_cvt_f32_f16_e32 v1, v1
	s_delay_alu instid0(VALU_DEP_1) | instskip(NEXT) | instid1(VALU_DEP_1)
	v_cvt_i32_f32_e32 v10, v1
	v_ashrrev_i32_e32 v11, 31, v10
.LBB127_2953:
	s_mov_b32 s1, 0
.LBB127_2954:
	s_delay_alu instid0(SALU_CYCLE_1)
	s_and_not1_b32 vcc_lo, exec_lo, s1
	s_cbranch_vccnz .LBB127_2974
; %bb.2955:
	s_cmp_lt_i32 s0, 2
	s_cbranch_scc1 .LBB127_2959
; %bb.2956:
	s_cmp_lt_i32 s0, 3
	s_cbranch_scc1 .LBB127_2960
; %bb.2957:
	s_cmp_gt_i32 s0, 3
	s_cbranch_scc0 .LBB127_2961
; %bb.2958:
	s_wait_loadcnt 0x0
	global_load_b64 v[10:11], v[14:15], off
	s_mov_b32 s1, 0
	s_branch .LBB127_2962
.LBB127_2959:
	s_mov_b32 s1, -1
                                        ; implicit-def: $vgpr10_vgpr11
	s_branch .LBB127_2968
.LBB127_2960:
	s_mov_b32 s1, -1
                                        ; implicit-def: $vgpr10_vgpr11
	s_branch .LBB127_2965
.LBB127_2961:
	s_mov_b32 s1, -1
                                        ; implicit-def: $vgpr10_vgpr11
.LBB127_2962:
	s_delay_alu instid0(SALU_CYCLE_1)
	s_and_not1_b32 vcc_lo, exec_lo, s1
	s_cbranch_vccnz .LBB127_2964
; %bb.2963:
	s_wait_loadcnt 0x0
	global_load_b32 v10, v[14:15], off
	s_wait_loadcnt 0x0
	v_ashrrev_i32_e32 v11, 31, v10
.LBB127_2964:
	s_mov_b32 s1, 0
.LBB127_2965:
	s_delay_alu instid0(SALU_CYCLE_1)
	s_and_not1_b32 vcc_lo, exec_lo, s1
	s_cbranch_vccnz .LBB127_2967
; %bb.2966:
	global_load_u16 v1, v[14:15], off
	s_wait_loadcnt 0x0
	v_bfe_i32 v10, v1, 0, 16
	s_delay_alu instid0(VALU_DEP_1)
	v_ashrrev_i32_e32 v11, 31, v10
.LBB127_2967:
	s_mov_b32 s1, 0
.LBB127_2968:
	s_delay_alu instid0(SALU_CYCLE_1)
	s_and_not1_b32 vcc_lo, exec_lo, s1
	s_cbranch_vccnz .LBB127_2974
; %bb.2969:
	s_cmp_gt_i32 s0, 0
	s_mov_b32 s0, 0
	s_cbranch_scc0 .LBB127_2971
; %bb.2970:
	global_load_i8 v1, v[14:15], off
	s_wait_loadcnt 0x0
	v_bfe_i32 v10, v1, 0, 16
	s_delay_alu instid0(VALU_DEP_1)
	v_ashrrev_i32_e32 v11, 31, v10
	s_branch .LBB127_2972
.LBB127_2971:
	s_mov_b32 s0, -1
                                        ; implicit-def: $vgpr10_vgpr11
.LBB127_2972:
	s_delay_alu instid0(SALU_CYCLE_1)
	s_and_not1_b32 vcc_lo, exec_lo, s0
	s_cbranch_vccnz .LBB127_2974
; %bb.2973:
	global_load_u8 v1, v[14:15], off
	s_mov_b32 s0, 0
	s_wait_loadcnt 0x1
	v_mov_b32_e32 v11, s0
	s_wait_loadcnt 0x0
	v_and_b32_e32 v10, 0xffff, v1
.LBB127_2974:
	s_mov_b32 s58, -1
.LBB127_2975:
	s_delay_alu instid0(SALU_CYCLE_1)
	s_and_not1_b32 vcc_lo, exec_lo, s58
	s_cbranch_vccnz .LBB127_2983
; %bb.2976:
	s_load_b512 s[4:19], s[2:3], 0x248
	v_mov_b32_e32 v7, 0
	s_and_b32 s0, s53, 0xff
	s_delay_alu instid0(SALU_CYCLE_1) | instskip(SKIP_1) | instid1(VALU_DEP_1)
	s_cmp_lt_i32 s0, 11
	s_wait_kmcnt 0x0
	v_add_nc_u64_e32 v[6:7], s[14:15], v[6:7]
	s_cbranch_scc1 .LBB127_2984
; %bb.2977:
	s_and_b32 s35, 0xffff, s0
	s_delay_alu instid0(SALU_CYCLE_1)
	s_cmp_gt_i32 s35, 25
	s_cbranch_scc0 .LBB127_2985
; %bb.2978:
	s_cmp_gt_i32 s35, 28
	s_cbranch_scc0 .LBB127_2986
; %bb.2979:
	;; [unrolled: 3-line block ×4, first 2 shown]
	s_cmp_eq_u32 s35, 46
	s_mov_b32 s1, 0
	s_cbranch_scc0 .LBB127_3112
; %bb.2982:
	global_load_b32 v1, v[6:7], off
	s_mov_b32 s58, -1
	s_mov_b32 s94, 0
	s_wait_loadcnt 0x0
	v_lshlrev_b32_e32 v1, 16, v1
	s_delay_alu instid0(VALU_DEP_1) | instskip(NEXT) | instid1(VALU_DEP_1)
	v_trunc_f32_e32 v1, v1
	v_mul_f32_e64 v3, 0x2f800000, |v1|
	v_ashrrev_i32_e32 v14, 31, v1
	s_delay_alu instid0(VALU_DEP_2) | instskip(NEXT) | instid1(VALU_DEP_1)
	v_floor_f32_e32 v3, v3
	v_fma_f32 v15, 0xcf800000, v3, |v1|
	v_cvt_u32_f32_e32 v1, v3
	s_delay_alu instid0(VALU_DEP_2) | instskip(NEXT) | instid1(VALU_DEP_2)
	v_cvt_u32_f32_e32 v3, v15
	v_dual_mov_b32 v15, v14 :: v_dual_bitop2_b32 v17, v1, v14 bitop3:0x14
	s_delay_alu instid0(VALU_DEP_2) | instskip(NEXT) | instid1(VALU_DEP_1)
	v_xor_b32_e32 v16, v3, v14
	v_sub_nc_u64_e32 v[14:15], v[16:17], v[14:15]
	s_branch .LBB127_3114
.LBB127_2983:
	s_mov_b32 s0, 0
	s_mov_b32 s1, s70
	;; [unrolled: 1-line block ×7, first 2 shown]
	s_branch .LBB127_679
.LBB127_2984:
	s_mov_b32 s1, -1
	s_mov_b32 s58, 0
	s_mov_b32 s94, s88
                                        ; implicit-def: $vgpr14_vgpr15
	s_branch .LBB127_3180
.LBB127_2985:
	s_mov_b32 s1, -1
	s_mov_b32 s58, 0
	s_mov_b32 s94, s88
                                        ; implicit-def: $vgpr14_vgpr15
	s_branch .LBB127_3146
.LBB127_2986:
	s_mov_b32 s1, -1
	s_mov_b32 s58, 0
	s_mov_b32 s94, s88
                                        ; implicit-def: $vgpr14_vgpr15
	s_branch .LBB127_3129
.LBB127_2987:
	s_mov_b32 s1, -1
	s_mov_b32 s58, 0
	s_mov_b32 s94, s88
                                        ; implicit-def: $vgpr14_vgpr15
	s_branch .LBB127_3124
.LBB127_2988:
	s_mov_b32 s47, -1
                                        ; implicit-def: $vgpr12_vgpr13
.LBB127_2989:
	s_mov_b32 s1, 0
.LBB127_2990:
	s_delay_alu instid0(SALU_CYCLE_1)
	s_and_b32 vcc_lo, exec_lo, s1
	s_cbranch_vccz .LBB127_2994
; %bb.2991:
	s_cmp_eq_u32 s35, 29
	s_cbranch_scc0 .LBB127_2993
; %bb.2992:
	global_load_b64 v[12:13], v[14:15], off
	s_mov_b32 s45, -1
	s_mov_b32 s47, 0
	s_branch .LBB127_2994
.LBB127_2993:
	s_mov_b32 s47, -1
                                        ; implicit-def: $vgpr12_vgpr13
.LBB127_2994:
	s_mov_b32 s1, 0
.LBB127_2995:
	s_delay_alu instid0(SALU_CYCLE_1)
	s_and_b32 vcc_lo, exec_lo, s1
	s_cbranch_vccz .LBB127_3011
; %bb.2996:
	s_cmp_lt_i32 s35, 27
	s_cbranch_scc1 .LBB127_2999
; %bb.2997:
	s_cmp_gt_i32 s35, 27
	s_cbranch_scc0 .LBB127_3000
; %bb.2998:
	s_wait_loadcnt 0x0
	global_load_b32 v12, v[14:15], off
	v_mov_b32_e32 v13, 0
	s_mov_b32 s1, 0
	s_branch .LBB127_3001
.LBB127_2999:
	s_mov_b32 s1, -1
                                        ; implicit-def: $vgpr12_vgpr13
	s_branch .LBB127_3004
.LBB127_3000:
	s_mov_b32 s1, -1
                                        ; implicit-def: $vgpr12_vgpr13
.LBB127_3001:
	s_delay_alu instid0(SALU_CYCLE_1)
	s_and_not1_b32 vcc_lo, exec_lo, s1
	s_cbranch_vccnz .LBB127_3003
; %bb.3002:
	global_load_u16 v1, v[14:15], off
	s_mov_b32 s1, 0
	s_wait_loadcnt 0x1
	v_mov_b32_e32 v13, s1
	s_wait_loadcnt 0x0
	v_and_b32_e32 v12, 0xffff, v1
.LBB127_3003:
	s_mov_b32 s1, 0
.LBB127_3004:
	s_delay_alu instid0(SALU_CYCLE_1)
	s_and_not1_b32 vcc_lo, exec_lo, s1
	s_cbranch_vccnz .LBB127_3010
; %bb.3005:
	global_load_u8 v1, v[14:15], off
	s_mov_b32 s45, 0
	s_mov_b32 s1, exec_lo
	s_wait_loadcnt 0x0
	v_cmpx_lt_i16_e32 0x7f, v1
	s_xor_b32 s1, exec_lo, s1
	s_cbranch_execz .LBB127_3022
; %bb.3006:
	v_cmp_ne_u16_e32 vcc_lo, 0x80, v1
	s_and_b32 s45, vcc_lo, exec_lo
	s_and_not1_saveexec_b32 s1, s1
	s_cbranch_execnz .LBB127_3023
.LBB127_3007:
	s_or_b32 exec_lo, exec_lo, s1
	v_mov_b64_e32 v[12:13], 0
	s_and_saveexec_b32 s1, s45
	s_cbranch_execz .LBB127_3009
.LBB127_3008:
	v_and_b32_e32 v3, 0xffff, v1
	s_delay_alu instid0(VALU_DEP_1) | instskip(SKIP_1) | instid1(VALU_DEP_2)
	v_dual_lshlrev_b32 v1, 24, v1 :: v_dual_bitop2_b32 v7, 7, v3 bitop3:0x40
	v_bfe_u32 v13, v3, 3, 4
	v_and_b32_e32 v1, 0x80000000, v1
	s_delay_alu instid0(VALU_DEP_3) | instskip(NEXT) | instid1(VALU_DEP_3)
	v_clz_i32_u32_e32 v11, v7
	v_cmp_eq_u32_e32 vcc_lo, 0, v13
	s_delay_alu instid0(VALU_DEP_2) | instskip(NEXT) | instid1(VALU_DEP_1)
	v_min_u32_e32 v11, 32, v11
	v_subrev_nc_u32_e32 v12, 28, v11
	v_sub_nc_u32_e32 v11, 29, v11
	s_delay_alu instid0(VALU_DEP_2) | instskip(NEXT) | instid1(VALU_DEP_2)
	v_lshlrev_b32_e32 v3, v12, v3
	v_cndmask_b32_e32 v11, v13, v11, vcc_lo
	s_delay_alu instid0(VALU_DEP_2) | instskip(NEXT) | instid1(VALU_DEP_1)
	v_and_b32_e32 v3, 7, v3
	v_cndmask_b32_e32 v3, v7, v3, vcc_lo
	s_delay_alu instid0(VALU_DEP_3) | instskip(NEXT) | instid1(VALU_DEP_2)
	v_lshl_add_u32 v7, v11, 23, 0x3b800000
	v_lshlrev_b32_e32 v3, 20, v3
	s_delay_alu instid0(VALU_DEP_1) | instskip(NEXT) | instid1(VALU_DEP_1)
	v_or3_b32 v1, v1, v7, v3
	v_trunc_f32_e32 v1, v1
	s_delay_alu instid0(VALU_DEP_1) | instskip(SKIP_1) | instid1(VALU_DEP_2)
	v_mul_f32_e64 v3, 0x2f800000, |v1|
	v_ashrrev_i32_e32 v12, 31, v1
	v_floor_f32_e32 v3, v3
	s_delay_alu instid0(VALU_DEP_2) | instskip(NEXT) | instid1(VALU_DEP_2)
	v_mov_b32_e32 v13, v12
	v_fma_f32 v7, 0xcf800000, v3, |v1|
	v_cvt_u32_f32_e32 v1, v3
	s_delay_alu instid0(VALU_DEP_2) | instskip(NEXT) | instid1(VALU_DEP_2)
	v_cvt_u32_f32_e32 v3, v7
	v_xor_b32_e32 v17, v1, v12
	s_delay_alu instid0(VALU_DEP_2) | instskip(NEXT) | instid1(VALU_DEP_1)
	v_xor_b32_e32 v16, v3, v12
	v_sub_nc_u64_e32 v[12:13], v[16:17], v[12:13]
.LBB127_3009:
	s_or_b32 exec_lo, exec_lo, s1
.LBB127_3010:
	s_mov_b32 s45, -1
.LBB127_3011:
	s_mov_b32 s1, 0
.LBB127_3012:
	s_delay_alu instid0(SALU_CYCLE_1)
	s_and_b32 vcc_lo, exec_lo, s1
	s_cbranch_vccz .LBB127_3045
; %bb.3013:
	s_cmp_gt_i32 s35, 22
	s_cbranch_scc0 .LBB127_3021
; %bb.3014:
	s_cmp_lt_i32 s35, 24
	s_cbranch_scc1 .LBB127_3024
; %bb.3015:
	s_cmp_gt_i32 s35, 24
	s_cbranch_scc0 .LBB127_3025
; %bb.3016:
	global_load_u8 v1, v[14:15], off
	s_mov_b32 s45, 0
	s_mov_b32 s1, exec_lo
	s_wait_loadcnt 0x0
	v_cmpx_lt_i16_e32 0x7f, v1
	s_xor_b32 s1, exec_lo, s1
	s_cbranch_execz .LBB127_3037
; %bb.3017:
	v_cmp_ne_u16_e32 vcc_lo, 0x80, v1
	s_and_b32 s45, vcc_lo, exec_lo
	s_and_not1_saveexec_b32 s1, s1
	s_cbranch_execnz .LBB127_3038
.LBB127_3018:
	s_or_b32 exec_lo, exec_lo, s1
	v_mov_b64_e32 v[12:13], 0
	s_and_saveexec_b32 s1, s45
	s_cbranch_execz .LBB127_3020
.LBB127_3019:
	v_and_b32_e32 v3, 0xffff, v1
	s_delay_alu instid0(VALU_DEP_1) | instskip(SKIP_1) | instid1(VALU_DEP_2)
	v_dual_lshlrev_b32 v1, 24, v1 :: v_dual_bitop2_b32 v7, 3, v3 bitop3:0x40
	v_bfe_u32 v13, v3, 2, 5
	v_and_b32_e32 v1, 0x80000000, v1
	s_delay_alu instid0(VALU_DEP_3) | instskip(NEXT) | instid1(VALU_DEP_3)
	v_clz_i32_u32_e32 v11, v7
	v_cmp_eq_u32_e32 vcc_lo, 0, v13
	s_delay_alu instid0(VALU_DEP_2) | instskip(NEXT) | instid1(VALU_DEP_1)
	v_min_u32_e32 v11, 32, v11
	v_subrev_nc_u32_e32 v12, 29, v11
	v_sub_nc_u32_e32 v11, 30, v11
	s_delay_alu instid0(VALU_DEP_2) | instskip(NEXT) | instid1(VALU_DEP_2)
	v_lshlrev_b32_e32 v3, v12, v3
	v_cndmask_b32_e32 v11, v13, v11, vcc_lo
	s_delay_alu instid0(VALU_DEP_2) | instskip(NEXT) | instid1(VALU_DEP_1)
	v_and_b32_e32 v3, 3, v3
	v_cndmask_b32_e32 v3, v7, v3, vcc_lo
	s_delay_alu instid0(VALU_DEP_3) | instskip(NEXT) | instid1(VALU_DEP_2)
	v_lshl_add_u32 v7, v11, 23, 0x37800000
	v_lshlrev_b32_e32 v3, 21, v3
	s_delay_alu instid0(VALU_DEP_1) | instskip(NEXT) | instid1(VALU_DEP_1)
	v_or3_b32 v1, v1, v7, v3
	v_trunc_f32_e32 v1, v1
	s_delay_alu instid0(VALU_DEP_1) | instskip(SKIP_1) | instid1(VALU_DEP_2)
	v_mul_f32_e64 v3, 0x2f800000, |v1|
	v_ashrrev_i32_e32 v12, 31, v1
	v_floor_f32_e32 v3, v3
	s_delay_alu instid0(VALU_DEP_2) | instskip(NEXT) | instid1(VALU_DEP_2)
	v_mov_b32_e32 v13, v12
	v_fma_f32 v7, 0xcf800000, v3, |v1|
	v_cvt_u32_f32_e32 v1, v3
	s_delay_alu instid0(VALU_DEP_2) | instskip(NEXT) | instid1(VALU_DEP_2)
	v_cvt_u32_f32_e32 v3, v7
	v_xor_b32_e32 v17, v1, v12
	s_delay_alu instid0(VALU_DEP_2) | instskip(NEXT) | instid1(VALU_DEP_1)
	v_xor_b32_e32 v16, v3, v12
	v_sub_nc_u64_e32 v[12:13], v[16:17], v[12:13]
.LBB127_3020:
	s_or_b32 exec_lo, exec_lo, s1
	s_mov_b32 s1, 0
	s_branch .LBB127_3026
.LBB127_3021:
	s_mov_b32 s1, -1
                                        ; implicit-def: $vgpr12_vgpr13
	s_branch .LBB127_3032
.LBB127_3022:
	s_and_not1_saveexec_b32 s1, s1
	s_cbranch_execz .LBB127_3007
.LBB127_3023:
	v_cmp_ne_u16_e32 vcc_lo, 0, v1
	s_and_not1_b32 s36, s45, exec_lo
	s_and_b32 s37, vcc_lo, exec_lo
	s_delay_alu instid0(SALU_CYCLE_1)
	s_or_b32 s45, s36, s37
	s_or_b32 exec_lo, exec_lo, s1
	v_mov_b64_e32 v[12:13], 0
	s_and_saveexec_b32 s1, s45
	s_cbranch_execnz .LBB127_3008
	s_branch .LBB127_3009
.LBB127_3024:
	s_mov_b32 s1, -1
                                        ; implicit-def: $vgpr12_vgpr13
	s_branch .LBB127_3029
.LBB127_3025:
	s_mov_b32 s1, -1
                                        ; implicit-def: $vgpr12_vgpr13
.LBB127_3026:
	s_delay_alu instid0(SALU_CYCLE_1)
	s_and_b32 vcc_lo, exec_lo, s1
	s_cbranch_vccz .LBB127_3028
; %bb.3027:
	global_load_u8 v1, v[14:15], off
	s_wait_loadcnt 0x0
	v_lshlrev_b32_e32 v1, 24, v1
	s_delay_alu instid0(VALU_DEP_1) | instskip(NEXT) | instid1(VALU_DEP_1)
	v_and_b32_e32 v3, 0x7f000000, v1
	v_clz_i32_u32_e32 v7, v3
	v_add_nc_u32_e32 v12, 0x1000000, v3
	v_cmp_ne_u32_e32 vcc_lo, 0, v3
	s_delay_alu instid0(VALU_DEP_3) | instskip(NEXT) | instid1(VALU_DEP_1)
	v_min_u32_e32 v7, 32, v7
	v_sub_nc_u32_e64 v7, v7, 4 clamp
	s_delay_alu instid0(VALU_DEP_1) | instskip(SKIP_1) | instid1(VALU_DEP_2)
	v_lshlrev_b32_e32 v11, v7, v3
	v_lshlrev_b32_e32 v7, 23, v7
	v_lshrrev_b32_e32 v11, 4, v11
	s_delay_alu instid0(VALU_DEP_1) | instskip(NEXT) | instid1(VALU_DEP_1)
	v_dual_sub_nc_u32 v7, v11, v7 :: v_dual_ashrrev_i32 v11, 8, v12
	v_add_nc_u32_e32 v7, 0x3c000000, v7
	s_delay_alu instid0(VALU_DEP_1) | instskip(NEXT) | instid1(VALU_DEP_1)
	v_and_or_b32 v7, 0x7f800000, v11, v7
	v_cndmask_b32_e32 v3, 0, v7, vcc_lo
	s_delay_alu instid0(VALU_DEP_1) | instskip(NEXT) | instid1(VALU_DEP_1)
	v_and_or_b32 v1, 0x80000000, v1, v3
	v_trunc_f32_e32 v1, v1
	s_delay_alu instid0(VALU_DEP_1) | instskip(SKIP_1) | instid1(VALU_DEP_2)
	v_mul_f32_e64 v3, 0x2f800000, |v1|
	v_ashrrev_i32_e32 v12, 31, v1
	v_floor_f32_e32 v3, v3
	s_delay_alu instid0(VALU_DEP_2) | instskip(NEXT) | instid1(VALU_DEP_2)
	v_mov_b32_e32 v13, v12
	v_fma_f32 v7, 0xcf800000, v3, |v1|
	v_cvt_u32_f32_e32 v1, v3
	s_delay_alu instid0(VALU_DEP_2) | instskip(NEXT) | instid1(VALU_DEP_2)
	v_cvt_u32_f32_e32 v3, v7
	v_xor_b32_e32 v17, v1, v12
	s_delay_alu instid0(VALU_DEP_2) | instskip(NEXT) | instid1(VALU_DEP_1)
	v_xor_b32_e32 v16, v3, v12
	v_sub_nc_u64_e32 v[12:13], v[16:17], v[12:13]
.LBB127_3028:
	s_mov_b32 s1, 0
.LBB127_3029:
	s_delay_alu instid0(SALU_CYCLE_1)
	s_and_not1_b32 vcc_lo, exec_lo, s1
	s_cbranch_vccnz .LBB127_3031
; %bb.3030:
	global_load_u8 v1, v[14:15], off
	s_wait_loadcnt 0x0
	v_lshlrev_b32_e32 v3, 25, v1
	v_lshlrev_b16 v1, 8, v1
	s_delay_alu instid0(VALU_DEP_1) | instskip(SKIP_1) | instid1(VALU_DEP_2)
	v_and_or_b32 v11, 0x7f00, v1, 0.5
	v_bfe_i32 v1, v1, 0, 16
	v_add_f32_e32 v11, -0.5, v11
	v_lshrrev_b32_e32 v7, 4, v3
	v_cmp_gt_u32_e32 vcc_lo, 0x8000000, v3
	s_delay_alu instid0(VALU_DEP_2) | instskip(NEXT) | instid1(VALU_DEP_1)
	v_or_b32_e32 v7, 0x70000000, v7
	v_mul_f32_e32 v7, 0x7800000, v7
	s_delay_alu instid0(VALU_DEP_1) | instskip(NEXT) | instid1(VALU_DEP_1)
	v_cndmask_b32_e32 v3, v7, v11, vcc_lo
	v_and_or_b32 v1, 0x80000000, v1, v3
	s_delay_alu instid0(VALU_DEP_1) | instskip(NEXT) | instid1(VALU_DEP_1)
	v_trunc_f32_e32 v1, v1
	v_mul_f32_e64 v3, 0x2f800000, |v1|
	v_ashrrev_i32_e32 v12, 31, v1
	s_delay_alu instid0(VALU_DEP_2) | instskip(NEXT) | instid1(VALU_DEP_2)
	v_floor_f32_e32 v3, v3
	v_mov_b32_e32 v13, v12
	s_delay_alu instid0(VALU_DEP_2) | instskip(SKIP_1) | instid1(VALU_DEP_2)
	v_fma_f32 v7, 0xcf800000, v3, |v1|
	v_cvt_u32_f32_e32 v1, v3
	v_cvt_u32_f32_e32 v3, v7
	s_delay_alu instid0(VALU_DEP_2) | instskip(NEXT) | instid1(VALU_DEP_2)
	v_xor_b32_e32 v17, v1, v12
	v_xor_b32_e32 v16, v3, v12
	s_delay_alu instid0(VALU_DEP_1)
	v_sub_nc_u64_e32 v[12:13], v[16:17], v[12:13]
.LBB127_3031:
	s_mov_b32 s1, 0
	s_mov_b32 s45, -1
.LBB127_3032:
	s_and_not1_b32 vcc_lo, exec_lo, s1
	s_cbranch_vccnz .LBB127_3045
; %bb.3033:
	s_cmp_gt_i32 s35, 14
	s_cbranch_scc0 .LBB127_3036
; %bb.3034:
	s_cmp_eq_u32 s35, 15
	s_cbranch_scc0 .LBB127_3039
; %bb.3035:
	global_load_u16 v1, v[14:15], off
	s_mov_b32 s45, -1
	s_mov_b32 s47, 0
	s_wait_loadcnt 0x0
	v_lshlrev_b32_e32 v1, 16, v1
	s_delay_alu instid0(VALU_DEP_1) | instskip(NEXT) | instid1(VALU_DEP_1)
	v_trunc_f32_e32 v1, v1
	v_mul_f32_e64 v3, 0x2f800000, |v1|
	v_ashrrev_i32_e32 v12, 31, v1
	s_delay_alu instid0(VALU_DEP_2) | instskip(NEXT) | instid1(VALU_DEP_2)
	v_floor_f32_e32 v3, v3
	v_mov_b32_e32 v13, v12
	s_delay_alu instid0(VALU_DEP_2) | instskip(SKIP_1) | instid1(VALU_DEP_2)
	v_fma_f32 v7, 0xcf800000, v3, |v1|
	v_cvt_u32_f32_e32 v1, v3
	v_cvt_u32_f32_e32 v3, v7
	s_delay_alu instid0(VALU_DEP_2) | instskip(NEXT) | instid1(VALU_DEP_2)
	v_xor_b32_e32 v17, v1, v12
	v_xor_b32_e32 v16, v3, v12
	s_delay_alu instid0(VALU_DEP_1)
	v_sub_nc_u64_e32 v[12:13], v[16:17], v[12:13]
	s_branch .LBB127_3040
.LBB127_3036:
	s_mov_b32 s1, -1
                                        ; implicit-def: $vgpr12_vgpr13
	s_branch .LBB127_3041
.LBB127_3037:
	s_and_not1_saveexec_b32 s1, s1
	s_cbranch_execz .LBB127_3018
.LBB127_3038:
	v_cmp_ne_u16_e32 vcc_lo, 0, v1
	s_and_not1_b32 s36, s45, exec_lo
	s_and_b32 s37, vcc_lo, exec_lo
	s_delay_alu instid0(SALU_CYCLE_1)
	s_or_b32 s45, s36, s37
	s_or_b32 exec_lo, exec_lo, s1
	v_mov_b64_e32 v[12:13], 0
	s_and_saveexec_b32 s1, s45
	s_cbranch_execnz .LBB127_3019
	s_branch .LBB127_3020
.LBB127_3039:
	s_mov_b32 s47, -1
                                        ; implicit-def: $vgpr12_vgpr13
.LBB127_3040:
	s_mov_b32 s1, 0
.LBB127_3041:
	s_delay_alu instid0(SALU_CYCLE_1)
	s_and_b32 vcc_lo, exec_lo, s1
	s_cbranch_vccz .LBB127_3045
; %bb.3042:
	s_cmp_eq_u32 s35, 11
	s_cbranch_scc0 .LBB127_3044
; %bb.3043:
	global_load_u8 v1, v[14:15], off
	s_mov_b32 s47, 0
	s_mov_b32 s45, -1
	s_wait_loadcnt 0x1
	v_mov_b32_e32 v13, s47
	s_wait_loadcnt 0x0
	v_cmp_ne_u16_e32 vcc_lo, 0, v1
	v_cndmask_b32_e64 v12, 0, 1, vcc_lo
	s_branch .LBB127_3045
.LBB127_3044:
	s_mov_b32 s47, -1
                                        ; implicit-def: $vgpr12_vgpr13
.LBB127_3045:
	s_mov_b32 s1, 0
.LBB127_3046:
	s_delay_alu instid0(SALU_CYCLE_1)
	s_and_b32 vcc_lo, exec_lo, s1
	s_cbranch_vccz .LBB127_3095
; %bb.3047:
	s_and_b32 s0, 0xffff, s0
	s_delay_alu instid0(SALU_CYCLE_1)
	s_cmp_lt_i32 s0, 5
	s_cbranch_scc1 .LBB127_3052
; %bb.3048:
	s_cmp_lt_i32 s0, 8
	s_cbranch_scc1 .LBB127_3053
; %bb.3049:
	s_cmp_lt_i32 s0, 9
	s_cbranch_scc1 .LBB127_3054
; %bb.3050:
	s_cmp_gt_i32 s0, 9
	s_cbranch_scc0 .LBB127_3055
; %bb.3051:
	s_wait_loadcnt 0x0
	global_load_b64 v[12:13], v[14:15], off
	s_mov_b32 s1, 0
	s_wait_loadcnt 0x0
	v_trunc_f64_e32 v[12:13], v[12:13]
	s_delay_alu instid0(VALU_DEP_1) | instskip(NEXT) | instid1(VALU_DEP_1)
	v_ldexp_f64 v[16:17], v[12:13], 0xffffffe0
	v_floor_f64_e32 v[16:17], v[16:17]
	s_delay_alu instid0(VALU_DEP_1) | instskip(SKIP_1) | instid1(VALU_DEP_2)
	v_fmamk_f64 v[18:19], v[16:17], 0xc1f00000, v[12:13]
	v_cvt_i32_f64_e32 v13, v[16:17]
	v_cvt_u32_f64_e32 v12, v[18:19]
	s_branch .LBB127_3056
.LBB127_3052:
	s_mov_b32 s1, -1
                                        ; implicit-def: $vgpr12_vgpr13
	s_branch .LBB127_3074
.LBB127_3053:
	s_mov_b32 s1, -1
                                        ; implicit-def: $vgpr12_vgpr13
	s_branch .LBB127_3062
.LBB127_3054:
	s_mov_b32 s1, -1
                                        ; implicit-def: $vgpr12_vgpr13
	s_branch .LBB127_3059
.LBB127_3055:
	s_mov_b32 s1, -1
                                        ; implicit-def: $vgpr12_vgpr13
.LBB127_3056:
	s_delay_alu instid0(SALU_CYCLE_1)
	s_and_not1_b32 vcc_lo, exec_lo, s1
	s_cbranch_vccnz .LBB127_3058
; %bb.3057:
	global_load_b32 v1, v[14:15], off
	s_wait_loadcnt 0x0
	v_trunc_f32_e32 v1, v1
	s_delay_alu instid0(VALU_DEP_1) | instskip(SKIP_1) | instid1(VALU_DEP_2)
	v_mul_f32_e64 v3, 0x2f800000, |v1|
	v_ashrrev_i32_e32 v12, 31, v1
	v_floor_f32_e32 v3, v3
	s_delay_alu instid0(VALU_DEP_1) | instskip(SKIP_1) | instid1(VALU_DEP_4)
	v_fma_f32 v7, 0xcf800000, v3, |v1|
	v_cvt_u32_f32_e32 v1, v3
	v_mov_b32_e32 v13, v12
	s_delay_alu instid0(VALU_DEP_3) | instskip(NEXT) | instid1(VALU_DEP_3)
	v_cvt_u32_f32_e32 v3, v7
	v_xor_b32_e32 v17, v1, v12
	s_delay_alu instid0(VALU_DEP_2) | instskip(NEXT) | instid1(VALU_DEP_1)
	v_xor_b32_e32 v16, v3, v12
	v_sub_nc_u64_e32 v[12:13], v[16:17], v[12:13]
.LBB127_3058:
	s_mov_b32 s1, 0
.LBB127_3059:
	s_delay_alu instid0(SALU_CYCLE_1)
	s_and_not1_b32 vcc_lo, exec_lo, s1
	s_cbranch_vccnz .LBB127_3061
; %bb.3060:
	global_load_b32 v1, v[14:15], off
	s_wait_loadcnt 0x0
	v_cvt_f32_f16_e32 v1, v1
	s_delay_alu instid0(VALU_DEP_1) | instskip(NEXT) | instid1(VALU_DEP_1)
	v_cvt_i32_f32_e32 v12, v1
	v_ashrrev_i32_e32 v13, 31, v12
.LBB127_3061:
	s_mov_b32 s1, 0
.LBB127_3062:
	s_delay_alu instid0(SALU_CYCLE_1)
	s_and_not1_b32 vcc_lo, exec_lo, s1
	s_cbranch_vccnz .LBB127_3073
; %bb.3063:
	s_cmp_lt_i32 s0, 6
	s_cbranch_scc1 .LBB127_3066
; %bb.3064:
	s_cmp_gt_i32 s0, 6
	s_cbranch_scc0 .LBB127_3067
; %bb.3065:
	s_wait_loadcnt 0x0
	global_load_b64 v[12:13], v[14:15], off
	s_mov_b32 s1, 0
	s_wait_loadcnt 0x0
	v_trunc_f64_e32 v[12:13], v[12:13]
	s_delay_alu instid0(VALU_DEP_1) | instskip(NEXT) | instid1(VALU_DEP_1)
	v_ldexp_f64 v[16:17], v[12:13], 0xffffffe0
	v_floor_f64_e32 v[16:17], v[16:17]
	s_delay_alu instid0(VALU_DEP_1) | instskip(SKIP_1) | instid1(VALU_DEP_2)
	v_fmamk_f64 v[18:19], v[16:17], 0xc1f00000, v[12:13]
	v_cvt_i32_f64_e32 v13, v[16:17]
	v_cvt_u32_f64_e32 v12, v[18:19]
	s_branch .LBB127_3068
.LBB127_3066:
	s_mov_b32 s1, -1
                                        ; implicit-def: $vgpr12_vgpr13
	s_branch .LBB127_3071
.LBB127_3067:
	s_mov_b32 s1, -1
                                        ; implicit-def: $vgpr12_vgpr13
.LBB127_3068:
	s_delay_alu instid0(SALU_CYCLE_1)
	s_and_not1_b32 vcc_lo, exec_lo, s1
	s_cbranch_vccnz .LBB127_3070
; %bb.3069:
	global_load_b32 v1, v[14:15], off
	s_wait_loadcnt 0x0
	v_trunc_f32_e32 v1, v1
	s_delay_alu instid0(VALU_DEP_1) | instskip(SKIP_1) | instid1(VALU_DEP_2)
	v_mul_f32_e64 v3, 0x2f800000, |v1|
	v_ashrrev_i32_e32 v12, 31, v1
	v_floor_f32_e32 v3, v3
	s_delay_alu instid0(VALU_DEP_1) | instskip(SKIP_1) | instid1(VALU_DEP_4)
	v_fma_f32 v7, 0xcf800000, v3, |v1|
	v_cvt_u32_f32_e32 v1, v3
	v_mov_b32_e32 v13, v12
	s_delay_alu instid0(VALU_DEP_3) | instskip(NEXT) | instid1(VALU_DEP_3)
	v_cvt_u32_f32_e32 v3, v7
	v_xor_b32_e32 v17, v1, v12
	s_delay_alu instid0(VALU_DEP_2) | instskip(NEXT) | instid1(VALU_DEP_1)
	v_xor_b32_e32 v16, v3, v12
	v_sub_nc_u64_e32 v[12:13], v[16:17], v[12:13]
.LBB127_3070:
	s_mov_b32 s1, 0
.LBB127_3071:
	s_delay_alu instid0(SALU_CYCLE_1)
	s_and_not1_b32 vcc_lo, exec_lo, s1
	s_cbranch_vccnz .LBB127_3073
; %bb.3072:
	global_load_u16 v1, v[14:15], off
	s_wait_loadcnt 0x0
	v_cvt_f32_f16_e32 v1, v1
	s_delay_alu instid0(VALU_DEP_1) | instskip(NEXT) | instid1(VALU_DEP_1)
	v_cvt_i32_f32_e32 v12, v1
	v_ashrrev_i32_e32 v13, 31, v12
.LBB127_3073:
	s_mov_b32 s1, 0
.LBB127_3074:
	s_delay_alu instid0(SALU_CYCLE_1)
	s_and_not1_b32 vcc_lo, exec_lo, s1
	s_cbranch_vccnz .LBB127_3094
; %bb.3075:
	s_cmp_lt_i32 s0, 2
	s_cbranch_scc1 .LBB127_3079
; %bb.3076:
	s_cmp_lt_i32 s0, 3
	s_cbranch_scc1 .LBB127_3080
; %bb.3077:
	s_cmp_gt_i32 s0, 3
	s_cbranch_scc0 .LBB127_3081
; %bb.3078:
	s_wait_loadcnt 0x0
	global_load_b64 v[12:13], v[14:15], off
	s_mov_b32 s1, 0
	s_branch .LBB127_3082
.LBB127_3079:
	s_mov_b32 s1, -1
                                        ; implicit-def: $vgpr12_vgpr13
	s_branch .LBB127_3088
.LBB127_3080:
	s_mov_b32 s1, -1
                                        ; implicit-def: $vgpr12_vgpr13
	s_branch .LBB127_3085
.LBB127_3081:
	s_mov_b32 s1, -1
                                        ; implicit-def: $vgpr12_vgpr13
.LBB127_3082:
	s_delay_alu instid0(SALU_CYCLE_1)
	s_and_not1_b32 vcc_lo, exec_lo, s1
	s_cbranch_vccnz .LBB127_3084
; %bb.3083:
	s_wait_loadcnt 0x0
	global_load_b32 v12, v[14:15], off
	s_wait_loadcnt 0x0
	v_ashrrev_i32_e32 v13, 31, v12
.LBB127_3084:
	s_mov_b32 s1, 0
.LBB127_3085:
	s_delay_alu instid0(SALU_CYCLE_1)
	s_and_not1_b32 vcc_lo, exec_lo, s1
	s_cbranch_vccnz .LBB127_3087
; %bb.3086:
	global_load_u16 v1, v[14:15], off
	s_wait_loadcnt 0x0
	v_bfe_i32 v12, v1, 0, 16
	s_delay_alu instid0(VALU_DEP_1)
	v_ashrrev_i32_e32 v13, 31, v12
.LBB127_3087:
	s_mov_b32 s1, 0
.LBB127_3088:
	s_delay_alu instid0(SALU_CYCLE_1)
	s_and_not1_b32 vcc_lo, exec_lo, s1
	s_cbranch_vccnz .LBB127_3094
; %bb.3089:
	s_cmp_gt_i32 s0, 0
	s_mov_b32 s0, 0
	s_cbranch_scc0 .LBB127_3091
; %bb.3090:
	global_load_i8 v1, v[14:15], off
	s_wait_loadcnt 0x0
	v_bfe_i32 v12, v1, 0, 16
	s_delay_alu instid0(VALU_DEP_1)
	v_ashrrev_i32_e32 v13, 31, v12
	s_branch .LBB127_3092
.LBB127_3091:
	s_mov_b32 s0, -1
                                        ; implicit-def: $vgpr12_vgpr13
.LBB127_3092:
	s_delay_alu instid0(SALU_CYCLE_1)
	s_and_not1_b32 vcc_lo, exec_lo, s0
	s_cbranch_vccnz .LBB127_3094
; %bb.3093:
	global_load_u8 v1, v[14:15], off
	s_mov_b32 s0, 0
	s_wait_loadcnt 0x1
	v_mov_b32_e32 v13, s0
	s_wait_loadcnt 0x0
	v_and_b32_e32 v12, 0xffff, v1
.LBB127_3094:
	s_mov_b32 s45, -1
.LBB127_3095:
	s_delay_alu instid0(SALU_CYCLE_1)
	s_and_not1_b32 vcc_lo, exec_lo, s45
	s_cbranch_vccnz .LBB127_3103
; %bb.3096:
	s_load_b512 s[4:19], s[2:3], 0x248
	v_mov_b32_e32 v11, 0
	s_and_b32 s0, s31, 0xff
	s_delay_alu instid0(SALU_CYCLE_1) | instskip(SKIP_1) | instid1(VALU_DEP_1)
	s_cmp_lt_i32 s0, 11
	s_wait_kmcnt 0x0
	v_add_nc_u64_e32 v[14:15], s[12:13], v[10:11]
	s_cbranch_scc1 .LBB127_3104
; %bb.3097:
	s_and_b32 s35, 0xffff, s0
	s_delay_alu instid0(SALU_CYCLE_1)
	s_cmp_gt_i32 s35, 25
	s_cbranch_scc0 .LBB127_3105
; %bb.3098:
	s_cmp_gt_i32 s35, 28
	s_cbranch_scc0 .LBB127_3106
; %bb.3099:
	;; [unrolled: 3-line block ×4, first 2 shown]
	s_cmp_eq_u32 s35, 46
	s_mov_b32 s1, 0
	s_cbranch_scc0 .LBB127_3117
; %bb.3102:
	global_load_b32 v1, v[14:15], off
	s_mov_b32 s46, -1
	s_mov_b32 s45, 0
	s_wait_loadcnt 0x0
	v_lshlrev_b32_e32 v1, 16, v1
	s_delay_alu instid0(VALU_DEP_1) | instskip(NEXT) | instid1(VALU_DEP_1)
	v_trunc_f32_e32 v1, v1
	v_mul_f32_e64 v3, 0x2f800000, |v1|
	v_ashrrev_i32_e32 v10, 31, v1
	s_delay_alu instid0(VALU_DEP_2) | instskip(NEXT) | instid1(VALU_DEP_2)
	v_floor_f32_e32 v3, v3
	v_mov_b32_e32 v11, v10
	s_delay_alu instid0(VALU_DEP_2) | instskip(SKIP_1) | instid1(VALU_DEP_2)
	v_fma_f32 v7, 0xcf800000, v3, |v1|
	v_cvt_u32_f32_e32 v1, v3
	v_cvt_u32_f32_e32 v3, v7
	s_delay_alu instid0(VALU_DEP_2) | instskip(NEXT) | instid1(VALU_DEP_2)
	v_xor_b32_e32 v17, v1, v10
	v_xor_b32_e32 v16, v3, v10
	s_delay_alu instid0(VALU_DEP_1)
	v_sub_nc_u64_e32 v[10:11], v[16:17], v[10:11]
	s_branch .LBB127_3119
.LBB127_3103:
	s_mov_b32 s0, 0
	s_mov_b32 s1, s101
	;; [unrolled: 1-line block ×3, first 2 shown]
	s_mov_b32 s58, vcc_hi
	s_mov_b32 s60, s99
	s_mov_b32 s59, s100
	;; [unrolled: 1-line block ×4, first 2 shown]
	s_branch .LBB127_957
.LBB127_3104:
	s_mov_b32 s1, -1
	s_mov_b32 s46, 0
	s_mov_b32 s45, s98
                                        ; implicit-def: $vgpr10_vgpr11
	s_branch .LBB127_3316
.LBB127_3105:
	s_mov_b32 s1, -1
	s_mov_b32 s46, 0
	s_mov_b32 s45, s98
                                        ; implicit-def: $vgpr10_vgpr11
	s_branch .LBB127_3282
.LBB127_3106:
	s_mov_b32 s1, -1
	s_mov_b32 s46, 0
	s_mov_b32 s45, s98
                                        ; implicit-def: $vgpr10_vgpr11
	s_branch .LBB127_3265
.LBB127_3107:
	s_mov_b32 s1, -1
	s_mov_b32 s46, 0
	s_mov_b32 s45, s98
                                        ; implicit-def: $vgpr10_vgpr11
	s_branch .LBB127_3260
.LBB127_3108:
	s_mov_b32 s1, -1
	s_mov_b32 s58, 0
	s_mov_b32 s94, s88
	s_branch .LBB127_3113
.LBB127_3109:
	s_mov_b32 s1, -1
	s_mov_b32 s46, 0
	s_mov_b32 s45, s98
	s_branch .LBB127_3118
.LBB127_3110:
	s_mov_b32 s1, -1
	s_mov_b32 s61, 0
	s_branch .LBB127_3384
.LBB127_3111:
	s_mov_b32 s22, -1
	s_mov_b32 s0, 0
                                        ; implicit-def: $vgpr40_vgpr41
	s_branch .LBB127_3800
.LBB127_3112:
	s_mov_b32 s94, -1
	s_mov_b32 s58, 0
.LBB127_3113:
                                        ; implicit-def: $vgpr14_vgpr15
.LBB127_3114:
	s_and_b32 vcc_lo, exec_lo, s1
	s_cbranch_vccz .LBB127_3123
; %bb.3115:
	s_cmp_eq_u32 s35, 44
	s_cbranch_scc0 .LBB127_3122
; %bb.3116:
	global_load_u8 v1, v[6:7], off
	s_mov_b32 s94, 0
	s_mov_b32 s58, -1
	s_wait_loadcnt 0x0
	v_lshlrev_b32_e32 v3, 23, v1
	v_cmp_ne_u32_e32 vcc_lo, 0, v1
	s_delay_alu instid0(VALU_DEP_2) | instskip(NEXT) | instid1(VALU_DEP_1)
	v_trunc_f32_e32 v3, v3
	v_mul_f32_e64 v14, 0x2f800000, |v3|
	s_delay_alu instid0(VALU_DEP_1) | instskip(SKIP_1) | instid1(VALU_DEP_2)
	v_floor_f32_e32 v15, v14
	v_ashrrev_i32_e32 v14, 31, v3
	v_fma_f32 v16, 0xcf800000, v15, |v3|
	v_cvt_u32_f32_e32 v3, v15
	s_delay_alu instid0(VALU_DEP_3) | instskip(NEXT) | instid1(VALU_DEP_3)
	v_mov_b32_e32 v15, v14
	v_cvt_u32_f32_e32 v16, v16
	s_delay_alu instid0(VALU_DEP_3) | instskip(NEXT) | instid1(VALU_DEP_2)
	v_xor_b32_e32 v17, v3, v14
	v_xor_b32_e32 v16, v16, v14
	s_delay_alu instid0(VALU_DEP_1) | instskip(NEXT) | instid1(VALU_DEP_1)
	v_sub_nc_u64_e32 v[14:15], v[16:17], v[14:15]
	v_dual_cndmask_b32 v15, 0, v15 :: v_dual_cndmask_b32 v14, 0, v14
	s_branch .LBB127_3123
.LBB127_3117:
	s_mov_b32 s45, -1
	s_mov_b32 s46, 0
.LBB127_3118:
                                        ; implicit-def: $vgpr10_vgpr11
.LBB127_3119:
	s_and_b32 vcc_lo, exec_lo, s1
	s_cbranch_vccz .LBB127_3259
; %bb.3120:
	s_cmp_eq_u32 s35, 44
	s_cbranch_scc0 .LBB127_3258
; %bb.3121:
	global_load_u8 v1, v[14:15], off
	s_mov_b32 s45, 0
	s_mov_b32 s46, -1
	s_wait_loadcnt 0x0
	v_lshlrev_b32_e32 v3, 23, v1
	v_cmp_ne_u32_e32 vcc_lo, 0, v1
	s_delay_alu instid0(VALU_DEP_2) | instskip(NEXT) | instid1(VALU_DEP_1)
	v_trunc_f32_e32 v3, v3
	v_mul_f32_e64 v7, 0x2f800000, |v3|
	v_ashrrev_i32_e32 v10, 31, v3
	s_delay_alu instid0(VALU_DEP_2) | instskip(NEXT) | instid1(VALU_DEP_1)
	v_floor_f32_e32 v7, v7
	v_fma_f32 v11, 0xcf800000, v7, |v3|
	v_cvt_u32_f32_e32 v3, v7
	s_delay_alu instid0(VALU_DEP_2) | instskip(NEXT) | instid1(VALU_DEP_2)
	v_cvt_u32_f32_e32 v7, v11
	v_dual_mov_b32 v11, v10 :: v_dual_bitop2_b32 v17, v3, v10 bitop3:0x14
	s_delay_alu instid0(VALU_DEP_2) | instskip(NEXT) | instid1(VALU_DEP_1)
	v_xor_b32_e32 v16, v7, v10
	v_sub_nc_u64_e32 v[10:11], v[16:17], v[10:11]
	s_delay_alu instid0(VALU_DEP_1)
	v_dual_cndmask_b32 v11, 0, v11 :: v_dual_cndmask_b32 v10, 0, v10
	s_branch .LBB127_3259
.LBB127_3122:
	s_mov_b32 s94, -1
                                        ; implicit-def: $vgpr14_vgpr15
.LBB127_3123:
	s_mov_b32 s1, 0
.LBB127_3124:
	s_delay_alu instid0(SALU_CYCLE_1)
	s_and_b32 vcc_lo, exec_lo, s1
	s_cbranch_vccz .LBB127_3128
; %bb.3125:
	s_cmp_eq_u32 s35, 29
	s_cbranch_scc0 .LBB127_3127
; %bb.3126:
	global_load_b64 v[14:15], v[6:7], off
	s_mov_b32 s58, -1
	s_mov_b32 s94, 0
	s_branch .LBB127_3128
.LBB127_3127:
	s_mov_b32 s94, -1
                                        ; implicit-def: $vgpr14_vgpr15
.LBB127_3128:
	s_mov_b32 s1, 0
.LBB127_3129:
	s_delay_alu instid0(SALU_CYCLE_1)
	s_and_b32 vcc_lo, exec_lo, s1
	s_cbranch_vccz .LBB127_3145
; %bb.3130:
	s_cmp_lt_i32 s35, 27
	s_cbranch_scc1 .LBB127_3133
; %bb.3131:
	s_cmp_gt_i32 s35, 27
	s_cbranch_scc0 .LBB127_3134
; %bb.3132:
	s_wait_loadcnt 0x0
	global_load_b32 v14, v[6:7], off
	v_mov_b32_e32 v15, 0
	s_mov_b32 s1, 0
	s_branch .LBB127_3135
.LBB127_3133:
	s_mov_b32 s1, -1
                                        ; implicit-def: $vgpr14_vgpr15
	s_branch .LBB127_3138
.LBB127_3134:
	s_mov_b32 s1, -1
                                        ; implicit-def: $vgpr14_vgpr15
.LBB127_3135:
	s_delay_alu instid0(SALU_CYCLE_1)
	s_and_not1_b32 vcc_lo, exec_lo, s1
	s_cbranch_vccnz .LBB127_3137
; %bb.3136:
	global_load_u16 v1, v[6:7], off
	s_mov_b32 s1, 0
	s_wait_loadcnt 0x1
	v_mov_b32_e32 v15, s1
	s_wait_loadcnt 0x0
	v_and_b32_e32 v14, 0xffff, v1
.LBB127_3137:
	s_mov_b32 s1, 0
.LBB127_3138:
	s_delay_alu instid0(SALU_CYCLE_1)
	s_and_not1_b32 vcc_lo, exec_lo, s1
	s_cbranch_vccnz .LBB127_3144
; %bb.3139:
	global_load_u8 v1, v[6:7], off
	s_mov_b32 s58, 0
	s_mov_b32 s1, exec_lo
	s_wait_loadcnt 0x0
	v_cmpx_lt_i16_e32 0x7f, v1
	s_xor_b32 s1, exec_lo, s1
	s_cbranch_execz .LBB127_3156
; %bb.3140:
	v_cmp_ne_u16_e32 vcc_lo, 0x80, v1
	s_and_b32 s58, vcc_lo, exec_lo
	s_and_not1_saveexec_b32 s1, s1
	s_cbranch_execnz .LBB127_3157
.LBB127_3141:
	s_or_b32 exec_lo, exec_lo, s1
	v_mov_b64_e32 v[14:15], 0
	s_and_saveexec_b32 s1, s58
	s_cbranch_execz .LBB127_3143
.LBB127_3142:
	v_and_b32_e32 v3, 0xffff, v1
	s_delay_alu instid0(VALU_DEP_1) | instskip(SKIP_1) | instid1(VALU_DEP_2)
	v_dual_lshlrev_b32 v1, 24, v1 :: v_dual_bitop2_b32 v14, 7, v3 bitop3:0x40
	v_bfe_u32 v17, v3, 3, 4
	v_and_b32_e32 v1, 0x80000000, v1
	s_delay_alu instid0(VALU_DEP_3) | instskip(NEXT) | instid1(VALU_DEP_3)
	v_clz_i32_u32_e32 v15, v14
	v_cmp_eq_u32_e32 vcc_lo, 0, v17
	s_delay_alu instid0(VALU_DEP_2) | instskip(NEXT) | instid1(VALU_DEP_1)
	v_min_u32_e32 v15, 32, v15
	v_subrev_nc_u32_e32 v16, 28, v15
	v_sub_nc_u32_e32 v15, 29, v15
	s_delay_alu instid0(VALU_DEP_2) | instskip(NEXT) | instid1(VALU_DEP_2)
	v_lshlrev_b32_e32 v3, v16, v3
	v_cndmask_b32_e32 v15, v17, v15, vcc_lo
	s_delay_alu instid0(VALU_DEP_2) | instskip(NEXT) | instid1(VALU_DEP_1)
	v_and_b32_e32 v3, 7, v3
	v_cndmask_b32_e32 v3, v14, v3, vcc_lo
	s_delay_alu instid0(VALU_DEP_3) | instskip(NEXT) | instid1(VALU_DEP_2)
	v_lshl_add_u32 v14, v15, 23, 0x3b800000
	v_lshlrev_b32_e32 v3, 20, v3
	s_delay_alu instid0(VALU_DEP_1) | instskip(NEXT) | instid1(VALU_DEP_1)
	v_or3_b32 v1, v1, v14, v3
	v_trunc_f32_e32 v1, v1
	s_delay_alu instid0(VALU_DEP_1) | instskip(SKIP_1) | instid1(VALU_DEP_2)
	v_mul_f32_e64 v3, 0x2f800000, |v1|
	v_ashrrev_i32_e32 v14, 31, v1
	v_floor_f32_e32 v3, v3
	s_delay_alu instid0(VALU_DEP_1) | instskip(SKIP_1) | instid1(VALU_DEP_2)
	v_fma_f32 v15, 0xcf800000, v3, |v1|
	v_cvt_u32_f32_e32 v1, v3
	v_cvt_u32_f32_e32 v3, v15
	s_delay_alu instid0(VALU_DEP_2) | instskip(NEXT) | instid1(VALU_DEP_2)
	v_dual_mov_b32 v15, v14 :: v_dual_bitop2_b32 v17, v1, v14 bitop3:0x14
	v_xor_b32_e32 v16, v3, v14
	s_delay_alu instid0(VALU_DEP_1)
	v_sub_nc_u64_e32 v[14:15], v[16:17], v[14:15]
.LBB127_3143:
	s_or_b32 exec_lo, exec_lo, s1
.LBB127_3144:
	s_mov_b32 s58, -1
.LBB127_3145:
	s_mov_b32 s1, 0
.LBB127_3146:
	s_delay_alu instid0(SALU_CYCLE_1)
	s_and_b32 vcc_lo, exec_lo, s1
	s_cbranch_vccz .LBB127_3179
; %bb.3147:
	s_cmp_gt_i32 s35, 22
	s_cbranch_scc0 .LBB127_3155
; %bb.3148:
	s_cmp_lt_i32 s35, 24
	s_cbranch_scc1 .LBB127_3158
; %bb.3149:
	s_cmp_gt_i32 s35, 24
	s_cbranch_scc0 .LBB127_3159
; %bb.3150:
	global_load_u8 v1, v[6:7], off
	s_mov_b32 s58, 0
	s_mov_b32 s1, exec_lo
	s_wait_loadcnt 0x0
	v_cmpx_lt_i16_e32 0x7f, v1
	s_xor_b32 s1, exec_lo, s1
	s_cbranch_execz .LBB127_3171
; %bb.3151:
	v_cmp_ne_u16_e32 vcc_lo, 0x80, v1
	s_and_b32 s58, vcc_lo, exec_lo
	s_and_not1_saveexec_b32 s1, s1
	s_cbranch_execnz .LBB127_3172
.LBB127_3152:
	s_or_b32 exec_lo, exec_lo, s1
	v_mov_b64_e32 v[14:15], 0
	s_and_saveexec_b32 s1, s58
	s_cbranch_execz .LBB127_3154
.LBB127_3153:
	v_and_b32_e32 v3, 0xffff, v1
	s_delay_alu instid0(VALU_DEP_1) | instskip(SKIP_1) | instid1(VALU_DEP_2)
	v_dual_lshlrev_b32 v1, 24, v1 :: v_dual_bitop2_b32 v14, 3, v3 bitop3:0x40
	v_bfe_u32 v17, v3, 2, 5
	v_and_b32_e32 v1, 0x80000000, v1
	s_delay_alu instid0(VALU_DEP_3) | instskip(NEXT) | instid1(VALU_DEP_3)
	v_clz_i32_u32_e32 v15, v14
	v_cmp_eq_u32_e32 vcc_lo, 0, v17
	s_delay_alu instid0(VALU_DEP_2) | instskip(NEXT) | instid1(VALU_DEP_1)
	v_min_u32_e32 v15, 32, v15
	v_subrev_nc_u32_e32 v16, 29, v15
	v_sub_nc_u32_e32 v15, 30, v15
	s_delay_alu instid0(VALU_DEP_2) | instskip(NEXT) | instid1(VALU_DEP_2)
	v_lshlrev_b32_e32 v3, v16, v3
	v_cndmask_b32_e32 v15, v17, v15, vcc_lo
	s_delay_alu instid0(VALU_DEP_2) | instskip(NEXT) | instid1(VALU_DEP_1)
	v_and_b32_e32 v3, 3, v3
	v_cndmask_b32_e32 v3, v14, v3, vcc_lo
	s_delay_alu instid0(VALU_DEP_3) | instskip(NEXT) | instid1(VALU_DEP_2)
	v_lshl_add_u32 v14, v15, 23, 0x37800000
	v_lshlrev_b32_e32 v3, 21, v3
	s_delay_alu instid0(VALU_DEP_1) | instskip(NEXT) | instid1(VALU_DEP_1)
	v_or3_b32 v1, v1, v14, v3
	v_trunc_f32_e32 v1, v1
	s_delay_alu instid0(VALU_DEP_1) | instskip(SKIP_1) | instid1(VALU_DEP_2)
	v_mul_f32_e64 v3, 0x2f800000, |v1|
	v_ashrrev_i32_e32 v14, 31, v1
	v_floor_f32_e32 v3, v3
	s_delay_alu instid0(VALU_DEP_1) | instskip(SKIP_1) | instid1(VALU_DEP_2)
	v_fma_f32 v15, 0xcf800000, v3, |v1|
	v_cvt_u32_f32_e32 v1, v3
	v_cvt_u32_f32_e32 v3, v15
	s_delay_alu instid0(VALU_DEP_2) | instskip(NEXT) | instid1(VALU_DEP_2)
	v_dual_mov_b32 v15, v14 :: v_dual_bitop2_b32 v17, v1, v14 bitop3:0x14
	v_xor_b32_e32 v16, v3, v14
	s_delay_alu instid0(VALU_DEP_1)
	v_sub_nc_u64_e32 v[14:15], v[16:17], v[14:15]
.LBB127_3154:
	s_or_b32 exec_lo, exec_lo, s1
	s_mov_b32 s1, 0
	s_branch .LBB127_3160
.LBB127_3155:
	s_mov_b32 s1, -1
                                        ; implicit-def: $vgpr14_vgpr15
	s_branch .LBB127_3166
.LBB127_3156:
	s_and_not1_saveexec_b32 s1, s1
	s_cbranch_execz .LBB127_3141
.LBB127_3157:
	v_cmp_ne_u16_e32 vcc_lo, 0, v1
	s_and_not1_b32 s36, s58, exec_lo
	s_and_b32 s37, vcc_lo, exec_lo
	s_delay_alu instid0(SALU_CYCLE_1)
	s_or_b32 s58, s36, s37
	s_or_b32 exec_lo, exec_lo, s1
	v_mov_b64_e32 v[14:15], 0
	s_and_saveexec_b32 s1, s58
	s_cbranch_execnz .LBB127_3142
	s_branch .LBB127_3143
.LBB127_3158:
	s_mov_b32 s1, -1
                                        ; implicit-def: $vgpr14_vgpr15
	s_branch .LBB127_3163
.LBB127_3159:
	s_mov_b32 s1, -1
                                        ; implicit-def: $vgpr14_vgpr15
.LBB127_3160:
	s_delay_alu instid0(SALU_CYCLE_1)
	s_and_b32 vcc_lo, exec_lo, s1
	s_cbranch_vccz .LBB127_3162
; %bb.3161:
	global_load_u8 v1, v[6:7], off
	s_wait_loadcnt 0x0
	v_lshlrev_b32_e32 v1, 24, v1
	s_delay_alu instid0(VALU_DEP_1) | instskip(NEXT) | instid1(VALU_DEP_1)
	v_and_b32_e32 v3, 0x7f000000, v1
	v_clz_i32_u32_e32 v14, v3
	v_cmp_ne_u32_e32 vcc_lo, 0, v3
	v_add_nc_u32_e32 v16, 0x1000000, v3
	s_delay_alu instid0(VALU_DEP_3) | instskip(NEXT) | instid1(VALU_DEP_1)
	v_min_u32_e32 v14, 32, v14
	v_sub_nc_u32_e64 v14, v14, 4 clamp
	s_delay_alu instid0(VALU_DEP_1) | instskip(NEXT) | instid1(VALU_DEP_1)
	v_dual_lshlrev_b32 v15, v14, v3 :: v_dual_lshlrev_b32 v14, 23, v14
	v_lshrrev_b32_e32 v15, 4, v15
	s_delay_alu instid0(VALU_DEP_1) | instskip(NEXT) | instid1(VALU_DEP_1)
	v_dual_sub_nc_u32 v14, v15, v14 :: v_dual_ashrrev_i32 v15, 8, v16
	v_add_nc_u32_e32 v14, 0x3c000000, v14
	s_delay_alu instid0(VALU_DEP_1) | instskip(NEXT) | instid1(VALU_DEP_1)
	v_and_or_b32 v14, 0x7f800000, v15, v14
	v_cndmask_b32_e32 v3, 0, v14, vcc_lo
	s_delay_alu instid0(VALU_DEP_1) | instskip(NEXT) | instid1(VALU_DEP_1)
	v_and_or_b32 v1, 0x80000000, v1, v3
	v_trunc_f32_e32 v1, v1
	s_delay_alu instid0(VALU_DEP_1) | instskip(SKIP_1) | instid1(VALU_DEP_2)
	v_mul_f32_e64 v3, 0x2f800000, |v1|
	v_ashrrev_i32_e32 v14, 31, v1
	v_floor_f32_e32 v3, v3
	s_delay_alu instid0(VALU_DEP_1) | instskip(SKIP_1) | instid1(VALU_DEP_2)
	v_fma_f32 v15, 0xcf800000, v3, |v1|
	v_cvt_u32_f32_e32 v1, v3
	v_cvt_u32_f32_e32 v3, v15
	s_delay_alu instid0(VALU_DEP_2) | instskip(NEXT) | instid1(VALU_DEP_2)
	v_dual_mov_b32 v15, v14 :: v_dual_bitop2_b32 v17, v1, v14 bitop3:0x14
	v_xor_b32_e32 v16, v3, v14
	s_delay_alu instid0(VALU_DEP_1)
	v_sub_nc_u64_e32 v[14:15], v[16:17], v[14:15]
.LBB127_3162:
	s_mov_b32 s1, 0
.LBB127_3163:
	s_delay_alu instid0(SALU_CYCLE_1)
	s_and_not1_b32 vcc_lo, exec_lo, s1
	s_cbranch_vccnz .LBB127_3165
; %bb.3164:
	global_load_u8 v1, v[6:7], off
	s_wait_loadcnt 0x0
	v_lshlrev_b32_e32 v3, 25, v1
	v_lshlrev_b16 v1, 8, v1
	s_delay_alu instid0(VALU_DEP_1) | instskip(SKIP_1) | instid1(VALU_DEP_2)
	v_and_or_b32 v15, 0x7f00, v1, 0.5
	v_bfe_i32 v1, v1, 0, 16
	v_add_f32_e32 v15, -0.5, v15
	v_lshrrev_b32_e32 v14, 4, v3
	v_cmp_gt_u32_e32 vcc_lo, 0x8000000, v3
	s_delay_alu instid0(VALU_DEP_2) | instskip(NEXT) | instid1(VALU_DEP_1)
	v_or_b32_e32 v14, 0x70000000, v14
	v_mul_f32_e32 v14, 0x7800000, v14
	s_delay_alu instid0(VALU_DEP_1) | instskip(NEXT) | instid1(VALU_DEP_1)
	v_cndmask_b32_e32 v3, v14, v15, vcc_lo
	v_and_or_b32 v1, 0x80000000, v1, v3
	s_delay_alu instid0(VALU_DEP_1) | instskip(NEXT) | instid1(VALU_DEP_1)
	v_trunc_f32_e32 v1, v1
	v_mul_f32_e64 v3, 0x2f800000, |v1|
	v_ashrrev_i32_e32 v14, 31, v1
	s_delay_alu instid0(VALU_DEP_2) | instskip(NEXT) | instid1(VALU_DEP_1)
	v_floor_f32_e32 v3, v3
	v_fma_f32 v15, 0xcf800000, v3, |v1|
	v_cvt_u32_f32_e32 v1, v3
	s_delay_alu instid0(VALU_DEP_2) | instskip(NEXT) | instid1(VALU_DEP_2)
	v_cvt_u32_f32_e32 v3, v15
	v_dual_mov_b32 v15, v14 :: v_dual_bitop2_b32 v17, v1, v14 bitop3:0x14
	s_delay_alu instid0(VALU_DEP_2) | instskip(NEXT) | instid1(VALU_DEP_1)
	v_xor_b32_e32 v16, v3, v14
	v_sub_nc_u64_e32 v[14:15], v[16:17], v[14:15]
.LBB127_3165:
	s_mov_b32 s1, 0
	s_mov_b32 s58, -1
.LBB127_3166:
	s_and_not1_b32 vcc_lo, exec_lo, s1
	s_cbranch_vccnz .LBB127_3179
; %bb.3167:
	s_cmp_gt_i32 s35, 14
	s_cbranch_scc0 .LBB127_3170
; %bb.3168:
	s_cmp_eq_u32 s35, 15
	s_cbranch_scc0 .LBB127_3173
; %bb.3169:
	global_load_u16 v1, v[6:7], off
	s_mov_b32 s58, -1
	s_mov_b32 s94, 0
	s_wait_loadcnt 0x0
	v_lshlrev_b32_e32 v1, 16, v1
	s_delay_alu instid0(VALU_DEP_1) | instskip(NEXT) | instid1(VALU_DEP_1)
	v_trunc_f32_e32 v1, v1
	v_mul_f32_e64 v3, 0x2f800000, |v1|
	v_ashrrev_i32_e32 v14, 31, v1
	s_delay_alu instid0(VALU_DEP_2) | instskip(NEXT) | instid1(VALU_DEP_1)
	v_floor_f32_e32 v3, v3
	v_fma_f32 v15, 0xcf800000, v3, |v1|
	v_cvt_u32_f32_e32 v1, v3
	s_delay_alu instid0(VALU_DEP_2) | instskip(NEXT) | instid1(VALU_DEP_2)
	v_cvt_u32_f32_e32 v3, v15
	v_dual_mov_b32 v15, v14 :: v_dual_bitop2_b32 v17, v1, v14 bitop3:0x14
	s_delay_alu instid0(VALU_DEP_2) | instskip(NEXT) | instid1(VALU_DEP_1)
	v_xor_b32_e32 v16, v3, v14
	v_sub_nc_u64_e32 v[14:15], v[16:17], v[14:15]
	s_branch .LBB127_3174
.LBB127_3170:
	s_mov_b32 s1, -1
                                        ; implicit-def: $vgpr14_vgpr15
	s_branch .LBB127_3175
.LBB127_3171:
	s_and_not1_saveexec_b32 s1, s1
	s_cbranch_execz .LBB127_3152
.LBB127_3172:
	v_cmp_ne_u16_e32 vcc_lo, 0, v1
	s_and_not1_b32 s36, s58, exec_lo
	s_and_b32 s37, vcc_lo, exec_lo
	s_delay_alu instid0(SALU_CYCLE_1)
	s_or_b32 s58, s36, s37
	s_or_b32 exec_lo, exec_lo, s1
	v_mov_b64_e32 v[14:15], 0
	s_and_saveexec_b32 s1, s58
	s_cbranch_execnz .LBB127_3153
	s_branch .LBB127_3154
.LBB127_3173:
	s_mov_b32 s94, -1
                                        ; implicit-def: $vgpr14_vgpr15
.LBB127_3174:
	s_mov_b32 s1, 0
.LBB127_3175:
	s_delay_alu instid0(SALU_CYCLE_1)
	s_and_b32 vcc_lo, exec_lo, s1
	s_cbranch_vccz .LBB127_3179
; %bb.3176:
	s_cmp_eq_u32 s35, 11
	s_cbranch_scc0 .LBB127_3178
; %bb.3177:
	global_load_u8 v1, v[6:7], off
	s_mov_b32 s94, 0
	s_mov_b32 s58, -1
	s_wait_loadcnt 0x1
	v_mov_b32_e32 v15, s94
	s_wait_loadcnt 0x0
	v_cmp_ne_u16_e32 vcc_lo, 0, v1
	v_cndmask_b32_e64 v14, 0, 1, vcc_lo
	s_branch .LBB127_3179
.LBB127_3178:
	s_mov_b32 s94, -1
                                        ; implicit-def: $vgpr14_vgpr15
.LBB127_3179:
	s_mov_b32 s1, 0
.LBB127_3180:
	s_delay_alu instid0(SALU_CYCLE_1)
	s_and_b32 vcc_lo, exec_lo, s1
	s_cbranch_vccz .LBB127_3229
; %bb.3181:
	s_and_b32 s0, 0xffff, s0
	s_delay_alu instid0(SALU_CYCLE_1)
	s_cmp_lt_i32 s0, 5
	s_cbranch_scc1 .LBB127_3186
; %bb.3182:
	s_cmp_lt_i32 s0, 8
	s_cbranch_scc1 .LBB127_3187
; %bb.3183:
	;; [unrolled: 3-line block ×3, first 2 shown]
	s_cmp_gt_i32 s0, 9
	s_cbranch_scc0 .LBB127_3189
; %bb.3185:
	s_wait_loadcnt 0x0
	global_load_b64 v[14:15], v[6:7], off
	s_mov_b32 s1, 0
	s_wait_loadcnt 0x0
	v_trunc_f64_e32 v[14:15], v[14:15]
	s_delay_alu instid0(VALU_DEP_1) | instskip(NEXT) | instid1(VALU_DEP_1)
	v_ldexp_f64 v[16:17], v[14:15], 0xffffffe0
	v_floor_f64_e32 v[16:17], v[16:17]
	s_delay_alu instid0(VALU_DEP_1) | instskip(SKIP_1) | instid1(VALU_DEP_2)
	v_fmamk_f64 v[18:19], v[16:17], 0xc1f00000, v[14:15]
	v_cvt_i32_f64_e32 v15, v[16:17]
	v_cvt_u32_f64_e32 v14, v[18:19]
	s_branch .LBB127_3190
.LBB127_3186:
	s_mov_b32 s1, -1
                                        ; implicit-def: $vgpr14_vgpr15
	s_branch .LBB127_3208
.LBB127_3187:
	s_mov_b32 s1, -1
                                        ; implicit-def: $vgpr14_vgpr15
	s_branch .LBB127_3196
.LBB127_3188:
	s_mov_b32 s1, -1
                                        ; implicit-def: $vgpr14_vgpr15
	s_branch .LBB127_3193
.LBB127_3189:
	s_mov_b32 s1, -1
                                        ; implicit-def: $vgpr14_vgpr15
.LBB127_3190:
	s_delay_alu instid0(SALU_CYCLE_1)
	s_and_not1_b32 vcc_lo, exec_lo, s1
	s_cbranch_vccnz .LBB127_3192
; %bb.3191:
	global_load_b32 v1, v[6:7], off
	s_wait_loadcnt 0x0
	v_trunc_f32_e32 v1, v1
	s_delay_alu instid0(VALU_DEP_1) | instskip(SKIP_1) | instid1(VALU_DEP_2)
	v_mul_f32_e64 v3, 0x2f800000, |v1|
	v_ashrrev_i32_e32 v14, 31, v1
	v_floor_f32_e32 v3, v3
	s_delay_alu instid0(VALU_DEP_1) | instskip(SKIP_1) | instid1(VALU_DEP_2)
	v_fma_f32 v15, 0xcf800000, v3, |v1|
	v_cvt_u32_f32_e32 v1, v3
	v_cvt_u32_f32_e32 v3, v15
	s_delay_alu instid0(VALU_DEP_2) | instskip(NEXT) | instid1(VALU_DEP_2)
	v_dual_mov_b32 v15, v14 :: v_dual_bitop2_b32 v17, v1, v14 bitop3:0x14
	v_xor_b32_e32 v16, v3, v14
	s_delay_alu instid0(VALU_DEP_1)
	v_sub_nc_u64_e32 v[14:15], v[16:17], v[14:15]
.LBB127_3192:
	s_mov_b32 s1, 0
.LBB127_3193:
	s_delay_alu instid0(SALU_CYCLE_1)
	s_and_not1_b32 vcc_lo, exec_lo, s1
	s_cbranch_vccnz .LBB127_3195
; %bb.3194:
	global_load_b32 v1, v[6:7], off
	s_wait_loadcnt 0x0
	v_cvt_f32_f16_e32 v1, v1
	s_delay_alu instid0(VALU_DEP_1) | instskip(NEXT) | instid1(VALU_DEP_1)
	v_cvt_i32_f32_e32 v14, v1
	v_ashrrev_i32_e32 v15, 31, v14
.LBB127_3195:
	s_mov_b32 s1, 0
.LBB127_3196:
	s_delay_alu instid0(SALU_CYCLE_1)
	s_and_not1_b32 vcc_lo, exec_lo, s1
	s_cbranch_vccnz .LBB127_3207
; %bb.3197:
	s_cmp_lt_i32 s0, 6
	s_cbranch_scc1 .LBB127_3200
; %bb.3198:
	s_cmp_gt_i32 s0, 6
	s_cbranch_scc0 .LBB127_3201
; %bb.3199:
	s_wait_loadcnt 0x0
	global_load_b64 v[14:15], v[6:7], off
	s_mov_b32 s1, 0
	s_wait_loadcnt 0x0
	v_trunc_f64_e32 v[14:15], v[14:15]
	s_delay_alu instid0(VALU_DEP_1) | instskip(NEXT) | instid1(VALU_DEP_1)
	v_ldexp_f64 v[16:17], v[14:15], 0xffffffe0
	v_floor_f64_e32 v[16:17], v[16:17]
	s_delay_alu instid0(VALU_DEP_1) | instskip(SKIP_1) | instid1(VALU_DEP_2)
	v_fmamk_f64 v[18:19], v[16:17], 0xc1f00000, v[14:15]
	v_cvt_i32_f64_e32 v15, v[16:17]
	v_cvt_u32_f64_e32 v14, v[18:19]
	s_branch .LBB127_3202
.LBB127_3200:
	s_mov_b32 s1, -1
                                        ; implicit-def: $vgpr14_vgpr15
	s_branch .LBB127_3205
.LBB127_3201:
	s_mov_b32 s1, -1
                                        ; implicit-def: $vgpr14_vgpr15
.LBB127_3202:
	s_delay_alu instid0(SALU_CYCLE_1)
	s_and_not1_b32 vcc_lo, exec_lo, s1
	s_cbranch_vccnz .LBB127_3204
; %bb.3203:
	global_load_b32 v1, v[6:7], off
	s_wait_loadcnt 0x0
	v_trunc_f32_e32 v1, v1
	s_delay_alu instid0(VALU_DEP_1) | instskip(SKIP_1) | instid1(VALU_DEP_2)
	v_mul_f32_e64 v3, 0x2f800000, |v1|
	v_ashrrev_i32_e32 v14, 31, v1
	v_floor_f32_e32 v3, v3
	s_delay_alu instid0(VALU_DEP_1) | instskip(SKIP_1) | instid1(VALU_DEP_2)
	v_fma_f32 v15, 0xcf800000, v3, |v1|
	v_cvt_u32_f32_e32 v1, v3
	v_cvt_u32_f32_e32 v3, v15
	s_delay_alu instid0(VALU_DEP_2) | instskip(NEXT) | instid1(VALU_DEP_2)
	v_dual_mov_b32 v15, v14 :: v_dual_bitop2_b32 v17, v1, v14 bitop3:0x14
	v_xor_b32_e32 v16, v3, v14
	s_delay_alu instid0(VALU_DEP_1)
	v_sub_nc_u64_e32 v[14:15], v[16:17], v[14:15]
.LBB127_3204:
	s_mov_b32 s1, 0
.LBB127_3205:
	s_delay_alu instid0(SALU_CYCLE_1)
	s_and_not1_b32 vcc_lo, exec_lo, s1
	s_cbranch_vccnz .LBB127_3207
; %bb.3206:
	global_load_u16 v1, v[6:7], off
	s_wait_loadcnt 0x0
	v_cvt_f32_f16_e32 v1, v1
	s_delay_alu instid0(VALU_DEP_1) | instskip(NEXT) | instid1(VALU_DEP_1)
	v_cvt_i32_f32_e32 v14, v1
	v_ashrrev_i32_e32 v15, 31, v14
.LBB127_3207:
	s_mov_b32 s1, 0
.LBB127_3208:
	s_delay_alu instid0(SALU_CYCLE_1)
	s_and_not1_b32 vcc_lo, exec_lo, s1
	s_cbranch_vccnz .LBB127_3228
; %bb.3209:
	s_cmp_lt_i32 s0, 2
	s_cbranch_scc1 .LBB127_3213
; %bb.3210:
	s_cmp_lt_i32 s0, 3
	s_cbranch_scc1 .LBB127_3214
; %bb.3211:
	s_cmp_gt_i32 s0, 3
	s_cbranch_scc0 .LBB127_3215
; %bb.3212:
	s_wait_loadcnt 0x0
	global_load_b64 v[14:15], v[6:7], off
	s_mov_b32 s1, 0
	s_branch .LBB127_3216
.LBB127_3213:
	s_mov_b32 s1, -1
                                        ; implicit-def: $vgpr14_vgpr15
	s_branch .LBB127_3222
.LBB127_3214:
	s_mov_b32 s1, -1
                                        ; implicit-def: $vgpr14_vgpr15
	s_branch .LBB127_3219
.LBB127_3215:
	s_mov_b32 s1, -1
                                        ; implicit-def: $vgpr14_vgpr15
.LBB127_3216:
	s_delay_alu instid0(SALU_CYCLE_1)
	s_and_not1_b32 vcc_lo, exec_lo, s1
	s_cbranch_vccnz .LBB127_3218
; %bb.3217:
	s_wait_loadcnt 0x0
	global_load_b32 v14, v[6:7], off
	s_wait_loadcnt 0x0
	v_ashrrev_i32_e32 v15, 31, v14
.LBB127_3218:
	s_mov_b32 s1, 0
.LBB127_3219:
	s_delay_alu instid0(SALU_CYCLE_1)
	s_and_not1_b32 vcc_lo, exec_lo, s1
	s_cbranch_vccnz .LBB127_3221
; %bb.3220:
	global_load_u16 v1, v[6:7], off
	s_wait_loadcnt 0x0
	v_bfe_i32 v14, v1, 0, 16
	s_delay_alu instid0(VALU_DEP_1)
	v_ashrrev_i32_e32 v15, 31, v14
.LBB127_3221:
	s_mov_b32 s1, 0
.LBB127_3222:
	s_delay_alu instid0(SALU_CYCLE_1)
	s_and_not1_b32 vcc_lo, exec_lo, s1
	s_cbranch_vccnz .LBB127_3228
; %bb.3223:
	s_cmp_gt_i32 s0, 0
	s_mov_b32 s0, 0
	s_cbranch_scc0 .LBB127_3225
; %bb.3224:
	global_load_i8 v1, v[6:7], off
	s_wait_loadcnt 0x0
	v_bfe_i32 v14, v1, 0, 16
	s_delay_alu instid0(VALU_DEP_1)
	v_ashrrev_i32_e32 v15, 31, v14
	s_branch .LBB127_3226
.LBB127_3225:
	s_mov_b32 s0, -1
                                        ; implicit-def: $vgpr14_vgpr15
.LBB127_3226:
	s_delay_alu instid0(SALU_CYCLE_1)
	s_and_not1_b32 vcc_lo, exec_lo, s0
	s_cbranch_vccnz .LBB127_3228
; %bb.3227:
	global_load_u8 v1, v[6:7], off
	s_mov_b32 s0, 0
	s_wait_loadcnt 0x1
	v_mov_b32_e32 v15, s0
	s_wait_loadcnt 0x0
	v_and_b32_e32 v14, 0xffff, v1
.LBB127_3228:
	s_mov_b32 s58, -1
.LBB127_3229:
	s_delay_alu instid0(SALU_CYCLE_1)
	s_and_not1_b32 vcc_lo, exec_lo, s58
	s_cbranch_vccnz .LBB127_3240
; %bb.3230:
	s_load_b512 s[4:19], s[2:3], 0x248
	s_mov_b32 s0, 0
	s_mov_b32 s59, -1
	s_mov_b32 s60, s86
	s_mov_b32 s58, s85
	;; [unrolled: 1-line block ×4, first 2 shown]
	s_wait_loadcnt 0x0
	s_wait_kmcnt 0x0
	v_cmp_eq_u64_e32 vcc_lo, s[16:17], v[4:5]
	s_and_b32 s36, s81, vcc_lo
	s_delay_alu instid0(SALU_CYCLE_1)
	s_and_saveexec_b32 s95, s36
	s_mov_b64 s[14:15], s[78:79]
	s_mov_b32 s12, s76
	s_cbranch_execz .LBB127_4173
; %bb.3231:
	v_cmp_eq_u64_e32 vcc_lo, s[20:21], v[8:9]
	s_mov_b32 s58, -1
	s_mov_b32 s59, s85
	s_mov_b32 s35, s71
	;; [unrolled: 1-line block ×3, first 2 shown]
	s_and_b32 s1, s52, vcc_lo
	s_delay_alu instid0(SALU_CYCLE_1)
	s_and_saveexec_b32 s96, s1
	s_cbranch_execz .LBB127_3695
; %bb.3232:
	s_load_b512 s[4:19], s[2:3], 0x248
	v_sub_nc_u64_e32 v[4:5], v[10:11], v[12:13]
	s_mov_b32 s1, 0
	s_mov_b32 s35, -1
	s_mov_b32 s58, s70
	s_wait_kmcnt 0x0
	s_delay_alu instid0(VALU_DEP_1) | instskip(SKIP_4) | instid1(SALU_CYCLE_1)
	v_cmp_le_i64_e32 vcc_lo, s[16:17], v[4:5]
	v_cmp_ge_i64_e64 s0, s[18:19], v[4:5]
	s_and_b32 s36, vcc_lo, s0
	s_mov_b32 s0, s71
	s_and_b32 s36, s77, s36
	s_and_saveexec_b32 s97, s36
	s_cbranch_execz .LBB127_3694
; %bb.3233:
	v_cmp_lt_i64_e64 s0, s[20:21], 1
	v_mov_b64_e32 v[4:5], 0
	s_xor_b32 s1, s49, -1
	s_delay_alu instid0(SALU_CYCLE_1) | instskip(NEXT) | instid1(SALU_CYCLE_1)
	s_or_b32 s0, s0, s1
	s_and_b32 vcc_lo, exec_lo, s0
	s_cbranch_vccnz .LBB127_3241
; %bb.3234:
	v_mul_u64_e32 v[8:9], s[20:21], v[14:15]
	s_mov_b32 s59, 0
	v_mov_b64_e32 v[4:5], 0
	s_mov_b32 s35, s59
	v_mov_b32_e32 v6, 0
	s_lshl_b64 s[0:1], s[34:35], 3
	s_mov_b32 s35, s22
	s_add_nc_u64 s[60:61], s[24:25], s[0:1]
	s_add_nc_u64 s[62:63], s[26:27], s[0:1]
	s_branch .LBB127_3236
.LBB127_3235:                           ;   in Loop: Header=BB127_3236 Depth=1
	s_or_b32 exec_lo, exec_lo, s0
	global_load_b64 v[16:17], v6, s[62:63]
	v_mul_u64_e32 v[18:19], s[64:65], v[14:15]
	s_add_co_i32 s35, s35, -1
	s_add_nc_u64 s[60:61], s[60:61], -8
	s_cmp_lg_u32 s35, 0
	s_wait_xcnt 0x0
	s_add_nc_u64 s[62:63], s[62:63], -8
	s_delay_alu instid0(VALU_DEP_1) | instskip(SKIP_1) | instid1(VALU_DEP_1)
	v_sub_nc_u64_e32 v[8:9], v[8:9], v[18:19]
	s_wait_loadcnt 0x0
	v_mad_nc_u64_u32 v[4:5], v8, v16, v[4:5]
	s_delay_alu instid0(VALU_DEP_1) | instskip(NEXT) | instid1(VALU_DEP_1)
	v_mad_u32 v1, v9, v16, v5
	v_mad_u32 v5, v8, v17, v1
	v_mov_b64_e32 v[8:9], v[14:15]
	s_cbranch_scc0 .LBB127_3241
.LBB127_3236:                           ; =>This Inner Loop Header: Depth=1
	global_load_b64 v[14:15], v6, s[60:61]
	s_mov_b32 s0, exec_lo
	s_wait_loadcnt 0x0
	v_or_b32_e32 v7, v9, v15
	v_readfirstlane_b32 s64, v14
	v_readfirstlane_b32 s65, v15
                                        ; implicit-def: $vgpr14_vgpr15
	s_wait_xcnt 0x0
	s_delay_alu instid0(VALU_DEP_3)
	v_cmpx_ne_u64_e32 0, v[6:7]
	s_xor_b32 s98, exec_lo, s0
	s_cbranch_execz .LBB127_3238
; %bb.3237:                             ;   in Loop: Header=BB127_3236 Depth=1
	s_ashr_i32 s66, s65, 31
	s_mov_b32 s8, s69
	s_mov_b32 s67, s66
	;; [unrolled: 1-line block ×3, first 2 shown]
	s_add_nc_u64 s[0:1], s[64:65], s[66:67]
	s_mov_b64 s[4:5], s[40:41]
	s_xor_b64 s[68:69], s[0:1], s[66:67]
	s_mov_b64 s[6:7], s[42:43]
	s_cvt_f32_u32 s0, s68
	s_cvt_f32_u32 s1, s69
	s_sub_nc_u64 s[36:37], 0, s[68:69]
	s_mov_b32 s9, s48
	v_dual_mov_b32 v19, v6 :: v_dual_ashrrev_i32 v14, 31, v9
	s_fmamk_f32 s0, s1, 0x4f800000, s0
	s_delay_alu instid0(VALU_DEP_1) | instskip(NEXT) | instid1(SALU_CYCLE_2)
	v_mov_b32_e32 v15, v14
	v_s_rcp_f32 s0, s0
	s_delay_alu instid0(VALU_DEP_1) | instskip(SKIP_1) | instid1(TRANS32_DEP_1)
	v_add_nc_u64_e32 v[16:17], v[8:9], v[14:15]
	v_mov_b32_e32 v21, v6
	s_mul_f32 s0, s0, 0x5f7ffffc
	s_delay_alu instid0(VALU_DEP_2) | instskip(NEXT) | instid1(SALU_CYCLE_2)
	v_xor_b32_e32 v18, v16, v14
	s_mul_f32 s1, s0, 0x2f800000
	s_delay_alu instid0(VALU_DEP_3) | instskip(SKIP_1) | instid1(SALU_CYCLE_1)
	v_dual_mov_b32 v27, v6 :: v_dual_bitop2_b32 v20, v17, v14 bitop3:0x14
	v_xor_b32_e32 v14, s66, v14
	s_trunc_f32 s1, s1
	s_delay_alu instid0(SALU_CYCLE_3) | instskip(SKIP_1) | instid1(SALU_CYCLE_2)
	s_fmamk_f32 s0, s1, 0xcf800000, s0
	s_cvt_u32_f32 s1, s1
	s_cvt_u32_f32 s0, s0
	s_delay_alu instid0(SALU_CYCLE_3) | instskip(NEXT) | instid1(SALU_CYCLE_1)
	s_mul_u64 s[38:39], s[36:37], s[0:1]
	s_mul_hi_u32 s41, s0, s39
	s_mul_i32 s40, s0, s39
	s_mul_hi_u32 s58, s0, s38
	s_mul_i32 s43, s1, s38
	s_add_nc_u64 s[40:41], s[58:59], s[40:41]
	s_mul_hi_u32 s42, s1, s38
	s_mul_hi_u32 s48, s1, s39
	s_mul_i32 s38, s1, s39
	s_add_co_u32 s39, s40, s43
	s_add_co_ci_u32 s58, s41, s42
	s_add_co_ci_u32 s39, s48, 0
	s_mov_b32 s48, s9
	s_add_nc_u64 s[38:39], s[58:59], s[38:39]
	s_delay_alu instid0(SALU_CYCLE_1) | instskip(SKIP_1) | instid1(SALU_CYCLE_1)
	s_add_co_u32 s0, s0, s38
	s_cselect_b32 s38, -1, 0
	s_cmp_lg_u32 s38, 0
	s_add_co_ci_u32 s1, s1, s39
	s_delay_alu instid0(SALU_CYCLE_1) | instskip(NEXT) | instid1(SALU_CYCLE_1)
	s_mul_u64 s[36:37], s[36:37], s[0:1]
	s_mul_hi_u32 s39, s0, s37
	s_mul_i32 s38, s0, s37
	s_mul_hi_u32 s58, s0, s36
	s_mul_i32 s41, s1, s36
	s_add_nc_u64 s[38:39], s[58:59], s[38:39]
	s_mul_hi_u32 s40, s1, s36
	s_mul_hi_u32 s42, s1, s37
	s_mul_i32 s36, s1, s37
	s_add_co_u32 s37, s38, s41
	s_add_co_ci_u32 s58, s39, s40
	s_add_co_ci_u32 s37, s42, 0
	s_mov_b64 s[42:43], s[6:7]
	s_add_nc_u64 s[36:37], s[58:59], s[36:37]
	s_mov_b64 s[40:41], s[4:5]
	s_add_co_u32 s0, s0, s36
	s_cselect_b32 s36, -1, 0
	v_mul_hi_u32 v26, v18, s0
	s_cmp_lg_u32 s36, 0
	s_add_co_ci_u32 s58, s1, s37
	s_mov_b64 s[36:37], 0xffffffff
	v_mul_u64_e32 v[22:23], s[58:59], v[18:19]
	s_and_b64 s[36:37], s[0:1], s[36:37]
	v_mul_u64_e32 v[24:25], s[58:59], v[20:21]
	v_mul_u64_e32 v[16:17], s[36:37], v[20:21]
	s_delay_alu instid0(VALU_DEP_3) | instskip(NEXT) | instid1(VALU_DEP_1)
	v_add_nc_u64_e32 v[22:23], v[26:27], v[22:23]
	v_add_co_u32 v1, vcc_lo, v22, v16
	s_delay_alu instid0(VALU_DEP_2) | instskip(SKIP_1) | instid1(VALU_DEP_1)
	v_add_co_ci_u32_e32 v26, vcc_lo, v23, v17, vcc_lo
	v_add_co_ci_u32_e32 v25, vcc_lo, 0, v25, vcc_lo
	v_add_nc_u64_e32 v[16:17], v[26:27], v[24:25]
	s_delay_alu instid0(VALU_DEP_1) | instskip(NEXT) | instid1(VALU_DEP_1)
	v_mul_u64_e32 v[22:23], s[68:69], v[16:17]
	v_sub_nc_u32_e32 v1, v20, v23
	s_delay_alu instid0(VALU_DEP_2) | instskip(NEXT) | instid1(VALU_DEP_1)
	v_sub_co_u32 v3, vcc_lo, v18, v22
	v_sub_co_ci_u32_e64 v15, null, v20, v23, vcc_lo
	s_delay_alu instid0(VALU_DEP_3) | instskip(NEXT) | instid1(VALU_DEP_3)
	v_subrev_co_ci_u32_e64 v1, null, s69, v1, vcc_lo
	v_sub_co_u32 v7, s0, v3, s68
	v_add_nc_u64_e32 v[20:21], 1, v[16:17]
	s_delay_alu instid0(VALU_DEP_3) | instskip(NEXT) | instid1(VALU_DEP_3)
	v_subrev_co_ci_u32_e64 v1, null, 0, v1, s0
	v_cmp_le_u32_e32 vcc_lo, s68, v7
	v_cndmask_b32_e64 v7, 0, -1, vcc_lo
	s_delay_alu instid0(VALU_DEP_3)
	v_cmp_le_u32_e32 vcc_lo, s69, v1
	v_cndmask_b32_e64 v18, 0, -1, vcc_lo
	v_cmp_le_u32_e32 vcc_lo, s68, v3
	s_mov_b32 s68, s10
	v_cndmask_b32_e64 v3, 0, -1, vcc_lo
	v_cmp_le_u32_e32 vcc_lo, s69, v15
	v_cndmask_b32_e64 v22, 0, -1, vcc_lo
	v_cmp_eq_u32_e32 vcc_lo, s69, v1
	v_cndmask_b32_e32 v1, v18, v7, vcc_lo
	v_cmp_eq_u32_e32 vcc_lo, s69, v15
	v_add_nc_u64_e32 v[18:19], 2, v[16:17]
	v_mov_b32_e32 v15, v14
	s_mov_b32 s69, s8
	v_cndmask_b32_e32 v3, v22, v3, vcc_lo
	v_cmp_ne_u32_e32 vcc_lo, 0, v1
	s_delay_alu instid0(VALU_DEP_2) | instskip(SKIP_1) | instid1(VALU_DEP_1)
	v_cmp_ne_u32_e64 s0, 0, v3
	v_dual_cndmask_b32 v1, v21, v19, vcc_lo :: v_dual_cndmask_b32 v3, v20, v18, vcc_lo
	v_dual_cndmask_b32 v1, v17, v1, s0 :: v_dual_cndmask_b32 v3, v16, v3, s0
	s_delay_alu instid0(VALU_DEP_1) | instskip(NEXT) | instid1(VALU_DEP_2)
	v_xor_b32_e32 v17, v1, v14
	v_xor_b32_e32 v16, v3, v14
	s_delay_alu instid0(VALU_DEP_1)
	v_sub_nc_u64_e32 v[14:15], v[16:17], v[14:15]
.LBB127_3238:                           ;   in Loop: Header=BB127_3236 Depth=1
	s_and_not1_saveexec_b32 s0, s98
	s_cbranch_execz .LBB127_3235
; %bb.3239:                             ;   in Loop: Header=BB127_3236 Depth=1
	v_cvt_f32_u32_e32 v1, s64
	s_sub_co_i32 s1, 0, s64
	v_mov_b32_e32 v15, v6
	s_delay_alu instid0(VALU_DEP_2) | instskip(SKIP_1) | instid1(TRANS32_DEP_1)
	v_rcp_iflag_f32_e32 v1, v1
	v_nop
	v_mul_f32_e32 v1, 0x4f7ffffe, v1
	s_delay_alu instid0(VALU_DEP_1) | instskip(NEXT) | instid1(VALU_DEP_1)
	v_cvt_u32_f32_e32 v1, v1
	v_mul_lo_u32 v3, s1, v1
	s_delay_alu instid0(VALU_DEP_1) | instskip(NEXT) | instid1(VALU_DEP_1)
	v_mul_hi_u32 v3, v1, v3
	v_add_nc_u32_e32 v1, v1, v3
	s_delay_alu instid0(VALU_DEP_1) | instskip(NEXT) | instid1(VALU_DEP_1)
	v_mul_hi_u32 v1, v8, v1
	v_mul_lo_u32 v3, v1, s64
	s_delay_alu instid0(VALU_DEP_1) | instskip(NEXT) | instid1(VALU_DEP_1)
	v_sub_nc_u32_e32 v3, v8, v3
	v_subrev_nc_u32_e32 v14, s64, v3
	v_cmp_le_u32_e32 vcc_lo, s64, v3
	s_delay_alu instid0(VALU_DEP_2) | instskip(NEXT) | instid1(VALU_DEP_1)
	v_dual_add_nc_u32 v7, 1, v1 :: v_dual_cndmask_b32 v3, v3, v14, vcc_lo
	v_cndmask_b32_e32 v1, v1, v7, vcc_lo
	s_delay_alu instid0(VALU_DEP_2) | instskip(NEXT) | instid1(VALU_DEP_2)
	v_cmp_le_u32_e32 vcc_lo, s64, v3
	v_add_nc_u32_e32 v7, 1, v1
	s_delay_alu instid0(VALU_DEP_1)
	v_cndmask_b32_e32 v14, v1, v7, vcc_lo
	s_branch .LBB127_3235
.LBB127_3240:
	s_mov_b32 s0, 0
	s_mov_b32 s1, s70
	;; [unrolled: 1-line block ×6, first 2 shown]
	s_branch .LBB127_679
.LBB127_3241:
	s_mov_b32 s59, -1
	s_mov_b32 s0, s71
	s_mov_b32 s1, exec_lo
	v_cmpx_gt_i64_e64 v[10:11], v[12:13]
	s_cbranch_execz .LBB127_3247
; %bb.3242:
	s_delay_alu instid0(VALU_DEP_2) | instskip(SKIP_2) | instid1(VALU_DEP_1)
	v_lshlrev_b64_e32 v[4:5], 3, v[4:5]
	s_mov_b32 s0, 0
	s_xor_b32 s58, s69, -1
                                        ; implicit-def: $sgpr35
                                        ; implicit-def: $sgpr60
                                        ; implicit-def: $sgpr59
	v_lshl_add_u64 v[6:7], v[12:13], 3, v[4:5]
	v_add_nc_u64_e32 v[8:9], s[28:29], v[4:5]
	s_delay_alu instid0(VALU_DEP_2) | instskip(NEXT) | instid1(VALU_DEP_1)
	v_add_nc_u64_e32 v[6:7], s[28:29], v[6:7]
	v_add_nc_u64_e32 v[4:5], 8, v[6:7]
	s_delay_alu instid0(VALU_DEP_3)
	v_lshl_add_u64 v[6:7], v[10:11], 3, v[8:9]
	s_branch .LBB127_3244
.LBB127_3243:                           ;   in Loop: Header=BB127_3244 Depth=1
	s_or_b32 exec_lo, exec_lo, s61
	s_delay_alu instid0(SALU_CYCLE_1) | instskip(NEXT) | instid1(SALU_CYCLE_1)
	s_and_b32 s36, exec_lo, s60
	s_or_b32 s0, s36, s0
	s_and_not1_b32 s35, s35, exec_lo
	s_and_b32 s36, s59, exec_lo
	s_delay_alu instid0(SALU_CYCLE_1)
	s_or_b32 s35, s35, s36
	s_and_not1_b32 exec_lo, exec_lo, s0
	s_cbranch_execz .LBB127_3246
.LBB127_3244:                           ; =>This Inner Loop Header: Depth=1
	s_or_b32 s59, s59, exec_lo
	s_or_b32 s60, s60, exec_lo
	s_mov_b32 s61, exec_lo
	s_delay_alu instid0(VALU_DEP_2)
	v_cmpx_lt_u64_e64 v[4:5], v[6:7]
	s_cbranch_execz .LBB127_3243
; %bb.3245:                             ;   in Loop: Header=BB127_3244 Depth=1
	global_load_b128 v[8:11], v[4:5], off offset:-8
	s_wait_xcnt 0x0
	v_add_nc_u64_e32 v[4:5], 8, v[4:5]
	s_and_not1_b32 s37, s60, exec_lo
	s_and_not1_b32 s59, s59, exec_lo
	s_wait_loadcnt 0x0
	v_cmp_ge_i64_e32 vcc_lo, v[8:9], v[10:11]
	s_or_b32 s36, s58, vcc_lo
	s_delay_alu instid0(SALU_CYCLE_1) | instskip(NEXT) | instid1(SALU_CYCLE_1)
	s_and_b32 s36, s36, exec_lo
	s_or_b32 s60, s37, s36
	s_branch .LBB127_3243
.LBB127_3246:
	s_or_b32 exec_lo, exec_lo, s0
	s_delay_alu instid0(SALU_CYCLE_1)
	s_or_b32 s0, s71, exec_lo
	s_or_not1_b32 s59, s35, exec_lo
.LBB127_3247:
	s_or_b32 exec_lo, exec_lo, s1
	s_mov_b32 s1, 0
	s_mov_b32 s58, s70
	s_and_saveexec_b32 s35, s59
	s_cbranch_execz .LBB127_3693
; %bb.3248:
	s_load_b512 s[4:19], s[2:3], 0x248
	v_mov_b32_e32 v3, 0
	s_and_b32 s59, s30, 0xff
	s_delay_alu instid0(SALU_CYCLE_1) | instskip(SKIP_1) | instid1(VALU_DEP_1)
	s_cmp_lt_i32 s59, 11
	s_wait_kmcnt 0x0
	v_add_nc_u64_e32 v[2:3], s[4:5], v[2:3]
	s_cbranch_scc1 .LBB127_3255
; %bb.3249:
	s_and_b32 s60, 0xffff, s59
	s_delay_alu instid0(SALU_CYCLE_1)
	s_cmp_gt_i32 s60, 25
	s_cbranch_scc0 .LBB127_3256
; %bb.3250:
	s_cmp_gt_i32 s60, 28
	s_cbranch_scc0 .LBB127_3257
; %bb.3251:
	s_mov_b32 s4, s53
	s_mov_b32 s5, s52
	;; [unrolled: 1-line block ×4, first 2 shown]
	s_cmp_gt_i32 s60, 43
	s_cbranch_scc0 .LBB127_3465
; %bb.3252:
	s_cmp_gt_i32 s60, 45
	s_cbranch_scc0 .LBB127_3609
; %bb.3253:
	s_mov_b32 s58, -1
	s_cmp_eq_u32 s60, 46
	s_mov_b32 s61, 0
	s_cbranch_scc0 .LBB127_3610
; %bb.3254:
	v_mov_b32_e32 v1, 0
	s_mov_b32 s61, -1
	s_mov_b32 s58, 0
	global_store_b32 v[2:3], v1, off
	s_branch .LBB127_3610
.LBB127_3255:
	s_mov_b32 s1, -1
	s_mov_b32 s61, 0
	s_mov_b32 s58, s70
	s_branch .LBB127_3650
.LBB127_3256:
	s_mov_b32 s1, -1
	s_mov_b32 s61, 0
	s_mov_b32 s58, s70
	s_branch .LBB127_3629
.LBB127_3257:
	s_mov_b32 s1, -1
	s_mov_b32 s61, 0
	s_mov_b32 s58, s70
	s_branch .LBB127_3618
.LBB127_3258:
	s_mov_b32 s45, -1
                                        ; implicit-def: $vgpr10_vgpr11
.LBB127_3259:
	s_mov_b32 s1, 0
.LBB127_3260:
	s_delay_alu instid0(SALU_CYCLE_1)
	s_and_b32 vcc_lo, exec_lo, s1
	s_cbranch_vccz .LBB127_3264
; %bb.3261:
	s_cmp_eq_u32 s35, 29
	s_cbranch_scc0 .LBB127_3263
; %bb.3262:
	global_load_b64 v[10:11], v[14:15], off
	s_mov_b32 s46, -1
	s_mov_b32 s45, 0
	s_branch .LBB127_3264
.LBB127_3263:
	s_mov_b32 s45, -1
                                        ; implicit-def: $vgpr10_vgpr11
.LBB127_3264:
	s_mov_b32 s1, 0
.LBB127_3265:
	s_delay_alu instid0(SALU_CYCLE_1)
	s_and_b32 vcc_lo, exec_lo, s1
	s_cbranch_vccz .LBB127_3281
; %bb.3266:
	s_cmp_lt_i32 s35, 27
	s_cbranch_scc1 .LBB127_3269
; %bb.3267:
	s_cmp_gt_i32 s35, 27
	s_cbranch_scc0 .LBB127_3270
; %bb.3268:
	s_wait_loadcnt 0x0
	global_load_b32 v10, v[14:15], off
	v_mov_b32_e32 v11, 0
	s_mov_b32 s1, 0
	s_branch .LBB127_3271
.LBB127_3269:
	s_mov_b32 s1, -1
                                        ; implicit-def: $vgpr10_vgpr11
	s_branch .LBB127_3274
.LBB127_3270:
	s_mov_b32 s1, -1
                                        ; implicit-def: $vgpr10_vgpr11
.LBB127_3271:
	s_delay_alu instid0(SALU_CYCLE_1)
	s_and_not1_b32 vcc_lo, exec_lo, s1
	s_cbranch_vccnz .LBB127_3273
; %bb.3272:
	global_load_u16 v1, v[14:15], off
	s_mov_b32 s1, 0
	s_wait_loadcnt 0x1
	v_mov_b32_e32 v11, s1
	s_wait_loadcnt 0x0
	v_and_b32_e32 v10, 0xffff, v1
.LBB127_3273:
	s_mov_b32 s1, 0
.LBB127_3274:
	s_delay_alu instid0(SALU_CYCLE_1)
	s_and_not1_b32 vcc_lo, exec_lo, s1
	s_cbranch_vccnz .LBB127_3280
; %bb.3275:
	global_load_u8 v1, v[14:15], off
	s_mov_b32 s46, 0
	s_mov_b32 s1, exec_lo
	s_wait_loadcnt 0x0
	v_cmpx_lt_i16_e32 0x7f, v1
	s_xor_b32 s1, exec_lo, s1
	s_cbranch_execz .LBB127_3292
; %bb.3276:
	v_cmp_ne_u16_e32 vcc_lo, 0x80, v1
	s_and_b32 s46, vcc_lo, exec_lo
	s_and_not1_saveexec_b32 s1, s1
	s_cbranch_execnz .LBB127_3293
.LBB127_3277:
	s_or_b32 exec_lo, exec_lo, s1
	v_mov_b64_e32 v[10:11], 0
	s_and_saveexec_b32 s1, s46
	s_cbranch_execz .LBB127_3279
.LBB127_3278:
	v_and_b32_e32 v3, 0xffff, v1
	s_delay_alu instid0(VALU_DEP_1) | instskip(SKIP_1) | instid1(VALU_DEP_2)
	v_and_b32_e32 v7, 7, v3
	v_bfe_u32 v16, v3, 3, 4
	v_clz_i32_u32_e32 v10, v7
	s_delay_alu instid0(VALU_DEP_2) | instskip(NEXT) | instid1(VALU_DEP_2)
	v_cmp_eq_u32_e32 vcc_lo, 0, v16
	v_min_u32_e32 v10, 32, v10
	s_delay_alu instid0(VALU_DEP_1) | instskip(NEXT) | instid1(VALU_DEP_1)
	v_subrev_nc_u32_e32 v11, 28, v10
	v_dual_lshlrev_b32 v3, v11, v3 :: v_dual_sub_nc_u32 v10, 29, v10
	s_delay_alu instid0(VALU_DEP_1) | instskip(NEXT) | instid1(VALU_DEP_1)
	v_dual_lshlrev_b32 v1, 24, v1 :: v_dual_bitop2_b32 v3, 7, v3 bitop3:0x40
	v_dual_cndmask_b32 v10, v16, v10 :: v_dual_cndmask_b32 v3, v7, v3
	s_delay_alu instid0(VALU_DEP_2) | instskip(NEXT) | instid1(VALU_DEP_2)
	v_and_b32_e32 v1, 0x80000000, v1
	v_lshl_add_u32 v7, v10, 23, 0x3b800000
	s_delay_alu instid0(VALU_DEP_3) | instskip(NEXT) | instid1(VALU_DEP_1)
	v_lshlrev_b32_e32 v3, 20, v3
	v_or3_b32 v1, v1, v7, v3
	s_delay_alu instid0(VALU_DEP_1) | instskip(NEXT) | instid1(VALU_DEP_1)
	v_trunc_f32_e32 v1, v1
	v_mul_f32_e64 v3, 0x2f800000, |v1|
	v_ashrrev_i32_e32 v10, 31, v1
	s_delay_alu instid0(VALU_DEP_2) | instskip(NEXT) | instid1(VALU_DEP_2)
	v_floor_f32_e32 v3, v3
	v_mov_b32_e32 v11, v10
	s_delay_alu instid0(VALU_DEP_2) | instskip(SKIP_1) | instid1(VALU_DEP_2)
	v_fma_f32 v7, 0xcf800000, v3, |v1|
	v_cvt_u32_f32_e32 v1, v3
	v_cvt_u32_f32_e32 v3, v7
	s_delay_alu instid0(VALU_DEP_2) | instskip(NEXT) | instid1(VALU_DEP_2)
	v_xor_b32_e32 v17, v1, v10
	v_xor_b32_e32 v16, v3, v10
	s_delay_alu instid0(VALU_DEP_1)
	v_sub_nc_u64_e32 v[10:11], v[16:17], v[10:11]
.LBB127_3279:
	s_or_b32 exec_lo, exec_lo, s1
.LBB127_3280:
	s_mov_b32 s46, -1
.LBB127_3281:
	s_mov_b32 s1, 0
.LBB127_3282:
	s_delay_alu instid0(SALU_CYCLE_1)
	s_and_b32 vcc_lo, exec_lo, s1
	s_cbranch_vccz .LBB127_3315
; %bb.3283:
	s_cmp_gt_i32 s35, 22
	s_cbranch_scc0 .LBB127_3291
; %bb.3284:
	s_cmp_lt_i32 s35, 24
	s_cbranch_scc1 .LBB127_3294
; %bb.3285:
	s_cmp_gt_i32 s35, 24
	s_cbranch_scc0 .LBB127_3295
; %bb.3286:
	global_load_u8 v1, v[14:15], off
	s_mov_b32 s46, 0
	s_mov_b32 s1, exec_lo
	s_wait_loadcnt 0x0
	v_cmpx_lt_i16_e32 0x7f, v1
	s_xor_b32 s1, exec_lo, s1
	s_cbranch_execz .LBB127_3307
; %bb.3287:
	v_cmp_ne_u16_e32 vcc_lo, 0x80, v1
	s_and_b32 s46, vcc_lo, exec_lo
	s_and_not1_saveexec_b32 s1, s1
	s_cbranch_execnz .LBB127_3308
.LBB127_3288:
	s_or_b32 exec_lo, exec_lo, s1
	v_mov_b64_e32 v[10:11], 0
	s_and_saveexec_b32 s1, s46
	s_cbranch_execz .LBB127_3290
.LBB127_3289:
	v_and_b32_e32 v3, 0xffff, v1
	s_delay_alu instid0(VALU_DEP_1) | instskip(SKIP_1) | instid1(VALU_DEP_2)
	v_and_b32_e32 v7, 3, v3
	v_bfe_u32 v16, v3, 2, 5
	v_clz_i32_u32_e32 v10, v7
	s_delay_alu instid0(VALU_DEP_2) | instskip(NEXT) | instid1(VALU_DEP_2)
	v_cmp_eq_u32_e32 vcc_lo, 0, v16
	v_min_u32_e32 v10, 32, v10
	s_delay_alu instid0(VALU_DEP_1) | instskip(NEXT) | instid1(VALU_DEP_1)
	v_subrev_nc_u32_e32 v11, 29, v10
	v_dual_lshlrev_b32 v3, v11, v3 :: v_dual_sub_nc_u32 v10, 30, v10
	s_delay_alu instid0(VALU_DEP_1) | instskip(NEXT) | instid1(VALU_DEP_1)
	v_dual_lshlrev_b32 v1, 24, v1 :: v_dual_bitop2_b32 v3, 3, v3 bitop3:0x40
	v_dual_cndmask_b32 v10, v16, v10 :: v_dual_cndmask_b32 v3, v7, v3
	s_delay_alu instid0(VALU_DEP_2) | instskip(NEXT) | instid1(VALU_DEP_2)
	v_and_b32_e32 v1, 0x80000000, v1
	v_lshl_add_u32 v7, v10, 23, 0x37800000
	s_delay_alu instid0(VALU_DEP_3) | instskip(NEXT) | instid1(VALU_DEP_1)
	v_lshlrev_b32_e32 v3, 21, v3
	v_or3_b32 v1, v1, v7, v3
	s_delay_alu instid0(VALU_DEP_1) | instskip(NEXT) | instid1(VALU_DEP_1)
	v_trunc_f32_e32 v1, v1
	v_mul_f32_e64 v3, 0x2f800000, |v1|
	v_ashrrev_i32_e32 v10, 31, v1
	s_delay_alu instid0(VALU_DEP_2) | instskip(NEXT) | instid1(VALU_DEP_2)
	v_floor_f32_e32 v3, v3
	v_mov_b32_e32 v11, v10
	s_delay_alu instid0(VALU_DEP_2) | instskip(SKIP_1) | instid1(VALU_DEP_2)
	v_fma_f32 v7, 0xcf800000, v3, |v1|
	v_cvt_u32_f32_e32 v1, v3
	v_cvt_u32_f32_e32 v3, v7
	s_delay_alu instid0(VALU_DEP_2) | instskip(NEXT) | instid1(VALU_DEP_2)
	v_xor_b32_e32 v17, v1, v10
	v_xor_b32_e32 v16, v3, v10
	s_delay_alu instid0(VALU_DEP_1)
	v_sub_nc_u64_e32 v[10:11], v[16:17], v[10:11]
.LBB127_3290:
	s_or_b32 exec_lo, exec_lo, s1
	s_mov_b32 s1, 0
	s_branch .LBB127_3296
.LBB127_3291:
	s_mov_b32 s1, -1
                                        ; implicit-def: $vgpr10_vgpr11
	s_branch .LBB127_3302
.LBB127_3292:
	s_and_not1_saveexec_b32 s1, s1
	s_cbranch_execz .LBB127_3277
.LBB127_3293:
	v_cmp_ne_u16_e32 vcc_lo, 0, v1
	s_and_not1_b32 s36, s46, exec_lo
	s_and_b32 s37, vcc_lo, exec_lo
	s_delay_alu instid0(SALU_CYCLE_1)
	s_or_b32 s46, s36, s37
	s_or_b32 exec_lo, exec_lo, s1
	v_mov_b64_e32 v[10:11], 0
	s_and_saveexec_b32 s1, s46
	s_cbranch_execnz .LBB127_3278
	s_branch .LBB127_3279
.LBB127_3294:
	s_mov_b32 s1, -1
                                        ; implicit-def: $vgpr10_vgpr11
	s_branch .LBB127_3299
.LBB127_3295:
	s_mov_b32 s1, -1
                                        ; implicit-def: $vgpr10_vgpr11
.LBB127_3296:
	s_delay_alu instid0(SALU_CYCLE_1)
	s_and_b32 vcc_lo, exec_lo, s1
	s_cbranch_vccz .LBB127_3298
; %bb.3297:
	global_load_u8 v1, v[14:15], off
	s_wait_loadcnt 0x0
	v_lshlrev_b32_e32 v1, 24, v1
	s_delay_alu instid0(VALU_DEP_1) | instskip(NEXT) | instid1(VALU_DEP_1)
	v_and_b32_e32 v3, 0x7f000000, v1
	v_clz_i32_u32_e32 v7, v3
	v_add_nc_u32_e32 v11, 0x1000000, v3
	v_cmp_ne_u32_e32 vcc_lo, 0, v3
	s_delay_alu instid0(VALU_DEP_3) | instskip(NEXT) | instid1(VALU_DEP_1)
	v_min_u32_e32 v7, 32, v7
	v_sub_nc_u32_e64 v7, v7, 4 clamp
	s_delay_alu instid0(VALU_DEP_1) | instskip(NEXT) | instid1(VALU_DEP_1)
	v_lshlrev_b32_e32 v10, v7, v3
	v_dual_lshlrev_b32 v7, 23, v7 :: v_dual_lshrrev_b32 v10, 4, v10
	s_delay_alu instid0(VALU_DEP_1) | instskip(SKIP_1) | instid1(VALU_DEP_2)
	v_sub_nc_u32_e32 v7, v10, v7
	v_ashrrev_i32_e32 v10, 8, v11
	v_add_nc_u32_e32 v7, 0x3c000000, v7
	s_delay_alu instid0(VALU_DEP_1) | instskip(NEXT) | instid1(VALU_DEP_1)
	v_and_or_b32 v7, 0x7f800000, v10, v7
	v_cndmask_b32_e32 v3, 0, v7, vcc_lo
	s_delay_alu instid0(VALU_DEP_1) | instskip(NEXT) | instid1(VALU_DEP_1)
	v_and_or_b32 v1, 0x80000000, v1, v3
	v_trunc_f32_e32 v1, v1
	s_delay_alu instid0(VALU_DEP_1) | instskip(SKIP_1) | instid1(VALU_DEP_2)
	v_mul_f32_e64 v3, 0x2f800000, |v1|
	v_ashrrev_i32_e32 v10, 31, v1
	v_floor_f32_e32 v3, v3
	s_delay_alu instid0(VALU_DEP_2) | instskip(NEXT) | instid1(VALU_DEP_2)
	v_mov_b32_e32 v11, v10
	v_fma_f32 v7, 0xcf800000, v3, |v1|
	v_cvt_u32_f32_e32 v1, v3
	s_delay_alu instid0(VALU_DEP_2) | instskip(NEXT) | instid1(VALU_DEP_2)
	v_cvt_u32_f32_e32 v3, v7
	v_xor_b32_e32 v17, v1, v10
	s_delay_alu instid0(VALU_DEP_2) | instskip(NEXT) | instid1(VALU_DEP_1)
	v_xor_b32_e32 v16, v3, v10
	v_sub_nc_u64_e32 v[10:11], v[16:17], v[10:11]
.LBB127_3298:
	s_mov_b32 s1, 0
.LBB127_3299:
	s_delay_alu instid0(SALU_CYCLE_1)
	s_and_not1_b32 vcc_lo, exec_lo, s1
	s_cbranch_vccnz .LBB127_3301
; %bb.3300:
	global_load_u8 v1, v[14:15], off
	s_wait_loadcnt 0x0
	v_lshlrev_b32_e32 v3, 25, v1
	v_lshlrev_b16 v1, 8, v1
	s_delay_alu instid0(VALU_DEP_1) | instskip(SKIP_1) | instid1(VALU_DEP_2)
	v_and_or_b32 v10, 0x7f00, v1, 0.5
	v_bfe_i32 v1, v1, 0, 16
	v_dual_add_f32 v10, -0.5, v10 :: v_dual_lshrrev_b32 v7, 4, v3
	v_cmp_gt_u32_e32 vcc_lo, 0x8000000, v3
	s_delay_alu instid0(VALU_DEP_2) | instskip(NEXT) | instid1(VALU_DEP_1)
	v_or_b32_e32 v7, 0x70000000, v7
	v_mul_f32_e32 v7, 0x7800000, v7
	s_delay_alu instid0(VALU_DEP_1) | instskip(NEXT) | instid1(VALU_DEP_1)
	v_cndmask_b32_e32 v3, v7, v10, vcc_lo
	v_and_or_b32 v1, 0x80000000, v1, v3
	s_delay_alu instid0(VALU_DEP_1) | instskip(NEXT) | instid1(VALU_DEP_1)
	v_trunc_f32_e32 v1, v1
	v_mul_f32_e64 v3, 0x2f800000, |v1|
	v_ashrrev_i32_e32 v10, 31, v1
	s_delay_alu instid0(VALU_DEP_2) | instskip(NEXT) | instid1(VALU_DEP_2)
	v_floor_f32_e32 v3, v3
	v_mov_b32_e32 v11, v10
	s_delay_alu instid0(VALU_DEP_2) | instskip(SKIP_1) | instid1(VALU_DEP_2)
	v_fma_f32 v7, 0xcf800000, v3, |v1|
	v_cvt_u32_f32_e32 v1, v3
	v_cvt_u32_f32_e32 v3, v7
	s_delay_alu instid0(VALU_DEP_2) | instskip(NEXT) | instid1(VALU_DEP_2)
	v_xor_b32_e32 v17, v1, v10
	v_xor_b32_e32 v16, v3, v10
	s_delay_alu instid0(VALU_DEP_1)
	v_sub_nc_u64_e32 v[10:11], v[16:17], v[10:11]
.LBB127_3301:
	s_mov_b32 s1, 0
	s_mov_b32 s46, -1
.LBB127_3302:
	s_and_not1_b32 vcc_lo, exec_lo, s1
	s_cbranch_vccnz .LBB127_3315
; %bb.3303:
	s_cmp_gt_i32 s35, 14
	s_cbranch_scc0 .LBB127_3306
; %bb.3304:
	s_cmp_eq_u32 s35, 15
	s_cbranch_scc0 .LBB127_3309
; %bb.3305:
	global_load_u16 v1, v[14:15], off
	s_mov_b32 s46, -1
	s_mov_b32 s45, 0
	s_wait_loadcnt 0x0
	v_lshlrev_b32_e32 v1, 16, v1
	s_delay_alu instid0(VALU_DEP_1) | instskip(NEXT) | instid1(VALU_DEP_1)
	v_trunc_f32_e32 v1, v1
	v_mul_f32_e64 v3, 0x2f800000, |v1|
	v_ashrrev_i32_e32 v10, 31, v1
	s_delay_alu instid0(VALU_DEP_2) | instskip(NEXT) | instid1(VALU_DEP_2)
	v_floor_f32_e32 v3, v3
	v_mov_b32_e32 v11, v10
	s_delay_alu instid0(VALU_DEP_2) | instskip(SKIP_1) | instid1(VALU_DEP_2)
	v_fma_f32 v7, 0xcf800000, v3, |v1|
	v_cvt_u32_f32_e32 v1, v3
	v_cvt_u32_f32_e32 v3, v7
	s_delay_alu instid0(VALU_DEP_2) | instskip(NEXT) | instid1(VALU_DEP_2)
	v_xor_b32_e32 v17, v1, v10
	v_xor_b32_e32 v16, v3, v10
	s_delay_alu instid0(VALU_DEP_1)
	v_sub_nc_u64_e32 v[10:11], v[16:17], v[10:11]
	s_branch .LBB127_3310
.LBB127_3306:
	s_mov_b32 s1, -1
                                        ; implicit-def: $vgpr10_vgpr11
	s_branch .LBB127_3311
.LBB127_3307:
	s_and_not1_saveexec_b32 s1, s1
	s_cbranch_execz .LBB127_3288
.LBB127_3308:
	v_cmp_ne_u16_e32 vcc_lo, 0, v1
	s_and_not1_b32 s36, s46, exec_lo
	s_and_b32 s37, vcc_lo, exec_lo
	s_delay_alu instid0(SALU_CYCLE_1)
	s_or_b32 s46, s36, s37
	s_or_b32 exec_lo, exec_lo, s1
	v_mov_b64_e32 v[10:11], 0
	s_and_saveexec_b32 s1, s46
	s_cbranch_execnz .LBB127_3289
	s_branch .LBB127_3290
.LBB127_3309:
	s_mov_b32 s45, -1
                                        ; implicit-def: $vgpr10_vgpr11
.LBB127_3310:
	s_mov_b32 s1, 0
.LBB127_3311:
	s_delay_alu instid0(SALU_CYCLE_1)
	s_and_b32 vcc_lo, exec_lo, s1
	s_cbranch_vccz .LBB127_3315
; %bb.3312:
	s_cmp_eq_u32 s35, 11
	s_cbranch_scc0 .LBB127_3314
; %bb.3313:
	global_load_u8 v1, v[14:15], off
	s_mov_b32 s45, 0
	s_mov_b32 s46, -1
	s_wait_loadcnt 0x1
	v_mov_b32_e32 v11, s45
	s_wait_loadcnt 0x0
	v_cmp_ne_u16_e32 vcc_lo, 0, v1
	v_cndmask_b32_e64 v10, 0, 1, vcc_lo
	s_branch .LBB127_3315
.LBB127_3314:
	s_mov_b32 s45, -1
                                        ; implicit-def: $vgpr10_vgpr11
.LBB127_3315:
	s_mov_b32 s1, 0
.LBB127_3316:
	s_delay_alu instid0(SALU_CYCLE_1)
	s_and_b32 vcc_lo, exec_lo, s1
	s_cbranch_vccz .LBB127_3365
; %bb.3317:
	s_and_b32 s0, 0xffff, s0
	s_delay_alu instid0(SALU_CYCLE_1)
	s_cmp_lt_i32 s0, 5
	s_cbranch_scc1 .LBB127_3322
; %bb.3318:
	s_cmp_lt_i32 s0, 8
	s_cbranch_scc1 .LBB127_3323
; %bb.3319:
	;; [unrolled: 3-line block ×3, first 2 shown]
	s_cmp_gt_i32 s0, 9
	s_cbranch_scc0 .LBB127_3325
; %bb.3321:
	s_wait_loadcnt 0x0
	global_load_b64 v[10:11], v[14:15], off
	s_mov_b32 s1, 0
	s_wait_loadcnt 0x0
	v_trunc_f64_e32 v[10:11], v[10:11]
	s_delay_alu instid0(VALU_DEP_1) | instskip(NEXT) | instid1(VALU_DEP_1)
	v_ldexp_f64 v[16:17], v[10:11], 0xffffffe0
	v_floor_f64_e32 v[16:17], v[16:17]
	s_delay_alu instid0(VALU_DEP_1) | instskip(SKIP_1) | instid1(VALU_DEP_2)
	v_fmamk_f64 v[18:19], v[16:17], 0xc1f00000, v[10:11]
	v_cvt_i32_f64_e32 v11, v[16:17]
	v_cvt_u32_f64_e32 v10, v[18:19]
	s_branch .LBB127_3326
.LBB127_3322:
	s_mov_b32 s1, -1
                                        ; implicit-def: $vgpr10_vgpr11
	s_branch .LBB127_3344
.LBB127_3323:
	s_mov_b32 s1, -1
                                        ; implicit-def: $vgpr10_vgpr11
	s_branch .LBB127_3332
.LBB127_3324:
	s_mov_b32 s1, -1
                                        ; implicit-def: $vgpr10_vgpr11
	s_branch .LBB127_3329
.LBB127_3325:
	s_mov_b32 s1, -1
                                        ; implicit-def: $vgpr10_vgpr11
.LBB127_3326:
	s_delay_alu instid0(SALU_CYCLE_1)
	s_and_not1_b32 vcc_lo, exec_lo, s1
	s_cbranch_vccnz .LBB127_3328
; %bb.3327:
	global_load_b32 v1, v[14:15], off
	s_wait_loadcnt 0x0
	v_trunc_f32_e32 v1, v1
	s_delay_alu instid0(VALU_DEP_1) | instskip(SKIP_1) | instid1(VALU_DEP_2)
	v_mul_f32_e64 v3, 0x2f800000, |v1|
	v_ashrrev_i32_e32 v10, 31, v1
	v_floor_f32_e32 v3, v3
	s_delay_alu instid0(VALU_DEP_1) | instskip(SKIP_1) | instid1(VALU_DEP_4)
	v_fma_f32 v7, 0xcf800000, v3, |v1|
	v_cvt_u32_f32_e32 v1, v3
	v_mov_b32_e32 v11, v10
	s_delay_alu instid0(VALU_DEP_3) | instskip(NEXT) | instid1(VALU_DEP_3)
	v_cvt_u32_f32_e32 v3, v7
	v_xor_b32_e32 v17, v1, v10
	s_delay_alu instid0(VALU_DEP_2) | instskip(NEXT) | instid1(VALU_DEP_1)
	v_xor_b32_e32 v16, v3, v10
	v_sub_nc_u64_e32 v[10:11], v[16:17], v[10:11]
.LBB127_3328:
	s_mov_b32 s1, 0
.LBB127_3329:
	s_delay_alu instid0(SALU_CYCLE_1)
	s_and_not1_b32 vcc_lo, exec_lo, s1
	s_cbranch_vccnz .LBB127_3331
; %bb.3330:
	global_load_b32 v1, v[14:15], off
	s_wait_loadcnt 0x0
	v_cvt_f32_f16_e32 v1, v1
	s_delay_alu instid0(VALU_DEP_1) | instskip(NEXT) | instid1(VALU_DEP_1)
	v_cvt_i32_f32_e32 v10, v1
	v_ashrrev_i32_e32 v11, 31, v10
.LBB127_3331:
	s_mov_b32 s1, 0
.LBB127_3332:
	s_delay_alu instid0(SALU_CYCLE_1)
	s_and_not1_b32 vcc_lo, exec_lo, s1
	s_cbranch_vccnz .LBB127_3343
; %bb.3333:
	s_cmp_lt_i32 s0, 6
	s_cbranch_scc1 .LBB127_3336
; %bb.3334:
	s_cmp_gt_i32 s0, 6
	s_cbranch_scc0 .LBB127_3337
; %bb.3335:
	s_wait_loadcnt 0x0
	global_load_b64 v[10:11], v[14:15], off
	s_mov_b32 s1, 0
	s_wait_loadcnt 0x0
	v_trunc_f64_e32 v[10:11], v[10:11]
	s_delay_alu instid0(VALU_DEP_1) | instskip(NEXT) | instid1(VALU_DEP_1)
	v_ldexp_f64 v[16:17], v[10:11], 0xffffffe0
	v_floor_f64_e32 v[16:17], v[16:17]
	s_delay_alu instid0(VALU_DEP_1) | instskip(SKIP_1) | instid1(VALU_DEP_2)
	v_fmamk_f64 v[18:19], v[16:17], 0xc1f00000, v[10:11]
	v_cvt_i32_f64_e32 v11, v[16:17]
	v_cvt_u32_f64_e32 v10, v[18:19]
	s_branch .LBB127_3338
.LBB127_3336:
	s_mov_b32 s1, -1
                                        ; implicit-def: $vgpr10_vgpr11
	s_branch .LBB127_3341
.LBB127_3337:
	s_mov_b32 s1, -1
                                        ; implicit-def: $vgpr10_vgpr11
.LBB127_3338:
	s_delay_alu instid0(SALU_CYCLE_1)
	s_and_not1_b32 vcc_lo, exec_lo, s1
	s_cbranch_vccnz .LBB127_3340
; %bb.3339:
	global_load_b32 v1, v[14:15], off
	s_wait_loadcnt 0x0
	v_trunc_f32_e32 v1, v1
	s_delay_alu instid0(VALU_DEP_1) | instskip(SKIP_1) | instid1(VALU_DEP_2)
	v_mul_f32_e64 v3, 0x2f800000, |v1|
	v_ashrrev_i32_e32 v10, 31, v1
	v_floor_f32_e32 v3, v3
	s_delay_alu instid0(VALU_DEP_1) | instskip(SKIP_1) | instid1(VALU_DEP_4)
	v_fma_f32 v7, 0xcf800000, v3, |v1|
	v_cvt_u32_f32_e32 v1, v3
	v_mov_b32_e32 v11, v10
	s_delay_alu instid0(VALU_DEP_3) | instskip(NEXT) | instid1(VALU_DEP_3)
	v_cvt_u32_f32_e32 v3, v7
	v_xor_b32_e32 v17, v1, v10
	s_delay_alu instid0(VALU_DEP_2) | instskip(NEXT) | instid1(VALU_DEP_1)
	v_xor_b32_e32 v16, v3, v10
	v_sub_nc_u64_e32 v[10:11], v[16:17], v[10:11]
.LBB127_3340:
	s_mov_b32 s1, 0
.LBB127_3341:
	s_delay_alu instid0(SALU_CYCLE_1)
	s_and_not1_b32 vcc_lo, exec_lo, s1
	s_cbranch_vccnz .LBB127_3343
; %bb.3342:
	global_load_u16 v1, v[14:15], off
	s_wait_loadcnt 0x0
	v_cvt_f32_f16_e32 v1, v1
	s_delay_alu instid0(VALU_DEP_1) | instskip(NEXT) | instid1(VALU_DEP_1)
	v_cvt_i32_f32_e32 v10, v1
	v_ashrrev_i32_e32 v11, 31, v10
.LBB127_3343:
	s_mov_b32 s1, 0
.LBB127_3344:
	s_delay_alu instid0(SALU_CYCLE_1)
	s_and_not1_b32 vcc_lo, exec_lo, s1
	s_cbranch_vccnz .LBB127_3364
; %bb.3345:
	s_cmp_lt_i32 s0, 2
	s_cbranch_scc1 .LBB127_3349
; %bb.3346:
	s_cmp_lt_i32 s0, 3
	s_cbranch_scc1 .LBB127_3350
; %bb.3347:
	s_cmp_gt_i32 s0, 3
	s_cbranch_scc0 .LBB127_3351
; %bb.3348:
	s_wait_loadcnt 0x0
	global_load_b64 v[10:11], v[14:15], off
	s_mov_b32 s1, 0
	s_branch .LBB127_3352
.LBB127_3349:
	s_mov_b32 s1, -1
                                        ; implicit-def: $vgpr10_vgpr11
	s_branch .LBB127_3358
.LBB127_3350:
	s_mov_b32 s1, -1
                                        ; implicit-def: $vgpr10_vgpr11
	s_branch .LBB127_3355
.LBB127_3351:
	s_mov_b32 s1, -1
                                        ; implicit-def: $vgpr10_vgpr11
.LBB127_3352:
	s_delay_alu instid0(SALU_CYCLE_1)
	s_and_not1_b32 vcc_lo, exec_lo, s1
	s_cbranch_vccnz .LBB127_3354
; %bb.3353:
	s_wait_loadcnt 0x0
	global_load_b32 v10, v[14:15], off
	s_wait_loadcnt 0x0
	v_ashrrev_i32_e32 v11, 31, v10
.LBB127_3354:
	s_mov_b32 s1, 0
.LBB127_3355:
	s_delay_alu instid0(SALU_CYCLE_1)
	s_and_not1_b32 vcc_lo, exec_lo, s1
	s_cbranch_vccnz .LBB127_3357
; %bb.3356:
	global_load_u16 v1, v[14:15], off
	s_wait_loadcnt 0x0
	v_bfe_i32 v10, v1, 0, 16
	s_delay_alu instid0(VALU_DEP_1)
	v_ashrrev_i32_e32 v11, 31, v10
.LBB127_3357:
	s_mov_b32 s1, 0
.LBB127_3358:
	s_delay_alu instid0(SALU_CYCLE_1)
	s_and_not1_b32 vcc_lo, exec_lo, s1
	s_cbranch_vccnz .LBB127_3364
; %bb.3359:
	s_cmp_gt_i32 s0, 0
	s_mov_b32 s0, 0
	s_cbranch_scc0 .LBB127_3361
; %bb.3360:
	global_load_i8 v1, v[14:15], off
	s_wait_loadcnt 0x0
	v_bfe_i32 v10, v1, 0, 16
	s_delay_alu instid0(VALU_DEP_1)
	v_ashrrev_i32_e32 v11, 31, v10
	s_branch .LBB127_3362
.LBB127_3361:
	s_mov_b32 s0, -1
                                        ; implicit-def: $vgpr10_vgpr11
.LBB127_3362:
	s_delay_alu instid0(SALU_CYCLE_1)
	s_and_not1_b32 vcc_lo, exec_lo, s0
	s_cbranch_vccnz .LBB127_3364
; %bb.3363:
	global_load_u8 v1, v[14:15], off
	s_mov_b32 s0, 0
	s_wait_loadcnt 0x1
	v_mov_b32_e32 v11, s0
	s_wait_loadcnt 0x0
	v_and_b32_e32 v10, 0xffff, v1
.LBB127_3364:
	s_mov_b32 s46, -1
.LBB127_3365:
	s_delay_alu instid0(SALU_CYCLE_1)
	s_and_not1_b32 vcc_lo, exec_lo, s46
	s_cbranch_vccnz .LBB127_3373
; %bb.3366:
	s_load_b512 s[4:19], s[2:3], 0x248
	v_mov_b32_e32 v7, 0
	s_and_b32 s0, s53, 0xff
	s_delay_alu instid0(SALU_CYCLE_1) | instskip(SKIP_1) | instid1(VALU_DEP_1)
	s_cmp_lt_i32 s0, 11
	s_wait_kmcnt 0x0
	v_add_nc_u64_e32 v[6:7], s[14:15], v[6:7]
	s_cbranch_scc1 .LBB127_3374
; %bb.3367:
	s_and_b32 s35, 0xffff, s0
	s_delay_alu instid0(SALU_CYCLE_1)
	s_cmp_gt_i32 s35, 25
	s_cbranch_scc0 .LBB127_3375
; %bb.3368:
	s_cmp_gt_i32 s35, 28
	s_cbranch_scc0 .LBB127_3376
; %bb.3369:
	;; [unrolled: 3-line block ×4, first 2 shown]
	s_cmp_eq_u32 s35, 46
	s_mov_b32 s1, 0
	s_cbranch_scc0 .LBB127_3467
; %bb.3372:
	global_load_b32 v1, v[6:7], off
	s_mov_b32 s58, -1
	s_mov_b32 s46, 0
	s_wait_loadcnt 0x0
	v_lshlrev_b32_e32 v1, 16, v1
	s_delay_alu instid0(VALU_DEP_1) | instskip(NEXT) | instid1(VALU_DEP_1)
	v_trunc_f32_e32 v1, v1
	v_mul_f32_e64 v3, 0x2f800000, |v1|
	v_ashrrev_i32_e32 v14, 31, v1
	s_delay_alu instid0(VALU_DEP_2) | instskip(NEXT) | instid1(VALU_DEP_1)
	v_floor_f32_e32 v3, v3
	v_fma_f32 v15, 0xcf800000, v3, |v1|
	v_cvt_u32_f32_e32 v1, v3
	s_delay_alu instid0(VALU_DEP_2) | instskip(NEXT) | instid1(VALU_DEP_2)
	v_cvt_u32_f32_e32 v3, v15
	v_dual_mov_b32 v15, v14 :: v_dual_bitop2_b32 v17, v1, v14 bitop3:0x14
	s_delay_alu instid0(VALU_DEP_2) | instskip(NEXT) | instid1(VALU_DEP_1)
	v_xor_b32_e32 v16, v3, v14
	v_sub_nc_u64_e32 v[14:15], v[16:17], v[14:15]
	s_branch .LBB127_3469
.LBB127_3373:
	s_mov_b64 s[14:15], s[78:79]
	s_load_b64 s[78:79], s[2:3], 0x14
	s_mov_b32 s0, 0
	s_mov_b32 s1, s101
	;; [unrolled: 1-line block ×3, first 2 shown]
	s_mov_b32 s58, vcc_hi
	s_mov_b32 s60, s99
	s_mov_b32 s59, s100
	s_mov_b32 s46, s97
                                        ; implicit-def: $vgpr0
	s_mov_b32 s12, s76
	s_mov_b32 s76, s51
	v_readlane_b32 s4, v66, 0
	s_branch .LBB127_1212
.LBB127_3374:
	s_mov_b32 s1, -1
	s_mov_b32 s58, 0
	s_mov_b32 s46, s97
                                        ; implicit-def: $vgpr14_vgpr15
	s_branch .LBB127_3530
.LBB127_3375:
	s_mov_b32 s1, -1
	s_mov_b32 s58, 0
	s_mov_b32 s46, s97
                                        ; implicit-def: $vgpr14_vgpr15
	s_branch .LBB127_3496
.LBB127_3376:
	s_mov_b32 s1, -1
	s_mov_b32 s58, 0
	s_mov_b32 s46, s97
                                        ; implicit-def: $vgpr14_vgpr15
	s_branch .LBB127_3479
.LBB127_3377:
	s_mov_b32 s1, -1
	s_mov_b32 s58, 0
	s_mov_b32 s46, s97
                                        ; implicit-def: $vgpr14_vgpr15
	s_branch .LBB127_3474
.LBB127_3378:
	s_mov_b32 s1, -1
	s_mov_b32 s58, 0
	s_mov_b32 s46, s97
	s_branch .LBB127_3468
.LBB127_3379:
	s_mov_b32 s1, -1
	s_mov_b32 s61, 0
.LBB127_3380:
	s_and_b32 vcc_lo, exec_lo, s1
	s_cbranch_vccz .LBB127_3383
; %bb.3381:
	s_cmp_eq_u32 s60, 44
	s_mov_b32 s58, -1
	s_cbranch_scc0 .LBB127_3383
; %bb.3382:
	s_wait_xcnt 0x0
	v_mov_b32_e32 v1, 0
	s_mov_b32 s61, -1
	s_mov_b32 s58, 0
	global_store_b8 v[2:3], v1, off
.LBB127_3383:
	s_mov_b32 s5, s53
	s_mov_b32 s69, s52
	;; [unrolled: 1-line block ×7, first 2 shown]
.LBB127_3384:
	s_and_b32 vcc_lo, exec_lo, s1
	s_cbranch_vccz .LBB127_3387
; %bb.3385:
	s_cmp_eq_u32 s60, 29
	s_mov_b32 s58, -1
	s_cbranch_scc0 .LBB127_3387
; %bb.3386:
	v_mov_b64_e32 v[4:5], 0
	s_mov_b32 s61, -1
	s_mov_b32 s58, 0
	s_mov_b32 s1, 0
	global_store_b64 v[2:3], v[4:5], off
	s_branch .LBB127_3388
.LBB127_3387:
	s_mov_b32 s1, 0
.LBB127_3388:
	s_delay_alu instid0(SALU_CYCLE_1)
	s_and_b32 vcc_lo, exec_lo, s1
	s_cbranch_vccz .LBB127_3398
; %bb.3389:
	s_cmp_lt_i32 s60, 27
	s_mov_b32 s1, -1
	s_cbranch_scc1 .LBB127_3395
; %bb.3390:
	s_cmp_gt_i32 s60, 27
	s_cbranch_scc0 .LBB127_3392
; %bb.3391:
	s_wait_xcnt 0x0
	v_mov_b32_e32 v1, 0
	s_mov_b32 s1, 0
	global_store_b32 v[2:3], v1, off
.LBB127_3392:
	s_and_not1_b32 vcc_lo, exec_lo, s1
	s_cbranch_vccnz .LBB127_3394
; %bb.3393:
	s_wait_xcnt 0x0
	v_mov_b32_e32 v1, 0
	global_store_b16 v[2:3], v1, off
.LBB127_3394:
	s_mov_b32 s1, 0
.LBB127_3395:
	s_delay_alu instid0(SALU_CYCLE_1)
	s_and_not1_b32 vcc_lo, exec_lo, s1
	s_cbranch_vccnz .LBB127_3397
; %bb.3396:
	s_wait_xcnt 0x0
	v_mov_b32_e32 v1, 0
	global_store_b8 v[2:3], v1, off
.LBB127_3397:
	s_mov_b32 s61, -1
.LBB127_3398:
	s_mov_b32 s1, 0
.LBB127_3399:
	s_delay_alu instid0(SALU_CYCLE_1)
	s_and_b32 vcc_lo, exec_lo, s1
	s_cbranch_vccz .LBB127_3418
; %bb.3400:
	s_cmp_gt_i32 s60, 22
	s_mov_b32 s1, -1
	s_cbranch_scc0 .LBB127_3410
; %bb.3401:
	s_cmp_lt_i32 s60, 24
	s_cbranch_scc1 .LBB127_3407
; %bb.3402:
	s_cmp_gt_i32 s60, 24
	s_cbranch_scc0 .LBB127_3404
; %bb.3403:
	s_wait_xcnt 0x0
	v_mov_b32_e32 v1, 0
	s_mov_b32 s1, 0
	global_store_b8 v[2:3], v1, off
.LBB127_3404:
	s_and_not1_b32 vcc_lo, exec_lo, s1
	s_cbranch_vccnz .LBB127_3406
; %bb.3405:
	s_wait_xcnt 0x0
	v_mov_b32_e32 v1, 0
	global_store_b8 v[2:3], v1, off
.LBB127_3406:
	s_mov_b32 s1, 0
.LBB127_3407:
	s_delay_alu instid0(SALU_CYCLE_1)
	s_and_not1_b32 vcc_lo, exec_lo, s1
	s_cbranch_vccnz .LBB127_3409
; %bb.3408:
	s_wait_xcnt 0x0
	v_mov_b32_e32 v1, 0
	global_store_b8 v[2:3], v1, off
.LBB127_3409:
	s_mov_b32 s1, 0
	s_mov_b32 s61, -1
.LBB127_3410:
	s_and_not1_b32 vcc_lo, exec_lo, s1
	s_cbranch_vccnz .LBB127_3418
; %bb.3411:
	s_cmp_gt_i32 s60, 14
	s_mov_b32 s1, -1
	s_cbranch_scc0 .LBB127_3415
; %bb.3412:
	s_cmp_eq_u32 s60, 15
	s_mov_b32 s58, -1
	s_cbranch_scc0 .LBB127_3414
; %bb.3413:
	s_wait_xcnt 0x0
	v_mov_b32_e32 v1, 0
	s_mov_b32 s61, -1
	s_mov_b32 s58, 0
	global_store_b16 v[2:3], v1, off
.LBB127_3414:
	s_mov_b32 s1, 0
.LBB127_3415:
	s_delay_alu instid0(SALU_CYCLE_1)
	s_and_b32 vcc_lo, exec_lo, s1
	s_cbranch_vccz .LBB127_3418
; %bb.3416:
	s_cmp_eq_u32 s60, 11
	s_mov_b32 s58, -1
	s_cbranch_scc0 .LBB127_3418
; %bb.3417:
	s_wait_xcnt 0x0
	v_mov_b32_e32 v1, 0
	s_mov_b32 s61, -1
	s_mov_b32 s58, 0
	global_store_b8 v[2:3], v1, off
.LBB127_3418:
	s_mov_b32 s1, 0
.LBB127_3419:
	s_delay_alu instid0(SALU_CYCLE_1)
	s_and_b32 vcc_lo, exec_lo, s1
	s_cbranch_vccz .LBB127_3458
; %bb.3420:
	s_and_b32 s1, 0xffff, s59
	s_mov_b32 s59, -1
	s_cmp_lt_i32 s1, 5
	s_cbranch_scc1 .LBB127_3441
; %bb.3421:
	s_cmp_lt_i32 s1, 8
	s_cbranch_scc1 .LBB127_3431
; %bb.3422:
	;; [unrolled: 3-line block ×3, first 2 shown]
	s_cmp_gt_i32 s1, 9
	s_cbranch_scc0 .LBB127_3425
; %bb.3424:
	s_wait_xcnt 0x0
	v_mov_b32_e32 v4, 0
	s_mov_b32 s59, 0
	s_delay_alu instid0(VALU_DEP_1)
	v_dual_mov_b32 v5, v4 :: v_dual_mov_b32 v6, v4
	v_mov_b32_e32 v7, v4
	global_store_b128 v[2:3], v[4:7], off
.LBB127_3425:
	s_and_not1_b32 vcc_lo, exec_lo, s59
	s_cbranch_vccnz .LBB127_3427
; %bb.3426:
	s_wait_xcnt 0x0
	v_mov_b64_e32 v[4:5], 0
	global_store_b64 v[2:3], v[4:5], off
.LBB127_3427:
	s_mov_b32 s59, 0
.LBB127_3428:
	s_delay_alu instid0(SALU_CYCLE_1)
	s_and_not1_b32 vcc_lo, exec_lo, s59
	s_cbranch_vccnz .LBB127_3430
; %bb.3429:
	s_wait_xcnt 0x0
	v_mov_b32_e32 v1, 0
	global_store_b32 v[2:3], v1, off
.LBB127_3430:
	s_mov_b32 s59, 0
.LBB127_3431:
	s_delay_alu instid0(SALU_CYCLE_1)
	s_and_not1_b32 vcc_lo, exec_lo, s59
	s_cbranch_vccnz .LBB127_3440
; %bb.3432:
	s_cmp_lt_i32 s1, 6
	s_mov_b32 s59, -1
	s_cbranch_scc1 .LBB127_3438
; %bb.3433:
	s_cmp_gt_i32 s1, 6
	s_cbranch_scc0 .LBB127_3435
; %bb.3434:
	s_wait_xcnt 0x0
	v_mov_b64_e32 v[4:5], 0
	s_mov_b32 s59, 0
	global_store_b64 v[2:3], v[4:5], off
.LBB127_3435:
	s_and_not1_b32 vcc_lo, exec_lo, s59
	s_cbranch_vccnz .LBB127_3437
; %bb.3436:
	s_wait_xcnt 0x0
	v_mov_b32_e32 v1, 0
	global_store_b32 v[2:3], v1, off
.LBB127_3437:
	s_mov_b32 s59, 0
.LBB127_3438:
	s_delay_alu instid0(SALU_CYCLE_1)
	s_and_not1_b32 vcc_lo, exec_lo, s59
	s_cbranch_vccnz .LBB127_3440
; %bb.3439:
	s_wait_xcnt 0x0
	v_mov_b32_e32 v1, 0
	global_store_b16 v[2:3], v1, off
.LBB127_3440:
	s_mov_b32 s59, 0
.LBB127_3441:
	s_delay_alu instid0(SALU_CYCLE_1)
	s_and_not1_b32 vcc_lo, exec_lo, s59
	s_cbranch_vccnz .LBB127_3457
; %bb.3442:
	s_cmp_lt_i32 s1, 2
	s_mov_b32 s59, -1
	s_cbranch_scc1 .LBB127_3452
; %bb.3443:
	s_cmp_lt_i32 s1, 3
	s_cbranch_scc1 .LBB127_3449
; %bb.3444:
	s_cmp_gt_i32 s1, 3
	s_cbranch_scc0 .LBB127_3446
; %bb.3445:
	s_wait_xcnt 0x0
	v_mov_b64_e32 v[4:5], 0
	s_mov_b32 s59, 0
	global_store_b64 v[2:3], v[4:5], off
.LBB127_3446:
	s_and_not1_b32 vcc_lo, exec_lo, s59
	s_cbranch_vccnz .LBB127_3448
; %bb.3447:
	s_wait_xcnt 0x0
	v_mov_b32_e32 v1, 0
	global_store_b32 v[2:3], v1, off
.LBB127_3448:
	s_mov_b32 s59, 0
.LBB127_3449:
	s_delay_alu instid0(SALU_CYCLE_1)
	s_and_not1_b32 vcc_lo, exec_lo, s59
	s_cbranch_vccnz .LBB127_3451
; %bb.3450:
	s_wait_xcnt 0x0
	v_mov_b32_e32 v1, 0
	global_store_b16 v[2:3], v1, off
.LBB127_3451:
	s_mov_b32 s59, 0
.LBB127_3452:
	s_delay_alu instid0(SALU_CYCLE_1)
	s_and_not1_b32 vcc_lo, exec_lo, s59
	s_cbranch_vccnz .LBB127_3457
; %bb.3453:
	s_cmp_gt_i32 s1, 0
	s_mov_b32 s1, -1
	s_cbranch_scc0 .LBB127_3455
; %bb.3454:
	s_wait_xcnt 0x0
	v_mov_b32_e32 v1, 0
	s_mov_b32 s1, 0
	global_store_b8 v[2:3], v1, off
.LBB127_3455:
	s_and_not1_b32 vcc_lo, exec_lo, s1
	s_cbranch_vccnz .LBB127_3457
; %bb.3456:
	s_wait_xcnt 0x0
	v_mov_b32_e32 v1, 0
	global_store_b8 v[2:3], v1, off
.LBB127_3457:
	s_mov_b32 s61, -1
.LBB127_3458:
	s_delay_alu instid0(SALU_CYCLE_1)
	s_and_not1_b32 vcc_lo, exec_lo, s61
	s_cbranch_vccnz .LBB127_3460
; %bb.3459:
	v_add_nc_u32_e32 v0, 0x80, v0
	s_mov_b32 s1, -1
	s_branch .LBB127_3461
.LBB127_3460:
	s_mov_b32 s1, 0
                                        ; implicit-def: $vgpr0
.LBB127_3461:
	s_and_b32 s58, s58, exec_lo
	s_and_not1_b32 s0, s0, exec_lo
	s_and_b32 s1, s1, exec_lo
.LBB127_3462:
	s_wait_xcnt 0x0
	s_or_b32 exec_lo, exec_lo, s35
	s_delay_alu instid0(SALU_CYCLE_1)
	s_and_b32 s59, s58, exec_lo
	s_and_b32 s0, s0, exec_lo
	s_xor_b32 s58, exec_lo, -1
	s_and_b32 s35, s1, exec_lo
.LBB127_3463:
	s_or_b32 exec_lo, exec_lo, s87
	s_delay_alu instid0(SALU_CYCLE_1)
	s_and_b32 s60, s59, exec_lo
	s_and_b32 s59, s0, exec_lo
	;; [unrolled: 1-line block ×3, first 2 shown]
	s_xor_b32 s1, exec_lo, -1
	s_and_b32 s0, s35, exec_lo
	s_mov_b64 s[14:15], s[94:95]
	s_mov_b32 s12, s92
.LBB127_3464:
	s_or_b32 exec_lo, exec_lo, s86
	s_delay_alu instid0(SALU_CYCLE_1)
	s_and_b32 s60, s60, exec_lo
	s_and_b32 s59, s59, exec_lo
	;; [unrolled: 1-line block ×4, first 2 shown]
	s_xor_b32 s1, exec_lo, -1
	s_and_b32 s0, s0, exec_lo
	s_or_b32 exec_lo, exec_lo, s85
	s_branch .LBB127_522
.LBB127_3465:
	s_mov_b32 s1, -1
	s_mov_b32 s61, 0
	s_mov_b32 s58, s70
	s_branch .LBB127_3614
.LBB127_3466:
	s_mov_b32 s22, -1
	s_mov_b32 s0, 0
                                        ; implicit-def: $vgpr40_vgpr41
	s_branch .LBB127_3795
.LBB127_3467:
	s_mov_b32 s46, -1
	s_mov_b32 s58, 0
.LBB127_3468:
                                        ; implicit-def: $vgpr14_vgpr15
.LBB127_3469:
	s_and_b32 vcc_lo, exec_lo, s1
	s_cbranch_vccz .LBB127_3473
; %bb.3470:
	s_cmp_eq_u32 s35, 44
	s_cbranch_scc0 .LBB127_3472
; %bb.3471:
	global_load_u8 v1, v[6:7], off
	s_mov_b32 s46, 0
	s_mov_b32 s58, -1
	s_wait_loadcnt 0x0
	v_lshlrev_b32_e32 v3, 23, v1
	v_cmp_ne_u32_e32 vcc_lo, 0, v1
	s_delay_alu instid0(VALU_DEP_2) | instskip(NEXT) | instid1(VALU_DEP_1)
	v_trunc_f32_e32 v3, v3
	v_mul_f32_e64 v14, 0x2f800000, |v3|
	s_delay_alu instid0(VALU_DEP_1) | instskip(SKIP_1) | instid1(VALU_DEP_2)
	v_floor_f32_e32 v15, v14
	v_ashrrev_i32_e32 v14, 31, v3
	v_fma_f32 v16, 0xcf800000, v15, |v3|
	v_cvt_u32_f32_e32 v3, v15
	s_delay_alu instid0(VALU_DEP_3) | instskip(NEXT) | instid1(VALU_DEP_3)
	v_mov_b32_e32 v15, v14
	v_cvt_u32_f32_e32 v16, v16
	s_delay_alu instid0(VALU_DEP_3) | instskip(NEXT) | instid1(VALU_DEP_2)
	v_xor_b32_e32 v17, v3, v14
	v_xor_b32_e32 v16, v16, v14
	s_delay_alu instid0(VALU_DEP_1) | instskip(NEXT) | instid1(VALU_DEP_1)
	v_sub_nc_u64_e32 v[14:15], v[16:17], v[14:15]
	v_dual_cndmask_b32 v15, 0, v15 :: v_dual_cndmask_b32 v14, 0, v14
	s_branch .LBB127_3473
.LBB127_3472:
	s_mov_b32 s46, -1
                                        ; implicit-def: $vgpr14_vgpr15
.LBB127_3473:
	s_mov_b32 s1, 0
.LBB127_3474:
	s_delay_alu instid0(SALU_CYCLE_1)
	s_and_b32 vcc_lo, exec_lo, s1
	s_cbranch_vccz .LBB127_3478
; %bb.3475:
	s_cmp_eq_u32 s35, 29
	s_cbranch_scc0 .LBB127_3477
; %bb.3476:
	global_load_b64 v[14:15], v[6:7], off
	s_mov_b32 s58, -1
	s_mov_b32 s46, 0
	s_branch .LBB127_3478
.LBB127_3477:
	s_mov_b32 s46, -1
                                        ; implicit-def: $vgpr14_vgpr15
.LBB127_3478:
	s_mov_b32 s1, 0
.LBB127_3479:
	s_delay_alu instid0(SALU_CYCLE_1)
	s_and_b32 vcc_lo, exec_lo, s1
	s_cbranch_vccz .LBB127_3495
; %bb.3480:
	s_cmp_lt_i32 s35, 27
	s_cbranch_scc1 .LBB127_3483
; %bb.3481:
	s_cmp_gt_i32 s35, 27
	s_cbranch_scc0 .LBB127_3484
; %bb.3482:
	s_wait_loadcnt 0x0
	global_load_b32 v14, v[6:7], off
	v_mov_b32_e32 v15, 0
	s_mov_b32 s1, 0
	s_branch .LBB127_3485
.LBB127_3483:
	s_mov_b32 s1, -1
                                        ; implicit-def: $vgpr14_vgpr15
	s_branch .LBB127_3488
.LBB127_3484:
	s_mov_b32 s1, -1
                                        ; implicit-def: $vgpr14_vgpr15
.LBB127_3485:
	s_delay_alu instid0(SALU_CYCLE_1)
	s_and_not1_b32 vcc_lo, exec_lo, s1
	s_cbranch_vccnz .LBB127_3487
; %bb.3486:
	global_load_u16 v1, v[6:7], off
	s_mov_b32 s1, 0
	s_wait_loadcnt 0x1
	v_mov_b32_e32 v15, s1
	s_wait_loadcnt 0x0
	v_and_b32_e32 v14, 0xffff, v1
.LBB127_3487:
	s_mov_b32 s1, 0
.LBB127_3488:
	s_delay_alu instid0(SALU_CYCLE_1)
	s_and_not1_b32 vcc_lo, exec_lo, s1
	s_cbranch_vccnz .LBB127_3494
; %bb.3489:
	global_load_u8 v1, v[6:7], off
	s_mov_b32 s58, 0
	s_mov_b32 s1, exec_lo
	s_wait_loadcnt 0x0
	v_cmpx_lt_i16_e32 0x7f, v1
	s_xor_b32 s1, exec_lo, s1
	s_cbranch_execz .LBB127_3506
; %bb.3490:
	v_cmp_ne_u16_e32 vcc_lo, 0x80, v1
	s_and_b32 s58, vcc_lo, exec_lo
	s_and_not1_saveexec_b32 s1, s1
	s_cbranch_execnz .LBB127_3507
.LBB127_3491:
	s_or_b32 exec_lo, exec_lo, s1
	v_mov_b64_e32 v[14:15], 0
	s_and_saveexec_b32 s1, s58
	s_cbranch_execz .LBB127_3493
.LBB127_3492:
	v_and_b32_e32 v3, 0xffff, v1
	s_delay_alu instid0(VALU_DEP_1) | instskip(SKIP_1) | instid1(VALU_DEP_2)
	v_dual_lshlrev_b32 v1, 24, v1 :: v_dual_bitop2_b32 v14, 7, v3 bitop3:0x40
	v_bfe_u32 v17, v3, 3, 4
	v_and_b32_e32 v1, 0x80000000, v1
	s_delay_alu instid0(VALU_DEP_3) | instskip(NEXT) | instid1(VALU_DEP_3)
	v_clz_i32_u32_e32 v15, v14
	v_cmp_eq_u32_e32 vcc_lo, 0, v17
	s_delay_alu instid0(VALU_DEP_2) | instskip(NEXT) | instid1(VALU_DEP_1)
	v_min_u32_e32 v15, 32, v15
	v_subrev_nc_u32_e32 v16, 28, v15
	v_sub_nc_u32_e32 v15, 29, v15
	s_delay_alu instid0(VALU_DEP_2) | instskip(NEXT) | instid1(VALU_DEP_2)
	v_lshlrev_b32_e32 v3, v16, v3
	v_cndmask_b32_e32 v15, v17, v15, vcc_lo
	s_delay_alu instid0(VALU_DEP_2) | instskip(NEXT) | instid1(VALU_DEP_1)
	v_and_b32_e32 v3, 7, v3
	v_cndmask_b32_e32 v3, v14, v3, vcc_lo
	s_delay_alu instid0(VALU_DEP_3) | instskip(NEXT) | instid1(VALU_DEP_2)
	v_lshl_add_u32 v14, v15, 23, 0x3b800000
	v_lshlrev_b32_e32 v3, 20, v3
	s_delay_alu instid0(VALU_DEP_1) | instskip(NEXT) | instid1(VALU_DEP_1)
	v_or3_b32 v1, v1, v14, v3
	v_trunc_f32_e32 v1, v1
	s_delay_alu instid0(VALU_DEP_1) | instskip(SKIP_1) | instid1(VALU_DEP_2)
	v_mul_f32_e64 v3, 0x2f800000, |v1|
	v_ashrrev_i32_e32 v14, 31, v1
	v_floor_f32_e32 v3, v3
	s_delay_alu instid0(VALU_DEP_1) | instskip(SKIP_1) | instid1(VALU_DEP_2)
	v_fma_f32 v15, 0xcf800000, v3, |v1|
	v_cvt_u32_f32_e32 v1, v3
	v_cvt_u32_f32_e32 v3, v15
	s_delay_alu instid0(VALU_DEP_2) | instskip(NEXT) | instid1(VALU_DEP_2)
	v_dual_mov_b32 v15, v14 :: v_dual_bitop2_b32 v17, v1, v14 bitop3:0x14
	v_xor_b32_e32 v16, v3, v14
	s_delay_alu instid0(VALU_DEP_1)
	v_sub_nc_u64_e32 v[14:15], v[16:17], v[14:15]
.LBB127_3493:
	s_or_b32 exec_lo, exec_lo, s1
.LBB127_3494:
	s_mov_b32 s58, -1
.LBB127_3495:
	s_mov_b32 s1, 0
.LBB127_3496:
	s_delay_alu instid0(SALU_CYCLE_1)
	s_and_b32 vcc_lo, exec_lo, s1
	s_cbranch_vccz .LBB127_3529
; %bb.3497:
	s_cmp_gt_i32 s35, 22
	s_cbranch_scc0 .LBB127_3505
; %bb.3498:
	s_cmp_lt_i32 s35, 24
	s_cbranch_scc1 .LBB127_3508
; %bb.3499:
	s_cmp_gt_i32 s35, 24
	s_cbranch_scc0 .LBB127_3509
; %bb.3500:
	global_load_u8 v1, v[6:7], off
	s_mov_b32 s58, 0
	s_mov_b32 s1, exec_lo
	s_wait_loadcnt 0x0
	v_cmpx_lt_i16_e32 0x7f, v1
	s_xor_b32 s1, exec_lo, s1
	s_cbranch_execz .LBB127_3521
; %bb.3501:
	v_cmp_ne_u16_e32 vcc_lo, 0x80, v1
	s_and_b32 s58, vcc_lo, exec_lo
	s_and_not1_saveexec_b32 s1, s1
	s_cbranch_execnz .LBB127_3522
.LBB127_3502:
	s_or_b32 exec_lo, exec_lo, s1
	v_mov_b64_e32 v[14:15], 0
	s_and_saveexec_b32 s1, s58
	s_cbranch_execz .LBB127_3504
.LBB127_3503:
	v_and_b32_e32 v3, 0xffff, v1
	s_delay_alu instid0(VALU_DEP_1) | instskip(SKIP_1) | instid1(VALU_DEP_2)
	v_dual_lshlrev_b32 v1, 24, v1 :: v_dual_bitop2_b32 v14, 3, v3 bitop3:0x40
	v_bfe_u32 v17, v3, 2, 5
	v_and_b32_e32 v1, 0x80000000, v1
	s_delay_alu instid0(VALU_DEP_3) | instskip(NEXT) | instid1(VALU_DEP_3)
	v_clz_i32_u32_e32 v15, v14
	v_cmp_eq_u32_e32 vcc_lo, 0, v17
	s_delay_alu instid0(VALU_DEP_2) | instskip(NEXT) | instid1(VALU_DEP_1)
	v_min_u32_e32 v15, 32, v15
	v_subrev_nc_u32_e32 v16, 29, v15
	v_sub_nc_u32_e32 v15, 30, v15
	s_delay_alu instid0(VALU_DEP_2) | instskip(NEXT) | instid1(VALU_DEP_2)
	v_lshlrev_b32_e32 v3, v16, v3
	v_cndmask_b32_e32 v15, v17, v15, vcc_lo
	s_delay_alu instid0(VALU_DEP_2) | instskip(NEXT) | instid1(VALU_DEP_1)
	v_and_b32_e32 v3, 3, v3
	v_cndmask_b32_e32 v3, v14, v3, vcc_lo
	s_delay_alu instid0(VALU_DEP_3) | instskip(NEXT) | instid1(VALU_DEP_2)
	v_lshl_add_u32 v14, v15, 23, 0x37800000
	v_lshlrev_b32_e32 v3, 21, v3
	s_delay_alu instid0(VALU_DEP_1) | instskip(NEXT) | instid1(VALU_DEP_1)
	v_or3_b32 v1, v1, v14, v3
	v_trunc_f32_e32 v1, v1
	s_delay_alu instid0(VALU_DEP_1) | instskip(SKIP_1) | instid1(VALU_DEP_2)
	v_mul_f32_e64 v3, 0x2f800000, |v1|
	v_ashrrev_i32_e32 v14, 31, v1
	v_floor_f32_e32 v3, v3
	s_delay_alu instid0(VALU_DEP_1) | instskip(SKIP_1) | instid1(VALU_DEP_2)
	v_fma_f32 v15, 0xcf800000, v3, |v1|
	v_cvt_u32_f32_e32 v1, v3
	v_cvt_u32_f32_e32 v3, v15
	s_delay_alu instid0(VALU_DEP_2) | instskip(NEXT) | instid1(VALU_DEP_2)
	v_dual_mov_b32 v15, v14 :: v_dual_bitop2_b32 v17, v1, v14 bitop3:0x14
	v_xor_b32_e32 v16, v3, v14
	s_delay_alu instid0(VALU_DEP_1)
	v_sub_nc_u64_e32 v[14:15], v[16:17], v[14:15]
.LBB127_3504:
	s_or_b32 exec_lo, exec_lo, s1
	s_mov_b32 s1, 0
	s_branch .LBB127_3510
.LBB127_3505:
	s_mov_b32 s1, -1
                                        ; implicit-def: $vgpr14_vgpr15
	s_branch .LBB127_3516
.LBB127_3506:
	s_and_not1_saveexec_b32 s1, s1
	s_cbranch_execz .LBB127_3491
.LBB127_3507:
	v_cmp_ne_u16_e32 vcc_lo, 0, v1
	s_and_not1_b32 s36, s58, exec_lo
	s_and_b32 s37, vcc_lo, exec_lo
	s_delay_alu instid0(SALU_CYCLE_1)
	s_or_b32 s58, s36, s37
	s_or_b32 exec_lo, exec_lo, s1
	v_mov_b64_e32 v[14:15], 0
	s_and_saveexec_b32 s1, s58
	s_cbranch_execnz .LBB127_3492
	s_branch .LBB127_3493
.LBB127_3508:
	s_mov_b32 s1, -1
                                        ; implicit-def: $vgpr14_vgpr15
	s_branch .LBB127_3513
.LBB127_3509:
	s_mov_b32 s1, -1
                                        ; implicit-def: $vgpr14_vgpr15
.LBB127_3510:
	s_delay_alu instid0(SALU_CYCLE_1)
	s_and_b32 vcc_lo, exec_lo, s1
	s_cbranch_vccz .LBB127_3512
; %bb.3511:
	global_load_u8 v1, v[6:7], off
	s_wait_loadcnt 0x0
	v_lshlrev_b32_e32 v1, 24, v1
	s_delay_alu instid0(VALU_DEP_1) | instskip(NEXT) | instid1(VALU_DEP_1)
	v_and_b32_e32 v3, 0x7f000000, v1
	v_clz_i32_u32_e32 v14, v3
	v_cmp_ne_u32_e32 vcc_lo, 0, v3
	v_add_nc_u32_e32 v16, 0x1000000, v3
	s_delay_alu instid0(VALU_DEP_3) | instskip(NEXT) | instid1(VALU_DEP_1)
	v_min_u32_e32 v14, 32, v14
	v_sub_nc_u32_e64 v14, v14, 4 clamp
	s_delay_alu instid0(VALU_DEP_1) | instskip(NEXT) | instid1(VALU_DEP_1)
	v_dual_lshlrev_b32 v15, v14, v3 :: v_dual_lshlrev_b32 v14, 23, v14
	v_lshrrev_b32_e32 v15, 4, v15
	s_delay_alu instid0(VALU_DEP_1) | instskip(NEXT) | instid1(VALU_DEP_1)
	v_dual_sub_nc_u32 v14, v15, v14 :: v_dual_ashrrev_i32 v15, 8, v16
	v_add_nc_u32_e32 v14, 0x3c000000, v14
	s_delay_alu instid0(VALU_DEP_1) | instskip(NEXT) | instid1(VALU_DEP_1)
	v_and_or_b32 v14, 0x7f800000, v15, v14
	v_cndmask_b32_e32 v3, 0, v14, vcc_lo
	s_delay_alu instid0(VALU_DEP_1) | instskip(NEXT) | instid1(VALU_DEP_1)
	v_and_or_b32 v1, 0x80000000, v1, v3
	v_trunc_f32_e32 v1, v1
	s_delay_alu instid0(VALU_DEP_1) | instskip(SKIP_1) | instid1(VALU_DEP_2)
	v_mul_f32_e64 v3, 0x2f800000, |v1|
	v_ashrrev_i32_e32 v14, 31, v1
	v_floor_f32_e32 v3, v3
	s_delay_alu instid0(VALU_DEP_1) | instskip(SKIP_1) | instid1(VALU_DEP_2)
	v_fma_f32 v15, 0xcf800000, v3, |v1|
	v_cvt_u32_f32_e32 v1, v3
	v_cvt_u32_f32_e32 v3, v15
	s_delay_alu instid0(VALU_DEP_2) | instskip(NEXT) | instid1(VALU_DEP_2)
	v_dual_mov_b32 v15, v14 :: v_dual_bitop2_b32 v17, v1, v14 bitop3:0x14
	v_xor_b32_e32 v16, v3, v14
	s_delay_alu instid0(VALU_DEP_1)
	v_sub_nc_u64_e32 v[14:15], v[16:17], v[14:15]
.LBB127_3512:
	s_mov_b32 s1, 0
.LBB127_3513:
	s_delay_alu instid0(SALU_CYCLE_1)
	s_and_not1_b32 vcc_lo, exec_lo, s1
	s_cbranch_vccnz .LBB127_3515
; %bb.3514:
	global_load_u8 v1, v[6:7], off
	s_wait_loadcnt 0x0
	v_lshlrev_b32_e32 v3, 25, v1
	v_lshlrev_b16 v1, 8, v1
	s_delay_alu instid0(VALU_DEP_1) | instskip(SKIP_1) | instid1(VALU_DEP_2)
	v_and_or_b32 v15, 0x7f00, v1, 0.5
	v_bfe_i32 v1, v1, 0, 16
	v_add_f32_e32 v15, -0.5, v15
	v_lshrrev_b32_e32 v14, 4, v3
	v_cmp_gt_u32_e32 vcc_lo, 0x8000000, v3
	s_delay_alu instid0(VALU_DEP_2) | instskip(NEXT) | instid1(VALU_DEP_1)
	v_or_b32_e32 v14, 0x70000000, v14
	v_mul_f32_e32 v14, 0x7800000, v14
	s_delay_alu instid0(VALU_DEP_1) | instskip(NEXT) | instid1(VALU_DEP_1)
	v_cndmask_b32_e32 v3, v14, v15, vcc_lo
	v_and_or_b32 v1, 0x80000000, v1, v3
	s_delay_alu instid0(VALU_DEP_1) | instskip(NEXT) | instid1(VALU_DEP_1)
	v_trunc_f32_e32 v1, v1
	v_mul_f32_e64 v3, 0x2f800000, |v1|
	v_ashrrev_i32_e32 v14, 31, v1
	s_delay_alu instid0(VALU_DEP_2) | instskip(NEXT) | instid1(VALU_DEP_1)
	v_floor_f32_e32 v3, v3
	v_fma_f32 v15, 0xcf800000, v3, |v1|
	v_cvt_u32_f32_e32 v1, v3
	s_delay_alu instid0(VALU_DEP_2) | instskip(NEXT) | instid1(VALU_DEP_2)
	v_cvt_u32_f32_e32 v3, v15
	v_dual_mov_b32 v15, v14 :: v_dual_bitop2_b32 v17, v1, v14 bitop3:0x14
	s_delay_alu instid0(VALU_DEP_2) | instskip(NEXT) | instid1(VALU_DEP_1)
	v_xor_b32_e32 v16, v3, v14
	v_sub_nc_u64_e32 v[14:15], v[16:17], v[14:15]
.LBB127_3515:
	s_mov_b32 s1, 0
	s_mov_b32 s58, -1
.LBB127_3516:
	s_and_not1_b32 vcc_lo, exec_lo, s1
	s_cbranch_vccnz .LBB127_3529
; %bb.3517:
	s_cmp_gt_i32 s35, 14
	s_cbranch_scc0 .LBB127_3520
; %bb.3518:
	s_cmp_eq_u32 s35, 15
	s_cbranch_scc0 .LBB127_3523
; %bb.3519:
	global_load_u16 v1, v[6:7], off
	s_mov_b32 s58, -1
	s_mov_b32 s46, 0
	s_wait_loadcnt 0x0
	v_lshlrev_b32_e32 v1, 16, v1
	s_delay_alu instid0(VALU_DEP_1) | instskip(NEXT) | instid1(VALU_DEP_1)
	v_trunc_f32_e32 v1, v1
	v_mul_f32_e64 v3, 0x2f800000, |v1|
	v_ashrrev_i32_e32 v14, 31, v1
	s_delay_alu instid0(VALU_DEP_2) | instskip(NEXT) | instid1(VALU_DEP_1)
	v_floor_f32_e32 v3, v3
	v_fma_f32 v15, 0xcf800000, v3, |v1|
	v_cvt_u32_f32_e32 v1, v3
	s_delay_alu instid0(VALU_DEP_2) | instskip(NEXT) | instid1(VALU_DEP_2)
	v_cvt_u32_f32_e32 v3, v15
	v_dual_mov_b32 v15, v14 :: v_dual_bitop2_b32 v17, v1, v14 bitop3:0x14
	s_delay_alu instid0(VALU_DEP_2) | instskip(NEXT) | instid1(VALU_DEP_1)
	v_xor_b32_e32 v16, v3, v14
	v_sub_nc_u64_e32 v[14:15], v[16:17], v[14:15]
	s_branch .LBB127_3524
.LBB127_3520:
	s_mov_b32 s1, -1
                                        ; implicit-def: $vgpr14_vgpr15
	s_branch .LBB127_3525
.LBB127_3521:
	s_and_not1_saveexec_b32 s1, s1
	s_cbranch_execz .LBB127_3502
.LBB127_3522:
	v_cmp_ne_u16_e32 vcc_lo, 0, v1
	s_and_not1_b32 s36, s58, exec_lo
	s_and_b32 s37, vcc_lo, exec_lo
	s_delay_alu instid0(SALU_CYCLE_1)
	s_or_b32 s58, s36, s37
	s_or_b32 exec_lo, exec_lo, s1
	v_mov_b64_e32 v[14:15], 0
	s_and_saveexec_b32 s1, s58
	s_cbranch_execnz .LBB127_3503
	s_branch .LBB127_3504
.LBB127_3523:
	s_mov_b32 s46, -1
                                        ; implicit-def: $vgpr14_vgpr15
.LBB127_3524:
	s_mov_b32 s1, 0
.LBB127_3525:
	s_delay_alu instid0(SALU_CYCLE_1)
	s_and_b32 vcc_lo, exec_lo, s1
	s_cbranch_vccz .LBB127_3529
; %bb.3526:
	s_cmp_eq_u32 s35, 11
	s_cbranch_scc0 .LBB127_3528
; %bb.3527:
	global_load_u8 v1, v[6:7], off
	s_mov_b32 s46, 0
	s_mov_b32 s58, -1
	s_wait_loadcnt 0x1
	v_mov_b32_e32 v15, s46
	s_wait_loadcnt 0x0
	v_cmp_ne_u16_e32 vcc_lo, 0, v1
	v_cndmask_b32_e64 v14, 0, 1, vcc_lo
	s_branch .LBB127_3529
.LBB127_3528:
	s_mov_b32 s46, -1
                                        ; implicit-def: $vgpr14_vgpr15
.LBB127_3529:
	s_mov_b32 s1, 0
.LBB127_3530:
	s_delay_alu instid0(SALU_CYCLE_1)
	s_and_b32 vcc_lo, exec_lo, s1
	s_cbranch_vccz .LBB127_3579
; %bb.3531:
	s_and_b32 s0, 0xffff, s0
	s_delay_alu instid0(SALU_CYCLE_1)
	s_cmp_lt_i32 s0, 5
	s_cbranch_scc1 .LBB127_3536
; %bb.3532:
	s_cmp_lt_i32 s0, 8
	s_cbranch_scc1 .LBB127_3537
; %bb.3533:
	;; [unrolled: 3-line block ×3, first 2 shown]
	s_cmp_gt_i32 s0, 9
	s_cbranch_scc0 .LBB127_3539
; %bb.3535:
	s_wait_loadcnt 0x0
	global_load_b64 v[14:15], v[6:7], off
	s_mov_b32 s1, 0
	s_wait_loadcnt 0x0
	v_trunc_f64_e32 v[14:15], v[14:15]
	s_delay_alu instid0(VALU_DEP_1) | instskip(NEXT) | instid1(VALU_DEP_1)
	v_ldexp_f64 v[16:17], v[14:15], 0xffffffe0
	v_floor_f64_e32 v[16:17], v[16:17]
	s_delay_alu instid0(VALU_DEP_1) | instskip(SKIP_1) | instid1(VALU_DEP_2)
	v_fmamk_f64 v[18:19], v[16:17], 0xc1f00000, v[14:15]
	v_cvt_i32_f64_e32 v15, v[16:17]
	v_cvt_u32_f64_e32 v14, v[18:19]
	s_branch .LBB127_3540
.LBB127_3536:
	s_mov_b32 s1, -1
                                        ; implicit-def: $vgpr14_vgpr15
	s_branch .LBB127_3558
.LBB127_3537:
	s_mov_b32 s1, -1
                                        ; implicit-def: $vgpr14_vgpr15
	s_branch .LBB127_3546
.LBB127_3538:
	s_mov_b32 s1, -1
                                        ; implicit-def: $vgpr14_vgpr15
	s_branch .LBB127_3543
.LBB127_3539:
	s_mov_b32 s1, -1
                                        ; implicit-def: $vgpr14_vgpr15
.LBB127_3540:
	s_delay_alu instid0(SALU_CYCLE_1)
	s_and_not1_b32 vcc_lo, exec_lo, s1
	s_cbranch_vccnz .LBB127_3542
; %bb.3541:
	global_load_b32 v1, v[6:7], off
	s_wait_loadcnt 0x0
	v_trunc_f32_e32 v1, v1
	s_delay_alu instid0(VALU_DEP_1) | instskip(SKIP_1) | instid1(VALU_DEP_2)
	v_mul_f32_e64 v3, 0x2f800000, |v1|
	v_ashrrev_i32_e32 v14, 31, v1
	v_floor_f32_e32 v3, v3
	s_delay_alu instid0(VALU_DEP_1) | instskip(SKIP_1) | instid1(VALU_DEP_2)
	v_fma_f32 v15, 0xcf800000, v3, |v1|
	v_cvt_u32_f32_e32 v1, v3
	v_cvt_u32_f32_e32 v3, v15
	s_delay_alu instid0(VALU_DEP_2) | instskip(NEXT) | instid1(VALU_DEP_2)
	v_dual_mov_b32 v15, v14 :: v_dual_bitop2_b32 v17, v1, v14 bitop3:0x14
	v_xor_b32_e32 v16, v3, v14
	s_delay_alu instid0(VALU_DEP_1)
	v_sub_nc_u64_e32 v[14:15], v[16:17], v[14:15]
.LBB127_3542:
	s_mov_b32 s1, 0
.LBB127_3543:
	s_delay_alu instid0(SALU_CYCLE_1)
	s_and_not1_b32 vcc_lo, exec_lo, s1
	s_cbranch_vccnz .LBB127_3545
; %bb.3544:
	global_load_b32 v1, v[6:7], off
	s_wait_loadcnt 0x0
	v_cvt_f32_f16_e32 v1, v1
	s_delay_alu instid0(VALU_DEP_1) | instskip(NEXT) | instid1(VALU_DEP_1)
	v_cvt_i32_f32_e32 v14, v1
	v_ashrrev_i32_e32 v15, 31, v14
.LBB127_3545:
	s_mov_b32 s1, 0
.LBB127_3546:
	s_delay_alu instid0(SALU_CYCLE_1)
	s_and_not1_b32 vcc_lo, exec_lo, s1
	s_cbranch_vccnz .LBB127_3557
; %bb.3547:
	s_cmp_lt_i32 s0, 6
	s_cbranch_scc1 .LBB127_3550
; %bb.3548:
	s_cmp_gt_i32 s0, 6
	s_cbranch_scc0 .LBB127_3551
; %bb.3549:
	s_wait_loadcnt 0x0
	global_load_b64 v[14:15], v[6:7], off
	s_mov_b32 s1, 0
	s_wait_loadcnt 0x0
	v_trunc_f64_e32 v[14:15], v[14:15]
	s_delay_alu instid0(VALU_DEP_1) | instskip(NEXT) | instid1(VALU_DEP_1)
	v_ldexp_f64 v[16:17], v[14:15], 0xffffffe0
	v_floor_f64_e32 v[16:17], v[16:17]
	s_delay_alu instid0(VALU_DEP_1) | instskip(SKIP_1) | instid1(VALU_DEP_2)
	v_fmamk_f64 v[18:19], v[16:17], 0xc1f00000, v[14:15]
	v_cvt_i32_f64_e32 v15, v[16:17]
	v_cvt_u32_f64_e32 v14, v[18:19]
	s_branch .LBB127_3552
.LBB127_3550:
	s_mov_b32 s1, -1
                                        ; implicit-def: $vgpr14_vgpr15
	s_branch .LBB127_3555
.LBB127_3551:
	s_mov_b32 s1, -1
                                        ; implicit-def: $vgpr14_vgpr15
.LBB127_3552:
	s_delay_alu instid0(SALU_CYCLE_1)
	s_and_not1_b32 vcc_lo, exec_lo, s1
	s_cbranch_vccnz .LBB127_3554
; %bb.3553:
	global_load_b32 v1, v[6:7], off
	s_wait_loadcnt 0x0
	v_trunc_f32_e32 v1, v1
	s_delay_alu instid0(VALU_DEP_1) | instskip(SKIP_1) | instid1(VALU_DEP_2)
	v_mul_f32_e64 v3, 0x2f800000, |v1|
	v_ashrrev_i32_e32 v14, 31, v1
	v_floor_f32_e32 v3, v3
	s_delay_alu instid0(VALU_DEP_1) | instskip(SKIP_1) | instid1(VALU_DEP_2)
	v_fma_f32 v15, 0xcf800000, v3, |v1|
	v_cvt_u32_f32_e32 v1, v3
	v_cvt_u32_f32_e32 v3, v15
	s_delay_alu instid0(VALU_DEP_2) | instskip(NEXT) | instid1(VALU_DEP_2)
	v_dual_mov_b32 v15, v14 :: v_dual_bitop2_b32 v17, v1, v14 bitop3:0x14
	v_xor_b32_e32 v16, v3, v14
	s_delay_alu instid0(VALU_DEP_1)
	v_sub_nc_u64_e32 v[14:15], v[16:17], v[14:15]
.LBB127_3554:
	s_mov_b32 s1, 0
.LBB127_3555:
	s_delay_alu instid0(SALU_CYCLE_1)
	s_and_not1_b32 vcc_lo, exec_lo, s1
	s_cbranch_vccnz .LBB127_3557
; %bb.3556:
	global_load_u16 v1, v[6:7], off
	s_wait_loadcnt 0x0
	v_cvt_f32_f16_e32 v1, v1
	s_delay_alu instid0(VALU_DEP_1) | instskip(NEXT) | instid1(VALU_DEP_1)
	v_cvt_i32_f32_e32 v14, v1
	v_ashrrev_i32_e32 v15, 31, v14
.LBB127_3557:
	s_mov_b32 s1, 0
.LBB127_3558:
	s_delay_alu instid0(SALU_CYCLE_1)
	s_and_not1_b32 vcc_lo, exec_lo, s1
	s_cbranch_vccnz .LBB127_3578
; %bb.3559:
	s_cmp_lt_i32 s0, 2
	s_cbranch_scc1 .LBB127_3563
; %bb.3560:
	s_cmp_lt_i32 s0, 3
	s_cbranch_scc1 .LBB127_3564
; %bb.3561:
	s_cmp_gt_i32 s0, 3
	s_cbranch_scc0 .LBB127_3565
; %bb.3562:
	s_wait_loadcnt 0x0
	global_load_b64 v[14:15], v[6:7], off
	s_mov_b32 s1, 0
	s_branch .LBB127_3566
.LBB127_3563:
	s_mov_b32 s1, -1
                                        ; implicit-def: $vgpr14_vgpr15
	s_branch .LBB127_3572
.LBB127_3564:
	s_mov_b32 s1, -1
                                        ; implicit-def: $vgpr14_vgpr15
	s_branch .LBB127_3569
.LBB127_3565:
	s_mov_b32 s1, -1
                                        ; implicit-def: $vgpr14_vgpr15
.LBB127_3566:
	s_delay_alu instid0(SALU_CYCLE_1)
	s_and_not1_b32 vcc_lo, exec_lo, s1
	s_cbranch_vccnz .LBB127_3568
; %bb.3567:
	s_wait_loadcnt 0x0
	global_load_b32 v14, v[6:7], off
	s_wait_loadcnt 0x0
	v_ashrrev_i32_e32 v15, 31, v14
.LBB127_3568:
	s_mov_b32 s1, 0
.LBB127_3569:
	s_delay_alu instid0(SALU_CYCLE_1)
	s_and_not1_b32 vcc_lo, exec_lo, s1
	s_cbranch_vccnz .LBB127_3571
; %bb.3570:
	global_load_u16 v1, v[6:7], off
	s_wait_loadcnt 0x0
	v_bfe_i32 v14, v1, 0, 16
	s_delay_alu instid0(VALU_DEP_1)
	v_ashrrev_i32_e32 v15, 31, v14
.LBB127_3571:
	s_mov_b32 s1, 0
.LBB127_3572:
	s_delay_alu instid0(SALU_CYCLE_1)
	s_and_not1_b32 vcc_lo, exec_lo, s1
	s_cbranch_vccnz .LBB127_3578
; %bb.3573:
	s_cmp_gt_i32 s0, 0
	s_mov_b32 s0, 0
	s_cbranch_scc0 .LBB127_3575
; %bb.3574:
	global_load_i8 v1, v[6:7], off
	s_wait_loadcnt 0x0
	v_bfe_i32 v14, v1, 0, 16
	s_delay_alu instid0(VALU_DEP_1)
	v_ashrrev_i32_e32 v15, 31, v14
	s_branch .LBB127_3576
.LBB127_3575:
	s_mov_b32 s0, -1
                                        ; implicit-def: $vgpr14_vgpr15
.LBB127_3576:
	s_delay_alu instid0(SALU_CYCLE_1)
	s_and_not1_b32 vcc_lo, exec_lo, s0
	s_cbranch_vccnz .LBB127_3578
; %bb.3577:
	global_load_u8 v1, v[6:7], off
	s_mov_b32 s0, 0
	s_wait_loadcnt 0x1
	v_mov_b32_e32 v15, s0
	s_wait_loadcnt 0x0
	v_and_b32_e32 v14, 0xffff, v1
.LBB127_3578:
	s_mov_b32 s58, -1
.LBB127_3579:
	s_delay_alu instid0(SALU_CYCLE_1)
	s_and_not1_b32 vcc_lo, exec_lo, s58
	s_cbranch_vccnz .LBB127_3590
; %bb.3580:
	s_load_b512 s[4:19], s[2:3], 0x248
	s_mov_b32 s0, 0
	s_mov_b32 s59, -1
	s_mov_b32 s60, s99
	s_mov_b32 s58, vcc_hi
	s_mov_b32 s35, s104
	s_mov_b32 s1, s101
	s_wait_loadcnt 0x0
	s_wait_kmcnt 0x0
	v_cmp_eq_u64_e32 vcc_lo, s[16:17], v[4:5]
	s_and_b32 s36, s81, vcc_lo
	s_delay_alu instid0(SALU_CYCLE_1)
	s_and_saveexec_b32 s62, s36
	v_readlane_b32 s4, v66, 0
	s_mov_b64 s[14:15], s[78:79]
	s_mov_b32 s12, s76
	s_cbranch_execz .LBB127_4301
; %bb.3581:
	v_cmp_eq_u64_e32 vcc_lo, s[20:21], v[8:9]
	s_mov_b32 s58, -1
	s_mov_b32 s59, vcc_hi
	s_mov_b32 s35, s104
	s_mov_b32 s60, s101
	s_and_b32 s1, s52, vcc_lo
	s_delay_alu instid0(SALU_CYCLE_1)
	s_and_saveexec_b32 s39, s1
	s_cbranch_execz .LBB127_3787
; %bb.3582:
	s_load_b512 s[4:19], s[2:3], 0x248
	v_sub_nc_u64_e32 v[4:5], v[10:11], v[12:13]
	s_mov_b32 s1, 0
	s_mov_b32 s35, -1
	s_mov_b32 s58, s101
	s_wait_kmcnt 0x0
	s_delay_alu instid0(VALU_DEP_1) | instskip(SKIP_4) | instid1(SALU_CYCLE_1)
	v_cmp_le_i64_e32 vcc_lo, s[16:17], v[4:5]
	v_cmp_ge_i64_e64 s0, s[18:19], v[4:5]
	s_and_b32 s36, vcc_lo, s0
	s_mov_b32 s0, s104
	s_and_b32 s36, s77, s36
	s_and_saveexec_b32 s14, s36
	s_cbranch_execz .LBB127_3786
; %bb.3583:
	v_cmp_lt_i64_e64 s0, s[20:21], 1
	v_mov_b64_e32 v[4:5], 0
	s_xor_b32 s1, s51, -1
	s_delay_alu instid0(SALU_CYCLE_1) | instskip(NEXT) | instid1(SALU_CYCLE_1)
	s_or_b32 s0, s0, s1
	s_and_b32 vcc_lo, exec_lo, s0
	s_cbranch_vccnz .LBB127_3592
; %bb.3584:
	v_mul_u64_e32 v[8:9], s[20:21], v[14:15]
	s_mov_b32 s59, 0
	v_mov_b64_e32 v[4:5], 0
	s_mov_b32 s35, s59
	v_mov_b32_e32 v6, 0
	s_lshl_b64 s[0:1], s[34:35], 3
	s_mov_b32 s13, s39
	s_mov_b32 s12, s62
	s_add_nc_u64 s[60:61], s[24:25], s[0:1]
	s_add_nc_u64 s[62:63], s[26:27], s[0:1]
	s_mov_b32 s35, s22
	s_branch .LBB127_3586
.LBB127_3585:                           ;   in Loop: Header=BB127_3586 Depth=1
	s_or_b32 exec_lo, exec_lo, s0
	global_load_b64 v[16:17], v6, s[62:63]
	v_mul_u64_e32 v[18:19], s[64:65], v[14:15]
	s_add_co_i32 s35, s35, -1
	s_add_nc_u64 s[60:61], s[60:61], -8
	s_cmp_lg_u32 s35, 0
	s_wait_xcnt 0x0
	s_add_nc_u64 s[62:63], s[62:63], -8
	s_delay_alu instid0(VALU_DEP_1) | instskip(SKIP_1) | instid1(VALU_DEP_1)
	v_sub_nc_u64_e32 v[8:9], v[8:9], v[18:19]
	s_wait_loadcnt 0x0
	v_mad_nc_u64_u32 v[4:5], v8, v16, v[4:5]
	s_delay_alu instid0(VALU_DEP_1) | instskip(NEXT) | instid1(VALU_DEP_1)
	v_mad_u32 v1, v9, v16, v5
	v_mad_u32 v5, v8, v17, v1
	v_mov_b64_e32 v[8:9], v[14:15]
	s_cbranch_scc0 .LBB127_3591
.LBB127_3586:                           ; =>This Inner Loop Header: Depth=1
	global_load_b64 v[14:15], v6, s[60:61]
	s_mov_b32 s0, exec_lo
	s_wait_loadcnt 0x0
	v_or_b32_e32 v7, v9, v15
	v_readfirstlane_b32 s64, v14
	v_readfirstlane_b32 s65, v15
                                        ; implicit-def: $vgpr14_vgpr15
	s_wait_xcnt 0x0
	s_delay_alu instid0(VALU_DEP_3)
	v_cmpx_ne_u64_e32 0, v[6:7]
	s_xor_b32 s1, exec_lo, s0
	s_cbranch_execz .LBB127_3588
; %bb.3587:                             ;   in Loop: Header=BB127_3586 Depth=1
	s_ashr_i32 s66, s65, 31
	s_mov_b32 s8, s69
	s_mov_b32 s67, s66
	s_mov_b32 s10, s68
	s_add_nc_u64 s[36:37], s[64:65], s[66:67]
	s_mov_b64 s[4:5], s[40:41]
	s_xor_b64 s[68:69], s[36:37], s[66:67]
	s_mov_b64 s[6:7], s[42:43]
	s_cvt_f32_u32 s0, s68
	s_cvt_f32_u32 s36, s69
	s_sub_nc_u64 s[38:39], 0, s[68:69]
	s_mov_b32 s9, s48
	s_mov_b32 s11, s49
	s_fmamk_f32 s0, s36, 0x4f800000, s0
	v_dual_mov_b32 v19, v6 :: v_dual_ashrrev_i32 v14, 31, v9
	s_delay_alu instid0(SALU_CYCLE_2) | instskip(NEXT) | instid1(VALU_DEP_1)
	v_s_rcp_f32 s0, s0
	v_mov_b32_e32 v15, v14
	s_delay_alu instid0(VALU_DEP_1) | instskip(NEXT) | instid1(TRANS32_DEP_1)
	v_add_nc_u64_e32 v[16:17], v[8:9], v[14:15]
	s_mul_f32 s0, s0, 0x5f7ffffc
	v_mov_b32_e32 v21, v6
	s_delay_alu instid0(SALU_CYCLE_2) | instskip(NEXT) | instid1(VALU_DEP_2)
	s_mul_f32 s36, s0, 0x2f800000
	v_xor_b32_e32 v18, v16, v14
	s_delay_alu instid0(VALU_DEP_3) | instskip(NEXT) | instid1(SALU_CYCLE_1)
	v_xor_b32_e32 v20, v17, v14
	s_trunc_f32 s36, s36
	v_dual_mov_b32 v27, v6 :: v_dual_bitop2_b32 v14, s66, v14 bitop3:0x14
	s_delay_alu instid0(SALU_CYCLE_2) | instskip(SKIP_1) | instid1(SALU_CYCLE_2)
	s_fmamk_f32 s0, s36, 0xcf800000, s0
	s_cvt_u32_f32 s37, s36
	s_cvt_u32_f32 s36, s0
	s_delay_alu instid0(SALU_CYCLE_3) | instskip(NEXT) | instid1(SALU_CYCLE_1)
	s_mul_u64 s[40:41], s[38:39], s[36:37]
	s_mul_hi_u32 s43, s36, s41
	s_mul_i32 s42, s36, s41
	s_mul_hi_u32 s58, s36, s40
	s_mul_i32 s48, s37, s40
	s_add_nc_u64 s[42:43], s[58:59], s[42:43]
	s_mul_hi_u32 s0, s37, s40
	s_mul_hi_u32 s49, s37, s41
	s_mul_i32 s40, s37, s41
	s_add_co_u32 s41, s42, s48
	s_add_co_ci_u32 s58, s43, s0
	s_add_co_ci_u32 s41, s49, 0
	s_mov_b32 s48, s9
	s_add_nc_u64 s[40:41], s[58:59], s[40:41]
	s_mov_b32 s49, s11
	s_add_co_u32 s36, s36, s40
	s_cselect_b32 s0, -1, 0
	s_delay_alu instid0(SALU_CYCLE_1) | instskip(SKIP_1) | instid1(SALU_CYCLE_1)
	s_cmp_lg_u32 s0, 0
	s_add_co_ci_u32 s37, s37, s41
	s_mul_u64 s[38:39], s[38:39], s[36:37]
	s_delay_alu instid0(SALU_CYCLE_1)
	s_mul_hi_u32 s41, s36, s39
	s_mul_i32 s40, s36, s39
	s_mul_hi_u32 s58, s36, s38
	s_mul_i32 s42, s37, s38
	s_add_nc_u64 s[40:41], s[58:59], s[40:41]
	s_mul_hi_u32 s0, s37, s38
	s_mul_hi_u32 s43, s37, s39
	s_mul_i32 s38, s37, s39
	s_add_co_u32 s39, s40, s42
	s_add_co_ci_u32 s58, s41, s0
	s_add_co_ci_u32 s39, s43, 0
	s_mov_b64 s[42:43], s[6:7]
	s_add_nc_u64 s[38:39], s[58:59], s[38:39]
	s_mov_b64 s[40:41], s[4:5]
	s_add_co_u32 s0, s36, s38
	s_cselect_b32 s36, -1, 0
	v_mul_hi_u32 v26, v18, s0
	s_cmp_lg_u32 s36, 0
	s_add_co_ci_u32 s58, s37, s39
	s_mov_b64 s[36:37], 0xffffffff
	v_mul_u64_e32 v[22:23], s[58:59], v[18:19]
	s_and_b64 s[36:37], s[0:1], s[36:37]
	v_mul_u64_e32 v[24:25], s[58:59], v[20:21]
	v_mul_u64_e32 v[16:17], s[36:37], v[20:21]
	s_delay_alu instid0(VALU_DEP_3) | instskip(NEXT) | instid1(VALU_DEP_1)
	v_add_nc_u64_e32 v[22:23], v[26:27], v[22:23]
	v_add_co_u32 v1, vcc_lo, v22, v16
	s_delay_alu instid0(VALU_DEP_2) | instskip(SKIP_1) | instid1(VALU_DEP_1)
	v_add_co_ci_u32_e32 v26, vcc_lo, v23, v17, vcc_lo
	v_add_co_ci_u32_e32 v25, vcc_lo, 0, v25, vcc_lo
	v_add_nc_u64_e32 v[16:17], v[26:27], v[24:25]
	s_delay_alu instid0(VALU_DEP_1) | instskip(NEXT) | instid1(VALU_DEP_1)
	v_mul_u64_e32 v[22:23], s[68:69], v[16:17]
	v_sub_nc_u32_e32 v1, v20, v23
	s_delay_alu instid0(VALU_DEP_2) | instskip(NEXT) | instid1(VALU_DEP_1)
	v_sub_co_u32 v3, vcc_lo, v18, v22
	v_sub_co_ci_u32_e64 v15, null, v20, v23, vcc_lo
	s_delay_alu instid0(VALU_DEP_3) | instskip(NEXT) | instid1(VALU_DEP_3)
	v_subrev_co_ci_u32_e64 v1, null, s69, v1, vcc_lo
	v_sub_co_u32 v7, s0, v3, s68
	v_add_nc_u64_e32 v[20:21], 1, v[16:17]
	s_delay_alu instid0(VALU_DEP_3) | instskip(NEXT) | instid1(VALU_DEP_3)
	v_subrev_co_ci_u32_e64 v1, null, 0, v1, s0
	v_cmp_le_u32_e32 vcc_lo, s68, v7
	v_cndmask_b32_e64 v7, 0, -1, vcc_lo
	s_delay_alu instid0(VALU_DEP_3)
	v_cmp_le_u32_e32 vcc_lo, s69, v1
	v_cndmask_b32_e64 v18, 0, -1, vcc_lo
	v_cmp_le_u32_e32 vcc_lo, s68, v3
	s_mov_b32 s68, s10
	v_cndmask_b32_e64 v3, 0, -1, vcc_lo
	v_cmp_le_u32_e32 vcc_lo, s69, v15
	v_cndmask_b32_e64 v22, 0, -1, vcc_lo
	v_cmp_eq_u32_e32 vcc_lo, s69, v1
	v_cndmask_b32_e32 v1, v18, v7, vcc_lo
	v_cmp_eq_u32_e32 vcc_lo, s69, v15
	v_add_nc_u64_e32 v[18:19], 2, v[16:17]
	v_mov_b32_e32 v15, v14
	s_mov_b32 s69, s8
	v_cndmask_b32_e32 v3, v22, v3, vcc_lo
	v_cmp_ne_u32_e32 vcc_lo, 0, v1
	s_delay_alu instid0(VALU_DEP_2) | instskip(SKIP_1) | instid1(VALU_DEP_1)
	v_cmp_ne_u32_e64 s0, 0, v3
	v_dual_cndmask_b32 v1, v21, v19, vcc_lo :: v_dual_cndmask_b32 v3, v20, v18, vcc_lo
	v_dual_cndmask_b32 v1, v17, v1, s0 :: v_dual_cndmask_b32 v3, v16, v3, s0
	s_delay_alu instid0(VALU_DEP_1) | instskip(NEXT) | instid1(VALU_DEP_2)
	v_xor_b32_e32 v17, v1, v14
	v_xor_b32_e32 v16, v3, v14
	s_delay_alu instid0(VALU_DEP_1)
	v_sub_nc_u64_e32 v[14:15], v[16:17], v[14:15]
.LBB127_3588:                           ;   in Loop: Header=BB127_3586 Depth=1
	s_and_not1_saveexec_b32 s0, s1
	s_cbranch_execz .LBB127_3585
; %bb.3589:                             ;   in Loop: Header=BB127_3586 Depth=1
	v_cvt_f32_u32_e32 v1, s64
	s_sub_co_i32 s1, 0, s64
	v_mov_b32_e32 v15, v6
	s_delay_alu instid0(VALU_DEP_2) | instskip(SKIP_1) | instid1(TRANS32_DEP_1)
	v_rcp_iflag_f32_e32 v1, v1
	v_nop
	v_mul_f32_e32 v1, 0x4f7ffffe, v1
	s_delay_alu instid0(VALU_DEP_1) | instskip(NEXT) | instid1(VALU_DEP_1)
	v_cvt_u32_f32_e32 v1, v1
	v_mul_lo_u32 v3, s1, v1
	s_delay_alu instid0(VALU_DEP_1) | instskip(NEXT) | instid1(VALU_DEP_1)
	v_mul_hi_u32 v3, v1, v3
	v_add_nc_u32_e32 v1, v1, v3
	s_delay_alu instid0(VALU_DEP_1) | instskip(NEXT) | instid1(VALU_DEP_1)
	v_mul_hi_u32 v1, v8, v1
	v_mul_lo_u32 v3, v1, s64
	s_delay_alu instid0(VALU_DEP_1) | instskip(NEXT) | instid1(VALU_DEP_1)
	v_sub_nc_u32_e32 v3, v8, v3
	v_subrev_nc_u32_e32 v14, s64, v3
	v_cmp_le_u32_e32 vcc_lo, s64, v3
	s_delay_alu instid0(VALU_DEP_2) | instskip(NEXT) | instid1(VALU_DEP_1)
	v_dual_add_nc_u32 v7, 1, v1 :: v_dual_cndmask_b32 v3, v3, v14, vcc_lo
	v_cndmask_b32_e32 v1, v1, v7, vcc_lo
	s_delay_alu instid0(VALU_DEP_2) | instskip(NEXT) | instid1(VALU_DEP_2)
	v_cmp_le_u32_e32 vcc_lo, s64, v3
	v_add_nc_u32_e32 v7, 1, v1
	s_delay_alu instid0(VALU_DEP_1)
	v_cndmask_b32_e32 v14, v1, v7, vcc_lo
	s_branch .LBB127_3585
.LBB127_3590:
	s_mov_b32 s0, 0
	s_mov_b32 s1, s101
	;; [unrolled: 1-line block ×3, first 2 shown]
	s_mov_b32 s58, vcc_hi
	s_mov_b32 s60, s99
	s_mov_b32 s59, s100
                                        ; implicit-def: $vgpr0
	s_mov_b64 s[14:15], s[78:79]
	s_mov_b32 s12, s76
	v_readlane_b32 s4, v66, 0
	s_branch .LBB127_1211
.LBB127_3591:
	s_mov_b32 s62, s12
	s_mov_b32 s39, s13
.LBB127_3592:
	s_mov_b32 s59, -1
	s_mov_b32 s0, s104
	s_mov_b32 s1, exec_lo
	v_cmpx_gt_i64_e64 v[10:11], v[12:13]
	s_cbranch_execz .LBB127_3598
; %bb.3593:
	s_delay_alu instid0(VALU_DEP_2) | instskip(SKIP_2) | instid1(VALU_DEP_1)
	v_lshlrev_b64_e32 v[4:5], 3, v[4:5]
	s_mov_b32 s0, 0
	s_xor_b32 s58, s69, -1
                                        ; implicit-def: $sgpr35
                                        ; implicit-def: $sgpr60
                                        ; implicit-def: $sgpr59
	v_lshl_add_u64 v[6:7], v[12:13], 3, v[4:5]
	v_add_nc_u64_e32 v[8:9], s[28:29], v[4:5]
	s_delay_alu instid0(VALU_DEP_2) | instskip(NEXT) | instid1(VALU_DEP_1)
	v_add_nc_u64_e32 v[6:7], s[28:29], v[6:7]
	v_add_nc_u64_e32 v[4:5], 8, v[6:7]
	s_delay_alu instid0(VALU_DEP_3)
	v_lshl_add_u64 v[6:7], v[10:11], 3, v[8:9]
	s_branch .LBB127_3595
.LBB127_3594:                           ;   in Loop: Header=BB127_3595 Depth=1
	s_or_b32 exec_lo, exec_lo, s61
	s_delay_alu instid0(SALU_CYCLE_1) | instskip(NEXT) | instid1(SALU_CYCLE_1)
	s_and_b32 s36, exec_lo, s60
	s_or_b32 s0, s36, s0
	s_and_not1_b32 s35, s35, exec_lo
	s_and_b32 s36, s59, exec_lo
	s_delay_alu instid0(SALU_CYCLE_1)
	s_or_b32 s35, s35, s36
	s_and_not1_b32 exec_lo, exec_lo, s0
	s_cbranch_execz .LBB127_3597
.LBB127_3595:                           ; =>This Inner Loop Header: Depth=1
	s_or_b32 s59, s59, exec_lo
	s_or_b32 s60, s60, exec_lo
	s_mov_b32 s61, exec_lo
	s_delay_alu instid0(VALU_DEP_2)
	v_cmpx_lt_u64_e64 v[4:5], v[6:7]
	s_cbranch_execz .LBB127_3594
; %bb.3596:                             ;   in Loop: Header=BB127_3595 Depth=1
	global_load_b128 v[8:11], v[4:5], off offset:-8
	s_wait_xcnt 0x0
	v_add_nc_u64_e32 v[4:5], 8, v[4:5]
	s_and_not1_b32 s37, s60, exec_lo
	s_and_not1_b32 s59, s59, exec_lo
	s_wait_loadcnt 0x0
	v_cmp_ge_i64_e32 vcc_lo, v[8:9], v[10:11]
	s_or_b32 s36, s58, vcc_lo
	s_delay_alu instid0(SALU_CYCLE_1) | instskip(NEXT) | instid1(SALU_CYCLE_1)
	s_and_b32 s36, s36, exec_lo
	s_or_b32 s60, s37, s36
	s_branch .LBB127_3594
.LBB127_3597:
	s_or_b32 exec_lo, exec_lo, s0
	s_delay_alu instid0(SALU_CYCLE_1)
	s_or_b32 s0, s104, exec_lo
	s_or_not1_b32 s59, s35, exec_lo
.LBB127_3598:
	s_or_b32 exec_lo, exec_lo, s1
	s_mov_b32 s1, 0
	s_mov_b32 s58, s101
	s_and_saveexec_b32 s35, s59
	s_cbranch_execz .LBB127_3785
; %bb.3599:
	s_mov_b32 s36, s14
	s_load_b512 s[4:19], s[2:3], 0x248
	v_mov_b32_e32 v3, 0
	s_and_b32 s59, s30, 0xff
	s_delay_alu instid0(SALU_CYCLE_1) | instskip(SKIP_1) | instid1(VALU_DEP_1)
	s_cmp_lt_i32 s59, 11
	s_wait_kmcnt 0x0
	v_add_nc_u64_e32 v[2:3], s[4:5], v[2:3]
	s_cbranch_scc1 .LBB127_3606
; %bb.3600:
	s_and_b32 s60, 0xffff, s59
	s_delay_alu instid0(SALU_CYCLE_1)
	s_cmp_gt_i32 s60, 25
	s_cbranch_scc0 .LBB127_3607
; %bb.3601:
	s_cmp_gt_i32 s60, 28
	s_cbranch_scc0 .LBB127_3608
; %bb.3602:
	s_mov_b32 s4, s53
	s_mov_b32 s5, s52
	;; [unrolled: 1-line block ×4, first 2 shown]
	s_cmp_gt_i32 s60, 43
	s_cbranch_scc0 .LBB127_3696
; %bb.3603:
	s_cmp_gt_i32 s60, 45
	s_cbranch_scc0 .LBB127_3699
; %bb.3604:
	s_mov_b32 s58, -1
	s_cmp_eq_u32 s60, 46
	s_mov_b32 s61, 0
	s_cbranch_scc0 .LBB127_3700
; %bb.3605:
	v_mov_b32_e32 v1, 0
	s_mov_b32 s61, -1
	s_mov_b32 s58, 0
	global_store_b32 v[2:3], v1, off
	s_branch .LBB127_3700
.LBB127_3606:
	s_mov_b32 s1, -1
	s_mov_b32 s61, 0
	s_mov_b32 s58, s101
	;; [unrolled: 1-line block ×3, first 2 shown]
	s_branch .LBB127_3740
.LBB127_3607:
	s_mov_b32 s1, -1
	s_mov_b32 s61, 0
	s_mov_b32 s58, s101
	;; [unrolled: 1-line block ×3, first 2 shown]
	s_branch .LBB127_3719
.LBB127_3608:
	s_mov_b32 s1, -1
	s_mov_b32 s61, 0
	s_mov_b32 s58, s101
	s_branch .LBB127_3708
.LBB127_3609:
	s_mov_b32 s1, -1
	s_mov_b32 s61, 0
	s_mov_b32 s58, s70
.LBB127_3610:
	s_and_b32 vcc_lo, exec_lo, s1
	s_cbranch_vccz .LBB127_3613
; %bb.3611:
	s_cmp_eq_u32 s60, 44
	s_mov_b32 s58, -1
	s_cbranch_scc0 .LBB127_3613
; %bb.3612:
	s_wait_xcnt 0x0
	v_mov_b32_e32 v1, 0
	s_mov_b32 s61, -1
	s_mov_b32 s58, 0
	global_store_b8 v[2:3], v1, off
.LBB127_3613:
	s_mov_b32 s1, 0
.LBB127_3614:
	s_delay_alu instid0(SALU_CYCLE_1)
	s_and_b32 vcc_lo, exec_lo, s1
	s_cbranch_vccz .LBB127_3617
; %bb.3615:
	s_cmp_eq_u32 s60, 29
	s_mov_b32 s58, -1
	s_cbranch_scc0 .LBB127_3617
; %bb.3616:
	v_mov_b64_e32 v[4:5], 0
	s_mov_b32 s61, -1
	s_mov_b32 s58, 0
	global_store_b64 v[2:3], v[4:5], off
.LBB127_3617:
	s_mov_b32 s69, s52
	s_mov_b32 s49, s53
	;; [unrolled: 1-line block ×5, first 2 shown]
.LBB127_3618:
	s_delay_alu instid0(SALU_CYCLE_1)
	s_and_b32 vcc_lo, exec_lo, s1
	s_cbranch_vccz .LBB127_3628
; %bb.3619:
	s_cmp_lt_i32 s60, 27
	s_mov_b32 s1, -1
	s_cbranch_scc1 .LBB127_3625
; %bb.3620:
	s_mov_b32 s4, s53
	s_mov_b32 s5, s52
	;; [unrolled: 1-line block ×4, first 2 shown]
	s_cmp_gt_i32 s60, 27
	s_cbranch_scc0 .LBB127_3622
; %bb.3621:
	s_wait_xcnt 0x0
	v_mov_b32_e32 v1, 0
	s_mov_b32 s1, 0
	global_store_b32 v[2:3], v1, off
.LBB127_3622:
	s_and_not1_b32 vcc_lo, exec_lo, s1
	s_cbranch_vccnz .LBB127_3624
; %bb.3623:
	s_wait_xcnt 0x0
	v_mov_b32_e32 v1, 0
	global_store_b16 v[2:3], v1, off
.LBB127_3624:
	s_mov_b32 s1, 0
	s_mov_b32 s69, s52
	;; [unrolled: 1-line block ×5, first 2 shown]
.LBB127_3625:
	s_and_not1_b32 vcc_lo, exec_lo, s1
	s_cbranch_vccnz .LBB127_3627
; %bb.3626:
	s_wait_xcnt 0x0
	v_mov_b32_e32 v1, 0
	global_store_b8 v[2:3], v1, off
.LBB127_3627:
	s_mov_b32 s61, -1
.LBB127_3628:
	s_mov_b32 s1, 0
.LBB127_3629:
	s_delay_alu instid0(SALU_CYCLE_1)
	s_and_b32 vcc_lo, exec_lo, s1
	s_cbranch_vccz .LBB127_3649
; %bb.3630:
	s_cmp_gt_i32 s60, 22
	s_mov_b32 s1, -1
	s_cbranch_scc0 .LBB127_3640
; %bb.3631:
	s_cmp_lt_i32 s60, 24
	s_cbranch_scc1 .LBB127_3637
; %bb.3632:
	s_mov_b32 s4, s53
	s_mov_b32 s5, s52
	;; [unrolled: 1-line block ×4, first 2 shown]
	s_cmp_gt_i32 s60, 24
	s_cbranch_scc0 .LBB127_3634
; %bb.3633:
	s_wait_xcnt 0x0
	v_mov_b32_e32 v1, 0
	s_mov_b32 s1, 0
	global_store_b8 v[2:3], v1, off
.LBB127_3634:
	s_and_not1_b32 vcc_lo, exec_lo, s1
	s_cbranch_vccnz .LBB127_3636
; %bb.3635:
	s_wait_xcnt 0x0
	v_mov_b32_e32 v1, 0
	global_store_b8 v[2:3], v1, off
.LBB127_3636:
	s_mov_b32 s1, 0
	s_mov_b32 s69, s52
	;; [unrolled: 1-line block ×5, first 2 shown]
.LBB127_3637:
	s_and_not1_b32 vcc_lo, exec_lo, s1
	s_cbranch_vccnz .LBB127_3639
; %bb.3638:
	s_wait_xcnt 0x0
	v_mov_b32_e32 v1, 0
	global_store_b8 v[2:3], v1, off
.LBB127_3639:
	s_mov_b32 s1, 0
	s_mov_b32 s61, -1
.LBB127_3640:
	s_and_not1_b32 vcc_lo, exec_lo, s1
	s_cbranch_vccnz .LBB127_3649
; %bb.3641:
	s_cmp_gt_i32 s60, 14
	s_mov_b32 s1, -1
	s_mov_b32 s4, s53
	s_mov_b32 s5, s52
	;; [unrolled: 1-line block ×4, first 2 shown]
	s_cbranch_scc0 .LBB127_3645
; %bb.3642:
	s_cmp_eq_u32 s60, 15
	s_mov_b32 s58, -1
	s_cbranch_scc0 .LBB127_3644
; %bb.3643:
	s_wait_xcnt 0x0
	v_mov_b32_e32 v1, 0
	s_mov_b32 s61, -1
	s_mov_b32 s58, 0
	global_store_b16 v[2:3], v1, off
.LBB127_3644:
	s_mov_b32 s1, 0
.LBB127_3645:
	s_delay_alu instid0(SALU_CYCLE_1)
	s_and_b32 vcc_lo, exec_lo, s1
	s_cbranch_vccz .LBB127_3648
; %bb.3646:
	s_cmp_eq_u32 s60, 11
	s_mov_b32 s58, -1
	s_cbranch_scc0 .LBB127_3648
; %bb.3647:
	s_wait_xcnt 0x0
	v_mov_b32_e32 v1, 0
	s_mov_b32 s61, -1
	s_mov_b32 s58, 0
	global_store_b8 v[2:3], v1, off
.LBB127_3648:
	s_mov_b32 s69, s52
	s_mov_b32 s49, s53
	;; [unrolled: 1-line block ×4, first 2 shown]
.LBB127_3649:
	s_mov_b32 s1, 0
.LBB127_3650:
	s_delay_alu instid0(SALU_CYCLE_1)
	s_and_b32 vcc_lo, exec_lo, s1
	s_cbranch_vccz .LBB127_3689
; %bb.3651:
	s_and_b32 s1, 0xffff, s59
	s_mov_b32 s59, -1
	s_cmp_lt_i32 s1, 5
	s_cbranch_scc1 .LBB127_3672
; %bb.3652:
	s_cmp_lt_i32 s1, 8
	s_cbranch_scc1 .LBB127_3662
; %bb.3653:
	;; [unrolled: 3-line block ×3, first 2 shown]
	s_mov_b32 s4, s53
	s_mov_b32 s5, s52
	;; [unrolled: 1-line block ×4, first 2 shown]
	s_cmp_gt_i32 s1, 9
	s_cbranch_scc0 .LBB127_3656
; %bb.3655:
	s_wait_xcnt 0x0
	v_mov_b32_e32 v4, 0
	s_mov_b32 s59, 0
	s_delay_alu instid0(VALU_DEP_1)
	v_dual_mov_b32 v5, v4 :: v_dual_mov_b32 v6, v4
	v_mov_b32_e32 v7, v4
	global_store_b128 v[2:3], v[4:7], off
.LBB127_3656:
	s_and_not1_b32 vcc_lo, exec_lo, s59
	s_cbranch_vccnz .LBB127_3658
; %bb.3657:
	s_wait_xcnt 0x0
	v_mov_b64_e32 v[4:5], 0
	global_store_b64 v[2:3], v[4:5], off
.LBB127_3658:
	s_mov_b32 s59, 0
	s_mov_b32 s69, s52
	;; [unrolled: 1-line block ×5, first 2 shown]
.LBB127_3659:
	s_and_not1_b32 vcc_lo, exec_lo, s59
	s_cbranch_vccnz .LBB127_3661
; %bb.3660:
	s_wait_xcnt 0x0
	v_mov_b32_e32 v1, 0
	global_store_b32 v[2:3], v1, off
.LBB127_3661:
	s_mov_b32 s59, 0
.LBB127_3662:
	s_delay_alu instid0(SALU_CYCLE_1)
	s_and_not1_b32 vcc_lo, exec_lo, s59
	s_cbranch_vccnz .LBB127_3671
; %bb.3663:
	s_cmp_lt_i32 s1, 6
	s_mov_b32 s59, -1
	s_cbranch_scc1 .LBB127_3669
; %bb.3664:
	s_mov_b32 s4, s53
	s_mov_b32 s5, s52
	;; [unrolled: 1-line block ×4, first 2 shown]
	s_cmp_gt_i32 s1, 6
	s_cbranch_scc0 .LBB127_3666
; %bb.3665:
	s_wait_xcnt 0x0
	v_mov_b64_e32 v[4:5], 0
	s_mov_b32 s59, 0
	global_store_b64 v[2:3], v[4:5], off
.LBB127_3666:
	s_and_not1_b32 vcc_lo, exec_lo, s59
	s_cbranch_vccnz .LBB127_3668
; %bb.3667:
	s_wait_xcnt 0x0
	v_mov_b32_e32 v1, 0
	global_store_b32 v[2:3], v1, off
.LBB127_3668:
	s_mov_b32 s59, 0
	s_mov_b32 s69, s52
	;; [unrolled: 1-line block ×5, first 2 shown]
.LBB127_3669:
	s_and_not1_b32 vcc_lo, exec_lo, s59
	s_cbranch_vccnz .LBB127_3671
; %bb.3670:
	s_wait_xcnt 0x0
	v_mov_b32_e32 v1, 0
	global_store_b16 v[2:3], v1, off
.LBB127_3671:
	s_mov_b32 s59, 0
.LBB127_3672:
	s_delay_alu instid0(SALU_CYCLE_1)
	s_and_not1_b32 vcc_lo, exec_lo, s59
	s_cbranch_vccnz .LBB127_3688
; %bb.3673:
	s_cmp_lt_i32 s1, 2
	s_mov_b32 s59, -1
	s_cbranch_scc1 .LBB127_3683
; %bb.3674:
	s_cmp_lt_i32 s1, 3
	s_cbranch_scc1 .LBB127_3680
; %bb.3675:
	s_mov_b32 s4, s53
	s_mov_b32 s5, s52
	;; [unrolled: 1-line block ×4, first 2 shown]
	s_cmp_gt_i32 s1, 3
	s_cbranch_scc0 .LBB127_3677
; %bb.3676:
	s_wait_xcnt 0x0
	v_mov_b64_e32 v[4:5], 0
	s_mov_b32 s59, 0
	global_store_b64 v[2:3], v[4:5], off
.LBB127_3677:
	s_and_not1_b32 vcc_lo, exec_lo, s59
	s_cbranch_vccnz .LBB127_3679
; %bb.3678:
	s_wait_xcnt 0x0
	v_mov_b32_e32 v1, 0
	global_store_b32 v[2:3], v1, off
.LBB127_3679:
	s_mov_b32 s59, 0
	s_mov_b32 s69, s52
	;; [unrolled: 1-line block ×5, first 2 shown]
.LBB127_3680:
	s_and_not1_b32 vcc_lo, exec_lo, s59
	s_cbranch_vccnz .LBB127_3682
; %bb.3681:
	s_wait_xcnt 0x0
	v_mov_b32_e32 v1, 0
	global_store_b16 v[2:3], v1, off
.LBB127_3682:
	s_mov_b32 s59, 0
.LBB127_3683:
	s_delay_alu instid0(SALU_CYCLE_1)
	s_and_not1_b32 vcc_lo, exec_lo, s59
	s_cbranch_vccnz .LBB127_3688
; %bb.3684:
	s_cmp_gt_i32 s1, 0
	s_mov_b32 s1, -1
	s_cbranch_scc0 .LBB127_3686
; %bb.3685:
	s_wait_xcnt 0x0
	v_mov_b32_e32 v1, 0
	s_mov_b32 s1, 0
	global_store_b8 v[2:3], v1, off
.LBB127_3686:
	s_and_not1_b32 vcc_lo, exec_lo, s1
	s_cbranch_vccnz .LBB127_3688
; %bb.3687:
	s_wait_xcnt 0x0
	v_mov_b32_e32 v1, 0
	global_store_b8 v[2:3], v1, off
.LBB127_3688:
	s_mov_b32 s61, -1
.LBB127_3689:
	s_delay_alu instid0(SALU_CYCLE_1)
	s_and_not1_b32 vcc_lo, exec_lo, s61
	s_cbranch_vccnz .LBB127_3691
; %bb.3690:
	v_add_nc_u32_e32 v0, 0x80, v0
	s_mov_b32 s1, -1
	s_branch .LBB127_3692
.LBB127_3691:
	s_mov_b32 s1, 0
                                        ; implicit-def: $vgpr0
.LBB127_3692:
	s_and_not1_b32 s36, s70, exec_lo
	s_and_b32 s37, s58, exec_lo
	s_and_not1_b32 s0, s0, exec_lo
	s_or_b32 s58, s36, s37
	s_and_b32 s1, s1, exec_lo
.LBB127_3693:
	s_wait_xcnt 0x0
	s_or_b32 exec_lo, exec_lo, s35
	s_delay_alu instid0(SALU_CYCLE_1)
	s_and_not1_b32 s35, s70, exec_lo
	s_and_b32 s36, s58, exec_lo
	s_and_not1_b32 s37, s71, exec_lo
	s_and_b32 s0, s0, exec_lo
	s_or_b32 s58, s35, s36
	s_or_b32 s0, s37, s0
	s_xor_b32 s35, exec_lo, -1
	s_and_b32 s1, s1, exec_lo
.LBB127_3694:
	s_or_b32 exec_lo, exec_lo, s97
	s_delay_alu instid0(SALU_CYCLE_1)
	s_and_not1_b32 s36, s70, exec_lo
	s_and_b32 s37, s58, exec_lo
	s_and_b32 s0, s0, exec_lo
	s_or_b32 s60, s36, s37
	s_and_not1_b32 s36, s71, exec_lo
	s_and_not1_b32 s37, s85, exec_lo
	s_and_b32 s38, s35, exec_lo
	s_or_b32 s35, s36, s0
	s_or_b32 s59, s37, s38
	s_xor_b32 s58, exec_lo, -1
	s_and_b32 s0, s1, exec_lo
	s_mov_b64 s[14:15], s[78:79]
	s_mov_b32 s12, s76
.LBB127_3695:
	s_or_b32 exec_lo, exec_lo, s96
	s_delay_alu instid0(SALU_CYCLE_1)
	s_and_not1_b32 s1, s70, exec_lo
	s_and_b32 s36, s60, exec_lo
	s_and_not1_b32 s37, s71, exec_lo
	s_and_b32 s35, s35, exec_lo
	s_or_b32 s1, s1, s36
	s_or_b32 s35, s37, s35
	s_and_not1_b32 s36, s85, exec_lo
	s_and_b32 s37, s59, exec_lo
	s_and_not1_b32 s38, s86, exec_lo
	s_and_b32 s39, s58, exec_lo
	s_or_b32 s58, s36, s37
	s_or_b32 s60, s38, s39
	s_xor_b32 s59, exec_lo, -1
	s_and_b32 s0, s0, exec_lo
	s_or_b32 exec_lo, exec_lo, s95
	s_branch .LBB127_803
.LBB127_3696:
	s_mov_b32 s1, -1
	s_mov_b32 s61, 0
	s_mov_b32 s58, s101
	s_branch .LBB127_3704
.LBB127_3697:
	s_or_b32 s22, s41, exec_lo
	s_xor_b32 s9, exec_lo, -1
	s_trap 2
	s_branch .LBB127_2705
.LBB127_3698:
	s_mov_b32 s22, -1
	s_mov_b32 s0, 0
	s_branch .LBB127_3789
.LBB127_3699:
	s_mov_b32 s1, -1
	s_mov_b32 s61, 0
	s_mov_b32 s58, s101
.LBB127_3700:
	s_and_b32 vcc_lo, exec_lo, s1
	s_cbranch_vccz .LBB127_3703
; %bb.3701:
	s_cmp_eq_u32 s60, 44
	s_mov_b32 s58, -1
	s_cbranch_scc0 .LBB127_3703
; %bb.3702:
	s_wait_xcnt 0x0
	v_mov_b32_e32 v1, 0
	s_mov_b32 s61, -1
	s_mov_b32 s58, 0
	global_store_b8 v[2:3], v1, off
.LBB127_3703:
	s_mov_b32 s1, 0
.LBB127_3704:
	s_delay_alu instid0(SALU_CYCLE_1)
	s_and_b32 vcc_lo, exec_lo, s1
	s_cbranch_vccz .LBB127_3707
; %bb.3705:
	s_cmp_eq_u32 s60, 29
	s_mov_b32 s58, -1
	s_cbranch_scc0 .LBB127_3707
; %bb.3706:
	v_mov_b64_e32 v[4:5], 0
	s_mov_b32 s61, -1
	s_mov_b32 s58, 0
	global_store_b64 v[2:3], v[4:5], off
.LBB127_3707:
	s_mov_b32 s1, 0
	s_mov_b32 s69, s52
	;; [unrolled: 1-line block ×5, first 2 shown]
.LBB127_3708:
	s_mov_b32 s14, s36
	s_and_b32 vcc_lo, exec_lo, s1
	s_cbranch_vccz .LBB127_3718
; %bb.3709:
	s_mov_b32 s4, s53
	s_mov_b32 s5, s52
	;; [unrolled: 1-line block ×4, first 2 shown]
	s_cmp_lt_i32 s60, 27
	s_mov_b32 s1, -1
	s_cbranch_scc1 .LBB127_3715
; %bb.3710:
	s_cmp_gt_i32 s60, 27
	s_cbranch_scc0 .LBB127_3712
; %bb.3711:
	s_wait_xcnt 0x0
	v_mov_b32_e32 v1, 0
	s_mov_b32 s1, 0
	global_store_b32 v[2:3], v1, off
.LBB127_3712:
	s_and_not1_b32 vcc_lo, exec_lo, s1
	s_cbranch_vccnz .LBB127_3714
; %bb.3713:
	s_wait_xcnt 0x0
	v_mov_b32_e32 v1, 0
	global_store_b16 v[2:3], v1, off
.LBB127_3714:
	s_mov_b32 s1, 0
.LBB127_3715:
	s_delay_alu instid0(SALU_CYCLE_1)
	s_and_not1_b32 vcc_lo, exec_lo, s1
	s_cbranch_vccnz .LBB127_3717
; %bb.3716:
	s_wait_xcnt 0x0
	v_mov_b32_e32 v1, 0
	global_store_b8 v[2:3], v1, off
.LBB127_3717:
	s_mov_b32 s61, -1
	s_mov_b32 s69, s52
	s_mov_b32 s51, s53
	s_mov_b32 s52, s5
	s_mov_b32 s53, s4
	s_mov_b32 s14, s36
.LBB127_3718:
	s_mov_b32 s1, 0
.LBB127_3719:
	s_delay_alu instid0(SALU_CYCLE_1)
	s_and_b32 vcc_lo, exec_lo, s1
	s_cbranch_vccz .LBB127_3739
; %bb.3720:
	s_cmp_gt_i32 s60, 22
	s_mov_b32 s1, -1
	s_cbranch_scc0 .LBB127_3730
; %bb.3721:
	s_mov_b32 s4, s53
	s_mov_b32 s5, s52
	;; [unrolled: 1-line block ×4, first 2 shown]
	s_cmp_lt_i32 s60, 24
	s_cbranch_scc1 .LBB127_3727
; %bb.3722:
	s_cmp_gt_i32 s60, 24
	s_cbranch_scc0 .LBB127_3724
; %bb.3723:
	s_wait_xcnt 0x0
	v_mov_b32_e32 v1, 0
	s_mov_b32 s1, 0
	global_store_b8 v[2:3], v1, off
.LBB127_3724:
	s_and_not1_b32 vcc_lo, exec_lo, s1
	s_cbranch_vccnz .LBB127_3726
; %bb.3725:
	s_wait_xcnt 0x0
	v_mov_b32_e32 v1, 0
	global_store_b8 v[2:3], v1, off
.LBB127_3726:
	s_mov_b32 s1, 0
.LBB127_3727:
	s_delay_alu instid0(SALU_CYCLE_1)
	s_and_not1_b32 vcc_lo, exec_lo, s1
	s_cbranch_vccnz .LBB127_3729
; %bb.3728:
	s_wait_xcnt 0x0
	v_mov_b32_e32 v1, 0
	global_store_b8 v[2:3], v1, off
.LBB127_3729:
	s_mov_b32 s1, 0
	s_mov_b32 s61, -1
	s_mov_b32 s69, s52
	s_mov_b32 s51, s53
	;; [unrolled: 1-line block ×5, first 2 shown]
.LBB127_3730:
	s_and_not1_b32 vcc_lo, exec_lo, s1
	s_cbranch_vccnz .LBB127_3739
; %bb.3731:
	s_mov_b32 s4, s53
	s_mov_b32 s5, s52
	;; [unrolled: 1-line block ×4, first 2 shown]
	s_cmp_gt_i32 s60, 14
	s_mov_b32 s1, -1
	s_cbranch_scc0 .LBB127_3735
; %bb.3732:
	s_cmp_eq_u32 s60, 15
	s_mov_b32 s58, -1
	s_cbranch_scc0 .LBB127_3734
; %bb.3733:
	s_wait_xcnt 0x0
	v_mov_b32_e32 v1, 0
	s_mov_b32 s61, -1
	s_mov_b32 s58, 0
	global_store_b16 v[2:3], v1, off
.LBB127_3734:
	s_mov_b32 s1, 0
.LBB127_3735:
	s_delay_alu instid0(SALU_CYCLE_1)
	s_and_b32 vcc_lo, exec_lo, s1
	s_cbranch_vccz .LBB127_3738
; %bb.3736:
	s_cmp_eq_u32 s60, 11
	s_mov_b32 s58, -1
	s_cbranch_scc0 .LBB127_3738
; %bb.3737:
	s_wait_xcnt 0x0
	v_mov_b32_e32 v1, 0
	s_mov_b32 s61, -1
	s_mov_b32 s58, 0
	global_store_b8 v[2:3], v1, off
.LBB127_3738:
	s_mov_b32 s69, s52
	s_mov_b32 s51, s53
	;; [unrolled: 1-line block ×5, first 2 shown]
.LBB127_3739:
	s_mov_b32 s1, 0
.LBB127_3740:
	s_delay_alu instid0(SALU_CYCLE_1)
	s_and_b32 vcc_lo, exec_lo, s1
	s_cbranch_vccz .LBB127_3781
; %bb.3741:
	s_and_b32 s1, 0xffff, s59
	s_mov_b32 s59, -1
	s_cmp_lt_i32 s1, 5
	s_cbranch_scc1 .LBB127_3763
; %bb.3742:
	s_cmp_lt_i32 s1, 8
	s_cbranch_scc1 .LBB127_3752
; %bb.3743:
	s_mov_b32 s4, s53
	s_mov_b32 s5, s52
	;; [unrolled: 1-line block ×4, first 2 shown]
	s_cmp_lt_i32 s1, 9
	s_cbranch_scc1 .LBB127_3749
; %bb.3744:
	s_cmp_gt_i32 s1, 9
	s_cbranch_scc0 .LBB127_3746
; %bb.3745:
	s_wait_xcnt 0x0
	v_mov_b32_e32 v4, 0
	s_mov_b32 s59, 0
	s_delay_alu instid0(VALU_DEP_1)
	v_dual_mov_b32 v5, v4 :: v_dual_mov_b32 v6, v4
	v_mov_b32_e32 v7, v4
	global_store_b128 v[2:3], v[4:7], off
.LBB127_3746:
	s_and_not1_b32 vcc_lo, exec_lo, s59
	s_cbranch_vccnz .LBB127_3748
; %bb.3747:
	s_wait_xcnt 0x0
	v_mov_b64_e32 v[4:5], 0
	global_store_b64 v[2:3], v[4:5], off
.LBB127_3748:
	s_mov_b32 s59, 0
.LBB127_3749:
	s_delay_alu instid0(SALU_CYCLE_1)
	s_and_not1_b32 vcc_lo, exec_lo, s59
	s_cbranch_vccnz .LBB127_3751
; %bb.3750:
	s_wait_xcnt 0x0
	v_mov_b32_e32 v1, 0
	global_store_b32 v[2:3], v1, off
.LBB127_3751:
	s_mov_b32 s59, 0
	s_mov_b32 s69, s52
	;; [unrolled: 1-line block ×6, first 2 shown]
.LBB127_3752:
	s_and_not1_b32 vcc_lo, exec_lo, s59
	s_cbranch_vccnz .LBB127_3762
; %bb.3753:
	s_mov_b32 s4, s53
	s_mov_b32 s5, s52
	;; [unrolled: 1-line block ×4, first 2 shown]
	s_cmp_lt_i32 s1, 6
	s_mov_b32 s59, -1
	s_cbranch_scc1 .LBB127_3759
; %bb.3754:
	s_cmp_gt_i32 s1, 6
	s_cbranch_scc0 .LBB127_3756
; %bb.3755:
	s_wait_xcnt 0x0
	v_mov_b64_e32 v[4:5], 0
	s_mov_b32 s59, 0
	global_store_b64 v[2:3], v[4:5], off
.LBB127_3756:
	s_and_not1_b32 vcc_lo, exec_lo, s59
	s_cbranch_vccnz .LBB127_3758
; %bb.3757:
	s_wait_xcnt 0x0
	v_mov_b32_e32 v1, 0
	global_store_b32 v[2:3], v1, off
.LBB127_3758:
	s_mov_b32 s59, 0
.LBB127_3759:
	s_delay_alu instid0(SALU_CYCLE_1)
	s_and_not1_b32 vcc_lo, exec_lo, s59
	s_cbranch_vccnz .LBB127_3761
; %bb.3760:
	s_wait_xcnt 0x0
	v_mov_b32_e32 v1, 0
	global_store_b16 v[2:3], v1, off
.LBB127_3761:
	s_mov_b32 s69, s52
	s_mov_b32 s51, s53
	;; [unrolled: 1-line block ×5, first 2 shown]
.LBB127_3762:
	s_mov_b32 s59, 0
.LBB127_3763:
	s_delay_alu instid0(SALU_CYCLE_1)
	s_and_not1_b32 vcc_lo, exec_lo, s59
	s_cbranch_vccnz .LBB127_3780
; %bb.3764:
	s_cmp_lt_i32 s1, 2
	s_mov_b32 s59, -1
	s_cbranch_scc1 .LBB127_3774
; %bb.3765:
	s_mov_b32 s4, s53
	s_mov_b32 s5, s52
	;; [unrolled: 1-line block ×4, first 2 shown]
	s_cmp_lt_i32 s1, 3
	s_cbranch_scc1 .LBB127_3771
; %bb.3766:
	s_cmp_gt_i32 s1, 3
	s_cbranch_scc0 .LBB127_3768
; %bb.3767:
	s_wait_xcnt 0x0
	v_mov_b64_e32 v[4:5], 0
	s_mov_b32 s59, 0
	global_store_b64 v[2:3], v[4:5], off
.LBB127_3768:
	s_and_not1_b32 vcc_lo, exec_lo, s59
	s_cbranch_vccnz .LBB127_3770
; %bb.3769:
	s_wait_xcnt 0x0
	v_mov_b32_e32 v1, 0
	global_store_b32 v[2:3], v1, off
.LBB127_3770:
	s_mov_b32 s59, 0
.LBB127_3771:
	s_delay_alu instid0(SALU_CYCLE_1)
	s_and_not1_b32 vcc_lo, exec_lo, s59
	s_cbranch_vccnz .LBB127_3773
; %bb.3772:
	s_wait_xcnt 0x0
	v_mov_b32_e32 v1, 0
	global_store_b16 v[2:3], v1, off
.LBB127_3773:
	s_mov_b32 s59, 0
	s_mov_b32 s69, s52
	s_mov_b32 s51, s53
	s_mov_b32 s52, s5
	s_mov_b32 s53, s4
	s_mov_b32 s14, s36
.LBB127_3774:
	s_and_not1_b32 vcc_lo, exec_lo, s59
	s_cbranch_vccnz .LBB127_3780
; %bb.3775:
	s_mov_b32 s4, s53
	s_mov_b32 s5, s52
	;; [unrolled: 1-line block ×4, first 2 shown]
	s_cmp_gt_i32 s1, 0
	s_mov_b32 s1, -1
	s_cbranch_scc0 .LBB127_3777
; %bb.3776:
	s_wait_xcnt 0x0
	v_mov_b32_e32 v1, 0
	s_mov_b32 s1, 0
	global_store_b8 v[2:3], v1, off
.LBB127_3777:
	s_and_not1_b32 vcc_lo, exec_lo, s1
	s_cbranch_vccnz .LBB127_3779
; %bb.3778:
	s_wait_xcnt 0x0
	v_mov_b32_e32 v1, 0
	global_store_b8 v[2:3], v1, off
.LBB127_3779:
	s_mov_b32 s69, s52
	s_mov_b32 s51, s53
	;; [unrolled: 1-line block ×5, first 2 shown]
.LBB127_3780:
	s_mov_b32 s61, -1
.LBB127_3781:
	s_delay_alu instid0(SALU_CYCLE_1)
	s_and_not1_b32 vcc_lo, exec_lo, s61
	s_cbranch_vccnz .LBB127_3783
; %bb.3782:
	v_add_nc_u32_e32 v0, 0x80, v0
	s_mov_b32 s1, -1
	s_branch .LBB127_3784
.LBB127_3783:
	s_mov_b32 s1, 0
                                        ; implicit-def: $vgpr0
.LBB127_3784:
	s_and_not1_b32 s36, s101, exec_lo
	s_and_b32 s37, s58, exec_lo
	s_and_not1_b32 s0, s0, exec_lo
	s_or_b32 s58, s36, s37
	s_and_b32 s1, s1, exec_lo
.LBB127_3785:
	s_wait_xcnt 0x0
	s_or_b32 exec_lo, exec_lo, s35
	s_delay_alu instid0(SALU_CYCLE_1)
	s_and_not1_b32 s35, s101, exec_lo
	s_and_b32 s36, s58, exec_lo
	s_and_not1_b32 s37, s104, exec_lo
	s_and_b32 s0, s0, exec_lo
	s_or_b32 s58, s35, s36
	s_or_b32 s0, s37, s0
	s_xor_b32 s35, exec_lo, -1
	s_and_b32 s1, s1, exec_lo
.LBB127_3786:
	s_or_b32 exec_lo, exec_lo, s14
	s_delay_alu instid0(SALU_CYCLE_1)
	s_and_not1_b32 s36, s101, exec_lo
	s_and_b32 s37, s58, exec_lo
	s_and_b32 s0, s0, exec_lo
	s_or_b32 s60, s36, s37
	s_and_not1_b32 s36, s104, exec_lo
	s_and_not1_b32 s37, vcc_hi, exec_lo
	s_and_b32 s38, s35, exec_lo
	s_or_b32 s35, s36, s0
	s_or_b32 s59, s37, s38
	s_xor_b32 s58, exec_lo, -1
	s_and_b32 s0, s1, exec_lo
	s_mov_b64 s[14:15], s[78:79]
	s_mov_b32 s12, s76
	v_readlane_b32 s4, v66, 0
.LBB127_3787:
	s_or_b32 exec_lo, exec_lo, s39
	s_delay_alu instid0(SALU_CYCLE_1)
	s_and_not1_b32 s1, s101, exec_lo
	s_and_b32 s36, s60, exec_lo
	s_and_not1_b32 s37, s104, exec_lo
	s_and_b32 s35, s35, exec_lo
	s_or_b32 s1, s1, s36
	s_or_b32 s35, s37, s35
	s_and_not1_b32 s36, vcc_hi, exec_lo
	s_and_b32 s37, s59, exec_lo
	s_and_not1_b32 s38, s99, exec_lo
	s_and_b32 s39, s58, exec_lo
	s_or_b32 s58, s36, s37
	s_or_b32 s60, s38, s39
	s_xor_b32 s59, exec_lo, -1
	s_and_b32 s0, s0, exec_lo
	s_or_b32 exec_lo, exec_lo, s62
	s_branch .LBB127_1211
.LBB127_3788:
	s_mov_b32 s0, -1
.LBB127_3789:
                                        ; implicit-def: $vgpr40_vgpr41
.LBB127_3790:
	s_and_b32 vcc_lo, exec_lo, s22
	s_cbranch_vccz .LBB127_3794
; %bb.3791:
	s_cmp_eq_u32 s57, 44
	s_cbranch_scc0 .LBB127_3793
; %bb.3792:
	global_load_u8 v1, v[42:43], off
	s_mov_b32 s0, 0
	s_mov_b32 s9, -1
	s_wait_loadcnt 0x0
	v_lshlrev_b32_e32 v3, 23, v1
	v_cmp_ne_u32_e32 vcc_lo, 0, v1
	s_delay_alu instid0(VALU_DEP_2) | instskip(NEXT) | instid1(VALU_DEP_1)
	v_trunc_f32_e32 v3, v3
	v_mul_f32_e64 v5, 0x2f800000, |v3|
	v_ashrrev_i32_e32 v40, 31, v3
	s_delay_alu instid0(VALU_DEP_2) | instskip(NEXT) | instid1(VALU_DEP_2)
	v_floor_f32_e32 v5, v5
	v_mov_b32_e32 v41, v40
	s_delay_alu instid0(VALU_DEP_2) | instskip(SKIP_1) | instid1(VALU_DEP_2)
	v_fma_f32 v7, 0xcf800000, v5, |v3|
	v_cvt_u32_f32_e32 v3, v5
	v_cvt_u32_f32_e32 v5, v7
	s_delay_alu instid0(VALU_DEP_2) | instskip(NEXT) | instid1(VALU_DEP_2)
	v_xor_b32_e32 v45, v3, v40
	v_xor_b32_e32 v44, v5, v40
	s_delay_alu instid0(VALU_DEP_1) | instskip(NEXT) | instid1(VALU_DEP_1)
	v_sub_nc_u64_e32 v[40:41], v[44:45], v[40:41]
	v_dual_cndmask_b32 v41, 0, v41 :: v_dual_cndmask_b32 v40, 0, v40
	s_branch .LBB127_3794
.LBB127_3793:
	s_mov_b32 s0, -1
                                        ; implicit-def: $vgpr40_vgpr41
.LBB127_3794:
	s_mov_b32 s22, 0
.LBB127_3795:
	s_delay_alu instid0(SALU_CYCLE_1)
	s_and_b32 vcc_lo, exec_lo, s22
	s_cbranch_vccz .LBB127_3799
; %bb.3796:
	s_cmp_eq_u32 s57, 29
	s_cbranch_scc0 .LBB127_3798
; %bb.3797:
	global_load_b64 v[40:41], v[42:43], off
	s_mov_b32 s0, 0
	s_mov_b32 s9, -1
	s_branch .LBB127_3799
.LBB127_3798:
	s_mov_b32 s0, -1
                                        ; implicit-def: $vgpr40_vgpr41
.LBB127_3799:
	s_mov_b32 s22, 0
.LBB127_3800:
	s_delay_alu instid0(SALU_CYCLE_1)
	s_and_b32 vcc_lo, exec_lo, s22
	s_cbranch_vccz .LBB127_3816
; %bb.3801:
	s_cmp_lt_i32 s57, 27
	s_cbranch_scc1 .LBB127_3804
; %bb.3802:
	s_cmp_gt_i32 s57, 27
	s_cbranch_scc0 .LBB127_3805
; %bb.3803:
	s_wait_loadcnt 0x0
	global_load_b32 v40, v[42:43], off
	v_mov_b32_e32 v41, 0
	s_mov_b32 s9, 0
	s_branch .LBB127_3806
.LBB127_3804:
	s_mov_b32 s9, -1
                                        ; implicit-def: $vgpr40_vgpr41
	s_branch .LBB127_3809
.LBB127_3805:
	s_mov_b32 s9, -1
                                        ; implicit-def: $vgpr40_vgpr41
.LBB127_3806:
	s_delay_alu instid0(SALU_CYCLE_1)
	s_and_not1_b32 vcc_lo, exec_lo, s9
	s_cbranch_vccnz .LBB127_3808
; %bb.3807:
	global_load_u16 v1, v[42:43], off
	s_mov_b32 s9, 0
	s_wait_loadcnt 0x1
	v_mov_b32_e32 v41, s9
	s_wait_loadcnt 0x0
	v_and_b32_e32 v40, 0xffff, v1
.LBB127_3808:
	s_mov_b32 s9, 0
.LBB127_3809:
	s_delay_alu instid0(SALU_CYCLE_1)
	s_and_not1_b32 vcc_lo, exec_lo, s9
	s_cbranch_vccnz .LBB127_3815
; %bb.3810:
	global_load_u8 v1, v[42:43], off
	s_mov_b32 s22, 0
	s_mov_b32 s9, exec_lo
	s_wait_loadcnt 0x0
	v_cmpx_lt_i16_e32 0x7f, v1
	s_xor_b32 s9, exec_lo, s9
	s_cbranch_execz .LBB127_3827
; %bb.3811:
	v_cmp_ne_u16_e32 vcc_lo, 0x80, v1
	s_and_b32 s22, vcc_lo, exec_lo
	s_and_not1_saveexec_b32 s9, s9
	s_cbranch_execnz .LBB127_3828
.LBB127_3812:
	s_or_b32 exec_lo, exec_lo, s9
	v_mov_b64_e32 v[40:41], 0
	s_and_saveexec_b32 s9, s22
	s_cbranch_execz .LBB127_3814
.LBB127_3813:
	v_and_b32_e32 v3, 0xffff, v1
	s_delay_alu instid0(VALU_DEP_1) | instskip(SKIP_1) | instid1(VALU_DEP_2)
	v_dual_lshlrev_b32 v1, 24, v1 :: v_dual_bitop2_b32 v5, 7, v3 bitop3:0x40
	v_bfe_u32 v15, v3, 3, 4
	v_and_b32_e32 v1, 0x80000000, v1
	s_delay_alu instid0(VALU_DEP_3) | instskip(NEXT) | instid1(VALU_DEP_3)
	v_clz_i32_u32_e32 v7, v5
	v_cmp_eq_u32_e32 vcc_lo, 0, v15
	s_delay_alu instid0(VALU_DEP_2) | instskip(NEXT) | instid1(VALU_DEP_1)
	v_min_u32_e32 v7, 32, v7
	v_subrev_nc_u32_e32 v11, 28, v7
	v_sub_nc_u32_e32 v7, 29, v7
	s_delay_alu instid0(VALU_DEP_2) | instskip(NEXT) | instid1(VALU_DEP_2)
	v_lshlrev_b32_e32 v3, v11, v3
	v_cndmask_b32_e32 v7, v15, v7, vcc_lo
	s_delay_alu instid0(VALU_DEP_2) | instskip(NEXT) | instid1(VALU_DEP_1)
	v_and_b32_e32 v3, 7, v3
	v_cndmask_b32_e32 v3, v5, v3, vcc_lo
	s_delay_alu instid0(VALU_DEP_3) | instskip(NEXT) | instid1(VALU_DEP_2)
	v_lshl_add_u32 v5, v7, 23, 0x3b800000
	v_lshlrev_b32_e32 v3, 20, v3
	s_delay_alu instid0(VALU_DEP_1) | instskip(NEXT) | instid1(VALU_DEP_1)
	v_or3_b32 v1, v1, v5, v3
	v_trunc_f32_e32 v1, v1
	s_delay_alu instid0(VALU_DEP_1) | instskip(SKIP_1) | instid1(VALU_DEP_2)
	v_mul_f32_e64 v3, 0x2f800000, |v1|
	v_ashrrev_i32_e32 v40, 31, v1
	v_floor_f32_e32 v3, v3
	s_delay_alu instid0(VALU_DEP_2) | instskip(NEXT) | instid1(VALU_DEP_2)
	v_mov_b32_e32 v41, v40
	v_fma_f32 v5, 0xcf800000, v3, |v1|
	v_cvt_u32_f32_e32 v1, v3
	s_delay_alu instid0(VALU_DEP_2) | instskip(NEXT) | instid1(VALU_DEP_2)
	v_cvt_u32_f32_e32 v3, v5
	v_xor_b32_e32 v45, v1, v40
	s_delay_alu instid0(VALU_DEP_2) | instskip(NEXT) | instid1(VALU_DEP_1)
	v_xor_b32_e32 v44, v3, v40
	v_sub_nc_u64_e32 v[40:41], v[44:45], v[40:41]
.LBB127_3814:
	s_or_b32 exec_lo, exec_lo, s9
.LBB127_3815:
	s_mov_b32 s9, -1
.LBB127_3816:
	s_mov_b32 s22, 0
.LBB127_3817:
	s_delay_alu instid0(SALU_CYCLE_1)
	s_and_b32 vcc_lo, exec_lo, s22
	s_cbranch_vccz .LBB127_3848
; %bb.3818:
	s_cmp_gt_i32 s57, 22
	s_cbranch_scc0 .LBB127_3826
; %bb.3819:
	s_cmp_lt_i32 s57, 24
	s_cbranch_scc1 .LBB127_3829
; %bb.3820:
	s_cmp_gt_i32 s57, 24
	s_cbranch_scc0 .LBB127_3830
; %bb.3821:
	global_load_u8 v1, v[42:43], off
	s_mov_b32 s9, 0
	s_mov_b32 s1, exec_lo
	s_wait_loadcnt 0x0
	v_cmpx_lt_i16_e32 0x7f, v1
	s_xor_b32 s1, exec_lo, s1
	s_cbranch_execz .LBB127_3842
; %bb.3822:
	v_cmp_ne_u16_e32 vcc_lo, 0x80, v1
	s_and_b32 s9, vcc_lo, exec_lo
	s_and_not1_saveexec_b32 s1, s1
	s_cbranch_execnz .LBB127_3843
.LBB127_3823:
	s_or_b32 exec_lo, exec_lo, s1
	v_mov_b64_e32 v[40:41], 0
	s_and_saveexec_b32 s1, s9
	s_cbranch_execz .LBB127_3825
.LBB127_3824:
	v_and_b32_e32 v3, 0xffff, v1
	s_delay_alu instid0(VALU_DEP_1) | instskip(SKIP_1) | instid1(VALU_DEP_2)
	v_dual_lshlrev_b32 v1, 24, v1 :: v_dual_bitop2_b32 v5, 3, v3 bitop3:0x40
	v_bfe_u32 v15, v3, 2, 5
	v_and_b32_e32 v1, 0x80000000, v1
	s_delay_alu instid0(VALU_DEP_3) | instskip(NEXT) | instid1(VALU_DEP_3)
	v_clz_i32_u32_e32 v7, v5
	v_cmp_eq_u32_e32 vcc_lo, 0, v15
	s_delay_alu instid0(VALU_DEP_2) | instskip(NEXT) | instid1(VALU_DEP_1)
	v_min_u32_e32 v7, 32, v7
	v_subrev_nc_u32_e32 v11, 29, v7
	v_sub_nc_u32_e32 v7, 30, v7
	s_delay_alu instid0(VALU_DEP_2) | instskip(NEXT) | instid1(VALU_DEP_2)
	v_lshlrev_b32_e32 v3, v11, v3
	v_cndmask_b32_e32 v7, v15, v7, vcc_lo
	s_delay_alu instid0(VALU_DEP_2) | instskip(NEXT) | instid1(VALU_DEP_1)
	v_and_b32_e32 v3, 3, v3
	v_cndmask_b32_e32 v3, v5, v3, vcc_lo
	s_delay_alu instid0(VALU_DEP_3) | instskip(NEXT) | instid1(VALU_DEP_2)
	v_lshl_add_u32 v5, v7, 23, 0x37800000
	v_lshlrev_b32_e32 v3, 21, v3
	s_delay_alu instid0(VALU_DEP_1) | instskip(NEXT) | instid1(VALU_DEP_1)
	v_or3_b32 v1, v1, v5, v3
	v_trunc_f32_e32 v1, v1
	s_delay_alu instid0(VALU_DEP_1) | instskip(SKIP_1) | instid1(VALU_DEP_2)
	v_mul_f32_e64 v3, 0x2f800000, |v1|
	v_ashrrev_i32_e32 v40, 31, v1
	v_floor_f32_e32 v3, v3
	s_delay_alu instid0(VALU_DEP_2) | instskip(NEXT) | instid1(VALU_DEP_2)
	v_mov_b32_e32 v41, v40
	v_fma_f32 v5, 0xcf800000, v3, |v1|
	v_cvt_u32_f32_e32 v1, v3
	s_delay_alu instid0(VALU_DEP_2) | instskip(NEXT) | instid1(VALU_DEP_2)
	v_cvt_u32_f32_e32 v3, v5
	v_xor_b32_e32 v45, v1, v40
	s_delay_alu instid0(VALU_DEP_2) | instskip(NEXT) | instid1(VALU_DEP_1)
	v_xor_b32_e32 v44, v3, v40
	v_sub_nc_u64_e32 v[40:41], v[44:45], v[40:41]
.LBB127_3825:
	s_or_b32 exec_lo, exec_lo, s1
	s_mov_b32 s1, 0
	s_branch .LBB127_3831
.LBB127_3826:
	s_mov_b32 s1, -1
                                        ; implicit-def: $vgpr40_vgpr41
	s_branch .LBB127_3837
.LBB127_3827:
	s_and_not1_saveexec_b32 s9, s9
	s_cbranch_execz .LBB127_3812
.LBB127_3828:
	v_cmp_ne_u16_e32 vcc_lo, 0, v1
	s_and_not1_b32 s22, s22, exec_lo
	s_and_b32 s23, vcc_lo, exec_lo
	s_delay_alu instid0(SALU_CYCLE_1)
	s_or_b32 s22, s22, s23
	s_or_b32 exec_lo, exec_lo, s9
	v_mov_b64_e32 v[40:41], 0
	s_and_saveexec_b32 s9, s22
	s_cbranch_execnz .LBB127_3813
	s_branch .LBB127_3814
.LBB127_3829:
	s_mov_b32 s1, -1
                                        ; implicit-def: $vgpr40_vgpr41
	s_branch .LBB127_3834
.LBB127_3830:
	s_mov_b32 s1, -1
                                        ; implicit-def: $vgpr40_vgpr41
.LBB127_3831:
	s_delay_alu instid0(SALU_CYCLE_1)
	s_and_b32 vcc_lo, exec_lo, s1
	s_cbranch_vccz .LBB127_3833
; %bb.3832:
	global_load_u8 v1, v[42:43], off
	s_wait_loadcnt 0x0
	v_lshlrev_b32_e32 v1, 24, v1
	s_delay_alu instid0(VALU_DEP_1) | instskip(NEXT) | instid1(VALU_DEP_1)
	v_and_b32_e32 v3, 0x7f000000, v1
	v_clz_i32_u32_e32 v5, v3
	v_add_nc_u32_e32 v11, 0x1000000, v3
	v_cmp_ne_u32_e32 vcc_lo, 0, v3
	s_delay_alu instid0(VALU_DEP_3) | instskip(NEXT) | instid1(VALU_DEP_1)
	v_min_u32_e32 v5, 32, v5
	v_sub_nc_u32_e64 v5, v5, 4 clamp
	s_delay_alu instid0(VALU_DEP_1) | instskip(NEXT) | instid1(VALU_DEP_1)
	v_dual_lshlrev_b32 v7, v5, v3 :: v_dual_lshlrev_b32 v5, 23, v5
	v_lshrrev_b32_e32 v7, 4, v7
	s_delay_alu instid0(VALU_DEP_1) | instskip(NEXT) | instid1(VALU_DEP_1)
	v_dual_sub_nc_u32 v5, v7, v5 :: v_dual_ashrrev_i32 v7, 8, v11
	v_add_nc_u32_e32 v5, 0x3c000000, v5
	s_delay_alu instid0(VALU_DEP_1) | instskip(NEXT) | instid1(VALU_DEP_1)
	v_and_or_b32 v5, 0x7f800000, v7, v5
	v_cndmask_b32_e32 v3, 0, v5, vcc_lo
	s_delay_alu instid0(VALU_DEP_1) | instskip(NEXT) | instid1(VALU_DEP_1)
	v_and_or_b32 v1, 0x80000000, v1, v3
	v_trunc_f32_e32 v1, v1
	s_delay_alu instid0(VALU_DEP_1) | instskip(SKIP_1) | instid1(VALU_DEP_2)
	v_mul_f32_e64 v3, 0x2f800000, |v1|
	v_ashrrev_i32_e32 v40, 31, v1
	v_floor_f32_e32 v3, v3
	s_delay_alu instid0(VALU_DEP_2) | instskip(NEXT) | instid1(VALU_DEP_2)
	v_mov_b32_e32 v41, v40
	v_fma_f32 v5, 0xcf800000, v3, |v1|
	v_cvt_u32_f32_e32 v1, v3
	s_delay_alu instid0(VALU_DEP_2) | instskip(NEXT) | instid1(VALU_DEP_2)
	v_cvt_u32_f32_e32 v3, v5
	v_xor_b32_e32 v45, v1, v40
	s_delay_alu instid0(VALU_DEP_2) | instskip(NEXT) | instid1(VALU_DEP_1)
	v_xor_b32_e32 v44, v3, v40
	v_sub_nc_u64_e32 v[40:41], v[44:45], v[40:41]
.LBB127_3833:
	s_mov_b32 s1, 0
.LBB127_3834:
	s_delay_alu instid0(SALU_CYCLE_1)
	s_and_not1_b32 vcc_lo, exec_lo, s1
	s_cbranch_vccnz .LBB127_3836
; %bb.3835:
	global_load_u8 v1, v[42:43], off
	s_wait_loadcnt 0x0
	v_lshlrev_b32_e32 v3, 25, v1
	v_lshlrev_b16 v1, 8, v1
	s_delay_alu instid0(VALU_DEP_1) | instskip(SKIP_1) | instid1(VALU_DEP_2)
	v_and_or_b32 v7, 0x7f00, v1, 0.5
	v_bfe_i32 v1, v1, 0, 16
	v_add_f32_e32 v7, -0.5, v7
	v_lshrrev_b32_e32 v5, 4, v3
	v_cmp_gt_u32_e32 vcc_lo, 0x8000000, v3
	s_delay_alu instid0(VALU_DEP_2) | instskip(NEXT) | instid1(VALU_DEP_1)
	v_or_b32_e32 v5, 0x70000000, v5
	v_mul_f32_e32 v5, 0x7800000, v5
	s_delay_alu instid0(VALU_DEP_1) | instskip(NEXT) | instid1(VALU_DEP_1)
	v_cndmask_b32_e32 v3, v5, v7, vcc_lo
	v_and_or_b32 v1, 0x80000000, v1, v3
	s_delay_alu instid0(VALU_DEP_1) | instskip(NEXT) | instid1(VALU_DEP_1)
	v_trunc_f32_e32 v1, v1
	v_mul_f32_e64 v3, 0x2f800000, |v1|
	v_ashrrev_i32_e32 v40, 31, v1
	s_delay_alu instid0(VALU_DEP_2) | instskip(NEXT) | instid1(VALU_DEP_2)
	v_floor_f32_e32 v3, v3
	v_mov_b32_e32 v41, v40
	s_delay_alu instid0(VALU_DEP_2) | instskip(SKIP_1) | instid1(VALU_DEP_2)
	v_fma_f32 v5, 0xcf800000, v3, |v1|
	v_cvt_u32_f32_e32 v1, v3
	v_cvt_u32_f32_e32 v3, v5
	s_delay_alu instid0(VALU_DEP_2) | instskip(NEXT) | instid1(VALU_DEP_2)
	v_xor_b32_e32 v45, v1, v40
	v_xor_b32_e32 v44, v3, v40
	s_delay_alu instid0(VALU_DEP_1)
	v_sub_nc_u64_e32 v[40:41], v[44:45], v[40:41]
.LBB127_3836:
	s_mov_b32 s1, 0
	s_mov_b32 s9, -1
.LBB127_3837:
	s_and_not1_b32 vcc_lo, exec_lo, s1
	s_mov_b32 s1, 0
	s_cbranch_vccnz .LBB127_3848
; %bb.3838:
	s_cmp_gt_i32 s57, 14
	s_cbranch_scc0 .LBB127_3841
; %bb.3839:
	s_cmp_eq_u32 s57, 15
	s_cbranch_scc0 .LBB127_3844
; %bb.3840:
	global_load_u16 v1, v[42:43], off
	s_mov_b32 s0, 0
	s_mov_b32 s9, -1
	s_wait_loadcnt 0x0
	v_lshlrev_b32_e32 v1, 16, v1
	s_delay_alu instid0(VALU_DEP_1) | instskip(NEXT) | instid1(VALU_DEP_1)
	v_trunc_f32_e32 v1, v1
	v_mul_f32_e64 v3, 0x2f800000, |v1|
	v_ashrrev_i32_e32 v40, 31, v1
	s_delay_alu instid0(VALU_DEP_2) | instskip(NEXT) | instid1(VALU_DEP_2)
	v_floor_f32_e32 v3, v3
	v_mov_b32_e32 v41, v40
	s_delay_alu instid0(VALU_DEP_2) | instskip(SKIP_1) | instid1(VALU_DEP_2)
	v_fma_f32 v5, 0xcf800000, v3, |v1|
	v_cvt_u32_f32_e32 v1, v3
	v_cvt_u32_f32_e32 v3, v5
	s_delay_alu instid0(VALU_DEP_2) | instskip(NEXT) | instid1(VALU_DEP_2)
	v_xor_b32_e32 v45, v1, v40
	v_xor_b32_e32 v44, v3, v40
	s_delay_alu instid0(VALU_DEP_1)
	v_sub_nc_u64_e32 v[40:41], v[44:45], v[40:41]
	s_branch .LBB127_3846
.LBB127_3841:
	s_mov_b32 s1, -1
	s_branch .LBB127_3845
.LBB127_3842:
	s_and_not1_saveexec_b32 s1, s1
	s_cbranch_execz .LBB127_3823
.LBB127_3843:
	v_cmp_ne_u16_e32 vcc_lo, 0, v1
	s_and_not1_b32 s9, s9, exec_lo
	s_and_b32 s22, vcc_lo, exec_lo
	s_delay_alu instid0(SALU_CYCLE_1)
	s_or_b32 s9, s9, s22
	s_or_b32 exec_lo, exec_lo, s1
	v_mov_b64_e32 v[40:41], 0
	s_and_saveexec_b32 s1, s9
	s_cbranch_execnz .LBB127_3824
	s_branch .LBB127_3825
.LBB127_3844:
	s_mov_b32 s0, -1
.LBB127_3845:
                                        ; implicit-def: $vgpr40_vgpr41
.LBB127_3846:
	s_and_b32 vcc_lo, exec_lo, s1
	s_mov_b32 s1, 0
	s_cbranch_vccz .LBB127_3848
; %bb.3847:
	s_cmp_lg_u32 s57, 11
	s_mov_b32 s1, -1
	s_cselect_b32 s0, -1, 0
.LBB127_3848:
	s_delay_alu instid0(SALU_CYCLE_1)
	s_and_b32 vcc_lo, exec_lo, s0
	s_mov_b32 s45, s43
	s_cbranch_vccnz .LBB127_3913
; %bb.3849:
	s_and_not1_b32 vcc_lo, exec_lo, s1
	s_cbranch_vccnz .LBB127_3851
.LBB127_3850:
	global_load_u8 v1, v[42:43], off
	s_mov_b32 s0, 0
	s_mov_b32 s9, -1
	s_wait_loadcnt 0x1
	v_mov_b32_e32 v41, s0
	s_wait_loadcnt 0x0
	v_cmp_ne_u16_e32 vcc_lo, 0, v1
	v_cndmask_b32_e64 v40, 0, 1, vcc_lo
.LBB127_3851:
	s_mov_b32 s0, 0
.LBB127_3852:
	s_delay_alu instid0(SALU_CYCLE_1)
	s_and_b32 vcc_lo, exec_lo, s0
	s_cbranch_vccz .LBB127_3901
; %bb.3853:
	s_cmp_lt_i32 s57, 5
	s_cbranch_scc1 .LBB127_3858
; %bb.3854:
	s_cmp_lt_i32 s57, 8
	s_cbranch_scc1 .LBB127_3859
	;; [unrolled: 3-line block ×3, first 2 shown]
; %bb.3856:
	s_cmp_gt_i32 s57, 9
	s_cbranch_scc0 .LBB127_3861
; %bb.3857:
	s_wait_loadcnt 0x0
	global_load_b64 v[40:41], v[42:43], off
	s_mov_b32 s0, 0
	s_wait_loadcnt 0x0
	v_trunc_f64_e32 v[40:41], v[40:41]
	s_delay_alu instid0(VALU_DEP_1) | instskip(NEXT) | instid1(VALU_DEP_1)
	v_ldexp_f64 v[44:45], v[40:41], 0xffffffe0
	v_floor_f64_e32 v[44:45], v[44:45]
	s_delay_alu instid0(VALU_DEP_1) | instskip(SKIP_1) | instid1(VALU_DEP_2)
	v_fmamk_f64 v[46:47], v[44:45], 0xc1f00000, v[40:41]
	v_cvt_i32_f64_e32 v41, v[44:45]
	v_cvt_u32_f64_e32 v40, v[46:47]
	s_branch .LBB127_3862
.LBB127_3858:
	s_mov_b32 s0, -1
                                        ; implicit-def: $vgpr40_vgpr41
	s_branch .LBB127_3880
.LBB127_3859:
	s_mov_b32 s0, -1
                                        ; implicit-def: $vgpr40_vgpr41
	s_branch .LBB127_3868
.LBB127_3860:
	s_mov_b32 s0, -1
                                        ; implicit-def: $vgpr40_vgpr41
	s_branch .LBB127_3865
.LBB127_3861:
	s_mov_b32 s0, -1
                                        ; implicit-def: $vgpr40_vgpr41
.LBB127_3862:
	s_delay_alu instid0(SALU_CYCLE_1)
	s_and_not1_b32 vcc_lo, exec_lo, s0
	s_cbranch_vccnz .LBB127_3864
; %bb.3863:
	global_load_b32 v1, v[42:43], off
	s_wait_loadcnt 0x0
	v_trunc_f32_e32 v1, v1
	s_delay_alu instid0(VALU_DEP_1) | instskip(SKIP_1) | instid1(VALU_DEP_2)
	v_mul_f32_e64 v3, 0x2f800000, |v1|
	v_ashrrev_i32_e32 v40, 31, v1
	v_floor_f32_e32 v3, v3
	s_delay_alu instid0(VALU_DEP_1) | instskip(SKIP_1) | instid1(VALU_DEP_4)
	v_fma_f32 v5, 0xcf800000, v3, |v1|
	v_cvt_u32_f32_e32 v1, v3
	v_mov_b32_e32 v41, v40
	s_delay_alu instid0(VALU_DEP_3) | instskip(NEXT) | instid1(VALU_DEP_3)
	v_cvt_u32_f32_e32 v3, v5
	v_xor_b32_e32 v45, v1, v40
	s_delay_alu instid0(VALU_DEP_2) | instskip(NEXT) | instid1(VALU_DEP_1)
	v_xor_b32_e32 v44, v3, v40
	v_sub_nc_u64_e32 v[40:41], v[44:45], v[40:41]
.LBB127_3864:
	s_mov_b32 s0, 0
.LBB127_3865:
	s_delay_alu instid0(SALU_CYCLE_1)
	s_and_not1_b32 vcc_lo, exec_lo, s0
	s_cbranch_vccnz .LBB127_3867
; %bb.3866:
	global_load_b32 v1, v[42:43], off
	s_wait_loadcnt 0x0
	v_cvt_f32_f16_e32 v1, v1
	s_delay_alu instid0(VALU_DEP_1) | instskip(NEXT) | instid1(VALU_DEP_1)
	v_cvt_i32_f32_e32 v40, v1
	v_ashrrev_i32_e32 v41, 31, v40
.LBB127_3867:
	s_mov_b32 s0, 0
.LBB127_3868:
	s_delay_alu instid0(SALU_CYCLE_1)
	s_and_not1_b32 vcc_lo, exec_lo, s0
	s_cbranch_vccnz .LBB127_3879
; %bb.3869:
	s_cmp_lt_i32 s57, 6
	s_cbranch_scc1 .LBB127_3872
; %bb.3870:
	s_cmp_gt_i32 s57, 6
	s_cbranch_scc0 .LBB127_3873
; %bb.3871:
	s_wait_loadcnt 0x0
	global_load_b64 v[40:41], v[42:43], off
	s_mov_b32 s0, 0
	s_wait_loadcnt 0x0
	v_trunc_f64_e32 v[40:41], v[40:41]
	s_delay_alu instid0(VALU_DEP_1) | instskip(NEXT) | instid1(VALU_DEP_1)
	v_ldexp_f64 v[44:45], v[40:41], 0xffffffe0
	v_floor_f64_e32 v[44:45], v[44:45]
	s_delay_alu instid0(VALU_DEP_1) | instskip(SKIP_1) | instid1(VALU_DEP_2)
	v_fmamk_f64 v[46:47], v[44:45], 0xc1f00000, v[40:41]
	v_cvt_i32_f64_e32 v41, v[44:45]
	v_cvt_u32_f64_e32 v40, v[46:47]
	s_branch .LBB127_3874
.LBB127_3872:
	s_mov_b32 s0, -1
                                        ; implicit-def: $vgpr40_vgpr41
	s_branch .LBB127_3877
.LBB127_3873:
	s_mov_b32 s0, -1
                                        ; implicit-def: $vgpr40_vgpr41
.LBB127_3874:
	s_delay_alu instid0(SALU_CYCLE_1)
	s_and_not1_b32 vcc_lo, exec_lo, s0
	s_cbranch_vccnz .LBB127_3876
; %bb.3875:
	global_load_b32 v1, v[42:43], off
	s_wait_loadcnt 0x0
	v_trunc_f32_e32 v1, v1
	s_delay_alu instid0(VALU_DEP_1) | instskip(SKIP_1) | instid1(VALU_DEP_2)
	v_mul_f32_e64 v3, 0x2f800000, |v1|
	v_ashrrev_i32_e32 v40, 31, v1
	v_floor_f32_e32 v3, v3
	s_delay_alu instid0(VALU_DEP_1) | instskip(SKIP_1) | instid1(VALU_DEP_4)
	v_fma_f32 v5, 0xcf800000, v3, |v1|
	v_cvt_u32_f32_e32 v1, v3
	v_mov_b32_e32 v41, v40
	s_delay_alu instid0(VALU_DEP_3) | instskip(NEXT) | instid1(VALU_DEP_3)
	v_cvt_u32_f32_e32 v3, v5
	v_xor_b32_e32 v45, v1, v40
	s_delay_alu instid0(VALU_DEP_2) | instskip(NEXT) | instid1(VALU_DEP_1)
	v_xor_b32_e32 v44, v3, v40
	v_sub_nc_u64_e32 v[40:41], v[44:45], v[40:41]
.LBB127_3876:
	s_mov_b32 s0, 0
.LBB127_3877:
	s_delay_alu instid0(SALU_CYCLE_1)
	s_and_not1_b32 vcc_lo, exec_lo, s0
	s_cbranch_vccnz .LBB127_3879
; %bb.3878:
	global_load_u16 v1, v[42:43], off
	s_wait_loadcnt 0x0
	v_cvt_f32_f16_e32 v1, v1
	s_delay_alu instid0(VALU_DEP_1) | instskip(NEXT) | instid1(VALU_DEP_1)
	v_cvt_i32_f32_e32 v40, v1
	v_ashrrev_i32_e32 v41, 31, v40
.LBB127_3879:
	s_mov_b32 s0, 0
.LBB127_3880:
	s_delay_alu instid0(SALU_CYCLE_1)
	s_and_not1_b32 vcc_lo, exec_lo, s0
	s_cbranch_vccnz .LBB127_3900
; %bb.3881:
	s_cmp_lt_i32 s57, 2
	s_cbranch_scc1 .LBB127_3885
; %bb.3882:
	s_cmp_lt_i32 s57, 3
	s_cbranch_scc1 .LBB127_3886
; %bb.3883:
	s_cmp_gt_i32 s57, 3
	s_cbranch_scc0 .LBB127_3887
; %bb.3884:
	s_wait_loadcnt 0x0
	global_load_b64 v[40:41], v[42:43], off
	s_mov_b32 s0, 0
	s_branch .LBB127_3888
.LBB127_3885:
	s_mov_b32 s0, -1
                                        ; implicit-def: $vgpr40_vgpr41
	s_branch .LBB127_3894
.LBB127_3886:
	s_mov_b32 s0, -1
                                        ; implicit-def: $vgpr40_vgpr41
	s_branch .LBB127_3891
.LBB127_3887:
	s_mov_b32 s0, -1
                                        ; implicit-def: $vgpr40_vgpr41
.LBB127_3888:
	s_delay_alu instid0(SALU_CYCLE_1)
	s_and_not1_b32 vcc_lo, exec_lo, s0
	s_cbranch_vccnz .LBB127_3890
; %bb.3889:
	s_wait_loadcnt 0x0
	global_load_b32 v40, v[42:43], off
	s_wait_loadcnt 0x0
	v_ashrrev_i32_e32 v41, 31, v40
.LBB127_3890:
	s_mov_b32 s0, 0
.LBB127_3891:
	s_delay_alu instid0(SALU_CYCLE_1)
	s_and_not1_b32 vcc_lo, exec_lo, s0
	s_cbranch_vccnz .LBB127_3893
; %bb.3892:
	global_load_u16 v1, v[42:43], off
	s_wait_loadcnt 0x0
	v_bfe_i32 v40, v1, 0, 16
	s_delay_alu instid0(VALU_DEP_1)
	v_ashrrev_i32_e32 v41, 31, v40
.LBB127_3893:
	s_mov_b32 s0, 0
.LBB127_3894:
	s_delay_alu instid0(SALU_CYCLE_1)
	s_and_not1_b32 vcc_lo, exec_lo, s0
	s_cbranch_vccnz .LBB127_3900
; %bb.3895:
	s_cmp_gt_i32 s57, 0
	s_mov_b32 s0, 0
	s_cbranch_scc0 .LBB127_3897
; %bb.3896:
	global_load_i8 v1, v[42:43], off
	s_wait_loadcnt 0x0
	v_bfe_i32 v40, v1, 0, 16
	s_delay_alu instid0(VALU_DEP_1)
	v_ashrrev_i32_e32 v41, 31, v40
	s_branch .LBB127_3898
.LBB127_3897:
	s_mov_b32 s0, -1
                                        ; implicit-def: $vgpr40_vgpr41
.LBB127_3898:
	s_delay_alu instid0(SALU_CYCLE_1)
	s_and_not1_b32 vcc_lo, exec_lo, s0
	s_cbranch_vccnz .LBB127_3900
; %bb.3899:
	global_load_u8 v1, v[42:43], off
	s_mov_b32 s0, 0
	s_wait_loadcnt 0x1
	v_mov_b32_e32 v41, s0
	s_wait_loadcnt 0x0
	v_and_b32_e32 v40, 0xffff, v1
.LBB127_3900:
	s_mov_b32 s9, -1
.LBB127_3901:
	s_delay_alu instid0(SALU_CYCLE_1)
	s_and_not1_b32 vcc_lo, exec_lo, s9
	s_cbranch_vccnz .LBB127_4424
; %bb.3902:
	v_mov_b32_e32 v39, 0
	s_and_b32 s58, 0xffff, s35
	s_delay_alu instid0(SALU_CYCLE_1) | instskip(SKIP_1) | instid1(VALU_DEP_1)
	s_cmp_lt_i32 s58, 11
	s_wait_xcnt 0x0
	v_add_nc_u64_e32 v[42:43], s[10:11], v[38:39]
	s_cbranch_scc1 .LBB127_3909
; %bb.3903:
	s_cmp_gt_i32 s58, 25
	s_mov_b32 s1, 0
	s_cbranch_scc0 .LBB127_3910
; %bb.3904:
	s_cmp_gt_i32 s58, 28
	s_cbranch_scc0 .LBB127_3911
; %bb.3905:
	s_cmp_gt_i32 s58, 43
	;; [unrolled: 3-line block ×3, first 2 shown]
	s_cbranch_scc0 .LBB127_3914
; %bb.3907:
	s_cmp_eq_u32 s58, 46
	s_mov_b32 s22, 0
	s_cbranch_scc0 .LBB127_3916
; %bb.3908:
	global_load_b32 v1, v[42:43], off
	s_mov_b32 s0, 0
	s_mov_b32 s9, -1
	s_wait_loadcnt 0x0
	v_lshlrev_b32_e32 v1, 16, v1
	s_delay_alu instid0(VALU_DEP_1) | instskip(NEXT) | instid1(VALU_DEP_1)
	v_trunc_f32_e32 v1, v1
	v_mul_f32_e64 v3, 0x2f800000, |v1|
	v_ashrrev_i32_e32 v38, 31, v1
	s_delay_alu instid0(VALU_DEP_2) | instskip(NEXT) | instid1(VALU_DEP_2)
	v_floor_f32_e32 v3, v3
	v_mov_b32_e32 v39, v38
	s_delay_alu instid0(VALU_DEP_2) | instskip(SKIP_1) | instid1(VALU_DEP_2)
	v_fma_f32 v5, 0xcf800000, v3, |v1|
	v_cvt_u32_f32_e32 v1, v3
	v_cvt_u32_f32_e32 v3, v5
	s_delay_alu instid0(VALU_DEP_2) | instskip(NEXT) | instid1(VALU_DEP_2)
	v_xor_b32_e32 v45, v1, v38
	v_xor_b32_e32 v44, v3, v38
	s_delay_alu instid0(VALU_DEP_1)
	v_sub_nc_u64_e32 v[38:39], v[44:45], v[38:39]
	s_branch .LBB127_3918
.LBB127_3909:
	s_mov_b32 s0, -1
	s_mov_b32 s9, 0
                                        ; implicit-def: $vgpr38_vgpr39
	s_branch .LBB127_3980
.LBB127_3910:
	s_mov_b32 s22, -1
	s_mov_b32 s9, 0
	s_mov_b32 s0, 0
                                        ; implicit-def: $vgpr38_vgpr39
	s_branch .LBB127_3945
.LBB127_3911:
	s_mov_b32 s22, -1
	s_mov_b32 s9, 0
	s_mov_b32 s0, 0
                                        ; implicit-def: $vgpr38_vgpr39
	s_branch .LBB127_3928
.LBB127_3912:
	s_mov_b32 s22, -1
	s_mov_b32 s9, 0
	s_mov_b32 s0, 0
                                        ; implicit-def: $vgpr38_vgpr39
	s_branch .LBB127_3923
.LBB127_3913:
	s_or_b32 s45, s43, exec_lo
	s_trap 2
	s_cbranch_execz .LBB127_3850
	s_branch .LBB127_3851
.LBB127_3914:
	s_mov_b32 s22, -1
	s_mov_b32 s9, 0
	s_mov_b32 s0, 0
	s_branch .LBB127_3917
.LBB127_3915:
	s_or_b32 s33, s33, exec_lo
	s_trap 2
                                        ; implicit-def: $vgpr6
                                        ; implicit-def: $vgpr34
                                        ; implicit-def: $vgpr32
                                        ; implicit-def: $vgpr38
                                        ; implicit-def: $vgpr36
                                        ; implicit-def: $vgpr4
                                        ; implicit-def: $vgpr40
                                        ; implicit-def: $vgpr24
                                        ; implicit-def: $vgpr22
                                        ; implicit-def: $vgpr28
                                        ; implicit-def: $vgpr26
                                        ; implicit-def: $vgpr2
                                        ; implicit-def: $vgpr30
                                        ; implicit-def: $vgpr14
                                        ; implicit-def: $vgpr10
                                        ; implicit-def: $vgpr18
                                        ; implicit-def: $vgpr16
                                        ; implicit-def: $vgpr0
                                        ; implicit-def: $vgpr20
                                        ; implicit-def: $vgpr8_vgpr9
                                        ; implicit-def: $vgpr12_vgpr13
                                        ; implicit-def: $vgpr46_vgpr47
                                        ; implicit-def: $vgpr44_vgpr45
                                        ; implicit-def: $vgpr48_vgpr49
	s_branch .LBB127_2642
.LBB127_3916:
	s_mov_b32 s0, -1
	s_mov_b32 s9, 0
.LBB127_3917:
                                        ; implicit-def: $vgpr38_vgpr39
.LBB127_3918:
	s_and_b32 vcc_lo, exec_lo, s22
	s_cbranch_vccz .LBB127_3922
; %bb.3919:
	s_cmp_eq_u32 s58, 44
	s_cbranch_scc0 .LBB127_3921
; %bb.3920:
	global_load_u8 v1, v[42:43], off
	s_mov_b32 s0, 0
	s_mov_b32 s9, -1
	s_wait_loadcnt 0x0
	v_lshlrev_b32_e32 v3, 23, v1
	v_cmp_ne_u32_e32 vcc_lo, 0, v1
	s_delay_alu instid0(VALU_DEP_2) | instskip(NEXT) | instid1(VALU_DEP_1)
	v_trunc_f32_e32 v3, v3
	v_mul_f32_e64 v5, 0x2f800000, |v3|
	v_ashrrev_i32_e32 v38, 31, v3
	s_delay_alu instid0(VALU_DEP_2) | instskip(NEXT) | instid1(VALU_DEP_2)
	v_floor_f32_e32 v5, v5
	v_mov_b32_e32 v39, v38
	s_delay_alu instid0(VALU_DEP_2) | instskip(SKIP_1) | instid1(VALU_DEP_2)
	v_fma_f32 v7, 0xcf800000, v5, |v3|
	v_cvt_u32_f32_e32 v3, v5
	v_cvt_u32_f32_e32 v5, v7
	s_delay_alu instid0(VALU_DEP_2) | instskip(NEXT) | instid1(VALU_DEP_2)
	v_xor_b32_e32 v45, v3, v38
	v_xor_b32_e32 v44, v5, v38
	s_delay_alu instid0(VALU_DEP_1) | instskip(NEXT) | instid1(VALU_DEP_1)
	v_sub_nc_u64_e32 v[38:39], v[44:45], v[38:39]
	v_dual_cndmask_b32 v39, 0, v39 :: v_dual_cndmask_b32 v38, 0, v38
	s_branch .LBB127_3922
.LBB127_3921:
	s_mov_b32 s0, -1
                                        ; implicit-def: $vgpr38_vgpr39
.LBB127_3922:
	s_mov_b32 s22, 0
.LBB127_3923:
	s_delay_alu instid0(SALU_CYCLE_1)
	s_and_b32 vcc_lo, exec_lo, s22
	s_cbranch_vccz .LBB127_3927
; %bb.3924:
	s_cmp_eq_u32 s58, 29
	s_cbranch_scc0 .LBB127_3926
; %bb.3925:
	global_load_b64 v[38:39], v[42:43], off
	s_mov_b32 s0, 0
	s_mov_b32 s9, -1
	s_branch .LBB127_3927
.LBB127_3926:
	s_mov_b32 s0, -1
                                        ; implicit-def: $vgpr38_vgpr39
.LBB127_3927:
	s_mov_b32 s22, 0
.LBB127_3928:
	s_delay_alu instid0(SALU_CYCLE_1)
	s_and_b32 vcc_lo, exec_lo, s22
	s_cbranch_vccz .LBB127_3944
; %bb.3929:
	s_cmp_lt_i32 s58, 27
	s_cbranch_scc1 .LBB127_3932
; %bb.3930:
	s_cmp_gt_i32 s58, 27
	s_cbranch_scc0 .LBB127_3933
; %bb.3931:
	s_wait_loadcnt 0x0
	global_load_b32 v38, v[42:43], off
	v_mov_b32_e32 v39, 0
	s_mov_b32 s9, 0
	s_branch .LBB127_3934
.LBB127_3932:
	s_mov_b32 s9, -1
                                        ; implicit-def: $vgpr38_vgpr39
	s_branch .LBB127_3937
.LBB127_3933:
	s_mov_b32 s9, -1
                                        ; implicit-def: $vgpr38_vgpr39
.LBB127_3934:
	s_delay_alu instid0(SALU_CYCLE_1)
	s_and_not1_b32 vcc_lo, exec_lo, s9
	s_cbranch_vccnz .LBB127_3936
; %bb.3935:
	global_load_u16 v1, v[42:43], off
	s_mov_b32 s9, 0
	s_wait_loadcnt 0x1
	v_mov_b32_e32 v39, s9
	s_wait_loadcnt 0x0
	v_and_b32_e32 v38, 0xffff, v1
.LBB127_3936:
	s_mov_b32 s9, 0
.LBB127_3937:
	s_delay_alu instid0(SALU_CYCLE_1)
	s_and_not1_b32 vcc_lo, exec_lo, s9
	s_cbranch_vccnz .LBB127_3943
; %bb.3938:
	global_load_u8 v1, v[42:43], off
	s_mov_b32 s22, 0
	s_mov_b32 s9, exec_lo
	s_wait_loadcnt 0x0
	v_cmpx_lt_i16_e32 0x7f, v1
	s_xor_b32 s9, exec_lo, s9
	s_cbranch_execz .LBB127_3955
; %bb.3939:
	v_cmp_ne_u16_e32 vcc_lo, 0x80, v1
	s_and_b32 s22, vcc_lo, exec_lo
	s_and_not1_saveexec_b32 s9, s9
	s_cbranch_execnz .LBB127_3956
.LBB127_3940:
	s_or_b32 exec_lo, exec_lo, s9
	v_mov_b64_e32 v[38:39], 0
	s_and_saveexec_b32 s9, s22
	s_cbranch_execz .LBB127_3942
.LBB127_3941:
	v_and_b32_e32 v3, 0xffff, v1
	s_delay_alu instid0(VALU_DEP_1) | instskip(SKIP_1) | instid1(VALU_DEP_2)
	v_dual_lshlrev_b32 v1, 24, v1 :: v_dual_bitop2_b32 v5, 7, v3 bitop3:0x40
	v_bfe_u32 v15, v3, 3, 4
	v_and_b32_e32 v1, 0x80000000, v1
	s_delay_alu instid0(VALU_DEP_3) | instskip(NEXT) | instid1(VALU_DEP_3)
	v_clz_i32_u32_e32 v7, v5
	v_cmp_eq_u32_e32 vcc_lo, 0, v15
	s_delay_alu instid0(VALU_DEP_2) | instskip(NEXT) | instid1(VALU_DEP_1)
	v_min_u32_e32 v7, 32, v7
	v_subrev_nc_u32_e32 v11, 28, v7
	v_sub_nc_u32_e32 v7, 29, v7
	s_delay_alu instid0(VALU_DEP_2) | instskip(NEXT) | instid1(VALU_DEP_2)
	v_lshlrev_b32_e32 v3, v11, v3
	v_cndmask_b32_e32 v7, v15, v7, vcc_lo
	s_delay_alu instid0(VALU_DEP_2) | instskip(NEXT) | instid1(VALU_DEP_1)
	v_and_b32_e32 v3, 7, v3
	v_cndmask_b32_e32 v3, v5, v3, vcc_lo
	s_delay_alu instid0(VALU_DEP_3) | instskip(NEXT) | instid1(VALU_DEP_2)
	v_lshl_add_u32 v5, v7, 23, 0x3b800000
	v_lshlrev_b32_e32 v3, 20, v3
	s_delay_alu instid0(VALU_DEP_1) | instskip(NEXT) | instid1(VALU_DEP_1)
	v_or3_b32 v1, v1, v5, v3
	v_trunc_f32_e32 v1, v1
	s_delay_alu instid0(VALU_DEP_1) | instskip(SKIP_1) | instid1(VALU_DEP_2)
	v_mul_f32_e64 v3, 0x2f800000, |v1|
	v_ashrrev_i32_e32 v38, 31, v1
	v_floor_f32_e32 v3, v3
	s_delay_alu instid0(VALU_DEP_2) | instskip(NEXT) | instid1(VALU_DEP_2)
	v_mov_b32_e32 v39, v38
	v_fma_f32 v5, 0xcf800000, v3, |v1|
	v_cvt_u32_f32_e32 v1, v3
	s_delay_alu instid0(VALU_DEP_2) | instskip(NEXT) | instid1(VALU_DEP_2)
	v_cvt_u32_f32_e32 v3, v5
	v_xor_b32_e32 v45, v1, v38
	s_delay_alu instid0(VALU_DEP_2) | instskip(NEXT) | instid1(VALU_DEP_1)
	v_xor_b32_e32 v44, v3, v38
	v_sub_nc_u64_e32 v[38:39], v[44:45], v[38:39]
.LBB127_3942:
	s_or_b32 exec_lo, exec_lo, s9
.LBB127_3943:
	s_mov_b32 s9, -1
.LBB127_3944:
	s_mov_b32 s22, 0
.LBB127_3945:
	s_delay_alu instid0(SALU_CYCLE_1)
	s_and_b32 vcc_lo, exec_lo, s22
	s_cbranch_vccz .LBB127_3976
; %bb.3946:
	s_cmp_gt_i32 s58, 22
	s_cbranch_scc0 .LBB127_3954
; %bb.3947:
	s_cmp_lt_i32 s58, 24
	s_cbranch_scc1 .LBB127_3957
; %bb.3948:
	s_cmp_gt_i32 s58, 24
	s_cbranch_scc0 .LBB127_3958
; %bb.3949:
	global_load_u8 v1, v[42:43], off
	s_mov_b32 s9, 0
	s_mov_b32 s1, exec_lo
	s_wait_loadcnt 0x0
	v_cmpx_lt_i16_e32 0x7f, v1
	s_xor_b32 s1, exec_lo, s1
	s_cbranch_execz .LBB127_3970
; %bb.3950:
	v_cmp_ne_u16_e32 vcc_lo, 0x80, v1
	s_and_b32 s9, vcc_lo, exec_lo
	s_and_not1_saveexec_b32 s1, s1
	s_cbranch_execnz .LBB127_3971
.LBB127_3951:
	s_or_b32 exec_lo, exec_lo, s1
	v_mov_b64_e32 v[38:39], 0
	s_and_saveexec_b32 s1, s9
	s_cbranch_execz .LBB127_3953
.LBB127_3952:
	v_and_b32_e32 v3, 0xffff, v1
	s_delay_alu instid0(VALU_DEP_1) | instskip(SKIP_1) | instid1(VALU_DEP_2)
	v_dual_lshlrev_b32 v1, 24, v1 :: v_dual_bitop2_b32 v5, 3, v3 bitop3:0x40
	v_bfe_u32 v15, v3, 2, 5
	v_and_b32_e32 v1, 0x80000000, v1
	s_delay_alu instid0(VALU_DEP_3) | instskip(NEXT) | instid1(VALU_DEP_3)
	v_clz_i32_u32_e32 v7, v5
	v_cmp_eq_u32_e32 vcc_lo, 0, v15
	s_delay_alu instid0(VALU_DEP_2) | instskip(NEXT) | instid1(VALU_DEP_1)
	v_min_u32_e32 v7, 32, v7
	v_subrev_nc_u32_e32 v11, 29, v7
	v_sub_nc_u32_e32 v7, 30, v7
	s_delay_alu instid0(VALU_DEP_2) | instskip(NEXT) | instid1(VALU_DEP_2)
	v_lshlrev_b32_e32 v3, v11, v3
	v_cndmask_b32_e32 v7, v15, v7, vcc_lo
	s_delay_alu instid0(VALU_DEP_2) | instskip(NEXT) | instid1(VALU_DEP_1)
	v_and_b32_e32 v3, 3, v3
	v_cndmask_b32_e32 v3, v5, v3, vcc_lo
	s_delay_alu instid0(VALU_DEP_3) | instskip(NEXT) | instid1(VALU_DEP_2)
	v_lshl_add_u32 v5, v7, 23, 0x37800000
	v_lshlrev_b32_e32 v3, 21, v3
	s_delay_alu instid0(VALU_DEP_1) | instskip(NEXT) | instid1(VALU_DEP_1)
	v_or3_b32 v1, v1, v5, v3
	v_trunc_f32_e32 v1, v1
	s_delay_alu instid0(VALU_DEP_1) | instskip(SKIP_1) | instid1(VALU_DEP_2)
	v_mul_f32_e64 v3, 0x2f800000, |v1|
	v_ashrrev_i32_e32 v38, 31, v1
	v_floor_f32_e32 v3, v3
	s_delay_alu instid0(VALU_DEP_2) | instskip(NEXT) | instid1(VALU_DEP_2)
	v_mov_b32_e32 v39, v38
	v_fma_f32 v5, 0xcf800000, v3, |v1|
	v_cvt_u32_f32_e32 v1, v3
	s_delay_alu instid0(VALU_DEP_2) | instskip(NEXT) | instid1(VALU_DEP_2)
	v_cvt_u32_f32_e32 v3, v5
	v_xor_b32_e32 v45, v1, v38
	s_delay_alu instid0(VALU_DEP_2) | instskip(NEXT) | instid1(VALU_DEP_1)
	v_xor_b32_e32 v44, v3, v38
	v_sub_nc_u64_e32 v[38:39], v[44:45], v[38:39]
.LBB127_3953:
	s_or_b32 exec_lo, exec_lo, s1
	s_mov_b32 s1, 0
	s_branch .LBB127_3959
.LBB127_3954:
	s_mov_b32 s1, -1
                                        ; implicit-def: $vgpr38_vgpr39
	s_branch .LBB127_3965
.LBB127_3955:
	s_and_not1_saveexec_b32 s9, s9
	s_cbranch_execz .LBB127_3940
.LBB127_3956:
	v_cmp_ne_u16_e32 vcc_lo, 0, v1
	s_and_not1_b32 s22, s22, exec_lo
	s_and_b32 s23, vcc_lo, exec_lo
	s_delay_alu instid0(SALU_CYCLE_1)
	s_or_b32 s22, s22, s23
	s_or_b32 exec_lo, exec_lo, s9
	v_mov_b64_e32 v[38:39], 0
	s_and_saveexec_b32 s9, s22
	s_cbranch_execnz .LBB127_3941
	s_branch .LBB127_3942
.LBB127_3957:
	s_mov_b32 s1, -1
                                        ; implicit-def: $vgpr38_vgpr39
	s_branch .LBB127_3962
.LBB127_3958:
	s_mov_b32 s1, -1
                                        ; implicit-def: $vgpr38_vgpr39
.LBB127_3959:
	s_delay_alu instid0(SALU_CYCLE_1)
	s_and_b32 vcc_lo, exec_lo, s1
	s_cbranch_vccz .LBB127_3961
; %bb.3960:
	global_load_u8 v1, v[42:43], off
	s_wait_loadcnt 0x0
	v_lshlrev_b32_e32 v1, 24, v1
	s_delay_alu instid0(VALU_DEP_1) | instskip(NEXT) | instid1(VALU_DEP_1)
	v_and_b32_e32 v3, 0x7f000000, v1
	v_clz_i32_u32_e32 v5, v3
	v_add_nc_u32_e32 v11, 0x1000000, v3
	v_cmp_ne_u32_e32 vcc_lo, 0, v3
	s_delay_alu instid0(VALU_DEP_3) | instskip(NEXT) | instid1(VALU_DEP_1)
	v_min_u32_e32 v5, 32, v5
	v_sub_nc_u32_e64 v5, v5, 4 clamp
	s_delay_alu instid0(VALU_DEP_1) | instskip(NEXT) | instid1(VALU_DEP_1)
	v_dual_lshlrev_b32 v7, v5, v3 :: v_dual_lshlrev_b32 v5, 23, v5
	v_lshrrev_b32_e32 v7, 4, v7
	s_delay_alu instid0(VALU_DEP_1) | instskip(NEXT) | instid1(VALU_DEP_1)
	v_dual_sub_nc_u32 v5, v7, v5 :: v_dual_ashrrev_i32 v7, 8, v11
	v_add_nc_u32_e32 v5, 0x3c000000, v5
	s_delay_alu instid0(VALU_DEP_1) | instskip(NEXT) | instid1(VALU_DEP_1)
	v_and_or_b32 v5, 0x7f800000, v7, v5
	v_cndmask_b32_e32 v3, 0, v5, vcc_lo
	s_delay_alu instid0(VALU_DEP_1) | instskip(NEXT) | instid1(VALU_DEP_1)
	v_and_or_b32 v1, 0x80000000, v1, v3
	v_trunc_f32_e32 v1, v1
	s_delay_alu instid0(VALU_DEP_1) | instskip(SKIP_1) | instid1(VALU_DEP_2)
	v_mul_f32_e64 v3, 0x2f800000, |v1|
	v_ashrrev_i32_e32 v38, 31, v1
	v_floor_f32_e32 v3, v3
	s_delay_alu instid0(VALU_DEP_2) | instskip(NEXT) | instid1(VALU_DEP_2)
	v_mov_b32_e32 v39, v38
	v_fma_f32 v5, 0xcf800000, v3, |v1|
	v_cvt_u32_f32_e32 v1, v3
	s_delay_alu instid0(VALU_DEP_2) | instskip(NEXT) | instid1(VALU_DEP_2)
	v_cvt_u32_f32_e32 v3, v5
	v_xor_b32_e32 v45, v1, v38
	s_delay_alu instid0(VALU_DEP_2) | instskip(NEXT) | instid1(VALU_DEP_1)
	v_xor_b32_e32 v44, v3, v38
	v_sub_nc_u64_e32 v[38:39], v[44:45], v[38:39]
.LBB127_3961:
	s_mov_b32 s1, 0
.LBB127_3962:
	s_delay_alu instid0(SALU_CYCLE_1)
	s_and_not1_b32 vcc_lo, exec_lo, s1
	s_cbranch_vccnz .LBB127_3964
; %bb.3963:
	global_load_u8 v1, v[42:43], off
	s_wait_loadcnt 0x0
	v_lshlrev_b32_e32 v3, 25, v1
	v_lshlrev_b16 v1, 8, v1
	s_delay_alu instid0(VALU_DEP_1) | instskip(SKIP_1) | instid1(VALU_DEP_2)
	v_and_or_b32 v7, 0x7f00, v1, 0.5
	v_bfe_i32 v1, v1, 0, 16
	v_add_f32_e32 v7, -0.5, v7
	v_lshrrev_b32_e32 v5, 4, v3
	v_cmp_gt_u32_e32 vcc_lo, 0x8000000, v3
	s_delay_alu instid0(VALU_DEP_2) | instskip(NEXT) | instid1(VALU_DEP_1)
	v_or_b32_e32 v5, 0x70000000, v5
	v_mul_f32_e32 v5, 0x7800000, v5
	s_delay_alu instid0(VALU_DEP_1) | instskip(NEXT) | instid1(VALU_DEP_1)
	v_cndmask_b32_e32 v3, v5, v7, vcc_lo
	v_and_or_b32 v1, 0x80000000, v1, v3
	s_delay_alu instid0(VALU_DEP_1) | instskip(NEXT) | instid1(VALU_DEP_1)
	v_trunc_f32_e32 v1, v1
	v_mul_f32_e64 v3, 0x2f800000, |v1|
	v_ashrrev_i32_e32 v38, 31, v1
	s_delay_alu instid0(VALU_DEP_2) | instskip(NEXT) | instid1(VALU_DEP_2)
	v_floor_f32_e32 v3, v3
	v_mov_b32_e32 v39, v38
	s_delay_alu instid0(VALU_DEP_2) | instskip(SKIP_1) | instid1(VALU_DEP_2)
	v_fma_f32 v5, 0xcf800000, v3, |v1|
	v_cvt_u32_f32_e32 v1, v3
	v_cvt_u32_f32_e32 v3, v5
	s_delay_alu instid0(VALU_DEP_2) | instskip(NEXT) | instid1(VALU_DEP_2)
	v_xor_b32_e32 v45, v1, v38
	v_xor_b32_e32 v44, v3, v38
	s_delay_alu instid0(VALU_DEP_1)
	v_sub_nc_u64_e32 v[38:39], v[44:45], v[38:39]
.LBB127_3964:
	s_mov_b32 s1, 0
	s_mov_b32 s9, -1
.LBB127_3965:
	s_and_not1_b32 vcc_lo, exec_lo, s1
	s_mov_b32 s1, 0
	s_cbranch_vccnz .LBB127_3976
; %bb.3966:
	s_cmp_gt_i32 s58, 14
	s_cbranch_scc0 .LBB127_3969
; %bb.3967:
	s_cmp_eq_u32 s58, 15
	s_cbranch_scc0 .LBB127_3972
; %bb.3968:
	global_load_u16 v1, v[42:43], off
	s_mov_b32 s0, 0
	s_mov_b32 s9, -1
	s_wait_loadcnt 0x0
	v_lshlrev_b32_e32 v1, 16, v1
	s_delay_alu instid0(VALU_DEP_1) | instskip(NEXT) | instid1(VALU_DEP_1)
	v_trunc_f32_e32 v1, v1
	v_mul_f32_e64 v3, 0x2f800000, |v1|
	v_ashrrev_i32_e32 v38, 31, v1
	s_delay_alu instid0(VALU_DEP_2) | instskip(NEXT) | instid1(VALU_DEP_2)
	v_floor_f32_e32 v3, v3
	v_mov_b32_e32 v39, v38
	s_delay_alu instid0(VALU_DEP_2) | instskip(SKIP_1) | instid1(VALU_DEP_2)
	v_fma_f32 v5, 0xcf800000, v3, |v1|
	v_cvt_u32_f32_e32 v1, v3
	v_cvt_u32_f32_e32 v3, v5
	s_delay_alu instid0(VALU_DEP_2) | instskip(NEXT) | instid1(VALU_DEP_2)
	v_xor_b32_e32 v45, v1, v38
	v_xor_b32_e32 v44, v3, v38
	s_delay_alu instid0(VALU_DEP_1)
	v_sub_nc_u64_e32 v[38:39], v[44:45], v[38:39]
	s_branch .LBB127_3974
.LBB127_3969:
	s_mov_b32 s1, -1
	s_branch .LBB127_3973
.LBB127_3970:
	s_and_not1_saveexec_b32 s1, s1
	s_cbranch_execz .LBB127_3951
.LBB127_3971:
	v_cmp_ne_u16_e32 vcc_lo, 0, v1
	s_and_not1_b32 s9, s9, exec_lo
	s_and_b32 s22, vcc_lo, exec_lo
	s_delay_alu instid0(SALU_CYCLE_1)
	s_or_b32 s9, s9, s22
	s_or_b32 exec_lo, exec_lo, s1
	v_mov_b64_e32 v[38:39], 0
	s_and_saveexec_b32 s1, s9
	s_cbranch_execnz .LBB127_3952
	s_branch .LBB127_3953
.LBB127_3972:
	s_mov_b32 s0, -1
.LBB127_3973:
                                        ; implicit-def: $vgpr38_vgpr39
.LBB127_3974:
	s_and_b32 vcc_lo, exec_lo, s1
	s_mov_b32 s1, 0
	s_cbranch_vccz .LBB127_3976
; %bb.3975:
	s_cmp_lg_u32 s58, 11
	s_mov_b32 s1, -1
	s_cselect_b32 s0, -1, 0
.LBB127_3976:
	s_delay_alu instid0(SALU_CYCLE_1)
	s_and_b32 vcc_lo, exec_lo, s0
	s_cbranch_vccnz .LBB127_4041
; %bb.3977:
	s_and_not1_b32 vcc_lo, exec_lo, s1
	s_cbranch_vccnz .LBB127_3979
.LBB127_3978:
	global_load_u8 v1, v[42:43], off
	s_mov_b32 s0, 0
	s_mov_b32 s9, -1
	s_wait_loadcnt 0x1
	v_mov_b32_e32 v39, s0
	s_wait_loadcnt 0x0
	v_cmp_ne_u16_e32 vcc_lo, 0, v1
	v_cndmask_b32_e64 v38, 0, 1, vcc_lo
.LBB127_3979:
	s_mov_b32 s0, 0
.LBB127_3980:
	s_delay_alu instid0(SALU_CYCLE_1)
	s_and_b32 vcc_lo, exec_lo, s0
	s_cbranch_vccz .LBB127_4029
; %bb.3981:
	s_cmp_lt_i32 s58, 5
	s_cbranch_scc1 .LBB127_3986
; %bb.3982:
	s_cmp_lt_i32 s58, 8
	s_cbranch_scc1 .LBB127_3987
	;; [unrolled: 3-line block ×3, first 2 shown]
; %bb.3984:
	s_cmp_gt_i32 s58, 9
	s_cbranch_scc0 .LBB127_3989
; %bb.3985:
	s_wait_loadcnt 0x0
	global_load_b64 v[38:39], v[42:43], off
	s_mov_b32 s0, 0
	s_wait_loadcnt 0x0
	v_trunc_f64_e32 v[38:39], v[38:39]
	s_delay_alu instid0(VALU_DEP_1) | instskip(NEXT) | instid1(VALU_DEP_1)
	v_ldexp_f64 v[44:45], v[38:39], 0xffffffe0
	v_floor_f64_e32 v[44:45], v[44:45]
	s_delay_alu instid0(VALU_DEP_1) | instskip(SKIP_1) | instid1(VALU_DEP_2)
	v_fmamk_f64 v[46:47], v[44:45], 0xc1f00000, v[38:39]
	v_cvt_i32_f64_e32 v39, v[44:45]
	v_cvt_u32_f64_e32 v38, v[46:47]
	s_branch .LBB127_3990
.LBB127_3986:
	s_mov_b32 s0, -1
                                        ; implicit-def: $vgpr38_vgpr39
	s_branch .LBB127_4008
.LBB127_3987:
	s_mov_b32 s0, -1
                                        ; implicit-def: $vgpr38_vgpr39
	s_branch .LBB127_3996
.LBB127_3988:
	s_mov_b32 s0, -1
                                        ; implicit-def: $vgpr38_vgpr39
	s_branch .LBB127_3993
.LBB127_3989:
	s_mov_b32 s0, -1
                                        ; implicit-def: $vgpr38_vgpr39
.LBB127_3990:
	s_delay_alu instid0(SALU_CYCLE_1)
	s_and_not1_b32 vcc_lo, exec_lo, s0
	s_cbranch_vccnz .LBB127_3992
; %bb.3991:
	global_load_b32 v1, v[42:43], off
	s_wait_loadcnt 0x0
	v_trunc_f32_e32 v1, v1
	s_delay_alu instid0(VALU_DEP_1) | instskip(SKIP_1) | instid1(VALU_DEP_2)
	v_mul_f32_e64 v3, 0x2f800000, |v1|
	v_ashrrev_i32_e32 v38, 31, v1
	v_floor_f32_e32 v3, v3
	s_delay_alu instid0(VALU_DEP_1) | instskip(SKIP_1) | instid1(VALU_DEP_4)
	v_fma_f32 v5, 0xcf800000, v3, |v1|
	v_cvt_u32_f32_e32 v1, v3
	v_mov_b32_e32 v39, v38
	s_delay_alu instid0(VALU_DEP_3) | instskip(NEXT) | instid1(VALU_DEP_3)
	v_cvt_u32_f32_e32 v3, v5
	v_xor_b32_e32 v45, v1, v38
	s_delay_alu instid0(VALU_DEP_2) | instskip(NEXT) | instid1(VALU_DEP_1)
	v_xor_b32_e32 v44, v3, v38
	v_sub_nc_u64_e32 v[38:39], v[44:45], v[38:39]
.LBB127_3992:
	s_mov_b32 s0, 0
.LBB127_3993:
	s_delay_alu instid0(SALU_CYCLE_1)
	s_and_not1_b32 vcc_lo, exec_lo, s0
	s_cbranch_vccnz .LBB127_3995
; %bb.3994:
	global_load_b32 v1, v[42:43], off
	s_wait_loadcnt 0x0
	v_cvt_f32_f16_e32 v1, v1
	s_delay_alu instid0(VALU_DEP_1) | instskip(NEXT) | instid1(VALU_DEP_1)
	v_cvt_i32_f32_e32 v38, v1
	v_ashrrev_i32_e32 v39, 31, v38
.LBB127_3995:
	s_mov_b32 s0, 0
.LBB127_3996:
	s_delay_alu instid0(SALU_CYCLE_1)
	s_and_not1_b32 vcc_lo, exec_lo, s0
	s_cbranch_vccnz .LBB127_4007
; %bb.3997:
	s_cmp_lt_i32 s58, 6
	s_cbranch_scc1 .LBB127_4000
; %bb.3998:
	s_cmp_gt_i32 s58, 6
	s_cbranch_scc0 .LBB127_4001
; %bb.3999:
	s_wait_loadcnt 0x0
	global_load_b64 v[38:39], v[42:43], off
	s_mov_b32 s0, 0
	s_wait_loadcnt 0x0
	v_trunc_f64_e32 v[38:39], v[38:39]
	s_delay_alu instid0(VALU_DEP_1) | instskip(NEXT) | instid1(VALU_DEP_1)
	v_ldexp_f64 v[44:45], v[38:39], 0xffffffe0
	v_floor_f64_e32 v[44:45], v[44:45]
	s_delay_alu instid0(VALU_DEP_1) | instskip(SKIP_1) | instid1(VALU_DEP_2)
	v_fmamk_f64 v[46:47], v[44:45], 0xc1f00000, v[38:39]
	v_cvt_i32_f64_e32 v39, v[44:45]
	v_cvt_u32_f64_e32 v38, v[46:47]
	s_branch .LBB127_4002
.LBB127_4000:
	s_mov_b32 s0, -1
                                        ; implicit-def: $vgpr38_vgpr39
	s_branch .LBB127_4005
.LBB127_4001:
	s_mov_b32 s0, -1
                                        ; implicit-def: $vgpr38_vgpr39
.LBB127_4002:
	s_delay_alu instid0(SALU_CYCLE_1)
	s_and_not1_b32 vcc_lo, exec_lo, s0
	s_cbranch_vccnz .LBB127_4004
; %bb.4003:
	global_load_b32 v1, v[42:43], off
	s_wait_loadcnt 0x0
	v_trunc_f32_e32 v1, v1
	s_delay_alu instid0(VALU_DEP_1) | instskip(SKIP_1) | instid1(VALU_DEP_2)
	v_mul_f32_e64 v3, 0x2f800000, |v1|
	v_ashrrev_i32_e32 v38, 31, v1
	v_floor_f32_e32 v3, v3
	s_delay_alu instid0(VALU_DEP_1) | instskip(SKIP_1) | instid1(VALU_DEP_4)
	v_fma_f32 v5, 0xcf800000, v3, |v1|
	v_cvt_u32_f32_e32 v1, v3
	v_mov_b32_e32 v39, v38
	s_delay_alu instid0(VALU_DEP_3) | instskip(NEXT) | instid1(VALU_DEP_3)
	v_cvt_u32_f32_e32 v3, v5
	v_xor_b32_e32 v45, v1, v38
	s_delay_alu instid0(VALU_DEP_2) | instskip(NEXT) | instid1(VALU_DEP_1)
	v_xor_b32_e32 v44, v3, v38
	v_sub_nc_u64_e32 v[38:39], v[44:45], v[38:39]
.LBB127_4004:
	s_mov_b32 s0, 0
.LBB127_4005:
	s_delay_alu instid0(SALU_CYCLE_1)
	s_and_not1_b32 vcc_lo, exec_lo, s0
	s_cbranch_vccnz .LBB127_4007
; %bb.4006:
	global_load_u16 v1, v[42:43], off
	s_wait_loadcnt 0x0
	v_cvt_f32_f16_e32 v1, v1
	s_delay_alu instid0(VALU_DEP_1) | instskip(NEXT) | instid1(VALU_DEP_1)
	v_cvt_i32_f32_e32 v38, v1
	v_ashrrev_i32_e32 v39, 31, v38
.LBB127_4007:
	s_mov_b32 s0, 0
.LBB127_4008:
	s_delay_alu instid0(SALU_CYCLE_1)
	s_and_not1_b32 vcc_lo, exec_lo, s0
	s_cbranch_vccnz .LBB127_4028
; %bb.4009:
	s_cmp_lt_i32 s58, 2
	s_cbranch_scc1 .LBB127_4013
; %bb.4010:
	s_cmp_lt_i32 s58, 3
	s_cbranch_scc1 .LBB127_4014
; %bb.4011:
	s_cmp_gt_i32 s58, 3
	s_cbranch_scc0 .LBB127_4015
; %bb.4012:
	s_wait_loadcnt 0x0
	global_load_b64 v[38:39], v[42:43], off
	s_mov_b32 s0, 0
	s_branch .LBB127_4016
.LBB127_4013:
	s_mov_b32 s0, -1
                                        ; implicit-def: $vgpr38_vgpr39
	s_branch .LBB127_4022
.LBB127_4014:
	s_mov_b32 s0, -1
                                        ; implicit-def: $vgpr38_vgpr39
	s_branch .LBB127_4019
.LBB127_4015:
	s_mov_b32 s0, -1
                                        ; implicit-def: $vgpr38_vgpr39
.LBB127_4016:
	s_delay_alu instid0(SALU_CYCLE_1)
	s_and_not1_b32 vcc_lo, exec_lo, s0
	s_cbranch_vccnz .LBB127_4018
; %bb.4017:
	s_wait_loadcnt 0x0
	global_load_b32 v38, v[42:43], off
	s_wait_loadcnt 0x0
	v_ashrrev_i32_e32 v39, 31, v38
.LBB127_4018:
	s_mov_b32 s0, 0
.LBB127_4019:
	s_delay_alu instid0(SALU_CYCLE_1)
	s_and_not1_b32 vcc_lo, exec_lo, s0
	s_cbranch_vccnz .LBB127_4021
; %bb.4020:
	global_load_u16 v1, v[42:43], off
	s_wait_loadcnt 0x0
	v_bfe_i32 v38, v1, 0, 16
	s_delay_alu instid0(VALU_DEP_1)
	v_ashrrev_i32_e32 v39, 31, v38
.LBB127_4021:
	s_mov_b32 s0, 0
.LBB127_4022:
	s_delay_alu instid0(SALU_CYCLE_1)
	s_and_not1_b32 vcc_lo, exec_lo, s0
	s_cbranch_vccnz .LBB127_4028
; %bb.4023:
	s_cmp_gt_i32 s58, 0
	s_mov_b32 s0, 0
	s_cbranch_scc0 .LBB127_4025
; %bb.4024:
	global_load_i8 v1, v[42:43], off
	s_wait_loadcnt 0x0
	v_bfe_i32 v38, v1, 0, 16
	s_delay_alu instid0(VALU_DEP_1)
	v_ashrrev_i32_e32 v39, 31, v38
	s_branch .LBB127_4026
.LBB127_4025:
	s_mov_b32 s0, -1
                                        ; implicit-def: $vgpr38_vgpr39
.LBB127_4026:
	s_delay_alu instid0(SALU_CYCLE_1)
	s_and_not1_b32 vcc_lo, exec_lo, s0
	s_cbranch_vccnz .LBB127_4028
; %bb.4027:
	global_load_u8 v1, v[42:43], off
	s_mov_b32 s0, 0
	s_wait_loadcnt 0x1
	v_mov_b32_e32 v39, s0
	s_wait_loadcnt 0x0
	v_and_b32_e32 v38, 0xffff, v1
.LBB127_4028:
	s_mov_b32 s9, -1
.LBB127_4029:
	s_delay_alu instid0(SALU_CYCLE_1)
	s_and_not1_b32 vcc_lo, exec_lo, s9
	s_cbranch_vccnz .LBB127_4424
; %bb.4030:
	v_mov_b32_e32 v37, 0
	s_and_b32 s59, 0xffff, s49
	s_delay_alu instid0(SALU_CYCLE_1) | instskip(SKIP_1) | instid1(VALU_DEP_1)
	s_cmp_lt_i32 s59, 11
	s_wait_xcnt 0x0
	v_add_nc_u64_e32 v[42:43], s[12:13], v[36:37]
	s_cbranch_scc1 .LBB127_4037
; %bb.4031:
	s_cmp_gt_i32 s59, 25
	s_mov_b32 s1, 0
	s_cbranch_scc0 .LBB127_4038
; %bb.4032:
	s_cmp_gt_i32 s59, 28
	s_cbranch_scc0 .LBB127_4039
; %bb.4033:
	s_cmp_gt_i32 s59, 43
	;; [unrolled: 3-line block ×3, first 2 shown]
	s_cbranch_scc0 .LBB127_4042
; %bb.4035:
	s_cmp_eq_u32 s59, 46
	s_mov_b32 s22, 0
	s_cbranch_scc0 .LBB127_4045
; %bb.4036:
	global_load_b32 v1, v[42:43], off
	s_mov_b32 s0, 0
	s_mov_b32 s9, -1
	s_wait_loadcnt 0x0
	v_lshlrev_b32_e32 v1, 16, v1
	s_delay_alu instid0(VALU_DEP_1) | instskip(NEXT) | instid1(VALU_DEP_1)
	v_trunc_f32_e32 v1, v1
	v_mul_f32_e64 v3, 0x2f800000, |v1|
	v_ashrrev_i32_e32 v36, 31, v1
	s_delay_alu instid0(VALU_DEP_2) | instskip(NEXT) | instid1(VALU_DEP_2)
	v_floor_f32_e32 v3, v3
	v_mov_b32_e32 v37, v36
	s_delay_alu instid0(VALU_DEP_2) | instskip(SKIP_1) | instid1(VALU_DEP_2)
	v_fma_f32 v5, 0xcf800000, v3, |v1|
	v_cvt_u32_f32_e32 v1, v3
	v_cvt_u32_f32_e32 v3, v5
	s_delay_alu instid0(VALU_DEP_2) | instskip(NEXT) | instid1(VALU_DEP_2)
	v_xor_b32_e32 v45, v1, v36
	v_xor_b32_e32 v44, v3, v36
	s_delay_alu instid0(VALU_DEP_1)
	v_sub_nc_u64_e32 v[36:37], v[44:45], v[36:37]
	s_branch .LBB127_4047
.LBB127_4037:
	s_mov_b32 s0, -1
	s_mov_b32 s9, 0
                                        ; implicit-def: $vgpr36_vgpr37
	s_branch .LBB127_4109
.LBB127_4038:
	s_mov_b32 s22, -1
	s_mov_b32 s9, 0
	s_mov_b32 s0, 0
                                        ; implicit-def: $vgpr36_vgpr37
	s_branch .LBB127_4074
.LBB127_4039:
	s_mov_b32 s22, -1
	s_mov_b32 s9, 0
	s_mov_b32 s0, 0
                                        ; implicit-def: $vgpr36_vgpr37
	s_branch .LBB127_4057
.LBB127_4040:
	s_mov_b32 s22, -1
	s_mov_b32 s9, 0
	s_mov_b32 s0, 0
                                        ; implicit-def: $vgpr36_vgpr37
	s_branch .LBB127_4052
.LBB127_4041:
	s_or_b32 s45, s45, exec_lo
	s_trap 2
	s_cbranch_execz .LBB127_3978
	s_branch .LBB127_3979
.LBB127_4042:
	s_mov_b32 s22, -1
	s_mov_b32 s9, 0
	s_mov_b32 s0, 0
	s_branch .LBB127_4046
.LBB127_4043:
	s_or_b32 s39, s33, exec_lo
	s_trap 2
                                        ; implicit-def: $vgpr6
                                        ; implicit-def: $vgpr34
                                        ; implicit-def: $vgpr32
                                        ; implicit-def: $vgpr38
                                        ; implicit-def: $vgpr36
                                        ; implicit-def: $vgpr4
                                        ; implicit-def: $vgpr40
                                        ; implicit-def: $vgpr24
                                        ; implicit-def: $vgpr22
                                        ; implicit-def: $vgpr28
                                        ; implicit-def: $vgpr26
                                        ; implicit-def: $vgpr2
                                        ; implicit-def: $vgpr30
                                        ; implicit-def: $vgpr14
                                        ; implicit-def: $vgpr10
                                        ; implicit-def: $vgpr18
                                        ; implicit-def: $vgpr16
                                        ; implicit-def: $vgpr0
                                        ; implicit-def: $vgpr20
                                        ; implicit-def: $vgpr8_vgpr9
                                        ; implicit-def: $vgpr12_vgpr13
                                        ; implicit-def: $vgpr46_vgpr47
                                        ; implicit-def: $vgpr44_vgpr45
                                        ; implicit-def: $vgpr48_vgpr49
	s_branch .LBB127_2644
.LBB127_4044:
	s_or_b32 exec_lo, exec_lo, s85
	s_branch .LBB127_522
.LBB127_4045:
	s_mov_b32 s0, -1
	s_mov_b32 s9, 0
.LBB127_4046:
                                        ; implicit-def: $vgpr36_vgpr37
.LBB127_4047:
	s_and_b32 vcc_lo, exec_lo, s22
	s_cbranch_vccz .LBB127_4051
; %bb.4048:
	s_cmp_eq_u32 s59, 44
	s_cbranch_scc0 .LBB127_4050
; %bb.4049:
	global_load_u8 v1, v[42:43], off
	s_mov_b32 s0, 0
	s_mov_b32 s9, -1
	s_wait_loadcnt 0x0
	v_lshlrev_b32_e32 v3, 23, v1
	v_cmp_ne_u32_e32 vcc_lo, 0, v1
	s_delay_alu instid0(VALU_DEP_2) | instskip(NEXT) | instid1(VALU_DEP_1)
	v_trunc_f32_e32 v3, v3
	v_mul_f32_e64 v5, 0x2f800000, |v3|
	v_ashrrev_i32_e32 v36, 31, v3
	s_delay_alu instid0(VALU_DEP_2) | instskip(NEXT) | instid1(VALU_DEP_2)
	v_floor_f32_e32 v5, v5
	v_mov_b32_e32 v37, v36
	s_delay_alu instid0(VALU_DEP_2) | instskip(SKIP_1) | instid1(VALU_DEP_2)
	v_fma_f32 v7, 0xcf800000, v5, |v3|
	v_cvt_u32_f32_e32 v3, v5
	v_cvt_u32_f32_e32 v5, v7
	s_delay_alu instid0(VALU_DEP_2) | instskip(NEXT) | instid1(VALU_DEP_2)
	v_xor_b32_e32 v45, v3, v36
	v_xor_b32_e32 v44, v5, v36
	s_delay_alu instid0(VALU_DEP_1) | instskip(NEXT) | instid1(VALU_DEP_1)
	v_sub_nc_u64_e32 v[36:37], v[44:45], v[36:37]
	v_dual_cndmask_b32 v37, 0, v37 :: v_dual_cndmask_b32 v36, 0, v36
	s_branch .LBB127_4051
.LBB127_4050:
	s_mov_b32 s0, -1
                                        ; implicit-def: $vgpr36_vgpr37
.LBB127_4051:
	s_mov_b32 s22, 0
.LBB127_4052:
	s_delay_alu instid0(SALU_CYCLE_1)
	s_and_b32 vcc_lo, exec_lo, s22
	s_cbranch_vccz .LBB127_4056
; %bb.4053:
	s_cmp_eq_u32 s59, 29
	s_cbranch_scc0 .LBB127_4055
; %bb.4054:
	global_load_b64 v[36:37], v[42:43], off
	s_mov_b32 s0, 0
	s_mov_b32 s9, -1
	s_branch .LBB127_4056
.LBB127_4055:
	s_mov_b32 s0, -1
                                        ; implicit-def: $vgpr36_vgpr37
.LBB127_4056:
	s_mov_b32 s22, 0
.LBB127_4057:
	s_delay_alu instid0(SALU_CYCLE_1)
	s_and_b32 vcc_lo, exec_lo, s22
	s_cbranch_vccz .LBB127_4073
; %bb.4058:
	s_cmp_lt_i32 s59, 27
	s_cbranch_scc1 .LBB127_4061
; %bb.4059:
	s_cmp_gt_i32 s59, 27
	s_cbranch_scc0 .LBB127_4062
; %bb.4060:
	s_wait_loadcnt 0x0
	global_load_b32 v36, v[42:43], off
	v_mov_b32_e32 v37, 0
	s_mov_b32 s9, 0
	s_branch .LBB127_4063
.LBB127_4061:
	s_mov_b32 s9, -1
                                        ; implicit-def: $vgpr36_vgpr37
	s_branch .LBB127_4066
.LBB127_4062:
	s_mov_b32 s9, -1
                                        ; implicit-def: $vgpr36_vgpr37
.LBB127_4063:
	s_delay_alu instid0(SALU_CYCLE_1)
	s_and_not1_b32 vcc_lo, exec_lo, s9
	s_cbranch_vccnz .LBB127_4065
; %bb.4064:
	global_load_u16 v1, v[42:43], off
	s_mov_b32 s9, 0
	s_wait_loadcnt 0x1
	v_mov_b32_e32 v37, s9
	s_wait_loadcnt 0x0
	v_and_b32_e32 v36, 0xffff, v1
.LBB127_4065:
	s_mov_b32 s9, 0
.LBB127_4066:
	s_delay_alu instid0(SALU_CYCLE_1)
	s_and_not1_b32 vcc_lo, exec_lo, s9
	s_cbranch_vccnz .LBB127_4072
; %bb.4067:
	global_load_u8 v1, v[42:43], off
	s_mov_b32 s22, 0
	s_mov_b32 s9, exec_lo
	s_wait_loadcnt 0x0
	v_cmpx_lt_i16_e32 0x7f, v1
	s_xor_b32 s9, exec_lo, s9
	s_cbranch_execz .LBB127_4084
; %bb.4068:
	v_cmp_ne_u16_e32 vcc_lo, 0x80, v1
	s_and_b32 s22, vcc_lo, exec_lo
	s_and_not1_saveexec_b32 s9, s9
	s_cbranch_execnz .LBB127_4085
.LBB127_4069:
	s_or_b32 exec_lo, exec_lo, s9
	v_mov_b64_e32 v[36:37], 0
	s_and_saveexec_b32 s9, s22
	s_cbranch_execz .LBB127_4071
.LBB127_4070:
	v_and_b32_e32 v3, 0xffff, v1
	s_delay_alu instid0(VALU_DEP_1) | instskip(SKIP_1) | instid1(VALU_DEP_2)
	v_dual_lshlrev_b32 v1, 24, v1 :: v_dual_bitop2_b32 v5, 7, v3 bitop3:0x40
	v_bfe_u32 v15, v3, 3, 4
	v_and_b32_e32 v1, 0x80000000, v1
	s_delay_alu instid0(VALU_DEP_3) | instskip(NEXT) | instid1(VALU_DEP_3)
	v_clz_i32_u32_e32 v7, v5
	v_cmp_eq_u32_e32 vcc_lo, 0, v15
	s_delay_alu instid0(VALU_DEP_2) | instskip(NEXT) | instid1(VALU_DEP_1)
	v_min_u32_e32 v7, 32, v7
	v_subrev_nc_u32_e32 v11, 28, v7
	v_sub_nc_u32_e32 v7, 29, v7
	s_delay_alu instid0(VALU_DEP_2) | instskip(NEXT) | instid1(VALU_DEP_2)
	v_lshlrev_b32_e32 v3, v11, v3
	v_cndmask_b32_e32 v7, v15, v7, vcc_lo
	s_delay_alu instid0(VALU_DEP_2) | instskip(NEXT) | instid1(VALU_DEP_1)
	v_and_b32_e32 v3, 7, v3
	v_cndmask_b32_e32 v3, v5, v3, vcc_lo
	s_delay_alu instid0(VALU_DEP_3) | instskip(NEXT) | instid1(VALU_DEP_2)
	v_lshl_add_u32 v5, v7, 23, 0x3b800000
	v_lshlrev_b32_e32 v3, 20, v3
	s_delay_alu instid0(VALU_DEP_1) | instskip(NEXT) | instid1(VALU_DEP_1)
	v_or3_b32 v1, v1, v5, v3
	v_trunc_f32_e32 v1, v1
	s_delay_alu instid0(VALU_DEP_1) | instskip(SKIP_1) | instid1(VALU_DEP_2)
	v_mul_f32_e64 v3, 0x2f800000, |v1|
	v_ashrrev_i32_e32 v36, 31, v1
	v_floor_f32_e32 v3, v3
	s_delay_alu instid0(VALU_DEP_2) | instskip(NEXT) | instid1(VALU_DEP_2)
	v_mov_b32_e32 v37, v36
	v_fma_f32 v5, 0xcf800000, v3, |v1|
	v_cvt_u32_f32_e32 v1, v3
	s_delay_alu instid0(VALU_DEP_2) | instskip(NEXT) | instid1(VALU_DEP_2)
	v_cvt_u32_f32_e32 v3, v5
	v_xor_b32_e32 v45, v1, v36
	s_delay_alu instid0(VALU_DEP_2) | instskip(NEXT) | instid1(VALU_DEP_1)
	v_xor_b32_e32 v44, v3, v36
	v_sub_nc_u64_e32 v[36:37], v[44:45], v[36:37]
.LBB127_4071:
	s_or_b32 exec_lo, exec_lo, s9
.LBB127_4072:
	s_mov_b32 s9, -1
.LBB127_4073:
	s_mov_b32 s22, 0
.LBB127_4074:
	s_delay_alu instid0(SALU_CYCLE_1)
	s_and_b32 vcc_lo, exec_lo, s22
	s_cbranch_vccz .LBB127_4105
; %bb.4075:
	s_cmp_gt_i32 s59, 22
	s_cbranch_scc0 .LBB127_4083
; %bb.4076:
	s_cmp_lt_i32 s59, 24
	s_cbranch_scc1 .LBB127_4086
; %bb.4077:
	s_cmp_gt_i32 s59, 24
	s_cbranch_scc0 .LBB127_4087
; %bb.4078:
	global_load_u8 v1, v[42:43], off
	s_mov_b32 s9, 0
	s_mov_b32 s1, exec_lo
	s_wait_loadcnt 0x0
	v_cmpx_lt_i16_e32 0x7f, v1
	s_xor_b32 s1, exec_lo, s1
	s_cbranch_execz .LBB127_4099
; %bb.4079:
	v_cmp_ne_u16_e32 vcc_lo, 0x80, v1
	s_and_b32 s9, vcc_lo, exec_lo
	s_and_not1_saveexec_b32 s1, s1
	s_cbranch_execnz .LBB127_4100
.LBB127_4080:
	s_or_b32 exec_lo, exec_lo, s1
	v_mov_b64_e32 v[36:37], 0
	s_and_saveexec_b32 s1, s9
	s_cbranch_execz .LBB127_4082
.LBB127_4081:
	v_and_b32_e32 v3, 0xffff, v1
	s_delay_alu instid0(VALU_DEP_1) | instskip(SKIP_1) | instid1(VALU_DEP_2)
	v_dual_lshlrev_b32 v1, 24, v1 :: v_dual_bitop2_b32 v5, 3, v3 bitop3:0x40
	v_bfe_u32 v15, v3, 2, 5
	v_and_b32_e32 v1, 0x80000000, v1
	s_delay_alu instid0(VALU_DEP_3) | instskip(NEXT) | instid1(VALU_DEP_3)
	v_clz_i32_u32_e32 v7, v5
	v_cmp_eq_u32_e32 vcc_lo, 0, v15
	s_delay_alu instid0(VALU_DEP_2) | instskip(NEXT) | instid1(VALU_DEP_1)
	v_min_u32_e32 v7, 32, v7
	v_subrev_nc_u32_e32 v11, 29, v7
	v_sub_nc_u32_e32 v7, 30, v7
	s_delay_alu instid0(VALU_DEP_2) | instskip(NEXT) | instid1(VALU_DEP_2)
	v_lshlrev_b32_e32 v3, v11, v3
	v_cndmask_b32_e32 v7, v15, v7, vcc_lo
	s_delay_alu instid0(VALU_DEP_2) | instskip(NEXT) | instid1(VALU_DEP_1)
	v_and_b32_e32 v3, 3, v3
	v_cndmask_b32_e32 v3, v5, v3, vcc_lo
	s_delay_alu instid0(VALU_DEP_3) | instskip(NEXT) | instid1(VALU_DEP_2)
	v_lshl_add_u32 v5, v7, 23, 0x37800000
	v_lshlrev_b32_e32 v3, 21, v3
	s_delay_alu instid0(VALU_DEP_1) | instskip(NEXT) | instid1(VALU_DEP_1)
	v_or3_b32 v1, v1, v5, v3
	v_trunc_f32_e32 v1, v1
	s_delay_alu instid0(VALU_DEP_1) | instskip(SKIP_1) | instid1(VALU_DEP_2)
	v_mul_f32_e64 v3, 0x2f800000, |v1|
	v_ashrrev_i32_e32 v36, 31, v1
	v_floor_f32_e32 v3, v3
	s_delay_alu instid0(VALU_DEP_2) | instskip(NEXT) | instid1(VALU_DEP_2)
	v_mov_b32_e32 v37, v36
	v_fma_f32 v5, 0xcf800000, v3, |v1|
	v_cvt_u32_f32_e32 v1, v3
	s_delay_alu instid0(VALU_DEP_2) | instskip(NEXT) | instid1(VALU_DEP_2)
	v_cvt_u32_f32_e32 v3, v5
	v_xor_b32_e32 v45, v1, v36
	s_delay_alu instid0(VALU_DEP_2) | instskip(NEXT) | instid1(VALU_DEP_1)
	v_xor_b32_e32 v44, v3, v36
	v_sub_nc_u64_e32 v[36:37], v[44:45], v[36:37]
.LBB127_4082:
	s_or_b32 exec_lo, exec_lo, s1
	s_mov_b32 s1, 0
	s_branch .LBB127_4088
.LBB127_4083:
	s_mov_b32 s1, -1
                                        ; implicit-def: $vgpr36_vgpr37
	s_branch .LBB127_4094
.LBB127_4084:
	s_and_not1_saveexec_b32 s9, s9
	s_cbranch_execz .LBB127_4069
.LBB127_4085:
	v_cmp_ne_u16_e32 vcc_lo, 0, v1
	s_and_not1_b32 s22, s22, exec_lo
	s_and_b32 s23, vcc_lo, exec_lo
	s_delay_alu instid0(SALU_CYCLE_1)
	s_or_b32 s22, s22, s23
	s_or_b32 exec_lo, exec_lo, s9
	v_mov_b64_e32 v[36:37], 0
	s_and_saveexec_b32 s9, s22
	s_cbranch_execnz .LBB127_4070
	s_branch .LBB127_4071
.LBB127_4086:
	s_mov_b32 s1, -1
                                        ; implicit-def: $vgpr36_vgpr37
	s_branch .LBB127_4091
.LBB127_4087:
	s_mov_b32 s1, -1
                                        ; implicit-def: $vgpr36_vgpr37
.LBB127_4088:
	s_delay_alu instid0(SALU_CYCLE_1)
	s_and_b32 vcc_lo, exec_lo, s1
	s_cbranch_vccz .LBB127_4090
; %bb.4089:
	global_load_u8 v1, v[42:43], off
	s_wait_loadcnt 0x0
	v_lshlrev_b32_e32 v1, 24, v1
	s_delay_alu instid0(VALU_DEP_1) | instskip(NEXT) | instid1(VALU_DEP_1)
	v_and_b32_e32 v3, 0x7f000000, v1
	v_clz_i32_u32_e32 v5, v3
	v_add_nc_u32_e32 v11, 0x1000000, v3
	v_cmp_ne_u32_e32 vcc_lo, 0, v3
	s_delay_alu instid0(VALU_DEP_3) | instskip(NEXT) | instid1(VALU_DEP_1)
	v_min_u32_e32 v5, 32, v5
	v_sub_nc_u32_e64 v5, v5, 4 clamp
	s_delay_alu instid0(VALU_DEP_1) | instskip(NEXT) | instid1(VALU_DEP_1)
	v_dual_lshlrev_b32 v7, v5, v3 :: v_dual_lshlrev_b32 v5, 23, v5
	v_lshrrev_b32_e32 v7, 4, v7
	s_delay_alu instid0(VALU_DEP_1) | instskip(NEXT) | instid1(VALU_DEP_1)
	v_dual_sub_nc_u32 v5, v7, v5 :: v_dual_ashrrev_i32 v7, 8, v11
	v_add_nc_u32_e32 v5, 0x3c000000, v5
	s_delay_alu instid0(VALU_DEP_1) | instskip(NEXT) | instid1(VALU_DEP_1)
	v_and_or_b32 v5, 0x7f800000, v7, v5
	v_cndmask_b32_e32 v3, 0, v5, vcc_lo
	s_delay_alu instid0(VALU_DEP_1) | instskip(NEXT) | instid1(VALU_DEP_1)
	v_and_or_b32 v1, 0x80000000, v1, v3
	v_trunc_f32_e32 v1, v1
	s_delay_alu instid0(VALU_DEP_1) | instskip(SKIP_1) | instid1(VALU_DEP_2)
	v_mul_f32_e64 v3, 0x2f800000, |v1|
	v_ashrrev_i32_e32 v36, 31, v1
	v_floor_f32_e32 v3, v3
	s_delay_alu instid0(VALU_DEP_2) | instskip(NEXT) | instid1(VALU_DEP_2)
	v_mov_b32_e32 v37, v36
	v_fma_f32 v5, 0xcf800000, v3, |v1|
	v_cvt_u32_f32_e32 v1, v3
	s_delay_alu instid0(VALU_DEP_2) | instskip(NEXT) | instid1(VALU_DEP_2)
	v_cvt_u32_f32_e32 v3, v5
	v_xor_b32_e32 v45, v1, v36
	s_delay_alu instid0(VALU_DEP_2) | instskip(NEXT) | instid1(VALU_DEP_1)
	v_xor_b32_e32 v44, v3, v36
	v_sub_nc_u64_e32 v[36:37], v[44:45], v[36:37]
.LBB127_4090:
	s_mov_b32 s1, 0
.LBB127_4091:
	s_delay_alu instid0(SALU_CYCLE_1)
	s_and_not1_b32 vcc_lo, exec_lo, s1
	s_cbranch_vccnz .LBB127_4093
; %bb.4092:
	global_load_u8 v1, v[42:43], off
	s_wait_loadcnt 0x0
	v_lshlrev_b32_e32 v3, 25, v1
	v_lshlrev_b16 v1, 8, v1
	s_delay_alu instid0(VALU_DEP_1) | instskip(SKIP_1) | instid1(VALU_DEP_2)
	v_and_or_b32 v7, 0x7f00, v1, 0.5
	v_bfe_i32 v1, v1, 0, 16
	v_add_f32_e32 v7, -0.5, v7
	v_lshrrev_b32_e32 v5, 4, v3
	v_cmp_gt_u32_e32 vcc_lo, 0x8000000, v3
	s_delay_alu instid0(VALU_DEP_2) | instskip(NEXT) | instid1(VALU_DEP_1)
	v_or_b32_e32 v5, 0x70000000, v5
	v_mul_f32_e32 v5, 0x7800000, v5
	s_delay_alu instid0(VALU_DEP_1) | instskip(NEXT) | instid1(VALU_DEP_1)
	v_cndmask_b32_e32 v3, v5, v7, vcc_lo
	v_and_or_b32 v1, 0x80000000, v1, v3
	s_delay_alu instid0(VALU_DEP_1) | instskip(NEXT) | instid1(VALU_DEP_1)
	v_trunc_f32_e32 v1, v1
	v_mul_f32_e64 v3, 0x2f800000, |v1|
	v_ashrrev_i32_e32 v36, 31, v1
	s_delay_alu instid0(VALU_DEP_2) | instskip(NEXT) | instid1(VALU_DEP_2)
	v_floor_f32_e32 v3, v3
	v_mov_b32_e32 v37, v36
	s_delay_alu instid0(VALU_DEP_2) | instskip(SKIP_1) | instid1(VALU_DEP_2)
	v_fma_f32 v5, 0xcf800000, v3, |v1|
	v_cvt_u32_f32_e32 v1, v3
	v_cvt_u32_f32_e32 v3, v5
	s_delay_alu instid0(VALU_DEP_2) | instskip(NEXT) | instid1(VALU_DEP_2)
	v_xor_b32_e32 v45, v1, v36
	v_xor_b32_e32 v44, v3, v36
	s_delay_alu instid0(VALU_DEP_1)
	v_sub_nc_u64_e32 v[36:37], v[44:45], v[36:37]
.LBB127_4093:
	s_mov_b32 s1, 0
	s_mov_b32 s9, -1
.LBB127_4094:
	s_and_not1_b32 vcc_lo, exec_lo, s1
	s_mov_b32 s1, 0
	s_cbranch_vccnz .LBB127_4105
; %bb.4095:
	s_cmp_gt_i32 s59, 14
	s_cbranch_scc0 .LBB127_4098
; %bb.4096:
	s_cmp_eq_u32 s59, 15
	s_cbranch_scc0 .LBB127_4101
; %bb.4097:
	global_load_u16 v1, v[42:43], off
	s_mov_b32 s0, 0
	s_mov_b32 s9, -1
	s_wait_loadcnt 0x0
	v_lshlrev_b32_e32 v1, 16, v1
	s_delay_alu instid0(VALU_DEP_1) | instskip(NEXT) | instid1(VALU_DEP_1)
	v_trunc_f32_e32 v1, v1
	v_mul_f32_e64 v3, 0x2f800000, |v1|
	v_ashrrev_i32_e32 v36, 31, v1
	s_delay_alu instid0(VALU_DEP_2) | instskip(NEXT) | instid1(VALU_DEP_2)
	v_floor_f32_e32 v3, v3
	v_mov_b32_e32 v37, v36
	s_delay_alu instid0(VALU_DEP_2) | instskip(SKIP_1) | instid1(VALU_DEP_2)
	v_fma_f32 v5, 0xcf800000, v3, |v1|
	v_cvt_u32_f32_e32 v1, v3
	v_cvt_u32_f32_e32 v3, v5
	s_delay_alu instid0(VALU_DEP_2) | instskip(NEXT) | instid1(VALU_DEP_2)
	v_xor_b32_e32 v45, v1, v36
	v_xor_b32_e32 v44, v3, v36
	s_delay_alu instid0(VALU_DEP_1)
	v_sub_nc_u64_e32 v[36:37], v[44:45], v[36:37]
	s_branch .LBB127_4103
.LBB127_4098:
	s_mov_b32 s1, -1
	s_branch .LBB127_4102
.LBB127_4099:
	s_and_not1_saveexec_b32 s1, s1
	s_cbranch_execz .LBB127_4080
.LBB127_4100:
	v_cmp_ne_u16_e32 vcc_lo, 0, v1
	s_and_not1_b32 s9, s9, exec_lo
	s_and_b32 s22, vcc_lo, exec_lo
	s_delay_alu instid0(SALU_CYCLE_1)
	s_or_b32 s9, s9, s22
	s_or_b32 exec_lo, exec_lo, s1
	v_mov_b64_e32 v[36:37], 0
	s_and_saveexec_b32 s1, s9
	s_cbranch_execnz .LBB127_4081
	s_branch .LBB127_4082
.LBB127_4101:
	s_mov_b32 s0, -1
.LBB127_4102:
                                        ; implicit-def: $vgpr36_vgpr37
.LBB127_4103:
	s_and_b32 vcc_lo, exec_lo, s1
	s_mov_b32 s1, 0
	s_cbranch_vccz .LBB127_4105
; %bb.4104:
	s_cmp_lg_u32 s59, 11
	s_mov_b32 s1, -1
	s_cselect_b32 s0, -1, 0
.LBB127_4105:
	s_delay_alu instid0(SALU_CYCLE_1)
	s_and_b32 vcc_lo, exec_lo, s0
	s_cbranch_vccnz .LBB127_4170
; %bb.4106:
	s_and_not1_b32 vcc_lo, exec_lo, s1
	s_cbranch_vccnz .LBB127_4108
.LBB127_4107:
	global_load_u8 v1, v[42:43], off
	s_mov_b32 s0, 0
	s_mov_b32 s9, -1
	s_wait_loadcnt 0x1
	v_mov_b32_e32 v37, s0
	s_wait_loadcnt 0x0
	v_cmp_ne_u16_e32 vcc_lo, 0, v1
	v_cndmask_b32_e64 v36, 0, 1, vcc_lo
.LBB127_4108:
	s_mov_b32 s0, 0
.LBB127_4109:
	s_delay_alu instid0(SALU_CYCLE_1)
	s_and_b32 vcc_lo, exec_lo, s0
	s_cbranch_vccz .LBB127_4158
; %bb.4110:
	s_cmp_lt_i32 s59, 5
	s_cbranch_scc1 .LBB127_4115
; %bb.4111:
	s_cmp_lt_i32 s59, 8
	s_cbranch_scc1 .LBB127_4116
	;; [unrolled: 3-line block ×3, first 2 shown]
; %bb.4113:
	s_cmp_gt_i32 s59, 9
	s_cbranch_scc0 .LBB127_4118
; %bb.4114:
	s_wait_loadcnt 0x0
	global_load_b64 v[36:37], v[42:43], off
	s_mov_b32 s0, 0
	s_wait_loadcnt 0x0
	v_trunc_f64_e32 v[36:37], v[36:37]
	s_delay_alu instid0(VALU_DEP_1) | instskip(NEXT) | instid1(VALU_DEP_1)
	v_ldexp_f64 v[44:45], v[36:37], 0xffffffe0
	v_floor_f64_e32 v[44:45], v[44:45]
	s_delay_alu instid0(VALU_DEP_1) | instskip(SKIP_1) | instid1(VALU_DEP_2)
	v_fmamk_f64 v[46:47], v[44:45], 0xc1f00000, v[36:37]
	v_cvt_i32_f64_e32 v37, v[44:45]
	v_cvt_u32_f64_e32 v36, v[46:47]
	s_branch .LBB127_4119
.LBB127_4115:
	s_mov_b32 s0, -1
                                        ; implicit-def: $vgpr36_vgpr37
	s_branch .LBB127_4137
.LBB127_4116:
	s_mov_b32 s0, -1
                                        ; implicit-def: $vgpr36_vgpr37
	s_branch .LBB127_4125
.LBB127_4117:
	s_mov_b32 s0, -1
                                        ; implicit-def: $vgpr36_vgpr37
	s_branch .LBB127_4122
.LBB127_4118:
	s_mov_b32 s0, -1
                                        ; implicit-def: $vgpr36_vgpr37
.LBB127_4119:
	s_delay_alu instid0(SALU_CYCLE_1)
	s_and_not1_b32 vcc_lo, exec_lo, s0
	s_cbranch_vccnz .LBB127_4121
; %bb.4120:
	global_load_b32 v1, v[42:43], off
	s_wait_loadcnt 0x0
	v_trunc_f32_e32 v1, v1
	s_delay_alu instid0(VALU_DEP_1) | instskip(SKIP_1) | instid1(VALU_DEP_2)
	v_mul_f32_e64 v3, 0x2f800000, |v1|
	v_ashrrev_i32_e32 v36, 31, v1
	v_floor_f32_e32 v3, v3
	s_delay_alu instid0(VALU_DEP_1) | instskip(SKIP_1) | instid1(VALU_DEP_4)
	v_fma_f32 v5, 0xcf800000, v3, |v1|
	v_cvt_u32_f32_e32 v1, v3
	v_mov_b32_e32 v37, v36
	s_delay_alu instid0(VALU_DEP_3) | instskip(NEXT) | instid1(VALU_DEP_3)
	v_cvt_u32_f32_e32 v3, v5
	v_xor_b32_e32 v45, v1, v36
	s_delay_alu instid0(VALU_DEP_2) | instskip(NEXT) | instid1(VALU_DEP_1)
	v_xor_b32_e32 v44, v3, v36
	v_sub_nc_u64_e32 v[36:37], v[44:45], v[36:37]
.LBB127_4121:
	s_mov_b32 s0, 0
.LBB127_4122:
	s_delay_alu instid0(SALU_CYCLE_1)
	s_and_not1_b32 vcc_lo, exec_lo, s0
	s_cbranch_vccnz .LBB127_4124
; %bb.4123:
	global_load_b32 v1, v[42:43], off
	s_wait_loadcnt 0x0
	v_cvt_f32_f16_e32 v1, v1
	s_delay_alu instid0(VALU_DEP_1) | instskip(NEXT) | instid1(VALU_DEP_1)
	v_cvt_i32_f32_e32 v36, v1
	v_ashrrev_i32_e32 v37, 31, v36
.LBB127_4124:
	s_mov_b32 s0, 0
.LBB127_4125:
	s_delay_alu instid0(SALU_CYCLE_1)
	s_and_not1_b32 vcc_lo, exec_lo, s0
	s_cbranch_vccnz .LBB127_4136
; %bb.4126:
	s_cmp_lt_i32 s59, 6
	s_cbranch_scc1 .LBB127_4129
; %bb.4127:
	s_cmp_gt_i32 s59, 6
	s_cbranch_scc0 .LBB127_4130
; %bb.4128:
	s_wait_loadcnt 0x0
	global_load_b64 v[36:37], v[42:43], off
	s_mov_b32 s0, 0
	s_wait_loadcnt 0x0
	v_trunc_f64_e32 v[36:37], v[36:37]
	s_delay_alu instid0(VALU_DEP_1) | instskip(NEXT) | instid1(VALU_DEP_1)
	v_ldexp_f64 v[44:45], v[36:37], 0xffffffe0
	v_floor_f64_e32 v[44:45], v[44:45]
	s_delay_alu instid0(VALU_DEP_1) | instskip(SKIP_1) | instid1(VALU_DEP_2)
	v_fmamk_f64 v[46:47], v[44:45], 0xc1f00000, v[36:37]
	v_cvt_i32_f64_e32 v37, v[44:45]
	v_cvt_u32_f64_e32 v36, v[46:47]
	s_branch .LBB127_4131
.LBB127_4129:
	s_mov_b32 s0, -1
                                        ; implicit-def: $vgpr36_vgpr37
	s_branch .LBB127_4134
.LBB127_4130:
	s_mov_b32 s0, -1
                                        ; implicit-def: $vgpr36_vgpr37
.LBB127_4131:
	s_delay_alu instid0(SALU_CYCLE_1)
	s_and_not1_b32 vcc_lo, exec_lo, s0
	s_cbranch_vccnz .LBB127_4133
; %bb.4132:
	global_load_b32 v1, v[42:43], off
	s_wait_loadcnt 0x0
	v_trunc_f32_e32 v1, v1
	s_delay_alu instid0(VALU_DEP_1) | instskip(SKIP_1) | instid1(VALU_DEP_2)
	v_mul_f32_e64 v3, 0x2f800000, |v1|
	v_ashrrev_i32_e32 v36, 31, v1
	v_floor_f32_e32 v3, v3
	s_delay_alu instid0(VALU_DEP_1) | instskip(SKIP_1) | instid1(VALU_DEP_4)
	v_fma_f32 v5, 0xcf800000, v3, |v1|
	v_cvt_u32_f32_e32 v1, v3
	v_mov_b32_e32 v37, v36
	s_delay_alu instid0(VALU_DEP_3) | instskip(NEXT) | instid1(VALU_DEP_3)
	v_cvt_u32_f32_e32 v3, v5
	v_xor_b32_e32 v45, v1, v36
	s_delay_alu instid0(VALU_DEP_2) | instskip(NEXT) | instid1(VALU_DEP_1)
	v_xor_b32_e32 v44, v3, v36
	v_sub_nc_u64_e32 v[36:37], v[44:45], v[36:37]
.LBB127_4133:
	s_mov_b32 s0, 0
.LBB127_4134:
	s_delay_alu instid0(SALU_CYCLE_1)
	s_and_not1_b32 vcc_lo, exec_lo, s0
	s_cbranch_vccnz .LBB127_4136
; %bb.4135:
	global_load_u16 v1, v[42:43], off
	s_wait_loadcnt 0x0
	v_cvt_f32_f16_e32 v1, v1
	s_delay_alu instid0(VALU_DEP_1) | instskip(NEXT) | instid1(VALU_DEP_1)
	v_cvt_i32_f32_e32 v36, v1
	v_ashrrev_i32_e32 v37, 31, v36
.LBB127_4136:
	s_mov_b32 s0, 0
.LBB127_4137:
	s_delay_alu instid0(SALU_CYCLE_1)
	s_and_not1_b32 vcc_lo, exec_lo, s0
	s_cbranch_vccnz .LBB127_4157
; %bb.4138:
	s_cmp_lt_i32 s59, 2
	s_cbranch_scc1 .LBB127_4142
; %bb.4139:
	s_cmp_lt_i32 s59, 3
	s_cbranch_scc1 .LBB127_4143
; %bb.4140:
	s_cmp_gt_i32 s59, 3
	s_cbranch_scc0 .LBB127_4144
; %bb.4141:
	s_wait_loadcnt 0x0
	global_load_b64 v[36:37], v[42:43], off
	s_mov_b32 s0, 0
	s_branch .LBB127_4145
.LBB127_4142:
	s_mov_b32 s0, -1
                                        ; implicit-def: $vgpr36_vgpr37
	s_branch .LBB127_4151
.LBB127_4143:
	s_mov_b32 s0, -1
                                        ; implicit-def: $vgpr36_vgpr37
	s_branch .LBB127_4148
.LBB127_4144:
	s_mov_b32 s0, -1
                                        ; implicit-def: $vgpr36_vgpr37
.LBB127_4145:
	s_delay_alu instid0(SALU_CYCLE_1)
	s_and_not1_b32 vcc_lo, exec_lo, s0
	s_cbranch_vccnz .LBB127_4147
; %bb.4146:
	s_wait_loadcnt 0x0
	global_load_b32 v36, v[42:43], off
	s_wait_loadcnt 0x0
	v_ashrrev_i32_e32 v37, 31, v36
.LBB127_4147:
	s_mov_b32 s0, 0
.LBB127_4148:
	s_delay_alu instid0(SALU_CYCLE_1)
	s_and_not1_b32 vcc_lo, exec_lo, s0
	s_cbranch_vccnz .LBB127_4150
; %bb.4149:
	global_load_u16 v1, v[42:43], off
	s_wait_loadcnt 0x0
	v_bfe_i32 v36, v1, 0, 16
	s_delay_alu instid0(VALU_DEP_1)
	v_ashrrev_i32_e32 v37, 31, v36
.LBB127_4150:
	s_mov_b32 s0, 0
.LBB127_4151:
	s_delay_alu instid0(SALU_CYCLE_1)
	s_and_not1_b32 vcc_lo, exec_lo, s0
	s_cbranch_vccnz .LBB127_4157
; %bb.4152:
	s_cmp_gt_i32 s59, 0
	s_mov_b32 s0, 0
	s_cbranch_scc0 .LBB127_4154
; %bb.4153:
	global_load_i8 v1, v[42:43], off
	s_wait_loadcnt 0x0
	v_bfe_i32 v36, v1, 0, 16
	s_delay_alu instid0(VALU_DEP_1)
	v_ashrrev_i32_e32 v37, 31, v36
	s_branch .LBB127_4155
.LBB127_4154:
	s_mov_b32 s0, -1
                                        ; implicit-def: $vgpr36_vgpr37
.LBB127_4155:
	s_delay_alu instid0(SALU_CYCLE_1)
	s_and_not1_b32 vcc_lo, exec_lo, s0
	s_cbranch_vccnz .LBB127_4157
; %bb.4156:
	global_load_u8 v1, v[42:43], off
	s_mov_b32 s0, 0
	s_wait_loadcnt 0x1
	v_mov_b32_e32 v37, s0
	s_wait_loadcnt 0x0
	v_and_b32_e32 v36, 0xffff, v1
.LBB127_4157:
	s_mov_b32 s9, -1
.LBB127_4158:
	s_delay_alu instid0(SALU_CYCLE_1)
	s_and_not1_b32 vcc_lo, exec_lo, s9
	s_cbranch_vccnz .LBB127_4424
; %bb.4159:
	v_mov_b32_e32 v35, 0
	s_and_b32 s60, 0xffff, s50
	s_delay_alu instid0(SALU_CYCLE_1) | instskip(SKIP_1) | instid1(VALU_DEP_1)
	s_cmp_lt_i32 s60, 11
	s_wait_xcnt 0x0
	v_add_nc_u64_e32 v[42:43], s[14:15], v[34:35]
	s_cbranch_scc1 .LBB127_4166
; %bb.4160:
	s_cmp_gt_i32 s60, 25
	s_mov_b32 s1, 0
	s_cbranch_scc0 .LBB127_4167
; %bb.4161:
	s_cmp_gt_i32 s60, 28
	s_cbranch_scc0 .LBB127_4168
; %bb.4162:
	s_cmp_gt_i32 s60, 43
	;; [unrolled: 3-line block ×3, first 2 shown]
	s_cbranch_scc0 .LBB127_4171
; %bb.4164:
	s_cmp_eq_u32 s60, 46
	s_mov_b32 s22, 0
	s_cbranch_scc0 .LBB127_4174
; %bb.4165:
	global_load_b32 v1, v[42:43], off
	s_mov_b32 s0, 0
	s_mov_b32 s9, -1
	s_wait_loadcnt 0x0
	v_lshlrev_b32_e32 v1, 16, v1
	s_delay_alu instid0(VALU_DEP_1) | instskip(NEXT) | instid1(VALU_DEP_1)
	v_trunc_f32_e32 v1, v1
	v_mul_f32_e64 v3, 0x2f800000, |v1|
	v_ashrrev_i32_e32 v34, 31, v1
	s_delay_alu instid0(VALU_DEP_2) | instskip(NEXT) | instid1(VALU_DEP_2)
	v_floor_f32_e32 v3, v3
	v_mov_b32_e32 v35, v34
	s_delay_alu instid0(VALU_DEP_2) | instskip(SKIP_1) | instid1(VALU_DEP_2)
	v_fma_f32 v5, 0xcf800000, v3, |v1|
	v_cvt_u32_f32_e32 v1, v3
	v_cvt_u32_f32_e32 v3, v5
	s_delay_alu instid0(VALU_DEP_2) | instskip(NEXT) | instid1(VALU_DEP_2)
	v_xor_b32_e32 v45, v1, v34
	v_xor_b32_e32 v44, v3, v34
	s_delay_alu instid0(VALU_DEP_1)
	v_sub_nc_u64_e32 v[34:35], v[44:45], v[34:35]
	s_branch .LBB127_4176
.LBB127_4166:
	s_mov_b32 s0, -1
	s_mov_b32 s9, 0
                                        ; implicit-def: $vgpr34_vgpr35
	s_branch .LBB127_4238
.LBB127_4167:
	s_mov_b32 s22, -1
	s_mov_b32 s9, 0
	s_mov_b32 s0, 0
                                        ; implicit-def: $vgpr34_vgpr35
	s_branch .LBB127_4203
.LBB127_4168:
	s_mov_b32 s22, -1
	s_mov_b32 s9, 0
	s_mov_b32 s0, 0
                                        ; implicit-def: $vgpr34_vgpr35
	s_branch .LBB127_4186
.LBB127_4169:
	s_mov_b32 s22, -1
	s_mov_b32 s9, 0
	s_mov_b32 s0, 0
                                        ; implicit-def: $vgpr34_vgpr35
	s_branch .LBB127_4181
.LBB127_4170:
	s_or_b32 s45, s45, exec_lo
	s_trap 2
	s_cbranch_execz .LBB127_4107
	s_branch .LBB127_4108
.LBB127_4171:
	s_mov_b32 s22, -1
	s_mov_b32 s9, 0
	s_mov_b32 s0, 0
	s_branch .LBB127_4175
.LBB127_4172:
	s_or_b32 s41, s39, exec_lo
	s_trap 2
                                        ; implicit-def: $vgpr6
                                        ; implicit-def: $vgpr34
                                        ; implicit-def: $vgpr32
                                        ; implicit-def: $vgpr38
                                        ; implicit-def: $vgpr36
                                        ; implicit-def: $vgpr4
                                        ; implicit-def: $vgpr40
                                        ; implicit-def: $vgpr24
                                        ; implicit-def: $vgpr22
                                        ; implicit-def: $vgpr28
                                        ; implicit-def: $vgpr26
                                        ; implicit-def: $vgpr2
                                        ; implicit-def: $vgpr30
                                        ; implicit-def: $vgpr14
                                        ; implicit-def: $vgpr10
                                        ; implicit-def: $vgpr18
                                        ; implicit-def: $vgpr16
                                        ; implicit-def: $vgpr0
                                        ; implicit-def: $vgpr20
                                        ; implicit-def: $vgpr8_vgpr9
                                        ; implicit-def: $vgpr12_vgpr13
                                        ; implicit-def: $vgpr46_vgpr47
                                        ; implicit-def: $vgpr44_vgpr45
                                        ; implicit-def: $vgpr48_vgpr49
	s_branch .LBB127_2646
.LBB127_4173:
	s_or_b32 exec_lo, exec_lo, s95
	s_branch .LBB127_803
.LBB127_4174:
	s_mov_b32 s0, -1
	s_mov_b32 s9, 0
.LBB127_4175:
                                        ; implicit-def: $vgpr34_vgpr35
.LBB127_4176:
	s_and_b32 vcc_lo, exec_lo, s22
	s_cbranch_vccz .LBB127_4180
; %bb.4177:
	s_cmp_eq_u32 s60, 44
	s_cbranch_scc0 .LBB127_4179
; %bb.4178:
	global_load_u8 v1, v[42:43], off
	s_mov_b32 s0, 0
	s_mov_b32 s9, -1
	s_wait_loadcnt 0x0
	v_lshlrev_b32_e32 v3, 23, v1
	v_cmp_ne_u32_e32 vcc_lo, 0, v1
	s_delay_alu instid0(VALU_DEP_2) | instskip(NEXT) | instid1(VALU_DEP_1)
	v_trunc_f32_e32 v3, v3
	v_mul_f32_e64 v5, 0x2f800000, |v3|
	v_ashrrev_i32_e32 v34, 31, v3
	s_delay_alu instid0(VALU_DEP_2) | instskip(NEXT) | instid1(VALU_DEP_2)
	v_floor_f32_e32 v5, v5
	v_mov_b32_e32 v35, v34
	s_delay_alu instid0(VALU_DEP_2) | instskip(SKIP_1) | instid1(VALU_DEP_2)
	v_fma_f32 v7, 0xcf800000, v5, |v3|
	v_cvt_u32_f32_e32 v3, v5
	v_cvt_u32_f32_e32 v5, v7
	s_delay_alu instid0(VALU_DEP_2) | instskip(NEXT) | instid1(VALU_DEP_2)
	v_xor_b32_e32 v45, v3, v34
	v_xor_b32_e32 v44, v5, v34
	s_delay_alu instid0(VALU_DEP_1) | instskip(NEXT) | instid1(VALU_DEP_1)
	v_sub_nc_u64_e32 v[34:35], v[44:45], v[34:35]
	v_dual_cndmask_b32 v35, 0, v35 :: v_dual_cndmask_b32 v34, 0, v34
	s_branch .LBB127_4180
.LBB127_4179:
	s_mov_b32 s0, -1
                                        ; implicit-def: $vgpr34_vgpr35
.LBB127_4180:
	s_mov_b32 s22, 0
.LBB127_4181:
	s_delay_alu instid0(SALU_CYCLE_1)
	s_and_b32 vcc_lo, exec_lo, s22
	s_cbranch_vccz .LBB127_4185
; %bb.4182:
	s_cmp_eq_u32 s60, 29
	s_cbranch_scc0 .LBB127_4184
; %bb.4183:
	global_load_b64 v[34:35], v[42:43], off
	s_mov_b32 s0, 0
	s_mov_b32 s9, -1
	s_branch .LBB127_4185
.LBB127_4184:
	s_mov_b32 s0, -1
                                        ; implicit-def: $vgpr34_vgpr35
.LBB127_4185:
	s_mov_b32 s22, 0
.LBB127_4186:
	s_delay_alu instid0(SALU_CYCLE_1)
	s_and_b32 vcc_lo, exec_lo, s22
	s_cbranch_vccz .LBB127_4202
; %bb.4187:
	s_cmp_lt_i32 s60, 27
	s_cbranch_scc1 .LBB127_4190
; %bb.4188:
	s_cmp_gt_i32 s60, 27
	s_cbranch_scc0 .LBB127_4191
; %bb.4189:
	s_wait_loadcnt 0x0
	global_load_b32 v34, v[42:43], off
	v_mov_b32_e32 v35, 0
	s_mov_b32 s9, 0
	s_branch .LBB127_4192
.LBB127_4190:
	s_mov_b32 s9, -1
                                        ; implicit-def: $vgpr34_vgpr35
	s_branch .LBB127_4195
.LBB127_4191:
	s_mov_b32 s9, -1
                                        ; implicit-def: $vgpr34_vgpr35
.LBB127_4192:
	s_delay_alu instid0(SALU_CYCLE_1)
	s_and_not1_b32 vcc_lo, exec_lo, s9
	s_cbranch_vccnz .LBB127_4194
; %bb.4193:
	global_load_u16 v1, v[42:43], off
	s_mov_b32 s9, 0
	s_wait_loadcnt 0x1
	v_mov_b32_e32 v35, s9
	s_wait_loadcnt 0x0
	v_and_b32_e32 v34, 0xffff, v1
.LBB127_4194:
	s_mov_b32 s9, 0
.LBB127_4195:
	s_delay_alu instid0(SALU_CYCLE_1)
	s_and_not1_b32 vcc_lo, exec_lo, s9
	s_cbranch_vccnz .LBB127_4201
; %bb.4196:
	global_load_u8 v1, v[42:43], off
	s_mov_b32 s22, 0
	s_mov_b32 s9, exec_lo
	s_wait_loadcnt 0x0
	v_cmpx_lt_i16_e32 0x7f, v1
	s_xor_b32 s9, exec_lo, s9
	s_cbranch_execz .LBB127_4213
; %bb.4197:
	v_cmp_ne_u16_e32 vcc_lo, 0x80, v1
	s_and_b32 s22, vcc_lo, exec_lo
	s_and_not1_saveexec_b32 s9, s9
	s_cbranch_execnz .LBB127_4214
.LBB127_4198:
	s_or_b32 exec_lo, exec_lo, s9
	v_mov_b64_e32 v[34:35], 0
	s_and_saveexec_b32 s9, s22
	s_cbranch_execz .LBB127_4200
.LBB127_4199:
	v_and_b32_e32 v3, 0xffff, v1
	s_delay_alu instid0(VALU_DEP_1) | instskip(SKIP_1) | instid1(VALU_DEP_2)
	v_dual_lshlrev_b32 v1, 24, v1 :: v_dual_bitop2_b32 v5, 7, v3 bitop3:0x40
	v_bfe_u32 v15, v3, 3, 4
	v_and_b32_e32 v1, 0x80000000, v1
	s_delay_alu instid0(VALU_DEP_3) | instskip(NEXT) | instid1(VALU_DEP_3)
	v_clz_i32_u32_e32 v7, v5
	v_cmp_eq_u32_e32 vcc_lo, 0, v15
	s_delay_alu instid0(VALU_DEP_2) | instskip(NEXT) | instid1(VALU_DEP_1)
	v_min_u32_e32 v7, 32, v7
	v_subrev_nc_u32_e32 v11, 28, v7
	v_sub_nc_u32_e32 v7, 29, v7
	s_delay_alu instid0(VALU_DEP_2) | instskip(NEXT) | instid1(VALU_DEP_2)
	v_lshlrev_b32_e32 v3, v11, v3
	v_cndmask_b32_e32 v7, v15, v7, vcc_lo
	s_delay_alu instid0(VALU_DEP_2) | instskip(NEXT) | instid1(VALU_DEP_1)
	v_and_b32_e32 v3, 7, v3
	v_cndmask_b32_e32 v3, v5, v3, vcc_lo
	s_delay_alu instid0(VALU_DEP_3) | instskip(NEXT) | instid1(VALU_DEP_2)
	v_lshl_add_u32 v5, v7, 23, 0x3b800000
	v_lshlrev_b32_e32 v3, 20, v3
	s_delay_alu instid0(VALU_DEP_1) | instskip(NEXT) | instid1(VALU_DEP_1)
	v_or3_b32 v1, v1, v5, v3
	v_trunc_f32_e32 v1, v1
	s_delay_alu instid0(VALU_DEP_1) | instskip(SKIP_1) | instid1(VALU_DEP_2)
	v_mul_f32_e64 v3, 0x2f800000, |v1|
	v_ashrrev_i32_e32 v34, 31, v1
	v_floor_f32_e32 v3, v3
	s_delay_alu instid0(VALU_DEP_2) | instskip(NEXT) | instid1(VALU_DEP_2)
	v_mov_b32_e32 v35, v34
	v_fma_f32 v5, 0xcf800000, v3, |v1|
	v_cvt_u32_f32_e32 v1, v3
	s_delay_alu instid0(VALU_DEP_2) | instskip(NEXT) | instid1(VALU_DEP_2)
	v_cvt_u32_f32_e32 v3, v5
	v_xor_b32_e32 v45, v1, v34
	s_delay_alu instid0(VALU_DEP_2) | instskip(NEXT) | instid1(VALU_DEP_1)
	v_xor_b32_e32 v44, v3, v34
	v_sub_nc_u64_e32 v[34:35], v[44:45], v[34:35]
.LBB127_4200:
	s_or_b32 exec_lo, exec_lo, s9
.LBB127_4201:
	s_mov_b32 s9, -1
.LBB127_4202:
	s_mov_b32 s22, 0
.LBB127_4203:
	s_delay_alu instid0(SALU_CYCLE_1)
	s_and_b32 vcc_lo, exec_lo, s22
	s_cbranch_vccz .LBB127_4234
; %bb.4204:
	s_cmp_gt_i32 s60, 22
	s_cbranch_scc0 .LBB127_4212
; %bb.4205:
	s_cmp_lt_i32 s60, 24
	s_cbranch_scc1 .LBB127_4215
; %bb.4206:
	s_cmp_gt_i32 s60, 24
	s_cbranch_scc0 .LBB127_4216
; %bb.4207:
	global_load_u8 v1, v[42:43], off
	s_mov_b32 s9, 0
	s_mov_b32 s1, exec_lo
	s_wait_loadcnt 0x0
	v_cmpx_lt_i16_e32 0x7f, v1
	s_xor_b32 s1, exec_lo, s1
	s_cbranch_execz .LBB127_4228
; %bb.4208:
	v_cmp_ne_u16_e32 vcc_lo, 0x80, v1
	s_and_b32 s9, vcc_lo, exec_lo
	s_and_not1_saveexec_b32 s1, s1
	s_cbranch_execnz .LBB127_4229
.LBB127_4209:
	s_or_b32 exec_lo, exec_lo, s1
	v_mov_b64_e32 v[34:35], 0
	s_and_saveexec_b32 s1, s9
	s_cbranch_execz .LBB127_4211
.LBB127_4210:
	v_and_b32_e32 v3, 0xffff, v1
	s_delay_alu instid0(VALU_DEP_1) | instskip(SKIP_1) | instid1(VALU_DEP_2)
	v_dual_lshlrev_b32 v1, 24, v1 :: v_dual_bitop2_b32 v5, 3, v3 bitop3:0x40
	v_bfe_u32 v15, v3, 2, 5
	v_and_b32_e32 v1, 0x80000000, v1
	s_delay_alu instid0(VALU_DEP_3) | instskip(NEXT) | instid1(VALU_DEP_3)
	v_clz_i32_u32_e32 v7, v5
	v_cmp_eq_u32_e32 vcc_lo, 0, v15
	s_delay_alu instid0(VALU_DEP_2) | instskip(NEXT) | instid1(VALU_DEP_1)
	v_min_u32_e32 v7, 32, v7
	v_subrev_nc_u32_e32 v11, 29, v7
	v_sub_nc_u32_e32 v7, 30, v7
	s_delay_alu instid0(VALU_DEP_2) | instskip(NEXT) | instid1(VALU_DEP_2)
	v_lshlrev_b32_e32 v3, v11, v3
	v_cndmask_b32_e32 v7, v15, v7, vcc_lo
	s_delay_alu instid0(VALU_DEP_2) | instskip(NEXT) | instid1(VALU_DEP_1)
	v_and_b32_e32 v3, 3, v3
	v_cndmask_b32_e32 v3, v5, v3, vcc_lo
	s_delay_alu instid0(VALU_DEP_3) | instskip(NEXT) | instid1(VALU_DEP_2)
	v_lshl_add_u32 v5, v7, 23, 0x37800000
	v_lshlrev_b32_e32 v3, 21, v3
	s_delay_alu instid0(VALU_DEP_1) | instskip(NEXT) | instid1(VALU_DEP_1)
	v_or3_b32 v1, v1, v5, v3
	v_trunc_f32_e32 v1, v1
	s_delay_alu instid0(VALU_DEP_1) | instskip(SKIP_1) | instid1(VALU_DEP_2)
	v_mul_f32_e64 v3, 0x2f800000, |v1|
	v_ashrrev_i32_e32 v34, 31, v1
	v_floor_f32_e32 v3, v3
	s_delay_alu instid0(VALU_DEP_2) | instskip(NEXT) | instid1(VALU_DEP_2)
	v_mov_b32_e32 v35, v34
	v_fma_f32 v5, 0xcf800000, v3, |v1|
	v_cvt_u32_f32_e32 v1, v3
	s_delay_alu instid0(VALU_DEP_2) | instskip(NEXT) | instid1(VALU_DEP_2)
	v_cvt_u32_f32_e32 v3, v5
	v_xor_b32_e32 v45, v1, v34
	s_delay_alu instid0(VALU_DEP_2) | instskip(NEXT) | instid1(VALU_DEP_1)
	v_xor_b32_e32 v44, v3, v34
	v_sub_nc_u64_e32 v[34:35], v[44:45], v[34:35]
.LBB127_4211:
	s_or_b32 exec_lo, exec_lo, s1
	s_mov_b32 s1, 0
	s_branch .LBB127_4217
.LBB127_4212:
	s_mov_b32 s1, -1
                                        ; implicit-def: $vgpr34_vgpr35
	s_branch .LBB127_4223
.LBB127_4213:
	s_and_not1_saveexec_b32 s9, s9
	s_cbranch_execz .LBB127_4198
.LBB127_4214:
	v_cmp_ne_u16_e32 vcc_lo, 0, v1
	s_and_not1_b32 s22, s22, exec_lo
	s_and_b32 s23, vcc_lo, exec_lo
	s_delay_alu instid0(SALU_CYCLE_1)
	s_or_b32 s22, s22, s23
	s_or_b32 exec_lo, exec_lo, s9
	v_mov_b64_e32 v[34:35], 0
	s_and_saveexec_b32 s9, s22
	s_cbranch_execnz .LBB127_4199
	s_branch .LBB127_4200
.LBB127_4215:
	s_mov_b32 s1, -1
                                        ; implicit-def: $vgpr34_vgpr35
	s_branch .LBB127_4220
.LBB127_4216:
	s_mov_b32 s1, -1
                                        ; implicit-def: $vgpr34_vgpr35
.LBB127_4217:
	s_delay_alu instid0(SALU_CYCLE_1)
	s_and_b32 vcc_lo, exec_lo, s1
	s_cbranch_vccz .LBB127_4219
; %bb.4218:
	global_load_u8 v1, v[42:43], off
	s_wait_loadcnt 0x0
	v_lshlrev_b32_e32 v1, 24, v1
	s_delay_alu instid0(VALU_DEP_1) | instskip(NEXT) | instid1(VALU_DEP_1)
	v_and_b32_e32 v3, 0x7f000000, v1
	v_clz_i32_u32_e32 v5, v3
	v_add_nc_u32_e32 v11, 0x1000000, v3
	v_cmp_ne_u32_e32 vcc_lo, 0, v3
	s_delay_alu instid0(VALU_DEP_3) | instskip(NEXT) | instid1(VALU_DEP_1)
	v_min_u32_e32 v5, 32, v5
	v_sub_nc_u32_e64 v5, v5, 4 clamp
	s_delay_alu instid0(VALU_DEP_1) | instskip(NEXT) | instid1(VALU_DEP_1)
	v_dual_lshlrev_b32 v7, v5, v3 :: v_dual_lshlrev_b32 v5, 23, v5
	v_lshrrev_b32_e32 v7, 4, v7
	s_delay_alu instid0(VALU_DEP_1) | instskip(NEXT) | instid1(VALU_DEP_1)
	v_dual_sub_nc_u32 v5, v7, v5 :: v_dual_ashrrev_i32 v7, 8, v11
	v_add_nc_u32_e32 v5, 0x3c000000, v5
	s_delay_alu instid0(VALU_DEP_1) | instskip(NEXT) | instid1(VALU_DEP_1)
	v_and_or_b32 v5, 0x7f800000, v7, v5
	v_cndmask_b32_e32 v3, 0, v5, vcc_lo
	s_delay_alu instid0(VALU_DEP_1) | instskip(NEXT) | instid1(VALU_DEP_1)
	v_and_or_b32 v1, 0x80000000, v1, v3
	v_trunc_f32_e32 v1, v1
	s_delay_alu instid0(VALU_DEP_1) | instskip(SKIP_1) | instid1(VALU_DEP_2)
	v_mul_f32_e64 v3, 0x2f800000, |v1|
	v_ashrrev_i32_e32 v34, 31, v1
	v_floor_f32_e32 v3, v3
	s_delay_alu instid0(VALU_DEP_2) | instskip(NEXT) | instid1(VALU_DEP_2)
	v_mov_b32_e32 v35, v34
	v_fma_f32 v5, 0xcf800000, v3, |v1|
	v_cvt_u32_f32_e32 v1, v3
	s_delay_alu instid0(VALU_DEP_2) | instskip(NEXT) | instid1(VALU_DEP_2)
	v_cvt_u32_f32_e32 v3, v5
	v_xor_b32_e32 v45, v1, v34
	s_delay_alu instid0(VALU_DEP_2) | instskip(NEXT) | instid1(VALU_DEP_1)
	v_xor_b32_e32 v44, v3, v34
	v_sub_nc_u64_e32 v[34:35], v[44:45], v[34:35]
.LBB127_4219:
	s_mov_b32 s1, 0
.LBB127_4220:
	s_delay_alu instid0(SALU_CYCLE_1)
	s_and_not1_b32 vcc_lo, exec_lo, s1
	s_cbranch_vccnz .LBB127_4222
; %bb.4221:
	global_load_u8 v1, v[42:43], off
	s_wait_loadcnt 0x0
	v_lshlrev_b32_e32 v3, 25, v1
	v_lshlrev_b16 v1, 8, v1
	s_delay_alu instid0(VALU_DEP_1) | instskip(SKIP_1) | instid1(VALU_DEP_2)
	v_and_or_b32 v7, 0x7f00, v1, 0.5
	v_bfe_i32 v1, v1, 0, 16
	v_add_f32_e32 v7, -0.5, v7
	v_lshrrev_b32_e32 v5, 4, v3
	v_cmp_gt_u32_e32 vcc_lo, 0x8000000, v3
	s_delay_alu instid0(VALU_DEP_2) | instskip(NEXT) | instid1(VALU_DEP_1)
	v_or_b32_e32 v5, 0x70000000, v5
	v_mul_f32_e32 v5, 0x7800000, v5
	s_delay_alu instid0(VALU_DEP_1) | instskip(NEXT) | instid1(VALU_DEP_1)
	v_cndmask_b32_e32 v3, v5, v7, vcc_lo
	v_and_or_b32 v1, 0x80000000, v1, v3
	s_delay_alu instid0(VALU_DEP_1) | instskip(NEXT) | instid1(VALU_DEP_1)
	v_trunc_f32_e32 v1, v1
	v_mul_f32_e64 v3, 0x2f800000, |v1|
	v_ashrrev_i32_e32 v34, 31, v1
	s_delay_alu instid0(VALU_DEP_2) | instskip(NEXT) | instid1(VALU_DEP_2)
	v_floor_f32_e32 v3, v3
	v_mov_b32_e32 v35, v34
	s_delay_alu instid0(VALU_DEP_2) | instskip(SKIP_1) | instid1(VALU_DEP_2)
	v_fma_f32 v5, 0xcf800000, v3, |v1|
	v_cvt_u32_f32_e32 v1, v3
	v_cvt_u32_f32_e32 v3, v5
	s_delay_alu instid0(VALU_DEP_2) | instskip(NEXT) | instid1(VALU_DEP_2)
	v_xor_b32_e32 v45, v1, v34
	v_xor_b32_e32 v44, v3, v34
	s_delay_alu instid0(VALU_DEP_1)
	v_sub_nc_u64_e32 v[34:35], v[44:45], v[34:35]
.LBB127_4222:
	s_mov_b32 s1, 0
	s_mov_b32 s9, -1
.LBB127_4223:
	s_and_not1_b32 vcc_lo, exec_lo, s1
	s_mov_b32 s1, 0
	s_cbranch_vccnz .LBB127_4234
; %bb.4224:
	s_cmp_gt_i32 s60, 14
	s_cbranch_scc0 .LBB127_4227
; %bb.4225:
	s_cmp_eq_u32 s60, 15
	s_cbranch_scc0 .LBB127_4230
; %bb.4226:
	global_load_u16 v1, v[42:43], off
	s_mov_b32 s0, 0
	s_mov_b32 s9, -1
	s_wait_loadcnt 0x0
	v_lshlrev_b32_e32 v1, 16, v1
	s_delay_alu instid0(VALU_DEP_1) | instskip(NEXT) | instid1(VALU_DEP_1)
	v_trunc_f32_e32 v1, v1
	v_mul_f32_e64 v3, 0x2f800000, |v1|
	v_ashrrev_i32_e32 v34, 31, v1
	s_delay_alu instid0(VALU_DEP_2) | instskip(NEXT) | instid1(VALU_DEP_2)
	v_floor_f32_e32 v3, v3
	v_mov_b32_e32 v35, v34
	s_delay_alu instid0(VALU_DEP_2) | instskip(SKIP_1) | instid1(VALU_DEP_2)
	v_fma_f32 v5, 0xcf800000, v3, |v1|
	v_cvt_u32_f32_e32 v1, v3
	v_cvt_u32_f32_e32 v3, v5
	s_delay_alu instid0(VALU_DEP_2) | instskip(NEXT) | instid1(VALU_DEP_2)
	v_xor_b32_e32 v45, v1, v34
	v_xor_b32_e32 v44, v3, v34
	s_delay_alu instid0(VALU_DEP_1)
	v_sub_nc_u64_e32 v[34:35], v[44:45], v[34:35]
	s_branch .LBB127_4232
.LBB127_4227:
	s_mov_b32 s1, -1
	s_branch .LBB127_4231
.LBB127_4228:
	s_and_not1_saveexec_b32 s1, s1
	s_cbranch_execz .LBB127_4209
.LBB127_4229:
	v_cmp_ne_u16_e32 vcc_lo, 0, v1
	s_and_not1_b32 s9, s9, exec_lo
	s_and_b32 s22, vcc_lo, exec_lo
	s_delay_alu instid0(SALU_CYCLE_1)
	s_or_b32 s9, s9, s22
	s_or_b32 exec_lo, exec_lo, s1
	v_mov_b64_e32 v[34:35], 0
	s_and_saveexec_b32 s1, s9
	s_cbranch_execnz .LBB127_4210
	s_branch .LBB127_4211
.LBB127_4230:
	s_mov_b32 s0, -1
.LBB127_4231:
                                        ; implicit-def: $vgpr34_vgpr35
.LBB127_4232:
	s_and_b32 vcc_lo, exec_lo, s1
	s_mov_b32 s1, 0
	s_cbranch_vccz .LBB127_4234
; %bb.4233:
	s_cmp_lg_u32 s60, 11
	s_mov_b32 s1, -1
	s_cselect_b32 s0, -1, 0
.LBB127_4234:
	s_delay_alu instid0(SALU_CYCLE_1)
	s_and_b32 vcc_lo, exec_lo, s0
	s_cbranch_vccnz .LBB127_4299
; %bb.4235:
	s_and_not1_b32 vcc_lo, exec_lo, s1
	s_cbranch_vccnz .LBB127_4237
.LBB127_4236:
	global_load_u8 v1, v[42:43], off
	s_mov_b32 s0, 0
	s_mov_b32 s9, -1
	s_wait_loadcnt 0x1
	v_mov_b32_e32 v35, s0
	s_wait_loadcnt 0x0
	v_cmp_ne_u16_e32 vcc_lo, 0, v1
	v_cndmask_b32_e64 v34, 0, 1, vcc_lo
.LBB127_4237:
	s_mov_b32 s0, 0
.LBB127_4238:
	s_delay_alu instid0(SALU_CYCLE_1)
	s_and_b32 vcc_lo, exec_lo, s0
	s_cbranch_vccz .LBB127_4287
; %bb.4239:
	s_cmp_lt_i32 s60, 5
	s_cbranch_scc1 .LBB127_4244
; %bb.4240:
	s_cmp_lt_i32 s60, 8
	s_cbranch_scc1 .LBB127_4245
	;; [unrolled: 3-line block ×3, first 2 shown]
; %bb.4242:
	s_cmp_gt_i32 s60, 9
	s_cbranch_scc0 .LBB127_4247
; %bb.4243:
	s_wait_loadcnt 0x0
	global_load_b64 v[34:35], v[42:43], off
	s_mov_b32 s0, 0
	s_wait_loadcnt 0x0
	v_trunc_f64_e32 v[34:35], v[34:35]
	s_delay_alu instid0(VALU_DEP_1) | instskip(NEXT) | instid1(VALU_DEP_1)
	v_ldexp_f64 v[44:45], v[34:35], 0xffffffe0
	v_floor_f64_e32 v[44:45], v[44:45]
	s_delay_alu instid0(VALU_DEP_1) | instskip(SKIP_1) | instid1(VALU_DEP_2)
	v_fmamk_f64 v[46:47], v[44:45], 0xc1f00000, v[34:35]
	v_cvt_i32_f64_e32 v35, v[44:45]
	v_cvt_u32_f64_e32 v34, v[46:47]
	s_branch .LBB127_4248
.LBB127_4244:
	s_mov_b32 s0, -1
                                        ; implicit-def: $vgpr34_vgpr35
	s_branch .LBB127_4266
.LBB127_4245:
	s_mov_b32 s0, -1
                                        ; implicit-def: $vgpr34_vgpr35
	s_branch .LBB127_4254
.LBB127_4246:
	s_mov_b32 s0, -1
                                        ; implicit-def: $vgpr34_vgpr35
	s_branch .LBB127_4251
.LBB127_4247:
	s_mov_b32 s0, -1
                                        ; implicit-def: $vgpr34_vgpr35
.LBB127_4248:
	s_delay_alu instid0(SALU_CYCLE_1)
	s_and_not1_b32 vcc_lo, exec_lo, s0
	s_cbranch_vccnz .LBB127_4250
; %bb.4249:
	global_load_b32 v1, v[42:43], off
	s_wait_loadcnt 0x0
	v_trunc_f32_e32 v1, v1
	s_delay_alu instid0(VALU_DEP_1) | instskip(SKIP_1) | instid1(VALU_DEP_2)
	v_mul_f32_e64 v3, 0x2f800000, |v1|
	v_ashrrev_i32_e32 v34, 31, v1
	v_floor_f32_e32 v3, v3
	s_delay_alu instid0(VALU_DEP_1) | instskip(SKIP_1) | instid1(VALU_DEP_4)
	v_fma_f32 v5, 0xcf800000, v3, |v1|
	v_cvt_u32_f32_e32 v1, v3
	v_mov_b32_e32 v35, v34
	s_delay_alu instid0(VALU_DEP_3) | instskip(NEXT) | instid1(VALU_DEP_3)
	v_cvt_u32_f32_e32 v3, v5
	v_xor_b32_e32 v45, v1, v34
	s_delay_alu instid0(VALU_DEP_2) | instskip(NEXT) | instid1(VALU_DEP_1)
	v_xor_b32_e32 v44, v3, v34
	v_sub_nc_u64_e32 v[34:35], v[44:45], v[34:35]
.LBB127_4250:
	s_mov_b32 s0, 0
.LBB127_4251:
	s_delay_alu instid0(SALU_CYCLE_1)
	s_and_not1_b32 vcc_lo, exec_lo, s0
	s_cbranch_vccnz .LBB127_4253
; %bb.4252:
	global_load_b32 v1, v[42:43], off
	s_wait_loadcnt 0x0
	v_cvt_f32_f16_e32 v1, v1
	s_delay_alu instid0(VALU_DEP_1) | instskip(NEXT) | instid1(VALU_DEP_1)
	v_cvt_i32_f32_e32 v34, v1
	v_ashrrev_i32_e32 v35, 31, v34
.LBB127_4253:
	s_mov_b32 s0, 0
.LBB127_4254:
	s_delay_alu instid0(SALU_CYCLE_1)
	s_and_not1_b32 vcc_lo, exec_lo, s0
	s_cbranch_vccnz .LBB127_4265
; %bb.4255:
	s_cmp_lt_i32 s60, 6
	s_cbranch_scc1 .LBB127_4258
; %bb.4256:
	s_cmp_gt_i32 s60, 6
	s_cbranch_scc0 .LBB127_4259
; %bb.4257:
	s_wait_loadcnt 0x0
	global_load_b64 v[34:35], v[42:43], off
	s_mov_b32 s0, 0
	s_wait_loadcnt 0x0
	v_trunc_f64_e32 v[34:35], v[34:35]
	s_delay_alu instid0(VALU_DEP_1) | instskip(NEXT) | instid1(VALU_DEP_1)
	v_ldexp_f64 v[44:45], v[34:35], 0xffffffe0
	v_floor_f64_e32 v[44:45], v[44:45]
	s_delay_alu instid0(VALU_DEP_1) | instskip(SKIP_1) | instid1(VALU_DEP_2)
	v_fmamk_f64 v[46:47], v[44:45], 0xc1f00000, v[34:35]
	v_cvt_i32_f64_e32 v35, v[44:45]
	v_cvt_u32_f64_e32 v34, v[46:47]
	s_branch .LBB127_4260
.LBB127_4258:
	s_mov_b32 s0, -1
                                        ; implicit-def: $vgpr34_vgpr35
	s_branch .LBB127_4263
.LBB127_4259:
	s_mov_b32 s0, -1
                                        ; implicit-def: $vgpr34_vgpr35
.LBB127_4260:
	s_delay_alu instid0(SALU_CYCLE_1)
	s_and_not1_b32 vcc_lo, exec_lo, s0
	s_cbranch_vccnz .LBB127_4262
; %bb.4261:
	global_load_b32 v1, v[42:43], off
	s_wait_loadcnt 0x0
	v_trunc_f32_e32 v1, v1
	s_delay_alu instid0(VALU_DEP_1) | instskip(SKIP_1) | instid1(VALU_DEP_2)
	v_mul_f32_e64 v3, 0x2f800000, |v1|
	v_ashrrev_i32_e32 v34, 31, v1
	v_floor_f32_e32 v3, v3
	s_delay_alu instid0(VALU_DEP_1) | instskip(SKIP_1) | instid1(VALU_DEP_4)
	v_fma_f32 v5, 0xcf800000, v3, |v1|
	v_cvt_u32_f32_e32 v1, v3
	v_mov_b32_e32 v35, v34
	s_delay_alu instid0(VALU_DEP_3) | instskip(NEXT) | instid1(VALU_DEP_3)
	v_cvt_u32_f32_e32 v3, v5
	v_xor_b32_e32 v45, v1, v34
	s_delay_alu instid0(VALU_DEP_2) | instskip(NEXT) | instid1(VALU_DEP_1)
	v_xor_b32_e32 v44, v3, v34
	v_sub_nc_u64_e32 v[34:35], v[44:45], v[34:35]
.LBB127_4262:
	s_mov_b32 s0, 0
.LBB127_4263:
	s_delay_alu instid0(SALU_CYCLE_1)
	s_and_not1_b32 vcc_lo, exec_lo, s0
	s_cbranch_vccnz .LBB127_4265
; %bb.4264:
	global_load_u16 v1, v[42:43], off
	s_wait_loadcnt 0x0
	v_cvt_f32_f16_e32 v1, v1
	s_delay_alu instid0(VALU_DEP_1) | instskip(NEXT) | instid1(VALU_DEP_1)
	v_cvt_i32_f32_e32 v34, v1
	v_ashrrev_i32_e32 v35, 31, v34
.LBB127_4265:
	s_mov_b32 s0, 0
.LBB127_4266:
	s_delay_alu instid0(SALU_CYCLE_1)
	s_and_not1_b32 vcc_lo, exec_lo, s0
	s_cbranch_vccnz .LBB127_4286
; %bb.4267:
	s_cmp_lt_i32 s60, 2
	s_cbranch_scc1 .LBB127_4271
; %bb.4268:
	s_cmp_lt_i32 s60, 3
	s_cbranch_scc1 .LBB127_4272
; %bb.4269:
	s_cmp_gt_i32 s60, 3
	s_cbranch_scc0 .LBB127_4273
; %bb.4270:
	s_wait_loadcnt 0x0
	global_load_b64 v[34:35], v[42:43], off
	s_mov_b32 s0, 0
	s_branch .LBB127_4274
.LBB127_4271:
	s_mov_b32 s0, -1
                                        ; implicit-def: $vgpr34_vgpr35
	s_branch .LBB127_4280
.LBB127_4272:
	s_mov_b32 s0, -1
                                        ; implicit-def: $vgpr34_vgpr35
	s_branch .LBB127_4277
.LBB127_4273:
	s_mov_b32 s0, -1
                                        ; implicit-def: $vgpr34_vgpr35
.LBB127_4274:
	s_delay_alu instid0(SALU_CYCLE_1)
	s_and_not1_b32 vcc_lo, exec_lo, s0
	s_cbranch_vccnz .LBB127_4276
; %bb.4275:
	s_wait_loadcnt 0x0
	global_load_b32 v34, v[42:43], off
	s_wait_loadcnt 0x0
	v_ashrrev_i32_e32 v35, 31, v34
.LBB127_4276:
	s_mov_b32 s0, 0
.LBB127_4277:
	s_delay_alu instid0(SALU_CYCLE_1)
	s_and_not1_b32 vcc_lo, exec_lo, s0
	s_cbranch_vccnz .LBB127_4279
; %bb.4278:
	global_load_u16 v1, v[42:43], off
	s_wait_loadcnt 0x0
	v_bfe_i32 v34, v1, 0, 16
	s_delay_alu instid0(VALU_DEP_1)
	v_ashrrev_i32_e32 v35, 31, v34
.LBB127_4279:
	s_mov_b32 s0, 0
.LBB127_4280:
	s_delay_alu instid0(SALU_CYCLE_1)
	s_and_not1_b32 vcc_lo, exec_lo, s0
	s_cbranch_vccnz .LBB127_4286
; %bb.4281:
	s_cmp_gt_i32 s60, 0
	s_mov_b32 s0, 0
	s_cbranch_scc0 .LBB127_4283
; %bb.4282:
	global_load_i8 v1, v[42:43], off
	s_wait_loadcnt 0x0
	v_bfe_i32 v34, v1, 0, 16
	s_delay_alu instid0(VALU_DEP_1)
	v_ashrrev_i32_e32 v35, 31, v34
	s_branch .LBB127_4284
.LBB127_4283:
	s_mov_b32 s0, -1
                                        ; implicit-def: $vgpr34_vgpr35
.LBB127_4284:
	s_delay_alu instid0(SALU_CYCLE_1)
	s_and_not1_b32 vcc_lo, exec_lo, s0
	s_cbranch_vccnz .LBB127_4286
; %bb.4285:
	global_load_u8 v1, v[42:43], off
	s_mov_b32 s0, 0
	s_wait_loadcnt 0x1
	v_mov_b32_e32 v35, s0
	s_wait_loadcnt 0x0
	v_and_b32_e32 v34, 0xffff, v1
.LBB127_4286:
	s_mov_b32 s9, -1
.LBB127_4287:
	s_delay_alu instid0(SALU_CYCLE_1)
	s_and_not1_b32 vcc_lo, exec_lo, s9
	s_cbranch_vccnz .LBB127_4424
; %bb.4288:
	v_mov_b32_e32 v33, 0
	s_and_b32 s61, 0xffff, s51
	s_delay_alu instid0(SALU_CYCLE_1) | instskip(NEXT) | instid1(VALU_DEP_1)
	s_cmp_lt_i32 s61, 11
	v_add_nc_u64_e32 v[32:33], s[16:17], v[32:33]
	s_cbranch_scc1 .LBB127_4295
; %bb.4289:
	s_cmp_gt_i32 s61, 25
	s_mov_b32 s1, 0
	s_cbranch_scc0 .LBB127_4296
; %bb.4290:
	s_cmp_gt_i32 s61, 28
	s_cbranch_scc0 .LBB127_4297
; %bb.4291:
	s_cmp_gt_i32 s61, 43
	s_cbranch_scc0 .LBB127_4298
; %bb.4292:
	s_cmp_gt_i32 s61, 45
	s_cbranch_scc0 .LBB127_4300
; %bb.4293:
	s_cmp_eq_u32 s61, 46
	s_mov_b32 s22, 0
	s_cbranch_scc0 .LBB127_4302
; %bb.4294:
	global_load_b32 v1, v[32:33], off
	s_mov_b32 s0, 0
	s_mov_b32 s9, -1
	s_wait_loadcnt 0x0
	v_lshlrev_b32_e32 v1, 16, v1
	s_delay_alu instid0(VALU_DEP_1) | instskip(NEXT) | instid1(VALU_DEP_1)
	v_trunc_f32_e32 v1, v1
	v_mul_f32_e64 v3, 0x2f800000, |v1|
	s_wait_xcnt 0x1
	v_ashrrev_i32_e32 v42, 31, v1
	s_delay_alu instid0(VALU_DEP_2) | instskip(NEXT) | instid1(VALU_DEP_2)
	v_floor_f32_e32 v3, v3
	v_mov_b32_e32 v43, v42
	s_delay_alu instid0(VALU_DEP_2) | instskip(SKIP_1) | instid1(VALU_DEP_2)
	v_fma_f32 v5, 0xcf800000, v3, |v1|
	v_cvt_u32_f32_e32 v1, v3
	v_cvt_u32_f32_e32 v3, v5
	s_delay_alu instid0(VALU_DEP_2) | instskip(NEXT) | instid1(VALU_DEP_2)
	v_xor_b32_e32 v45, v1, v42
	v_xor_b32_e32 v44, v3, v42
	s_delay_alu instid0(VALU_DEP_1)
	v_sub_nc_u64_e32 v[44:45], v[44:45], v[42:43]
	s_branch .LBB127_4304
.LBB127_4295:
	s_mov_b32 s0, -1
	s_mov_b32 s9, 0
                                        ; implicit-def: $vgpr44_vgpr45
	s_branch .LBB127_4366
.LBB127_4296:
	s_mov_b32 s22, -1
	s_mov_b32 s9, 0
	s_mov_b32 s0, 0
                                        ; implicit-def: $vgpr44_vgpr45
	s_branch .LBB127_4331
.LBB127_4297:
	s_mov_b32 s22, -1
	s_mov_b32 s9, 0
	s_mov_b32 s0, 0
                                        ; implicit-def: $vgpr44_vgpr45
	s_branch .LBB127_4314
.LBB127_4298:
	s_mov_b32 s22, -1
	s_mov_b32 s9, 0
	s_mov_b32 s0, 0
                                        ; implicit-def: $vgpr44_vgpr45
	s_branch .LBB127_4309
.LBB127_4299:
	s_or_b32 s45, s45, exec_lo
	s_trap 2
	s_cbranch_execz .LBB127_4236
	s_branch .LBB127_4237
.LBB127_4300:
	s_mov_b32 s22, -1
	s_mov_b32 s9, 0
	s_mov_b32 s0, 0
	s_branch .LBB127_4303
.LBB127_4301:
	s_or_b32 exec_lo, exec_lo, s62
	s_branch .LBB127_1211
.LBB127_4302:
	s_mov_b32 s0, -1
	s_mov_b32 s9, 0
.LBB127_4303:
                                        ; implicit-def: $vgpr44_vgpr45
.LBB127_4304:
	s_and_b32 vcc_lo, exec_lo, s22
	s_cbranch_vccz .LBB127_4308
; %bb.4305:
	s_cmp_eq_u32 s61, 44
	s_cbranch_scc0 .LBB127_4307
; %bb.4306:
	global_load_u8 v1, v[32:33], off
	s_mov_b32 s0, 0
	s_mov_b32 s9, -1
	s_wait_loadcnt 0x0
	v_lshlrev_b32_e32 v3, 23, v1
	v_cmp_ne_u32_e32 vcc_lo, 0, v1
	s_delay_alu instid0(VALU_DEP_2) | instskip(NEXT) | instid1(VALU_DEP_1)
	v_trunc_f32_e32 v3, v3
	v_mul_f32_e64 v5, 0x2f800000, |v3|
	s_wait_xcnt 0x1
	v_ashrrev_i32_e32 v42, 31, v3
	s_delay_alu instid0(VALU_DEP_2) | instskip(NEXT) | instid1(VALU_DEP_2)
	v_floor_f32_e32 v5, v5
	v_mov_b32_e32 v43, v42
	s_delay_alu instid0(VALU_DEP_2) | instskip(SKIP_1) | instid1(VALU_DEP_2)
	v_fma_f32 v7, 0xcf800000, v5, |v3|
	v_cvt_u32_f32_e32 v3, v5
	v_cvt_u32_f32_e32 v5, v7
	s_delay_alu instid0(VALU_DEP_2) | instskip(NEXT) | instid1(VALU_DEP_2)
	v_xor_b32_e32 v45, v3, v42
	v_xor_b32_e32 v44, v5, v42
	s_delay_alu instid0(VALU_DEP_1) | instskip(NEXT) | instid1(VALU_DEP_1)
	v_sub_nc_u64_e32 v[42:43], v[44:45], v[42:43]
	v_dual_cndmask_b32 v45, 0, v43 :: v_dual_cndmask_b32 v44, 0, v42
	s_branch .LBB127_4308
.LBB127_4307:
	s_mov_b32 s0, -1
                                        ; implicit-def: $vgpr44_vgpr45
.LBB127_4308:
	s_mov_b32 s22, 0
.LBB127_4309:
	s_delay_alu instid0(SALU_CYCLE_1)
	s_and_b32 vcc_lo, exec_lo, s22
	s_cbranch_vccz .LBB127_4313
; %bb.4310:
	s_cmp_eq_u32 s61, 29
	s_cbranch_scc0 .LBB127_4312
; %bb.4311:
	global_load_b64 v[44:45], v[32:33], off
	s_mov_b32 s0, 0
	s_mov_b32 s9, -1
	s_branch .LBB127_4313
.LBB127_4312:
	s_mov_b32 s0, -1
                                        ; implicit-def: $vgpr44_vgpr45
.LBB127_4313:
	s_mov_b32 s22, 0
.LBB127_4314:
	s_delay_alu instid0(SALU_CYCLE_1)
	s_and_b32 vcc_lo, exec_lo, s22
	s_cbranch_vccz .LBB127_4330
; %bb.4315:
	s_cmp_lt_i32 s61, 27
	s_cbranch_scc1 .LBB127_4318
; %bb.4316:
	s_cmp_gt_i32 s61, 27
	s_cbranch_scc0 .LBB127_4319
; %bb.4317:
	s_wait_loadcnt 0x0
	global_load_b32 v44, v[32:33], off
	v_mov_b32_e32 v45, 0
	s_mov_b32 s9, 0
	s_branch .LBB127_4320
.LBB127_4318:
	s_mov_b32 s9, -1
                                        ; implicit-def: $vgpr44_vgpr45
	s_branch .LBB127_4323
.LBB127_4319:
	s_mov_b32 s9, -1
                                        ; implicit-def: $vgpr44_vgpr45
.LBB127_4320:
	s_delay_alu instid0(SALU_CYCLE_1)
	s_and_not1_b32 vcc_lo, exec_lo, s9
	s_cbranch_vccnz .LBB127_4322
; %bb.4321:
	global_load_u16 v1, v[32:33], off
	s_mov_b32 s9, 0
	s_wait_loadcnt 0x1
	v_mov_b32_e32 v45, s9
	s_wait_loadcnt 0x0
	v_and_b32_e32 v44, 0xffff, v1
.LBB127_4322:
	s_mov_b32 s9, 0
.LBB127_4323:
	s_delay_alu instid0(SALU_CYCLE_1)
	s_and_not1_b32 vcc_lo, exec_lo, s9
	s_cbranch_vccnz .LBB127_4329
; %bb.4324:
	global_load_u8 v1, v[32:33], off
	s_mov_b32 s22, 0
	s_mov_b32 s9, exec_lo
	s_wait_loadcnt 0x0
	v_cmpx_lt_i16_e32 0x7f, v1
	s_xor_b32 s9, exec_lo, s9
	s_cbranch_execz .LBB127_4341
; %bb.4325:
	v_cmp_ne_u16_e32 vcc_lo, 0x80, v1
	s_and_b32 s22, vcc_lo, exec_lo
	s_and_not1_saveexec_b32 s9, s9
	s_cbranch_execnz .LBB127_4342
.LBB127_4326:
	s_or_b32 exec_lo, exec_lo, s9
	v_mov_b64_e32 v[44:45], 0
	s_and_saveexec_b32 s9, s22
	s_cbranch_execz .LBB127_4328
.LBB127_4327:
	v_and_b32_e32 v3, 0xffff, v1
	s_delay_alu instid0(VALU_DEP_1) | instskip(SKIP_1) | instid1(VALU_DEP_2)
	v_dual_lshlrev_b32 v1, 24, v1 :: v_dual_bitop2_b32 v5, 7, v3 bitop3:0x40
	v_bfe_u32 v15, v3, 3, 4
	v_and_b32_e32 v1, 0x80000000, v1
	s_delay_alu instid0(VALU_DEP_3) | instskip(NEXT) | instid1(VALU_DEP_3)
	v_clz_i32_u32_e32 v7, v5
	v_cmp_eq_u32_e32 vcc_lo, 0, v15
	s_delay_alu instid0(VALU_DEP_2) | instskip(NEXT) | instid1(VALU_DEP_1)
	v_min_u32_e32 v7, 32, v7
	v_subrev_nc_u32_e32 v11, 28, v7
	v_sub_nc_u32_e32 v7, 29, v7
	s_delay_alu instid0(VALU_DEP_2) | instskip(NEXT) | instid1(VALU_DEP_2)
	v_lshlrev_b32_e32 v3, v11, v3
	v_cndmask_b32_e32 v7, v15, v7, vcc_lo
	s_delay_alu instid0(VALU_DEP_2) | instskip(NEXT) | instid1(VALU_DEP_1)
	v_and_b32_e32 v3, 7, v3
	v_cndmask_b32_e32 v3, v5, v3, vcc_lo
	s_delay_alu instid0(VALU_DEP_3) | instskip(NEXT) | instid1(VALU_DEP_2)
	v_lshl_add_u32 v5, v7, 23, 0x3b800000
	v_lshlrev_b32_e32 v3, 20, v3
	s_delay_alu instid0(VALU_DEP_1) | instskip(NEXT) | instid1(VALU_DEP_1)
	v_or3_b32 v1, v1, v5, v3
	v_trunc_f32_e32 v1, v1
	s_delay_alu instid0(VALU_DEP_1) | instskip(SKIP_1) | instid1(VALU_DEP_2)
	v_mul_f32_e64 v3, 0x2f800000, |v1|
	v_ashrrev_i32_e32 v42, 31, v1
	v_floor_f32_e32 v3, v3
	s_delay_alu instid0(VALU_DEP_2) | instskip(NEXT) | instid1(VALU_DEP_2)
	v_mov_b32_e32 v43, v42
	v_fma_f32 v5, 0xcf800000, v3, |v1|
	v_cvt_u32_f32_e32 v1, v3
	s_delay_alu instid0(VALU_DEP_2) | instskip(NEXT) | instid1(VALU_DEP_2)
	v_cvt_u32_f32_e32 v3, v5
	v_xor_b32_e32 v45, v1, v42
	s_delay_alu instid0(VALU_DEP_2) | instskip(NEXT) | instid1(VALU_DEP_1)
	v_xor_b32_e32 v44, v3, v42
	v_sub_nc_u64_e32 v[44:45], v[44:45], v[42:43]
.LBB127_4328:
	s_or_b32 exec_lo, exec_lo, s9
.LBB127_4329:
	s_mov_b32 s9, -1
.LBB127_4330:
	s_mov_b32 s22, 0
.LBB127_4331:
	s_delay_alu instid0(SALU_CYCLE_1)
	s_and_b32 vcc_lo, exec_lo, s22
	s_cbranch_vccz .LBB127_4362
; %bb.4332:
	s_cmp_gt_i32 s61, 22
	s_cbranch_scc0 .LBB127_4340
; %bb.4333:
	s_cmp_lt_i32 s61, 24
	s_cbranch_scc1 .LBB127_4343
; %bb.4334:
	s_cmp_gt_i32 s61, 24
	s_cbranch_scc0 .LBB127_4344
; %bb.4335:
	global_load_u8 v1, v[32:33], off
	s_mov_b32 s9, 0
	s_mov_b32 s1, exec_lo
	s_wait_loadcnt 0x0
	v_cmpx_lt_i16_e32 0x7f, v1
	s_xor_b32 s1, exec_lo, s1
	s_cbranch_execz .LBB127_4356
; %bb.4336:
	v_cmp_ne_u16_e32 vcc_lo, 0x80, v1
	s_and_b32 s9, vcc_lo, exec_lo
	s_and_not1_saveexec_b32 s1, s1
	s_cbranch_execnz .LBB127_4357
.LBB127_4337:
	s_or_b32 exec_lo, exec_lo, s1
	v_mov_b64_e32 v[44:45], 0
	s_and_saveexec_b32 s1, s9
	s_cbranch_execz .LBB127_4339
.LBB127_4338:
	v_and_b32_e32 v3, 0xffff, v1
	s_delay_alu instid0(VALU_DEP_1) | instskip(SKIP_1) | instid1(VALU_DEP_2)
	v_dual_lshlrev_b32 v1, 24, v1 :: v_dual_bitop2_b32 v5, 3, v3 bitop3:0x40
	v_bfe_u32 v15, v3, 2, 5
	v_and_b32_e32 v1, 0x80000000, v1
	s_delay_alu instid0(VALU_DEP_3) | instskip(NEXT) | instid1(VALU_DEP_3)
	v_clz_i32_u32_e32 v7, v5
	v_cmp_eq_u32_e32 vcc_lo, 0, v15
	s_delay_alu instid0(VALU_DEP_2) | instskip(NEXT) | instid1(VALU_DEP_1)
	v_min_u32_e32 v7, 32, v7
	v_subrev_nc_u32_e32 v11, 29, v7
	v_sub_nc_u32_e32 v7, 30, v7
	s_delay_alu instid0(VALU_DEP_2) | instskip(NEXT) | instid1(VALU_DEP_2)
	v_lshlrev_b32_e32 v3, v11, v3
	v_cndmask_b32_e32 v7, v15, v7, vcc_lo
	s_delay_alu instid0(VALU_DEP_2) | instskip(NEXT) | instid1(VALU_DEP_1)
	v_and_b32_e32 v3, 3, v3
	v_cndmask_b32_e32 v3, v5, v3, vcc_lo
	s_delay_alu instid0(VALU_DEP_3) | instskip(NEXT) | instid1(VALU_DEP_2)
	v_lshl_add_u32 v5, v7, 23, 0x37800000
	v_lshlrev_b32_e32 v3, 21, v3
	s_delay_alu instid0(VALU_DEP_1) | instskip(NEXT) | instid1(VALU_DEP_1)
	v_or3_b32 v1, v1, v5, v3
	v_trunc_f32_e32 v1, v1
	s_delay_alu instid0(VALU_DEP_1) | instskip(SKIP_1) | instid1(VALU_DEP_2)
	v_mul_f32_e64 v3, 0x2f800000, |v1|
	v_ashrrev_i32_e32 v42, 31, v1
	v_floor_f32_e32 v3, v3
	s_delay_alu instid0(VALU_DEP_2) | instskip(NEXT) | instid1(VALU_DEP_2)
	v_mov_b32_e32 v43, v42
	v_fma_f32 v5, 0xcf800000, v3, |v1|
	v_cvt_u32_f32_e32 v1, v3
	s_delay_alu instid0(VALU_DEP_2) | instskip(NEXT) | instid1(VALU_DEP_2)
	v_cvt_u32_f32_e32 v3, v5
	v_xor_b32_e32 v45, v1, v42
	s_delay_alu instid0(VALU_DEP_2) | instskip(NEXT) | instid1(VALU_DEP_1)
	v_xor_b32_e32 v44, v3, v42
	v_sub_nc_u64_e32 v[44:45], v[44:45], v[42:43]
.LBB127_4339:
	s_or_b32 exec_lo, exec_lo, s1
	s_mov_b32 s1, 0
	s_branch .LBB127_4345
.LBB127_4340:
	s_mov_b32 s1, -1
                                        ; implicit-def: $vgpr44_vgpr45
	s_branch .LBB127_4351
.LBB127_4341:
	s_and_not1_saveexec_b32 s9, s9
	s_cbranch_execz .LBB127_4326
.LBB127_4342:
	v_cmp_ne_u16_e32 vcc_lo, 0, v1
	s_and_not1_b32 s22, s22, exec_lo
	s_and_b32 s23, vcc_lo, exec_lo
	s_delay_alu instid0(SALU_CYCLE_1)
	s_or_b32 s22, s22, s23
	s_or_b32 exec_lo, exec_lo, s9
	v_mov_b64_e32 v[44:45], 0
	s_and_saveexec_b32 s9, s22
	s_cbranch_execnz .LBB127_4327
	s_branch .LBB127_4328
.LBB127_4343:
	s_mov_b32 s1, -1
                                        ; implicit-def: $vgpr44_vgpr45
	s_branch .LBB127_4348
.LBB127_4344:
	s_mov_b32 s1, -1
                                        ; implicit-def: $vgpr44_vgpr45
.LBB127_4345:
	s_delay_alu instid0(SALU_CYCLE_1)
	s_and_b32 vcc_lo, exec_lo, s1
	s_cbranch_vccz .LBB127_4347
; %bb.4346:
	global_load_u8 v1, v[32:33], off
	s_wait_loadcnt 0x0
	v_lshlrev_b32_e32 v1, 24, v1
	s_delay_alu instid0(VALU_DEP_1) | instskip(NEXT) | instid1(VALU_DEP_1)
	v_and_b32_e32 v3, 0x7f000000, v1
	v_clz_i32_u32_e32 v5, v3
	v_add_nc_u32_e32 v11, 0x1000000, v3
	v_cmp_ne_u32_e32 vcc_lo, 0, v3
	s_delay_alu instid0(VALU_DEP_3) | instskip(NEXT) | instid1(VALU_DEP_1)
	v_min_u32_e32 v5, 32, v5
	v_sub_nc_u32_e64 v5, v5, 4 clamp
	s_delay_alu instid0(VALU_DEP_1) | instskip(NEXT) | instid1(VALU_DEP_1)
	v_dual_lshlrev_b32 v7, v5, v3 :: v_dual_lshlrev_b32 v5, 23, v5
	v_lshrrev_b32_e32 v7, 4, v7
	s_delay_alu instid0(VALU_DEP_1) | instskip(NEXT) | instid1(VALU_DEP_1)
	v_dual_sub_nc_u32 v5, v7, v5 :: v_dual_ashrrev_i32 v7, 8, v11
	v_add_nc_u32_e32 v5, 0x3c000000, v5
	s_delay_alu instid0(VALU_DEP_1) | instskip(NEXT) | instid1(VALU_DEP_1)
	v_and_or_b32 v5, 0x7f800000, v7, v5
	v_cndmask_b32_e32 v3, 0, v5, vcc_lo
	s_delay_alu instid0(VALU_DEP_1) | instskip(NEXT) | instid1(VALU_DEP_1)
	v_and_or_b32 v1, 0x80000000, v1, v3
	v_trunc_f32_e32 v1, v1
	s_delay_alu instid0(VALU_DEP_1) | instskip(SKIP_2) | instid1(VALU_DEP_2)
	v_mul_f32_e64 v3, 0x2f800000, |v1|
	s_wait_xcnt 0x1
	v_ashrrev_i32_e32 v42, 31, v1
	v_floor_f32_e32 v3, v3
	s_delay_alu instid0(VALU_DEP_2) | instskip(NEXT) | instid1(VALU_DEP_2)
	v_mov_b32_e32 v43, v42
	v_fma_f32 v5, 0xcf800000, v3, |v1|
	v_cvt_u32_f32_e32 v1, v3
	s_delay_alu instid0(VALU_DEP_2) | instskip(NEXT) | instid1(VALU_DEP_2)
	v_cvt_u32_f32_e32 v3, v5
	v_xor_b32_e32 v45, v1, v42
	s_delay_alu instid0(VALU_DEP_2) | instskip(NEXT) | instid1(VALU_DEP_1)
	v_xor_b32_e32 v44, v3, v42
	v_sub_nc_u64_e32 v[44:45], v[44:45], v[42:43]
.LBB127_4347:
	s_mov_b32 s1, 0
.LBB127_4348:
	s_delay_alu instid0(SALU_CYCLE_1)
	s_and_not1_b32 vcc_lo, exec_lo, s1
	s_cbranch_vccnz .LBB127_4350
; %bb.4349:
	global_load_u8 v1, v[32:33], off
	s_wait_loadcnt 0x0
	v_lshlrev_b32_e32 v3, 25, v1
	v_lshlrev_b16 v1, 8, v1
	s_delay_alu instid0(VALU_DEP_1) | instskip(SKIP_1) | instid1(VALU_DEP_2)
	v_and_or_b32 v7, 0x7f00, v1, 0.5
	v_bfe_i32 v1, v1, 0, 16
	v_add_f32_e32 v7, -0.5, v7
	v_lshrrev_b32_e32 v5, 4, v3
	v_cmp_gt_u32_e32 vcc_lo, 0x8000000, v3
	s_delay_alu instid0(VALU_DEP_2) | instskip(NEXT) | instid1(VALU_DEP_1)
	v_or_b32_e32 v5, 0x70000000, v5
	v_mul_f32_e32 v5, 0x7800000, v5
	s_delay_alu instid0(VALU_DEP_1) | instskip(NEXT) | instid1(VALU_DEP_1)
	v_cndmask_b32_e32 v3, v5, v7, vcc_lo
	v_and_or_b32 v1, 0x80000000, v1, v3
	s_delay_alu instid0(VALU_DEP_1) | instskip(NEXT) | instid1(VALU_DEP_1)
	v_trunc_f32_e32 v1, v1
	v_mul_f32_e64 v3, 0x2f800000, |v1|
	s_wait_xcnt 0x1
	v_ashrrev_i32_e32 v42, 31, v1
	s_delay_alu instid0(VALU_DEP_2) | instskip(NEXT) | instid1(VALU_DEP_2)
	v_floor_f32_e32 v3, v3
	v_mov_b32_e32 v43, v42
	s_delay_alu instid0(VALU_DEP_2) | instskip(SKIP_1) | instid1(VALU_DEP_2)
	v_fma_f32 v5, 0xcf800000, v3, |v1|
	v_cvt_u32_f32_e32 v1, v3
	v_cvt_u32_f32_e32 v3, v5
	s_delay_alu instid0(VALU_DEP_2) | instskip(NEXT) | instid1(VALU_DEP_2)
	v_xor_b32_e32 v45, v1, v42
	v_xor_b32_e32 v44, v3, v42
	s_delay_alu instid0(VALU_DEP_1)
	v_sub_nc_u64_e32 v[44:45], v[44:45], v[42:43]
.LBB127_4350:
	s_mov_b32 s1, 0
	s_mov_b32 s9, -1
.LBB127_4351:
	s_and_not1_b32 vcc_lo, exec_lo, s1
	s_mov_b32 s1, 0
	s_cbranch_vccnz .LBB127_4362
; %bb.4352:
	s_cmp_gt_i32 s61, 14
	s_cbranch_scc0 .LBB127_4355
; %bb.4353:
	s_cmp_eq_u32 s61, 15
	s_cbranch_scc0 .LBB127_4358
; %bb.4354:
	global_load_u16 v1, v[32:33], off
	s_mov_b32 s0, 0
	s_mov_b32 s9, -1
	s_wait_loadcnt 0x0
	v_lshlrev_b32_e32 v1, 16, v1
	s_delay_alu instid0(VALU_DEP_1) | instskip(NEXT) | instid1(VALU_DEP_1)
	v_trunc_f32_e32 v1, v1
	v_mul_f32_e64 v3, 0x2f800000, |v1|
	s_wait_xcnt 0x1
	v_ashrrev_i32_e32 v42, 31, v1
	s_delay_alu instid0(VALU_DEP_2) | instskip(NEXT) | instid1(VALU_DEP_2)
	v_floor_f32_e32 v3, v3
	v_mov_b32_e32 v43, v42
	s_delay_alu instid0(VALU_DEP_2) | instskip(SKIP_1) | instid1(VALU_DEP_2)
	v_fma_f32 v5, 0xcf800000, v3, |v1|
	v_cvt_u32_f32_e32 v1, v3
	v_cvt_u32_f32_e32 v3, v5
	s_delay_alu instid0(VALU_DEP_2) | instskip(NEXT) | instid1(VALU_DEP_2)
	v_xor_b32_e32 v45, v1, v42
	v_xor_b32_e32 v44, v3, v42
	s_delay_alu instid0(VALU_DEP_1)
	v_sub_nc_u64_e32 v[44:45], v[44:45], v[42:43]
	s_branch .LBB127_4360
.LBB127_4355:
	s_mov_b32 s1, -1
	s_branch .LBB127_4359
.LBB127_4356:
	s_and_not1_saveexec_b32 s1, s1
	s_cbranch_execz .LBB127_4337
.LBB127_4357:
	v_cmp_ne_u16_e32 vcc_lo, 0, v1
	s_and_not1_b32 s9, s9, exec_lo
	s_and_b32 s22, vcc_lo, exec_lo
	s_delay_alu instid0(SALU_CYCLE_1)
	s_or_b32 s9, s9, s22
	s_or_b32 exec_lo, exec_lo, s1
	v_mov_b64_e32 v[44:45], 0
	s_and_saveexec_b32 s1, s9
	s_cbranch_execnz .LBB127_4338
	s_branch .LBB127_4339
.LBB127_4358:
	s_mov_b32 s0, -1
.LBB127_4359:
                                        ; implicit-def: $vgpr44_vgpr45
.LBB127_4360:
	s_and_b32 vcc_lo, exec_lo, s1
	s_mov_b32 s1, 0
	s_cbranch_vccz .LBB127_4362
; %bb.4361:
	s_cmp_lg_u32 s61, 11
	s_mov_b32 s1, -1
	s_cselect_b32 s0, -1, 0
.LBB127_4362:
	s_delay_alu instid0(SALU_CYCLE_1)
	s_and_b32 vcc_lo, exec_lo, s0
	s_cbranch_vccnz .LBB127_4450
; %bb.4363:
	s_and_not1_b32 vcc_lo, exec_lo, s1
	s_cbranch_vccnz .LBB127_4365
.LBB127_4364:
	global_load_u8 v1, v[32:33], off
	s_mov_b32 s0, 0
	s_mov_b32 s9, -1
	s_wait_loadcnt 0x1
	v_mov_b32_e32 v45, s0
	s_wait_loadcnt 0x0
	v_cmp_ne_u16_e32 vcc_lo, 0, v1
	v_cndmask_b32_e64 v44, 0, 1, vcc_lo
.LBB127_4365:
	s_mov_b32 s0, 0
.LBB127_4366:
	s_delay_alu instid0(SALU_CYCLE_1)
	s_and_b32 vcc_lo, exec_lo, s0
	s_cbranch_vccz .LBB127_4415
; %bb.4367:
	s_cmp_lt_i32 s61, 5
	s_cbranch_scc1 .LBB127_4372
; %bb.4368:
	s_cmp_lt_i32 s61, 8
	s_cbranch_scc1 .LBB127_4373
	;; [unrolled: 3-line block ×3, first 2 shown]
; %bb.4370:
	s_cmp_gt_i32 s61, 9
	s_cbranch_scc0 .LBB127_4375
; %bb.4371:
	global_load_b64 v[42:43], v[32:33], off
	s_mov_b32 s0, 0
	s_wait_loadcnt 0x0
	v_trunc_f64_e32 v[42:43], v[42:43]
	s_delay_alu instid0(VALU_DEP_1) | instskip(NEXT) | instid1(VALU_DEP_1)
	v_ldexp_f64 v[44:45], v[42:43], 0xffffffe0
	v_floor_f64_e32 v[44:45], v[44:45]
	s_delay_alu instid0(VALU_DEP_1) | instskip(SKIP_1) | instid1(VALU_DEP_2)
	v_fmamk_f64 v[42:43], v[44:45], 0xc1f00000, v[42:43]
	v_cvt_i32_f64_e32 v45, v[44:45]
	v_cvt_u32_f64_e32 v44, v[42:43]
	s_branch .LBB127_4376
.LBB127_4372:
	s_mov_b32 s0, -1
                                        ; implicit-def: $vgpr44_vgpr45
	s_branch .LBB127_4394
.LBB127_4373:
	s_mov_b32 s0, -1
                                        ; implicit-def: $vgpr44_vgpr45
	s_branch .LBB127_4382
.LBB127_4374:
	s_mov_b32 s0, -1
                                        ; implicit-def: $vgpr44_vgpr45
	s_branch .LBB127_4379
.LBB127_4375:
	s_mov_b32 s0, -1
                                        ; implicit-def: $vgpr44_vgpr45
.LBB127_4376:
	s_delay_alu instid0(SALU_CYCLE_1)
	s_and_not1_b32 vcc_lo, exec_lo, s0
	s_cbranch_vccnz .LBB127_4378
; %bb.4377:
	global_load_b32 v1, v[32:33], off
	s_wait_loadcnt 0x0
	v_trunc_f32_e32 v1, v1
	s_delay_alu instid0(VALU_DEP_1) | instskip(SKIP_2) | instid1(VALU_DEP_2)
	v_mul_f32_e64 v3, 0x2f800000, |v1|
	s_wait_xcnt 0x1
	v_ashrrev_i32_e32 v42, 31, v1
	v_floor_f32_e32 v3, v3
	s_delay_alu instid0(VALU_DEP_1) | instskip(SKIP_1) | instid1(VALU_DEP_4)
	v_fma_f32 v5, 0xcf800000, v3, |v1|
	v_cvt_u32_f32_e32 v1, v3
	v_mov_b32_e32 v43, v42
	s_delay_alu instid0(VALU_DEP_3) | instskip(NEXT) | instid1(VALU_DEP_3)
	v_cvt_u32_f32_e32 v3, v5
	v_xor_b32_e32 v45, v1, v42
	s_delay_alu instid0(VALU_DEP_2) | instskip(NEXT) | instid1(VALU_DEP_1)
	v_xor_b32_e32 v44, v3, v42
	v_sub_nc_u64_e32 v[44:45], v[44:45], v[42:43]
.LBB127_4378:
	s_mov_b32 s0, 0
.LBB127_4379:
	s_delay_alu instid0(SALU_CYCLE_1)
	s_and_not1_b32 vcc_lo, exec_lo, s0
	s_cbranch_vccnz .LBB127_4381
; %bb.4380:
	global_load_b32 v1, v[32:33], off
	s_wait_loadcnt 0x0
	v_cvt_f32_f16_e32 v1, v1
	s_delay_alu instid0(VALU_DEP_1) | instskip(NEXT) | instid1(VALU_DEP_1)
	v_cvt_i32_f32_e32 v44, v1
	v_ashrrev_i32_e32 v45, 31, v44
.LBB127_4381:
	s_mov_b32 s0, 0
.LBB127_4382:
	s_delay_alu instid0(SALU_CYCLE_1)
	s_and_not1_b32 vcc_lo, exec_lo, s0
	s_cbranch_vccnz .LBB127_4393
; %bb.4383:
	s_cmp_lt_i32 s61, 6
	s_cbranch_scc1 .LBB127_4386
; %bb.4384:
	s_cmp_gt_i32 s61, 6
	s_cbranch_scc0 .LBB127_4387
; %bb.4385:
	global_load_b64 v[42:43], v[32:33], off
	s_mov_b32 s0, 0
	s_wait_loadcnt 0x0
	v_trunc_f64_e32 v[42:43], v[42:43]
	s_delay_alu instid0(VALU_DEP_1) | instskip(NEXT) | instid1(VALU_DEP_1)
	v_ldexp_f64 v[44:45], v[42:43], 0xffffffe0
	v_floor_f64_e32 v[44:45], v[44:45]
	s_delay_alu instid0(VALU_DEP_1) | instskip(SKIP_1) | instid1(VALU_DEP_2)
	v_fmamk_f64 v[42:43], v[44:45], 0xc1f00000, v[42:43]
	v_cvt_i32_f64_e32 v45, v[44:45]
	v_cvt_u32_f64_e32 v44, v[42:43]
	s_branch .LBB127_4388
.LBB127_4386:
	s_mov_b32 s0, -1
                                        ; implicit-def: $vgpr44_vgpr45
	s_branch .LBB127_4391
.LBB127_4387:
	s_mov_b32 s0, -1
                                        ; implicit-def: $vgpr44_vgpr45
.LBB127_4388:
	s_delay_alu instid0(SALU_CYCLE_1)
	s_and_not1_b32 vcc_lo, exec_lo, s0
	s_cbranch_vccnz .LBB127_4390
; %bb.4389:
	global_load_b32 v1, v[32:33], off
	s_wait_loadcnt 0x0
	v_trunc_f32_e32 v1, v1
	s_delay_alu instid0(VALU_DEP_1) | instskip(SKIP_2) | instid1(VALU_DEP_2)
	v_mul_f32_e64 v3, 0x2f800000, |v1|
	s_wait_xcnt 0x1
	v_ashrrev_i32_e32 v42, 31, v1
	v_floor_f32_e32 v3, v3
	s_delay_alu instid0(VALU_DEP_1) | instskip(SKIP_1) | instid1(VALU_DEP_4)
	v_fma_f32 v5, 0xcf800000, v3, |v1|
	v_cvt_u32_f32_e32 v1, v3
	v_mov_b32_e32 v43, v42
	s_delay_alu instid0(VALU_DEP_3) | instskip(NEXT) | instid1(VALU_DEP_3)
	v_cvt_u32_f32_e32 v3, v5
	v_xor_b32_e32 v45, v1, v42
	s_delay_alu instid0(VALU_DEP_2) | instskip(NEXT) | instid1(VALU_DEP_1)
	v_xor_b32_e32 v44, v3, v42
	v_sub_nc_u64_e32 v[44:45], v[44:45], v[42:43]
.LBB127_4390:
	s_mov_b32 s0, 0
.LBB127_4391:
	s_delay_alu instid0(SALU_CYCLE_1)
	s_and_not1_b32 vcc_lo, exec_lo, s0
	s_cbranch_vccnz .LBB127_4393
; %bb.4392:
	global_load_u16 v1, v[32:33], off
	s_wait_loadcnt 0x0
	v_cvt_f32_f16_e32 v1, v1
	s_delay_alu instid0(VALU_DEP_1) | instskip(NEXT) | instid1(VALU_DEP_1)
	v_cvt_i32_f32_e32 v44, v1
	v_ashrrev_i32_e32 v45, 31, v44
.LBB127_4393:
	s_mov_b32 s0, 0
.LBB127_4394:
	s_delay_alu instid0(SALU_CYCLE_1)
	s_and_not1_b32 vcc_lo, exec_lo, s0
	s_cbranch_vccnz .LBB127_4414
; %bb.4395:
	s_cmp_lt_i32 s61, 2
	s_cbranch_scc1 .LBB127_4399
; %bb.4396:
	s_cmp_lt_i32 s61, 3
	s_cbranch_scc1 .LBB127_4400
; %bb.4397:
	s_cmp_gt_i32 s61, 3
	s_cbranch_scc0 .LBB127_4401
; %bb.4398:
	s_wait_loadcnt 0x0
	global_load_b64 v[44:45], v[32:33], off
	s_mov_b32 s0, 0
	s_branch .LBB127_4402
.LBB127_4399:
	s_mov_b32 s0, -1
                                        ; implicit-def: $vgpr44_vgpr45
	s_branch .LBB127_4408
.LBB127_4400:
	s_mov_b32 s0, -1
                                        ; implicit-def: $vgpr44_vgpr45
	s_branch .LBB127_4405
.LBB127_4401:
	s_mov_b32 s0, -1
                                        ; implicit-def: $vgpr44_vgpr45
.LBB127_4402:
	s_delay_alu instid0(SALU_CYCLE_1)
	s_and_not1_b32 vcc_lo, exec_lo, s0
	s_cbranch_vccnz .LBB127_4404
; %bb.4403:
	s_wait_loadcnt 0x0
	global_load_b32 v44, v[32:33], off
	s_wait_loadcnt 0x0
	v_ashrrev_i32_e32 v45, 31, v44
.LBB127_4404:
	s_mov_b32 s0, 0
.LBB127_4405:
	s_delay_alu instid0(SALU_CYCLE_1)
	s_and_not1_b32 vcc_lo, exec_lo, s0
	s_cbranch_vccnz .LBB127_4407
; %bb.4406:
	global_load_u16 v1, v[32:33], off
	s_wait_loadcnt 0x0
	v_bfe_i32 v44, v1, 0, 16
	s_delay_alu instid0(VALU_DEP_1)
	v_ashrrev_i32_e32 v45, 31, v44
.LBB127_4407:
	s_mov_b32 s0, 0
.LBB127_4408:
	s_delay_alu instid0(SALU_CYCLE_1)
	s_and_not1_b32 vcc_lo, exec_lo, s0
	s_cbranch_vccnz .LBB127_4414
; %bb.4409:
	s_cmp_gt_i32 s61, 0
	s_mov_b32 s0, 0
	s_cbranch_scc0 .LBB127_4411
; %bb.4410:
	global_load_i8 v1, v[32:33], off
	s_wait_loadcnt 0x0
	v_bfe_i32 v44, v1, 0, 16
	s_delay_alu instid0(VALU_DEP_1)
	v_ashrrev_i32_e32 v45, 31, v44
	s_branch .LBB127_4412
.LBB127_4411:
	s_mov_b32 s0, -1
                                        ; implicit-def: $vgpr44_vgpr45
.LBB127_4412:
	s_delay_alu instid0(SALU_CYCLE_1)
	s_and_not1_b32 vcc_lo, exec_lo, s0
	s_cbranch_vccnz .LBB127_4414
; %bb.4413:
	global_load_u8 v1, v[32:33], off
	s_mov_b32 s0, 0
	s_wait_loadcnt 0x1
	v_mov_b32_e32 v45, s0
	s_wait_loadcnt 0x0
	v_and_b32_e32 v44, 0xffff, v1
.LBB127_4414:
	s_mov_b32 s9, -1
.LBB127_4415:
	s_delay_alu instid0(SALU_CYCLE_1)
	s_and_not1_b32 vcc_lo, exec_lo, s9
	s_cbranch_vccnz .LBB127_4424
; %bb.4416:
	s_mov_b32 s0, exec_lo
	s_wait_loadcnt 0x0
	v_cmpx_ne_u64_e64 v[40:41], v[8:9]
	s_xor_b32 s0, exec_lo, s0
	s_cbranch_execnz .LBB127_4584
.LBB127_4417:
	s_or_saveexec_b32 s49, s0
	s_mov_b32 s1, 0
	s_mov_b32 s9, 0
                                        ; implicit-def: $vgpr42_vgpr43
                                        ; implicit-def: $sgpr0
	s_xor_b32 exec_lo, exec_lo, s49
	s_cbranch_execz .LBB127_5095
; %bb.4418:
	s_mov_b32 s50, s45
	s_mov_b32 s0, exec_lo
	v_cmpx_ne_u64_e64 v[38:39], v[12:13]
	s_xor_b32 s0, exec_lo, s0
	s_cbranch_execnz .LBB127_4712
; %bb.4419:
	s_or_saveexec_b32 s51, s0
                                        ; implicit-def: $vgpr42_vgpr43
                                        ; implicit-def: $sgpr0
	s_delay_alu instid0(SALU_CYCLE_1)
	s_xor_b32 exec_lo, exec_lo, s51
	s_cbranch_execz .LBB127_5094
.LBB127_4420:
	v_sub_nc_u64_e32 v[32:33], v[34:35], v[36:37]
	s_mov_b32 s52, s50
	s_delay_alu instid0(VALU_DEP_1) | instskip(SKIP_2) | instid1(SALU_CYCLE_1)
	v_cmp_gt_i64_e32 vcc_lo, v[8:9], v[32:33]
	v_cmp_lt_i64_e64 s0, s[18:19], v[32:33]
	s_or_b32 s0, vcc_lo, s0
	s_and_saveexec_b32 s1, s0
	s_delay_alu instid0(SALU_CYCLE_1)
	s_xor_b32 s0, exec_lo, s1
	s_cbranch_execnz .LBB127_4840
; %bb.4421:
	s_or_saveexec_b32 s53, s0
	s_mov_b32 s1, 0
                                        ; implicit-def: $vgpr42_vgpr43
                                        ; implicit-def: $sgpr0
	s_xor_b32 exec_lo, exec_lo, s53
	s_cbranch_execz .LBB127_5093
.LBB127_4422:
	v_mov_b64_e32 v[32:33], 0
	s_and_saveexec_b32 s54, s48
	s_cbranch_execz .LBB127_4435
; %bb.4423:
	v_mul_u64_e32 v[38:39], v[44:45], v[12:13]
	s_load_b128 s[24:27], s[2:3], 0x298
	v_mov_b64_e32 v[32:33], 0
	s_mov_b32 s9, s1
	v_mov_b32_e32 v40, 0
	s_lshl_b64 s[28:29], s[8:9], 3
	s_mov_b64 s[22:23], 0xffffffff
	s_mov_b32 s9, s46
	s_wait_kmcnt 0x0
	s_add_nc_u64 s[24:25], s[24:25], s[28:29]
	s_add_nc_u64 s[26:27], s[26:27], s[28:29]
	s_branch .LBB127_4431
.LBB127_4424:
	s_mov_b32 s1, 0
	s_mov_b32 s9, 0
                                        ; implicit-def: $vgpr42_vgpr43
                                        ; implicit-def: $sgpr0
.LBB127_4425:
	s_wait_xcnt 0x0
	s_and_not1_b32 s2, s43, exec_lo
	s_and_b32 s3, s45, exec_lo
	s_and_b32 s9, s9, exec_lo
	;; [unrolled: 1-line block ×3, first 2 shown]
	s_or_b32 s43, s2, s3
.LBB127_4426:
	s_or_b32 exec_lo, exec_lo, s44
	s_wait_xcnt 0x0
	s_and_not1_b32 s2, s41, exec_lo
	s_and_b32 s3, s43, exec_lo
	s_and_b32 s8, s9, exec_lo
	;; [unrolled: 1-line block ×3, first 2 shown]
	s_or_b32 s41, s2, s3
.LBB127_4427:
	s_or_b32 exec_lo, exec_lo, s42
	s_delay_alu instid0(SALU_CYCLE_1)
	s_and_not1_b32 s2, s39, exec_lo
	s_and_b32 s3, s41, exec_lo
	s_and_b32 s8, s8, exec_lo
	s_and_b32 s1, s1, exec_lo
	s_or_b32 s39, s2, s3
.LBB127_4428:
	s_or_b32 exec_lo, exec_lo, s40
	s_delay_alu instid0(SALU_CYCLE_1)
	s_and_not1_b32 s2, s33, exec_lo
	s_and_b32 s3, s39, exec_lo
	s_and_b32 s8, s8, exec_lo
	;; [unrolled: 1-line block ×3, first 2 shown]
	s_or_b32 s33, s2, s3
.LBB127_4429:
	s_or_b32 exec_lo, exec_lo, s38
	s_branch .LBB127_2650
.LBB127_4430:                           ;   in Loop: Header=BB127_4431 Depth=1
	s_or_b32 exec_lo, exec_lo, s0
	global_load_b64 v[44:45], v40, s[26:27]
	v_mul_u64_e32 v[46:47], s[28:29], v[42:43]
	s_add_co_i32 s9, s9, -1
	s_add_nc_u64 s[24:25], s[24:25], -8
	s_cmp_eq_u32 s9, 0
	s_wait_xcnt 0x0
	s_add_nc_u64 s[26:27], s[26:27], -8
	s_delay_alu instid0(VALU_DEP_1) | instskip(SKIP_1) | instid1(VALU_DEP_1)
	v_sub_nc_u64_e32 v[38:39], v[38:39], v[46:47]
	s_wait_loadcnt 0x0
	v_mad_nc_u64_u32 v[32:33], v38, v44, v[32:33]
	s_delay_alu instid0(VALU_DEP_1) | instskip(NEXT) | instid1(VALU_DEP_1)
	v_mad_u32 v1, v39, v44, v33
	v_mad_u32 v33, v38, v45, v1
	v_mov_b64_e32 v[38:39], v[42:43]
	s_cbranch_scc1 .LBB127_4435
.LBB127_4431:                           ; =>This Inner Loop Header: Depth=1
	global_load_b64 v[42:43], v40, s[24:25]
	s_mov_b32 s0, exec_lo
	s_wait_loadcnt 0x0
	v_or_b32_e32 v41, v39, v43
	v_readfirstlane_b32 s28, v42
	v_readfirstlane_b32 s29, v43
                                        ; implicit-def: $vgpr42_vgpr43
	s_wait_xcnt 0x0
	s_delay_alu instid0(VALU_DEP_3)
	v_cmpx_ne_u64_e32 0, v[40:41]
	s_xor_b32 s55, exec_lo, s0
	s_cbranch_execz .LBB127_4433
; %bb.4432:                             ;   in Loop: Header=BB127_4431 Depth=1
	s_ashr_i32 s30, s29, 31
	v_dual_mov_b32 v47, v40 :: v_dual_ashrrev_i32 v42, 31, v39
	s_mov_b32 s31, s30
	s_delay_alu instid0(SALU_CYCLE_1) | instskip(NEXT) | instid1(VALU_DEP_1)
	s_add_nc_u64 s[34:35], s[28:29], s[30:31]
	v_mov_b32_e32 v43, v42
	s_xor_b64 s[34:35], s[34:35], s[30:31]
	s_delay_alu instid0(SALU_CYCLE_1)
	s_cvt_f32_u32 s0, s34
	s_cvt_f32_u32 s31, s35
	s_sub_nc_u64 s[64:65], 0, s[34:35]
	v_add_nc_u64_e32 v[44:45], v[38:39], v[42:43]
	v_mov_b32_e32 v51, v40
	s_fmamk_f32 s0, s31, 0x4f800000, s0
	s_delay_alu instid0(SALU_CYCLE_3) | instskip(NEXT) | instid1(VALU_DEP_2)
	v_s_rcp_f32 s0, s0
	v_xor_b32_e32 v46, v44, v42
	s_delay_alu instid0(VALU_DEP_3) | instskip(SKIP_1) | instid1(TRANS32_DEP_1)
	v_dual_mov_b32 v55, v40 :: v_dual_bitop2_b32 v50, v45, v42 bitop3:0x14
	v_xor_b32_e32 v42, s30, v42
	s_mul_f32 s0, s0, 0x5f7ffffc
	s_delay_alu instid0(VALU_DEP_1) | instskip(NEXT) | instid1(SALU_CYCLE_2)
	v_mov_b32_e32 v43, v42
	s_mul_f32 s31, s0, 0x2f800000
	s_delay_alu instid0(SALU_CYCLE_3) | instskip(NEXT) | instid1(SALU_CYCLE_3)
	s_trunc_f32 s31, s31
	s_fmamk_f32 s0, s31, 0xcf800000, s0
	s_cvt_u32_f32 s63, s31
	s_delay_alu instid0(SALU_CYCLE_2) | instskip(NEXT) | instid1(SALU_CYCLE_3)
	s_cvt_u32_f32 s62, s0
	s_mul_u64 s[66:67], s[64:65], s[62:63]
	s_delay_alu instid0(SALU_CYCLE_1)
	s_mul_hi_u32 s69, s62, s67
	s_mul_i32 s68, s62, s67
	s_mul_hi_u32 s0, s62, s66
	s_mul_i32 s56, s63, s66
	s_add_nc_u64 s[68:69], s[0:1], s[68:69]
	s_mul_hi_u32 s31, s63, s66
	s_mul_hi_u32 s70, s63, s67
	s_add_co_u32 s0, s68, s56
	s_add_co_ci_u32 s0, s69, s31
	s_mul_i32 s66, s63, s67
	s_add_co_ci_u32 s67, s70, 0
	s_delay_alu instid0(SALU_CYCLE_1) | instskip(NEXT) | instid1(SALU_CYCLE_1)
	s_add_nc_u64 s[66:67], s[0:1], s[66:67]
	s_add_co_u32 s62, s62, s66
	s_cselect_b32 s0, -1, 0
	s_delay_alu instid0(SALU_CYCLE_1) | instskip(SKIP_1) | instid1(SALU_CYCLE_1)
	s_cmp_lg_u32 s0, 0
	s_add_co_ci_u32 s63, s63, s67
	s_mul_u64 s[64:65], s[64:65], s[62:63]
	s_delay_alu instid0(SALU_CYCLE_1)
	s_mul_hi_u32 s67, s62, s65
	s_mul_i32 s66, s62, s65
	s_mul_hi_u32 s0, s62, s64
	s_mul_i32 s56, s63, s64
	s_add_nc_u64 s[66:67], s[0:1], s[66:67]
	s_mul_hi_u32 s31, s63, s64
	s_mul_hi_u32 s68, s63, s65
	s_add_co_u32 s0, s66, s56
	s_add_co_ci_u32 s0, s67, s31
	s_mul_i32 s64, s63, s65
	s_add_co_ci_u32 s65, s68, 0
	s_delay_alu instid0(SALU_CYCLE_1) | instskip(NEXT) | instid1(SALU_CYCLE_1)
	s_add_nc_u64 s[64:65], s[0:1], s[64:65]
	s_add_co_u32 s56, s62, s64
	s_cselect_b32 s0, -1, 0
	v_mul_hi_u32 v54, v46, s56
	s_cmp_lg_u32 s0, 0
	s_add_co_ci_u32 s0, s63, s65
	s_and_b64 s[62:63], s[56:57], s[22:23]
	v_mul_u64_e32 v[48:49], s[0:1], v[46:47]
	v_mul_u64_e32 v[44:45], s[62:63], v[50:51]
	;; [unrolled: 1-line block ×3, first 2 shown]
	s_delay_alu instid0(VALU_DEP_3) | instskip(NEXT) | instid1(VALU_DEP_1)
	v_add_nc_u64_e32 v[48:49], v[54:55], v[48:49]
	v_add_co_u32 v1, vcc_lo, v48, v44
	s_delay_alu instid0(VALU_DEP_2) | instskip(NEXT) | instid1(VALU_DEP_4)
	v_add_co_ci_u32_e32 v54, vcc_lo, v49, v45, vcc_lo
	v_add_co_ci_u32_e32 v53, vcc_lo, 0, v53, vcc_lo
	s_delay_alu instid0(VALU_DEP_1) | instskip(NEXT) | instid1(VALU_DEP_1)
	v_add_nc_u64_e32 v[44:45], v[54:55], v[52:53]
	v_mul_u64_e32 v[48:49], s[34:35], v[44:45]
	s_delay_alu instid0(VALU_DEP_1) | instskip(NEXT) | instid1(VALU_DEP_2)
	v_sub_nc_u32_e32 v1, v50, v49
	v_sub_co_u32 v3, vcc_lo, v46, v48
	s_delay_alu instid0(VALU_DEP_1) | instskip(NEXT) | instid1(VALU_DEP_3)
	v_sub_co_ci_u32_e64 v7, null, v50, v49, vcc_lo
	v_subrev_co_ci_u32_e64 v1, null, s35, v1, vcc_lo
	s_delay_alu instid0(VALU_DEP_3) | instskip(SKIP_1) | instid1(VALU_DEP_3)
	v_sub_co_u32 v5, s0, v3, s34
	v_add_nc_u64_e32 v[46:47], 2, v[44:45]
	v_subrev_co_ci_u32_e64 v1, null, 0, v1, s0
	s_delay_alu instid0(VALU_DEP_3) | instskip(SKIP_2) | instid1(VALU_DEP_4)
	v_cmp_le_u32_e32 vcc_lo, s34, v5
	v_add_nc_u64_e32 v[48:49], 1, v[44:45]
	v_cndmask_b32_e64 v5, 0, -1, vcc_lo
	v_cmp_le_u32_e32 vcc_lo, s35, v1
	v_cndmask_b32_e64 v11, 0, -1, vcc_lo
	v_cmp_le_u32_e32 vcc_lo, s34, v3
	;; [unrolled: 2-line block ×3, first 2 shown]
	v_cndmask_b32_e64 v15, 0, -1, vcc_lo
	v_cmp_eq_u32_e32 vcc_lo, s35, v1
	v_cndmask_b32_e32 v1, v11, v5, vcc_lo
	v_cmp_eq_u32_e32 vcc_lo, s35, v7
	s_delay_alu instid0(VALU_DEP_4) | instskip(NEXT) | instid1(VALU_DEP_3)
	v_cndmask_b32_e32 v3, v15, v3, vcc_lo
	v_cmp_ne_u32_e32 vcc_lo, 0, v1
	s_delay_alu instid0(VALU_DEP_2) | instskip(SKIP_1) | instid1(VALU_DEP_1)
	v_cmp_ne_u32_e64 s0, 0, v3
	v_dual_cndmask_b32 v1, v49, v47, vcc_lo :: v_dual_cndmask_b32 v3, v48, v46, vcc_lo
	v_dual_cndmask_b32 v1, v45, v1, s0 :: v_dual_cndmask_b32 v3, v44, v3, s0
	s_delay_alu instid0(VALU_DEP_1) | instskip(NEXT) | instid1(VALU_DEP_2)
	v_xor_b32_e32 v45, v1, v42
	v_xor_b32_e32 v44, v3, v42
	s_delay_alu instid0(VALU_DEP_1)
	v_sub_nc_u64_e32 v[42:43], v[44:45], v[42:43]
.LBB127_4433:                           ;   in Loop: Header=BB127_4431 Depth=1
	s_and_not1_saveexec_b32 s0, s55
	s_cbranch_execz .LBB127_4430
; %bb.4434:                             ;   in Loop: Header=BB127_4431 Depth=1
	v_cvt_f32_u32_e32 v1, s28
	s_sub_co_i32 s30, 0, s28
	v_mov_b32_e32 v43, v40
	s_delay_alu instid0(VALU_DEP_2) | instskip(SKIP_1) | instid1(TRANS32_DEP_1)
	v_rcp_iflag_f32_e32 v1, v1
	v_nop
	v_mul_f32_e32 v1, 0x4f7ffffe, v1
	s_delay_alu instid0(VALU_DEP_1) | instskip(NEXT) | instid1(VALU_DEP_1)
	v_cvt_u32_f32_e32 v1, v1
	v_mul_lo_u32 v3, s30, v1
	s_delay_alu instid0(VALU_DEP_1) | instskip(NEXT) | instid1(VALU_DEP_1)
	v_mul_hi_u32 v3, v1, v3
	v_add_nc_u32_e32 v1, v1, v3
	s_delay_alu instid0(VALU_DEP_1) | instskip(NEXT) | instid1(VALU_DEP_1)
	v_mul_hi_u32 v1, v38, v1
	v_mul_lo_u32 v3, v1, s28
	s_delay_alu instid0(VALU_DEP_1) | instskip(NEXT) | instid1(VALU_DEP_1)
	v_sub_nc_u32_e32 v3, v38, v3
	v_subrev_nc_u32_e32 v7, s28, v3
	v_cmp_le_u32_e32 vcc_lo, s28, v3
	s_delay_alu instid0(VALU_DEP_2) | instskip(NEXT) | instid1(VALU_DEP_1)
	v_dual_add_nc_u32 v5, 1, v1 :: v_dual_cndmask_b32 v3, v3, v7, vcc_lo
	v_cndmask_b32_e32 v1, v1, v5, vcc_lo
	s_delay_alu instid0(VALU_DEP_2) | instskip(NEXT) | instid1(VALU_DEP_2)
	v_cmp_le_u32_e32 vcc_lo, s28, v3
	v_add_nc_u32_e32 v5, 1, v1
	s_delay_alu instid0(VALU_DEP_1)
	v_cndmask_b32_e32 v42, v1, v5, vcc_lo
	s_branch .LBB127_4430
.LBB127_4435:
	s_or_b32 exec_lo, exec_lo, s54
	s_mov_b32 s22, -1
	s_mov_b32 s54, s52
	s_mov_b32 s0, exec_lo
	v_cmpx_gt_i64_e64 v[34:35], v[36:37]
	s_cbranch_execz .LBB127_4442
; %bb.4436:
	s_delay_alu instid0(VALU_DEP_2) | instskip(SKIP_2) | instid1(VALU_DEP_1)
	v_lshlrev_b64_e32 v[32:33], 3, v[32:33]
	s_mov_b32 s9, 0
	s_xor_b32 s22, s47, -1
                                        ; implicit-def: $sgpr1
                                        ; implicit-def: $sgpr24
                                        ; implicit-def: $sgpr23
	v_lshl_add_u64 v[36:37], v[36:37], 3, v[32:33]
	s_wait_kmcnt 0x0
	v_add_nc_u64_e32 v[38:39], s[20:21], v[32:33]
	s_delay_alu instid0(VALU_DEP_2) | instskip(NEXT) | instid1(VALU_DEP_2)
	v_add_nc_u64_e32 v[36:37], s[20:21], v[36:37]
	v_lshl_add_u64 v[34:35], v[34:35], 3, v[38:39]
	s_delay_alu instid0(VALU_DEP_2)
	v_add_nc_u64_e32 v[32:33], 8, v[36:37]
	s_branch .LBB127_4438
.LBB127_4437:                           ;   in Loop: Header=BB127_4438 Depth=1
	s_or_b32 exec_lo, exec_lo, s25
	s_xor_b32 s25, s23, -1
	s_and_b32 s26, exec_lo, s24
	s_delay_alu instid0(SALU_CYCLE_1) | instskip(SKIP_2) | instid1(SALU_CYCLE_1)
	s_or_b32 s9, s26, s9
	s_and_not1_b32 s1, s1, exec_lo
	s_and_b32 s25, s25, exec_lo
	s_or_b32 s1, s1, s25
	s_and_not1_b32 exec_lo, exec_lo, s9
	s_cbranch_execz .LBB127_4440
.LBB127_4438:                           ; =>This Inner Loop Header: Depth=1
	s_or_b32 s23, s23, exec_lo
	s_or_b32 s24, s24, exec_lo
	s_mov_b32 s25, exec_lo
	s_delay_alu instid0(VALU_DEP_1)
	v_cmpx_lt_u64_e64 v[32:33], v[34:35]
	s_cbranch_execz .LBB127_4437
; %bb.4439:                             ;   in Loop: Header=BB127_4438 Depth=1
	global_load_b128 v[36:39], v[32:33], off offset:-8
	s_wait_xcnt 0x0
	v_add_nc_u64_e32 v[32:33], 8, v[32:33]
	s_and_not1_b32 s24, s24, exec_lo
	s_and_not1_b32 s23, s23, exec_lo
	s_wait_loadcnt 0x0
	v_cmp_ge_i64_e32 vcc_lo, v[36:37], v[38:39]
	s_or_b32 s26, s22, vcc_lo
	s_delay_alu instid0(SALU_CYCLE_1) | instskip(NEXT) | instid1(SALU_CYCLE_1)
	s_and_b32 s26, s26, exec_lo
	s_or_b32 s24, s24, s26
	s_branch .LBB127_4437
.LBB127_4440:
	s_or_b32 exec_lo, exec_lo, s9
	s_mov_b32 s9, -1
	s_mov_b32 s22, s52
	s_and_saveexec_b32 s23, s1
	s_delay_alu instid0(SALU_CYCLE_1)
	s_xor_b32 s1, exec_lo, s23
	s_cbranch_execnz .LBB127_4455
.LBB127_4441:
	s_or_b32 exec_lo, exec_lo, s1
	s_delay_alu instid0(SALU_CYCLE_1) | instskip(SKIP_1) | instid1(SALU_CYCLE_1)
	s_and_not1_b32 s1, s52, exec_lo
	s_and_b32 s22, s22, exec_lo
	s_or_b32 s54, s1, s22
	s_or_not1_b32 s22, s9, exec_lo
.LBB127_4442:
	s_or_b32 exec_lo, exec_lo, s0
	s_mov_b32 s1, 0
	s_mov_b32 s9, 0
                                        ; implicit-def: $vgpr42_vgpr43
                                        ; implicit-def: $sgpr0
	s_and_saveexec_b32 s55, s22
	s_cbranch_execz .LBB127_5092
; %bb.4443:
	v_mov_b32_e32 v31, 0
	s_cmp_lt_i32 s57, 11
	s_delay_alu instid0(VALU_DEP_1)
	v_add_nc_u64_e32 v[32:33], s[6:7], v[30:31]
	s_cbranch_scc1 .LBB127_4451
; %bb.4444:
	s_cmp_gt_i32 s57, 25
	s_cbranch_scc0 .LBB127_4452
; %bb.4445:
	s_cmp_gt_i32 s57, 28
	s_cbranch_scc0 .LBB127_4453
	;; [unrolled: 3-line block ×4, first 2 shown]
; %bb.4448:
	s_cmp_eq_u32 s57, 46
	s_mov_b32 s22, 0
	s_cbranch_scc0 .LBB127_4457
; %bb.4449:
	global_load_b32 v1, v[32:33], off
	s_mov_b32 s0, 0
	s_mov_b32 s9, -1
	s_wait_loadcnt 0x0
	v_lshlrev_b32_e32 v1, 16, v1
	s_delay_alu instid0(VALU_DEP_1) | instskip(NEXT) | instid1(VALU_DEP_1)
	v_trunc_f32_e32 v1, v1
	v_mul_f32_e64 v3, 0x2f800000, |v1|
	v_ashrrev_i32_e32 v30, 31, v1
	s_delay_alu instid0(VALU_DEP_2) | instskip(NEXT) | instid1(VALU_DEP_2)
	v_floor_f32_e32 v3, v3
	v_mov_b32_e32 v31, v30
	s_delay_alu instid0(VALU_DEP_2) | instskip(SKIP_1) | instid1(VALU_DEP_2)
	v_fma_f32 v5, 0xcf800000, v3, |v1|
	v_cvt_u32_f32_e32 v1, v3
	v_cvt_u32_f32_e32 v3, v5
	s_delay_alu instid0(VALU_DEP_2) | instskip(NEXT) | instid1(VALU_DEP_2)
	v_xor_b32_e32 v35, v1, v30
	v_xor_b32_e32 v34, v3, v30
	s_delay_alu instid0(VALU_DEP_1)
	v_sub_nc_u64_e32 v[30:31], v[34:35], v[30:31]
	s_branch .LBB127_4459
.LBB127_4450:
	s_or_b32 s45, s45, exec_lo
	s_trap 2
	s_cbranch_execz .LBB127_4364
	s_branch .LBB127_4365
.LBB127_4451:
	s_mov_b32 s0, -1
	s_mov_b32 s56, s54
                                        ; implicit-def: $vgpr30_vgpr31
	s_branch .LBB127_4521
.LBB127_4452:
	s_mov_b32 s22, -1
	s_mov_b32 s0, 0
                                        ; implicit-def: $vgpr30_vgpr31
	s_branch .LBB127_4486
.LBB127_4453:
	s_mov_b32 s22, -1
	s_mov_b32 s0, 0
                                        ; implicit-def: $vgpr30_vgpr31
	s_branch .LBB127_4469
.LBB127_4454:
	s_mov_b32 s22, -1
	s_mov_b32 s0, 0
                                        ; implicit-def: $vgpr30_vgpr31
	s_branch .LBB127_4464
.LBB127_4455:
	s_or_b32 s22, s52, exec_lo
	s_xor_b32 s9, exec_lo, -1
	s_trap 2
	s_branch .LBB127_4441
.LBB127_4456:
	s_mov_b32 s22, -1
	s_mov_b32 s0, 0
	s_branch .LBB127_4458
.LBB127_4457:
	s_mov_b32 s0, -1
.LBB127_4458:
                                        ; implicit-def: $vgpr30_vgpr31
.LBB127_4459:
	s_and_b32 vcc_lo, exec_lo, s22
	s_cbranch_vccz .LBB127_4463
; %bb.4460:
	s_cmp_eq_u32 s57, 44
	s_cbranch_scc0 .LBB127_4462
; %bb.4461:
	global_load_u8 v1, v[32:33], off
	s_mov_b32 s0, 0
	s_mov_b32 s9, -1
	s_wait_loadcnt 0x0
	v_lshlrev_b32_e32 v3, 23, v1
	v_cmp_ne_u32_e32 vcc_lo, 0, v1
	s_delay_alu instid0(VALU_DEP_2) | instskip(NEXT) | instid1(VALU_DEP_1)
	v_trunc_f32_e32 v3, v3
	v_mul_f32_e64 v5, 0x2f800000, |v3|
	v_ashrrev_i32_e32 v30, 31, v3
	s_delay_alu instid0(VALU_DEP_2) | instskip(NEXT) | instid1(VALU_DEP_2)
	v_floor_f32_e32 v5, v5
	v_mov_b32_e32 v31, v30
	s_delay_alu instid0(VALU_DEP_2) | instskip(SKIP_1) | instid1(VALU_DEP_2)
	v_fma_f32 v7, 0xcf800000, v5, |v3|
	v_cvt_u32_f32_e32 v3, v5
	v_cvt_u32_f32_e32 v5, v7
	s_delay_alu instid0(VALU_DEP_2) | instskip(NEXT) | instid1(VALU_DEP_2)
	v_xor_b32_e32 v35, v3, v30
	v_xor_b32_e32 v34, v5, v30
	s_delay_alu instid0(VALU_DEP_1) | instskip(NEXT) | instid1(VALU_DEP_1)
	v_sub_nc_u64_e32 v[30:31], v[34:35], v[30:31]
	v_dual_cndmask_b32 v31, 0, v31 :: v_dual_cndmask_b32 v30, 0, v30
	s_branch .LBB127_4463
.LBB127_4462:
	s_mov_b32 s0, -1
                                        ; implicit-def: $vgpr30_vgpr31
.LBB127_4463:
	s_mov_b32 s22, 0
.LBB127_4464:
	s_delay_alu instid0(SALU_CYCLE_1)
	s_and_b32 vcc_lo, exec_lo, s22
	s_cbranch_vccz .LBB127_4468
; %bb.4465:
	s_cmp_eq_u32 s57, 29
	s_cbranch_scc0 .LBB127_4467
; %bb.4466:
	global_load_b64 v[30:31], v[32:33], off
	s_mov_b32 s0, 0
	s_mov_b32 s9, -1
	s_branch .LBB127_4468
.LBB127_4467:
	s_mov_b32 s0, -1
                                        ; implicit-def: $vgpr30_vgpr31
.LBB127_4468:
	s_mov_b32 s22, 0
.LBB127_4469:
	s_delay_alu instid0(SALU_CYCLE_1)
	s_and_b32 vcc_lo, exec_lo, s22
	s_cbranch_vccz .LBB127_4485
; %bb.4470:
	s_cmp_lt_i32 s57, 27
	s_cbranch_scc1 .LBB127_4473
; %bb.4471:
	s_cmp_gt_i32 s57, 27
	s_cbranch_scc0 .LBB127_4474
; %bb.4472:
	s_wait_loadcnt 0x0
	global_load_b32 v30, v[32:33], off
	v_mov_b32_e32 v31, 0
	s_mov_b32 s9, 0
	s_branch .LBB127_4475
.LBB127_4473:
	s_mov_b32 s9, -1
                                        ; implicit-def: $vgpr30_vgpr31
	s_branch .LBB127_4478
.LBB127_4474:
	s_mov_b32 s9, -1
                                        ; implicit-def: $vgpr30_vgpr31
.LBB127_4475:
	s_delay_alu instid0(SALU_CYCLE_1)
	s_and_not1_b32 vcc_lo, exec_lo, s9
	s_cbranch_vccnz .LBB127_4477
; %bb.4476:
	global_load_u16 v1, v[32:33], off
	s_mov_b32 s9, 0
	s_wait_loadcnt 0x1
	v_mov_b32_e32 v31, s9
	s_wait_loadcnt 0x0
	v_and_b32_e32 v30, 0xffff, v1
.LBB127_4477:
	s_mov_b32 s9, 0
.LBB127_4478:
	s_delay_alu instid0(SALU_CYCLE_1)
	s_and_not1_b32 vcc_lo, exec_lo, s9
	s_cbranch_vccnz .LBB127_4484
; %bb.4479:
	global_load_u8 v1, v[32:33], off
	s_mov_b32 s22, 0
	s_mov_b32 s9, exec_lo
	s_wait_loadcnt 0x0
	v_cmpx_lt_i16_e32 0x7f, v1
	s_xor_b32 s9, exec_lo, s9
	s_cbranch_execz .LBB127_4496
; %bb.4480:
	v_cmp_ne_u16_e32 vcc_lo, 0x80, v1
	s_and_b32 s22, vcc_lo, exec_lo
	s_and_not1_saveexec_b32 s9, s9
	s_cbranch_execnz .LBB127_4497
.LBB127_4481:
	s_or_b32 exec_lo, exec_lo, s9
	v_mov_b64_e32 v[30:31], 0
	s_and_saveexec_b32 s9, s22
	s_cbranch_execz .LBB127_4483
.LBB127_4482:
	v_and_b32_e32 v3, 0xffff, v1
	s_delay_alu instid0(VALU_DEP_1) | instskip(SKIP_1) | instid1(VALU_DEP_2)
	v_dual_lshlrev_b32 v1, 24, v1 :: v_dual_bitop2_b32 v5, 7, v3 bitop3:0x40
	v_bfe_u32 v15, v3, 3, 4
	v_and_b32_e32 v1, 0x80000000, v1
	s_delay_alu instid0(VALU_DEP_3) | instskip(NEXT) | instid1(VALU_DEP_3)
	v_clz_i32_u32_e32 v7, v5
	v_cmp_eq_u32_e32 vcc_lo, 0, v15
	s_delay_alu instid0(VALU_DEP_2) | instskip(NEXT) | instid1(VALU_DEP_1)
	v_min_u32_e32 v7, 32, v7
	v_subrev_nc_u32_e32 v11, 28, v7
	v_sub_nc_u32_e32 v7, 29, v7
	s_delay_alu instid0(VALU_DEP_2) | instskip(NEXT) | instid1(VALU_DEP_2)
	v_lshlrev_b32_e32 v3, v11, v3
	v_cndmask_b32_e32 v7, v15, v7, vcc_lo
	s_delay_alu instid0(VALU_DEP_2) | instskip(NEXT) | instid1(VALU_DEP_1)
	v_and_b32_e32 v3, 7, v3
	v_cndmask_b32_e32 v3, v5, v3, vcc_lo
	s_delay_alu instid0(VALU_DEP_3) | instskip(NEXT) | instid1(VALU_DEP_2)
	v_lshl_add_u32 v5, v7, 23, 0x3b800000
	v_lshlrev_b32_e32 v3, 20, v3
	s_delay_alu instid0(VALU_DEP_1) | instskip(NEXT) | instid1(VALU_DEP_1)
	v_or3_b32 v1, v1, v5, v3
	v_trunc_f32_e32 v1, v1
	s_delay_alu instid0(VALU_DEP_1) | instskip(SKIP_1) | instid1(VALU_DEP_2)
	v_mul_f32_e64 v3, 0x2f800000, |v1|
	v_ashrrev_i32_e32 v30, 31, v1
	v_floor_f32_e32 v3, v3
	s_delay_alu instid0(VALU_DEP_2) | instskip(NEXT) | instid1(VALU_DEP_2)
	v_mov_b32_e32 v31, v30
	v_fma_f32 v5, 0xcf800000, v3, |v1|
	v_cvt_u32_f32_e32 v1, v3
	s_delay_alu instid0(VALU_DEP_2) | instskip(NEXT) | instid1(VALU_DEP_2)
	v_cvt_u32_f32_e32 v3, v5
	v_xor_b32_e32 v35, v1, v30
	s_delay_alu instid0(VALU_DEP_2) | instskip(NEXT) | instid1(VALU_DEP_1)
	v_xor_b32_e32 v34, v3, v30
	v_sub_nc_u64_e32 v[30:31], v[34:35], v[30:31]
.LBB127_4483:
	s_or_b32 exec_lo, exec_lo, s9
.LBB127_4484:
	s_mov_b32 s9, -1
.LBB127_4485:
	s_mov_b32 s22, 0
.LBB127_4486:
	s_delay_alu instid0(SALU_CYCLE_1)
	s_and_b32 vcc_lo, exec_lo, s22
	s_cbranch_vccz .LBB127_4517
; %bb.4487:
	s_cmp_gt_i32 s57, 22
	s_cbranch_scc0 .LBB127_4495
; %bb.4488:
	s_cmp_lt_i32 s57, 24
	s_cbranch_scc1 .LBB127_4498
; %bb.4489:
	s_cmp_gt_i32 s57, 24
	s_cbranch_scc0 .LBB127_4499
; %bb.4490:
	global_load_u8 v1, v[32:33], off
	s_mov_b32 s9, 0
	s_mov_b32 s1, exec_lo
	s_wait_loadcnt 0x0
	v_cmpx_lt_i16_e32 0x7f, v1
	s_xor_b32 s1, exec_lo, s1
	s_cbranch_execz .LBB127_4511
; %bb.4491:
	v_cmp_ne_u16_e32 vcc_lo, 0x80, v1
	s_and_b32 s9, vcc_lo, exec_lo
	s_and_not1_saveexec_b32 s1, s1
	s_cbranch_execnz .LBB127_4512
.LBB127_4492:
	s_or_b32 exec_lo, exec_lo, s1
	v_mov_b64_e32 v[30:31], 0
	s_and_saveexec_b32 s1, s9
	s_cbranch_execz .LBB127_4494
.LBB127_4493:
	v_and_b32_e32 v3, 0xffff, v1
	s_delay_alu instid0(VALU_DEP_1) | instskip(SKIP_1) | instid1(VALU_DEP_2)
	v_dual_lshlrev_b32 v1, 24, v1 :: v_dual_bitop2_b32 v5, 3, v3 bitop3:0x40
	v_bfe_u32 v15, v3, 2, 5
	v_and_b32_e32 v1, 0x80000000, v1
	s_delay_alu instid0(VALU_DEP_3) | instskip(NEXT) | instid1(VALU_DEP_3)
	v_clz_i32_u32_e32 v7, v5
	v_cmp_eq_u32_e32 vcc_lo, 0, v15
	s_delay_alu instid0(VALU_DEP_2) | instskip(NEXT) | instid1(VALU_DEP_1)
	v_min_u32_e32 v7, 32, v7
	v_subrev_nc_u32_e32 v11, 29, v7
	v_sub_nc_u32_e32 v7, 30, v7
	s_delay_alu instid0(VALU_DEP_2) | instskip(NEXT) | instid1(VALU_DEP_2)
	v_lshlrev_b32_e32 v3, v11, v3
	v_cndmask_b32_e32 v7, v15, v7, vcc_lo
	s_delay_alu instid0(VALU_DEP_2) | instskip(NEXT) | instid1(VALU_DEP_1)
	v_and_b32_e32 v3, 3, v3
	v_cndmask_b32_e32 v3, v5, v3, vcc_lo
	s_delay_alu instid0(VALU_DEP_3) | instskip(NEXT) | instid1(VALU_DEP_2)
	v_lshl_add_u32 v5, v7, 23, 0x37800000
	v_lshlrev_b32_e32 v3, 21, v3
	s_delay_alu instid0(VALU_DEP_1) | instskip(NEXT) | instid1(VALU_DEP_1)
	v_or3_b32 v1, v1, v5, v3
	v_trunc_f32_e32 v1, v1
	s_delay_alu instid0(VALU_DEP_1) | instskip(SKIP_1) | instid1(VALU_DEP_2)
	v_mul_f32_e64 v3, 0x2f800000, |v1|
	v_ashrrev_i32_e32 v30, 31, v1
	v_floor_f32_e32 v3, v3
	s_delay_alu instid0(VALU_DEP_2) | instskip(NEXT) | instid1(VALU_DEP_2)
	v_mov_b32_e32 v31, v30
	v_fma_f32 v5, 0xcf800000, v3, |v1|
	v_cvt_u32_f32_e32 v1, v3
	s_delay_alu instid0(VALU_DEP_2) | instskip(NEXT) | instid1(VALU_DEP_2)
	v_cvt_u32_f32_e32 v3, v5
	v_xor_b32_e32 v35, v1, v30
	s_delay_alu instid0(VALU_DEP_2) | instskip(NEXT) | instid1(VALU_DEP_1)
	v_xor_b32_e32 v34, v3, v30
	v_sub_nc_u64_e32 v[30:31], v[34:35], v[30:31]
.LBB127_4494:
	s_or_b32 exec_lo, exec_lo, s1
	s_mov_b32 s1, 0
	s_branch .LBB127_4500
.LBB127_4495:
	s_mov_b32 s1, -1
                                        ; implicit-def: $vgpr30_vgpr31
	s_branch .LBB127_4506
.LBB127_4496:
	s_and_not1_saveexec_b32 s9, s9
	s_cbranch_execz .LBB127_4481
.LBB127_4497:
	v_cmp_ne_u16_e32 vcc_lo, 0, v1
	s_and_not1_b32 s22, s22, exec_lo
	s_and_b32 s23, vcc_lo, exec_lo
	s_delay_alu instid0(SALU_CYCLE_1)
	s_or_b32 s22, s22, s23
	s_or_b32 exec_lo, exec_lo, s9
	v_mov_b64_e32 v[30:31], 0
	s_and_saveexec_b32 s9, s22
	s_cbranch_execnz .LBB127_4482
	s_branch .LBB127_4483
.LBB127_4498:
	s_mov_b32 s1, -1
                                        ; implicit-def: $vgpr30_vgpr31
	s_branch .LBB127_4503
.LBB127_4499:
	s_mov_b32 s1, -1
                                        ; implicit-def: $vgpr30_vgpr31
.LBB127_4500:
	s_delay_alu instid0(SALU_CYCLE_1)
	s_and_b32 vcc_lo, exec_lo, s1
	s_cbranch_vccz .LBB127_4502
; %bb.4501:
	global_load_u8 v1, v[32:33], off
	s_wait_loadcnt 0x0
	v_lshlrev_b32_e32 v1, 24, v1
	s_delay_alu instid0(VALU_DEP_1) | instskip(NEXT) | instid1(VALU_DEP_1)
	v_and_b32_e32 v3, 0x7f000000, v1
	v_clz_i32_u32_e32 v5, v3
	v_add_nc_u32_e32 v11, 0x1000000, v3
	v_cmp_ne_u32_e32 vcc_lo, 0, v3
	s_delay_alu instid0(VALU_DEP_3) | instskip(NEXT) | instid1(VALU_DEP_1)
	v_min_u32_e32 v5, 32, v5
	v_sub_nc_u32_e64 v5, v5, 4 clamp
	s_delay_alu instid0(VALU_DEP_1) | instskip(NEXT) | instid1(VALU_DEP_1)
	v_dual_lshlrev_b32 v7, v5, v3 :: v_dual_lshlrev_b32 v5, 23, v5
	v_lshrrev_b32_e32 v7, 4, v7
	s_delay_alu instid0(VALU_DEP_1) | instskip(NEXT) | instid1(VALU_DEP_1)
	v_dual_sub_nc_u32 v5, v7, v5 :: v_dual_ashrrev_i32 v7, 8, v11
	v_add_nc_u32_e32 v5, 0x3c000000, v5
	s_delay_alu instid0(VALU_DEP_1) | instskip(NEXT) | instid1(VALU_DEP_1)
	v_and_or_b32 v5, 0x7f800000, v7, v5
	v_cndmask_b32_e32 v3, 0, v5, vcc_lo
	s_delay_alu instid0(VALU_DEP_1) | instskip(NEXT) | instid1(VALU_DEP_1)
	v_and_or_b32 v1, 0x80000000, v1, v3
	v_trunc_f32_e32 v1, v1
	s_delay_alu instid0(VALU_DEP_1) | instskip(SKIP_1) | instid1(VALU_DEP_2)
	v_mul_f32_e64 v3, 0x2f800000, |v1|
	v_ashrrev_i32_e32 v30, 31, v1
	v_floor_f32_e32 v3, v3
	s_delay_alu instid0(VALU_DEP_2) | instskip(NEXT) | instid1(VALU_DEP_2)
	v_mov_b32_e32 v31, v30
	v_fma_f32 v5, 0xcf800000, v3, |v1|
	v_cvt_u32_f32_e32 v1, v3
	s_delay_alu instid0(VALU_DEP_2) | instskip(NEXT) | instid1(VALU_DEP_2)
	v_cvt_u32_f32_e32 v3, v5
	v_xor_b32_e32 v35, v1, v30
	s_delay_alu instid0(VALU_DEP_2) | instskip(NEXT) | instid1(VALU_DEP_1)
	v_xor_b32_e32 v34, v3, v30
	v_sub_nc_u64_e32 v[30:31], v[34:35], v[30:31]
.LBB127_4502:
	s_mov_b32 s1, 0
.LBB127_4503:
	s_delay_alu instid0(SALU_CYCLE_1)
	s_and_not1_b32 vcc_lo, exec_lo, s1
	s_cbranch_vccnz .LBB127_4505
; %bb.4504:
	global_load_u8 v1, v[32:33], off
	s_wait_loadcnt 0x0
	v_lshlrev_b32_e32 v3, 25, v1
	v_lshlrev_b16 v1, 8, v1
	s_delay_alu instid0(VALU_DEP_1) | instskip(SKIP_1) | instid1(VALU_DEP_2)
	v_and_or_b32 v7, 0x7f00, v1, 0.5
	v_bfe_i32 v1, v1, 0, 16
	v_add_f32_e32 v7, -0.5, v7
	v_lshrrev_b32_e32 v5, 4, v3
	v_cmp_gt_u32_e32 vcc_lo, 0x8000000, v3
	s_delay_alu instid0(VALU_DEP_2) | instskip(NEXT) | instid1(VALU_DEP_1)
	v_or_b32_e32 v5, 0x70000000, v5
	v_mul_f32_e32 v5, 0x7800000, v5
	s_delay_alu instid0(VALU_DEP_1) | instskip(NEXT) | instid1(VALU_DEP_1)
	v_cndmask_b32_e32 v3, v5, v7, vcc_lo
	v_and_or_b32 v1, 0x80000000, v1, v3
	s_delay_alu instid0(VALU_DEP_1) | instskip(NEXT) | instid1(VALU_DEP_1)
	v_trunc_f32_e32 v1, v1
	v_mul_f32_e64 v3, 0x2f800000, |v1|
	v_ashrrev_i32_e32 v30, 31, v1
	s_delay_alu instid0(VALU_DEP_2) | instskip(NEXT) | instid1(VALU_DEP_2)
	v_floor_f32_e32 v3, v3
	v_mov_b32_e32 v31, v30
	s_delay_alu instid0(VALU_DEP_2) | instskip(SKIP_1) | instid1(VALU_DEP_2)
	v_fma_f32 v5, 0xcf800000, v3, |v1|
	v_cvt_u32_f32_e32 v1, v3
	v_cvt_u32_f32_e32 v3, v5
	s_delay_alu instid0(VALU_DEP_2) | instskip(NEXT) | instid1(VALU_DEP_2)
	v_xor_b32_e32 v35, v1, v30
	v_xor_b32_e32 v34, v3, v30
	s_delay_alu instid0(VALU_DEP_1)
	v_sub_nc_u64_e32 v[30:31], v[34:35], v[30:31]
.LBB127_4505:
	s_mov_b32 s1, 0
	s_mov_b32 s9, -1
.LBB127_4506:
	s_and_not1_b32 vcc_lo, exec_lo, s1
	s_mov_b32 s1, 0
	s_cbranch_vccnz .LBB127_4517
; %bb.4507:
	s_cmp_gt_i32 s57, 14
	s_cbranch_scc0 .LBB127_4510
; %bb.4508:
	s_cmp_eq_u32 s57, 15
	s_cbranch_scc0 .LBB127_4513
; %bb.4509:
	global_load_u16 v1, v[32:33], off
	s_mov_b32 s0, 0
	s_mov_b32 s9, -1
	s_wait_loadcnt 0x0
	v_lshlrev_b32_e32 v1, 16, v1
	s_delay_alu instid0(VALU_DEP_1) | instskip(NEXT) | instid1(VALU_DEP_1)
	v_trunc_f32_e32 v1, v1
	v_mul_f32_e64 v3, 0x2f800000, |v1|
	v_ashrrev_i32_e32 v30, 31, v1
	s_delay_alu instid0(VALU_DEP_2) | instskip(NEXT) | instid1(VALU_DEP_2)
	v_floor_f32_e32 v3, v3
	v_mov_b32_e32 v31, v30
	s_delay_alu instid0(VALU_DEP_2) | instskip(SKIP_1) | instid1(VALU_DEP_2)
	v_fma_f32 v5, 0xcf800000, v3, |v1|
	v_cvt_u32_f32_e32 v1, v3
	v_cvt_u32_f32_e32 v3, v5
	s_delay_alu instid0(VALU_DEP_2) | instskip(NEXT) | instid1(VALU_DEP_2)
	v_xor_b32_e32 v35, v1, v30
	v_xor_b32_e32 v34, v3, v30
	s_delay_alu instid0(VALU_DEP_1)
	v_sub_nc_u64_e32 v[30:31], v[34:35], v[30:31]
	s_branch .LBB127_4515
.LBB127_4510:
	s_mov_b32 s1, -1
	s_branch .LBB127_4514
.LBB127_4511:
	s_and_not1_saveexec_b32 s1, s1
	s_cbranch_execz .LBB127_4492
.LBB127_4512:
	v_cmp_ne_u16_e32 vcc_lo, 0, v1
	s_and_not1_b32 s9, s9, exec_lo
	s_and_b32 s22, vcc_lo, exec_lo
	s_delay_alu instid0(SALU_CYCLE_1)
	s_or_b32 s9, s9, s22
	s_or_b32 exec_lo, exec_lo, s1
	v_mov_b64_e32 v[30:31], 0
	s_and_saveexec_b32 s1, s9
	s_cbranch_execnz .LBB127_4493
	s_branch .LBB127_4494
.LBB127_4513:
	s_mov_b32 s0, -1
.LBB127_4514:
                                        ; implicit-def: $vgpr30_vgpr31
.LBB127_4515:
	s_and_b32 vcc_lo, exec_lo, s1
	s_mov_b32 s1, 0
	s_cbranch_vccz .LBB127_4517
; %bb.4516:
	s_cmp_lg_u32 s57, 11
	s_mov_b32 s1, -1
	s_cselect_b32 s0, -1, 0
.LBB127_4517:
	s_delay_alu instid0(SALU_CYCLE_1)
	s_and_b32 vcc_lo, exec_lo, s0
	s_mov_b32 s56, s54
	s_cbranch_vccnz .LBB127_4582
; %bb.4518:
	s_and_not1_b32 vcc_lo, exec_lo, s1
	s_cbranch_vccnz .LBB127_4520
.LBB127_4519:
	global_load_u8 v1, v[32:33], off
	s_mov_b32 s0, 0
	s_mov_b32 s9, -1
	s_wait_loadcnt 0x1
	v_mov_b32_e32 v31, s0
	s_wait_loadcnt 0x0
	v_cmp_ne_u16_e32 vcc_lo, 0, v1
	v_cndmask_b32_e64 v30, 0, 1, vcc_lo
.LBB127_4520:
	s_mov_b32 s0, 0
.LBB127_4521:
	s_delay_alu instid0(SALU_CYCLE_1)
	s_and_b32 vcc_lo, exec_lo, s0
	s_cbranch_vccz .LBB127_4570
; %bb.4522:
	s_cmp_lt_i32 s57, 5
	s_cbranch_scc1 .LBB127_4527
; %bb.4523:
	s_cmp_lt_i32 s57, 8
	s_cbranch_scc1 .LBB127_4528
	;; [unrolled: 3-line block ×3, first 2 shown]
; %bb.4525:
	s_cmp_gt_i32 s57, 9
	s_cbranch_scc0 .LBB127_4530
; %bb.4526:
	s_wait_loadcnt 0x0
	global_load_b64 v[30:31], v[32:33], off
	s_mov_b32 s0, 0
	s_wait_loadcnt 0x0
	v_trunc_f64_e32 v[30:31], v[30:31]
	s_delay_alu instid0(VALU_DEP_1) | instskip(NEXT) | instid1(VALU_DEP_1)
	v_ldexp_f64 v[34:35], v[30:31], 0xffffffe0
	v_floor_f64_e32 v[34:35], v[34:35]
	s_delay_alu instid0(VALU_DEP_1) | instskip(SKIP_1) | instid1(VALU_DEP_2)
	v_fmamk_f64 v[36:37], v[34:35], 0xc1f00000, v[30:31]
	v_cvt_i32_f64_e32 v31, v[34:35]
	v_cvt_u32_f64_e32 v30, v[36:37]
	s_branch .LBB127_4531
.LBB127_4527:
	s_mov_b32 s0, -1
                                        ; implicit-def: $vgpr30_vgpr31
	s_branch .LBB127_4549
.LBB127_4528:
	s_mov_b32 s0, -1
                                        ; implicit-def: $vgpr30_vgpr31
	s_branch .LBB127_4537
.LBB127_4529:
	s_mov_b32 s0, -1
                                        ; implicit-def: $vgpr30_vgpr31
	s_branch .LBB127_4534
.LBB127_4530:
	s_mov_b32 s0, -1
                                        ; implicit-def: $vgpr30_vgpr31
.LBB127_4531:
	s_delay_alu instid0(SALU_CYCLE_1)
	s_and_not1_b32 vcc_lo, exec_lo, s0
	s_cbranch_vccnz .LBB127_4533
; %bb.4532:
	global_load_b32 v1, v[32:33], off
	s_wait_loadcnt 0x0
	v_trunc_f32_e32 v1, v1
	s_delay_alu instid0(VALU_DEP_1) | instskip(SKIP_1) | instid1(VALU_DEP_2)
	v_mul_f32_e64 v3, 0x2f800000, |v1|
	v_ashrrev_i32_e32 v30, 31, v1
	v_floor_f32_e32 v3, v3
	s_delay_alu instid0(VALU_DEP_1) | instskip(SKIP_1) | instid1(VALU_DEP_4)
	v_fma_f32 v5, 0xcf800000, v3, |v1|
	v_cvt_u32_f32_e32 v1, v3
	v_mov_b32_e32 v31, v30
	s_delay_alu instid0(VALU_DEP_3) | instskip(NEXT) | instid1(VALU_DEP_3)
	v_cvt_u32_f32_e32 v3, v5
	v_xor_b32_e32 v35, v1, v30
	s_delay_alu instid0(VALU_DEP_2) | instskip(NEXT) | instid1(VALU_DEP_1)
	v_xor_b32_e32 v34, v3, v30
	v_sub_nc_u64_e32 v[30:31], v[34:35], v[30:31]
.LBB127_4533:
	s_mov_b32 s0, 0
.LBB127_4534:
	s_delay_alu instid0(SALU_CYCLE_1)
	s_and_not1_b32 vcc_lo, exec_lo, s0
	s_cbranch_vccnz .LBB127_4536
; %bb.4535:
	global_load_b32 v1, v[32:33], off
	s_wait_loadcnt 0x0
	v_cvt_f32_f16_e32 v1, v1
	s_delay_alu instid0(VALU_DEP_1) | instskip(NEXT) | instid1(VALU_DEP_1)
	v_cvt_i32_f32_e32 v30, v1
	v_ashrrev_i32_e32 v31, 31, v30
.LBB127_4536:
	s_mov_b32 s0, 0
.LBB127_4537:
	s_delay_alu instid0(SALU_CYCLE_1)
	s_and_not1_b32 vcc_lo, exec_lo, s0
	s_cbranch_vccnz .LBB127_4548
; %bb.4538:
	s_cmp_lt_i32 s57, 6
	s_cbranch_scc1 .LBB127_4541
; %bb.4539:
	s_cmp_gt_i32 s57, 6
	s_cbranch_scc0 .LBB127_4542
; %bb.4540:
	s_wait_loadcnt 0x0
	global_load_b64 v[30:31], v[32:33], off
	s_mov_b32 s0, 0
	s_wait_loadcnt 0x0
	v_trunc_f64_e32 v[30:31], v[30:31]
	s_delay_alu instid0(VALU_DEP_1) | instskip(NEXT) | instid1(VALU_DEP_1)
	v_ldexp_f64 v[34:35], v[30:31], 0xffffffe0
	v_floor_f64_e32 v[34:35], v[34:35]
	s_delay_alu instid0(VALU_DEP_1) | instskip(SKIP_1) | instid1(VALU_DEP_2)
	v_fmamk_f64 v[36:37], v[34:35], 0xc1f00000, v[30:31]
	v_cvt_i32_f64_e32 v31, v[34:35]
	v_cvt_u32_f64_e32 v30, v[36:37]
	s_branch .LBB127_4543
.LBB127_4541:
	s_mov_b32 s0, -1
                                        ; implicit-def: $vgpr30_vgpr31
	s_branch .LBB127_4546
.LBB127_4542:
	s_mov_b32 s0, -1
                                        ; implicit-def: $vgpr30_vgpr31
.LBB127_4543:
	s_delay_alu instid0(SALU_CYCLE_1)
	s_and_not1_b32 vcc_lo, exec_lo, s0
	s_cbranch_vccnz .LBB127_4545
; %bb.4544:
	global_load_b32 v1, v[32:33], off
	s_wait_loadcnt 0x0
	v_trunc_f32_e32 v1, v1
	s_delay_alu instid0(VALU_DEP_1) | instskip(SKIP_1) | instid1(VALU_DEP_2)
	v_mul_f32_e64 v3, 0x2f800000, |v1|
	v_ashrrev_i32_e32 v30, 31, v1
	v_floor_f32_e32 v3, v3
	s_delay_alu instid0(VALU_DEP_1) | instskip(SKIP_1) | instid1(VALU_DEP_4)
	v_fma_f32 v5, 0xcf800000, v3, |v1|
	v_cvt_u32_f32_e32 v1, v3
	v_mov_b32_e32 v31, v30
	s_delay_alu instid0(VALU_DEP_3) | instskip(NEXT) | instid1(VALU_DEP_3)
	v_cvt_u32_f32_e32 v3, v5
	v_xor_b32_e32 v35, v1, v30
	s_delay_alu instid0(VALU_DEP_2) | instskip(NEXT) | instid1(VALU_DEP_1)
	v_xor_b32_e32 v34, v3, v30
	v_sub_nc_u64_e32 v[30:31], v[34:35], v[30:31]
.LBB127_4545:
	s_mov_b32 s0, 0
.LBB127_4546:
	s_delay_alu instid0(SALU_CYCLE_1)
	s_and_not1_b32 vcc_lo, exec_lo, s0
	s_cbranch_vccnz .LBB127_4548
; %bb.4547:
	global_load_u16 v1, v[32:33], off
	s_wait_loadcnt 0x0
	v_cvt_f32_f16_e32 v1, v1
	s_delay_alu instid0(VALU_DEP_1) | instskip(NEXT) | instid1(VALU_DEP_1)
	v_cvt_i32_f32_e32 v30, v1
	v_ashrrev_i32_e32 v31, 31, v30
.LBB127_4548:
	s_mov_b32 s0, 0
.LBB127_4549:
	s_delay_alu instid0(SALU_CYCLE_1)
	s_and_not1_b32 vcc_lo, exec_lo, s0
	s_cbranch_vccnz .LBB127_4569
; %bb.4550:
	s_cmp_lt_i32 s57, 2
	s_cbranch_scc1 .LBB127_4554
; %bb.4551:
	s_cmp_lt_i32 s57, 3
	s_cbranch_scc1 .LBB127_4555
; %bb.4552:
	s_cmp_gt_i32 s57, 3
	s_cbranch_scc0 .LBB127_4556
; %bb.4553:
	s_wait_loadcnt 0x0
	global_load_b64 v[30:31], v[32:33], off
	s_mov_b32 s0, 0
	s_branch .LBB127_4557
.LBB127_4554:
	s_mov_b32 s0, -1
                                        ; implicit-def: $vgpr30_vgpr31
	s_branch .LBB127_4563
.LBB127_4555:
	s_mov_b32 s0, -1
                                        ; implicit-def: $vgpr30_vgpr31
	s_branch .LBB127_4560
.LBB127_4556:
	s_mov_b32 s0, -1
                                        ; implicit-def: $vgpr30_vgpr31
.LBB127_4557:
	s_delay_alu instid0(SALU_CYCLE_1)
	s_and_not1_b32 vcc_lo, exec_lo, s0
	s_cbranch_vccnz .LBB127_4559
; %bb.4558:
	s_wait_loadcnt 0x0
	global_load_b32 v30, v[32:33], off
	s_wait_loadcnt 0x0
	v_ashrrev_i32_e32 v31, 31, v30
.LBB127_4559:
	s_mov_b32 s0, 0
.LBB127_4560:
	s_delay_alu instid0(SALU_CYCLE_1)
	s_and_not1_b32 vcc_lo, exec_lo, s0
	s_cbranch_vccnz .LBB127_4562
; %bb.4561:
	global_load_u16 v1, v[32:33], off
	s_wait_loadcnt 0x0
	v_bfe_i32 v30, v1, 0, 16
	s_delay_alu instid0(VALU_DEP_1)
	v_ashrrev_i32_e32 v31, 31, v30
.LBB127_4562:
	s_mov_b32 s0, 0
.LBB127_4563:
	s_delay_alu instid0(SALU_CYCLE_1)
	s_and_not1_b32 vcc_lo, exec_lo, s0
	s_cbranch_vccnz .LBB127_4569
; %bb.4564:
	s_cmp_gt_i32 s57, 0
	s_mov_b32 s0, 0
	s_cbranch_scc0 .LBB127_4566
; %bb.4565:
	global_load_i8 v1, v[32:33], off
	s_wait_loadcnt 0x0
	v_bfe_i32 v30, v1, 0, 16
	s_delay_alu instid0(VALU_DEP_1)
	v_ashrrev_i32_e32 v31, 31, v30
	s_branch .LBB127_4567
.LBB127_4566:
	s_mov_b32 s0, -1
                                        ; implicit-def: $vgpr30_vgpr31
.LBB127_4567:
	s_delay_alu instid0(SALU_CYCLE_1)
	s_and_not1_b32 vcc_lo, exec_lo, s0
	s_cbranch_vccnz .LBB127_4569
; %bb.4568:
	global_load_u8 v1, v[32:33], off
	s_mov_b32 s0, 0
	s_wait_loadcnt 0x1
	v_mov_b32_e32 v31, s0
	s_wait_loadcnt 0x0
	v_and_b32_e32 v30, 0xffff, v1
.LBB127_4569:
	s_mov_b32 s9, -1
.LBB127_4570:
	s_delay_alu instid0(SALU_CYCLE_1)
	s_and_not1_b32 vcc_lo, exec_lo, s9
	s_cbranch_vccnz .LBB127_5090
; %bb.4571:
	v_mov_b32_e32 v29, 0
	s_cmp_lt_i32 s58, 11
	s_wait_xcnt 0x0
	s_delay_alu instid0(VALU_DEP_1)
	v_add_nc_u64_e32 v[32:33], s[10:11], v[28:29]
	s_cbranch_scc1 .LBB127_4578
; %bb.4572:
	s_cmp_gt_i32 s58, 25
	s_mov_b32 s1, 0
	s_cbranch_scc0 .LBB127_4579
; %bb.4573:
	s_cmp_gt_i32 s58, 28
	s_cbranch_scc0 .LBB127_4580
; %bb.4574:
	s_cmp_gt_i32 s58, 43
	s_cbranch_scc0 .LBB127_4581
; %bb.4575:
	s_cmp_gt_i32 s58, 45
	s_cbranch_scc0 .LBB127_4583
; %bb.4576:
	s_cmp_eq_u32 s58, 46
	s_mov_b32 s22, 0
	s_cbranch_scc0 .LBB127_4585
; %bb.4577:
	global_load_b32 v1, v[32:33], off
	s_mov_b32 s0, 0
	s_mov_b32 s9, -1
	s_wait_loadcnt 0x0
	v_lshlrev_b32_e32 v1, 16, v1
	s_delay_alu instid0(VALU_DEP_1) | instskip(NEXT) | instid1(VALU_DEP_1)
	v_trunc_f32_e32 v1, v1
	v_mul_f32_e64 v3, 0x2f800000, |v1|
	v_ashrrev_i32_e32 v28, 31, v1
	s_delay_alu instid0(VALU_DEP_2) | instskip(NEXT) | instid1(VALU_DEP_2)
	v_floor_f32_e32 v3, v3
	v_mov_b32_e32 v29, v28
	s_delay_alu instid0(VALU_DEP_2) | instskip(SKIP_1) | instid1(VALU_DEP_2)
	v_fma_f32 v5, 0xcf800000, v3, |v1|
	v_cvt_u32_f32_e32 v1, v3
	v_cvt_u32_f32_e32 v3, v5
	s_delay_alu instid0(VALU_DEP_2) | instskip(NEXT) | instid1(VALU_DEP_2)
	v_xor_b32_e32 v35, v1, v28
	v_xor_b32_e32 v34, v3, v28
	s_delay_alu instid0(VALU_DEP_1)
	v_sub_nc_u64_e32 v[28:29], v[34:35], v[28:29]
	s_branch .LBB127_4587
.LBB127_4578:
	s_mov_b32 s0, -1
	s_mov_b32 s9, 0
                                        ; implicit-def: $vgpr28_vgpr29
	s_branch .LBB127_4649
.LBB127_4579:
	s_mov_b32 s22, -1
	s_mov_b32 s9, 0
	s_mov_b32 s0, 0
                                        ; implicit-def: $vgpr28_vgpr29
	s_branch .LBB127_4614
.LBB127_4580:
	s_mov_b32 s22, -1
	s_mov_b32 s9, 0
	s_mov_b32 s0, 0
                                        ; implicit-def: $vgpr28_vgpr29
	s_branch .LBB127_4597
.LBB127_4581:
	s_mov_b32 s22, -1
	s_mov_b32 s9, 0
	s_mov_b32 s0, 0
                                        ; implicit-def: $vgpr28_vgpr29
	s_branch .LBB127_4592
.LBB127_4582:
	s_or_b32 s56, s54, exec_lo
	s_trap 2
	s_cbranch_execz .LBB127_4519
	s_branch .LBB127_4520
.LBB127_4583:
	s_mov_b32 s22, -1
	s_mov_b32 s9, 0
	s_mov_b32 s0, 0
	s_branch .LBB127_4586
.LBB127_4584:
	s_or_b32 s45, s45, exec_lo
	s_trap 2
                                        ; implicit-def: $vgpr38_vgpr39
                                        ; implicit-def: $vgpr36_vgpr37
                                        ; implicit-def: $vgpr34_vgpr35
                                        ; implicit-def: $vgpr44_vgpr45
                                        ; implicit-def: $vgpr6
                                        ; implicit-def: $vgpr4
                                        ; implicit-def: $vgpr24
                                        ; implicit-def: $vgpr22
                                        ; implicit-def: $vgpr28
                                        ; implicit-def: $vgpr26
                                        ; implicit-def: $vgpr2
                                        ; implicit-def: $vgpr30
                                        ; implicit-def: $vgpr14
                                        ; implicit-def: $vgpr10
                                        ; implicit-def: $vgpr18
                                        ; implicit-def: $vgpr16
                                        ; implicit-def: $vgpr0
                                        ; implicit-def: $vgpr20
                                        ; implicit-def: $vgpr8_vgpr9
                                        ; implicit-def: $vgpr12_vgpr13
	s_branch .LBB127_4417
.LBB127_4585:
	s_mov_b32 s0, -1
	s_mov_b32 s9, 0
.LBB127_4586:
                                        ; implicit-def: $vgpr28_vgpr29
.LBB127_4587:
	s_and_b32 vcc_lo, exec_lo, s22
	s_cbranch_vccz .LBB127_4591
; %bb.4588:
	s_cmp_eq_u32 s58, 44
	s_cbranch_scc0 .LBB127_4590
; %bb.4589:
	global_load_u8 v1, v[32:33], off
	s_mov_b32 s0, 0
	s_mov_b32 s9, -1
	s_wait_loadcnt 0x0
	v_lshlrev_b32_e32 v3, 23, v1
	v_cmp_ne_u32_e32 vcc_lo, 0, v1
	s_delay_alu instid0(VALU_DEP_2) | instskip(NEXT) | instid1(VALU_DEP_1)
	v_trunc_f32_e32 v3, v3
	v_mul_f32_e64 v5, 0x2f800000, |v3|
	v_ashrrev_i32_e32 v28, 31, v3
	s_delay_alu instid0(VALU_DEP_2) | instskip(NEXT) | instid1(VALU_DEP_2)
	v_floor_f32_e32 v5, v5
	v_mov_b32_e32 v29, v28
	s_delay_alu instid0(VALU_DEP_2) | instskip(SKIP_1) | instid1(VALU_DEP_2)
	v_fma_f32 v7, 0xcf800000, v5, |v3|
	v_cvt_u32_f32_e32 v3, v5
	v_cvt_u32_f32_e32 v5, v7
	s_delay_alu instid0(VALU_DEP_2) | instskip(NEXT) | instid1(VALU_DEP_2)
	v_xor_b32_e32 v35, v3, v28
	v_xor_b32_e32 v34, v5, v28
	s_delay_alu instid0(VALU_DEP_1) | instskip(NEXT) | instid1(VALU_DEP_1)
	v_sub_nc_u64_e32 v[28:29], v[34:35], v[28:29]
	v_dual_cndmask_b32 v29, 0, v29 :: v_dual_cndmask_b32 v28, 0, v28
	s_branch .LBB127_4591
.LBB127_4590:
	s_mov_b32 s0, -1
                                        ; implicit-def: $vgpr28_vgpr29
.LBB127_4591:
	s_mov_b32 s22, 0
.LBB127_4592:
	s_delay_alu instid0(SALU_CYCLE_1)
	s_and_b32 vcc_lo, exec_lo, s22
	s_cbranch_vccz .LBB127_4596
; %bb.4593:
	s_cmp_eq_u32 s58, 29
	s_cbranch_scc0 .LBB127_4595
; %bb.4594:
	global_load_b64 v[28:29], v[32:33], off
	s_mov_b32 s0, 0
	s_mov_b32 s9, -1
	s_branch .LBB127_4596
.LBB127_4595:
	s_mov_b32 s0, -1
                                        ; implicit-def: $vgpr28_vgpr29
.LBB127_4596:
	s_mov_b32 s22, 0
.LBB127_4597:
	s_delay_alu instid0(SALU_CYCLE_1)
	s_and_b32 vcc_lo, exec_lo, s22
	s_cbranch_vccz .LBB127_4613
; %bb.4598:
	s_cmp_lt_i32 s58, 27
	s_cbranch_scc1 .LBB127_4601
; %bb.4599:
	s_cmp_gt_i32 s58, 27
	s_cbranch_scc0 .LBB127_4602
; %bb.4600:
	s_wait_loadcnt 0x0
	global_load_b32 v28, v[32:33], off
	v_mov_b32_e32 v29, 0
	s_mov_b32 s9, 0
	s_branch .LBB127_4603
.LBB127_4601:
	s_mov_b32 s9, -1
                                        ; implicit-def: $vgpr28_vgpr29
	s_branch .LBB127_4606
.LBB127_4602:
	s_mov_b32 s9, -1
                                        ; implicit-def: $vgpr28_vgpr29
.LBB127_4603:
	s_delay_alu instid0(SALU_CYCLE_1)
	s_and_not1_b32 vcc_lo, exec_lo, s9
	s_cbranch_vccnz .LBB127_4605
; %bb.4604:
	global_load_u16 v1, v[32:33], off
	s_mov_b32 s9, 0
	s_wait_loadcnt 0x1
	v_mov_b32_e32 v29, s9
	s_wait_loadcnt 0x0
	v_and_b32_e32 v28, 0xffff, v1
.LBB127_4605:
	s_mov_b32 s9, 0
.LBB127_4606:
	s_delay_alu instid0(SALU_CYCLE_1)
	s_and_not1_b32 vcc_lo, exec_lo, s9
	s_cbranch_vccnz .LBB127_4612
; %bb.4607:
	global_load_u8 v1, v[32:33], off
	s_mov_b32 s22, 0
	s_mov_b32 s9, exec_lo
	s_wait_loadcnt 0x0
	v_cmpx_lt_i16_e32 0x7f, v1
	s_xor_b32 s9, exec_lo, s9
	s_cbranch_execz .LBB127_4624
; %bb.4608:
	v_cmp_ne_u16_e32 vcc_lo, 0x80, v1
	s_and_b32 s22, vcc_lo, exec_lo
	s_and_not1_saveexec_b32 s9, s9
	s_cbranch_execnz .LBB127_4625
.LBB127_4609:
	s_or_b32 exec_lo, exec_lo, s9
	v_mov_b64_e32 v[28:29], 0
	s_and_saveexec_b32 s9, s22
	s_cbranch_execz .LBB127_4611
.LBB127_4610:
	v_and_b32_e32 v3, 0xffff, v1
	s_delay_alu instid0(VALU_DEP_1) | instskip(SKIP_1) | instid1(VALU_DEP_2)
	v_dual_lshlrev_b32 v1, 24, v1 :: v_dual_bitop2_b32 v5, 7, v3 bitop3:0x40
	v_bfe_u32 v15, v3, 3, 4
	v_and_b32_e32 v1, 0x80000000, v1
	s_delay_alu instid0(VALU_DEP_3) | instskip(NEXT) | instid1(VALU_DEP_3)
	v_clz_i32_u32_e32 v7, v5
	v_cmp_eq_u32_e32 vcc_lo, 0, v15
	s_delay_alu instid0(VALU_DEP_2) | instskip(NEXT) | instid1(VALU_DEP_1)
	v_min_u32_e32 v7, 32, v7
	v_subrev_nc_u32_e32 v11, 28, v7
	v_sub_nc_u32_e32 v7, 29, v7
	s_delay_alu instid0(VALU_DEP_2) | instskip(NEXT) | instid1(VALU_DEP_2)
	v_lshlrev_b32_e32 v3, v11, v3
	v_cndmask_b32_e32 v7, v15, v7, vcc_lo
	s_delay_alu instid0(VALU_DEP_2) | instskip(NEXT) | instid1(VALU_DEP_1)
	v_and_b32_e32 v3, 7, v3
	v_cndmask_b32_e32 v3, v5, v3, vcc_lo
	s_delay_alu instid0(VALU_DEP_3) | instskip(NEXT) | instid1(VALU_DEP_2)
	v_lshl_add_u32 v5, v7, 23, 0x3b800000
	v_lshlrev_b32_e32 v3, 20, v3
	s_delay_alu instid0(VALU_DEP_1) | instskip(NEXT) | instid1(VALU_DEP_1)
	v_or3_b32 v1, v1, v5, v3
	v_trunc_f32_e32 v1, v1
	s_delay_alu instid0(VALU_DEP_1) | instskip(SKIP_1) | instid1(VALU_DEP_2)
	v_mul_f32_e64 v3, 0x2f800000, |v1|
	v_ashrrev_i32_e32 v28, 31, v1
	v_floor_f32_e32 v3, v3
	s_delay_alu instid0(VALU_DEP_2) | instskip(NEXT) | instid1(VALU_DEP_2)
	v_mov_b32_e32 v29, v28
	v_fma_f32 v5, 0xcf800000, v3, |v1|
	v_cvt_u32_f32_e32 v1, v3
	s_delay_alu instid0(VALU_DEP_2) | instskip(NEXT) | instid1(VALU_DEP_2)
	v_cvt_u32_f32_e32 v3, v5
	v_xor_b32_e32 v35, v1, v28
	s_delay_alu instid0(VALU_DEP_2) | instskip(NEXT) | instid1(VALU_DEP_1)
	v_xor_b32_e32 v34, v3, v28
	v_sub_nc_u64_e32 v[28:29], v[34:35], v[28:29]
.LBB127_4611:
	s_or_b32 exec_lo, exec_lo, s9
.LBB127_4612:
	s_mov_b32 s9, -1
.LBB127_4613:
	s_mov_b32 s22, 0
.LBB127_4614:
	s_delay_alu instid0(SALU_CYCLE_1)
	s_and_b32 vcc_lo, exec_lo, s22
	s_cbranch_vccz .LBB127_4645
; %bb.4615:
	s_cmp_gt_i32 s58, 22
	s_cbranch_scc0 .LBB127_4623
; %bb.4616:
	s_cmp_lt_i32 s58, 24
	s_cbranch_scc1 .LBB127_4626
; %bb.4617:
	s_cmp_gt_i32 s58, 24
	s_cbranch_scc0 .LBB127_4627
; %bb.4618:
	global_load_u8 v1, v[32:33], off
	s_mov_b32 s9, 0
	s_mov_b32 s1, exec_lo
	s_wait_loadcnt 0x0
	v_cmpx_lt_i16_e32 0x7f, v1
	s_xor_b32 s1, exec_lo, s1
	s_cbranch_execz .LBB127_4639
; %bb.4619:
	v_cmp_ne_u16_e32 vcc_lo, 0x80, v1
	s_and_b32 s9, vcc_lo, exec_lo
	s_and_not1_saveexec_b32 s1, s1
	s_cbranch_execnz .LBB127_4640
.LBB127_4620:
	s_or_b32 exec_lo, exec_lo, s1
	v_mov_b64_e32 v[28:29], 0
	s_and_saveexec_b32 s1, s9
	s_cbranch_execz .LBB127_4622
.LBB127_4621:
	v_and_b32_e32 v3, 0xffff, v1
	s_delay_alu instid0(VALU_DEP_1) | instskip(SKIP_1) | instid1(VALU_DEP_2)
	v_dual_lshlrev_b32 v1, 24, v1 :: v_dual_bitop2_b32 v5, 3, v3 bitop3:0x40
	v_bfe_u32 v15, v3, 2, 5
	v_and_b32_e32 v1, 0x80000000, v1
	s_delay_alu instid0(VALU_DEP_3) | instskip(NEXT) | instid1(VALU_DEP_3)
	v_clz_i32_u32_e32 v7, v5
	v_cmp_eq_u32_e32 vcc_lo, 0, v15
	s_delay_alu instid0(VALU_DEP_2) | instskip(NEXT) | instid1(VALU_DEP_1)
	v_min_u32_e32 v7, 32, v7
	v_subrev_nc_u32_e32 v11, 29, v7
	v_sub_nc_u32_e32 v7, 30, v7
	s_delay_alu instid0(VALU_DEP_2) | instskip(NEXT) | instid1(VALU_DEP_2)
	v_lshlrev_b32_e32 v3, v11, v3
	v_cndmask_b32_e32 v7, v15, v7, vcc_lo
	s_delay_alu instid0(VALU_DEP_2) | instskip(NEXT) | instid1(VALU_DEP_1)
	v_and_b32_e32 v3, 3, v3
	v_cndmask_b32_e32 v3, v5, v3, vcc_lo
	s_delay_alu instid0(VALU_DEP_3) | instskip(NEXT) | instid1(VALU_DEP_2)
	v_lshl_add_u32 v5, v7, 23, 0x37800000
	v_lshlrev_b32_e32 v3, 21, v3
	s_delay_alu instid0(VALU_DEP_1) | instskip(NEXT) | instid1(VALU_DEP_1)
	v_or3_b32 v1, v1, v5, v3
	v_trunc_f32_e32 v1, v1
	s_delay_alu instid0(VALU_DEP_1) | instskip(SKIP_1) | instid1(VALU_DEP_2)
	v_mul_f32_e64 v3, 0x2f800000, |v1|
	v_ashrrev_i32_e32 v28, 31, v1
	v_floor_f32_e32 v3, v3
	s_delay_alu instid0(VALU_DEP_2) | instskip(NEXT) | instid1(VALU_DEP_2)
	v_mov_b32_e32 v29, v28
	v_fma_f32 v5, 0xcf800000, v3, |v1|
	v_cvt_u32_f32_e32 v1, v3
	s_delay_alu instid0(VALU_DEP_2) | instskip(NEXT) | instid1(VALU_DEP_2)
	v_cvt_u32_f32_e32 v3, v5
	v_xor_b32_e32 v35, v1, v28
	s_delay_alu instid0(VALU_DEP_2) | instskip(NEXT) | instid1(VALU_DEP_1)
	v_xor_b32_e32 v34, v3, v28
	v_sub_nc_u64_e32 v[28:29], v[34:35], v[28:29]
.LBB127_4622:
	s_or_b32 exec_lo, exec_lo, s1
	s_mov_b32 s1, 0
	s_branch .LBB127_4628
.LBB127_4623:
	s_mov_b32 s1, -1
                                        ; implicit-def: $vgpr28_vgpr29
	s_branch .LBB127_4634
.LBB127_4624:
	s_and_not1_saveexec_b32 s9, s9
	s_cbranch_execz .LBB127_4609
.LBB127_4625:
	v_cmp_ne_u16_e32 vcc_lo, 0, v1
	s_and_not1_b32 s22, s22, exec_lo
	s_and_b32 s23, vcc_lo, exec_lo
	s_delay_alu instid0(SALU_CYCLE_1)
	s_or_b32 s22, s22, s23
	s_or_b32 exec_lo, exec_lo, s9
	v_mov_b64_e32 v[28:29], 0
	s_and_saveexec_b32 s9, s22
	s_cbranch_execnz .LBB127_4610
	s_branch .LBB127_4611
.LBB127_4626:
	s_mov_b32 s1, -1
                                        ; implicit-def: $vgpr28_vgpr29
	s_branch .LBB127_4631
.LBB127_4627:
	s_mov_b32 s1, -1
                                        ; implicit-def: $vgpr28_vgpr29
.LBB127_4628:
	s_delay_alu instid0(SALU_CYCLE_1)
	s_and_b32 vcc_lo, exec_lo, s1
	s_cbranch_vccz .LBB127_4630
; %bb.4629:
	global_load_u8 v1, v[32:33], off
	s_wait_loadcnt 0x0
	v_lshlrev_b32_e32 v1, 24, v1
	s_delay_alu instid0(VALU_DEP_1) | instskip(NEXT) | instid1(VALU_DEP_1)
	v_and_b32_e32 v3, 0x7f000000, v1
	v_clz_i32_u32_e32 v5, v3
	v_add_nc_u32_e32 v11, 0x1000000, v3
	v_cmp_ne_u32_e32 vcc_lo, 0, v3
	s_delay_alu instid0(VALU_DEP_3) | instskip(NEXT) | instid1(VALU_DEP_1)
	v_min_u32_e32 v5, 32, v5
	v_sub_nc_u32_e64 v5, v5, 4 clamp
	s_delay_alu instid0(VALU_DEP_1) | instskip(NEXT) | instid1(VALU_DEP_1)
	v_dual_lshlrev_b32 v7, v5, v3 :: v_dual_lshlrev_b32 v5, 23, v5
	v_lshrrev_b32_e32 v7, 4, v7
	s_delay_alu instid0(VALU_DEP_1) | instskip(NEXT) | instid1(VALU_DEP_1)
	v_dual_sub_nc_u32 v5, v7, v5 :: v_dual_ashrrev_i32 v7, 8, v11
	v_add_nc_u32_e32 v5, 0x3c000000, v5
	s_delay_alu instid0(VALU_DEP_1) | instskip(NEXT) | instid1(VALU_DEP_1)
	v_and_or_b32 v5, 0x7f800000, v7, v5
	v_cndmask_b32_e32 v3, 0, v5, vcc_lo
	s_delay_alu instid0(VALU_DEP_1) | instskip(NEXT) | instid1(VALU_DEP_1)
	v_and_or_b32 v1, 0x80000000, v1, v3
	v_trunc_f32_e32 v1, v1
	s_delay_alu instid0(VALU_DEP_1) | instskip(SKIP_1) | instid1(VALU_DEP_2)
	v_mul_f32_e64 v3, 0x2f800000, |v1|
	v_ashrrev_i32_e32 v28, 31, v1
	v_floor_f32_e32 v3, v3
	s_delay_alu instid0(VALU_DEP_2) | instskip(NEXT) | instid1(VALU_DEP_2)
	v_mov_b32_e32 v29, v28
	v_fma_f32 v5, 0xcf800000, v3, |v1|
	v_cvt_u32_f32_e32 v1, v3
	s_delay_alu instid0(VALU_DEP_2) | instskip(NEXT) | instid1(VALU_DEP_2)
	v_cvt_u32_f32_e32 v3, v5
	v_xor_b32_e32 v35, v1, v28
	s_delay_alu instid0(VALU_DEP_2) | instskip(NEXT) | instid1(VALU_DEP_1)
	v_xor_b32_e32 v34, v3, v28
	v_sub_nc_u64_e32 v[28:29], v[34:35], v[28:29]
.LBB127_4630:
	s_mov_b32 s1, 0
.LBB127_4631:
	s_delay_alu instid0(SALU_CYCLE_1)
	s_and_not1_b32 vcc_lo, exec_lo, s1
	s_cbranch_vccnz .LBB127_4633
; %bb.4632:
	global_load_u8 v1, v[32:33], off
	s_wait_loadcnt 0x0
	v_lshlrev_b32_e32 v3, 25, v1
	v_lshlrev_b16 v1, 8, v1
	s_delay_alu instid0(VALU_DEP_1) | instskip(SKIP_1) | instid1(VALU_DEP_2)
	v_and_or_b32 v7, 0x7f00, v1, 0.5
	v_bfe_i32 v1, v1, 0, 16
	v_add_f32_e32 v7, -0.5, v7
	v_lshrrev_b32_e32 v5, 4, v3
	v_cmp_gt_u32_e32 vcc_lo, 0x8000000, v3
	s_delay_alu instid0(VALU_DEP_2) | instskip(NEXT) | instid1(VALU_DEP_1)
	v_or_b32_e32 v5, 0x70000000, v5
	v_mul_f32_e32 v5, 0x7800000, v5
	s_delay_alu instid0(VALU_DEP_1) | instskip(NEXT) | instid1(VALU_DEP_1)
	v_cndmask_b32_e32 v3, v5, v7, vcc_lo
	v_and_or_b32 v1, 0x80000000, v1, v3
	s_delay_alu instid0(VALU_DEP_1) | instskip(NEXT) | instid1(VALU_DEP_1)
	v_trunc_f32_e32 v1, v1
	v_mul_f32_e64 v3, 0x2f800000, |v1|
	v_ashrrev_i32_e32 v28, 31, v1
	s_delay_alu instid0(VALU_DEP_2) | instskip(NEXT) | instid1(VALU_DEP_2)
	v_floor_f32_e32 v3, v3
	v_mov_b32_e32 v29, v28
	s_delay_alu instid0(VALU_DEP_2) | instskip(SKIP_1) | instid1(VALU_DEP_2)
	v_fma_f32 v5, 0xcf800000, v3, |v1|
	v_cvt_u32_f32_e32 v1, v3
	v_cvt_u32_f32_e32 v3, v5
	s_delay_alu instid0(VALU_DEP_2) | instskip(NEXT) | instid1(VALU_DEP_2)
	v_xor_b32_e32 v35, v1, v28
	v_xor_b32_e32 v34, v3, v28
	s_delay_alu instid0(VALU_DEP_1)
	v_sub_nc_u64_e32 v[28:29], v[34:35], v[28:29]
.LBB127_4633:
	s_mov_b32 s1, 0
	s_mov_b32 s9, -1
.LBB127_4634:
	s_and_not1_b32 vcc_lo, exec_lo, s1
	s_mov_b32 s1, 0
	s_cbranch_vccnz .LBB127_4645
; %bb.4635:
	s_cmp_gt_i32 s58, 14
	s_cbranch_scc0 .LBB127_4638
; %bb.4636:
	s_cmp_eq_u32 s58, 15
	s_cbranch_scc0 .LBB127_4641
; %bb.4637:
	global_load_u16 v1, v[32:33], off
	s_mov_b32 s0, 0
	s_mov_b32 s9, -1
	s_wait_loadcnt 0x0
	v_lshlrev_b32_e32 v1, 16, v1
	s_delay_alu instid0(VALU_DEP_1) | instskip(NEXT) | instid1(VALU_DEP_1)
	v_trunc_f32_e32 v1, v1
	v_mul_f32_e64 v3, 0x2f800000, |v1|
	v_ashrrev_i32_e32 v28, 31, v1
	s_delay_alu instid0(VALU_DEP_2) | instskip(NEXT) | instid1(VALU_DEP_2)
	v_floor_f32_e32 v3, v3
	v_mov_b32_e32 v29, v28
	s_delay_alu instid0(VALU_DEP_2) | instskip(SKIP_1) | instid1(VALU_DEP_2)
	v_fma_f32 v5, 0xcf800000, v3, |v1|
	v_cvt_u32_f32_e32 v1, v3
	v_cvt_u32_f32_e32 v3, v5
	s_delay_alu instid0(VALU_DEP_2) | instskip(NEXT) | instid1(VALU_DEP_2)
	v_xor_b32_e32 v35, v1, v28
	v_xor_b32_e32 v34, v3, v28
	s_delay_alu instid0(VALU_DEP_1)
	v_sub_nc_u64_e32 v[28:29], v[34:35], v[28:29]
	s_branch .LBB127_4643
.LBB127_4638:
	s_mov_b32 s1, -1
	s_branch .LBB127_4642
.LBB127_4639:
	s_and_not1_saveexec_b32 s1, s1
	s_cbranch_execz .LBB127_4620
.LBB127_4640:
	v_cmp_ne_u16_e32 vcc_lo, 0, v1
	s_and_not1_b32 s9, s9, exec_lo
	s_and_b32 s22, vcc_lo, exec_lo
	s_delay_alu instid0(SALU_CYCLE_1)
	s_or_b32 s9, s9, s22
	s_or_b32 exec_lo, exec_lo, s1
	v_mov_b64_e32 v[28:29], 0
	s_and_saveexec_b32 s1, s9
	s_cbranch_execnz .LBB127_4621
	s_branch .LBB127_4622
.LBB127_4641:
	s_mov_b32 s0, -1
.LBB127_4642:
                                        ; implicit-def: $vgpr28_vgpr29
.LBB127_4643:
	s_and_b32 vcc_lo, exec_lo, s1
	s_mov_b32 s1, 0
	s_cbranch_vccz .LBB127_4645
; %bb.4644:
	s_cmp_lg_u32 s58, 11
	s_mov_b32 s1, -1
	s_cselect_b32 s0, -1, 0
.LBB127_4645:
	s_delay_alu instid0(SALU_CYCLE_1)
	s_and_b32 vcc_lo, exec_lo, s0
	s_cbranch_vccnz .LBB127_4710
; %bb.4646:
	s_and_not1_b32 vcc_lo, exec_lo, s1
	s_cbranch_vccnz .LBB127_4648
.LBB127_4647:
	global_load_u8 v1, v[32:33], off
	s_mov_b32 s0, 0
	s_mov_b32 s9, -1
	s_wait_loadcnt 0x1
	v_mov_b32_e32 v29, s0
	s_wait_loadcnt 0x0
	v_cmp_ne_u16_e32 vcc_lo, 0, v1
	v_cndmask_b32_e64 v28, 0, 1, vcc_lo
.LBB127_4648:
	s_mov_b32 s0, 0
.LBB127_4649:
	s_delay_alu instid0(SALU_CYCLE_1)
	s_and_b32 vcc_lo, exec_lo, s0
	s_cbranch_vccz .LBB127_4698
; %bb.4650:
	s_cmp_lt_i32 s58, 5
	s_cbranch_scc1 .LBB127_4655
; %bb.4651:
	s_cmp_lt_i32 s58, 8
	s_cbranch_scc1 .LBB127_4656
	;; [unrolled: 3-line block ×3, first 2 shown]
; %bb.4653:
	s_cmp_gt_i32 s58, 9
	s_cbranch_scc0 .LBB127_4658
; %bb.4654:
	s_wait_loadcnt 0x0
	global_load_b64 v[28:29], v[32:33], off
	s_mov_b32 s0, 0
	s_wait_loadcnt 0x0
	v_trunc_f64_e32 v[28:29], v[28:29]
	s_delay_alu instid0(VALU_DEP_1) | instskip(NEXT) | instid1(VALU_DEP_1)
	v_ldexp_f64 v[34:35], v[28:29], 0xffffffe0
	v_floor_f64_e32 v[34:35], v[34:35]
	s_delay_alu instid0(VALU_DEP_1) | instskip(SKIP_1) | instid1(VALU_DEP_2)
	v_fmamk_f64 v[36:37], v[34:35], 0xc1f00000, v[28:29]
	v_cvt_i32_f64_e32 v29, v[34:35]
	v_cvt_u32_f64_e32 v28, v[36:37]
	s_branch .LBB127_4659
.LBB127_4655:
	s_mov_b32 s0, -1
                                        ; implicit-def: $vgpr28_vgpr29
	s_branch .LBB127_4677
.LBB127_4656:
	s_mov_b32 s0, -1
                                        ; implicit-def: $vgpr28_vgpr29
	s_branch .LBB127_4665
.LBB127_4657:
	s_mov_b32 s0, -1
                                        ; implicit-def: $vgpr28_vgpr29
	s_branch .LBB127_4662
.LBB127_4658:
	s_mov_b32 s0, -1
                                        ; implicit-def: $vgpr28_vgpr29
.LBB127_4659:
	s_delay_alu instid0(SALU_CYCLE_1)
	s_and_not1_b32 vcc_lo, exec_lo, s0
	s_cbranch_vccnz .LBB127_4661
; %bb.4660:
	global_load_b32 v1, v[32:33], off
	s_wait_loadcnt 0x0
	v_trunc_f32_e32 v1, v1
	s_delay_alu instid0(VALU_DEP_1) | instskip(SKIP_1) | instid1(VALU_DEP_2)
	v_mul_f32_e64 v3, 0x2f800000, |v1|
	v_ashrrev_i32_e32 v28, 31, v1
	v_floor_f32_e32 v3, v3
	s_delay_alu instid0(VALU_DEP_1) | instskip(SKIP_1) | instid1(VALU_DEP_4)
	v_fma_f32 v5, 0xcf800000, v3, |v1|
	v_cvt_u32_f32_e32 v1, v3
	v_mov_b32_e32 v29, v28
	s_delay_alu instid0(VALU_DEP_3) | instskip(NEXT) | instid1(VALU_DEP_3)
	v_cvt_u32_f32_e32 v3, v5
	v_xor_b32_e32 v35, v1, v28
	s_delay_alu instid0(VALU_DEP_2) | instskip(NEXT) | instid1(VALU_DEP_1)
	v_xor_b32_e32 v34, v3, v28
	v_sub_nc_u64_e32 v[28:29], v[34:35], v[28:29]
.LBB127_4661:
	s_mov_b32 s0, 0
.LBB127_4662:
	s_delay_alu instid0(SALU_CYCLE_1)
	s_and_not1_b32 vcc_lo, exec_lo, s0
	s_cbranch_vccnz .LBB127_4664
; %bb.4663:
	global_load_b32 v1, v[32:33], off
	s_wait_loadcnt 0x0
	v_cvt_f32_f16_e32 v1, v1
	s_delay_alu instid0(VALU_DEP_1) | instskip(NEXT) | instid1(VALU_DEP_1)
	v_cvt_i32_f32_e32 v28, v1
	v_ashrrev_i32_e32 v29, 31, v28
.LBB127_4664:
	s_mov_b32 s0, 0
.LBB127_4665:
	s_delay_alu instid0(SALU_CYCLE_1)
	s_and_not1_b32 vcc_lo, exec_lo, s0
	s_cbranch_vccnz .LBB127_4676
; %bb.4666:
	s_cmp_lt_i32 s58, 6
	s_cbranch_scc1 .LBB127_4669
; %bb.4667:
	s_cmp_gt_i32 s58, 6
	s_cbranch_scc0 .LBB127_4670
; %bb.4668:
	s_wait_loadcnt 0x0
	global_load_b64 v[28:29], v[32:33], off
	s_mov_b32 s0, 0
	s_wait_loadcnt 0x0
	v_trunc_f64_e32 v[28:29], v[28:29]
	s_delay_alu instid0(VALU_DEP_1) | instskip(NEXT) | instid1(VALU_DEP_1)
	v_ldexp_f64 v[34:35], v[28:29], 0xffffffe0
	v_floor_f64_e32 v[34:35], v[34:35]
	s_delay_alu instid0(VALU_DEP_1) | instskip(SKIP_1) | instid1(VALU_DEP_2)
	v_fmamk_f64 v[36:37], v[34:35], 0xc1f00000, v[28:29]
	v_cvt_i32_f64_e32 v29, v[34:35]
	v_cvt_u32_f64_e32 v28, v[36:37]
	s_branch .LBB127_4671
.LBB127_4669:
	s_mov_b32 s0, -1
                                        ; implicit-def: $vgpr28_vgpr29
	s_branch .LBB127_4674
.LBB127_4670:
	s_mov_b32 s0, -1
                                        ; implicit-def: $vgpr28_vgpr29
.LBB127_4671:
	s_delay_alu instid0(SALU_CYCLE_1)
	s_and_not1_b32 vcc_lo, exec_lo, s0
	s_cbranch_vccnz .LBB127_4673
; %bb.4672:
	global_load_b32 v1, v[32:33], off
	s_wait_loadcnt 0x0
	v_trunc_f32_e32 v1, v1
	s_delay_alu instid0(VALU_DEP_1) | instskip(SKIP_1) | instid1(VALU_DEP_2)
	v_mul_f32_e64 v3, 0x2f800000, |v1|
	v_ashrrev_i32_e32 v28, 31, v1
	v_floor_f32_e32 v3, v3
	s_delay_alu instid0(VALU_DEP_1) | instskip(SKIP_1) | instid1(VALU_DEP_4)
	v_fma_f32 v5, 0xcf800000, v3, |v1|
	v_cvt_u32_f32_e32 v1, v3
	v_mov_b32_e32 v29, v28
	s_delay_alu instid0(VALU_DEP_3) | instskip(NEXT) | instid1(VALU_DEP_3)
	v_cvt_u32_f32_e32 v3, v5
	v_xor_b32_e32 v35, v1, v28
	s_delay_alu instid0(VALU_DEP_2) | instskip(NEXT) | instid1(VALU_DEP_1)
	v_xor_b32_e32 v34, v3, v28
	v_sub_nc_u64_e32 v[28:29], v[34:35], v[28:29]
.LBB127_4673:
	s_mov_b32 s0, 0
.LBB127_4674:
	s_delay_alu instid0(SALU_CYCLE_1)
	s_and_not1_b32 vcc_lo, exec_lo, s0
	s_cbranch_vccnz .LBB127_4676
; %bb.4675:
	global_load_u16 v1, v[32:33], off
	s_wait_loadcnt 0x0
	v_cvt_f32_f16_e32 v1, v1
	s_delay_alu instid0(VALU_DEP_1) | instskip(NEXT) | instid1(VALU_DEP_1)
	v_cvt_i32_f32_e32 v28, v1
	v_ashrrev_i32_e32 v29, 31, v28
.LBB127_4676:
	s_mov_b32 s0, 0
.LBB127_4677:
	s_delay_alu instid0(SALU_CYCLE_1)
	s_and_not1_b32 vcc_lo, exec_lo, s0
	s_cbranch_vccnz .LBB127_4697
; %bb.4678:
	s_cmp_lt_i32 s58, 2
	s_cbranch_scc1 .LBB127_4682
; %bb.4679:
	s_cmp_lt_i32 s58, 3
	s_cbranch_scc1 .LBB127_4683
; %bb.4680:
	s_cmp_gt_i32 s58, 3
	s_cbranch_scc0 .LBB127_4684
; %bb.4681:
	s_wait_loadcnt 0x0
	global_load_b64 v[28:29], v[32:33], off
	s_mov_b32 s0, 0
	s_branch .LBB127_4685
.LBB127_4682:
	s_mov_b32 s0, -1
                                        ; implicit-def: $vgpr28_vgpr29
	s_branch .LBB127_4691
.LBB127_4683:
	s_mov_b32 s0, -1
                                        ; implicit-def: $vgpr28_vgpr29
	s_branch .LBB127_4688
.LBB127_4684:
	s_mov_b32 s0, -1
                                        ; implicit-def: $vgpr28_vgpr29
.LBB127_4685:
	s_delay_alu instid0(SALU_CYCLE_1)
	s_and_not1_b32 vcc_lo, exec_lo, s0
	s_cbranch_vccnz .LBB127_4687
; %bb.4686:
	s_wait_loadcnt 0x0
	global_load_b32 v28, v[32:33], off
	s_wait_loadcnt 0x0
	v_ashrrev_i32_e32 v29, 31, v28
.LBB127_4687:
	s_mov_b32 s0, 0
.LBB127_4688:
	s_delay_alu instid0(SALU_CYCLE_1)
	s_and_not1_b32 vcc_lo, exec_lo, s0
	s_cbranch_vccnz .LBB127_4690
; %bb.4689:
	global_load_u16 v1, v[32:33], off
	s_wait_loadcnt 0x0
	v_bfe_i32 v28, v1, 0, 16
	s_delay_alu instid0(VALU_DEP_1)
	v_ashrrev_i32_e32 v29, 31, v28
.LBB127_4690:
	s_mov_b32 s0, 0
.LBB127_4691:
	s_delay_alu instid0(SALU_CYCLE_1)
	s_and_not1_b32 vcc_lo, exec_lo, s0
	s_cbranch_vccnz .LBB127_4697
; %bb.4692:
	s_cmp_gt_i32 s58, 0
	s_mov_b32 s0, 0
	s_cbranch_scc0 .LBB127_4694
; %bb.4693:
	global_load_i8 v1, v[32:33], off
	s_wait_loadcnt 0x0
	v_bfe_i32 v28, v1, 0, 16
	s_delay_alu instid0(VALU_DEP_1)
	v_ashrrev_i32_e32 v29, 31, v28
	s_branch .LBB127_4695
.LBB127_4694:
	s_mov_b32 s0, -1
                                        ; implicit-def: $vgpr28_vgpr29
.LBB127_4695:
	s_delay_alu instid0(SALU_CYCLE_1)
	s_and_not1_b32 vcc_lo, exec_lo, s0
	s_cbranch_vccnz .LBB127_4697
; %bb.4696:
	global_load_u8 v1, v[32:33], off
	s_mov_b32 s0, 0
	s_wait_loadcnt 0x1
	v_mov_b32_e32 v29, s0
	s_wait_loadcnt 0x0
	v_and_b32_e32 v28, 0xffff, v1
.LBB127_4697:
	s_mov_b32 s9, -1
.LBB127_4698:
	s_delay_alu instid0(SALU_CYCLE_1)
	s_and_not1_b32 vcc_lo, exec_lo, s9
	s_cbranch_vccnz .LBB127_5090
; %bb.4699:
	v_mov_b32_e32 v27, 0
	s_cmp_lt_i32 s59, 11
	s_wait_xcnt 0x0
	s_delay_alu instid0(VALU_DEP_1)
	v_add_nc_u64_e32 v[32:33], s[12:13], v[26:27]
	s_cbranch_scc1 .LBB127_4706
; %bb.4700:
	s_cmp_gt_i32 s59, 25
	s_mov_b32 s1, 0
	s_cbranch_scc0 .LBB127_4707
; %bb.4701:
	s_cmp_gt_i32 s59, 28
	s_cbranch_scc0 .LBB127_4708
; %bb.4702:
	s_cmp_gt_i32 s59, 43
	;; [unrolled: 3-line block ×3, first 2 shown]
	s_cbranch_scc0 .LBB127_4711
; %bb.4704:
	s_cmp_eq_u32 s59, 46
	s_mov_b32 s22, 0
	s_cbranch_scc0 .LBB127_4713
; %bb.4705:
	global_load_b32 v1, v[32:33], off
	s_mov_b32 s0, 0
	s_mov_b32 s9, -1
	s_wait_loadcnt 0x0
	v_lshlrev_b32_e32 v1, 16, v1
	s_delay_alu instid0(VALU_DEP_1) | instskip(NEXT) | instid1(VALU_DEP_1)
	v_trunc_f32_e32 v1, v1
	v_mul_f32_e64 v3, 0x2f800000, |v1|
	v_ashrrev_i32_e32 v26, 31, v1
	s_delay_alu instid0(VALU_DEP_2) | instskip(NEXT) | instid1(VALU_DEP_2)
	v_floor_f32_e32 v3, v3
	v_mov_b32_e32 v27, v26
	s_delay_alu instid0(VALU_DEP_2) | instskip(SKIP_1) | instid1(VALU_DEP_2)
	v_fma_f32 v5, 0xcf800000, v3, |v1|
	v_cvt_u32_f32_e32 v1, v3
	v_cvt_u32_f32_e32 v3, v5
	s_delay_alu instid0(VALU_DEP_2) | instskip(NEXT) | instid1(VALU_DEP_2)
	v_xor_b32_e32 v35, v1, v26
	v_xor_b32_e32 v34, v3, v26
	s_delay_alu instid0(VALU_DEP_1)
	v_sub_nc_u64_e32 v[26:27], v[34:35], v[26:27]
	s_branch .LBB127_4715
.LBB127_4706:
	s_mov_b32 s0, -1
	s_mov_b32 s9, 0
                                        ; implicit-def: $vgpr26_vgpr27
	s_branch .LBB127_4777
.LBB127_4707:
	s_mov_b32 s22, -1
	s_mov_b32 s9, 0
	s_mov_b32 s0, 0
                                        ; implicit-def: $vgpr26_vgpr27
	s_branch .LBB127_4742
.LBB127_4708:
	s_mov_b32 s22, -1
	s_mov_b32 s9, 0
	s_mov_b32 s0, 0
                                        ; implicit-def: $vgpr26_vgpr27
	s_branch .LBB127_4725
.LBB127_4709:
	s_mov_b32 s22, -1
	s_mov_b32 s9, 0
	s_mov_b32 s0, 0
                                        ; implicit-def: $vgpr26_vgpr27
	s_branch .LBB127_4720
.LBB127_4710:
	s_or_b32 s56, s56, exec_lo
	s_trap 2
	s_cbranch_execz .LBB127_4647
	s_branch .LBB127_4648
.LBB127_4711:
	s_mov_b32 s22, -1
	s_mov_b32 s9, 0
	s_mov_b32 s0, 0
	s_branch .LBB127_4714
.LBB127_4712:
	s_or_b32 s50, s45, exec_lo
	s_trap 2
                                        ; implicit-def: $vgpr36_vgpr37
                                        ; implicit-def: $vgpr34_vgpr35
                                        ; implicit-def: $vgpr44_vgpr45
                                        ; implicit-def: $vgpr6
                                        ; implicit-def: $vgpr4
                                        ; implicit-def: $vgpr24
                                        ; implicit-def: $vgpr22
                                        ; implicit-def: $vgpr28
                                        ; implicit-def: $vgpr26
                                        ; implicit-def: $vgpr2
                                        ; implicit-def: $vgpr30
                                        ; implicit-def: $vgpr14
                                        ; implicit-def: $vgpr10
                                        ; implicit-def: $vgpr18
                                        ; implicit-def: $vgpr16
                                        ; implicit-def: $vgpr0
                                        ; implicit-def: $vgpr20
                                        ; implicit-def: $vgpr8_vgpr9
                                        ; implicit-def: $vgpr12_vgpr13
	s_or_saveexec_b32 s51, s0
                                        ; implicit-def: $vgpr42_vgpr43
                                        ; implicit-def: $sgpr0
	s_delay_alu instid0(SALU_CYCLE_1)
	s_xor_b32 exec_lo, exec_lo, s51
	s_cbranch_execz .LBB127_5094
	s_branch .LBB127_4420
.LBB127_4713:
	s_mov_b32 s0, -1
	s_mov_b32 s9, 0
.LBB127_4714:
                                        ; implicit-def: $vgpr26_vgpr27
.LBB127_4715:
	s_and_b32 vcc_lo, exec_lo, s22
	s_cbranch_vccz .LBB127_4719
; %bb.4716:
	s_cmp_eq_u32 s59, 44
	s_cbranch_scc0 .LBB127_4718
; %bb.4717:
	global_load_u8 v1, v[32:33], off
	s_mov_b32 s0, 0
	s_mov_b32 s9, -1
	s_wait_loadcnt 0x0
	v_lshlrev_b32_e32 v3, 23, v1
	v_cmp_ne_u32_e32 vcc_lo, 0, v1
	s_delay_alu instid0(VALU_DEP_2) | instskip(NEXT) | instid1(VALU_DEP_1)
	v_trunc_f32_e32 v3, v3
	v_mul_f32_e64 v5, 0x2f800000, |v3|
	v_ashrrev_i32_e32 v26, 31, v3
	s_delay_alu instid0(VALU_DEP_2) | instskip(NEXT) | instid1(VALU_DEP_2)
	v_floor_f32_e32 v5, v5
	v_mov_b32_e32 v27, v26
	s_delay_alu instid0(VALU_DEP_2) | instskip(SKIP_1) | instid1(VALU_DEP_2)
	v_fma_f32 v7, 0xcf800000, v5, |v3|
	v_cvt_u32_f32_e32 v3, v5
	v_cvt_u32_f32_e32 v5, v7
	s_delay_alu instid0(VALU_DEP_2) | instskip(NEXT) | instid1(VALU_DEP_2)
	v_xor_b32_e32 v35, v3, v26
	v_xor_b32_e32 v34, v5, v26
	s_delay_alu instid0(VALU_DEP_1) | instskip(NEXT) | instid1(VALU_DEP_1)
	v_sub_nc_u64_e32 v[26:27], v[34:35], v[26:27]
	v_dual_cndmask_b32 v27, 0, v27 :: v_dual_cndmask_b32 v26, 0, v26
	s_branch .LBB127_4719
.LBB127_4718:
	s_mov_b32 s0, -1
                                        ; implicit-def: $vgpr26_vgpr27
.LBB127_4719:
	s_mov_b32 s22, 0
.LBB127_4720:
	s_delay_alu instid0(SALU_CYCLE_1)
	s_and_b32 vcc_lo, exec_lo, s22
	s_cbranch_vccz .LBB127_4724
; %bb.4721:
	s_cmp_eq_u32 s59, 29
	s_cbranch_scc0 .LBB127_4723
; %bb.4722:
	global_load_b64 v[26:27], v[32:33], off
	s_mov_b32 s0, 0
	s_mov_b32 s9, -1
	s_branch .LBB127_4724
.LBB127_4723:
	s_mov_b32 s0, -1
                                        ; implicit-def: $vgpr26_vgpr27
.LBB127_4724:
	s_mov_b32 s22, 0
.LBB127_4725:
	s_delay_alu instid0(SALU_CYCLE_1)
	s_and_b32 vcc_lo, exec_lo, s22
	s_cbranch_vccz .LBB127_4741
; %bb.4726:
	s_cmp_lt_i32 s59, 27
	s_cbranch_scc1 .LBB127_4729
; %bb.4727:
	s_cmp_gt_i32 s59, 27
	s_cbranch_scc0 .LBB127_4730
; %bb.4728:
	s_wait_loadcnt 0x0
	global_load_b32 v26, v[32:33], off
	v_mov_b32_e32 v27, 0
	s_mov_b32 s9, 0
	s_branch .LBB127_4731
.LBB127_4729:
	s_mov_b32 s9, -1
                                        ; implicit-def: $vgpr26_vgpr27
	s_branch .LBB127_4734
.LBB127_4730:
	s_mov_b32 s9, -1
                                        ; implicit-def: $vgpr26_vgpr27
.LBB127_4731:
	s_delay_alu instid0(SALU_CYCLE_1)
	s_and_not1_b32 vcc_lo, exec_lo, s9
	s_cbranch_vccnz .LBB127_4733
; %bb.4732:
	global_load_u16 v1, v[32:33], off
	s_mov_b32 s9, 0
	s_wait_loadcnt 0x1
	v_mov_b32_e32 v27, s9
	s_wait_loadcnt 0x0
	v_and_b32_e32 v26, 0xffff, v1
.LBB127_4733:
	s_mov_b32 s9, 0
.LBB127_4734:
	s_delay_alu instid0(SALU_CYCLE_1)
	s_and_not1_b32 vcc_lo, exec_lo, s9
	s_cbranch_vccnz .LBB127_4740
; %bb.4735:
	global_load_u8 v1, v[32:33], off
	s_mov_b32 s22, 0
	s_mov_b32 s9, exec_lo
	s_wait_loadcnt 0x0
	v_cmpx_lt_i16_e32 0x7f, v1
	s_xor_b32 s9, exec_lo, s9
	s_cbranch_execz .LBB127_4752
; %bb.4736:
	v_cmp_ne_u16_e32 vcc_lo, 0x80, v1
	s_and_b32 s22, vcc_lo, exec_lo
	s_and_not1_saveexec_b32 s9, s9
	s_cbranch_execnz .LBB127_4753
.LBB127_4737:
	s_or_b32 exec_lo, exec_lo, s9
	v_mov_b64_e32 v[26:27], 0
	s_and_saveexec_b32 s9, s22
	s_cbranch_execz .LBB127_4739
.LBB127_4738:
	v_and_b32_e32 v3, 0xffff, v1
	s_delay_alu instid0(VALU_DEP_1) | instskip(SKIP_1) | instid1(VALU_DEP_2)
	v_dual_lshlrev_b32 v1, 24, v1 :: v_dual_bitop2_b32 v5, 7, v3 bitop3:0x40
	v_bfe_u32 v15, v3, 3, 4
	v_and_b32_e32 v1, 0x80000000, v1
	s_delay_alu instid0(VALU_DEP_3) | instskip(NEXT) | instid1(VALU_DEP_3)
	v_clz_i32_u32_e32 v7, v5
	v_cmp_eq_u32_e32 vcc_lo, 0, v15
	s_delay_alu instid0(VALU_DEP_2) | instskip(NEXT) | instid1(VALU_DEP_1)
	v_min_u32_e32 v7, 32, v7
	v_subrev_nc_u32_e32 v11, 28, v7
	v_sub_nc_u32_e32 v7, 29, v7
	s_delay_alu instid0(VALU_DEP_2) | instskip(NEXT) | instid1(VALU_DEP_2)
	v_lshlrev_b32_e32 v3, v11, v3
	v_cndmask_b32_e32 v7, v15, v7, vcc_lo
	s_delay_alu instid0(VALU_DEP_2) | instskip(NEXT) | instid1(VALU_DEP_1)
	v_and_b32_e32 v3, 7, v3
	v_cndmask_b32_e32 v3, v5, v3, vcc_lo
	s_delay_alu instid0(VALU_DEP_3) | instskip(NEXT) | instid1(VALU_DEP_2)
	v_lshl_add_u32 v5, v7, 23, 0x3b800000
	v_lshlrev_b32_e32 v3, 20, v3
	s_delay_alu instid0(VALU_DEP_1) | instskip(NEXT) | instid1(VALU_DEP_1)
	v_or3_b32 v1, v1, v5, v3
	v_trunc_f32_e32 v1, v1
	s_delay_alu instid0(VALU_DEP_1) | instskip(SKIP_1) | instid1(VALU_DEP_2)
	v_mul_f32_e64 v3, 0x2f800000, |v1|
	v_ashrrev_i32_e32 v26, 31, v1
	v_floor_f32_e32 v3, v3
	s_delay_alu instid0(VALU_DEP_2) | instskip(NEXT) | instid1(VALU_DEP_2)
	v_mov_b32_e32 v27, v26
	v_fma_f32 v5, 0xcf800000, v3, |v1|
	v_cvt_u32_f32_e32 v1, v3
	s_delay_alu instid0(VALU_DEP_2) | instskip(NEXT) | instid1(VALU_DEP_2)
	v_cvt_u32_f32_e32 v3, v5
	v_xor_b32_e32 v35, v1, v26
	s_delay_alu instid0(VALU_DEP_2) | instskip(NEXT) | instid1(VALU_DEP_1)
	v_xor_b32_e32 v34, v3, v26
	v_sub_nc_u64_e32 v[26:27], v[34:35], v[26:27]
.LBB127_4739:
	s_or_b32 exec_lo, exec_lo, s9
.LBB127_4740:
	s_mov_b32 s9, -1
.LBB127_4741:
	s_mov_b32 s22, 0
.LBB127_4742:
	s_delay_alu instid0(SALU_CYCLE_1)
	s_and_b32 vcc_lo, exec_lo, s22
	s_cbranch_vccz .LBB127_4773
; %bb.4743:
	s_cmp_gt_i32 s59, 22
	s_cbranch_scc0 .LBB127_4751
; %bb.4744:
	s_cmp_lt_i32 s59, 24
	s_cbranch_scc1 .LBB127_4754
; %bb.4745:
	s_cmp_gt_i32 s59, 24
	s_cbranch_scc0 .LBB127_4755
; %bb.4746:
	global_load_u8 v1, v[32:33], off
	s_mov_b32 s9, 0
	s_mov_b32 s1, exec_lo
	s_wait_loadcnt 0x0
	v_cmpx_lt_i16_e32 0x7f, v1
	s_xor_b32 s1, exec_lo, s1
	s_cbranch_execz .LBB127_4767
; %bb.4747:
	v_cmp_ne_u16_e32 vcc_lo, 0x80, v1
	s_and_b32 s9, vcc_lo, exec_lo
	s_and_not1_saveexec_b32 s1, s1
	s_cbranch_execnz .LBB127_4768
.LBB127_4748:
	s_or_b32 exec_lo, exec_lo, s1
	v_mov_b64_e32 v[26:27], 0
	s_and_saveexec_b32 s1, s9
	s_cbranch_execz .LBB127_4750
.LBB127_4749:
	v_and_b32_e32 v3, 0xffff, v1
	s_delay_alu instid0(VALU_DEP_1) | instskip(SKIP_1) | instid1(VALU_DEP_2)
	v_dual_lshlrev_b32 v1, 24, v1 :: v_dual_bitop2_b32 v5, 3, v3 bitop3:0x40
	v_bfe_u32 v15, v3, 2, 5
	v_and_b32_e32 v1, 0x80000000, v1
	s_delay_alu instid0(VALU_DEP_3) | instskip(NEXT) | instid1(VALU_DEP_3)
	v_clz_i32_u32_e32 v7, v5
	v_cmp_eq_u32_e32 vcc_lo, 0, v15
	s_delay_alu instid0(VALU_DEP_2) | instskip(NEXT) | instid1(VALU_DEP_1)
	v_min_u32_e32 v7, 32, v7
	v_subrev_nc_u32_e32 v11, 29, v7
	v_sub_nc_u32_e32 v7, 30, v7
	s_delay_alu instid0(VALU_DEP_2) | instskip(NEXT) | instid1(VALU_DEP_2)
	v_lshlrev_b32_e32 v3, v11, v3
	v_cndmask_b32_e32 v7, v15, v7, vcc_lo
	s_delay_alu instid0(VALU_DEP_2) | instskip(NEXT) | instid1(VALU_DEP_1)
	v_and_b32_e32 v3, 3, v3
	v_cndmask_b32_e32 v3, v5, v3, vcc_lo
	s_delay_alu instid0(VALU_DEP_3) | instskip(NEXT) | instid1(VALU_DEP_2)
	v_lshl_add_u32 v5, v7, 23, 0x37800000
	v_lshlrev_b32_e32 v3, 21, v3
	s_delay_alu instid0(VALU_DEP_1) | instskip(NEXT) | instid1(VALU_DEP_1)
	v_or3_b32 v1, v1, v5, v3
	v_trunc_f32_e32 v1, v1
	s_delay_alu instid0(VALU_DEP_1) | instskip(SKIP_1) | instid1(VALU_DEP_2)
	v_mul_f32_e64 v3, 0x2f800000, |v1|
	v_ashrrev_i32_e32 v26, 31, v1
	v_floor_f32_e32 v3, v3
	s_delay_alu instid0(VALU_DEP_2) | instskip(NEXT) | instid1(VALU_DEP_2)
	v_mov_b32_e32 v27, v26
	v_fma_f32 v5, 0xcf800000, v3, |v1|
	v_cvt_u32_f32_e32 v1, v3
	s_delay_alu instid0(VALU_DEP_2) | instskip(NEXT) | instid1(VALU_DEP_2)
	v_cvt_u32_f32_e32 v3, v5
	v_xor_b32_e32 v35, v1, v26
	s_delay_alu instid0(VALU_DEP_2) | instskip(NEXT) | instid1(VALU_DEP_1)
	v_xor_b32_e32 v34, v3, v26
	v_sub_nc_u64_e32 v[26:27], v[34:35], v[26:27]
.LBB127_4750:
	s_or_b32 exec_lo, exec_lo, s1
	s_mov_b32 s1, 0
	s_branch .LBB127_4756
.LBB127_4751:
	s_mov_b32 s1, -1
                                        ; implicit-def: $vgpr26_vgpr27
	s_branch .LBB127_4762
.LBB127_4752:
	s_and_not1_saveexec_b32 s9, s9
	s_cbranch_execz .LBB127_4737
.LBB127_4753:
	v_cmp_ne_u16_e32 vcc_lo, 0, v1
	s_and_not1_b32 s22, s22, exec_lo
	s_and_b32 s23, vcc_lo, exec_lo
	s_delay_alu instid0(SALU_CYCLE_1)
	s_or_b32 s22, s22, s23
	s_or_b32 exec_lo, exec_lo, s9
	v_mov_b64_e32 v[26:27], 0
	s_and_saveexec_b32 s9, s22
	s_cbranch_execnz .LBB127_4738
	s_branch .LBB127_4739
.LBB127_4754:
	s_mov_b32 s1, -1
                                        ; implicit-def: $vgpr26_vgpr27
	s_branch .LBB127_4759
.LBB127_4755:
	s_mov_b32 s1, -1
                                        ; implicit-def: $vgpr26_vgpr27
.LBB127_4756:
	s_delay_alu instid0(SALU_CYCLE_1)
	s_and_b32 vcc_lo, exec_lo, s1
	s_cbranch_vccz .LBB127_4758
; %bb.4757:
	global_load_u8 v1, v[32:33], off
	s_wait_loadcnt 0x0
	v_lshlrev_b32_e32 v1, 24, v1
	s_delay_alu instid0(VALU_DEP_1) | instskip(NEXT) | instid1(VALU_DEP_1)
	v_and_b32_e32 v3, 0x7f000000, v1
	v_clz_i32_u32_e32 v5, v3
	v_add_nc_u32_e32 v11, 0x1000000, v3
	v_cmp_ne_u32_e32 vcc_lo, 0, v3
	s_delay_alu instid0(VALU_DEP_3) | instskip(NEXT) | instid1(VALU_DEP_1)
	v_min_u32_e32 v5, 32, v5
	v_sub_nc_u32_e64 v5, v5, 4 clamp
	s_delay_alu instid0(VALU_DEP_1) | instskip(NEXT) | instid1(VALU_DEP_1)
	v_dual_lshlrev_b32 v7, v5, v3 :: v_dual_lshlrev_b32 v5, 23, v5
	v_lshrrev_b32_e32 v7, 4, v7
	s_delay_alu instid0(VALU_DEP_1) | instskip(NEXT) | instid1(VALU_DEP_1)
	v_dual_sub_nc_u32 v5, v7, v5 :: v_dual_ashrrev_i32 v7, 8, v11
	v_add_nc_u32_e32 v5, 0x3c000000, v5
	s_delay_alu instid0(VALU_DEP_1) | instskip(NEXT) | instid1(VALU_DEP_1)
	v_and_or_b32 v5, 0x7f800000, v7, v5
	v_cndmask_b32_e32 v3, 0, v5, vcc_lo
	s_delay_alu instid0(VALU_DEP_1) | instskip(NEXT) | instid1(VALU_DEP_1)
	v_and_or_b32 v1, 0x80000000, v1, v3
	v_trunc_f32_e32 v1, v1
	s_delay_alu instid0(VALU_DEP_1) | instskip(SKIP_1) | instid1(VALU_DEP_2)
	v_mul_f32_e64 v3, 0x2f800000, |v1|
	v_ashrrev_i32_e32 v26, 31, v1
	v_floor_f32_e32 v3, v3
	s_delay_alu instid0(VALU_DEP_2) | instskip(NEXT) | instid1(VALU_DEP_2)
	v_mov_b32_e32 v27, v26
	v_fma_f32 v5, 0xcf800000, v3, |v1|
	v_cvt_u32_f32_e32 v1, v3
	s_delay_alu instid0(VALU_DEP_2) | instskip(NEXT) | instid1(VALU_DEP_2)
	v_cvt_u32_f32_e32 v3, v5
	v_xor_b32_e32 v35, v1, v26
	s_delay_alu instid0(VALU_DEP_2) | instskip(NEXT) | instid1(VALU_DEP_1)
	v_xor_b32_e32 v34, v3, v26
	v_sub_nc_u64_e32 v[26:27], v[34:35], v[26:27]
.LBB127_4758:
	s_mov_b32 s1, 0
.LBB127_4759:
	s_delay_alu instid0(SALU_CYCLE_1)
	s_and_not1_b32 vcc_lo, exec_lo, s1
	s_cbranch_vccnz .LBB127_4761
; %bb.4760:
	global_load_u8 v1, v[32:33], off
	s_wait_loadcnt 0x0
	v_lshlrev_b32_e32 v3, 25, v1
	v_lshlrev_b16 v1, 8, v1
	s_delay_alu instid0(VALU_DEP_1) | instskip(SKIP_1) | instid1(VALU_DEP_2)
	v_and_or_b32 v7, 0x7f00, v1, 0.5
	v_bfe_i32 v1, v1, 0, 16
	v_add_f32_e32 v7, -0.5, v7
	v_lshrrev_b32_e32 v5, 4, v3
	v_cmp_gt_u32_e32 vcc_lo, 0x8000000, v3
	s_delay_alu instid0(VALU_DEP_2) | instskip(NEXT) | instid1(VALU_DEP_1)
	v_or_b32_e32 v5, 0x70000000, v5
	v_mul_f32_e32 v5, 0x7800000, v5
	s_delay_alu instid0(VALU_DEP_1) | instskip(NEXT) | instid1(VALU_DEP_1)
	v_cndmask_b32_e32 v3, v5, v7, vcc_lo
	v_and_or_b32 v1, 0x80000000, v1, v3
	s_delay_alu instid0(VALU_DEP_1) | instskip(NEXT) | instid1(VALU_DEP_1)
	v_trunc_f32_e32 v1, v1
	v_mul_f32_e64 v3, 0x2f800000, |v1|
	v_ashrrev_i32_e32 v26, 31, v1
	s_delay_alu instid0(VALU_DEP_2) | instskip(NEXT) | instid1(VALU_DEP_2)
	v_floor_f32_e32 v3, v3
	v_mov_b32_e32 v27, v26
	s_delay_alu instid0(VALU_DEP_2) | instskip(SKIP_1) | instid1(VALU_DEP_2)
	v_fma_f32 v5, 0xcf800000, v3, |v1|
	v_cvt_u32_f32_e32 v1, v3
	v_cvt_u32_f32_e32 v3, v5
	s_delay_alu instid0(VALU_DEP_2) | instskip(NEXT) | instid1(VALU_DEP_2)
	v_xor_b32_e32 v35, v1, v26
	v_xor_b32_e32 v34, v3, v26
	s_delay_alu instid0(VALU_DEP_1)
	v_sub_nc_u64_e32 v[26:27], v[34:35], v[26:27]
.LBB127_4761:
	s_mov_b32 s1, 0
	s_mov_b32 s9, -1
.LBB127_4762:
	s_and_not1_b32 vcc_lo, exec_lo, s1
	s_mov_b32 s1, 0
	s_cbranch_vccnz .LBB127_4773
; %bb.4763:
	s_cmp_gt_i32 s59, 14
	s_cbranch_scc0 .LBB127_4766
; %bb.4764:
	s_cmp_eq_u32 s59, 15
	s_cbranch_scc0 .LBB127_4769
; %bb.4765:
	global_load_u16 v1, v[32:33], off
	s_mov_b32 s0, 0
	s_mov_b32 s9, -1
	s_wait_loadcnt 0x0
	v_lshlrev_b32_e32 v1, 16, v1
	s_delay_alu instid0(VALU_DEP_1) | instskip(NEXT) | instid1(VALU_DEP_1)
	v_trunc_f32_e32 v1, v1
	v_mul_f32_e64 v3, 0x2f800000, |v1|
	v_ashrrev_i32_e32 v26, 31, v1
	s_delay_alu instid0(VALU_DEP_2) | instskip(NEXT) | instid1(VALU_DEP_2)
	v_floor_f32_e32 v3, v3
	v_mov_b32_e32 v27, v26
	s_delay_alu instid0(VALU_DEP_2) | instskip(SKIP_1) | instid1(VALU_DEP_2)
	v_fma_f32 v5, 0xcf800000, v3, |v1|
	v_cvt_u32_f32_e32 v1, v3
	v_cvt_u32_f32_e32 v3, v5
	s_delay_alu instid0(VALU_DEP_2) | instskip(NEXT) | instid1(VALU_DEP_2)
	v_xor_b32_e32 v35, v1, v26
	v_xor_b32_e32 v34, v3, v26
	s_delay_alu instid0(VALU_DEP_1)
	v_sub_nc_u64_e32 v[26:27], v[34:35], v[26:27]
	s_branch .LBB127_4771
.LBB127_4766:
	s_mov_b32 s1, -1
	s_branch .LBB127_4770
.LBB127_4767:
	s_and_not1_saveexec_b32 s1, s1
	s_cbranch_execz .LBB127_4748
.LBB127_4768:
	v_cmp_ne_u16_e32 vcc_lo, 0, v1
	s_and_not1_b32 s9, s9, exec_lo
	s_and_b32 s22, vcc_lo, exec_lo
	s_delay_alu instid0(SALU_CYCLE_1)
	s_or_b32 s9, s9, s22
	s_or_b32 exec_lo, exec_lo, s1
	v_mov_b64_e32 v[26:27], 0
	s_and_saveexec_b32 s1, s9
	s_cbranch_execnz .LBB127_4749
	s_branch .LBB127_4750
.LBB127_4769:
	s_mov_b32 s0, -1
.LBB127_4770:
                                        ; implicit-def: $vgpr26_vgpr27
.LBB127_4771:
	s_and_b32 vcc_lo, exec_lo, s1
	s_mov_b32 s1, 0
	s_cbranch_vccz .LBB127_4773
; %bb.4772:
	s_cmp_lg_u32 s59, 11
	s_mov_b32 s1, -1
	s_cselect_b32 s0, -1, 0
.LBB127_4773:
	s_delay_alu instid0(SALU_CYCLE_1)
	s_and_b32 vcc_lo, exec_lo, s0
	s_cbranch_vccnz .LBB127_4838
; %bb.4774:
	s_and_not1_b32 vcc_lo, exec_lo, s1
	s_cbranch_vccnz .LBB127_4776
.LBB127_4775:
	global_load_u8 v1, v[32:33], off
	s_mov_b32 s0, 0
	s_mov_b32 s9, -1
	s_wait_loadcnt 0x1
	v_mov_b32_e32 v27, s0
	s_wait_loadcnt 0x0
	v_cmp_ne_u16_e32 vcc_lo, 0, v1
	v_cndmask_b32_e64 v26, 0, 1, vcc_lo
.LBB127_4776:
	s_mov_b32 s0, 0
.LBB127_4777:
	s_delay_alu instid0(SALU_CYCLE_1)
	s_and_b32 vcc_lo, exec_lo, s0
	s_cbranch_vccz .LBB127_4826
; %bb.4778:
	s_cmp_lt_i32 s59, 5
	s_cbranch_scc1 .LBB127_4783
; %bb.4779:
	s_cmp_lt_i32 s59, 8
	s_cbranch_scc1 .LBB127_4784
	;; [unrolled: 3-line block ×3, first 2 shown]
; %bb.4781:
	s_cmp_gt_i32 s59, 9
	s_cbranch_scc0 .LBB127_4786
; %bb.4782:
	s_wait_loadcnt 0x0
	global_load_b64 v[26:27], v[32:33], off
	s_mov_b32 s0, 0
	s_wait_loadcnt 0x0
	v_trunc_f64_e32 v[26:27], v[26:27]
	s_delay_alu instid0(VALU_DEP_1) | instskip(NEXT) | instid1(VALU_DEP_1)
	v_ldexp_f64 v[34:35], v[26:27], 0xffffffe0
	v_floor_f64_e32 v[34:35], v[34:35]
	s_delay_alu instid0(VALU_DEP_1) | instskip(SKIP_1) | instid1(VALU_DEP_2)
	v_fmamk_f64 v[36:37], v[34:35], 0xc1f00000, v[26:27]
	v_cvt_i32_f64_e32 v27, v[34:35]
	v_cvt_u32_f64_e32 v26, v[36:37]
	s_branch .LBB127_4787
.LBB127_4783:
	s_mov_b32 s0, -1
                                        ; implicit-def: $vgpr26_vgpr27
	s_branch .LBB127_4805
.LBB127_4784:
	s_mov_b32 s0, -1
                                        ; implicit-def: $vgpr26_vgpr27
	s_branch .LBB127_4793
.LBB127_4785:
	s_mov_b32 s0, -1
                                        ; implicit-def: $vgpr26_vgpr27
	s_branch .LBB127_4790
.LBB127_4786:
	s_mov_b32 s0, -1
                                        ; implicit-def: $vgpr26_vgpr27
.LBB127_4787:
	s_delay_alu instid0(SALU_CYCLE_1)
	s_and_not1_b32 vcc_lo, exec_lo, s0
	s_cbranch_vccnz .LBB127_4789
; %bb.4788:
	global_load_b32 v1, v[32:33], off
	s_wait_loadcnt 0x0
	v_trunc_f32_e32 v1, v1
	s_delay_alu instid0(VALU_DEP_1) | instskip(SKIP_1) | instid1(VALU_DEP_2)
	v_mul_f32_e64 v3, 0x2f800000, |v1|
	v_ashrrev_i32_e32 v26, 31, v1
	v_floor_f32_e32 v3, v3
	s_delay_alu instid0(VALU_DEP_1) | instskip(SKIP_1) | instid1(VALU_DEP_4)
	v_fma_f32 v5, 0xcf800000, v3, |v1|
	v_cvt_u32_f32_e32 v1, v3
	v_mov_b32_e32 v27, v26
	s_delay_alu instid0(VALU_DEP_3) | instskip(NEXT) | instid1(VALU_DEP_3)
	v_cvt_u32_f32_e32 v3, v5
	v_xor_b32_e32 v35, v1, v26
	s_delay_alu instid0(VALU_DEP_2) | instskip(NEXT) | instid1(VALU_DEP_1)
	v_xor_b32_e32 v34, v3, v26
	v_sub_nc_u64_e32 v[26:27], v[34:35], v[26:27]
.LBB127_4789:
	s_mov_b32 s0, 0
.LBB127_4790:
	s_delay_alu instid0(SALU_CYCLE_1)
	s_and_not1_b32 vcc_lo, exec_lo, s0
	s_cbranch_vccnz .LBB127_4792
; %bb.4791:
	global_load_b32 v1, v[32:33], off
	s_wait_loadcnt 0x0
	v_cvt_f32_f16_e32 v1, v1
	s_delay_alu instid0(VALU_DEP_1) | instskip(NEXT) | instid1(VALU_DEP_1)
	v_cvt_i32_f32_e32 v26, v1
	v_ashrrev_i32_e32 v27, 31, v26
.LBB127_4792:
	s_mov_b32 s0, 0
.LBB127_4793:
	s_delay_alu instid0(SALU_CYCLE_1)
	s_and_not1_b32 vcc_lo, exec_lo, s0
	s_cbranch_vccnz .LBB127_4804
; %bb.4794:
	s_cmp_lt_i32 s59, 6
	s_cbranch_scc1 .LBB127_4797
; %bb.4795:
	s_cmp_gt_i32 s59, 6
	s_cbranch_scc0 .LBB127_4798
; %bb.4796:
	s_wait_loadcnt 0x0
	global_load_b64 v[26:27], v[32:33], off
	s_mov_b32 s0, 0
	s_wait_loadcnt 0x0
	v_trunc_f64_e32 v[26:27], v[26:27]
	s_delay_alu instid0(VALU_DEP_1) | instskip(NEXT) | instid1(VALU_DEP_1)
	v_ldexp_f64 v[34:35], v[26:27], 0xffffffe0
	v_floor_f64_e32 v[34:35], v[34:35]
	s_delay_alu instid0(VALU_DEP_1) | instskip(SKIP_1) | instid1(VALU_DEP_2)
	v_fmamk_f64 v[36:37], v[34:35], 0xc1f00000, v[26:27]
	v_cvt_i32_f64_e32 v27, v[34:35]
	v_cvt_u32_f64_e32 v26, v[36:37]
	s_branch .LBB127_4799
.LBB127_4797:
	s_mov_b32 s0, -1
                                        ; implicit-def: $vgpr26_vgpr27
	s_branch .LBB127_4802
.LBB127_4798:
	s_mov_b32 s0, -1
                                        ; implicit-def: $vgpr26_vgpr27
.LBB127_4799:
	s_delay_alu instid0(SALU_CYCLE_1)
	s_and_not1_b32 vcc_lo, exec_lo, s0
	s_cbranch_vccnz .LBB127_4801
; %bb.4800:
	global_load_b32 v1, v[32:33], off
	s_wait_loadcnt 0x0
	v_trunc_f32_e32 v1, v1
	s_delay_alu instid0(VALU_DEP_1) | instskip(SKIP_1) | instid1(VALU_DEP_2)
	v_mul_f32_e64 v3, 0x2f800000, |v1|
	v_ashrrev_i32_e32 v26, 31, v1
	v_floor_f32_e32 v3, v3
	s_delay_alu instid0(VALU_DEP_1) | instskip(SKIP_1) | instid1(VALU_DEP_4)
	v_fma_f32 v5, 0xcf800000, v3, |v1|
	v_cvt_u32_f32_e32 v1, v3
	v_mov_b32_e32 v27, v26
	s_delay_alu instid0(VALU_DEP_3) | instskip(NEXT) | instid1(VALU_DEP_3)
	v_cvt_u32_f32_e32 v3, v5
	v_xor_b32_e32 v35, v1, v26
	s_delay_alu instid0(VALU_DEP_2) | instskip(NEXT) | instid1(VALU_DEP_1)
	v_xor_b32_e32 v34, v3, v26
	v_sub_nc_u64_e32 v[26:27], v[34:35], v[26:27]
.LBB127_4801:
	s_mov_b32 s0, 0
.LBB127_4802:
	s_delay_alu instid0(SALU_CYCLE_1)
	s_and_not1_b32 vcc_lo, exec_lo, s0
	s_cbranch_vccnz .LBB127_4804
; %bb.4803:
	global_load_u16 v1, v[32:33], off
	s_wait_loadcnt 0x0
	v_cvt_f32_f16_e32 v1, v1
	s_delay_alu instid0(VALU_DEP_1) | instskip(NEXT) | instid1(VALU_DEP_1)
	v_cvt_i32_f32_e32 v26, v1
	v_ashrrev_i32_e32 v27, 31, v26
.LBB127_4804:
	s_mov_b32 s0, 0
.LBB127_4805:
	s_delay_alu instid0(SALU_CYCLE_1)
	s_and_not1_b32 vcc_lo, exec_lo, s0
	s_cbranch_vccnz .LBB127_4825
; %bb.4806:
	s_cmp_lt_i32 s59, 2
	s_cbranch_scc1 .LBB127_4810
; %bb.4807:
	s_cmp_lt_i32 s59, 3
	s_cbranch_scc1 .LBB127_4811
; %bb.4808:
	s_cmp_gt_i32 s59, 3
	s_cbranch_scc0 .LBB127_4812
; %bb.4809:
	s_wait_loadcnt 0x0
	global_load_b64 v[26:27], v[32:33], off
	s_mov_b32 s0, 0
	s_branch .LBB127_4813
.LBB127_4810:
	s_mov_b32 s0, -1
                                        ; implicit-def: $vgpr26_vgpr27
	s_branch .LBB127_4819
.LBB127_4811:
	s_mov_b32 s0, -1
                                        ; implicit-def: $vgpr26_vgpr27
	s_branch .LBB127_4816
.LBB127_4812:
	s_mov_b32 s0, -1
                                        ; implicit-def: $vgpr26_vgpr27
.LBB127_4813:
	s_delay_alu instid0(SALU_CYCLE_1)
	s_and_not1_b32 vcc_lo, exec_lo, s0
	s_cbranch_vccnz .LBB127_4815
; %bb.4814:
	s_wait_loadcnt 0x0
	global_load_b32 v26, v[32:33], off
	s_wait_loadcnt 0x0
	v_ashrrev_i32_e32 v27, 31, v26
.LBB127_4815:
	s_mov_b32 s0, 0
.LBB127_4816:
	s_delay_alu instid0(SALU_CYCLE_1)
	s_and_not1_b32 vcc_lo, exec_lo, s0
	s_cbranch_vccnz .LBB127_4818
; %bb.4817:
	global_load_u16 v1, v[32:33], off
	s_wait_loadcnt 0x0
	v_bfe_i32 v26, v1, 0, 16
	s_delay_alu instid0(VALU_DEP_1)
	v_ashrrev_i32_e32 v27, 31, v26
.LBB127_4818:
	s_mov_b32 s0, 0
.LBB127_4819:
	s_delay_alu instid0(SALU_CYCLE_1)
	s_and_not1_b32 vcc_lo, exec_lo, s0
	s_cbranch_vccnz .LBB127_4825
; %bb.4820:
	s_cmp_gt_i32 s59, 0
	s_mov_b32 s0, 0
	s_cbranch_scc0 .LBB127_4822
; %bb.4821:
	global_load_i8 v1, v[32:33], off
	s_wait_loadcnt 0x0
	v_bfe_i32 v26, v1, 0, 16
	s_delay_alu instid0(VALU_DEP_1)
	v_ashrrev_i32_e32 v27, 31, v26
	s_branch .LBB127_4823
.LBB127_4822:
	s_mov_b32 s0, -1
                                        ; implicit-def: $vgpr26_vgpr27
.LBB127_4823:
	s_delay_alu instid0(SALU_CYCLE_1)
	s_and_not1_b32 vcc_lo, exec_lo, s0
	s_cbranch_vccnz .LBB127_4825
; %bb.4824:
	global_load_u8 v1, v[32:33], off
	s_mov_b32 s0, 0
	s_wait_loadcnt 0x1
	v_mov_b32_e32 v27, s0
	s_wait_loadcnt 0x0
	v_and_b32_e32 v26, 0xffff, v1
.LBB127_4825:
	s_mov_b32 s9, -1
.LBB127_4826:
	s_delay_alu instid0(SALU_CYCLE_1)
	s_and_not1_b32 vcc_lo, exec_lo, s9
	s_cbranch_vccnz .LBB127_5090
; %bb.4827:
	v_mov_b32_e32 v25, 0
	s_cmp_lt_i32 s60, 11
	s_wait_xcnt 0x0
	s_delay_alu instid0(VALU_DEP_1)
	v_add_nc_u64_e32 v[32:33], s[14:15], v[24:25]
	s_cbranch_scc1 .LBB127_4834
; %bb.4828:
	s_cmp_gt_i32 s60, 25
	s_mov_b32 s1, 0
	s_cbranch_scc0 .LBB127_4835
; %bb.4829:
	s_cmp_gt_i32 s60, 28
	s_cbranch_scc0 .LBB127_4836
; %bb.4830:
	s_cmp_gt_i32 s60, 43
	;; [unrolled: 3-line block ×3, first 2 shown]
	s_cbranch_scc0 .LBB127_4839
; %bb.4832:
	s_cmp_eq_u32 s60, 46
	s_mov_b32 s22, 0
	s_cbranch_scc0 .LBB127_4841
; %bb.4833:
	global_load_b32 v1, v[32:33], off
	s_mov_b32 s0, 0
	s_mov_b32 s9, -1
	s_wait_loadcnt 0x0
	v_lshlrev_b32_e32 v1, 16, v1
	s_delay_alu instid0(VALU_DEP_1) | instskip(NEXT) | instid1(VALU_DEP_1)
	v_trunc_f32_e32 v1, v1
	v_mul_f32_e64 v3, 0x2f800000, |v1|
	v_ashrrev_i32_e32 v24, 31, v1
	s_delay_alu instid0(VALU_DEP_2) | instskip(NEXT) | instid1(VALU_DEP_2)
	v_floor_f32_e32 v3, v3
	v_mov_b32_e32 v25, v24
	s_delay_alu instid0(VALU_DEP_2) | instskip(SKIP_1) | instid1(VALU_DEP_2)
	v_fma_f32 v5, 0xcf800000, v3, |v1|
	v_cvt_u32_f32_e32 v1, v3
	v_cvt_u32_f32_e32 v3, v5
	s_delay_alu instid0(VALU_DEP_2) | instskip(NEXT) | instid1(VALU_DEP_2)
	v_xor_b32_e32 v35, v1, v24
	v_xor_b32_e32 v34, v3, v24
	s_delay_alu instid0(VALU_DEP_1)
	v_sub_nc_u64_e32 v[24:25], v[34:35], v[24:25]
	s_branch .LBB127_4843
.LBB127_4834:
	s_mov_b32 s0, -1
	s_mov_b32 s9, 0
                                        ; implicit-def: $vgpr24_vgpr25
	s_branch .LBB127_4905
.LBB127_4835:
	s_mov_b32 s22, -1
	s_mov_b32 s9, 0
	s_mov_b32 s0, 0
                                        ; implicit-def: $vgpr24_vgpr25
	s_branch .LBB127_4870
.LBB127_4836:
	s_mov_b32 s22, -1
	s_mov_b32 s9, 0
	s_mov_b32 s0, 0
                                        ; implicit-def: $vgpr24_vgpr25
	s_branch .LBB127_4853
.LBB127_4837:
	s_mov_b32 s22, -1
	s_mov_b32 s9, 0
	s_mov_b32 s0, 0
                                        ; implicit-def: $vgpr24_vgpr25
	s_branch .LBB127_4848
.LBB127_4838:
	s_or_b32 s56, s56, exec_lo
	s_trap 2
	s_cbranch_execz .LBB127_4775
	s_branch .LBB127_4776
.LBB127_4839:
	s_mov_b32 s22, -1
	s_mov_b32 s9, 0
	s_mov_b32 s0, 0
	s_branch .LBB127_4842
.LBB127_4840:
	s_or_b32 s52, s50, exec_lo
	s_trap 2
                                        ; implicit-def: $vgpr36_vgpr37
                                        ; implicit-def: $vgpr34_vgpr35
                                        ; implicit-def: $vgpr44_vgpr45
                                        ; implicit-def: $vgpr6
                                        ; implicit-def: $vgpr4
                                        ; implicit-def: $vgpr24
                                        ; implicit-def: $vgpr22
                                        ; implicit-def: $vgpr28
                                        ; implicit-def: $vgpr26
                                        ; implicit-def: $vgpr2
                                        ; implicit-def: $vgpr30
                                        ; implicit-def: $vgpr14
                                        ; implicit-def: $vgpr10
                                        ; implicit-def: $vgpr18
                                        ; implicit-def: $vgpr16
                                        ; implicit-def: $vgpr0
                                        ; implicit-def: $vgpr20
                                        ; implicit-def: $vgpr8_vgpr9
                                        ; implicit-def: $vgpr12_vgpr13
	s_or_saveexec_b32 s53, s0
	s_mov_b32 s1, 0
                                        ; implicit-def: $vgpr42_vgpr43
                                        ; implicit-def: $sgpr0
	s_xor_b32 exec_lo, exec_lo, s53
	s_cbranch_execz .LBB127_5093
	s_branch .LBB127_4422
.LBB127_4841:
	s_mov_b32 s0, -1
	s_mov_b32 s9, 0
.LBB127_4842:
                                        ; implicit-def: $vgpr24_vgpr25
.LBB127_4843:
	s_and_b32 vcc_lo, exec_lo, s22
	s_cbranch_vccz .LBB127_4847
; %bb.4844:
	s_cmp_eq_u32 s60, 44
	s_cbranch_scc0 .LBB127_4846
; %bb.4845:
	global_load_u8 v1, v[32:33], off
	s_mov_b32 s0, 0
	s_mov_b32 s9, -1
	s_wait_loadcnt 0x0
	v_lshlrev_b32_e32 v3, 23, v1
	v_cmp_ne_u32_e32 vcc_lo, 0, v1
	s_delay_alu instid0(VALU_DEP_2) | instskip(NEXT) | instid1(VALU_DEP_1)
	v_trunc_f32_e32 v3, v3
	v_mul_f32_e64 v5, 0x2f800000, |v3|
	v_ashrrev_i32_e32 v24, 31, v3
	s_delay_alu instid0(VALU_DEP_2) | instskip(NEXT) | instid1(VALU_DEP_2)
	v_floor_f32_e32 v5, v5
	v_mov_b32_e32 v25, v24
	s_delay_alu instid0(VALU_DEP_2) | instskip(SKIP_1) | instid1(VALU_DEP_2)
	v_fma_f32 v7, 0xcf800000, v5, |v3|
	v_cvt_u32_f32_e32 v3, v5
	v_cvt_u32_f32_e32 v5, v7
	s_delay_alu instid0(VALU_DEP_2) | instskip(NEXT) | instid1(VALU_DEP_2)
	v_xor_b32_e32 v35, v3, v24
	v_xor_b32_e32 v34, v5, v24
	s_delay_alu instid0(VALU_DEP_1) | instskip(NEXT) | instid1(VALU_DEP_1)
	v_sub_nc_u64_e32 v[24:25], v[34:35], v[24:25]
	v_dual_cndmask_b32 v25, 0, v25 :: v_dual_cndmask_b32 v24, 0, v24
	s_branch .LBB127_4847
.LBB127_4846:
	s_mov_b32 s0, -1
                                        ; implicit-def: $vgpr24_vgpr25
.LBB127_4847:
	s_mov_b32 s22, 0
.LBB127_4848:
	s_delay_alu instid0(SALU_CYCLE_1)
	s_and_b32 vcc_lo, exec_lo, s22
	s_cbranch_vccz .LBB127_4852
; %bb.4849:
	s_cmp_eq_u32 s60, 29
	s_cbranch_scc0 .LBB127_4851
; %bb.4850:
	global_load_b64 v[24:25], v[32:33], off
	s_mov_b32 s0, 0
	s_mov_b32 s9, -1
	s_branch .LBB127_4852
.LBB127_4851:
	s_mov_b32 s0, -1
                                        ; implicit-def: $vgpr24_vgpr25
.LBB127_4852:
	s_mov_b32 s22, 0
.LBB127_4853:
	s_delay_alu instid0(SALU_CYCLE_1)
	s_and_b32 vcc_lo, exec_lo, s22
	s_cbranch_vccz .LBB127_4869
; %bb.4854:
	s_cmp_lt_i32 s60, 27
	s_cbranch_scc1 .LBB127_4857
; %bb.4855:
	s_cmp_gt_i32 s60, 27
	s_cbranch_scc0 .LBB127_4858
; %bb.4856:
	s_wait_loadcnt 0x0
	global_load_b32 v24, v[32:33], off
	v_mov_b32_e32 v25, 0
	s_mov_b32 s9, 0
	s_branch .LBB127_4859
.LBB127_4857:
	s_mov_b32 s9, -1
                                        ; implicit-def: $vgpr24_vgpr25
	s_branch .LBB127_4862
.LBB127_4858:
	s_mov_b32 s9, -1
                                        ; implicit-def: $vgpr24_vgpr25
.LBB127_4859:
	s_delay_alu instid0(SALU_CYCLE_1)
	s_and_not1_b32 vcc_lo, exec_lo, s9
	s_cbranch_vccnz .LBB127_4861
; %bb.4860:
	global_load_u16 v1, v[32:33], off
	s_mov_b32 s9, 0
	s_wait_loadcnt 0x1
	v_mov_b32_e32 v25, s9
	s_wait_loadcnt 0x0
	v_and_b32_e32 v24, 0xffff, v1
.LBB127_4861:
	s_mov_b32 s9, 0
.LBB127_4862:
	s_delay_alu instid0(SALU_CYCLE_1)
	s_and_not1_b32 vcc_lo, exec_lo, s9
	s_cbranch_vccnz .LBB127_4868
; %bb.4863:
	global_load_u8 v1, v[32:33], off
	s_mov_b32 s22, 0
	s_mov_b32 s9, exec_lo
	s_wait_loadcnt 0x0
	v_cmpx_lt_i16_e32 0x7f, v1
	s_xor_b32 s9, exec_lo, s9
	s_cbranch_execz .LBB127_4880
; %bb.4864:
	v_cmp_ne_u16_e32 vcc_lo, 0x80, v1
	s_and_b32 s22, vcc_lo, exec_lo
	s_and_not1_saveexec_b32 s9, s9
	s_cbranch_execnz .LBB127_4881
.LBB127_4865:
	s_or_b32 exec_lo, exec_lo, s9
	v_mov_b64_e32 v[24:25], 0
	s_and_saveexec_b32 s9, s22
	s_cbranch_execz .LBB127_4867
.LBB127_4866:
	v_and_b32_e32 v3, 0xffff, v1
	s_delay_alu instid0(VALU_DEP_1) | instskip(SKIP_1) | instid1(VALU_DEP_2)
	v_dual_lshlrev_b32 v1, 24, v1 :: v_dual_bitop2_b32 v5, 7, v3 bitop3:0x40
	v_bfe_u32 v15, v3, 3, 4
	v_and_b32_e32 v1, 0x80000000, v1
	s_delay_alu instid0(VALU_DEP_3) | instskip(NEXT) | instid1(VALU_DEP_3)
	v_clz_i32_u32_e32 v7, v5
	v_cmp_eq_u32_e32 vcc_lo, 0, v15
	s_delay_alu instid0(VALU_DEP_2) | instskip(NEXT) | instid1(VALU_DEP_1)
	v_min_u32_e32 v7, 32, v7
	v_subrev_nc_u32_e32 v11, 28, v7
	v_sub_nc_u32_e32 v7, 29, v7
	s_delay_alu instid0(VALU_DEP_2) | instskip(NEXT) | instid1(VALU_DEP_2)
	v_lshlrev_b32_e32 v3, v11, v3
	v_cndmask_b32_e32 v7, v15, v7, vcc_lo
	s_delay_alu instid0(VALU_DEP_2) | instskip(NEXT) | instid1(VALU_DEP_1)
	v_and_b32_e32 v3, 7, v3
	v_cndmask_b32_e32 v3, v5, v3, vcc_lo
	s_delay_alu instid0(VALU_DEP_3) | instskip(NEXT) | instid1(VALU_DEP_2)
	v_lshl_add_u32 v5, v7, 23, 0x3b800000
	v_lshlrev_b32_e32 v3, 20, v3
	s_delay_alu instid0(VALU_DEP_1) | instskip(NEXT) | instid1(VALU_DEP_1)
	v_or3_b32 v1, v1, v5, v3
	v_trunc_f32_e32 v1, v1
	s_delay_alu instid0(VALU_DEP_1) | instskip(SKIP_1) | instid1(VALU_DEP_2)
	v_mul_f32_e64 v3, 0x2f800000, |v1|
	v_ashrrev_i32_e32 v24, 31, v1
	v_floor_f32_e32 v3, v3
	s_delay_alu instid0(VALU_DEP_2) | instskip(NEXT) | instid1(VALU_DEP_2)
	v_mov_b32_e32 v25, v24
	v_fma_f32 v5, 0xcf800000, v3, |v1|
	v_cvt_u32_f32_e32 v1, v3
	s_delay_alu instid0(VALU_DEP_2) | instskip(NEXT) | instid1(VALU_DEP_2)
	v_cvt_u32_f32_e32 v3, v5
	v_xor_b32_e32 v35, v1, v24
	s_delay_alu instid0(VALU_DEP_2) | instskip(NEXT) | instid1(VALU_DEP_1)
	v_xor_b32_e32 v34, v3, v24
	v_sub_nc_u64_e32 v[24:25], v[34:35], v[24:25]
.LBB127_4867:
	s_or_b32 exec_lo, exec_lo, s9
.LBB127_4868:
	s_mov_b32 s9, -1
.LBB127_4869:
	s_mov_b32 s22, 0
.LBB127_4870:
	s_delay_alu instid0(SALU_CYCLE_1)
	s_and_b32 vcc_lo, exec_lo, s22
	s_cbranch_vccz .LBB127_4901
; %bb.4871:
	s_cmp_gt_i32 s60, 22
	s_cbranch_scc0 .LBB127_4879
; %bb.4872:
	s_cmp_lt_i32 s60, 24
	s_cbranch_scc1 .LBB127_4882
; %bb.4873:
	s_cmp_gt_i32 s60, 24
	s_cbranch_scc0 .LBB127_4883
; %bb.4874:
	global_load_u8 v1, v[32:33], off
	s_mov_b32 s9, 0
	s_mov_b32 s1, exec_lo
	s_wait_loadcnt 0x0
	v_cmpx_lt_i16_e32 0x7f, v1
	s_xor_b32 s1, exec_lo, s1
	s_cbranch_execz .LBB127_4895
; %bb.4875:
	v_cmp_ne_u16_e32 vcc_lo, 0x80, v1
	s_and_b32 s9, vcc_lo, exec_lo
	s_and_not1_saveexec_b32 s1, s1
	s_cbranch_execnz .LBB127_4896
.LBB127_4876:
	s_or_b32 exec_lo, exec_lo, s1
	v_mov_b64_e32 v[24:25], 0
	s_and_saveexec_b32 s1, s9
	s_cbranch_execz .LBB127_4878
.LBB127_4877:
	v_and_b32_e32 v3, 0xffff, v1
	s_delay_alu instid0(VALU_DEP_1) | instskip(SKIP_1) | instid1(VALU_DEP_2)
	v_dual_lshlrev_b32 v1, 24, v1 :: v_dual_bitop2_b32 v5, 3, v3 bitop3:0x40
	v_bfe_u32 v15, v3, 2, 5
	v_and_b32_e32 v1, 0x80000000, v1
	s_delay_alu instid0(VALU_DEP_3) | instskip(NEXT) | instid1(VALU_DEP_3)
	v_clz_i32_u32_e32 v7, v5
	v_cmp_eq_u32_e32 vcc_lo, 0, v15
	s_delay_alu instid0(VALU_DEP_2) | instskip(NEXT) | instid1(VALU_DEP_1)
	v_min_u32_e32 v7, 32, v7
	v_subrev_nc_u32_e32 v11, 29, v7
	v_sub_nc_u32_e32 v7, 30, v7
	s_delay_alu instid0(VALU_DEP_2) | instskip(NEXT) | instid1(VALU_DEP_2)
	v_lshlrev_b32_e32 v3, v11, v3
	v_cndmask_b32_e32 v7, v15, v7, vcc_lo
	s_delay_alu instid0(VALU_DEP_2) | instskip(NEXT) | instid1(VALU_DEP_1)
	v_and_b32_e32 v3, 3, v3
	v_cndmask_b32_e32 v3, v5, v3, vcc_lo
	s_delay_alu instid0(VALU_DEP_3) | instskip(NEXT) | instid1(VALU_DEP_2)
	v_lshl_add_u32 v5, v7, 23, 0x37800000
	v_lshlrev_b32_e32 v3, 21, v3
	s_delay_alu instid0(VALU_DEP_1) | instskip(NEXT) | instid1(VALU_DEP_1)
	v_or3_b32 v1, v1, v5, v3
	v_trunc_f32_e32 v1, v1
	s_delay_alu instid0(VALU_DEP_1) | instskip(SKIP_1) | instid1(VALU_DEP_2)
	v_mul_f32_e64 v3, 0x2f800000, |v1|
	v_ashrrev_i32_e32 v24, 31, v1
	v_floor_f32_e32 v3, v3
	s_delay_alu instid0(VALU_DEP_2) | instskip(NEXT) | instid1(VALU_DEP_2)
	v_mov_b32_e32 v25, v24
	v_fma_f32 v5, 0xcf800000, v3, |v1|
	v_cvt_u32_f32_e32 v1, v3
	s_delay_alu instid0(VALU_DEP_2) | instskip(NEXT) | instid1(VALU_DEP_2)
	v_cvt_u32_f32_e32 v3, v5
	v_xor_b32_e32 v35, v1, v24
	s_delay_alu instid0(VALU_DEP_2) | instskip(NEXT) | instid1(VALU_DEP_1)
	v_xor_b32_e32 v34, v3, v24
	v_sub_nc_u64_e32 v[24:25], v[34:35], v[24:25]
.LBB127_4878:
	s_or_b32 exec_lo, exec_lo, s1
	s_mov_b32 s1, 0
	s_branch .LBB127_4884
.LBB127_4879:
	s_mov_b32 s1, -1
                                        ; implicit-def: $vgpr24_vgpr25
	s_branch .LBB127_4890
.LBB127_4880:
	s_and_not1_saveexec_b32 s9, s9
	s_cbranch_execz .LBB127_4865
.LBB127_4881:
	v_cmp_ne_u16_e32 vcc_lo, 0, v1
	s_and_not1_b32 s22, s22, exec_lo
	s_and_b32 s23, vcc_lo, exec_lo
	s_delay_alu instid0(SALU_CYCLE_1)
	s_or_b32 s22, s22, s23
	s_or_b32 exec_lo, exec_lo, s9
	v_mov_b64_e32 v[24:25], 0
	s_and_saveexec_b32 s9, s22
	s_cbranch_execnz .LBB127_4866
	s_branch .LBB127_4867
.LBB127_4882:
	s_mov_b32 s1, -1
                                        ; implicit-def: $vgpr24_vgpr25
	s_branch .LBB127_4887
.LBB127_4883:
	s_mov_b32 s1, -1
                                        ; implicit-def: $vgpr24_vgpr25
.LBB127_4884:
	s_delay_alu instid0(SALU_CYCLE_1)
	s_and_b32 vcc_lo, exec_lo, s1
	s_cbranch_vccz .LBB127_4886
; %bb.4885:
	global_load_u8 v1, v[32:33], off
	s_wait_loadcnt 0x0
	v_lshlrev_b32_e32 v1, 24, v1
	s_delay_alu instid0(VALU_DEP_1) | instskip(NEXT) | instid1(VALU_DEP_1)
	v_and_b32_e32 v3, 0x7f000000, v1
	v_clz_i32_u32_e32 v5, v3
	v_add_nc_u32_e32 v11, 0x1000000, v3
	v_cmp_ne_u32_e32 vcc_lo, 0, v3
	s_delay_alu instid0(VALU_DEP_3) | instskip(NEXT) | instid1(VALU_DEP_1)
	v_min_u32_e32 v5, 32, v5
	v_sub_nc_u32_e64 v5, v5, 4 clamp
	s_delay_alu instid0(VALU_DEP_1) | instskip(NEXT) | instid1(VALU_DEP_1)
	v_dual_lshlrev_b32 v7, v5, v3 :: v_dual_lshlrev_b32 v5, 23, v5
	v_lshrrev_b32_e32 v7, 4, v7
	s_delay_alu instid0(VALU_DEP_1) | instskip(NEXT) | instid1(VALU_DEP_1)
	v_dual_sub_nc_u32 v5, v7, v5 :: v_dual_ashrrev_i32 v7, 8, v11
	v_add_nc_u32_e32 v5, 0x3c000000, v5
	s_delay_alu instid0(VALU_DEP_1) | instskip(NEXT) | instid1(VALU_DEP_1)
	v_and_or_b32 v5, 0x7f800000, v7, v5
	v_cndmask_b32_e32 v3, 0, v5, vcc_lo
	s_delay_alu instid0(VALU_DEP_1) | instskip(NEXT) | instid1(VALU_DEP_1)
	v_and_or_b32 v1, 0x80000000, v1, v3
	v_trunc_f32_e32 v1, v1
	s_delay_alu instid0(VALU_DEP_1) | instskip(SKIP_1) | instid1(VALU_DEP_2)
	v_mul_f32_e64 v3, 0x2f800000, |v1|
	v_ashrrev_i32_e32 v24, 31, v1
	v_floor_f32_e32 v3, v3
	s_delay_alu instid0(VALU_DEP_2) | instskip(NEXT) | instid1(VALU_DEP_2)
	v_mov_b32_e32 v25, v24
	v_fma_f32 v5, 0xcf800000, v3, |v1|
	v_cvt_u32_f32_e32 v1, v3
	s_delay_alu instid0(VALU_DEP_2) | instskip(NEXT) | instid1(VALU_DEP_2)
	v_cvt_u32_f32_e32 v3, v5
	v_xor_b32_e32 v35, v1, v24
	s_delay_alu instid0(VALU_DEP_2) | instskip(NEXT) | instid1(VALU_DEP_1)
	v_xor_b32_e32 v34, v3, v24
	v_sub_nc_u64_e32 v[24:25], v[34:35], v[24:25]
.LBB127_4886:
	s_mov_b32 s1, 0
.LBB127_4887:
	s_delay_alu instid0(SALU_CYCLE_1)
	s_and_not1_b32 vcc_lo, exec_lo, s1
	s_cbranch_vccnz .LBB127_4889
; %bb.4888:
	global_load_u8 v1, v[32:33], off
	s_wait_loadcnt 0x0
	v_lshlrev_b32_e32 v3, 25, v1
	v_lshlrev_b16 v1, 8, v1
	s_delay_alu instid0(VALU_DEP_1) | instskip(SKIP_1) | instid1(VALU_DEP_2)
	v_and_or_b32 v7, 0x7f00, v1, 0.5
	v_bfe_i32 v1, v1, 0, 16
	v_add_f32_e32 v7, -0.5, v7
	v_lshrrev_b32_e32 v5, 4, v3
	v_cmp_gt_u32_e32 vcc_lo, 0x8000000, v3
	s_delay_alu instid0(VALU_DEP_2) | instskip(NEXT) | instid1(VALU_DEP_1)
	v_or_b32_e32 v5, 0x70000000, v5
	v_mul_f32_e32 v5, 0x7800000, v5
	s_delay_alu instid0(VALU_DEP_1) | instskip(NEXT) | instid1(VALU_DEP_1)
	v_cndmask_b32_e32 v3, v5, v7, vcc_lo
	v_and_or_b32 v1, 0x80000000, v1, v3
	s_delay_alu instid0(VALU_DEP_1) | instskip(NEXT) | instid1(VALU_DEP_1)
	v_trunc_f32_e32 v1, v1
	v_mul_f32_e64 v3, 0x2f800000, |v1|
	v_ashrrev_i32_e32 v24, 31, v1
	s_delay_alu instid0(VALU_DEP_2) | instskip(NEXT) | instid1(VALU_DEP_2)
	v_floor_f32_e32 v3, v3
	v_mov_b32_e32 v25, v24
	s_delay_alu instid0(VALU_DEP_2) | instskip(SKIP_1) | instid1(VALU_DEP_2)
	v_fma_f32 v5, 0xcf800000, v3, |v1|
	v_cvt_u32_f32_e32 v1, v3
	v_cvt_u32_f32_e32 v3, v5
	s_delay_alu instid0(VALU_DEP_2) | instskip(NEXT) | instid1(VALU_DEP_2)
	v_xor_b32_e32 v35, v1, v24
	v_xor_b32_e32 v34, v3, v24
	s_delay_alu instid0(VALU_DEP_1)
	v_sub_nc_u64_e32 v[24:25], v[34:35], v[24:25]
.LBB127_4889:
	s_mov_b32 s1, 0
	s_mov_b32 s9, -1
.LBB127_4890:
	s_and_not1_b32 vcc_lo, exec_lo, s1
	s_mov_b32 s1, 0
	s_cbranch_vccnz .LBB127_4901
; %bb.4891:
	s_cmp_gt_i32 s60, 14
	s_cbranch_scc0 .LBB127_4894
; %bb.4892:
	s_cmp_eq_u32 s60, 15
	s_cbranch_scc0 .LBB127_4897
; %bb.4893:
	global_load_u16 v1, v[32:33], off
	s_mov_b32 s0, 0
	s_mov_b32 s9, -1
	s_wait_loadcnt 0x0
	v_lshlrev_b32_e32 v1, 16, v1
	s_delay_alu instid0(VALU_DEP_1) | instskip(NEXT) | instid1(VALU_DEP_1)
	v_trunc_f32_e32 v1, v1
	v_mul_f32_e64 v3, 0x2f800000, |v1|
	v_ashrrev_i32_e32 v24, 31, v1
	s_delay_alu instid0(VALU_DEP_2) | instskip(NEXT) | instid1(VALU_DEP_2)
	v_floor_f32_e32 v3, v3
	v_mov_b32_e32 v25, v24
	s_delay_alu instid0(VALU_DEP_2) | instskip(SKIP_1) | instid1(VALU_DEP_2)
	v_fma_f32 v5, 0xcf800000, v3, |v1|
	v_cvt_u32_f32_e32 v1, v3
	v_cvt_u32_f32_e32 v3, v5
	s_delay_alu instid0(VALU_DEP_2) | instskip(NEXT) | instid1(VALU_DEP_2)
	v_xor_b32_e32 v35, v1, v24
	v_xor_b32_e32 v34, v3, v24
	s_delay_alu instid0(VALU_DEP_1)
	v_sub_nc_u64_e32 v[24:25], v[34:35], v[24:25]
	s_branch .LBB127_4899
.LBB127_4894:
	s_mov_b32 s1, -1
	s_branch .LBB127_4898
.LBB127_4895:
	s_and_not1_saveexec_b32 s1, s1
	s_cbranch_execz .LBB127_4876
.LBB127_4896:
	v_cmp_ne_u16_e32 vcc_lo, 0, v1
	s_and_not1_b32 s9, s9, exec_lo
	s_and_b32 s22, vcc_lo, exec_lo
	s_delay_alu instid0(SALU_CYCLE_1)
	s_or_b32 s9, s9, s22
	s_or_b32 exec_lo, exec_lo, s1
	v_mov_b64_e32 v[24:25], 0
	s_and_saveexec_b32 s1, s9
	s_cbranch_execnz .LBB127_4877
	s_branch .LBB127_4878
.LBB127_4897:
	s_mov_b32 s0, -1
.LBB127_4898:
                                        ; implicit-def: $vgpr24_vgpr25
.LBB127_4899:
	s_and_b32 vcc_lo, exec_lo, s1
	s_mov_b32 s1, 0
	s_cbranch_vccz .LBB127_4901
; %bb.4900:
	s_cmp_lg_u32 s60, 11
	s_mov_b32 s1, -1
	s_cselect_b32 s0, -1, 0
.LBB127_4901:
	s_delay_alu instid0(SALU_CYCLE_1)
	s_and_b32 vcc_lo, exec_lo, s0
	s_cbranch_vccnz .LBB127_4966
; %bb.4902:
	s_and_not1_b32 vcc_lo, exec_lo, s1
	s_cbranch_vccnz .LBB127_4904
.LBB127_4903:
	global_load_u8 v1, v[32:33], off
	s_mov_b32 s0, 0
	s_mov_b32 s9, -1
	s_wait_loadcnt 0x1
	v_mov_b32_e32 v25, s0
	s_wait_loadcnt 0x0
	v_cmp_ne_u16_e32 vcc_lo, 0, v1
	v_cndmask_b32_e64 v24, 0, 1, vcc_lo
.LBB127_4904:
	s_mov_b32 s0, 0
.LBB127_4905:
	s_delay_alu instid0(SALU_CYCLE_1)
	s_and_b32 vcc_lo, exec_lo, s0
	s_cbranch_vccz .LBB127_4954
; %bb.4906:
	s_cmp_lt_i32 s60, 5
	s_cbranch_scc1 .LBB127_4911
; %bb.4907:
	s_cmp_lt_i32 s60, 8
	s_cbranch_scc1 .LBB127_4912
	;; [unrolled: 3-line block ×3, first 2 shown]
; %bb.4909:
	s_cmp_gt_i32 s60, 9
	s_cbranch_scc0 .LBB127_4914
; %bb.4910:
	s_wait_loadcnt 0x0
	global_load_b64 v[24:25], v[32:33], off
	s_mov_b32 s0, 0
	s_wait_loadcnt 0x0
	v_trunc_f64_e32 v[24:25], v[24:25]
	s_delay_alu instid0(VALU_DEP_1) | instskip(NEXT) | instid1(VALU_DEP_1)
	v_ldexp_f64 v[34:35], v[24:25], 0xffffffe0
	v_floor_f64_e32 v[34:35], v[34:35]
	s_delay_alu instid0(VALU_DEP_1) | instskip(SKIP_1) | instid1(VALU_DEP_2)
	v_fmamk_f64 v[36:37], v[34:35], 0xc1f00000, v[24:25]
	v_cvt_i32_f64_e32 v25, v[34:35]
	v_cvt_u32_f64_e32 v24, v[36:37]
	s_branch .LBB127_4915
.LBB127_4911:
	s_mov_b32 s0, -1
                                        ; implicit-def: $vgpr24_vgpr25
	s_branch .LBB127_4933
.LBB127_4912:
	s_mov_b32 s0, -1
                                        ; implicit-def: $vgpr24_vgpr25
	s_branch .LBB127_4921
.LBB127_4913:
	s_mov_b32 s0, -1
                                        ; implicit-def: $vgpr24_vgpr25
	s_branch .LBB127_4918
.LBB127_4914:
	s_mov_b32 s0, -1
                                        ; implicit-def: $vgpr24_vgpr25
.LBB127_4915:
	s_delay_alu instid0(SALU_CYCLE_1)
	s_and_not1_b32 vcc_lo, exec_lo, s0
	s_cbranch_vccnz .LBB127_4917
; %bb.4916:
	global_load_b32 v1, v[32:33], off
	s_wait_loadcnt 0x0
	v_trunc_f32_e32 v1, v1
	s_delay_alu instid0(VALU_DEP_1) | instskip(SKIP_1) | instid1(VALU_DEP_2)
	v_mul_f32_e64 v3, 0x2f800000, |v1|
	v_ashrrev_i32_e32 v24, 31, v1
	v_floor_f32_e32 v3, v3
	s_delay_alu instid0(VALU_DEP_1) | instskip(SKIP_1) | instid1(VALU_DEP_4)
	v_fma_f32 v5, 0xcf800000, v3, |v1|
	v_cvt_u32_f32_e32 v1, v3
	v_mov_b32_e32 v25, v24
	s_delay_alu instid0(VALU_DEP_3) | instskip(NEXT) | instid1(VALU_DEP_3)
	v_cvt_u32_f32_e32 v3, v5
	v_xor_b32_e32 v35, v1, v24
	s_delay_alu instid0(VALU_DEP_2) | instskip(NEXT) | instid1(VALU_DEP_1)
	v_xor_b32_e32 v34, v3, v24
	v_sub_nc_u64_e32 v[24:25], v[34:35], v[24:25]
.LBB127_4917:
	s_mov_b32 s0, 0
.LBB127_4918:
	s_delay_alu instid0(SALU_CYCLE_1)
	s_and_not1_b32 vcc_lo, exec_lo, s0
	s_cbranch_vccnz .LBB127_4920
; %bb.4919:
	global_load_b32 v1, v[32:33], off
	s_wait_loadcnt 0x0
	v_cvt_f32_f16_e32 v1, v1
	s_delay_alu instid0(VALU_DEP_1) | instskip(NEXT) | instid1(VALU_DEP_1)
	v_cvt_i32_f32_e32 v24, v1
	v_ashrrev_i32_e32 v25, 31, v24
.LBB127_4920:
	s_mov_b32 s0, 0
.LBB127_4921:
	s_delay_alu instid0(SALU_CYCLE_1)
	s_and_not1_b32 vcc_lo, exec_lo, s0
	s_cbranch_vccnz .LBB127_4932
; %bb.4922:
	s_cmp_lt_i32 s60, 6
	s_cbranch_scc1 .LBB127_4925
; %bb.4923:
	s_cmp_gt_i32 s60, 6
	s_cbranch_scc0 .LBB127_4926
; %bb.4924:
	s_wait_loadcnt 0x0
	global_load_b64 v[24:25], v[32:33], off
	s_mov_b32 s0, 0
	s_wait_loadcnt 0x0
	v_trunc_f64_e32 v[24:25], v[24:25]
	s_delay_alu instid0(VALU_DEP_1) | instskip(NEXT) | instid1(VALU_DEP_1)
	v_ldexp_f64 v[34:35], v[24:25], 0xffffffe0
	v_floor_f64_e32 v[34:35], v[34:35]
	s_delay_alu instid0(VALU_DEP_1) | instskip(SKIP_1) | instid1(VALU_DEP_2)
	v_fmamk_f64 v[36:37], v[34:35], 0xc1f00000, v[24:25]
	v_cvt_i32_f64_e32 v25, v[34:35]
	v_cvt_u32_f64_e32 v24, v[36:37]
	s_branch .LBB127_4927
.LBB127_4925:
	s_mov_b32 s0, -1
                                        ; implicit-def: $vgpr24_vgpr25
	s_branch .LBB127_4930
.LBB127_4926:
	s_mov_b32 s0, -1
                                        ; implicit-def: $vgpr24_vgpr25
.LBB127_4927:
	s_delay_alu instid0(SALU_CYCLE_1)
	s_and_not1_b32 vcc_lo, exec_lo, s0
	s_cbranch_vccnz .LBB127_4929
; %bb.4928:
	global_load_b32 v1, v[32:33], off
	s_wait_loadcnt 0x0
	v_trunc_f32_e32 v1, v1
	s_delay_alu instid0(VALU_DEP_1) | instskip(SKIP_1) | instid1(VALU_DEP_2)
	v_mul_f32_e64 v3, 0x2f800000, |v1|
	v_ashrrev_i32_e32 v24, 31, v1
	v_floor_f32_e32 v3, v3
	s_delay_alu instid0(VALU_DEP_1) | instskip(SKIP_1) | instid1(VALU_DEP_4)
	v_fma_f32 v5, 0xcf800000, v3, |v1|
	v_cvt_u32_f32_e32 v1, v3
	v_mov_b32_e32 v25, v24
	s_delay_alu instid0(VALU_DEP_3) | instskip(NEXT) | instid1(VALU_DEP_3)
	v_cvt_u32_f32_e32 v3, v5
	v_xor_b32_e32 v35, v1, v24
	s_delay_alu instid0(VALU_DEP_2) | instskip(NEXT) | instid1(VALU_DEP_1)
	v_xor_b32_e32 v34, v3, v24
	v_sub_nc_u64_e32 v[24:25], v[34:35], v[24:25]
.LBB127_4929:
	s_mov_b32 s0, 0
.LBB127_4930:
	s_delay_alu instid0(SALU_CYCLE_1)
	s_and_not1_b32 vcc_lo, exec_lo, s0
	s_cbranch_vccnz .LBB127_4932
; %bb.4931:
	global_load_u16 v1, v[32:33], off
	s_wait_loadcnt 0x0
	v_cvt_f32_f16_e32 v1, v1
	s_delay_alu instid0(VALU_DEP_1) | instskip(NEXT) | instid1(VALU_DEP_1)
	v_cvt_i32_f32_e32 v24, v1
	v_ashrrev_i32_e32 v25, 31, v24
.LBB127_4932:
	s_mov_b32 s0, 0
.LBB127_4933:
	s_delay_alu instid0(SALU_CYCLE_1)
	s_and_not1_b32 vcc_lo, exec_lo, s0
	s_cbranch_vccnz .LBB127_4953
; %bb.4934:
	s_cmp_lt_i32 s60, 2
	s_cbranch_scc1 .LBB127_4938
; %bb.4935:
	s_cmp_lt_i32 s60, 3
	s_cbranch_scc1 .LBB127_4939
; %bb.4936:
	s_cmp_gt_i32 s60, 3
	s_cbranch_scc0 .LBB127_4940
; %bb.4937:
	s_wait_loadcnt 0x0
	global_load_b64 v[24:25], v[32:33], off
	s_mov_b32 s0, 0
	s_branch .LBB127_4941
.LBB127_4938:
	s_mov_b32 s0, -1
                                        ; implicit-def: $vgpr24_vgpr25
	s_branch .LBB127_4947
.LBB127_4939:
	s_mov_b32 s0, -1
                                        ; implicit-def: $vgpr24_vgpr25
	s_branch .LBB127_4944
.LBB127_4940:
	s_mov_b32 s0, -1
                                        ; implicit-def: $vgpr24_vgpr25
.LBB127_4941:
	s_delay_alu instid0(SALU_CYCLE_1)
	s_and_not1_b32 vcc_lo, exec_lo, s0
	s_cbranch_vccnz .LBB127_4943
; %bb.4942:
	s_wait_loadcnt 0x0
	global_load_b32 v24, v[32:33], off
	s_wait_loadcnt 0x0
	v_ashrrev_i32_e32 v25, 31, v24
.LBB127_4943:
	s_mov_b32 s0, 0
.LBB127_4944:
	s_delay_alu instid0(SALU_CYCLE_1)
	s_and_not1_b32 vcc_lo, exec_lo, s0
	s_cbranch_vccnz .LBB127_4946
; %bb.4945:
	global_load_u16 v1, v[32:33], off
	s_wait_loadcnt 0x0
	v_bfe_i32 v24, v1, 0, 16
	s_delay_alu instid0(VALU_DEP_1)
	v_ashrrev_i32_e32 v25, 31, v24
.LBB127_4946:
	s_mov_b32 s0, 0
.LBB127_4947:
	s_delay_alu instid0(SALU_CYCLE_1)
	s_and_not1_b32 vcc_lo, exec_lo, s0
	s_cbranch_vccnz .LBB127_4953
; %bb.4948:
	s_cmp_gt_i32 s60, 0
	s_mov_b32 s0, 0
	s_cbranch_scc0 .LBB127_4950
; %bb.4949:
	global_load_i8 v1, v[32:33], off
	s_wait_loadcnt 0x0
	v_bfe_i32 v24, v1, 0, 16
	s_delay_alu instid0(VALU_DEP_1)
	v_ashrrev_i32_e32 v25, 31, v24
	s_branch .LBB127_4951
.LBB127_4950:
	s_mov_b32 s0, -1
                                        ; implicit-def: $vgpr24_vgpr25
.LBB127_4951:
	s_delay_alu instid0(SALU_CYCLE_1)
	s_and_not1_b32 vcc_lo, exec_lo, s0
	s_cbranch_vccnz .LBB127_4953
; %bb.4952:
	global_load_u8 v1, v[32:33], off
	s_mov_b32 s0, 0
	s_wait_loadcnt 0x1
	v_mov_b32_e32 v25, s0
	s_wait_loadcnt 0x0
	v_and_b32_e32 v24, 0xffff, v1
.LBB127_4953:
	s_mov_b32 s9, -1
.LBB127_4954:
	s_delay_alu instid0(SALU_CYCLE_1)
	s_and_not1_b32 vcc_lo, exec_lo, s9
	s_cbranch_vccnz .LBB127_5090
; %bb.4955:
	v_mov_b32_e32 v23, 0
	s_cmp_lt_i32 s61, 11
	s_delay_alu instid0(VALU_DEP_1)
	v_add_nc_u64_e32 v[22:23], s[16:17], v[22:23]
	s_cbranch_scc1 .LBB127_4962
; %bb.4956:
	s_cmp_gt_i32 s61, 25
	s_mov_b32 s1, 0
	s_cbranch_scc0 .LBB127_4963
; %bb.4957:
	s_cmp_gt_i32 s61, 28
	s_cbranch_scc0 .LBB127_4964
; %bb.4958:
	s_cmp_gt_i32 s61, 43
	s_cbranch_scc0 .LBB127_4965
; %bb.4959:
	s_cmp_gt_i32 s61, 45
	s_cbranch_scc0 .LBB127_4967
; %bb.4960:
	s_cmp_eq_u32 s61, 46
	s_mov_b32 s22, 0
	s_cbranch_scc0 .LBB127_4968
; %bb.4961:
	global_load_b32 v1, v[22:23], off
	s_mov_b32 s0, 0
	s_mov_b32 s9, -1
	s_wait_loadcnt 0x0
	v_lshlrev_b32_e32 v1, 16, v1
	s_delay_alu instid0(VALU_DEP_1) | instskip(NEXT) | instid1(VALU_DEP_1)
	v_trunc_f32_e32 v1, v1
	v_mul_f32_e64 v3, 0x2f800000, |v1|
	s_wait_xcnt 0x1
	v_ashrrev_i32_e32 v32, 31, v1
	s_delay_alu instid0(VALU_DEP_2) | instskip(NEXT) | instid1(VALU_DEP_2)
	v_floor_f32_e32 v3, v3
	v_mov_b32_e32 v33, v32
	s_delay_alu instid0(VALU_DEP_2) | instskip(SKIP_1) | instid1(VALU_DEP_2)
	v_fma_f32 v5, 0xcf800000, v3, |v1|
	v_cvt_u32_f32_e32 v1, v3
	v_cvt_u32_f32_e32 v3, v5
	s_delay_alu instid0(VALU_DEP_2) | instskip(NEXT) | instid1(VALU_DEP_2)
	v_xor_b32_e32 v35, v1, v32
	v_xor_b32_e32 v34, v3, v32
	s_delay_alu instid0(VALU_DEP_1)
	v_sub_nc_u64_e32 v[32:33], v[34:35], v[32:33]
	s_branch .LBB127_4970
.LBB127_4962:
	s_mov_b32 s0, -1
	s_mov_b32 s9, 0
                                        ; implicit-def: $vgpr32_vgpr33
	s_branch .LBB127_5032
.LBB127_4963:
	s_mov_b32 s22, -1
	s_mov_b32 s9, 0
	s_mov_b32 s0, 0
                                        ; implicit-def: $vgpr32_vgpr33
	s_branch .LBB127_4997
.LBB127_4964:
	s_mov_b32 s22, -1
	s_mov_b32 s9, 0
	s_mov_b32 s0, 0
                                        ; implicit-def: $vgpr32_vgpr33
	s_branch .LBB127_4980
.LBB127_4965:
	s_mov_b32 s22, -1
	s_mov_b32 s9, 0
	s_mov_b32 s0, 0
                                        ; implicit-def: $vgpr32_vgpr33
	s_branch .LBB127_4975
.LBB127_4966:
	s_or_b32 s56, s56, exec_lo
	s_trap 2
	s_cbranch_execz .LBB127_4903
	s_branch .LBB127_4904
.LBB127_4967:
	s_mov_b32 s22, -1
	s_mov_b32 s9, 0
	s_mov_b32 s0, 0
	s_branch .LBB127_4969
.LBB127_4968:
	s_mov_b32 s0, -1
	s_mov_b32 s9, 0
.LBB127_4969:
                                        ; implicit-def: $vgpr32_vgpr33
.LBB127_4970:
	s_and_b32 vcc_lo, exec_lo, s22
	s_cbranch_vccz .LBB127_4974
; %bb.4971:
	s_cmp_eq_u32 s61, 44
	s_cbranch_scc0 .LBB127_4973
; %bb.4972:
	global_load_u8 v1, v[22:23], off
	s_mov_b32 s0, 0
	s_mov_b32 s9, -1
	s_wait_loadcnt 0x0
	v_lshlrev_b32_e32 v3, 23, v1
	v_cmp_ne_u32_e32 vcc_lo, 0, v1
	s_delay_alu instid0(VALU_DEP_2) | instskip(NEXT) | instid1(VALU_DEP_1)
	v_trunc_f32_e32 v3, v3
	v_mul_f32_e64 v5, 0x2f800000, |v3|
	s_wait_xcnt 0x1
	v_ashrrev_i32_e32 v32, 31, v3
	s_delay_alu instid0(VALU_DEP_2) | instskip(NEXT) | instid1(VALU_DEP_2)
	v_floor_f32_e32 v5, v5
	v_mov_b32_e32 v33, v32
	s_delay_alu instid0(VALU_DEP_2) | instskip(SKIP_1) | instid1(VALU_DEP_2)
	v_fma_f32 v7, 0xcf800000, v5, |v3|
	v_cvt_u32_f32_e32 v3, v5
	v_cvt_u32_f32_e32 v5, v7
	s_delay_alu instid0(VALU_DEP_2) | instskip(NEXT) | instid1(VALU_DEP_2)
	v_xor_b32_e32 v35, v3, v32
	v_xor_b32_e32 v34, v5, v32
	s_delay_alu instid0(VALU_DEP_1) | instskip(NEXT) | instid1(VALU_DEP_1)
	v_sub_nc_u64_e32 v[32:33], v[34:35], v[32:33]
	v_dual_cndmask_b32 v33, 0, v33 :: v_dual_cndmask_b32 v32, 0, v32
	s_branch .LBB127_4974
.LBB127_4973:
	s_mov_b32 s0, -1
                                        ; implicit-def: $vgpr32_vgpr33
.LBB127_4974:
	s_mov_b32 s22, 0
.LBB127_4975:
	s_delay_alu instid0(SALU_CYCLE_1)
	s_and_b32 vcc_lo, exec_lo, s22
	s_cbranch_vccz .LBB127_4979
; %bb.4976:
	s_cmp_eq_u32 s61, 29
	s_cbranch_scc0 .LBB127_4978
; %bb.4977:
	global_load_b64 v[32:33], v[22:23], off
	s_mov_b32 s0, 0
	s_mov_b32 s9, -1
	s_branch .LBB127_4979
.LBB127_4978:
	s_mov_b32 s0, -1
                                        ; implicit-def: $vgpr32_vgpr33
.LBB127_4979:
	s_mov_b32 s22, 0
.LBB127_4980:
	s_delay_alu instid0(SALU_CYCLE_1)
	s_and_b32 vcc_lo, exec_lo, s22
	s_cbranch_vccz .LBB127_4996
; %bb.4981:
	s_cmp_lt_i32 s61, 27
	s_cbranch_scc1 .LBB127_4984
; %bb.4982:
	s_cmp_gt_i32 s61, 27
	s_cbranch_scc0 .LBB127_4985
; %bb.4983:
	s_wait_loadcnt 0x0
	global_load_b32 v32, v[22:23], off
	v_mov_b32_e32 v33, 0
	s_mov_b32 s9, 0
	s_branch .LBB127_4986
.LBB127_4984:
	s_mov_b32 s9, -1
                                        ; implicit-def: $vgpr32_vgpr33
	s_branch .LBB127_4989
.LBB127_4985:
	s_mov_b32 s9, -1
                                        ; implicit-def: $vgpr32_vgpr33
.LBB127_4986:
	s_delay_alu instid0(SALU_CYCLE_1)
	s_and_not1_b32 vcc_lo, exec_lo, s9
	s_cbranch_vccnz .LBB127_4988
; %bb.4987:
	global_load_u16 v1, v[22:23], off
	s_mov_b32 s9, 0
	s_wait_loadcnt 0x1
	s_wait_xcnt 0x1
	v_mov_b32_e32 v33, s9
	s_wait_loadcnt 0x0
	v_and_b32_e32 v32, 0xffff, v1
.LBB127_4988:
	s_mov_b32 s9, 0
.LBB127_4989:
	s_delay_alu instid0(SALU_CYCLE_1)
	s_and_not1_b32 vcc_lo, exec_lo, s9
	s_cbranch_vccnz .LBB127_4995
; %bb.4990:
	global_load_u8 v1, v[22:23], off
	s_mov_b32 s22, 0
	s_mov_b32 s9, exec_lo
	s_wait_loadcnt 0x0
	v_cmpx_lt_i16_e32 0x7f, v1
	s_xor_b32 s9, exec_lo, s9
	s_cbranch_execz .LBB127_5007
; %bb.4991:
	v_cmp_ne_u16_e32 vcc_lo, 0x80, v1
	s_and_b32 s22, vcc_lo, exec_lo
	s_and_not1_saveexec_b32 s9, s9
	s_cbranch_execnz .LBB127_5008
.LBB127_4992:
	s_or_b32 exec_lo, exec_lo, s9
	v_mov_b64_e32 v[32:33], 0
	s_and_saveexec_b32 s9, s22
	s_cbranch_execz .LBB127_4994
.LBB127_4993:
	v_and_b32_e32 v3, 0xffff, v1
	s_delay_alu instid0(VALU_DEP_1) | instskip(SKIP_1) | instid1(VALU_DEP_2)
	v_dual_lshlrev_b32 v1, 24, v1 :: v_dual_bitop2_b32 v5, 7, v3 bitop3:0x40
	v_bfe_u32 v15, v3, 3, 4
	v_and_b32_e32 v1, 0x80000000, v1
	s_delay_alu instid0(VALU_DEP_3) | instskip(NEXT) | instid1(VALU_DEP_3)
	v_clz_i32_u32_e32 v7, v5
	v_cmp_eq_u32_e32 vcc_lo, 0, v15
	s_delay_alu instid0(VALU_DEP_2) | instskip(NEXT) | instid1(VALU_DEP_1)
	v_min_u32_e32 v7, 32, v7
	v_subrev_nc_u32_e32 v11, 28, v7
	v_sub_nc_u32_e32 v7, 29, v7
	s_delay_alu instid0(VALU_DEP_2) | instskip(NEXT) | instid1(VALU_DEP_2)
	v_lshlrev_b32_e32 v3, v11, v3
	v_cndmask_b32_e32 v7, v15, v7, vcc_lo
	s_delay_alu instid0(VALU_DEP_2) | instskip(NEXT) | instid1(VALU_DEP_1)
	v_and_b32_e32 v3, 7, v3
	v_cndmask_b32_e32 v3, v5, v3, vcc_lo
	s_delay_alu instid0(VALU_DEP_3) | instskip(NEXT) | instid1(VALU_DEP_2)
	v_lshl_add_u32 v5, v7, 23, 0x3b800000
	v_lshlrev_b32_e32 v3, 20, v3
	s_delay_alu instid0(VALU_DEP_1) | instskip(NEXT) | instid1(VALU_DEP_1)
	v_or3_b32 v1, v1, v5, v3
	v_trunc_f32_e32 v1, v1
	s_delay_alu instid0(VALU_DEP_1) | instskip(SKIP_1) | instid1(VALU_DEP_2)
	v_mul_f32_e64 v3, 0x2f800000, |v1|
	v_ashrrev_i32_e32 v32, 31, v1
	v_floor_f32_e32 v3, v3
	s_delay_alu instid0(VALU_DEP_2) | instskip(NEXT) | instid1(VALU_DEP_2)
	v_mov_b32_e32 v33, v32
	v_fma_f32 v5, 0xcf800000, v3, |v1|
	v_cvt_u32_f32_e32 v1, v3
	s_delay_alu instid0(VALU_DEP_2) | instskip(NEXT) | instid1(VALU_DEP_2)
	v_cvt_u32_f32_e32 v3, v5
	v_xor_b32_e32 v35, v1, v32
	s_delay_alu instid0(VALU_DEP_2) | instskip(NEXT) | instid1(VALU_DEP_1)
	v_xor_b32_e32 v34, v3, v32
	v_sub_nc_u64_e32 v[32:33], v[34:35], v[32:33]
.LBB127_4994:
	s_or_b32 exec_lo, exec_lo, s9
.LBB127_4995:
	s_mov_b32 s9, -1
.LBB127_4996:
	s_mov_b32 s22, 0
.LBB127_4997:
	s_delay_alu instid0(SALU_CYCLE_1)
	s_and_b32 vcc_lo, exec_lo, s22
	s_cbranch_vccz .LBB127_5028
; %bb.4998:
	s_cmp_gt_i32 s61, 22
	s_cbranch_scc0 .LBB127_5006
; %bb.4999:
	s_cmp_lt_i32 s61, 24
	s_cbranch_scc1 .LBB127_5009
; %bb.5000:
	s_cmp_gt_i32 s61, 24
	s_cbranch_scc0 .LBB127_5010
; %bb.5001:
	global_load_u8 v1, v[22:23], off
	s_mov_b32 s9, 0
	s_mov_b32 s1, exec_lo
	s_wait_loadcnt 0x0
	v_cmpx_lt_i16_e32 0x7f, v1
	s_xor_b32 s1, exec_lo, s1
	s_cbranch_execz .LBB127_5022
; %bb.5002:
	v_cmp_ne_u16_e32 vcc_lo, 0x80, v1
	s_and_b32 s9, vcc_lo, exec_lo
	s_and_not1_saveexec_b32 s1, s1
	s_cbranch_execnz .LBB127_5023
.LBB127_5003:
	s_or_b32 exec_lo, exec_lo, s1
	v_mov_b64_e32 v[32:33], 0
	s_and_saveexec_b32 s1, s9
	s_cbranch_execz .LBB127_5005
.LBB127_5004:
	v_and_b32_e32 v3, 0xffff, v1
	s_delay_alu instid0(VALU_DEP_1) | instskip(SKIP_1) | instid1(VALU_DEP_2)
	v_dual_lshlrev_b32 v1, 24, v1 :: v_dual_bitop2_b32 v5, 3, v3 bitop3:0x40
	v_bfe_u32 v15, v3, 2, 5
	v_and_b32_e32 v1, 0x80000000, v1
	s_delay_alu instid0(VALU_DEP_3) | instskip(NEXT) | instid1(VALU_DEP_3)
	v_clz_i32_u32_e32 v7, v5
	v_cmp_eq_u32_e32 vcc_lo, 0, v15
	s_delay_alu instid0(VALU_DEP_2) | instskip(NEXT) | instid1(VALU_DEP_1)
	v_min_u32_e32 v7, 32, v7
	v_subrev_nc_u32_e32 v11, 29, v7
	v_sub_nc_u32_e32 v7, 30, v7
	s_delay_alu instid0(VALU_DEP_2) | instskip(NEXT) | instid1(VALU_DEP_2)
	v_lshlrev_b32_e32 v3, v11, v3
	v_cndmask_b32_e32 v7, v15, v7, vcc_lo
	s_delay_alu instid0(VALU_DEP_2) | instskip(NEXT) | instid1(VALU_DEP_1)
	v_and_b32_e32 v3, 3, v3
	v_cndmask_b32_e32 v3, v5, v3, vcc_lo
	s_delay_alu instid0(VALU_DEP_3) | instskip(NEXT) | instid1(VALU_DEP_2)
	v_lshl_add_u32 v5, v7, 23, 0x37800000
	v_lshlrev_b32_e32 v3, 21, v3
	s_delay_alu instid0(VALU_DEP_1) | instskip(NEXT) | instid1(VALU_DEP_1)
	v_or3_b32 v1, v1, v5, v3
	v_trunc_f32_e32 v1, v1
	s_delay_alu instid0(VALU_DEP_1) | instskip(SKIP_1) | instid1(VALU_DEP_2)
	v_mul_f32_e64 v3, 0x2f800000, |v1|
	v_ashrrev_i32_e32 v32, 31, v1
	v_floor_f32_e32 v3, v3
	s_delay_alu instid0(VALU_DEP_2) | instskip(NEXT) | instid1(VALU_DEP_2)
	v_mov_b32_e32 v33, v32
	v_fma_f32 v5, 0xcf800000, v3, |v1|
	v_cvt_u32_f32_e32 v1, v3
	s_delay_alu instid0(VALU_DEP_2) | instskip(NEXT) | instid1(VALU_DEP_2)
	v_cvt_u32_f32_e32 v3, v5
	v_xor_b32_e32 v35, v1, v32
	s_delay_alu instid0(VALU_DEP_2) | instskip(NEXT) | instid1(VALU_DEP_1)
	v_xor_b32_e32 v34, v3, v32
	v_sub_nc_u64_e32 v[32:33], v[34:35], v[32:33]
.LBB127_5005:
	s_or_b32 exec_lo, exec_lo, s1
	s_mov_b32 s1, 0
	s_branch .LBB127_5011
.LBB127_5006:
	s_mov_b32 s1, -1
                                        ; implicit-def: $vgpr32_vgpr33
	s_branch .LBB127_5017
.LBB127_5007:
	s_and_not1_saveexec_b32 s9, s9
	s_cbranch_execz .LBB127_4992
.LBB127_5008:
	v_cmp_ne_u16_e32 vcc_lo, 0, v1
	s_and_not1_b32 s22, s22, exec_lo
	s_and_b32 s23, vcc_lo, exec_lo
	s_delay_alu instid0(SALU_CYCLE_1)
	s_or_b32 s22, s22, s23
	s_or_b32 exec_lo, exec_lo, s9
	v_mov_b64_e32 v[32:33], 0
	s_and_saveexec_b32 s9, s22
	s_cbranch_execnz .LBB127_4993
	s_branch .LBB127_4994
.LBB127_5009:
	s_mov_b32 s1, -1
                                        ; implicit-def: $vgpr32_vgpr33
	s_branch .LBB127_5014
.LBB127_5010:
	s_mov_b32 s1, -1
                                        ; implicit-def: $vgpr32_vgpr33
.LBB127_5011:
	s_delay_alu instid0(SALU_CYCLE_1)
	s_and_b32 vcc_lo, exec_lo, s1
	s_cbranch_vccz .LBB127_5013
; %bb.5012:
	global_load_u8 v1, v[22:23], off
	s_wait_loadcnt 0x0
	v_lshlrev_b32_e32 v1, 24, v1
	s_delay_alu instid0(VALU_DEP_1) | instskip(NEXT) | instid1(VALU_DEP_1)
	v_and_b32_e32 v3, 0x7f000000, v1
	v_clz_i32_u32_e32 v5, v3
	v_add_nc_u32_e32 v11, 0x1000000, v3
	v_cmp_ne_u32_e32 vcc_lo, 0, v3
	s_delay_alu instid0(VALU_DEP_3) | instskip(NEXT) | instid1(VALU_DEP_1)
	v_min_u32_e32 v5, 32, v5
	v_sub_nc_u32_e64 v5, v5, 4 clamp
	s_delay_alu instid0(VALU_DEP_1) | instskip(NEXT) | instid1(VALU_DEP_1)
	v_dual_lshlrev_b32 v7, v5, v3 :: v_dual_lshlrev_b32 v5, 23, v5
	v_lshrrev_b32_e32 v7, 4, v7
	s_delay_alu instid0(VALU_DEP_1) | instskip(NEXT) | instid1(VALU_DEP_1)
	v_dual_sub_nc_u32 v5, v7, v5 :: v_dual_ashrrev_i32 v7, 8, v11
	v_add_nc_u32_e32 v5, 0x3c000000, v5
	s_delay_alu instid0(VALU_DEP_1) | instskip(NEXT) | instid1(VALU_DEP_1)
	v_and_or_b32 v5, 0x7f800000, v7, v5
	v_cndmask_b32_e32 v3, 0, v5, vcc_lo
	s_delay_alu instid0(VALU_DEP_1) | instskip(NEXT) | instid1(VALU_DEP_1)
	v_and_or_b32 v1, 0x80000000, v1, v3
	v_trunc_f32_e32 v1, v1
	s_delay_alu instid0(VALU_DEP_1) | instskip(SKIP_2) | instid1(VALU_DEP_2)
	v_mul_f32_e64 v3, 0x2f800000, |v1|
	s_wait_xcnt 0x1
	v_ashrrev_i32_e32 v32, 31, v1
	v_floor_f32_e32 v3, v3
	s_delay_alu instid0(VALU_DEP_2) | instskip(NEXT) | instid1(VALU_DEP_2)
	v_mov_b32_e32 v33, v32
	v_fma_f32 v5, 0xcf800000, v3, |v1|
	v_cvt_u32_f32_e32 v1, v3
	s_delay_alu instid0(VALU_DEP_2) | instskip(NEXT) | instid1(VALU_DEP_2)
	v_cvt_u32_f32_e32 v3, v5
	v_xor_b32_e32 v35, v1, v32
	s_delay_alu instid0(VALU_DEP_2) | instskip(NEXT) | instid1(VALU_DEP_1)
	v_xor_b32_e32 v34, v3, v32
	v_sub_nc_u64_e32 v[32:33], v[34:35], v[32:33]
.LBB127_5013:
	s_mov_b32 s1, 0
.LBB127_5014:
	s_delay_alu instid0(SALU_CYCLE_1)
	s_and_not1_b32 vcc_lo, exec_lo, s1
	s_cbranch_vccnz .LBB127_5016
; %bb.5015:
	global_load_u8 v1, v[22:23], off
	s_wait_loadcnt 0x0
	v_lshlrev_b32_e32 v3, 25, v1
	v_lshlrev_b16 v1, 8, v1
	s_delay_alu instid0(VALU_DEP_1) | instskip(SKIP_1) | instid1(VALU_DEP_2)
	v_and_or_b32 v7, 0x7f00, v1, 0.5
	v_bfe_i32 v1, v1, 0, 16
	v_add_f32_e32 v7, -0.5, v7
	v_lshrrev_b32_e32 v5, 4, v3
	v_cmp_gt_u32_e32 vcc_lo, 0x8000000, v3
	s_delay_alu instid0(VALU_DEP_2) | instskip(NEXT) | instid1(VALU_DEP_1)
	v_or_b32_e32 v5, 0x70000000, v5
	v_mul_f32_e32 v5, 0x7800000, v5
	s_delay_alu instid0(VALU_DEP_1) | instskip(NEXT) | instid1(VALU_DEP_1)
	v_cndmask_b32_e32 v3, v5, v7, vcc_lo
	v_and_or_b32 v1, 0x80000000, v1, v3
	s_delay_alu instid0(VALU_DEP_1) | instskip(NEXT) | instid1(VALU_DEP_1)
	v_trunc_f32_e32 v1, v1
	v_mul_f32_e64 v3, 0x2f800000, |v1|
	s_wait_xcnt 0x1
	v_ashrrev_i32_e32 v32, 31, v1
	s_delay_alu instid0(VALU_DEP_2) | instskip(NEXT) | instid1(VALU_DEP_2)
	v_floor_f32_e32 v3, v3
	v_mov_b32_e32 v33, v32
	s_delay_alu instid0(VALU_DEP_2) | instskip(SKIP_1) | instid1(VALU_DEP_2)
	v_fma_f32 v5, 0xcf800000, v3, |v1|
	v_cvt_u32_f32_e32 v1, v3
	v_cvt_u32_f32_e32 v3, v5
	s_delay_alu instid0(VALU_DEP_2) | instskip(NEXT) | instid1(VALU_DEP_2)
	v_xor_b32_e32 v35, v1, v32
	v_xor_b32_e32 v34, v3, v32
	s_delay_alu instid0(VALU_DEP_1)
	v_sub_nc_u64_e32 v[32:33], v[34:35], v[32:33]
.LBB127_5016:
	s_mov_b32 s1, 0
	s_mov_b32 s9, -1
.LBB127_5017:
	s_and_not1_b32 vcc_lo, exec_lo, s1
	s_mov_b32 s1, 0
	s_cbranch_vccnz .LBB127_5028
; %bb.5018:
	s_cmp_gt_i32 s61, 14
	s_cbranch_scc0 .LBB127_5021
; %bb.5019:
	s_cmp_eq_u32 s61, 15
	s_cbranch_scc0 .LBB127_5024
; %bb.5020:
	global_load_u16 v1, v[22:23], off
	s_mov_b32 s0, 0
	s_mov_b32 s9, -1
	s_wait_loadcnt 0x0
	v_lshlrev_b32_e32 v1, 16, v1
	s_delay_alu instid0(VALU_DEP_1) | instskip(NEXT) | instid1(VALU_DEP_1)
	v_trunc_f32_e32 v1, v1
	v_mul_f32_e64 v3, 0x2f800000, |v1|
	s_wait_xcnt 0x1
	v_ashrrev_i32_e32 v32, 31, v1
	s_delay_alu instid0(VALU_DEP_2) | instskip(NEXT) | instid1(VALU_DEP_2)
	v_floor_f32_e32 v3, v3
	v_mov_b32_e32 v33, v32
	s_delay_alu instid0(VALU_DEP_2) | instskip(SKIP_1) | instid1(VALU_DEP_2)
	v_fma_f32 v5, 0xcf800000, v3, |v1|
	v_cvt_u32_f32_e32 v1, v3
	v_cvt_u32_f32_e32 v3, v5
	s_delay_alu instid0(VALU_DEP_2) | instskip(NEXT) | instid1(VALU_DEP_2)
	v_xor_b32_e32 v35, v1, v32
	v_xor_b32_e32 v34, v3, v32
	s_delay_alu instid0(VALU_DEP_1)
	v_sub_nc_u64_e32 v[32:33], v[34:35], v[32:33]
	s_branch .LBB127_5026
.LBB127_5021:
	s_mov_b32 s1, -1
	s_branch .LBB127_5025
.LBB127_5022:
	s_and_not1_saveexec_b32 s1, s1
	s_cbranch_execz .LBB127_5003
.LBB127_5023:
	v_cmp_ne_u16_e32 vcc_lo, 0, v1
	s_and_not1_b32 s9, s9, exec_lo
	s_and_b32 s22, vcc_lo, exec_lo
	s_delay_alu instid0(SALU_CYCLE_1)
	s_or_b32 s9, s9, s22
	s_or_b32 exec_lo, exec_lo, s1
	v_mov_b64_e32 v[32:33], 0
	s_and_saveexec_b32 s1, s9
	s_cbranch_execnz .LBB127_5004
	s_branch .LBB127_5005
.LBB127_5024:
	s_mov_b32 s0, -1
.LBB127_5025:
                                        ; implicit-def: $vgpr32_vgpr33
.LBB127_5026:
	s_and_b32 vcc_lo, exec_lo, s1
	s_mov_b32 s1, 0
	s_cbranch_vccz .LBB127_5028
; %bb.5027:
	s_cmp_lg_u32 s61, 11
	s_mov_b32 s1, -1
	s_cselect_b32 s0, -1, 0
.LBB127_5028:
	s_delay_alu instid0(SALU_CYCLE_1)
	s_and_b32 vcc_lo, exec_lo, s0
	s_cbranch_vccnz .LBB127_5116
; %bb.5029:
	s_and_not1_b32 vcc_lo, exec_lo, s1
	s_cbranch_vccnz .LBB127_5031
.LBB127_5030:
	global_load_u8 v1, v[22:23], off
	s_mov_b32 s0, 0
	s_mov_b32 s9, -1
	s_wait_loadcnt 0x1
	s_wait_xcnt 0x1
	v_mov_b32_e32 v33, s0
	s_wait_loadcnt 0x0
	v_cmp_ne_u16_e32 vcc_lo, 0, v1
	v_cndmask_b32_e64 v32, 0, 1, vcc_lo
.LBB127_5031:
	s_mov_b32 s0, 0
.LBB127_5032:
	s_delay_alu instid0(SALU_CYCLE_1)
	s_and_b32 vcc_lo, exec_lo, s0
	s_cbranch_vccz .LBB127_5081
; %bb.5033:
	s_cmp_lt_i32 s61, 5
	s_cbranch_scc1 .LBB127_5038
; %bb.5034:
	s_cmp_lt_i32 s61, 8
	s_cbranch_scc1 .LBB127_5039
	;; [unrolled: 3-line block ×3, first 2 shown]
; %bb.5036:
	s_cmp_gt_i32 s61, 9
	s_cbranch_scc0 .LBB127_5041
; %bb.5037:
	s_wait_loadcnt 0x0
	global_load_b64 v[32:33], v[22:23], off
	s_mov_b32 s0, 0
	s_wait_loadcnt 0x0
	v_trunc_f64_e32 v[32:33], v[32:33]
	s_delay_alu instid0(VALU_DEP_1) | instskip(NEXT) | instid1(VALU_DEP_1)
	v_ldexp_f64 v[34:35], v[32:33], 0xffffffe0
	v_floor_f64_e32 v[34:35], v[34:35]
	s_delay_alu instid0(VALU_DEP_1) | instskip(SKIP_1) | instid1(VALU_DEP_2)
	v_fmamk_f64 v[36:37], v[34:35], 0xc1f00000, v[32:33]
	v_cvt_i32_f64_e32 v33, v[34:35]
	v_cvt_u32_f64_e32 v32, v[36:37]
	s_branch .LBB127_5042
.LBB127_5038:
	s_mov_b32 s0, -1
                                        ; implicit-def: $vgpr32_vgpr33
	s_branch .LBB127_5060
.LBB127_5039:
	s_mov_b32 s0, -1
                                        ; implicit-def: $vgpr32_vgpr33
	s_branch .LBB127_5048
.LBB127_5040:
	s_mov_b32 s0, -1
                                        ; implicit-def: $vgpr32_vgpr33
	s_branch .LBB127_5045
.LBB127_5041:
	s_mov_b32 s0, -1
                                        ; implicit-def: $vgpr32_vgpr33
.LBB127_5042:
	s_delay_alu instid0(SALU_CYCLE_1)
	s_and_not1_b32 vcc_lo, exec_lo, s0
	s_cbranch_vccnz .LBB127_5044
; %bb.5043:
	global_load_b32 v1, v[22:23], off
	s_wait_loadcnt 0x0
	v_trunc_f32_e32 v1, v1
	s_delay_alu instid0(VALU_DEP_1) | instskip(SKIP_2) | instid1(VALU_DEP_2)
	v_mul_f32_e64 v3, 0x2f800000, |v1|
	s_wait_xcnt 0x1
	v_ashrrev_i32_e32 v32, 31, v1
	v_floor_f32_e32 v3, v3
	s_delay_alu instid0(VALU_DEP_1) | instskip(SKIP_1) | instid1(VALU_DEP_4)
	v_fma_f32 v5, 0xcf800000, v3, |v1|
	v_cvt_u32_f32_e32 v1, v3
	v_mov_b32_e32 v33, v32
	s_delay_alu instid0(VALU_DEP_3) | instskip(NEXT) | instid1(VALU_DEP_3)
	v_cvt_u32_f32_e32 v3, v5
	v_xor_b32_e32 v35, v1, v32
	s_delay_alu instid0(VALU_DEP_2) | instskip(NEXT) | instid1(VALU_DEP_1)
	v_xor_b32_e32 v34, v3, v32
	v_sub_nc_u64_e32 v[32:33], v[34:35], v[32:33]
.LBB127_5044:
	s_mov_b32 s0, 0
.LBB127_5045:
	s_delay_alu instid0(SALU_CYCLE_1)
	s_and_not1_b32 vcc_lo, exec_lo, s0
	s_cbranch_vccnz .LBB127_5047
; %bb.5046:
	global_load_b32 v1, v[22:23], off
	s_wait_loadcnt 0x0
	v_cvt_f32_f16_e32 v1, v1
	s_wait_xcnt 0x1
	s_delay_alu instid0(VALU_DEP_1) | instskip(NEXT) | instid1(VALU_DEP_1)
	v_cvt_i32_f32_e32 v32, v1
	v_ashrrev_i32_e32 v33, 31, v32
.LBB127_5047:
	s_mov_b32 s0, 0
.LBB127_5048:
	s_delay_alu instid0(SALU_CYCLE_1)
	s_and_not1_b32 vcc_lo, exec_lo, s0
	s_cbranch_vccnz .LBB127_5059
; %bb.5049:
	s_cmp_lt_i32 s61, 6
	s_cbranch_scc1 .LBB127_5052
; %bb.5050:
	s_cmp_gt_i32 s61, 6
	s_cbranch_scc0 .LBB127_5053
; %bb.5051:
	s_wait_loadcnt 0x0
	global_load_b64 v[32:33], v[22:23], off
	s_mov_b32 s0, 0
	s_wait_loadcnt 0x0
	v_trunc_f64_e32 v[32:33], v[32:33]
	s_delay_alu instid0(VALU_DEP_1) | instskip(NEXT) | instid1(VALU_DEP_1)
	v_ldexp_f64 v[34:35], v[32:33], 0xffffffe0
	v_floor_f64_e32 v[34:35], v[34:35]
	s_delay_alu instid0(VALU_DEP_1) | instskip(SKIP_1) | instid1(VALU_DEP_2)
	v_fmamk_f64 v[36:37], v[34:35], 0xc1f00000, v[32:33]
	v_cvt_i32_f64_e32 v33, v[34:35]
	v_cvt_u32_f64_e32 v32, v[36:37]
	s_branch .LBB127_5054
.LBB127_5052:
	s_mov_b32 s0, -1
                                        ; implicit-def: $vgpr32_vgpr33
	s_branch .LBB127_5057
.LBB127_5053:
	s_mov_b32 s0, -1
                                        ; implicit-def: $vgpr32_vgpr33
.LBB127_5054:
	s_delay_alu instid0(SALU_CYCLE_1)
	s_and_not1_b32 vcc_lo, exec_lo, s0
	s_cbranch_vccnz .LBB127_5056
; %bb.5055:
	global_load_b32 v1, v[22:23], off
	s_wait_loadcnt 0x0
	v_trunc_f32_e32 v1, v1
	s_delay_alu instid0(VALU_DEP_1) | instskip(SKIP_2) | instid1(VALU_DEP_2)
	v_mul_f32_e64 v3, 0x2f800000, |v1|
	s_wait_xcnt 0x1
	v_ashrrev_i32_e32 v32, 31, v1
	v_floor_f32_e32 v3, v3
	s_delay_alu instid0(VALU_DEP_1) | instskip(SKIP_1) | instid1(VALU_DEP_4)
	v_fma_f32 v5, 0xcf800000, v3, |v1|
	v_cvt_u32_f32_e32 v1, v3
	v_mov_b32_e32 v33, v32
	s_delay_alu instid0(VALU_DEP_3) | instskip(NEXT) | instid1(VALU_DEP_3)
	v_cvt_u32_f32_e32 v3, v5
	v_xor_b32_e32 v35, v1, v32
	s_delay_alu instid0(VALU_DEP_2) | instskip(NEXT) | instid1(VALU_DEP_1)
	v_xor_b32_e32 v34, v3, v32
	v_sub_nc_u64_e32 v[32:33], v[34:35], v[32:33]
.LBB127_5056:
	s_mov_b32 s0, 0
.LBB127_5057:
	s_delay_alu instid0(SALU_CYCLE_1)
	s_and_not1_b32 vcc_lo, exec_lo, s0
	s_cbranch_vccnz .LBB127_5059
; %bb.5058:
	global_load_u16 v1, v[22:23], off
	s_wait_loadcnt 0x0
	v_cvt_f32_f16_e32 v1, v1
	s_wait_xcnt 0x1
	s_delay_alu instid0(VALU_DEP_1) | instskip(NEXT) | instid1(VALU_DEP_1)
	v_cvt_i32_f32_e32 v32, v1
	v_ashrrev_i32_e32 v33, 31, v32
.LBB127_5059:
	s_mov_b32 s0, 0
.LBB127_5060:
	s_delay_alu instid0(SALU_CYCLE_1)
	s_and_not1_b32 vcc_lo, exec_lo, s0
	s_cbranch_vccnz .LBB127_5080
; %bb.5061:
	s_cmp_lt_i32 s61, 2
	s_cbranch_scc1 .LBB127_5065
; %bb.5062:
	s_cmp_lt_i32 s61, 3
	s_cbranch_scc1 .LBB127_5066
; %bb.5063:
	s_cmp_gt_i32 s61, 3
	s_cbranch_scc0 .LBB127_5067
; %bb.5064:
	s_wait_loadcnt 0x0
	global_load_b64 v[32:33], v[22:23], off
	s_mov_b32 s0, 0
	s_branch .LBB127_5068
.LBB127_5065:
	s_mov_b32 s0, -1
                                        ; implicit-def: $vgpr32_vgpr33
	s_branch .LBB127_5074
.LBB127_5066:
	s_mov_b32 s0, -1
                                        ; implicit-def: $vgpr32_vgpr33
	s_branch .LBB127_5071
.LBB127_5067:
	s_mov_b32 s0, -1
                                        ; implicit-def: $vgpr32_vgpr33
.LBB127_5068:
	s_delay_alu instid0(SALU_CYCLE_1)
	s_and_not1_b32 vcc_lo, exec_lo, s0
	s_cbranch_vccnz .LBB127_5070
; %bb.5069:
	s_wait_loadcnt 0x0
	global_load_b32 v32, v[22:23], off
	s_wait_loadcnt 0x0
	v_ashrrev_i32_e32 v33, 31, v32
.LBB127_5070:
	s_mov_b32 s0, 0
.LBB127_5071:
	s_delay_alu instid0(SALU_CYCLE_1)
	s_and_not1_b32 vcc_lo, exec_lo, s0
	s_cbranch_vccnz .LBB127_5073
; %bb.5072:
	global_load_u16 v1, v[22:23], off
	s_wait_loadcnt 0x0
	s_wait_xcnt 0x1
	v_bfe_i32 v32, v1, 0, 16
	s_delay_alu instid0(VALU_DEP_1)
	v_ashrrev_i32_e32 v33, 31, v32
.LBB127_5073:
	s_mov_b32 s0, 0
.LBB127_5074:
	s_delay_alu instid0(SALU_CYCLE_1)
	s_and_not1_b32 vcc_lo, exec_lo, s0
	s_cbranch_vccnz .LBB127_5080
; %bb.5075:
	s_cmp_gt_i32 s61, 0
	s_mov_b32 s0, 0
	s_cbranch_scc0 .LBB127_5077
; %bb.5076:
	global_load_i8 v1, v[22:23], off
	s_wait_loadcnt 0x0
	s_wait_xcnt 0x1
	v_bfe_i32 v32, v1, 0, 16
	s_delay_alu instid0(VALU_DEP_1)
	v_ashrrev_i32_e32 v33, 31, v32
	s_branch .LBB127_5078
.LBB127_5077:
	s_mov_b32 s0, -1
                                        ; implicit-def: $vgpr32_vgpr33
.LBB127_5078:
	s_delay_alu instid0(SALU_CYCLE_1)
	s_and_not1_b32 vcc_lo, exec_lo, s0
	s_cbranch_vccnz .LBB127_5080
; %bb.5079:
	global_load_u8 v1, v[22:23], off
	s_mov_b32 s0, 0
	s_wait_loadcnt 0x1
	s_wait_xcnt 0x1
	v_mov_b32_e32 v33, s0
	s_wait_loadcnt 0x0
	v_and_b32_e32 v32, 0xffff, v1
.LBB127_5080:
	s_mov_b32 s9, -1
.LBB127_5081:
	s_delay_alu instid0(SALU_CYCLE_1)
	s_and_not1_b32 vcc_lo, exec_lo, s9
	s_cbranch_vccnz .LBB127_5090
; %bb.5082:
	s_mov_b32 s0, exec_lo
	s_wait_loadcnt 0x0
	v_cmpx_ne_u64_e64 v[30:31], v[8:9]
	s_xor_b32 s0, exec_lo, s0
	s_cbranch_execnz .LBB127_5250
.LBB127_5083:
	s_or_saveexec_b32 s62, s0
	s_mov_b32 s1, 0
	s_mov_b32 s9, 0
                                        ; implicit-def: $vgpr42_vgpr43
                                        ; implicit-def: $sgpr0
	s_xor_b32 exec_lo, exec_lo, s62
	s_cbranch_execz .LBB127_5761
; %bb.5084:
	s_mov_b32 s63, s56
	s_mov_b32 s0, exec_lo
	v_cmpx_ne_u64_e64 v[28:29], v[12:13]
	s_xor_b32 s0, exec_lo, s0
	s_cbranch_execnz .LBB127_5378
; %bb.5085:
	s_or_saveexec_b32 s64, s0
                                        ; implicit-def: $vgpr42_vgpr43
                                        ; implicit-def: $sgpr0
	s_delay_alu instid0(SALU_CYCLE_1)
	s_xor_b32 exec_lo, exec_lo, s64
	s_cbranch_execz .LBB127_5760
.LBB127_5086:
	v_sub_nc_u64_e32 v[22:23], v[24:25], v[26:27]
	s_mov_b32 s65, s63
	s_delay_alu instid0(VALU_DEP_1) | instskip(SKIP_2) | instid1(SALU_CYCLE_1)
	v_cmp_gt_i64_e32 vcc_lo, v[8:9], v[22:23]
	v_cmp_lt_i64_e64 s0, s[18:19], v[22:23]
	s_or_b32 s0, vcc_lo, s0
	s_and_saveexec_b32 s1, s0
	s_delay_alu instid0(SALU_CYCLE_1)
	s_xor_b32 s0, exec_lo, s1
	s_cbranch_execnz .LBB127_5506
.LBB127_5087:
	s_or_saveexec_b32 s66, s0
	s_mov_b32 s1, 0
	s_mov_b32 s22, 0
                                        ; implicit-def: $vgpr42_vgpr43
                                        ; implicit-def: $sgpr0
	s_xor_b32 exec_lo, exec_lo, s66
	s_cbranch_execz .LBB127_5759
; %bb.5088:
	v_mov_b64_e32 v[22:23], 0
	s_and_saveexec_b32 s67, s48
	s_cbranch_execz .LBB127_5101
; %bb.5089:
	v_mul_u64_e32 v[28:29], v[32:33], v[12:13]
	s_load_b128 s[24:27], s[2:3], 0x298
	v_mov_b64_e32 v[22:23], 0
	s_mov_b32 s9, s1
	v_mov_b32_e32 v30, 0
	s_lshl_b64 s[28:29], s[8:9], 3
	s_mov_b64 s[22:23], 0xffffffff
	s_mov_b32 s9, s46
	s_wait_kmcnt 0x0
	s_add_nc_u64 s[24:25], s[24:25], s[28:29]
	s_add_nc_u64 s[26:27], s[26:27], s[28:29]
	s_branch .LBB127_5097
.LBB127_5090:
	s_mov_b32 s1, 0
	s_mov_b32 s9, 0
                                        ; implicit-def: $vgpr42_vgpr43
                                        ; implicit-def: $sgpr0
.LBB127_5091:
	s_and_not1_b32 s2, s54, exec_lo
	s_and_b32 s3, s56, exec_lo
	s_and_b32 s9, s9, exec_lo
	;; [unrolled: 1-line block ×3, first 2 shown]
	s_or_b32 s54, s2, s3
.LBB127_5092:
	s_wait_xcnt 0x0
	s_or_b32 exec_lo, exec_lo, s55
	s_delay_alu instid0(SALU_CYCLE_1)
	s_and_not1_b32 s2, s52, exec_lo
	s_and_b32 s3, s54, exec_lo
	s_and_b32 s9, s9, exec_lo
	;; [unrolled: 1-line block ×3, first 2 shown]
	s_or_b32 s52, s2, s3
.LBB127_5093:
	s_or_b32 exec_lo, exec_lo, s53
	s_delay_alu instid0(SALU_CYCLE_1)
	s_and_not1_b32 s2, s50, exec_lo
	s_and_b32 s3, s52, exec_lo
	s_and_b32 s9, s9, exec_lo
	;; [unrolled: 1-line block ×3, first 2 shown]
	s_or_b32 s50, s2, s3
.LBB127_5094:
	s_or_b32 exec_lo, exec_lo, s51
	s_delay_alu instid0(SALU_CYCLE_1)
	s_and_not1_b32 s2, s45, exec_lo
	s_and_b32 s3, s50, exec_lo
	s_and_b32 s9, s9, exec_lo
	;; [unrolled: 1-line block ×3, first 2 shown]
	s_or_b32 s45, s2, s3
.LBB127_5095:
	s_or_b32 exec_lo, exec_lo, s49
	s_branch .LBB127_4425
.LBB127_5096:                           ;   in Loop: Header=BB127_5097 Depth=1
	s_or_b32 exec_lo, exec_lo, s0
	global_load_b64 v[34:35], v30, s[26:27]
	v_mul_u64_e32 v[36:37], s[28:29], v[32:33]
	s_add_co_i32 s9, s9, -1
	s_add_nc_u64 s[24:25], s[24:25], -8
	s_cmp_eq_u32 s9, 0
	s_wait_xcnt 0x0
	s_add_nc_u64 s[26:27], s[26:27], -8
	s_delay_alu instid0(VALU_DEP_1) | instskip(SKIP_1) | instid1(VALU_DEP_1)
	v_sub_nc_u64_e32 v[28:29], v[28:29], v[36:37]
	s_wait_loadcnt 0x0
	v_mad_nc_u64_u32 v[22:23], v28, v34, v[22:23]
	s_delay_alu instid0(VALU_DEP_1) | instskip(NEXT) | instid1(VALU_DEP_1)
	v_mad_u32 v1, v29, v34, v23
	v_mad_u32 v23, v28, v35, v1
	v_mov_b64_e32 v[28:29], v[32:33]
	s_cbranch_scc1 .LBB127_5101
.LBB127_5097:                           ; =>This Inner Loop Header: Depth=1
	global_load_b64 v[32:33], v30, s[24:25]
	s_mov_b32 s0, exec_lo
	s_wait_loadcnt 0x0
	v_or_b32_e32 v31, v29, v33
	v_readfirstlane_b32 s28, v32
	v_readfirstlane_b32 s29, v33
                                        ; implicit-def: $vgpr32_vgpr33
	s_wait_xcnt 0x0
	s_delay_alu instid0(VALU_DEP_3)
	v_cmpx_ne_u64_e32 0, v[30:31]
	s_xor_b32 s68, exec_lo, s0
	s_cbranch_execz .LBB127_5099
; %bb.5098:                             ;   in Loop: Header=BB127_5097 Depth=1
	s_ashr_i32 s30, s29, 31
	v_dual_mov_b32 v37, v30 :: v_dual_ashrrev_i32 v32, 31, v29
	s_mov_b32 s31, s30
	s_delay_alu instid0(SALU_CYCLE_1) | instskip(NEXT) | instid1(VALU_DEP_1)
	s_add_nc_u64 s[34:35], s[28:29], s[30:31]
	v_mov_b32_e32 v33, v32
	s_xor_b64 s[34:35], s[34:35], s[30:31]
	s_delay_alu instid0(SALU_CYCLE_1)
	s_cvt_f32_u32 s0, s34
	s_cvt_f32_u32 s31, s35
	s_sub_nc_u64 s[72:73], 0, s[34:35]
	v_add_nc_u64_e32 v[34:35], v[28:29], v[32:33]
	v_mov_b32_e32 v41, v30
	s_fmamk_f32 s0, s31, 0x4f800000, s0
	s_delay_alu instid0(SALU_CYCLE_3) | instskip(NEXT) | instid1(VALU_DEP_2)
	v_s_rcp_f32 s0, s0
	v_xor_b32_e32 v36, v34, v32
	s_delay_alu instid0(VALU_DEP_3) | instskip(SKIP_1) | instid1(TRANS32_DEP_1)
	v_dual_mov_b32 v45, v30 :: v_dual_bitop2_b32 v40, v35, v32 bitop3:0x14
	v_xor_b32_e32 v32, s30, v32
	s_mul_f32 s0, s0, 0x5f7ffffc
	s_delay_alu instid0(VALU_DEP_1) | instskip(NEXT) | instid1(SALU_CYCLE_2)
	v_mov_b32_e32 v33, v32
	s_mul_f32 s31, s0, 0x2f800000
	s_delay_alu instid0(SALU_CYCLE_3) | instskip(NEXT) | instid1(SALU_CYCLE_3)
	s_trunc_f32 s31, s31
	s_fmamk_f32 s0, s31, 0xcf800000, s0
	s_cvt_u32_f32 s71, s31
	s_delay_alu instid0(SALU_CYCLE_2) | instskip(NEXT) | instid1(SALU_CYCLE_3)
	s_cvt_u32_f32 s70, s0
	s_mul_u64 s[74:75], s[72:73], s[70:71]
	s_delay_alu instid0(SALU_CYCLE_1)
	s_mul_hi_u32 s77, s70, s75
	s_mul_i32 s76, s70, s75
	s_mul_hi_u32 s0, s70, s74
	s_mul_i32 s69, s71, s74
	s_add_nc_u64 s[76:77], s[0:1], s[76:77]
	s_mul_hi_u32 s31, s71, s74
	s_mul_hi_u32 s78, s71, s75
	s_add_co_u32 s0, s76, s69
	s_add_co_ci_u32 s0, s77, s31
	s_mul_i32 s74, s71, s75
	s_add_co_ci_u32 s75, s78, 0
	s_delay_alu instid0(SALU_CYCLE_1) | instskip(NEXT) | instid1(SALU_CYCLE_1)
	s_add_nc_u64 s[74:75], s[0:1], s[74:75]
	s_add_co_u32 s70, s70, s74
	s_cselect_b32 s0, -1, 0
	s_delay_alu instid0(SALU_CYCLE_1) | instskip(SKIP_1) | instid1(SALU_CYCLE_1)
	s_cmp_lg_u32 s0, 0
	s_add_co_ci_u32 s71, s71, s75
	s_mul_u64 s[72:73], s[72:73], s[70:71]
	s_delay_alu instid0(SALU_CYCLE_1)
	s_mul_hi_u32 s75, s70, s73
	s_mul_i32 s74, s70, s73
	s_mul_hi_u32 s0, s70, s72
	s_mul_i32 s69, s71, s72
	s_add_nc_u64 s[74:75], s[0:1], s[74:75]
	s_mul_hi_u32 s31, s71, s72
	s_mul_hi_u32 s76, s71, s73
	s_add_co_u32 s0, s74, s69
	s_add_co_ci_u32 s0, s75, s31
	s_mul_i32 s72, s71, s73
	s_add_co_ci_u32 s73, s76, 0
	s_delay_alu instid0(SALU_CYCLE_1) | instskip(NEXT) | instid1(SALU_CYCLE_1)
	s_add_nc_u64 s[72:73], s[0:1], s[72:73]
	s_add_co_u32 s70, s70, s72
	s_cselect_b32 s0, -1, 0
	v_mul_hi_u32 v44, v36, s70
	s_cmp_lg_u32 s0, 0
	s_add_co_ci_u32 s0, s71, s73
	s_and_b64 s[72:73], s[70:71], s[22:23]
	v_mul_u64_e32 v[38:39], s[0:1], v[36:37]
	v_mul_u64_e32 v[34:35], s[72:73], v[40:41]
	;; [unrolled: 1-line block ×3, first 2 shown]
	s_delay_alu instid0(VALU_DEP_3) | instskip(NEXT) | instid1(VALU_DEP_1)
	v_add_nc_u64_e32 v[38:39], v[44:45], v[38:39]
	v_add_co_u32 v1, vcc_lo, v38, v34
	s_delay_alu instid0(VALU_DEP_2) | instskip(NEXT) | instid1(VALU_DEP_4)
	v_add_co_ci_u32_e32 v44, vcc_lo, v39, v35, vcc_lo
	v_add_co_ci_u32_e32 v43, vcc_lo, 0, v43, vcc_lo
	s_delay_alu instid0(VALU_DEP_1) | instskip(NEXT) | instid1(VALU_DEP_1)
	v_add_nc_u64_e32 v[34:35], v[44:45], v[42:43]
	v_mul_u64_e32 v[38:39], s[34:35], v[34:35]
	s_delay_alu instid0(VALU_DEP_1) | instskip(NEXT) | instid1(VALU_DEP_2)
	v_sub_nc_u32_e32 v1, v40, v39
	v_sub_co_u32 v3, vcc_lo, v36, v38
	s_delay_alu instid0(VALU_DEP_1) | instskip(NEXT) | instid1(VALU_DEP_3)
	v_sub_co_ci_u32_e64 v7, null, v40, v39, vcc_lo
	v_subrev_co_ci_u32_e64 v1, null, s35, v1, vcc_lo
	s_delay_alu instid0(VALU_DEP_3) | instskip(SKIP_1) | instid1(VALU_DEP_3)
	v_sub_co_u32 v5, s0, v3, s34
	v_add_nc_u64_e32 v[36:37], 2, v[34:35]
	v_subrev_co_ci_u32_e64 v1, null, 0, v1, s0
	s_delay_alu instid0(VALU_DEP_3) | instskip(SKIP_2) | instid1(VALU_DEP_4)
	v_cmp_le_u32_e32 vcc_lo, s34, v5
	v_add_nc_u64_e32 v[38:39], 1, v[34:35]
	v_cndmask_b32_e64 v5, 0, -1, vcc_lo
	v_cmp_le_u32_e32 vcc_lo, s35, v1
	v_cndmask_b32_e64 v11, 0, -1, vcc_lo
	v_cmp_le_u32_e32 vcc_lo, s34, v3
	;; [unrolled: 2-line block ×3, first 2 shown]
	v_cndmask_b32_e64 v15, 0, -1, vcc_lo
	v_cmp_eq_u32_e32 vcc_lo, s35, v1
	v_cndmask_b32_e32 v1, v11, v5, vcc_lo
	v_cmp_eq_u32_e32 vcc_lo, s35, v7
	s_delay_alu instid0(VALU_DEP_4) | instskip(NEXT) | instid1(VALU_DEP_3)
	v_cndmask_b32_e32 v3, v15, v3, vcc_lo
	v_cmp_ne_u32_e32 vcc_lo, 0, v1
	s_delay_alu instid0(VALU_DEP_2) | instskip(SKIP_1) | instid1(VALU_DEP_1)
	v_cmp_ne_u32_e64 s0, 0, v3
	v_dual_cndmask_b32 v3, v38, v36, vcc_lo :: v_dual_cndmask_b32 v1, v39, v37, vcc_lo
	v_dual_cndmask_b32 v3, v34, v3, s0 :: v_dual_cndmask_b32 v1, v35, v1, s0
	s_delay_alu instid0(VALU_DEP_1) | instskip(NEXT) | instid1(VALU_DEP_2)
	v_xor_b32_e32 v34, v3, v32
	v_xor_b32_e32 v35, v1, v32
	s_delay_alu instid0(VALU_DEP_1)
	v_sub_nc_u64_e32 v[32:33], v[34:35], v[32:33]
.LBB127_5099:                           ;   in Loop: Header=BB127_5097 Depth=1
	s_and_not1_saveexec_b32 s0, s68
	s_cbranch_execz .LBB127_5096
; %bb.5100:                             ;   in Loop: Header=BB127_5097 Depth=1
	v_cvt_f32_u32_e32 v1, s28
	s_sub_co_i32 s30, 0, s28
	v_mov_b32_e32 v33, v30
	s_delay_alu instid0(VALU_DEP_2) | instskip(SKIP_1) | instid1(TRANS32_DEP_1)
	v_rcp_iflag_f32_e32 v1, v1
	v_nop
	v_mul_f32_e32 v1, 0x4f7ffffe, v1
	s_delay_alu instid0(VALU_DEP_1) | instskip(NEXT) | instid1(VALU_DEP_1)
	v_cvt_u32_f32_e32 v1, v1
	v_mul_lo_u32 v3, s30, v1
	s_delay_alu instid0(VALU_DEP_1) | instskip(NEXT) | instid1(VALU_DEP_1)
	v_mul_hi_u32 v3, v1, v3
	v_add_nc_u32_e32 v1, v1, v3
	s_delay_alu instid0(VALU_DEP_1) | instskip(NEXT) | instid1(VALU_DEP_1)
	v_mul_hi_u32 v1, v28, v1
	v_mul_lo_u32 v3, v1, s28
	s_delay_alu instid0(VALU_DEP_1) | instskip(NEXT) | instid1(VALU_DEP_1)
	v_sub_nc_u32_e32 v3, v28, v3
	v_subrev_nc_u32_e32 v7, s28, v3
	v_cmp_le_u32_e32 vcc_lo, s28, v3
	s_delay_alu instid0(VALU_DEP_2) | instskip(NEXT) | instid1(VALU_DEP_1)
	v_dual_add_nc_u32 v5, 1, v1 :: v_dual_cndmask_b32 v3, v3, v7, vcc_lo
	v_cndmask_b32_e32 v1, v1, v5, vcc_lo
	s_delay_alu instid0(VALU_DEP_2) | instskip(NEXT) | instid1(VALU_DEP_2)
	v_cmp_le_u32_e32 vcc_lo, s28, v3
	v_add_nc_u32_e32 v5, 1, v1
	s_delay_alu instid0(VALU_DEP_1)
	v_cndmask_b32_e32 v32, v1, v5, vcc_lo
	s_branch .LBB127_5096
.LBB127_5101:
	s_or_b32 exec_lo, exec_lo, s67
	s_mov_b32 s23, -1
	s_mov_b32 s1, s65
	s_mov_b32 s0, exec_lo
	v_cmpx_gt_i64_e64 v[24:25], v[26:27]
	s_cbranch_execz .LBB127_5108
; %bb.5102:
	s_delay_alu instid0(VALU_DEP_2) | instskip(SKIP_2) | instid1(VALU_DEP_1)
	v_lshlrev_b64_e32 v[22:23], 3, v[22:23]
	s_mov_b32 s9, 0
	s_xor_b32 s22, s47, -1
                                        ; implicit-def: $sgpr1
                                        ; implicit-def: $sgpr24
                                        ; implicit-def: $sgpr23
	v_lshl_add_u64 v[26:27], v[26:27], 3, v[22:23]
	s_wait_kmcnt 0x0
	v_add_nc_u64_e32 v[28:29], s[20:21], v[22:23]
	s_delay_alu instid0(VALU_DEP_2) | instskip(NEXT) | instid1(VALU_DEP_2)
	v_add_nc_u64_e32 v[26:27], s[20:21], v[26:27]
	v_lshl_add_u64 v[24:25], v[24:25], 3, v[28:29]
	s_delay_alu instid0(VALU_DEP_2)
	v_add_nc_u64_e32 v[22:23], 8, v[26:27]
	s_branch .LBB127_5104
.LBB127_5103:                           ;   in Loop: Header=BB127_5104 Depth=1
	s_or_b32 exec_lo, exec_lo, s25
	s_xor_b32 s25, s23, -1
	s_and_b32 s26, exec_lo, s24
	s_delay_alu instid0(SALU_CYCLE_1) | instskip(SKIP_2) | instid1(SALU_CYCLE_1)
	s_or_b32 s9, s26, s9
	s_and_not1_b32 s1, s1, exec_lo
	s_and_b32 s25, s25, exec_lo
	s_or_b32 s1, s1, s25
	s_and_not1_b32 exec_lo, exec_lo, s9
	s_cbranch_execz .LBB127_5106
.LBB127_5104:                           ; =>This Inner Loop Header: Depth=1
	s_or_b32 s23, s23, exec_lo
	s_or_b32 s24, s24, exec_lo
	s_mov_b32 s25, exec_lo
	s_delay_alu instid0(VALU_DEP_1)
	v_cmpx_lt_u64_e64 v[22:23], v[24:25]
	s_cbranch_execz .LBB127_5103
; %bb.5105:                             ;   in Loop: Header=BB127_5104 Depth=1
	global_load_b128 v[26:29], v[22:23], off offset:-8
	s_wait_xcnt 0x0
	v_add_nc_u64_e32 v[22:23], 8, v[22:23]
	s_and_not1_b32 s24, s24, exec_lo
	s_and_not1_b32 s23, s23, exec_lo
	s_wait_loadcnt 0x0
	v_cmp_ge_i64_e32 vcc_lo, v[26:27], v[28:29]
	s_or_b32 s26, s22, vcc_lo
	s_delay_alu instid0(SALU_CYCLE_1) | instskip(NEXT) | instid1(SALU_CYCLE_1)
	s_and_b32 s26, s26, exec_lo
	s_or_b32 s24, s24, s26
	s_branch .LBB127_5103
.LBB127_5106:
	s_or_b32 exec_lo, exec_lo, s9
	s_mov_b32 s9, -1
	s_mov_b32 s22, s65
	s_and_saveexec_b32 s23, s1
	s_delay_alu instid0(SALU_CYCLE_1)
	s_xor_b32 s1, exec_lo, s23
	s_cbranch_execnz .LBB127_5121
.LBB127_5107:
	s_or_b32 exec_lo, exec_lo, s1
	s_delay_alu instid0(SALU_CYCLE_1)
	s_and_not1_b32 s1, s65, exec_lo
	s_and_b32 s22, s22, exec_lo
	s_or_not1_b32 s23, s9, exec_lo
	s_or_b32 s1, s1, s22
.LBB127_5108:
	s_or_b32 exec_lo, exec_lo, s0
	s_mov_b32 s9, 0
	s_mov_b32 s24, 0
                                        ; implicit-def: $vgpr42_vgpr43
                                        ; implicit-def: $sgpr0
	s_and_saveexec_b32 s22, s23
	s_cbranch_execz .LBB127_5758
; %bb.5109:
	v_mov_b32_e32 v21, 0
	s_cmp_lt_i32 s57, 11
	s_delay_alu instid0(VALU_DEP_1)
	v_add_nc_u64_e32 v[22:23], s[6:7], v[20:21]
	s_cbranch_scc1 .LBB127_5117
; %bb.5110:
	s_cmp_gt_i32 s57, 25
	s_mov_b32 s6, 0
	s_cbranch_scc0 .LBB127_5118
; %bb.5111:
	s_cmp_gt_i32 s57, 28
	s_cbranch_scc0 .LBB127_5119
; %bb.5112:
	s_cmp_gt_i32 s57, 43
	;; [unrolled: 3-line block ×3, first 2 shown]
	s_cbranch_scc0 .LBB127_5122
; %bb.5114:
	s_cmp_eq_u32 s57, 46
	s_cbranch_scc0 .LBB127_5123
; %bb.5115:
	global_load_b32 v1, v[22:23], off
	s_mov_b32 s0, 0
	s_mov_b32 s7, -1
	s_wait_loadcnt 0x0
	v_lshlrev_b32_e32 v1, 16, v1
	s_delay_alu instid0(VALU_DEP_1) | instskip(NEXT) | instid1(VALU_DEP_1)
	v_trunc_f32_e32 v1, v1
	v_mul_f32_e64 v3, 0x2f800000, |v1|
	v_ashrrev_i32_e32 v20, 31, v1
	s_delay_alu instid0(VALU_DEP_2) | instskip(NEXT) | instid1(VALU_DEP_2)
	v_floor_f32_e32 v3, v3
	v_mov_b32_e32 v21, v20
	s_delay_alu instid0(VALU_DEP_2) | instskip(SKIP_1) | instid1(VALU_DEP_2)
	v_fma_f32 v5, 0xcf800000, v3, |v1|
	v_cvt_u32_f32_e32 v1, v3
	v_cvt_u32_f32_e32 v3, v5
	s_delay_alu instid0(VALU_DEP_2) | instskip(NEXT) | instid1(VALU_DEP_2)
	v_xor_b32_e32 v25, v1, v20
	v_xor_b32_e32 v24, v3, v20
	s_delay_alu instid0(VALU_DEP_1)
	v_sub_nc_u64_e32 v[20:21], v[24:25], v[20:21]
	s_branch .LBB127_5125
.LBB127_5116:
	s_or_b32 s56, s56, exec_lo
	s_trap 2
	s_cbranch_execz .LBB127_5030
	s_branch .LBB127_5031
.LBB127_5117:
	s_mov_b32 s0, -1
	s_mov_b32 s7, 0
	s_mov_b32 s23, s1
                                        ; implicit-def: $vgpr20_vgpr21
	s_branch .LBB127_5187
.LBB127_5118:
	s_mov_b32 s9, -1
	s_mov_b32 s7, 0
	s_mov_b32 s0, 0
                                        ; implicit-def: $vgpr20_vgpr21
	s_branch .LBB127_5152
.LBB127_5119:
	s_mov_b32 s9, -1
	s_mov_b32 s7, 0
	s_mov_b32 s0, 0
                                        ; implicit-def: $vgpr20_vgpr21
	s_branch .LBB127_5135
.LBB127_5120:
	s_mov_b32 s9, -1
	s_mov_b32 s7, 0
	s_mov_b32 s0, 0
                                        ; implicit-def: $vgpr20_vgpr21
	s_branch .LBB127_5130
.LBB127_5121:
	s_or_b32 s22, s65, exec_lo
	s_xor_b32 s9, exec_lo, -1
	s_trap 2
	s_branch .LBB127_5107
.LBB127_5122:
	s_mov_b32 s9, -1
	s_mov_b32 s7, 0
	s_mov_b32 s0, 0
	s_branch .LBB127_5124
.LBB127_5123:
	s_mov_b32 s0, -1
	s_mov_b32 s7, 0
.LBB127_5124:
                                        ; implicit-def: $vgpr20_vgpr21
.LBB127_5125:
	s_and_b32 vcc_lo, exec_lo, s9
	s_cbranch_vccz .LBB127_5129
; %bb.5126:
	s_cmp_eq_u32 s57, 44
	s_cbranch_scc0 .LBB127_5128
; %bb.5127:
	global_load_u8 v1, v[22:23], off
	s_mov_b32 s0, 0
	s_mov_b32 s7, -1
	s_wait_loadcnt 0x0
	v_lshlrev_b32_e32 v3, 23, v1
	v_cmp_ne_u32_e32 vcc_lo, 0, v1
	s_delay_alu instid0(VALU_DEP_2) | instskip(NEXT) | instid1(VALU_DEP_1)
	v_trunc_f32_e32 v3, v3
	v_mul_f32_e64 v5, 0x2f800000, |v3|
	v_ashrrev_i32_e32 v20, 31, v3
	s_delay_alu instid0(VALU_DEP_2) | instskip(NEXT) | instid1(VALU_DEP_2)
	v_floor_f32_e32 v5, v5
	v_mov_b32_e32 v21, v20
	s_delay_alu instid0(VALU_DEP_2) | instskip(SKIP_1) | instid1(VALU_DEP_2)
	v_fma_f32 v7, 0xcf800000, v5, |v3|
	v_cvt_u32_f32_e32 v3, v5
	v_cvt_u32_f32_e32 v5, v7
	s_delay_alu instid0(VALU_DEP_2) | instskip(NEXT) | instid1(VALU_DEP_2)
	v_xor_b32_e32 v25, v3, v20
	v_xor_b32_e32 v24, v5, v20
	s_delay_alu instid0(VALU_DEP_1) | instskip(NEXT) | instid1(VALU_DEP_1)
	v_sub_nc_u64_e32 v[20:21], v[24:25], v[20:21]
	v_dual_cndmask_b32 v21, 0, v21 :: v_dual_cndmask_b32 v20, 0, v20
	s_branch .LBB127_5129
.LBB127_5128:
	s_mov_b32 s0, -1
                                        ; implicit-def: $vgpr20_vgpr21
.LBB127_5129:
	s_mov_b32 s9, 0
.LBB127_5130:
	s_delay_alu instid0(SALU_CYCLE_1)
	s_and_b32 vcc_lo, exec_lo, s9
	s_cbranch_vccz .LBB127_5134
; %bb.5131:
	s_cmp_eq_u32 s57, 29
	s_cbranch_scc0 .LBB127_5133
; %bb.5132:
	global_load_b64 v[20:21], v[22:23], off
	s_mov_b32 s0, 0
	s_mov_b32 s7, -1
	s_branch .LBB127_5134
.LBB127_5133:
	s_mov_b32 s0, -1
                                        ; implicit-def: $vgpr20_vgpr21
.LBB127_5134:
	s_mov_b32 s9, 0
.LBB127_5135:
	s_delay_alu instid0(SALU_CYCLE_1)
	s_and_b32 vcc_lo, exec_lo, s9
	s_cbranch_vccz .LBB127_5151
; %bb.5136:
	s_cmp_lt_i32 s57, 27
	s_cbranch_scc1 .LBB127_5139
; %bb.5137:
	s_cmp_gt_i32 s57, 27
	s_cbranch_scc0 .LBB127_5140
; %bb.5138:
	s_wait_loadcnt 0x0
	global_load_b32 v20, v[22:23], off
	v_mov_b32_e32 v21, 0
	s_mov_b32 s7, 0
	s_branch .LBB127_5141
.LBB127_5139:
	s_mov_b32 s7, -1
                                        ; implicit-def: $vgpr20_vgpr21
	s_branch .LBB127_5144
.LBB127_5140:
	s_mov_b32 s7, -1
                                        ; implicit-def: $vgpr20_vgpr21
.LBB127_5141:
	s_delay_alu instid0(SALU_CYCLE_1)
	s_and_not1_b32 vcc_lo, exec_lo, s7
	s_cbranch_vccnz .LBB127_5143
; %bb.5142:
	global_load_u16 v1, v[22:23], off
	s_mov_b32 s7, 0
	s_wait_loadcnt 0x1
	v_mov_b32_e32 v21, s7
	s_wait_loadcnt 0x0
	v_and_b32_e32 v20, 0xffff, v1
.LBB127_5143:
	s_mov_b32 s7, 0
.LBB127_5144:
	s_delay_alu instid0(SALU_CYCLE_1)
	s_and_not1_b32 vcc_lo, exec_lo, s7
	s_cbranch_vccnz .LBB127_5150
; %bb.5145:
	global_load_u8 v1, v[22:23], off
	s_mov_b32 s9, 0
	s_mov_b32 s7, exec_lo
	s_wait_loadcnt 0x0
	v_cmpx_lt_i16_e32 0x7f, v1
	s_xor_b32 s7, exec_lo, s7
	s_cbranch_execz .LBB127_5162
; %bb.5146:
	v_cmp_ne_u16_e32 vcc_lo, 0x80, v1
	s_and_b32 s9, vcc_lo, exec_lo
	s_and_not1_saveexec_b32 s7, s7
	s_cbranch_execnz .LBB127_5163
.LBB127_5147:
	s_or_b32 exec_lo, exec_lo, s7
	v_mov_b64_e32 v[20:21], 0
	s_and_saveexec_b32 s7, s9
	s_cbranch_execz .LBB127_5149
.LBB127_5148:
	v_and_b32_e32 v3, 0xffff, v1
	s_delay_alu instid0(VALU_DEP_1) | instskip(SKIP_1) | instid1(VALU_DEP_2)
	v_dual_lshlrev_b32 v1, 24, v1 :: v_dual_bitop2_b32 v5, 7, v3 bitop3:0x40
	v_bfe_u32 v15, v3, 3, 4
	v_and_b32_e32 v1, 0x80000000, v1
	s_delay_alu instid0(VALU_DEP_3) | instskip(NEXT) | instid1(VALU_DEP_3)
	v_clz_i32_u32_e32 v7, v5
	v_cmp_eq_u32_e32 vcc_lo, 0, v15
	s_delay_alu instid0(VALU_DEP_2) | instskip(NEXT) | instid1(VALU_DEP_1)
	v_min_u32_e32 v7, 32, v7
	v_subrev_nc_u32_e32 v11, 28, v7
	v_sub_nc_u32_e32 v7, 29, v7
	s_delay_alu instid0(VALU_DEP_2) | instskip(NEXT) | instid1(VALU_DEP_2)
	v_lshlrev_b32_e32 v3, v11, v3
	v_cndmask_b32_e32 v7, v15, v7, vcc_lo
	s_delay_alu instid0(VALU_DEP_2) | instskip(NEXT) | instid1(VALU_DEP_1)
	v_and_b32_e32 v3, 7, v3
	v_cndmask_b32_e32 v3, v5, v3, vcc_lo
	s_delay_alu instid0(VALU_DEP_3) | instskip(NEXT) | instid1(VALU_DEP_2)
	v_lshl_add_u32 v5, v7, 23, 0x3b800000
	v_lshlrev_b32_e32 v3, 20, v3
	s_delay_alu instid0(VALU_DEP_1) | instskip(NEXT) | instid1(VALU_DEP_1)
	v_or3_b32 v1, v1, v5, v3
	v_trunc_f32_e32 v1, v1
	s_delay_alu instid0(VALU_DEP_1) | instskip(SKIP_1) | instid1(VALU_DEP_2)
	v_mul_f32_e64 v3, 0x2f800000, |v1|
	v_ashrrev_i32_e32 v20, 31, v1
	v_floor_f32_e32 v3, v3
	s_delay_alu instid0(VALU_DEP_2) | instskip(NEXT) | instid1(VALU_DEP_2)
	v_mov_b32_e32 v21, v20
	v_fma_f32 v5, 0xcf800000, v3, |v1|
	v_cvt_u32_f32_e32 v1, v3
	s_delay_alu instid0(VALU_DEP_2) | instskip(NEXT) | instid1(VALU_DEP_2)
	v_cvt_u32_f32_e32 v3, v5
	v_xor_b32_e32 v25, v1, v20
	s_delay_alu instid0(VALU_DEP_2) | instskip(NEXT) | instid1(VALU_DEP_1)
	v_xor_b32_e32 v24, v3, v20
	v_sub_nc_u64_e32 v[20:21], v[24:25], v[20:21]
.LBB127_5149:
	s_or_b32 exec_lo, exec_lo, s7
.LBB127_5150:
	s_mov_b32 s7, -1
.LBB127_5151:
	s_mov_b32 s9, 0
.LBB127_5152:
	s_delay_alu instid0(SALU_CYCLE_1)
	s_and_b32 vcc_lo, exec_lo, s9
	s_cbranch_vccz .LBB127_5183
; %bb.5153:
	s_cmp_gt_i32 s57, 22
	s_cbranch_scc0 .LBB127_5161
; %bb.5154:
	s_cmp_lt_i32 s57, 24
	s_cbranch_scc1 .LBB127_5164
; %bb.5155:
	s_cmp_gt_i32 s57, 24
	s_cbranch_scc0 .LBB127_5165
; %bb.5156:
	global_load_u8 v1, v[22:23], off
	s_mov_b32 s7, 0
	s_mov_b32 s6, exec_lo
	s_wait_loadcnt 0x0
	v_cmpx_lt_i16_e32 0x7f, v1
	s_xor_b32 s6, exec_lo, s6
	s_cbranch_execz .LBB127_5177
; %bb.5157:
	v_cmp_ne_u16_e32 vcc_lo, 0x80, v1
	s_and_b32 s7, vcc_lo, exec_lo
	s_and_not1_saveexec_b32 s6, s6
	s_cbranch_execnz .LBB127_5178
.LBB127_5158:
	s_or_b32 exec_lo, exec_lo, s6
	v_mov_b64_e32 v[20:21], 0
	s_and_saveexec_b32 s6, s7
	s_cbranch_execz .LBB127_5160
.LBB127_5159:
	v_and_b32_e32 v3, 0xffff, v1
	s_delay_alu instid0(VALU_DEP_1) | instskip(SKIP_1) | instid1(VALU_DEP_2)
	v_dual_lshlrev_b32 v1, 24, v1 :: v_dual_bitop2_b32 v5, 3, v3 bitop3:0x40
	v_bfe_u32 v15, v3, 2, 5
	v_and_b32_e32 v1, 0x80000000, v1
	s_delay_alu instid0(VALU_DEP_3) | instskip(NEXT) | instid1(VALU_DEP_3)
	v_clz_i32_u32_e32 v7, v5
	v_cmp_eq_u32_e32 vcc_lo, 0, v15
	s_delay_alu instid0(VALU_DEP_2) | instskip(NEXT) | instid1(VALU_DEP_1)
	v_min_u32_e32 v7, 32, v7
	v_subrev_nc_u32_e32 v11, 29, v7
	v_sub_nc_u32_e32 v7, 30, v7
	s_delay_alu instid0(VALU_DEP_2) | instskip(NEXT) | instid1(VALU_DEP_2)
	v_lshlrev_b32_e32 v3, v11, v3
	v_cndmask_b32_e32 v7, v15, v7, vcc_lo
	s_delay_alu instid0(VALU_DEP_2) | instskip(NEXT) | instid1(VALU_DEP_1)
	v_and_b32_e32 v3, 3, v3
	v_cndmask_b32_e32 v3, v5, v3, vcc_lo
	s_delay_alu instid0(VALU_DEP_3) | instskip(NEXT) | instid1(VALU_DEP_2)
	v_lshl_add_u32 v5, v7, 23, 0x37800000
	v_lshlrev_b32_e32 v3, 21, v3
	s_delay_alu instid0(VALU_DEP_1) | instskip(NEXT) | instid1(VALU_DEP_1)
	v_or3_b32 v1, v1, v5, v3
	v_trunc_f32_e32 v1, v1
	s_delay_alu instid0(VALU_DEP_1) | instskip(SKIP_1) | instid1(VALU_DEP_2)
	v_mul_f32_e64 v3, 0x2f800000, |v1|
	v_ashrrev_i32_e32 v20, 31, v1
	v_floor_f32_e32 v3, v3
	s_delay_alu instid0(VALU_DEP_2) | instskip(NEXT) | instid1(VALU_DEP_2)
	v_mov_b32_e32 v21, v20
	v_fma_f32 v5, 0xcf800000, v3, |v1|
	v_cvt_u32_f32_e32 v1, v3
	s_delay_alu instid0(VALU_DEP_2) | instskip(NEXT) | instid1(VALU_DEP_2)
	v_cvt_u32_f32_e32 v3, v5
	v_xor_b32_e32 v25, v1, v20
	s_delay_alu instid0(VALU_DEP_2) | instskip(NEXT) | instid1(VALU_DEP_1)
	v_xor_b32_e32 v24, v3, v20
	v_sub_nc_u64_e32 v[20:21], v[24:25], v[20:21]
.LBB127_5160:
	s_or_b32 exec_lo, exec_lo, s6
	s_mov_b32 s6, 0
	s_branch .LBB127_5166
.LBB127_5161:
	s_mov_b32 s6, -1
                                        ; implicit-def: $vgpr20_vgpr21
	s_branch .LBB127_5172
.LBB127_5162:
	s_and_not1_saveexec_b32 s7, s7
	s_cbranch_execz .LBB127_5147
.LBB127_5163:
	v_cmp_ne_u16_e32 vcc_lo, 0, v1
	s_and_not1_b32 s9, s9, exec_lo
	s_and_b32 s23, vcc_lo, exec_lo
	s_delay_alu instid0(SALU_CYCLE_1)
	s_or_b32 s9, s9, s23
	s_or_b32 exec_lo, exec_lo, s7
	v_mov_b64_e32 v[20:21], 0
	s_and_saveexec_b32 s7, s9
	s_cbranch_execnz .LBB127_5148
	s_branch .LBB127_5149
.LBB127_5164:
	s_mov_b32 s6, -1
                                        ; implicit-def: $vgpr20_vgpr21
	s_branch .LBB127_5169
.LBB127_5165:
	s_mov_b32 s6, -1
                                        ; implicit-def: $vgpr20_vgpr21
.LBB127_5166:
	s_delay_alu instid0(SALU_CYCLE_1)
	s_and_b32 vcc_lo, exec_lo, s6
	s_cbranch_vccz .LBB127_5168
; %bb.5167:
	global_load_u8 v1, v[22:23], off
	s_wait_loadcnt 0x0
	v_lshlrev_b32_e32 v1, 24, v1
	s_delay_alu instid0(VALU_DEP_1) | instskip(NEXT) | instid1(VALU_DEP_1)
	v_and_b32_e32 v3, 0x7f000000, v1
	v_clz_i32_u32_e32 v5, v3
	v_add_nc_u32_e32 v11, 0x1000000, v3
	v_cmp_ne_u32_e32 vcc_lo, 0, v3
	s_delay_alu instid0(VALU_DEP_3) | instskip(NEXT) | instid1(VALU_DEP_1)
	v_min_u32_e32 v5, 32, v5
	v_sub_nc_u32_e64 v5, v5, 4 clamp
	s_delay_alu instid0(VALU_DEP_1) | instskip(NEXT) | instid1(VALU_DEP_1)
	v_dual_lshlrev_b32 v7, v5, v3 :: v_dual_lshlrev_b32 v5, 23, v5
	v_lshrrev_b32_e32 v7, 4, v7
	s_delay_alu instid0(VALU_DEP_1) | instskip(NEXT) | instid1(VALU_DEP_1)
	v_dual_sub_nc_u32 v5, v7, v5 :: v_dual_ashrrev_i32 v7, 8, v11
	v_add_nc_u32_e32 v5, 0x3c000000, v5
	s_delay_alu instid0(VALU_DEP_1) | instskip(NEXT) | instid1(VALU_DEP_1)
	v_and_or_b32 v5, 0x7f800000, v7, v5
	v_cndmask_b32_e32 v3, 0, v5, vcc_lo
	s_delay_alu instid0(VALU_DEP_1) | instskip(NEXT) | instid1(VALU_DEP_1)
	v_and_or_b32 v1, 0x80000000, v1, v3
	v_trunc_f32_e32 v1, v1
	s_delay_alu instid0(VALU_DEP_1) | instskip(SKIP_1) | instid1(VALU_DEP_2)
	v_mul_f32_e64 v3, 0x2f800000, |v1|
	v_ashrrev_i32_e32 v20, 31, v1
	v_floor_f32_e32 v3, v3
	s_delay_alu instid0(VALU_DEP_2) | instskip(NEXT) | instid1(VALU_DEP_2)
	v_mov_b32_e32 v21, v20
	v_fma_f32 v5, 0xcf800000, v3, |v1|
	v_cvt_u32_f32_e32 v1, v3
	s_delay_alu instid0(VALU_DEP_2) | instskip(NEXT) | instid1(VALU_DEP_2)
	v_cvt_u32_f32_e32 v3, v5
	v_xor_b32_e32 v25, v1, v20
	s_delay_alu instid0(VALU_DEP_2) | instskip(NEXT) | instid1(VALU_DEP_1)
	v_xor_b32_e32 v24, v3, v20
	v_sub_nc_u64_e32 v[20:21], v[24:25], v[20:21]
.LBB127_5168:
	s_mov_b32 s6, 0
.LBB127_5169:
	s_delay_alu instid0(SALU_CYCLE_1)
	s_and_not1_b32 vcc_lo, exec_lo, s6
	s_cbranch_vccnz .LBB127_5171
; %bb.5170:
	global_load_u8 v1, v[22:23], off
	s_wait_loadcnt 0x0
	v_lshlrev_b32_e32 v3, 25, v1
	v_lshlrev_b16 v1, 8, v1
	s_delay_alu instid0(VALU_DEP_1) | instskip(SKIP_1) | instid1(VALU_DEP_2)
	v_and_or_b32 v7, 0x7f00, v1, 0.5
	v_bfe_i32 v1, v1, 0, 16
	v_add_f32_e32 v7, -0.5, v7
	v_lshrrev_b32_e32 v5, 4, v3
	v_cmp_gt_u32_e32 vcc_lo, 0x8000000, v3
	s_delay_alu instid0(VALU_DEP_2) | instskip(NEXT) | instid1(VALU_DEP_1)
	v_or_b32_e32 v5, 0x70000000, v5
	v_mul_f32_e32 v5, 0x7800000, v5
	s_delay_alu instid0(VALU_DEP_1) | instskip(NEXT) | instid1(VALU_DEP_1)
	v_cndmask_b32_e32 v3, v5, v7, vcc_lo
	v_and_or_b32 v1, 0x80000000, v1, v3
	s_delay_alu instid0(VALU_DEP_1) | instskip(NEXT) | instid1(VALU_DEP_1)
	v_trunc_f32_e32 v1, v1
	v_mul_f32_e64 v3, 0x2f800000, |v1|
	v_ashrrev_i32_e32 v20, 31, v1
	s_delay_alu instid0(VALU_DEP_2) | instskip(NEXT) | instid1(VALU_DEP_2)
	v_floor_f32_e32 v3, v3
	v_mov_b32_e32 v21, v20
	s_delay_alu instid0(VALU_DEP_2) | instskip(SKIP_1) | instid1(VALU_DEP_2)
	v_fma_f32 v5, 0xcf800000, v3, |v1|
	v_cvt_u32_f32_e32 v1, v3
	v_cvt_u32_f32_e32 v3, v5
	s_delay_alu instid0(VALU_DEP_2) | instskip(NEXT) | instid1(VALU_DEP_2)
	v_xor_b32_e32 v25, v1, v20
	v_xor_b32_e32 v24, v3, v20
	s_delay_alu instid0(VALU_DEP_1)
	v_sub_nc_u64_e32 v[20:21], v[24:25], v[20:21]
.LBB127_5171:
	s_mov_b32 s6, 0
	s_mov_b32 s7, -1
.LBB127_5172:
	s_and_not1_b32 vcc_lo, exec_lo, s6
	s_mov_b32 s6, 0
	s_cbranch_vccnz .LBB127_5183
; %bb.5173:
	s_cmp_gt_i32 s57, 14
	s_cbranch_scc0 .LBB127_5176
; %bb.5174:
	s_cmp_eq_u32 s57, 15
	s_cbranch_scc0 .LBB127_5179
; %bb.5175:
	global_load_u16 v1, v[22:23], off
	s_mov_b32 s0, 0
	s_mov_b32 s7, -1
	s_wait_loadcnt 0x0
	v_lshlrev_b32_e32 v1, 16, v1
	s_delay_alu instid0(VALU_DEP_1) | instskip(NEXT) | instid1(VALU_DEP_1)
	v_trunc_f32_e32 v1, v1
	v_mul_f32_e64 v3, 0x2f800000, |v1|
	v_ashrrev_i32_e32 v20, 31, v1
	s_delay_alu instid0(VALU_DEP_2) | instskip(NEXT) | instid1(VALU_DEP_2)
	v_floor_f32_e32 v3, v3
	v_mov_b32_e32 v21, v20
	s_delay_alu instid0(VALU_DEP_2) | instskip(SKIP_1) | instid1(VALU_DEP_2)
	v_fma_f32 v5, 0xcf800000, v3, |v1|
	v_cvt_u32_f32_e32 v1, v3
	v_cvt_u32_f32_e32 v3, v5
	s_delay_alu instid0(VALU_DEP_2) | instskip(NEXT) | instid1(VALU_DEP_2)
	v_xor_b32_e32 v25, v1, v20
	v_xor_b32_e32 v24, v3, v20
	s_delay_alu instid0(VALU_DEP_1)
	v_sub_nc_u64_e32 v[20:21], v[24:25], v[20:21]
	s_branch .LBB127_5181
.LBB127_5176:
	s_mov_b32 s6, -1
	s_branch .LBB127_5180
.LBB127_5177:
	s_and_not1_saveexec_b32 s6, s6
	s_cbranch_execz .LBB127_5158
.LBB127_5178:
	v_cmp_ne_u16_e32 vcc_lo, 0, v1
	s_and_not1_b32 s7, s7, exec_lo
	s_and_b32 s9, vcc_lo, exec_lo
	s_delay_alu instid0(SALU_CYCLE_1)
	s_or_b32 s7, s7, s9
	s_or_b32 exec_lo, exec_lo, s6
	v_mov_b64_e32 v[20:21], 0
	s_and_saveexec_b32 s6, s7
	s_cbranch_execnz .LBB127_5159
	s_branch .LBB127_5160
.LBB127_5179:
	s_mov_b32 s0, -1
.LBB127_5180:
                                        ; implicit-def: $vgpr20_vgpr21
.LBB127_5181:
	s_and_b32 vcc_lo, exec_lo, s6
	s_mov_b32 s6, 0
	s_cbranch_vccz .LBB127_5183
; %bb.5182:
	s_cmp_lg_u32 s57, 11
	s_mov_b32 s6, -1
	s_cselect_b32 s0, -1, 0
.LBB127_5183:
	s_delay_alu instid0(SALU_CYCLE_1)
	s_and_b32 vcc_lo, exec_lo, s0
	s_mov_b32 s23, s1
	s_cbranch_vccnz .LBB127_5248
; %bb.5184:
	s_and_not1_b32 vcc_lo, exec_lo, s6
	s_cbranch_vccnz .LBB127_5186
.LBB127_5185:
	global_load_u8 v1, v[22:23], off
	s_mov_b32 s0, 0
	s_mov_b32 s7, -1
	s_wait_loadcnt 0x1
	v_mov_b32_e32 v21, s0
	s_wait_loadcnt 0x0
	v_cmp_ne_u16_e32 vcc_lo, 0, v1
	v_cndmask_b32_e64 v20, 0, 1, vcc_lo
.LBB127_5186:
	s_mov_b32 s0, 0
.LBB127_5187:
	s_delay_alu instid0(SALU_CYCLE_1)
	s_and_b32 vcc_lo, exec_lo, s0
	s_cbranch_vccz .LBB127_5236
; %bb.5188:
	s_cmp_lt_i32 s57, 5
	s_cbranch_scc1 .LBB127_5193
; %bb.5189:
	s_cmp_lt_i32 s57, 8
	s_cbranch_scc1 .LBB127_5194
	;; [unrolled: 3-line block ×3, first 2 shown]
; %bb.5191:
	s_cmp_gt_i32 s57, 9
	s_cbranch_scc0 .LBB127_5196
; %bb.5192:
	s_wait_loadcnt 0x0
	global_load_b64 v[20:21], v[22:23], off
	s_mov_b32 s0, 0
	s_wait_loadcnt 0x0
	v_trunc_f64_e32 v[20:21], v[20:21]
	s_delay_alu instid0(VALU_DEP_1) | instskip(NEXT) | instid1(VALU_DEP_1)
	v_ldexp_f64 v[24:25], v[20:21], 0xffffffe0
	v_floor_f64_e32 v[24:25], v[24:25]
	s_delay_alu instid0(VALU_DEP_1) | instskip(SKIP_1) | instid1(VALU_DEP_2)
	v_fmamk_f64 v[26:27], v[24:25], 0xc1f00000, v[20:21]
	v_cvt_i32_f64_e32 v21, v[24:25]
	v_cvt_u32_f64_e32 v20, v[26:27]
	s_branch .LBB127_5197
.LBB127_5193:
	s_mov_b32 s0, -1
                                        ; implicit-def: $vgpr20_vgpr21
	s_branch .LBB127_5215
.LBB127_5194:
	s_mov_b32 s0, -1
                                        ; implicit-def: $vgpr20_vgpr21
	s_branch .LBB127_5203
.LBB127_5195:
	s_mov_b32 s0, -1
                                        ; implicit-def: $vgpr20_vgpr21
	s_branch .LBB127_5200
.LBB127_5196:
	s_mov_b32 s0, -1
                                        ; implicit-def: $vgpr20_vgpr21
.LBB127_5197:
	s_delay_alu instid0(SALU_CYCLE_1)
	s_and_not1_b32 vcc_lo, exec_lo, s0
	s_cbranch_vccnz .LBB127_5199
; %bb.5198:
	global_load_b32 v1, v[22:23], off
	s_wait_loadcnt 0x0
	v_trunc_f32_e32 v1, v1
	s_delay_alu instid0(VALU_DEP_1) | instskip(SKIP_1) | instid1(VALU_DEP_2)
	v_mul_f32_e64 v3, 0x2f800000, |v1|
	v_ashrrev_i32_e32 v20, 31, v1
	v_floor_f32_e32 v3, v3
	s_delay_alu instid0(VALU_DEP_1) | instskip(SKIP_1) | instid1(VALU_DEP_4)
	v_fma_f32 v5, 0xcf800000, v3, |v1|
	v_cvt_u32_f32_e32 v1, v3
	v_mov_b32_e32 v21, v20
	s_delay_alu instid0(VALU_DEP_3) | instskip(NEXT) | instid1(VALU_DEP_3)
	v_cvt_u32_f32_e32 v3, v5
	v_xor_b32_e32 v25, v1, v20
	s_delay_alu instid0(VALU_DEP_2) | instskip(NEXT) | instid1(VALU_DEP_1)
	v_xor_b32_e32 v24, v3, v20
	v_sub_nc_u64_e32 v[20:21], v[24:25], v[20:21]
.LBB127_5199:
	s_mov_b32 s0, 0
.LBB127_5200:
	s_delay_alu instid0(SALU_CYCLE_1)
	s_and_not1_b32 vcc_lo, exec_lo, s0
	s_cbranch_vccnz .LBB127_5202
; %bb.5201:
	global_load_b32 v1, v[22:23], off
	s_wait_loadcnt 0x0
	v_cvt_f32_f16_e32 v1, v1
	s_delay_alu instid0(VALU_DEP_1) | instskip(NEXT) | instid1(VALU_DEP_1)
	v_cvt_i32_f32_e32 v20, v1
	v_ashrrev_i32_e32 v21, 31, v20
.LBB127_5202:
	s_mov_b32 s0, 0
.LBB127_5203:
	s_delay_alu instid0(SALU_CYCLE_1)
	s_and_not1_b32 vcc_lo, exec_lo, s0
	s_cbranch_vccnz .LBB127_5214
; %bb.5204:
	s_cmp_lt_i32 s57, 6
	s_cbranch_scc1 .LBB127_5207
; %bb.5205:
	s_cmp_gt_i32 s57, 6
	s_cbranch_scc0 .LBB127_5208
; %bb.5206:
	s_wait_loadcnt 0x0
	global_load_b64 v[20:21], v[22:23], off
	s_mov_b32 s0, 0
	s_wait_loadcnt 0x0
	v_trunc_f64_e32 v[20:21], v[20:21]
	s_delay_alu instid0(VALU_DEP_1) | instskip(NEXT) | instid1(VALU_DEP_1)
	v_ldexp_f64 v[24:25], v[20:21], 0xffffffe0
	v_floor_f64_e32 v[24:25], v[24:25]
	s_delay_alu instid0(VALU_DEP_1) | instskip(SKIP_1) | instid1(VALU_DEP_2)
	v_fmamk_f64 v[26:27], v[24:25], 0xc1f00000, v[20:21]
	v_cvt_i32_f64_e32 v21, v[24:25]
	v_cvt_u32_f64_e32 v20, v[26:27]
	s_branch .LBB127_5209
.LBB127_5207:
	s_mov_b32 s0, -1
                                        ; implicit-def: $vgpr20_vgpr21
	s_branch .LBB127_5212
.LBB127_5208:
	s_mov_b32 s0, -1
                                        ; implicit-def: $vgpr20_vgpr21
.LBB127_5209:
	s_delay_alu instid0(SALU_CYCLE_1)
	s_and_not1_b32 vcc_lo, exec_lo, s0
	s_cbranch_vccnz .LBB127_5211
; %bb.5210:
	global_load_b32 v1, v[22:23], off
	s_wait_loadcnt 0x0
	v_trunc_f32_e32 v1, v1
	s_delay_alu instid0(VALU_DEP_1) | instskip(SKIP_1) | instid1(VALU_DEP_2)
	v_mul_f32_e64 v3, 0x2f800000, |v1|
	v_ashrrev_i32_e32 v20, 31, v1
	v_floor_f32_e32 v3, v3
	s_delay_alu instid0(VALU_DEP_1) | instskip(SKIP_1) | instid1(VALU_DEP_4)
	v_fma_f32 v5, 0xcf800000, v3, |v1|
	v_cvt_u32_f32_e32 v1, v3
	v_mov_b32_e32 v21, v20
	s_delay_alu instid0(VALU_DEP_3) | instskip(NEXT) | instid1(VALU_DEP_3)
	v_cvt_u32_f32_e32 v3, v5
	v_xor_b32_e32 v25, v1, v20
	s_delay_alu instid0(VALU_DEP_2) | instskip(NEXT) | instid1(VALU_DEP_1)
	v_xor_b32_e32 v24, v3, v20
	v_sub_nc_u64_e32 v[20:21], v[24:25], v[20:21]
.LBB127_5211:
	s_mov_b32 s0, 0
.LBB127_5212:
	s_delay_alu instid0(SALU_CYCLE_1)
	s_and_not1_b32 vcc_lo, exec_lo, s0
	s_cbranch_vccnz .LBB127_5214
; %bb.5213:
	global_load_u16 v1, v[22:23], off
	s_wait_loadcnt 0x0
	v_cvt_f32_f16_e32 v1, v1
	s_delay_alu instid0(VALU_DEP_1) | instskip(NEXT) | instid1(VALU_DEP_1)
	v_cvt_i32_f32_e32 v20, v1
	v_ashrrev_i32_e32 v21, 31, v20
.LBB127_5214:
	s_mov_b32 s0, 0
.LBB127_5215:
	s_delay_alu instid0(SALU_CYCLE_1)
	s_and_not1_b32 vcc_lo, exec_lo, s0
	s_cbranch_vccnz .LBB127_5235
; %bb.5216:
	s_cmp_lt_i32 s57, 2
	s_cbranch_scc1 .LBB127_5220
; %bb.5217:
	s_cmp_lt_i32 s57, 3
	s_cbranch_scc1 .LBB127_5221
; %bb.5218:
	s_cmp_gt_i32 s57, 3
	s_cbranch_scc0 .LBB127_5222
; %bb.5219:
	s_wait_loadcnt 0x0
	global_load_b64 v[20:21], v[22:23], off
	s_mov_b32 s0, 0
	s_branch .LBB127_5223
.LBB127_5220:
	s_mov_b32 s0, -1
                                        ; implicit-def: $vgpr20_vgpr21
	s_branch .LBB127_5229
.LBB127_5221:
	s_mov_b32 s0, -1
                                        ; implicit-def: $vgpr20_vgpr21
	s_branch .LBB127_5226
.LBB127_5222:
	s_mov_b32 s0, -1
                                        ; implicit-def: $vgpr20_vgpr21
.LBB127_5223:
	s_delay_alu instid0(SALU_CYCLE_1)
	s_and_not1_b32 vcc_lo, exec_lo, s0
	s_cbranch_vccnz .LBB127_5225
; %bb.5224:
	s_wait_loadcnt 0x0
	global_load_b32 v20, v[22:23], off
	s_wait_loadcnt 0x0
	v_ashrrev_i32_e32 v21, 31, v20
.LBB127_5225:
	s_mov_b32 s0, 0
.LBB127_5226:
	s_delay_alu instid0(SALU_CYCLE_1)
	s_and_not1_b32 vcc_lo, exec_lo, s0
	s_cbranch_vccnz .LBB127_5228
; %bb.5227:
	global_load_u16 v1, v[22:23], off
	s_wait_loadcnt 0x0
	v_bfe_i32 v20, v1, 0, 16
	s_delay_alu instid0(VALU_DEP_1)
	v_ashrrev_i32_e32 v21, 31, v20
.LBB127_5228:
	s_mov_b32 s0, 0
.LBB127_5229:
	s_delay_alu instid0(SALU_CYCLE_1)
	s_and_not1_b32 vcc_lo, exec_lo, s0
	s_cbranch_vccnz .LBB127_5235
; %bb.5230:
	s_cmp_gt_i32 s57, 0
	s_mov_b32 s0, 0
	s_cbranch_scc0 .LBB127_5232
; %bb.5231:
	global_load_i8 v1, v[22:23], off
	s_wait_loadcnt 0x0
	v_bfe_i32 v20, v1, 0, 16
	s_delay_alu instid0(VALU_DEP_1)
	v_ashrrev_i32_e32 v21, 31, v20
	s_branch .LBB127_5233
.LBB127_5232:
	s_mov_b32 s0, -1
                                        ; implicit-def: $vgpr20_vgpr21
.LBB127_5233:
	s_delay_alu instid0(SALU_CYCLE_1)
	s_and_not1_b32 vcc_lo, exec_lo, s0
	s_cbranch_vccnz .LBB127_5235
; %bb.5234:
	global_load_u8 v1, v[22:23], off
	s_mov_b32 s0, 0
	s_wait_loadcnt 0x1
	v_mov_b32_e32 v21, s0
	s_wait_loadcnt 0x0
	v_and_b32_e32 v20, 0xffff, v1
.LBB127_5235:
	s_mov_b32 s7, -1
.LBB127_5236:
	s_delay_alu instid0(SALU_CYCLE_1)
	s_and_not1_b32 vcc_lo, exec_lo, s7
	s_cbranch_vccnz .LBB127_5756
; %bb.5237:
	v_mov_b32_e32 v19, 0
	s_cmp_lt_i32 s58, 11
	s_wait_xcnt 0x0
	s_delay_alu instid0(VALU_DEP_1)
	v_add_nc_u64_e32 v[22:23], s[10:11], v[18:19]
	s_cbranch_scc1 .LBB127_5244
; %bb.5238:
	s_cmp_gt_i32 s58, 25
	s_mov_b32 s6, 0
	s_cbranch_scc0 .LBB127_5245
; %bb.5239:
	s_cmp_gt_i32 s58, 28
	s_cbranch_scc0 .LBB127_5246
; %bb.5240:
	s_cmp_gt_i32 s58, 43
	;; [unrolled: 3-line block ×3, first 2 shown]
	s_cbranch_scc0 .LBB127_5249
; %bb.5242:
	s_cmp_eq_u32 s58, 46
	s_mov_b32 s9, 0
	s_cbranch_scc0 .LBB127_5251
; %bb.5243:
	global_load_b32 v1, v[22:23], off
	s_mov_b32 s0, 0
	s_mov_b32 s7, -1
	s_wait_loadcnt 0x0
	v_lshlrev_b32_e32 v1, 16, v1
	s_delay_alu instid0(VALU_DEP_1) | instskip(NEXT) | instid1(VALU_DEP_1)
	v_trunc_f32_e32 v1, v1
	v_mul_f32_e64 v3, 0x2f800000, |v1|
	v_ashrrev_i32_e32 v18, 31, v1
	s_delay_alu instid0(VALU_DEP_2) | instskip(NEXT) | instid1(VALU_DEP_2)
	v_floor_f32_e32 v3, v3
	v_mov_b32_e32 v19, v18
	s_delay_alu instid0(VALU_DEP_2) | instskip(SKIP_1) | instid1(VALU_DEP_2)
	v_fma_f32 v5, 0xcf800000, v3, |v1|
	v_cvt_u32_f32_e32 v1, v3
	v_cvt_u32_f32_e32 v3, v5
	s_delay_alu instid0(VALU_DEP_2) | instskip(NEXT) | instid1(VALU_DEP_2)
	v_xor_b32_e32 v25, v1, v18
	v_xor_b32_e32 v24, v3, v18
	s_delay_alu instid0(VALU_DEP_1)
	v_sub_nc_u64_e32 v[18:19], v[24:25], v[18:19]
	s_branch .LBB127_5253
.LBB127_5244:
	s_mov_b32 s0, -1
	s_mov_b32 s7, 0
                                        ; implicit-def: $vgpr18_vgpr19
	s_branch .LBB127_5315
.LBB127_5245:
	s_mov_b32 s9, -1
	s_mov_b32 s7, 0
	s_mov_b32 s0, 0
                                        ; implicit-def: $vgpr18_vgpr19
	s_branch .LBB127_5280
.LBB127_5246:
	s_mov_b32 s9, -1
	s_mov_b32 s7, 0
	s_mov_b32 s0, 0
                                        ; implicit-def: $vgpr18_vgpr19
	s_branch .LBB127_5263
.LBB127_5247:
	s_mov_b32 s9, -1
	s_mov_b32 s7, 0
	s_mov_b32 s0, 0
                                        ; implicit-def: $vgpr18_vgpr19
	s_branch .LBB127_5258
.LBB127_5248:
	s_or_b32 s23, s1, exec_lo
	s_trap 2
	s_cbranch_execz .LBB127_5185
	s_branch .LBB127_5186
.LBB127_5249:
	s_mov_b32 s9, -1
	s_mov_b32 s7, 0
	s_mov_b32 s0, 0
	s_branch .LBB127_5252
.LBB127_5250:
	s_or_b32 s56, s56, exec_lo
	s_trap 2
                                        ; implicit-def: $vgpr28_vgpr29
                                        ; implicit-def: $vgpr26_vgpr27
                                        ; implicit-def: $vgpr24_vgpr25
                                        ; implicit-def: $vgpr32_vgpr33
                                        ; implicit-def: $vgpr6
                                        ; implicit-def: $vgpr4
                                        ; implicit-def: $vgpr2
                                        ; implicit-def: $vgpr14
                                        ; implicit-def: $vgpr10
                                        ; implicit-def: $vgpr18
                                        ; implicit-def: $vgpr16
                                        ; implicit-def: $vgpr0
                                        ; implicit-def: $vgpr20
                                        ; implicit-def: $vgpr8_vgpr9
                                        ; implicit-def: $vgpr12_vgpr13
	s_branch .LBB127_5083
.LBB127_5251:
	s_mov_b32 s0, -1
	s_mov_b32 s7, 0
.LBB127_5252:
                                        ; implicit-def: $vgpr18_vgpr19
.LBB127_5253:
	s_and_b32 vcc_lo, exec_lo, s9
	s_cbranch_vccz .LBB127_5257
; %bb.5254:
	s_cmp_eq_u32 s58, 44
	s_cbranch_scc0 .LBB127_5256
; %bb.5255:
	global_load_u8 v1, v[22:23], off
	s_mov_b32 s0, 0
	s_mov_b32 s7, -1
	s_wait_loadcnt 0x0
	v_lshlrev_b32_e32 v3, 23, v1
	v_cmp_ne_u32_e32 vcc_lo, 0, v1
	s_delay_alu instid0(VALU_DEP_2) | instskip(NEXT) | instid1(VALU_DEP_1)
	v_trunc_f32_e32 v3, v3
	v_mul_f32_e64 v5, 0x2f800000, |v3|
	v_ashrrev_i32_e32 v18, 31, v3
	s_delay_alu instid0(VALU_DEP_2) | instskip(NEXT) | instid1(VALU_DEP_2)
	v_floor_f32_e32 v5, v5
	v_mov_b32_e32 v19, v18
	s_delay_alu instid0(VALU_DEP_2) | instskip(SKIP_1) | instid1(VALU_DEP_2)
	v_fma_f32 v7, 0xcf800000, v5, |v3|
	v_cvt_u32_f32_e32 v3, v5
	v_cvt_u32_f32_e32 v5, v7
	s_delay_alu instid0(VALU_DEP_2) | instskip(NEXT) | instid1(VALU_DEP_2)
	v_xor_b32_e32 v25, v3, v18
	v_xor_b32_e32 v24, v5, v18
	s_delay_alu instid0(VALU_DEP_1) | instskip(NEXT) | instid1(VALU_DEP_1)
	v_sub_nc_u64_e32 v[18:19], v[24:25], v[18:19]
	v_dual_cndmask_b32 v19, 0, v19 :: v_dual_cndmask_b32 v18, 0, v18
	s_branch .LBB127_5257
.LBB127_5256:
	s_mov_b32 s0, -1
                                        ; implicit-def: $vgpr18_vgpr19
.LBB127_5257:
	s_mov_b32 s9, 0
.LBB127_5258:
	s_delay_alu instid0(SALU_CYCLE_1)
	s_and_b32 vcc_lo, exec_lo, s9
	s_cbranch_vccz .LBB127_5262
; %bb.5259:
	s_cmp_eq_u32 s58, 29
	s_cbranch_scc0 .LBB127_5261
; %bb.5260:
	global_load_b64 v[18:19], v[22:23], off
	s_mov_b32 s0, 0
	s_mov_b32 s7, -1
	s_branch .LBB127_5262
.LBB127_5261:
	s_mov_b32 s0, -1
                                        ; implicit-def: $vgpr18_vgpr19
.LBB127_5262:
	s_mov_b32 s9, 0
.LBB127_5263:
	s_delay_alu instid0(SALU_CYCLE_1)
	s_and_b32 vcc_lo, exec_lo, s9
	s_cbranch_vccz .LBB127_5279
; %bb.5264:
	s_cmp_lt_i32 s58, 27
	s_cbranch_scc1 .LBB127_5267
; %bb.5265:
	s_cmp_gt_i32 s58, 27
	s_cbranch_scc0 .LBB127_5268
; %bb.5266:
	s_wait_loadcnt 0x0
	global_load_b32 v18, v[22:23], off
	v_mov_b32_e32 v19, 0
	s_mov_b32 s7, 0
	s_branch .LBB127_5269
.LBB127_5267:
	s_mov_b32 s7, -1
                                        ; implicit-def: $vgpr18_vgpr19
	s_branch .LBB127_5272
.LBB127_5268:
	s_mov_b32 s7, -1
                                        ; implicit-def: $vgpr18_vgpr19
.LBB127_5269:
	s_delay_alu instid0(SALU_CYCLE_1)
	s_and_not1_b32 vcc_lo, exec_lo, s7
	s_cbranch_vccnz .LBB127_5271
; %bb.5270:
	global_load_u16 v1, v[22:23], off
	s_mov_b32 s7, 0
	s_wait_loadcnt 0x1
	v_mov_b32_e32 v19, s7
	s_wait_loadcnt 0x0
	v_and_b32_e32 v18, 0xffff, v1
.LBB127_5271:
	s_mov_b32 s7, 0
.LBB127_5272:
	s_delay_alu instid0(SALU_CYCLE_1)
	s_and_not1_b32 vcc_lo, exec_lo, s7
	s_cbranch_vccnz .LBB127_5278
; %bb.5273:
	global_load_u8 v1, v[22:23], off
	s_mov_b32 s9, 0
	s_mov_b32 s7, exec_lo
	s_wait_loadcnt 0x0
	v_cmpx_lt_i16_e32 0x7f, v1
	s_xor_b32 s7, exec_lo, s7
	s_cbranch_execz .LBB127_5290
; %bb.5274:
	v_cmp_ne_u16_e32 vcc_lo, 0x80, v1
	s_and_b32 s9, vcc_lo, exec_lo
	s_and_not1_saveexec_b32 s7, s7
	s_cbranch_execnz .LBB127_5291
.LBB127_5275:
	s_or_b32 exec_lo, exec_lo, s7
	v_mov_b64_e32 v[18:19], 0
	s_and_saveexec_b32 s7, s9
	s_cbranch_execz .LBB127_5277
.LBB127_5276:
	v_and_b32_e32 v3, 0xffff, v1
	s_delay_alu instid0(VALU_DEP_1) | instskip(SKIP_1) | instid1(VALU_DEP_2)
	v_dual_lshlrev_b32 v1, 24, v1 :: v_dual_bitop2_b32 v5, 7, v3 bitop3:0x40
	v_bfe_u32 v15, v3, 3, 4
	v_and_b32_e32 v1, 0x80000000, v1
	s_delay_alu instid0(VALU_DEP_3) | instskip(NEXT) | instid1(VALU_DEP_3)
	v_clz_i32_u32_e32 v7, v5
	v_cmp_eq_u32_e32 vcc_lo, 0, v15
	s_delay_alu instid0(VALU_DEP_2) | instskip(NEXT) | instid1(VALU_DEP_1)
	v_min_u32_e32 v7, 32, v7
	v_subrev_nc_u32_e32 v11, 28, v7
	v_sub_nc_u32_e32 v7, 29, v7
	s_delay_alu instid0(VALU_DEP_2) | instskip(NEXT) | instid1(VALU_DEP_2)
	v_lshlrev_b32_e32 v3, v11, v3
	v_cndmask_b32_e32 v7, v15, v7, vcc_lo
	s_delay_alu instid0(VALU_DEP_2) | instskip(NEXT) | instid1(VALU_DEP_1)
	v_and_b32_e32 v3, 7, v3
	v_cndmask_b32_e32 v3, v5, v3, vcc_lo
	s_delay_alu instid0(VALU_DEP_3) | instskip(NEXT) | instid1(VALU_DEP_2)
	v_lshl_add_u32 v5, v7, 23, 0x3b800000
	v_lshlrev_b32_e32 v3, 20, v3
	s_delay_alu instid0(VALU_DEP_1) | instskip(NEXT) | instid1(VALU_DEP_1)
	v_or3_b32 v1, v1, v5, v3
	v_trunc_f32_e32 v1, v1
	s_delay_alu instid0(VALU_DEP_1) | instskip(SKIP_1) | instid1(VALU_DEP_2)
	v_mul_f32_e64 v3, 0x2f800000, |v1|
	v_ashrrev_i32_e32 v18, 31, v1
	v_floor_f32_e32 v3, v3
	s_delay_alu instid0(VALU_DEP_2) | instskip(NEXT) | instid1(VALU_DEP_2)
	v_mov_b32_e32 v19, v18
	v_fma_f32 v5, 0xcf800000, v3, |v1|
	v_cvt_u32_f32_e32 v1, v3
	s_delay_alu instid0(VALU_DEP_2) | instskip(NEXT) | instid1(VALU_DEP_2)
	v_cvt_u32_f32_e32 v3, v5
	v_xor_b32_e32 v25, v1, v18
	s_delay_alu instid0(VALU_DEP_2) | instskip(NEXT) | instid1(VALU_DEP_1)
	v_xor_b32_e32 v24, v3, v18
	v_sub_nc_u64_e32 v[18:19], v[24:25], v[18:19]
.LBB127_5277:
	s_or_b32 exec_lo, exec_lo, s7
.LBB127_5278:
	s_mov_b32 s7, -1
.LBB127_5279:
	s_mov_b32 s9, 0
.LBB127_5280:
	s_delay_alu instid0(SALU_CYCLE_1)
	s_and_b32 vcc_lo, exec_lo, s9
	s_cbranch_vccz .LBB127_5311
; %bb.5281:
	s_cmp_gt_i32 s58, 22
	s_cbranch_scc0 .LBB127_5289
; %bb.5282:
	s_cmp_lt_i32 s58, 24
	s_cbranch_scc1 .LBB127_5292
; %bb.5283:
	s_cmp_gt_i32 s58, 24
	s_cbranch_scc0 .LBB127_5293
; %bb.5284:
	global_load_u8 v1, v[22:23], off
	s_mov_b32 s7, 0
	s_mov_b32 s6, exec_lo
	s_wait_loadcnt 0x0
	v_cmpx_lt_i16_e32 0x7f, v1
	s_xor_b32 s6, exec_lo, s6
	s_cbranch_execz .LBB127_5305
; %bb.5285:
	v_cmp_ne_u16_e32 vcc_lo, 0x80, v1
	s_and_b32 s7, vcc_lo, exec_lo
	s_and_not1_saveexec_b32 s6, s6
	s_cbranch_execnz .LBB127_5306
.LBB127_5286:
	s_or_b32 exec_lo, exec_lo, s6
	v_mov_b64_e32 v[18:19], 0
	s_and_saveexec_b32 s6, s7
	s_cbranch_execz .LBB127_5288
.LBB127_5287:
	v_and_b32_e32 v3, 0xffff, v1
	s_delay_alu instid0(VALU_DEP_1) | instskip(SKIP_1) | instid1(VALU_DEP_2)
	v_dual_lshlrev_b32 v1, 24, v1 :: v_dual_bitop2_b32 v5, 3, v3 bitop3:0x40
	v_bfe_u32 v15, v3, 2, 5
	v_and_b32_e32 v1, 0x80000000, v1
	s_delay_alu instid0(VALU_DEP_3) | instskip(NEXT) | instid1(VALU_DEP_3)
	v_clz_i32_u32_e32 v7, v5
	v_cmp_eq_u32_e32 vcc_lo, 0, v15
	s_delay_alu instid0(VALU_DEP_2) | instskip(NEXT) | instid1(VALU_DEP_1)
	v_min_u32_e32 v7, 32, v7
	v_subrev_nc_u32_e32 v11, 29, v7
	v_sub_nc_u32_e32 v7, 30, v7
	s_delay_alu instid0(VALU_DEP_2) | instskip(NEXT) | instid1(VALU_DEP_2)
	v_lshlrev_b32_e32 v3, v11, v3
	v_cndmask_b32_e32 v7, v15, v7, vcc_lo
	s_delay_alu instid0(VALU_DEP_2) | instskip(NEXT) | instid1(VALU_DEP_1)
	v_and_b32_e32 v3, 3, v3
	v_cndmask_b32_e32 v3, v5, v3, vcc_lo
	s_delay_alu instid0(VALU_DEP_3) | instskip(NEXT) | instid1(VALU_DEP_2)
	v_lshl_add_u32 v5, v7, 23, 0x37800000
	v_lshlrev_b32_e32 v3, 21, v3
	s_delay_alu instid0(VALU_DEP_1) | instskip(NEXT) | instid1(VALU_DEP_1)
	v_or3_b32 v1, v1, v5, v3
	v_trunc_f32_e32 v1, v1
	s_delay_alu instid0(VALU_DEP_1) | instskip(SKIP_1) | instid1(VALU_DEP_2)
	v_mul_f32_e64 v3, 0x2f800000, |v1|
	v_ashrrev_i32_e32 v18, 31, v1
	v_floor_f32_e32 v3, v3
	s_delay_alu instid0(VALU_DEP_2) | instskip(NEXT) | instid1(VALU_DEP_2)
	v_mov_b32_e32 v19, v18
	v_fma_f32 v5, 0xcf800000, v3, |v1|
	v_cvt_u32_f32_e32 v1, v3
	s_delay_alu instid0(VALU_DEP_2) | instskip(NEXT) | instid1(VALU_DEP_2)
	v_cvt_u32_f32_e32 v3, v5
	v_xor_b32_e32 v25, v1, v18
	s_delay_alu instid0(VALU_DEP_2) | instskip(NEXT) | instid1(VALU_DEP_1)
	v_xor_b32_e32 v24, v3, v18
	v_sub_nc_u64_e32 v[18:19], v[24:25], v[18:19]
.LBB127_5288:
	s_or_b32 exec_lo, exec_lo, s6
	s_mov_b32 s6, 0
	s_branch .LBB127_5294
.LBB127_5289:
	s_mov_b32 s6, -1
                                        ; implicit-def: $vgpr18_vgpr19
	s_branch .LBB127_5300
.LBB127_5290:
	s_and_not1_saveexec_b32 s7, s7
	s_cbranch_execz .LBB127_5275
.LBB127_5291:
	v_cmp_ne_u16_e32 vcc_lo, 0, v1
	s_and_not1_b32 s9, s9, exec_lo
	s_and_b32 s10, vcc_lo, exec_lo
	s_delay_alu instid0(SALU_CYCLE_1)
	s_or_b32 s9, s9, s10
	s_or_b32 exec_lo, exec_lo, s7
	v_mov_b64_e32 v[18:19], 0
	s_and_saveexec_b32 s7, s9
	s_cbranch_execnz .LBB127_5276
	s_branch .LBB127_5277
.LBB127_5292:
	s_mov_b32 s6, -1
                                        ; implicit-def: $vgpr18_vgpr19
	s_branch .LBB127_5297
.LBB127_5293:
	s_mov_b32 s6, -1
                                        ; implicit-def: $vgpr18_vgpr19
.LBB127_5294:
	s_delay_alu instid0(SALU_CYCLE_1)
	s_and_b32 vcc_lo, exec_lo, s6
	s_cbranch_vccz .LBB127_5296
; %bb.5295:
	global_load_u8 v1, v[22:23], off
	s_wait_loadcnt 0x0
	v_lshlrev_b32_e32 v1, 24, v1
	s_delay_alu instid0(VALU_DEP_1) | instskip(NEXT) | instid1(VALU_DEP_1)
	v_and_b32_e32 v3, 0x7f000000, v1
	v_clz_i32_u32_e32 v5, v3
	v_add_nc_u32_e32 v11, 0x1000000, v3
	v_cmp_ne_u32_e32 vcc_lo, 0, v3
	s_delay_alu instid0(VALU_DEP_3) | instskip(NEXT) | instid1(VALU_DEP_1)
	v_min_u32_e32 v5, 32, v5
	v_sub_nc_u32_e64 v5, v5, 4 clamp
	s_delay_alu instid0(VALU_DEP_1) | instskip(NEXT) | instid1(VALU_DEP_1)
	v_dual_lshlrev_b32 v7, v5, v3 :: v_dual_lshlrev_b32 v5, 23, v5
	v_lshrrev_b32_e32 v7, 4, v7
	s_delay_alu instid0(VALU_DEP_1) | instskip(NEXT) | instid1(VALU_DEP_1)
	v_dual_sub_nc_u32 v5, v7, v5 :: v_dual_ashrrev_i32 v7, 8, v11
	v_add_nc_u32_e32 v5, 0x3c000000, v5
	s_delay_alu instid0(VALU_DEP_1) | instskip(NEXT) | instid1(VALU_DEP_1)
	v_and_or_b32 v5, 0x7f800000, v7, v5
	v_cndmask_b32_e32 v3, 0, v5, vcc_lo
	s_delay_alu instid0(VALU_DEP_1) | instskip(NEXT) | instid1(VALU_DEP_1)
	v_and_or_b32 v1, 0x80000000, v1, v3
	v_trunc_f32_e32 v1, v1
	s_delay_alu instid0(VALU_DEP_1) | instskip(SKIP_1) | instid1(VALU_DEP_2)
	v_mul_f32_e64 v3, 0x2f800000, |v1|
	v_ashrrev_i32_e32 v18, 31, v1
	v_floor_f32_e32 v3, v3
	s_delay_alu instid0(VALU_DEP_2) | instskip(NEXT) | instid1(VALU_DEP_2)
	v_mov_b32_e32 v19, v18
	v_fma_f32 v5, 0xcf800000, v3, |v1|
	v_cvt_u32_f32_e32 v1, v3
	s_delay_alu instid0(VALU_DEP_2) | instskip(NEXT) | instid1(VALU_DEP_2)
	v_cvt_u32_f32_e32 v3, v5
	v_xor_b32_e32 v25, v1, v18
	s_delay_alu instid0(VALU_DEP_2) | instskip(NEXT) | instid1(VALU_DEP_1)
	v_xor_b32_e32 v24, v3, v18
	v_sub_nc_u64_e32 v[18:19], v[24:25], v[18:19]
.LBB127_5296:
	s_mov_b32 s6, 0
.LBB127_5297:
	s_delay_alu instid0(SALU_CYCLE_1)
	s_and_not1_b32 vcc_lo, exec_lo, s6
	s_cbranch_vccnz .LBB127_5299
; %bb.5298:
	global_load_u8 v1, v[22:23], off
	s_wait_loadcnt 0x0
	v_lshlrev_b32_e32 v3, 25, v1
	v_lshlrev_b16 v1, 8, v1
	s_delay_alu instid0(VALU_DEP_1) | instskip(SKIP_1) | instid1(VALU_DEP_2)
	v_and_or_b32 v7, 0x7f00, v1, 0.5
	v_bfe_i32 v1, v1, 0, 16
	v_add_f32_e32 v7, -0.5, v7
	v_lshrrev_b32_e32 v5, 4, v3
	v_cmp_gt_u32_e32 vcc_lo, 0x8000000, v3
	s_delay_alu instid0(VALU_DEP_2) | instskip(NEXT) | instid1(VALU_DEP_1)
	v_or_b32_e32 v5, 0x70000000, v5
	v_mul_f32_e32 v5, 0x7800000, v5
	s_delay_alu instid0(VALU_DEP_1) | instskip(NEXT) | instid1(VALU_DEP_1)
	v_cndmask_b32_e32 v3, v5, v7, vcc_lo
	v_and_or_b32 v1, 0x80000000, v1, v3
	s_delay_alu instid0(VALU_DEP_1) | instskip(NEXT) | instid1(VALU_DEP_1)
	v_trunc_f32_e32 v1, v1
	v_mul_f32_e64 v3, 0x2f800000, |v1|
	v_ashrrev_i32_e32 v18, 31, v1
	s_delay_alu instid0(VALU_DEP_2) | instskip(NEXT) | instid1(VALU_DEP_2)
	v_floor_f32_e32 v3, v3
	v_mov_b32_e32 v19, v18
	s_delay_alu instid0(VALU_DEP_2) | instskip(SKIP_1) | instid1(VALU_DEP_2)
	v_fma_f32 v5, 0xcf800000, v3, |v1|
	v_cvt_u32_f32_e32 v1, v3
	v_cvt_u32_f32_e32 v3, v5
	s_delay_alu instid0(VALU_DEP_2) | instskip(NEXT) | instid1(VALU_DEP_2)
	v_xor_b32_e32 v25, v1, v18
	v_xor_b32_e32 v24, v3, v18
	s_delay_alu instid0(VALU_DEP_1)
	v_sub_nc_u64_e32 v[18:19], v[24:25], v[18:19]
.LBB127_5299:
	s_mov_b32 s6, 0
	s_mov_b32 s7, -1
.LBB127_5300:
	s_and_not1_b32 vcc_lo, exec_lo, s6
	s_mov_b32 s6, 0
	s_cbranch_vccnz .LBB127_5311
; %bb.5301:
	s_cmp_gt_i32 s58, 14
	s_cbranch_scc0 .LBB127_5304
; %bb.5302:
	s_cmp_eq_u32 s58, 15
	s_cbranch_scc0 .LBB127_5307
; %bb.5303:
	global_load_u16 v1, v[22:23], off
	s_mov_b32 s0, 0
	s_mov_b32 s7, -1
	s_wait_loadcnt 0x0
	v_lshlrev_b32_e32 v1, 16, v1
	s_delay_alu instid0(VALU_DEP_1) | instskip(NEXT) | instid1(VALU_DEP_1)
	v_trunc_f32_e32 v1, v1
	v_mul_f32_e64 v3, 0x2f800000, |v1|
	v_ashrrev_i32_e32 v18, 31, v1
	s_delay_alu instid0(VALU_DEP_2) | instskip(NEXT) | instid1(VALU_DEP_2)
	v_floor_f32_e32 v3, v3
	v_mov_b32_e32 v19, v18
	s_delay_alu instid0(VALU_DEP_2) | instskip(SKIP_1) | instid1(VALU_DEP_2)
	v_fma_f32 v5, 0xcf800000, v3, |v1|
	v_cvt_u32_f32_e32 v1, v3
	v_cvt_u32_f32_e32 v3, v5
	s_delay_alu instid0(VALU_DEP_2) | instskip(NEXT) | instid1(VALU_DEP_2)
	v_xor_b32_e32 v25, v1, v18
	v_xor_b32_e32 v24, v3, v18
	s_delay_alu instid0(VALU_DEP_1)
	v_sub_nc_u64_e32 v[18:19], v[24:25], v[18:19]
	s_branch .LBB127_5309
.LBB127_5304:
	s_mov_b32 s6, -1
	s_branch .LBB127_5308
.LBB127_5305:
	s_and_not1_saveexec_b32 s6, s6
	s_cbranch_execz .LBB127_5286
.LBB127_5306:
	v_cmp_ne_u16_e32 vcc_lo, 0, v1
	s_and_not1_b32 s7, s7, exec_lo
	s_and_b32 s9, vcc_lo, exec_lo
	s_delay_alu instid0(SALU_CYCLE_1)
	s_or_b32 s7, s7, s9
	s_or_b32 exec_lo, exec_lo, s6
	v_mov_b64_e32 v[18:19], 0
	s_and_saveexec_b32 s6, s7
	s_cbranch_execnz .LBB127_5287
	s_branch .LBB127_5288
.LBB127_5307:
	s_mov_b32 s0, -1
.LBB127_5308:
                                        ; implicit-def: $vgpr18_vgpr19
.LBB127_5309:
	s_and_b32 vcc_lo, exec_lo, s6
	s_mov_b32 s6, 0
	s_cbranch_vccz .LBB127_5311
; %bb.5310:
	s_cmp_lg_u32 s58, 11
	s_mov_b32 s6, -1
	s_cselect_b32 s0, -1, 0
.LBB127_5311:
	s_delay_alu instid0(SALU_CYCLE_1)
	s_and_b32 vcc_lo, exec_lo, s0
	s_cbranch_vccnz .LBB127_5376
; %bb.5312:
	s_and_not1_b32 vcc_lo, exec_lo, s6
	s_cbranch_vccnz .LBB127_5314
.LBB127_5313:
	global_load_u8 v1, v[22:23], off
	s_mov_b32 s0, 0
	s_mov_b32 s7, -1
	s_wait_loadcnt 0x1
	v_mov_b32_e32 v19, s0
	s_wait_loadcnt 0x0
	v_cmp_ne_u16_e32 vcc_lo, 0, v1
	v_cndmask_b32_e64 v18, 0, 1, vcc_lo
.LBB127_5314:
	s_mov_b32 s0, 0
.LBB127_5315:
	s_delay_alu instid0(SALU_CYCLE_1)
	s_and_b32 vcc_lo, exec_lo, s0
	s_cbranch_vccz .LBB127_5364
; %bb.5316:
	s_cmp_lt_i32 s58, 5
	s_cbranch_scc1 .LBB127_5321
; %bb.5317:
	s_cmp_lt_i32 s58, 8
	s_cbranch_scc1 .LBB127_5322
	;; [unrolled: 3-line block ×3, first 2 shown]
; %bb.5319:
	s_cmp_gt_i32 s58, 9
	s_cbranch_scc0 .LBB127_5324
; %bb.5320:
	s_wait_loadcnt 0x0
	global_load_b64 v[18:19], v[22:23], off
	s_mov_b32 s0, 0
	s_wait_loadcnt 0x0
	v_trunc_f64_e32 v[18:19], v[18:19]
	s_delay_alu instid0(VALU_DEP_1) | instskip(NEXT) | instid1(VALU_DEP_1)
	v_ldexp_f64 v[24:25], v[18:19], 0xffffffe0
	v_floor_f64_e32 v[24:25], v[24:25]
	s_delay_alu instid0(VALU_DEP_1) | instskip(SKIP_1) | instid1(VALU_DEP_2)
	v_fmamk_f64 v[26:27], v[24:25], 0xc1f00000, v[18:19]
	v_cvt_i32_f64_e32 v19, v[24:25]
	v_cvt_u32_f64_e32 v18, v[26:27]
	s_branch .LBB127_5325
.LBB127_5321:
	s_mov_b32 s0, -1
                                        ; implicit-def: $vgpr18_vgpr19
	s_branch .LBB127_5343
.LBB127_5322:
	s_mov_b32 s0, -1
                                        ; implicit-def: $vgpr18_vgpr19
	s_branch .LBB127_5331
.LBB127_5323:
	s_mov_b32 s0, -1
                                        ; implicit-def: $vgpr18_vgpr19
	s_branch .LBB127_5328
.LBB127_5324:
	s_mov_b32 s0, -1
                                        ; implicit-def: $vgpr18_vgpr19
.LBB127_5325:
	s_delay_alu instid0(SALU_CYCLE_1)
	s_and_not1_b32 vcc_lo, exec_lo, s0
	s_cbranch_vccnz .LBB127_5327
; %bb.5326:
	global_load_b32 v1, v[22:23], off
	s_wait_loadcnt 0x0
	v_trunc_f32_e32 v1, v1
	s_delay_alu instid0(VALU_DEP_1) | instskip(SKIP_1) | instid1(VALU_DEP_2)
	v_mul_f32_e64 v3, 0x2f800000, |v1|
	v_ashrrev_i32_e32 v18, 31, v1
	v_floor_f32_e32 v3, v3
	s_delay_alu instid0(VALU_DEP_1) | instskip(SKIP_1) | instid1(VALU_DEP_4)
	v_fma_f32 v5, 0xcf800000, v3, |v1|
	v_cvt_u32_f32_e32 v1, v3
	v_mov_b32_e32 v19, v18
	s_delay_alu instid0(VALU_DEP_3) | instskip(NEXT) | instid1(VALU_DEP_3)
	v_cvt_u32_f32_e32 v3, v5
	v_xor_b32_e32 v25, v1, v18
	s_delay_alu instid0(VALU_DEP_2) | instskip(NEXT) | instid1(VALU_DEP_1)
	v_xor_b32_e32 v24, v3, v18
	v_sub_nc_u64_e32 v[18:19], v[24:25], v[18:19]
.LBB127_5327:
	s_mov_b32 s0, 0
.LBB127_5328:
	s_delay_alu instid0(SALU_CYCLE_1)
	s_and_not1_b32 vcc_lo, exec_lo, s0
	s_cbranch_vccnz .LBB127_5330
; %bb.5329:
	global_load_b32 v1, v[22:23], off
	s_wait_loadcnt 0x0
	v_cvt_f32_f16_e32 v1, v1
	s_delay_alu instid0(VALU_DEP_1) | instskip(NEXT) | instid1(VALU_DEP_1)
	v_cvt_i32_f32_e32 v18, v1
	v_ashrrev_i32_e32 v19, 31, v18
.LBB127_5330:
	s_mov_b32 s0, 0
.LBB127_5331:
	s_delay_alu instid0(SALU_CYCLE_1)
	s_and_not1_b32 vcc_lo, exec_lo, s0
	s_cbranch_vccnz .LBB127_5342
; %bb.5332:
	s_cmp_lt_i32 s58, 6
	s_cbranch_scc1 .LBB127_5335
; %bb.5333:
	s_cmp_gt_i32 s58, 6
	s_cbranch_scc0 .LBB127_5336
; %bb.5334:
	s_wait_loadcnt 0x0
	global_load_b64 v[18:19], v[22:23], off
	s_mov_b32 s0, 0
	s_wait_loadcnt 0x0
	v_trunc_f64_e32 v[18:19], v[18:19]
	s_delay_alu instid0(VALU_DEP_1) | instskip(NEXT) | instid1(VALU_DEP_1)
	v_ldexp_f64 v[24:25], v[18:19], 0xffffffe0
	v_floor_f64_e32 v[24:25], v[24:25]
	s_delay_alu instid0(VALU_DEP_1) | instskip(SKIP_1) | instid1(VALU_DEP_2)
	v_fmamk_f64 v[26:27], v[24:25], 0xc1f00000, v[18:19]
	v_cvt_i32_f64_e32 v19, v[24:25]
	v_cvt_u32_f64_e32 v18, v[26:27]
	s_branch .LBB127_5337
.LBB127_5335:
	s_mov_b32 s0, -1
                                        ; implicit-def: $vgpr18_vgpr19
	s_branch .LBB127_5340
.LBB127_5336:
	s_mov_b32 s0, -1
                                        ; implicit-def: $vgpr18_vgpr19
.LBB127_5337:
	s_delay_alu instid0(SALU_CYCLE_1)
	s_and_not1_b32 vcc_lo, exec_lo, s0
	s_cbranch_vccnz .LBB127_5339
; %bb.5338:
	global_load_b32 v1, v[22:23], off
	s_wait_loadcnt 0x0
	v_trunc_f32_e32 v1, v1
	s_delay_alu instid0(VALU_DEP_1) | instskip(SKIP_1) | instid1(VALU_DEP_2)
	v_mul_f32_e64 v3, 0x2f800000, |v1|
	v_ashrrev_i32_e32 v18, 31, v1
	v_floor_f32_e32 v3, v3
	s_delay_alu instid0(VALU_DEP_1) | instskip(SKIP_1) | instid1(VALU_DEP_4)
	v_fma_f32 v5, 0xcf800000, v3, |v1|
	v_cvt_u32_f32_e32 v1, v3
	v_mov_b32_e32 v19, v18
	s_delay_alu instid0(VALU_DEP_3) | instskip(NEXT) | instid1(VALU_DEP_3)
	v_cvt_u32_f32_e32 v3, v5
	v_xor_b32_e32 v25, v1, v18
	s_delay_alu instid0(VALU_DEP_2) | instskip(NEXT) | instid1(VALU_DEP_1)
	v_xor_b32_e32 v24, v3, v18
	v_sub_nc_u64_e32 v[18:19], v[24:25], v[18:19]
.LBB127_5339:
	s_mov_b32 s0, 0
.LBB127_5340:
	s_delay_alu instid0(SALU_CYCLE_1)
	s_and_not1_b32 vcc_lo, exec_lo, s0
	s_cbranch_vccnz .LBB127_5342
; %bb.5341:
	global_load_u16 v1, v[22:23], off
	s_wait_loadcnt 0x0
	v_cvt_f32_f16_e32 v1, v1
	s_delay_alu instid0(VALU_DEP_1) | instskip(NEXT) | instid1(VALU_DEP_1)
	v_cvt_i32_f32_e32 v18, v1
	v_ashrrev_i32_e32 v19, 31, v18
.LBB127_5342:
	s_mov_b32 s0, 0
.LBB127_5343:
	s_delay_alu instid0(SALU_CYCLE_1)
	s_and_not1_b32 vcc_lo, exec_lo, s0
	s_cbranch_vccnz .LBB127_5363
; %bb.5344:
	s_cmp_lt_i32 s58, 2
	s_cbranch_scc1 .LBB127_5348
; %bb.5345:
	s_cmp_lt_i32 s58, 3
	s_cbranch_scc1 .LBB127_5349
; %bb.5346:
	s_cmp_gt_i32 s58, 3
	s_cbranch_scc0 .LBB127_5350
; %bb.5347:
	s_wait_loadcnt 0x0
	global_load_b64 v[18:19], v[22:23], off
	s_mov_b32 s0, 0
	s_branch .LBB127_5351
.LBB127_5348:
	s_mov_b32 s0, -1
                                        ; implicit-def: $vgpr18_vgpr19
	s_branch .LBB127_5357
.LBB127_5349:
	s_mov_b32 s0, -1
                                        ; implicit-def: $vgpr18_vgpr19
	s_branch .LBB127_5354
.LBB127_5350:
	s_mov_b32 s0, -1
                                        ; implicit-def: $vgpr18_vgpr19
.LBB127_5351:
	s_delay_alu instid0(SALU_CYCLE_1)
	s_and_not1_b32 vcc_lo, exec_lo, s0
	s_cbranch_vccnz .LBB127_5353
; %bb.5352:
	s_wait_loadcnt 0x0
	global_load_b32 v18, v[22:23], off
	s_wait_loadcnt 0x0
	v_ashrrev_i32_e32 v19, 31, v18
.LBB127_5353:
	s_mov_b32 s0, 0
.LBB127_5354:
	s_delay_alu instid0(SALU_CYCLE_1)
	s_and_not1_b32 vcc_lo, exec_lo, s0
	s_cbranch_vccnz .LBB127_5356
; %bb.5355:
	global_load_u16 v1, v[22:23], off
	s_wait_loadcnt 0x0
	v_bfe_i32 v18, v1, 0, 16
	s_delay_alu instid0(VALU_DEP_1)
	v_ashrrev_i32_e32 v19, 31, v18
.LBB127_5356:
	s_mov_b32 s0, 0
.LBB127_5357:
	s_delay_alu instid0(SALU_CYCLE_1)
	s_and_not1_b32 vcc_lo, exec_lo, s0
	s_cbranch_vccnz .LBB127_5363
; %bb.5358:
	s_cmp_gt_i32 s58, 0
	s_mov_b32 s0, 0
	s_cbranch_scc0 .LBB127_5360
; %bb.5359:
	global_load_i8 v1, v[22:23], off
	s_wait_loadcnt 0x0
	v_bfe_i32 v18, v1, 0, 16
	s_delay_alu instid0(VALU_DEP_1)
	v_ashrrev_i32_e32 v19, 31, v18
	s_branch .LBB127_5361
.LBB127_5360:
	s_mov_b32 s0, -1
                                        ; implicit-def: $vgpr18_vgpr19
.LBB127_5361:
	s_delay_alu instid0(SALU_CYCLE_1)
	s_and_not1_b32 vcc_lo, exec_lo, s0
	s_cbranch_vccnz .LBB127_5363
; %bb.5362:
	global_load_u8 v1, v[22:23], off
	s_mov_b32 s0, 0
	s_wait_loadcnt 0x1
	v_mov_b32_e32 v19, s0
	s_wait_loadcnt 0x0
	v_and_b32_e32 v18, 0xffff, v1
.LBB127_5363:
	s_mov_b32 s7, -1
.LBB127_5364:
	s_delay_alu instid0(SALU_CYCLE_1)
	s_and_not1_b32 vcc_lo, exec_lo, s7
	s_cbranch_vccnz .LBB127_5756
; %bb.5365:
	v_mov_b32_e32 v17, 0
	s_cmp_lt_i32 s59, 11
	s_wait_xcnt 0x0
	s_delay_alu instid0(VALU_DEP_1)
	v_add_nc_u64_e32 v[22:23], s[12:13], v[16:17]
	s_cbranch_scc1 .LBB127_5372
; %bb.5366:
	s_cmp_gt_i32 s59, 25
	s_mov_b32 s6, 0
	s_cbranch_scc0 .LBB127_5373
; %bb.5367:
	s_cmp_gt_i32 s59, 28
	s_cbranch_scc0 .LBB127_5374
; %bb.5368:
	s_cmp_gt_i32 s59, 43
	;; [unrolled: 3-line block ×3, first 2 shown]
	s_cbranch_scc0 .LBB127_5377
; %bb.5370:
	s_cmp_eq_u32 s59, 46
	s_mov_b32 s9, 0
	s_cbranch_scc0 .LBB127_5379
; %bb.5371:
	global_load_b32 v1, v[22:23], off
	s_mov_b32 s0, 0
	s_mov_b32 s7, -1
	s_wait_loadcnt 0x0
	v_lshlrev_b32_e32 v1, 16, v1
	s_delay_alu instid0(VALU_DEP_1) | instskip(NEXT) | instid1(VALU_DEP_1)
	v_trunc_f32_e32 v1, v1
	v_mul_f32_e64 v3, 0x2f800000, |v1|
	v_ashrrev_i32_e32 v16, 31, v1
	s_delay_alu instid0(VALU_DEP_2) | instskip(NEXT) | instid1(VALU_DEP_2)
	v_floor_f32_e32 v3, v3
	v_mov_b32_e32 v17, v16
	s_delay_alu instid0(VALU_DEP_2) | instskip(SKIP_1) | instid1(VALU_DEP_2)
	v_fma_f32 v5, 0xcf800000, v3, |v1|
	v_cvt_u32_f32_e32 v1, v3
	v_cvt_u32_f32_e32 v3, v5
	s_delay_alu instid0(VALU_DEP_2) | instskip(NEXT) | instid1(VALU_DEP_2)
	v_xor_b32_e32 v25, v1, v16
	v_xor_b32_e32 v24, v3, v16
	s_delay_alu instid0(VALU_DEP_1)
	v_sub_nc_u64_e32 v[16:17], v[24:25], v[16:17]
	s_branch .LBB127_5381
.LBB127_5372:
	s_mov_b32 s0, -1
	s_mov_b32 s7, 0
                                        ; implicit-def: $vgpr16_vgpr17
	s_branch .LBB127_5443
.LBB127_5373:
	s_mov_b32 s9, -1
	s_mov_b32 s7, 0
	s_mov_b32 s0, 0
                                        ; implicit-def: $vgpr16_vgpr17
	s_branch .LBB127_5408
.LBB127_5374:
	s_mov_b32 s9, -1
	s_mov_b32 s7, 0
	s_mov_b32 s0, 0
                                        ; implicit-def: $vgpr16_vgpr17
	s_branch .LBB127_5391
.LBB127_5375:
	s_mov_b32 s9, -1
	s_mov_b32 s7, 0
	s_mov_b32 s0, 0
                                        ; implicit-def: $vgpr16_vgpr17
	s_branch .LBB127_5386
.LBB127_5376:
	s_or_b32 s23, s23, exec_lo
	s_trap 2
	s_cbranch_execz .LBB127_5313
	s_branch .LBB127_5314
.LBB127_5377:
	s_mov_b32 s9, -1
	s_mov_b32 s7, 0
	s_mov_b32 s0, 0
	s_branch .LBB127_5380
.LBB127_5378:
	s_or_b32 s63, s56, exec_lo
	s_trap 2
                                        ; implicit-def: $vgpr26_vgpr27
                                        ; implicit-def: $vgpr24_vgpr25
                                        ; implicit-def: $vgpr32_vgpr33
                                        ; implicit-def: $vgpr6
                                        ; implicit-def: $vgpr4
                                        ; implicit-def: $vgpr2
                                        ; implicit-def: $vgpr14
                                        ; implicit-def: $vgpr10
                                        ; implicit-def: $vgpr18
                                        ; implicit-def: $vgpr16
                                        ; implicit-def: $vgpr0
                                        ; implicit-def: $vgpr20
                                        ; implicit-def: $vgpr8_vgpr9
                                        ; implicit-def: $vgpr12_vgpr13
	s_or_saveexec_b32 s64, s0
                                        ; implicit-def: $vgpr42_vgpr43
                                        ; implicit-def: $sgpr0
	s_delay_alu instid0(SALU_CYCLE_1)
	s_xor_b32 exec_lo, exec_lo, s64
	s_cbranch_execz .LBB127_5760
	s_branch .LBB127_5086
.LBB127_5379:
	s_mov_b32 s0, -1
	s_mov_b32 s7, 0
.LBB127_5380:
                                        ; implicit-def: $vgpr16_vgpr17
.LBB127_5381:
	s_and_b32 vcc_lo, exec_lo, s9
	s_cbranch_vccz .LBB127_5385
; %bb.5382:
	s_cmp_eq_u32 s59, 44
	s_cbranch_scc0 .LBB127_5384
; %bb.5383:
	global_load_u8 v1, v[22:23], off
	s_mov_b32 s0, 0
	s_mov_b32 s7, -1
	s_wait_loadcnt 0x0
	v_lshlrev_b32_e32 v3, 23, v1
	v_cmp_ne_u32_e32 vcc_lo, 0, v1
	s_delay_alu instid0(VALU_DEP_2) | instskip(NEXT) | instid1(VALU_DEP_1)
	v_trunc_f32_e32 v3, v3
	v_mul_f32_e64 v5, 0x2f800000, |v3|
	v_ashrrev_i32_e32 v16, 31, v3
	s_delay_alu instid0(VALU_DEP_2) | instskip(NEXT) | instid1(VALU_DEP_2)
	v_floor_f32_e32 v5, v5
	v_mov_b32_e32 v17, v16
	s_delay_alu instid0(VALU_DEP_2) | instskip(SKIP_1) | instid1(VALU_DEP_2)
	v_fma_f32 v7, 0xcf800000, v5, |v3|
	v_cvt_u32_f32_e32 v3, v5
	v_cvt_u32_f32_e32 v5, v7
	s_delay_alu instid0(VALU_DEP_2) | instskip(NEXT) | instid1(VALU_DEP_2)
	v_xor_b32_e32 v25, v3, v16
	v_xor_b32_e32 v24, v5, v16
	s_delay_alu instid0(VALU_DEP_1) | instskip(NEXT) | instid1(VALU_DEP_1)
	v_sub_nc_u64_e32 v[16:17], v[24:25], v[16:17]
	v_dual_cndmask_b32 v17, 0, v17 :: v_dual_cndmask_b32 v16, 0, v16
	s_branch .LBB127_5385
.LBB127_5384:
	s_mov_b32 s0, -1
                                        ; implicit-def: $vgpr16_vgpr17
.LBB127_5385:
	s_mov_b32 s9, 0
.LBB127_5386:
	s_delay_alu instid0(SALU_CYCLE_1)
	s_and_b32 vcc_lo, exec_lo, s9
	s_cbranch_vccz .LBB127_5390
; %bb.5387:
	s_cmp_eq_u32 s59, 29
	s_cbranch_scc0 .LBB127_5389
; %bb.5388:
	global_load_b64 v[16:17], v[22:23], off
	s_mov_b32 s0, 0
	s_mov_b32 s7, -1
	s_branch .LBB127_5390
.LBB127_5389:
	s_mov_b32 s0, -1
                                        ; implicit-def: $vgpr16_vgpr17
.LBB127_5390:
	s_mov_b32 s9, 0
.LBB127_5391:
	s_delay_alu instid0(SALU_CYCLE_1)
	s_and_b32 vcc_lo, exec_lo, s9
	s_cbranch_vccz .LBB127_5407
; %bb.5392:
	s_cmp_lt_i32 s59, 27
	s_cbranch_scc1 .LBB127_5395
; %bb.5393:
	s_cmp_gt_i32 s59, 27
	s_cbranch_scc0 .LBB127_5396
; %bb.5394:
	s_wait_loadcnt 0x0
	global_load_b32 v16, v[22:23], off
	v_mov_b32_e32 v17, 0
	s_mov_b32 s7, 0
	s_branch .LBB127_5397
.LBB127_5395:
	s_mov_b32 s7, -1
                                        ; implicit-def: $vgpr16_vgpr17
	s_branch .LBB127_5400
.LBB127_5396:
	s_mov_b32 s7, -1
                                        ; implicit-def: $vgpr16_vgpr17
.LBB127_5397:
	s_delay_alu instid0(SALU_CYCLE_1)
	s_and_not1_b32 vcc_lo, exec_lo, s7
	s_cbranch_vccnz .LBB127_5399
; %bb.5398:
	global_load_u16 v1, v[22:23], off
	s_mov_b32 s7, 0
	s_wait_loadcnt 0x1
	v_mov_b32_e32 v17, s7
	s_wait_loadcnt 0x0
	v_and_b32_e32 v16, 0xffff, v1
.LBB127_5399:
	s_mov_b32 s7, 0
.LBB127_5400:
	s_delay_alu instid0(SALU_CYCLE_1)
	s_and_not1_b32 vcc_lo, exec_lo, s7
	s_cbranch_vccnz .LBB127_5406
; %bb.5401:
	global_load_u8 v1, v[22:23], off
	s_mov_b32 s9, 0
	s_mov_b32 s7, exec_lo
	s_wait_loadcnt 0x0
	v_cmpx_lt_i16_e32 0x7f, v1
	s_xor_b32 s7, exec_lo, s7
	s_cbranch_execz .LBB127_5418
; %bb.5402:
	v_cmp_ne_u16_e32 vcc_lo, 0x80, v1
	s_and_b32 s9, vcc_lo, exec_lo
	s_and_not1_saveexec_b32 s7, s7
	s_cbranch_execnz .LBB127_5419
.LBB127_5403:
	s_or_b32 exec_lo, exec_lo, s7
	v_mov_b64_e32 v[16:17], 0
	s_and_saveexec_b32 s7, s9
	s_cbranch_execz .LBB127_5405
.LBB127_5404:
	v_and_b32_e32 v3, 0xffff, v1
	s_delay_alu instid0(VALU_DEP_1) | instskip(SKIP_1) | instid1(VALU_DEP_2)
	v_dual_lshlrev_b32 v1, 24, v1 :: v_dual_bitop2_b32 v5, 7, v3 bitop3:0x40
	v_bfe_u32 v15, v3, 3, 4
	v_and_b32_e32 v1, 0x80000000, v1
	s_delay_alu instid0(VALU_DEP_3) | instskip(NEXT) | instid1(VALU_DEP_3)
	v_clz_i32_u32_e32 v7, v5
	v_cmp_eq_u32_e32 vcc_lo, 0, v15
	s_delay_alu instid0(VALU_DEP_2) | instskip(NEXT) | instid1(VALU_DEP_1)
	v_min_u32_e32 v7, 32, v7
	v_subrev_nc_u32_e32 v11, 28, v7
	v_sub_nc_u32_e32 v7, 29, v7
	s_delay_alu instid0(VALU_DEP_2) | instskip(NEXT) | instid1(VALU_DEP_2)
	v_lshlrev_b32_e32 v3, v11, v3
	v_cndmask_b32_e32 v7, v15, v7, vcc_lo
	s_delay_alu instid0(VALU_DEP_2) | instskip(NEXT) | instid1(VALU_DEP_1)
	v_and_b32_e32 v3, 7, v3
	v_cndmask_b32_e32 v3, v5, v3, vcc_lo
	s_delay_alu instid0(VALU_DEP_3) | instskip(NEXT) | instid1(VALU_DEP_2)
	v_lshl_add_u32 v5, v7, 23, 0x3b800000
	v_lshlrev_b32_e32 v3, 20, v3
	s_delay_alu instid0(VALU_DEP_1) | instskip(NEXT) | instid1(VALU_DEP_1)
	v_or3_b32 v1, v1, v5, v3
	v_trunc_f32_e32 v1, v1
	s_delay_alu instid0(VALU_DEP_1) | instskip(SKIP_1) | instid1(VALU_DEP_2)
	v_mul_f32_e64 v3, 0x2f800000, |v1|
	v_ashrrev_i32_e32 v16, 31, v1
	v_floor_f32_e32 v3, v3
	s_delay_alu instid0(VALU_DEP_2) | instskip(NEXT) | instid1(VALU_DEP_2)
	v_mov_b32_e32 v17, v16
	v_fma_f32 v5, 0xcf800000, v3, |v1|
	v_cvt_u32_f32_e32 v1, v3
	s_delay_alu instid0(VALU_DEP_2) | instskip(NEXT) | instid1(VALU_DEP_2)
	v_cvt_u32_f32_e32 v3, v5
	v_xor_b32_e32 v25, v1, v16
	s_delay_alu instid0(VALU_DEP_2) | instskip(NEXT) | instid1(VALU_DEP_1)
	v_xor_b32_e32 v24, v3, v16
	v_sub_nc_u64_e32 v[16:17], v[24:25], v[16:17]
.LBB127_5405:
	s_or_b32 exec_lo, exec_lo, s7
.LBB127_5406:
	s_mov_b32 s7, -1
.LBB127_5407:
	s_mov_b32 s9, 0
.LBB127_5408:
	s_delay_alu instid0(SALU_CYCLE_1)
	s_and_b32 vcc_lo, exec_lo, s9
	s_cbranch_vccz .LBB127_5439
; %bb.5409:
	s_cmp_gt_i32 s59, 22
	s_cbranch_scc0 .LBB127_5417
; %bb.5410:
	s_cmp_lt_i32 s59, 24
	s_cbranch_scc1 .LBB127_5420
; %bb.5411:
	s_cmp_gt_i32 s59, 24
	s_cbranch_scc0 .LBB127_5421
; %bb.5412:
	global_load_u8 v1, v[22:23], off
	s_mov_b32 s7, 0
	s_mov_b32 s6, exec_lo
	s_wait_loadcnt 0x0
	v_cmpx_lt_i16_e32 0x7f, v1
	s_xor_b32 s6, exec_lo, s6
	s_cbranch_execz .LBB127_5433
; %bb.5413:
	v_cmp_ne_u16_e32 vcc_lo, 0x80, v1
	s_and_b32 s7, vcc_lo, exec_lo
	s_and_not1_saveexec_b32 s6, s6
	s_cbranch_execnz .LBB127_5434
.LBB127_5414:
	s_or_b32 exec_lo, exec_lo, s6
	v_mov_b64_e32 v[16:17], 0
	s_and_saveexec_b32 s6, s7
	s_cbranch_execz .LBB127_5416
.LBB127_5415:
	v_and_b32_e32 v3, 0xffff, v1
	s_delay_alu instid0(VALU_DEP_1) | instskip(SKIP_1) | instid1(VALU_DEP_2)
	v_dual_lshlrev_b32 v1, 24, v1 :: v_dual_bitop2_b32 v5, 3, v3 bitop3:0x40
	v_bfe_u32 v15, v3, 2, 5
	v_and_b32_e32 v1, 0x80000000, v1
	s_delay_alu instid0(VALU_DEP_3) | instskip(NEXT) | instid1(VALU_DEP_3)
	v_clz_i32_u32_e32 v7, v5
	v_cmp_eq_u32_e32 vcc_lo, 0, v15
	s_delay_alu instid0(VALU_DEP_2) | instskip(NEXT) | instid1(VALU_DEP_1)
	v_min_u32_e32 v7, 32, v7
	v_subrev_nc_u32_e32 v11, 29, v7
	v_sub_nc_u32_e32 v7, 30, v7
	s_delay_alu instid0(VALU_DEP_2) | instskip(NEXT) | instid1(VALU_DEP_2)
	v_lshlrev_b32_e32 v3, v11, v3
	v_cndmask_b32_e32 v7, v15, v7, vcc_lo
	s_delay_alu instid0(VALU_DEP_2) | instskip(NEXT) | instid1(VALU_DEP_1)
	v_and_b32_e32 v3, 3, v3
	v_cndmask_b32_e32 v3, v5, v3, vcc_lo
	s_delay_alu instid0(VALU_DEP_3) | instskip(NEXT) | instid1(VALU_DEP_2)
	v_lshl_add_u32 v5, v7, 23, 0x37800000
	v_lshlrev_b32_e32 v3, 21, v3
	s_delay_alu instid0(VALU_DEP_1) | instskip(NEXT) | instid1(VALU_DEP_1)
	v_or3_b32 v1, v1, v5, v3
	v_trunc_f32_e32 v1, v1
	s_delay_alu instid0(VALU_DEP_1) | instskip(SKIP_1) | instid1(VALU_DEP_2)
	v_mul_f32_e64 v3, 0x2f800000, |v1|
	v_ashrrev_i32_e32 v16, 31, v1
	v_floor_f32_e32 v3, v3
	s_delay_alu instid0(VALU_DEP_2) | instskip(NEXT) | instid1(VALU_DEP_2)
	v_mov_b32_e32 v17, v16
	v_fma_f32 v5, 0xcf800000, v3, |v1|
	v_cvt_u32_f32_e32 v1, v3
	s_delay_alu instid0(VALU_DEP_2) | instskip(NEXT) | instid1(VALU_DEP_2)
	v_cvt_u32_f32_e32 v3, v5
	v_xor_b32_e32 v25, v1, v16
	s_delay_alu instid0(VALU_DEP_2) | instskip(NEXT) | instid1(VALU_DEP_1)
	v_xor_b32_e32 v24, v3, v16
	v_sub_nc_u64_e32 v[16:17], v[24:25], v[16:17]
.LBB127_5416:
	s_or_b32 exec_lo, exec_lo, s6
	s_mov_b32 s6, 0
	s_branch .LBB127_5422
.LBB127_5417:
	s_mov_b32 s6, -1
                                        ; implicit-def: $vgpr16_vgpr17
	s_branch .LBB127_5428
.LBB127_5418:
	s_and_not1_saveexec_b32 s7, s7
	s_cbranch_execz .LBB127_5403
.LBB127_5419:
	v_cmp_ne_u16_e32 vcc_lo, 0, v1
	s_and_not1_b32 s9, s9, exec_lo
	s_and_b32 s10, vcc_lo, exec_lo
	s_delay_alu instid0(SALU_CYCLE_1)
	s_or_b32 s9, s9, s10
	s_or_b32 exec_lo, exec_lo, s7
	v_mov_b64_e32 v[16:17], 0
	s_and_saveexec_b32 s7, s9
	s_cbranch_execnz .LBB127_5404
	s_branch .LBB127_5405
.LBB127_5420:
	s_mov_b32 s6, -1
                                        ; implicit-def: $vgpr16_vgpr17
	s_branch .LBB127_5425
.LBB127_5421:
	s_mov_b32 s6, -1
                                        ; implicit-def: $vgpr16_vgpr17
.LBB127_5422:
	s_delay_alu instid0(SALU_CYCLE_1)
	s_and_b32 vcc_lo, exec_lo, s6
	s_cbranch_vccz .LBB127_5424
; %bb.5423:
	global_load_u8 v1, v[22:23], off
	s_wait_loadcnt 0x0
	v_lshlrev_b32_e32 v1, 24, v1
	s_delay_alu instid0(VALU_DEP_1) | instskip(NEXT) | instid1(VALU_DEP_1)
	v_and_b32_e32 v3, 0x7f000000, v1
	v_clz_i32_u32_e32 v5, v3
	v_add_nc_u32_e32 v11, 0x1000000, v3
	v_cmp_ne_u32_e32 vcc_lo, 0, v3
	s_delay_alu instid0(VALU_DEP_3) | instskip(NEXT) | instid1(VALU_DEP_1)
	v_min_u32_e32 v5, 32, v5
	v_sub_nc_u32_e64 v5, v5, 4 clamp
	s_delay_alu instid0(VALU_DEP_1) | instskip(NEXT) | instid1(VALU_DEP_1)
	v_dual_lshlrev_b32 v7, v5, v3 :: v_dual_lshlrev_b32 v5, 23, v5
	v_lshrrev_b32_e32 v7, 4, v7
	s_delay_alu instid0(VALU_DEP_1) | instskip(NEXT) | instid1(VALU_DEP_1)
	v_dual_sub_nc_u32 v5, v7, v5 :: v_dual_ashrrev_i32 v7, 8, v11
	v_add_nc_u32_e32 v5, 0x3c000000, v5
	s_delay_alu instid0(VALU_DEP_1) | instskip(NEXT) | instid1(VALU_DEP_1)
	v_and_or_b32 v5, 0x7f800000, v7, v5
	v_cndmask_b32_e32 v3, 0, v5, vcc_lo
	s_delay_alu instid0(VALU_DEP_1) | instskip(NEXT) | instid1(VALU_DEP_1)
	v_and_or_b32 v1, 0x80000000, v1, v3
	v_trunc_f32_e32 v1, v1
	s_delay_alu instid0(VALU_DEP_1) | instskip(SKIP_1) | instid1(VALU_DEP_2)
	v_mul_f32_e64 v3, 0x2f800000, |v1|
	v_ashrrev_i32_e32 v16, 31, v1
	v_floor_f32_e32 v3, v3
	s_delay_alu instid0(VALU_DEP_2) | instskip(NEXT) | instid1(VALU_DEP_2)
	v_mov_b32_e32 v17, v16
	v_fma_f32 v5, 0xcf800000, v3, |v1|
	v_cvt_u32_f32_e32 v1, v3
	s_delay_alu instid0(VALU_DEP_2) | instskip(NEXT) | instid1(VALU_DEP_2)
	v_cvt_u32_f32_e32 v3, v5
	v_xor_b32_e32 v25, v1, v16
	s_delay_alu instid0(VALU_DEP_2) | instskip(NEXT) | instid1(VALU_DEP_1)
	v_xor_b32_e32 v24, v3, v16
	v_sub_nc_u64_e32 v[16:17], v[24:25], v[16:17]
.LBB127_5424:
	s_mov_b32 s6, 0
.LBB127_5425:
	s_delay_alu instid0(SALU_CYCLE_1)
	s_and_not1_b32 vcc_lo, exec_lo, s6
	s_cbranch_vccnz .LBB127_5427
; %bb.5426:
	global_load_u8 v1, v[22:23], off
	s_wait_loadcnt 0x0
	v_lshlrev_b32_e32 v3, 25, v1
	v_lshlrev_b16 v1, 8, v1
	s_delay_alu instid0(VALU_DEP_1) | instskip(SKIP_1) | instid1(VALU_DEP_2)
	v_and_or_b32 v7, 0x7f00, v1, 0.5
	v_bfe_i32 v1, v1, 0, 16
	v_add_f32_e32 v7, -0.5, v7
	v_lshrrev_b32_e32 v5, 4, v3
	v_cmp_gt_u32_e32 vcc_lo, 0x8000000, v3
	s_delay_alu instid0(VALU_DEP_2) | instskip(NEXT) | instid1(VALU_DEP_1)
	v_or_b32_e32 v5, 0x70000000, v5
	v_mul_f32_e32 v5, 0x7800000, v5
	s_delay_alu instid0(VALU_DEP_1) | instskip(NEXT) | instid1(VALU_DEP_1)
	v_cndmask_b32_e32 v3, v5, v7, vcc_lo
	v_and_or_b32 v1, 0x80000000, v1, v3
	s_delay_alu instid0(VALU_DEP_1) | instskip(NEXT) | instid1(VALU_DEP_1)
	v_trunc_f32_e32 v1, v1
	v_mul_f32_e64 v3, 0x2f800000, |v1|
	v_ashrrev_i32_e32 v16, 31, v1
	s_delay_alu instid0(VALU_DEP_2) | instskip(NEXT) | instid1(VALU_DEP_2)
	v_floor_f32_e32 v3, v3
	v_mov_b32_e32 v17, v16
	s_delay_alu instid0(VALU_DEP_2) | instskip(SKIP_1) | instid1(VALU_DEP_2)
	v_fma_f32 v5, 0xcf800000, v3, |v1|
	v_cvt_u32_f32_e32 v1, v3
	v_cvt_u32_f32_e32 v3, v5
	s_delay_alu instid0(VALU_DEP_2) | instskip(NEXT) | instid1(VALU_DEP_2)
	v_xor_b32_e32 v25, v1, v16
	v_xor_b32_e32 v24, v3, v16
	s_delay_alu instid0(VALU_DEP_1)
	v_sub_nc_u64_e32 v[16:17], v[24:25], v[16:17]
.LBB127_5427:
	s_mov_b32 s6, 0
	s_mov_b32 s7, -1
.LBB127_5428:
	s_and_not1_b32 vcc_lo, exec_lo, s6
	s_mov_b32 s6, 0
	s_cbranch_vccnz .LBB127_5439
; %bb.5429:
	s_cmp_gt_i32 s59, 14
	s_cbranch_scc0 .LBB127_5432
; %bb.5430:
	s_cmp_eq_u32 s59, 15
	s_cbranch_scc0 .LBB127_5435
; %bb.5431:
	global_load_u16 v1, v[22:23], off
	s_mov_b32 s0, 0
	s_mov_b32 s7, -1
	s_wait_loadcnt 0x0
	v_lshlrev_b32_e32 v1, 16, v1
	s_delay_alu instid0(VALU_DEP_1) | instskip(NEXT) | instid1(VALU_DEP_1)
	v_trunc_f32_e32 v1, v1
	v_mul_f32_e64 v3, 0x2f800000, |v1|
	v_ashrrev_i32_e32 v16, 31, v1
	s_delay_alu instid0(VALU_DEP_2) | instskip(NEXT) | instid1(VALU_DEP_2)
	v_floor_f32_e32 v3, v3
	v_mov_b32_e32 v17, v16
	s_delay_alu instid0(VALU_DEP_2) | instskip(SKIP_1) | instid1(VALU_DEP_2)
	v_fma_f32 v5, 0xcf800000, v3, |v1|
	v_cvt_u32_f32_e32 v1, v3
	v_cvt_u32_f32_e32 v3, v5
	s_delay_alu instid0(VALU_DEP_2) | instskip(NEXT) | instid1(VALU_DEP_2)
	v_xor_b32_e32 v25, v1, v16
	v_xor_b32_e32 v24, v3, v16
	s_delay_alu instid0(VALU_DEP_1)
	v_sub_nc_u64_e32 v[16:17], v[24:25], v[16:17]
	s_branch .LBB127_5437
.LBB127_5432:
	s_mov_b32 s6, -1
	s_branch .LBB127_5436
.LBB127_5433:
	s_and_not1_saveexec_b32 s6, s6
	s_cbranch_execz .LBB127_5414
.LBB127_5434:
	v_cmp_ne_u16_e32 vcc_lo, 0, v1
	s_and_not1_b32 s7, s7, exec_lo
	s_and_b32 s9, vcc_lo, exec_lo
	s_delay_alu instid0(SALU_CYCLE_1)
	s_or_b32 s7, s7, s9
	s_or_b32 exec_lo, exec_lo, s6
	v_mov_b64_e32 v[16:17], 0
	s_and_saveexec_b32 s6, s7
	s_cbranch_execnz .LBB127_5415
	s_branch .LBB127_5416
.LBB127_5435:
	s_mov_b32 s0, -1
.LBB127_5436:
                                        ; implicit-def: $vgpr16_vgpr17
.LBB127_5437:
	s_and_b32 vcc_lo, exec_lo, s6
	s_mov_b32 s6, 0
	s_cbranch_vccz .LBB127_5439
; %bb.5438:
	s_cmp_lg_u32 s59, 11
	s_mov_b32 s6, -1
	s_cselect_b32 s0, -1, 0
.LBB127_5439:
	s_delay_alu instid0(SALU_CYCLE_1)
	s_and_b32 vcc_lo, exec_lo, s0
	s_cbranch_vccnz .LBB127_5504
; %bb.5440:
	s_and_not1_b32 vcc_lo, exec_lo, s6
	s_cbranch_vccnz .LBB127_5442
.LBB127_5441:
	global_load_u8 v1, v[22:23], off
	s_mov_b32 s0, 0
	s_mov_b32 s7, -1
	s_wait_loadcnt 0x1
	v_mov_b32_e32 v17, s0
	s_wait_loadcnt 0x0
	v_cmp_ne_u16_e32 vcc_lo, 0, v1
	v_cndmask_b32_e64 v16, 0, 1, vcc_lo
.LBB127_5442:
	s_mov_b32 s0, 0
.LBB127_5443:
	s_delay_alu instid0(SALU_CYCLE_1)
	s_and_b32 vcc_lo, exec_lo, s0
	s_cbranch_vccz .LBB127_5492
; %bb.5444:
	s_cmp_lt_i32 s59, 5
	s_cbranch_scc1 .LBB127_5449
; %bb.5445:
	s_cmp_lt_i32 s59, 8
	s_cbranch_scc1 .LBB127_5450
	;; [unrolled: 3-line block ×3, first 2 shown]
; %bb.5447:
	s_cmp_gt_i32 s59, 9
	s_cbranch_scc0 .LBB127_5452
; %bb.5448:
	s_wait_loadcnt 0x0
	global_load_b64 v[16:17], v[22:23], off
	s_mov_b32 s0, 0
	s_wait_loadcnt 0x0
	v_trunc_f64_e32 v[16:17], v[16:17]
	s_delay_alu instid0(VALU_DEP_1) | instskip(NEXT) | instid1(VALU_DEP_1)
	v_ldexp_f64 v[24:25], v[16:17], 0xffffffe0
	v_floor_f64_e32 v[24:25], v[24:25]
	s_delay_alu instid0(VALU_DEP_1) | instskip(SKIP_1) | instid1(VALU_DEP_2)
	v_fmamk_f64 v[26:27], v[24:25], 0xc1f00000, v[16:17]
	v_cvt_i32_f64_e32 v17, v[24:25]
	v_cvt_u32_f64_e32 v16, v[26:27]
	s_branch .LBB127_5453
.LBB127_5449:
	s_mov_b32 s0, -1
                                        ; implicit-def: $vgpr16_vgpr17
	s_branch .LBB127_5471
.LBB127_5450:
	s_mov_b32 s0, -1
                                        ; implicit-def: $vgpr16_vgpr17
	s_branch .LBB127_5459
.LBB127_5451:
	s_mov_b32 s0, -1
                                        ; implicit-def: $vgpr16_vgpr17
	s_branch .LBB127_5456
.LBB127_5452:
	s_mov_b32 s0, -1
                                        ; implicit-def: $vgpr16_vgpr17
.LBB127_5453:
	s_delay_alu instid0(SALU_CYCLE_1)
	s_and_not1_b32 vcc_lo, exec_lo, s0
	s_cbranch_vccnz .LBB127_5455
; %bb.5454:
	global_load_b32 v1, v[22:23], off
	s_wait_loadcnt 0x0
	v_trunc_f32_e32 v1, v1
	s_delay_alu instid0(VALU_DEP_1) | instskip(SKIP_1) | instid1(VALU_DEP_2)
	v_mul_f32_e64 v3, 0x2f800000, |v1|
	v_ashrrev_i32_e32 v16, 31, v1
	v_floor_f32_e32 v3, v3
	s_delay_alu instid0(VALU_DEP_1) | instskip(SKIP_1) | instid1(VALU_DEP_4)
	v_fma_f32 v5, 0xcf800000, v3, |v1|
	v_cvt_u32_f32_e32 v1, v3
	v_mov_b32_e32 v17, v16
	s_delay_alu instid0(VALU_DEP_3) | instskip(NEXT) | instid1(VALU_DEP_3)
	v_cvt_u32_f32_e32 v3, v5
	v_xor_b32_e32 v25, v1, v16
	s_delay_alu instid0(VALU_DEP_2) | instskip(NEXT) | instid1(VALU_DEP_1)
	v_xor_b32_e32 v24, v3, v16
	v_sub_nc_u64_e32 v[16:17], v[24:25], v[16:17]
.LBB127_5455:
	s_mov_b32 s0, 0
.LBB127_5456:
	s_delay_alu instid0(SALU_CYCLE_1)
	s_and_not1_b32 vcc_lo, exec_lo, s0
	s_cbranch_vccnz .LBB127_5458
; %bb.5457:
	global_load_b32 v1, v[22:23], off
	s_wait_loadcnt 0x0
	v_cvt_f32_f16_e32 v1, v1
	s_delay_alu instid0(VALU_DEP_1) | instskip(NEXT) | instid1(VALU_DEP_1)
	v_cvt_i32_f32_e32 v16, v1
	v_ashrrev_i32_e32 v17, 31, v16
.LBB127_5458:
	s_mov_b32 s0, 0
.LBB127_5459:
	s_delay_alu instid0(SALU_CYCLE_1)
	s_and_not1_b32 vcc_lo, exec_lo, s0
	s_cbranch_vccnz .LBB127_5470
; %bb.5460:
	s_cmp_lt_i32 s59, 6
	s_cbranch_scc1 .LBB127_5463
; %bb.5461:
	s_cmp_gt_i32 s59, 6
	s_cbranch_scc0 .LBB127_5464
; %bb.5462:
	s_wait_loadcnt 0x0
	global_load_b64 v[16:17], v[22:23], off
	s_mov_b32 s0, 0
	s_wait_loadcnt 0x0
	v_trunc_f64_e32 v[16:17], v[16:17]
	s_delay_alu instid0(VALU_DEP_1) | instskip(NEXT) | instid1(VALU_DEP_1)
	v_ldexp_f64 v[24:25], v[16:17], 0xffffffe0
	v_floor_f64_e32 v[24:25], v[24:25]
	s_delay_alu instid0(VALU_DEP_1) | instskip(SKIP_1) | instid1(VALU_DEP_2)
	v_fmamk_f64 v[26:27], v[24:25], 0xc1f00000, v[16:17]
	v_cvt_i32_f64_e32 v17, v[24:25]
	v_cvt_u32_f64_e32 v16, v[26:27]
	s_branch .LBB127_5465
.LBB127_5463:
	s_mov_b32 s0, -1
                                        ; implicit-def: $vgpr16_vgpr17
	s_branch .LBB127_5468
.LBB127_5464:
	s_mov_b32 s0, -1
                                        ; implicit-def: $vgpr16_vgpr17
.LBB127_5465:
	s_delay_alu instid0(SALU_CYCLE_1)
	s_and_not1_b32 vcc_lo, exec_lo, s0
	s_cbranch_vccnz .LBB127_5467
; %bb.5466:
	global_load_b32 v1, v[22:23], off
	s_wait_loadcnt 0x0
	v_trunc_f32_e32 v1, v1
	s_delay_alu instid0(VALU_DEP_1) | instskip(SKIP_1) | instid1(VALU_DEP_2)
	v_mul_f32_e64 v3, 0x2f800000, |v1|
	v_ashrrev_i32_e32 v16, 31, v1
	v_floor_f32_e32 v3, v3
	s_delay_alu instid0(VALU_DEP_1) | instskip(SKIP_1) | instid1(VALU_DEP_4)
	v_fma_f32 v5, 0xcf800000, v3, |v1|
	v_cvt_u32_f32_e32 v1, v3
	v_mov_b32_e32 v17, v16
	s_delay_alu instid0(VALU_DEP_3) | instskip(NEXT) | instid1(VALU_DEP_3)
	v_cvt_u32_f32_e32 v3, v5
	v_xor_b32_e32 v25, v1, v16
	s_delay_alu instid0(VALU_DEP_2) | instskip(NEXT) | instid1(VALU_DEP_1)
	v_xor_b32_e32 v24, v3, v16
	v_sub_nc_u64_e32 v[16:17], v[24:25], v[16:17]
.LBB127_5467:
	s_mov_b32 s0, 0
.LBB127_5468:
	s_delay_alu instid0(SALU_CYCLE_1)
	s_and_not1_b32 vcc_lo, exec_lo, s0
	s_cbranch_vccnz .LBB127_5470
; %bb.5469:
	global_load_u16 v1, v[22:23], off
	s_wait_loadcnt 0x0
	v_cvt_f32_f16_e32 v1, v1
	s_delay_alu instid0(VALU_DEP_1) | instskip(NEXT) | instid1(VALU_DEP_1)
	v_cvt_i32_f32_e32 v16, v1
	v_ashrrev_i32_e32 v17, 31, v16
.LBB127_5470:
	s_mov_b32 s0, 0
.LBB127_5471:
	s_delay_alu instid0(SALU_CYCLE_1)
	s_and_not1_b32 vcc_lo, exec_lo, s0
	s_cbranch_vccnz .LBB127_5491
; %bb.5472:
	s_cmp_lt_i32 s59, 2
	s_cbranch_scc1 .LBB127_5476
; %bb.5473:
	s_cmp_lt_i32 s59, 3
	s_cbranch_scc1 .LBB127_5477
; %bb.5474:
	s_cmp_gt_i32 s59, 3
	s_cbranch_scc0 .LBB127_5478
; %bb.5475:
	s_wait_loadcnt 0x0
	global_load_b64 v[16:17], v[22:23], off
	s_mov_b32 s0, 0
	s_branch .LBB127_5479
.LBB127_5476:
	s_mov_b32 s0, -1
                                        ; implicit-def: $vgpr16_vgpr17
	s_branch .LBB127_5485
.LBB127_5477:
	s_mov_b32 s0, -1
                                        ; implicit-def: $vgpr16_vgpr17
	s_branch .LBB127_5482
.LBB127_5478:
	s_mov_b32 s0, -1
                                        ; implicit-def: $vgpr16_vgpr17
.LBB127_5479:
	s_delay_alu instid0(SALU_CYCLE_1)
	s_and_not1_b32 vcc_lo, exec_lo, s0
	s_cbranch_vccnz .LBB127_5481
; %bb.5480:
	s_wait_loadcnt 0x0
	global_load_b32 v16, v[22:23], off
	s_wait_loadcnt 0x0
	v_ashrrev_i32_e32 v17, 31, v16
.LBB127_5481:
	s_mov_b32 s0, 0
.LBB127_5482:
	s_delay_alu instid0(SALU_CYCLE_1)
	s_and_not1_b32 vcc_lo, exec_lo, s0
	s_cbranch_vccnz .LBB127_5484
; %bb.5483:
	global_load_u16 v1, v[22:23], off
	s_wait_loadcnt 0x0
	v_bfe_i32 v16, v1, 0, 16
	s_delay_alu instid0(VALU_DEP_1)
	v_ashrrev_i32_e32 v17, 31, v16
.LBB127_5484:
	s_mov_b32 s0, 0
.LBB127_5485:
	s_delay_alu instid0(SALU_CYCLE_1)
	s_and_not1_b32 vcc_lo, exec_lo, s0
	s_cbranch_vccnz .LBB127_5491
; %bb.5486:
	s_cmp_gt_i32 s59, 0
	s_mov_b32 s0, 0
	s_cbranch_scc0 .LBB127_5488
; %bb.5487:
	global_load_i8 v1, v[22:23], off
	s_wait_loadcnt 0x0
	v_bfe_i32 v16, v1, 0, 16
	s_delay_alu instid0(VALU_DEP_1)
	v_ashrrev_i32_e32 v17, 31, v16
	s_branch .LBB127_5489
.LBB127_5488:
	s_mov_b32 s0, -1
                                        ; implicit-def: $vgpr16_vgpr17
.LBB127_5489:
	s_delay_alu instid0(SALU_CYCLE_1)
	s_and_not1_b32 vcc_lo, exec_lo, s0
	s_cbranch_vccnz .LBB127_5491
; %bb.5490:
	global_load_u8 v1, v[22:23], off
	s_mov_b32 s0, 0
	s_wait_loadcnt 0x1
	v_mov_b32_e32 v17, s0
	s_wait_loadcnt 0x0
	v_and_b32_e32 v16, 0xffff, v1
.LBB127_5491:
	s_mov_b32 s7, -1
.LBB127_5492:
	s_delay_alu instid0(SALU_CYCLE_1)
	s_and_not1_b32 vcc_lo, exec_lo, s7
	s_cbranch_vccnz .LBB127_5756
; %bb.5493:
	v_mov_b32_e32 v15, 0
	s_cmp_lt_i32 s60, 11
	s_wait_xcnt 0x0
	s_delay_alu instid0(VALU_DEP_1)
	v_add_nc_u64_e32 v[22:23], s[14:15], v[14:15]
	s_cbranch_scc1 .LBB127_5500
; %bb.5494:
	s_cmp_gt_i32 s60, 25
	s_mov_b32 s6, 0
	s_cbranch_scc0 .LBB127_5501
; %bb.5495:
	s_cmp_gt_i32 s60, 28
	s_cbranch_scc0 .LBB127_5502
; %bb.5496:
	s_cmp_gt_i32 s60, 43
	;; [unrolled: 3-line block ×3, first 2 shown]
	s_cbranch_scc0 .LBB127_5505
; %bb.5498:
	s_cmp_eq_u32 s60, 46
	s_mov_b32 s9, 0
	s_cbranch_scc0 .LBB127_5507
; %bb.5499:
	global_load_b32 v1, v[22:23], off
	s_mov_b32 s0, 0
	s_mov_b32 s7, -1
	s_wait_loadcnt 0x0
	v_lshlrev_b32_e32 v1, 16, v1
	s_delay_alu instid0(VALU_DEP_1) | instskip(NEXT) | instid1(VALU_DEP_1)
	v_trunc_f32_e32 v1, v1
	v_mul_f32_e64 v3, 0x2f800000, |v1|
	v_ashrrev_i32_e32 v14, 31, v1
	s_delay_alu instid0(VALU_DEP_2) | instskip(NEXT) | instid1(VALU_DEP_2)
	v_floor_f32_e32 v3, v3
	v_mov_b32_e32 v15, v14
	s_delay_alu instid0(VALU_DEP_2) | instskip(SKIP_1) | instid1(VALU_DEP_2)
	v_fma_f32 v5, 0xcf800000, v3, |v1|
	v_cvt_u32_f32_e32 v1, v3
	v_cvt_u32_f32_e32 v3, v5
	s_delay_alu instid0(VALU_DEP_2) | instskip(NEXT) | instid1(VALU_DEP_2)
	v_xor_b32_e32 v25, v1, v14
	v_xor_b32_e32 v24, v3, v14
	s_delay_alu instid0(VALU_DEP_1)
	v_sub_nc_u64_e32 v[14:15], v[24:25], v[14:15]
	s_branch .LBB127_5509
.LBB127_5500:
	s_mov_b32 s0, -1
	s_mov_b32 s7, 0
                                        ; implicit-def: $vgpr14_vgpr15
	s_branch .LBB127_5571
.LBB127_5501:
	s_mov_b32 s9, -1
	s_mov_b32 s7, 0
	s_mov_b32 s0, 0
                                        ; implicit-def: $vgpr14_vgpr15
	s_branch .LBB127_5536
.LBB127_5502:
	s_mov_b32 s9, -1
	s_mov_b32 s7, 0
	s_mov_b32 s0, 0
                                        ; implicit-def: $vgpr14_vgpr15
	s_branch .LBB127_5519
.LBB127_5503:
	s_mov_b32 s9, -1
	s_mov_b32 s7, 0
	s_mov_b32 s0, 0
                                        ; implicit-def: $vgpr14_vgpr15
	s_branch .LBB127_5514
.LBB127_5504:
	s_or_b32 s23, s23, exec_lo
	s_trap 2
	s_cbranch_execz .LBB127_5441
	s_branch .LBB127_5442
.LBB127_5505:
	s_mov_b32 s9, -1
	s_mov_b32 s7, 0
	s_mov_b32 s0, 0
	s_branch .LBB127_5508
.LBB127_5506:
	s_or_b32 s65, s63, exec_lo
	s_trap 2
                                        ; implicit-def: $vgpr26_vgpr27
                                        ; implicit-def: $vgpr24_vgpr25
                                        ; implicit-def: $vgpr32_vgpr33
                                        ; implicit-def: $vgpr6
                                        ; implicit-def: $vgpr4
                                        ; implicit-def: $vgpr2
                                        ; implicit-def: $vgpr14
                                        ; implicit-def: $vgpr10
                                        ; implicit-def: $vgpr18
                                        ; implicit-def: $vgpr16
                                        ; implicit-def: $vgpr0
                                        ; implicit-def: $vgpr20
                                        ; implicit-def: $vgpr8_vgpr9
                                        ; implicit-def: $vgpr12_vgpr13
	s_branch .LBB127_5087
.LBB127_5507:
	s_mov_b32 s0, -1
	s_mov_b32 s7, 0
.LBB127_5508:
                                        ; implicit-def: $vgpr14_vgpr15
.LBB127_5509:
	s_and_b32 vcc_lo, exec_lo, s9
	s_cbranch_vccz .LBB127_5513
; %bb.5510:
	s_cmp_eq_u32 s60, 44
	s_cbranch_scc0 .LBB127_5512
; %bb.5511:
	global_load_u8 v1, v[22:23], off
	s_mov_b32 s0, 0
	s_mov_b32 s7, -1
	s_wait_loadcnt 0x0
	v_lshlrev_b32_e32 v3, 23, v1
	v_cmp_ne_u32_e32 vcc_lo, 0, v1
	s_delay_alu instid0(VALU_DEP_2) | instskip(NEXT) | instid1(VALU_DEP_1)
	v_trunc_f32_e32 v3, v3
	v_mul_f32_e64 v5, 0x2f800000, |v3|
	v_ashrrev_i32_e32 v14, 31, v3
	s_delay_alu instid0(VALU_DEP_2) | instskip(NEXT) | instid1(VALU_DEP_2)
	v_floor_f32_e32 v5, v5
	v_mov_b32_e32 v15, v14
	s_delay_alu instid0(VALU_DEP_2) | instskip(SKIP_1) | instid1(VALU_DEP_2)
	v_fma_f32 v7, 0xcf800000, v5, |v3|
	v_cvt_u32_f32_e32 v3, v5
	v_cvt_u32_f32_e32 v5, v7
	s_delay_alu instid0(VALU_DEP_2) | instskip(NEXT) | instid1(VALU_DEP_2)
	v_xor_b32_e32 v25, v3, v14
	v_xor_b32_e32 v24, v5, v14
	s_delay_alu instid0(VALU_DEP_1) | instskip(NEXT) | instid1(VALU_DEP_1)
	v_sub_nc_u64_e32 v[14:15], v[24:25], v[14:15]
	v_dual_cndmask_b32 v15, 0, v15 :: v_dual_cndmask_b32 v14, 0, v14
	s_branch .LBB127_5513
.LBB127_5512:
	s_mov_b32 s0, -1
                                        ; implicit-def: $vgpr14_vgpr15
.LBB127_5513:
	s_mov_b32 s9, 0
.LBB127_5514:
	s_delay_alu instid0(SALU_CYCLE_1)
	s_and_b32 vcc_lo, exec_lo, s9
	s_cbranch_vccz .LBB127_5518
; %bb.5515:
	s_cmp_eq_u32 s60, 29
	s_cbranch_scc0 .LBB127_5517
; %bb.5516:
	global_load_b64 v[14:15], v[22:23], off
	s_mov_b32 s0, 0
	s_mov_b32 s7, -1
	s_branch .LBB127_5518
.LBB127_5517:
	s_mov_b32 s0, -1
                                        ; implicit-def: $vgpr14_vgpr15
.LBB127_5518:
	s_mov_b32 s9, 0
.LBB127_5519:
	s_delay_alu instid0(SALU_CYCLE_1)
	s_and_b32 vcc_lo, exec_lo, s9
	s_cbranch_vccz .LBB127_5535
; %bb.5520:
	s_cmp_lt_i32 s60, 27
	s_cbranch_scc1 .LBB127_5523
; %bb.5521:
	s_cmp_gt_i32 s60, 27
	s_cbranch_scc0 .LBB127_5524
; %bb.5522:
	s_wait_loadcnt 0x0
	global_load_b32 v14, v[22:23], off
	v_mov_b32_e32 v15, 0
	s_mov_b32 s7, 0
	s_branch .LBB127_5525
.LBB127_5523:
	s_mov_b32 s7, -1
                                        ; implicit-def: $vgpr14_vgpr15
	s_branch .LBB127_5528
.LBB127_5524:
	s_mov_b32 s7, -1
                                        ; implicit-def: $vgpr14_vgpr15
.LBB127_5525:
	s_delay_alu instid0(SALU_CYCLE_1)
	s_and_not1_b32 vcc_lo, exec_lo, s7
	s_cbranch_vccnz .LBB127_5527
; %bb.5526:
	global_load_u16 v1, v[22:23], off
	s_mov_b32 s7, 0
	s_wait_loadcnt 0x1
	v_mov_b32_e32 v15, s7
	s_wait_loadcnt 0x0
	v_and_b32_e32 v14, 0xffff, v1
.LBB127_5527:
	s_mov_b32 s7, 0
.LBB127_5528:
	s_delay_alu instid0(SALU_CYCLE_1)
	s_and_not1_b32 vcc_lo, exec_lo, s7
	s_cbranch_vccnz .LBB127_5534
; %bb.5529:
	global_load_u8 v1, v[22:23], off
	s_mov_b32 s9, 0
	s_mov_b32 s7, exec_lo
	s_wait_loadcnt 0x0
	v_cmpx_lt_i16_e32 0x7f, v1
	s_xor_b32 s7, exec_lo, s7
	s_cbranch_execz .LBB127_5546
; %bb.5530:
	v_cmp_ne_u16_e32 vcc_lo, 0x80, v1
	s_and_b32 s9, vcc_lo, exec_lo
	s_and_not1_saveexec_b32 s7, s7
	s_cbranch_execnz .LBB127_5547
.LBB127_5531:
	s_or_b32 exec_lo, exec_lo, s7
	v_mov_b64_e32 v[14:15], 0
	s_and_saveexec_b32 s7, s9
	s_cbranch_execz .LBB127_5533
.LBB127_5532:
	v_and_b32_e32 v3, 0xffff, v1
	s_delay_alu instid0(VALU_DEP_1) | instskip(SKIP_1) | instid1(VALU_DEP_2)
	v_dual_lshlrev_b32 v1, 24, v1 :: v_dual_bitop2_b32 v5, 7, v3 bitop3:0x40
	v_bfe_u32 v14, v3, 3, 4
	v_and_b32_e32 v1, 0x80000000, v1
	s_delay_alu instid0(VALU_DEP_3) | instskip(NEXT) | instid1(VALU_DEP_3)
	v_clz_i32_u32_e32 v7, v5
	v_cmp_eq_u32_e32 vcc_lo, 0, v14
	s_delay_alu instid0(VALU_DEP_2) | instskip(NEXT) | instid1(VALU_DEP_1)
	v_min_u32_e32 v7, 32, v7
	v_subrev_nc_u32_e32 v11, 28, v7
	v_sub_nc_u32_e32 v7, 29, v7
	s_delay_alu instid0(VALU_DEP_2) | instskip(NEXT) | instid1(VALU_DEP_2)
	v_lshlrev_b32_e32 v3, v11, v3
	v_cndmask_b32_e32 v7, v14, v7, vcc_lo
	s_delay_alu instid0(VALU_DEP_2) | instskip(NEXT) | instid1(VALU_DEP_1)
	v_and_b32_e32 v3, 7, v3
	v_cndmask_b32_e32 v3, v5, v3, vcc_lo
	s_delay_alu instid0(VALU_DEP_3) | instskip(NEXT) | instid1(VALU_DEP_2)
	v_lshl_add_u32 v5, v7, 23, 0x3b800000
	v_lshlrev_b32_e32 v3, 20, v3
	s_delay_alu instid0(VALU_DEP_1) | instskip(NEXT) | instid1(VALU_DEP_1)
	v_or3_b32 v1, v1, v5, v3
	v_trunc_f32_e32 v1, v1
	s_delay_alu instid0(VALU_DEP_1) | instskip(SKIP_1) | instid1(VALU_DEP_2)
	v_mul_f32_e64 v3, 0x2f800000, |v1|
	v_ashrrev_i32_e32 v14, 31, v1
	v_floor_f32_e32 v3, v3
	s_delay_alu instid0(VALU_DEP_2) | instskip(NEXT) | instid1(VALU_DEP_2)
	v_mov_b32_e32 v15, v14
	v_fma_f32 v5, 0xcf800000, v3, |v1|
	v_cvt_u32_f32_e32 v1, v3
	s_delay_alu instid0(VALU_DEP_2) | instskip(NEXT) | instid1(VALU_DEP_2)
	v_cvt_u32_f32_e32 v3, v5
	v_xor_b32_e32 v25, v1, v14
	s_delay_alu instid0(VALU_DEP_2) | instskip(NEXT) | instid1(VALU_DEP_1)
	v_xor_b32_e32 v24, v3, v14
	v_sub_nc_u64_e32 v[14:15], v[24:25], v[14:15]
.LBB127_5533:
	s_or_b32 exec_lo, exec_lo, s7
.LBB127_5534:
	s_mov_b32 s7, -1
.LBB127_5535:
	s_mov_b32 s9, 0
.LBB127_5536:
	s_delay_alu instid0(SALU_CYCLE_1)
	s_and_b32 vcc_lo, exec_lo, s9
	s_cbranch_vccz .LBB127_5567
; %bb.5537:
	s_cmp_gt_i32 s60, 22
	s_cbranch_scc0 .LBB127_5545
; %bb.5538:
	s_cmp_lt_i32 s60, 24
	s_cbranch_scc1 .LBB127_5548
; %bb.5539:
	s_cmp_gt_i32 s60, 24
	s_cbranch_scc0 .LBB127_5549
; %bb.5540:
	global_load_u8 v1, v[22:23], off
	s_mov_b32 s7, 0
	s_mov_b32 s6, exec_lo
	s_wait_loadcnt 0x0
	v_cmpx_lt_i16_e32 0x7f, v1
	s_xor_b32 s6, exec_lo, s6
	s_cbranch_execz .LBB127_5561
; %bb.5541:
	v_cmp_ne_u16_e32 vcc_lo, 0x80, v1
	s_and_b32 s7, vcc_lo, exec_lo
	s_and_not1_saveexec_b32 s6, s6
	s_cbranch_execnz .LBB127_5562
.LBB127_5542:
	s_or_b32 exec_lo, exec_lo, s6
	v_mov_b64_e32 v[14:15], 0
	s_and_saveexec_b32 s6, s7
	s_cbranch_execz .LBB127_5544
.LBB127_5543:
	v_and_b32_e32 v3, 0xffff, v1
	s_delay_alu instid0(VALU_DEP_1) | instskip(SKIP_1) | instid1(VALU_DEP_2)
	v_dual_lshlrev_b32 v1, 24, v1 :: v_dual_bitop2_b32 v5, 3, v3 bitop3:0x40
	v_bfe_u32 v14, v3, 2, 5
	v_and_b32_e32 v1, 0x80000000, v1
	s_delay_alu instid0(VALU_DEP_3) | instskip(NEXT) | instid1(VALU_DEP_3)
	v_clz_i32_u32_e32 v7, v5
	v_cmp_eq_u32_e32 vcc_lo, 0, v14
	s_delay_alu instid0(VALU_DEP_2) | instskip(NEXT) | instid1(VALU_DEP_1)
	v_min_u32_e32 v7, 32, v7
	v_subrev_nc_u32_e32 v11, 29, v7
	v_sub_nc_u32_e32 v7, 30, v7
	s_delay_alu instid0(VALU_DEP_2) | instskip(NEXT) | instid1(VALU_DEP_2)
	v_lshlrev_b32_e32 v3, v11, v3
	v_cndmask_b32_e32 v7, v14, v7, vcc_lo
	s_delay_alu instid0(VALU_DEP_2) | instskip(NEXT) | instid1(VALU_DEP_1)
	v_and_b32_e32 v3, 3, v3
	v_cndmask_b32_e32 v3, v5, v3, vcc_lo
	s_delay_alu instid0(VALU_DEP_3) | instskip(NEXT) | instid1(VALU_DEP_2)
	v_lshl_add_u32 v5, v7, 23, 0x37800000
	v_lshlrev_b32_e32 v3, 21, v3
	s_delay_alu instid0(VALU_DEP_1) | instskip(NEXT) | instid1(VALU_DEP_1)
	v_or3_b32 v1, v1, v5, v3
	v_trunc_f32_e32 v1, v1
	s_delay_alu instid0(VALU_DEP_1) | instskip(SKIP_1) | instid1(VALU_DEP_2)
	v_mul_f32_e64 v3, 0x2f800000, |v1|
	v_ashrrev_i32_e32 v14, 31, v1
	v_floor_f32_e32 v3, v3
	s_delay_alu instid0(VALU_DEP_2) | instskip(NEXT) | instid1(VALU_DEP_2)
	v_mov_b32_e32 v15, v14
	v_fma_f32 v5, 0xcf800000, v3, |v1|
	v_cvt_u32_f32_e32 v1, v3
	s_delay_alu instid0(VALU_DEP_2) | instskip(NEXT) | instid1(VALU_DEP_2)
	v_cvt_u32_f32_e32 v3, v5
	v_xor_b32_e32 v25, v1, v14
	s_delay_alu instid0(VALU_DEP_2) | instskip(NEXT) | instid1(VALU_DEP_1)
	v_xor_b32_e32 v24, v3, v14
	v_sub_nc_u64_e32 v[14:15], v[24:25], v[14:15]
.LBB127_5544:
	s_or_b32 exec_lo, exec_lo, s6
	s_mov_b32 s6, 0
	s_branch .LBB127_5550
.LBB127_5545:
	s_mov_b32 s6, -1
                                        ; implicit-def: $vgpr14_vgpr15
	s_branch .LBB127_5556
.LBB127_5546:
	s_and_not1_saveexec_b32 s7, s7
	s_cbranch_execz .LBB127_5531
.LBB127_5547:
	v_cmp_ne_u16_e32 vcc_lo, 0, v1
	s_and_not1_b32 s9, s9, exec_lo
	s_and_b32 s10, vcc_lo, exec_lo
	s_delay_alu instid0(SALU_CYCLE_1)
	s_or_b32 s9, s9, s10
	s_or_b32 exec_lo, exec_lo, s7
	v_mov_b64_e32 v[14:15], 0
	s_and_saveexec_b32 s7, s9
	s_cbranch_execnz .LBB127_5532
	s_branch .LBB127_5533
.LBB127_5548:
	s_mov_b32 s6, -1
                                        ; implicit-def: $vgpr14_vgpr15
	s_branch .LBB127_5553
.LBB127_5549:
	s_mov_b32 s6, -1
                                        ; implicit-def: $vgpr14_vgpr15
.LBB127_5550:
	s_delay_alu instid0(SALU_CYCLE_1)
	s_and_b32 vcc_lo, exec_lo, s6
	s_cbranch_vccz .LBB127_5552
; %bb.5551:
	global_load_u8 v1, v[22:23], off
	s_wait_loadcnt 0x0
	v_lshlrev_b32_e32 v1, 24, v1
	s_delay_alu instid0(VALU_DEP_1) | instskip(NEXT) | instid1(VALU_DEP_1)
	v_and_b32_e32 v3, 0x7f000000, v1
	v_clz_i32_u32_e32 v5, v3
	v_add_nc_u32_e32 v11, 0x1000000, v3
	v_cmp_ne_u32_e32 vcc_lo, 0, v3
	s_delay_alu instid0(VALU_DEP_3) | instskip(NEXT) | instid1(VALU_DEP_1)
	v_min_u32_e32 v5, 32, v5
	v_sub_nc_u32_e64 v5, v5, 4 clamp
	s_delay_alu instid0(VALU_DEP_1) | instskip(NEXT) | instid1(VALU_DEP_1)
	v_dual_lshlrev_b32 v7, v5, v3 :: v_dual_lshlrev_b32 v5, 23, v5
	v_lshrrev_b32_e32 v7, 4, v7
	s_delay_alu instid0(VALU_DEP_1) | instskip(NEXT) | instid1(VALU_DEP_1)
	v_dual_sub_nc_u32 v5, v7, v5 :: v_dual_ashrrev_i32 v7, 8, v11
	v_add_nc_u32_e32 v5, 0x3c000000, v5
	s_delay_alu instid0(VALU_DEP_1) | instskip(NEXT) | instid1(VALU_DEP_1)
	v_and_or_b32 v5, 0x7f800000, v7, v5
	v_cndmask_b32_e32 v3, 0, v5, vcc_lo
	s_delay_alu instid0(VALU_DEP_1) | instskip(NEXT) | instid1(VALU_DEP_1)
	v_and_or_b32 v1, 0x80000000, v1, v3
	v_trunc_f32_e32 v1, v1
	s_delay_alu instid0(VALU_DEP_1) | instskip(SKIP_1) | instid1(VALU_DEP_2)
	v_mul_f32_e64 v3, 0x2f800000, |v1|
	v_ashrrev_i32_e32 v14, 31, v1
	v_floor_f32_e32 v3, v3
	s_delay_alu instid0(VALU_DEP_2) | instskip(NEXT) | instid1(VALU_DEP_2)
	v_mov_b32_e32 v15, v14
	v_fma_f32 v5, 0xcf800000, v3, |v1|
	v_cvt_u32_f32_e32 v1, v3
	s_delay_alu instid0(VALU_DEP_2) | instskip(NEXT) | instid1(VALU_DEP_2)
	v_cvt_u32_f32_e32 v3, v5
	v_xor_b32_e32 v25, v1, v14
	s_delay_alu instid0(VALU_DEP_2) | instskip(NEXT) | instid1(VALU_DEP_1)
	v_xor_b32_e32 v24, v3, v14
	v_sub_nc_u64_e32 v[14:15], v[24:25], v[14:15]
.LBB127_5552:
	s_mov_b32 s6, 0
.LBB127_5553:
	s_delay_alu instid0(SALU_CYCLE_1)
	s_and_not1_b32 vcc_lo, exec_lo, s6
	s_cbranch_vccnz .LBB127_5555
; %bb.5554:
	global_load_u8 v1, v[22:23], off
	s_wait_loadcnt 0x0
	v_lshlrev_b32_e32 v3, 25, v1
	v_lshlrev_b16 v1, 8, v1
	s_delay_alu instid0(VALU_DEP_1) | instskip(SKIP_1) | instid1(VALU_DEP_2)
	v_and_or_b32 v7, 0x7f00, v1, 0.5
	v_bfe_i32 v1, v1, 0, 16
	v_add_f32_e32 v7, -0.5, v7
	v_lshrrev_b32_e32 v5, 4, v3
	v_cmp_gt_u32_e32 vcc_lo, 0x8000000, v3
	s_delay_alu instid0(VALU_DEP_2) | instskip(NEXT) | instid1(VALU_DEP_1)
	v_or_b32_e32 v5, 0x70000000, v5
	v_mul_f32_e32 v5, 0x7800000, v5
	s_delay_alu instid0(VALU_DEP_1) | instskip(NEXT) | instid1(VALU_DEP_1)
	v_cndmask_b32_e32 v3, v5, v7, vcc_lo
	v_and_or_b32 v1, 0x80000000, v1, v3
	s_delay_alu instid0(VALU_DEP_1) | instskip(NEXT) | instid1(VALU_DEP_1)
	v_trunc_f32_e32 v1, v1
	v_mul_f32_e64 v3, 0x2f800000, |v1|
	v_ashrrev_i32_e32 v14, 31, v1
	s_delay_alu instid0(VALU_DEP_2) | instskip(NEXT) | instid1(VALU_DEP_2)
	v_floor_f32_e32 v3, v3
	v_mov_b32_e32 v15, v14
	s_delay_alu instid0(VALU_DEP_2) | instskip(SKIP_1) | instid1(VALU_DEP_2)
	v_fma_f32 v5, 0xcf800000, v3, |v1|
	v_cvt_u32_f32_e32 v1, v3
	v_cvt_u32_f32_e32 v3, v5
	s_delay_alu instid0(VALU_DEP_2) | instskip(NEXT) | instid1(VALU_DEP_2)
	v_xor_b32_e32 v25, v1, v14
	v_xor_b32_e32 v24, v3, v14
	s_delay_alu instid0(VALU_DEP_1)
	v_sub_nc_u64_e32 v[14:15], v[24:25], v[14:15]
.LBB127_5555:
	s_mov_b32 s6, 0
	s_mov_b32 s7, -1
.LBB127_5556:
	s_and_not1_b32 vcc_lo, exec_lo, s6
	s_mov_b32 s6, 0
	s_cbranch_vccnz .LBB127_5567
; %bb.5557:
	s_cmp_gt_i32 s60, 14
	s_cbranch_scc0 .LBB127_5560
; %bb.5558:
	s_cmp_eq_u32 s60, 15
	s_cbranch_scc0 .LBB127_5563
; %bb.5559:
	global_load_u16 v1, v[22:23], off
	s_mov_b32 s0, 0
	s_mov_b32 s7, -1
	s_wait_loadcnt 0x0
	v_lshlrev_b32_e32 v1, 16, v1
	s_delay_alu instid0(VALU_DEP_1) | instskip(NEXT) | instid1(VALU_DEP_1)
	v_trunc_f32_e32 v1, v1
	v_mul_f32_e64 v3, 0x2f800000, |v1|
	v_ashrrev_i32_e32 v14, 31, v1
	s_delay_alu instid0(VALU_DEP_2) | instskip(NEXT) | instid1(VALU_DEP_2)
	v_floor_f32_e32 v3, v3
	v_mov_b32_e32 v15, v14
	s_delay_alu instid0(VALU_DEP_2) | instskip(SKIP_1) | instid1(VALU_DEP_2)
	v_fma_f32 v5, 0xcf800000, v3, |v1|
	v_cvt_u32_f32_e32 v1, v3
	v_cvt_u32_f32_e32 v3, v5
	s_delay_alu instid0(VALU_DEP_2) | instskip(NEXT) | instid1(VALU_DEP_2)
	v_xor_b32_e32 v25, v1, v14
	v_xor_b32_e32 v24, v3, v14
	s_delay_alu instid0(VALU_DEP_1)
	v_sub_nc_u64_e32 v[14:15], v[24:25], v[14:15]
	s_branch .LBB127_5565
.LBB127_5560:
	s_mov_b32 s6, -1
	s_branch .LBB127_5564
.LBB127_5561:
	s_and_not1_saveexec_b32 s6, s6
	s_cbranch_execz .LBB127_5542
.LBB127_5562:
	v_cmp_ne_u16_e32 vcc_lo, 0, v1
	s_and_not1_b32 s7, s7, exec_lo
	s_and_b32 s9, vcc_lo, exec_lo
	s_delay_alu instid0(SALU_CYCLE_1)
	s_or_b32 s7, s7, s9
	s_or_b32 exec_lo, exec_lo, s6
	v_mov_b64_e32 v[14:15], 0
	s_and_saveexec_b32 s6, s7
	s_cbranch_execnz .LBB127_5543
	s_branch .LBB127_5544
.LBB127_5563:
	s_mov_b32 s0, -1
.LBB127_5564:
                                        ; implicit-def: $vgpr14_vgpr15
.LBB127_5565:
	s_and_b32 vcc_lo, exec_lo, s6
	s_mov_b32 s6, 0
	s_cbranch_vccz .LBB127_5567
; %bb.5566:
	s_cmp_lg_u32 s60, 11
	s_mov_b32 s6, -1
	s_cselect_b32 s0, -1, 0
.LBB127_5567:
	s_delay_alu instid0(SALU_CYCLE_1)
	s_and_b32 vcc_lo, exec_lo, s0
	s_cbranch_vccnz .LBB127_5632
; %bb.5568:
	s_and_not1_b32 vcc_lo, exec_lo, s6
	s_cbranch_vccnz .LBB127_5570
.LBB127_5569:
	global_load_u8 v1, v[22:23], off
	s_mov_b32 s0, 0
	s_mov_b32 s7, -1
	s_wait_loadcnt 0x1
	v_mov_b32_e32 v15, s0
	s_wait_loadcnt 0x0
	v_cmp_ne_u16_e32 vcc_lo, 0, v1
	v_cndmask_b32_e64 v14, 0, 1, vcc_lo
.LBB127_5570:
	s_mov_b32 s0, 0
.LBB127_5571:
	s_delay_alu instid0(SALU_CYCLE_1)
	s_and_b32 vcc_lo, exec_lo, s0
	s_cbranch_vccz .LBB127_5620
; %bb.5572:
	s_cmp_lt_i32 s60, 5
	s_cbranch_scc1 .LBB127_5577
; %bb.5573:
	s_cmp_lt_i32 s60, 8
	s_cbranch_scc1 .LBB127_5578
	;; [unrolled: 3-line block ×3, first 2 shown]
; %bb.5575:
	s_cmp_gt_i32 s60, 9
	s_cbranch_scc0 .LBB127_5580
; %bb.5576:
	s_wait_loadcnt 0x0
	global_load_b64 v[14:15], v[22:23], off
	s_mov_b32 s0, 0
	s_wait_loadcnt 0x0
	v_trunc_f64_e32 v[14:15], v[14:15]
	s_delay_alu instid0(VALU_DEP_1) | instskip(NEXT) | instid1(VALU_DEP_1)
	v_ldexp_f64 v[24:25], v[14:15], 0xffffffe0
	v_floor_f64_e32 v[24:25], v[24:25]
	s_delay_alu instid0(VALU_DEP_1) | instskip(SKIP_1) | instid1(VALU_DEP_2)
	v_fmamk_f64 v[26:27], v[24:25], 0xc1f00000, v[14:15]
	v_cvt_i32_f64_e32 v15, v[24:25]
	v_cvt_u32_f64_e32 v14, v[26:27]
	s_branch .LBB127_5581
.LBB127_5577:
	s_mov_b32 s0, -1
                                        ; implicit-def: $vgpr14_vgpr15
	s_branch .LBB127_5599
.LBB127_5578:
	s_mov_b32 s0, -1
                                        ; implicit-def: $vgpr14_vgpr15
	s_branch .LBB127_5587
.LBB127_5579:
	s_mov_b32 s0, -1
                                        ; implicit-def: $vgpr14_vgpr15
	s_branch .LBB127_5584
.LBB127_5580:
	s_mov_b32 s0, -1
                                        ; implicit-def: $vgpr14_vgpr15
.LBB127_5581:
	s_delay_alu instid0(SALU_CYCLE_1)
	s_and_not1_b32 vcc_lo, exec_lo, s0
	s_cbranch_vccnz .LBB127_5583
; %bb.5582:
	global_load_b32 v1, v[22:23], off
	s_wait_loadcnt 0x0
	v_trunc_f32_e32 v1, v1
	s_delay_alu instid0(VALU_DEP_1) | instskip(SKIP_1) | instid1(VALU_DEP_2)
	v_mul_f32_e64 v3, 0x2f800000, |v1|
	v_ashrrev_i32_e32 v14, 31, v1
	v_floor_f32_e32 v3, v3
	s_delay_alu instid0(VALU_DEP_1) | instskip(SKIP_1) | instid1(VALU_DEP_4)
	v_fma_f32 v5, 0xcf800000, v3, |v1|
	v_cvt_u32_f32_e32 v1, v3
	v_mov_b32_e32 v15, v14
	s_delay_alu instid0(VALU_DEP_3) | instskip(NEXT) | instid1(VALU_DEP_3)
	v_cvt_u32_f32_e32 v3, v5
	v_xor_b32_e32 v25, v1, v14
	s_delay_alu instid0(VALU_DEP_2) | instskip(NEXT) | instid1(VALU_DEP_1)
	v_xor_b32_e32 v24, v3, v14
	v_sub_nc_u64_e32 v[14:15], v[24:25], v[14:15]
.LBB127_5583:
	s_mov_b32 s0, 0
.LBB127_5584:
	s_delay_alu instid0(SALU_CYCLE_1)
	s_and_not1_b32 vcc_lo, exec_lo, s0
	s_cbranch_vccnz .LBB127_5586
; %bb.5585:
	global_load_b32 v1, v[22:23], off
	s_wait_loadcnt 0x0
	v_cvt_f32_f16_e32 v1, v1
	s_delay_alu instid0(VALU_DEP_1) | instskip(NEXT) | instid1(VALU_DEP_1)
	v_cvt_i32_f32_e32 v14, v1
	v_ashrrev_i32_e32 v15, 31, v14
.LBB127_5586:
	s_mov_b32 s0, 0
.LBB127_5587:
	s_delay_alu instid0(SALU_CYCLE_1)
	s_and_not1_b32 vcc_lo, exec_lo, s0
	s_cbranch_vccnz .LBB127_5598
; %bb.5588:
	s_cmp_lt_i32 s60, 6
	s_cbranch_scc1 .LBB127_5591
; %bb.5589:
	s_cmp_gt_i32 s60, 6
	s_cbranch_scc0 .LBB127_5592
; %bb.5590:
	s_wait_loadcnt 0x0
	global_load_b64 v[14:15], v[22:23], off
	s_mov_b32 s0, 0
	s_wait_loadcnt 0x0
	v_trunc_f64_e32 v[14:15], v[14:15]
	s_delay_alu instid0(VALU_DEP_1) | instskip(NEXT) | instid1(VALU_DEP_1)
	v_ldexp_f64 v[24:25], v[14:15], 0xffffffe0
	v_floor_f64_e32 v[24:25], v[24:25]
	s_delay_alu instid0(VALU_DEP_1) | instskip(SKIP_1) | instid1(VALU_DEP_2)
	v_fmamk_f64 v[26:27], v[24:25], 0xc1f00000, v[14:15]
	v_cvt_i32_f64_e32 v15, v[24:25]
	v_cvt_u32_f64_e32 v14, v[26:27]
	s_branch .LBB127_5593
.LBB127_5591:
	s_mov_b32 s0, -1
                                        ; implicit-def: $vgpr14_vgpr15
	s_branch .LBB127_5596
.LBB127_5592:
	s_mov_b32 s0, -1
                                        ; implicit-def: $vgpr14_vgpr15
.LBB127_5593:
	s_delay_alu instid0(SALU_CYCLE_1)
	s_and_not1_b32 vcc_lo, exec_lo, s0
	s_cbranch_vccnz .LBB127_5595
; %bb.5594:
	global_load_b32 v1, v[22:23], off
	s_wait_loadcnt 0x0
	v_trunc_f32_e32 v1, v1
	s_delay_alu instid0(VALU_DEP_1) | instskip(SKIP_1) | instid1(VALU_DEP_2)
	v_mul_f32_e64 v3, 0x2f800000, |v1|
	v_ashrrev_i32_e32 v14, 31, v1
	v_floor_f32_e32 v3, v3
	s_delay_alu instid0(VALU_DEP_1) | instskip(SKIP_1) | instid1(VALU_DEP_4)
	v_fma_f32 v5, 0xcf800000, v3, |v1|
	v_cvt_u32_f32_e32 v1, v3
	v_mov_b32_e32 v15, v14
	s_delay_alu instid0(VALU_DEP_3) | instskip(NEXT) | instid1(VALU_DEP_3)
	v_cvt_u32_f32_e32 v3, v5
	v_xor_b32_e32 v25, v1, v14
	s_delay_alu instid0(VALU_DEP_2) | instskip(NEXT) | instid1(VALU_DEP_1)
	v_xor_b32_e32 v24, v3, v14
	v_sub_nc_u64_e32 v[14:15], v[24:25], v[14:15]
.LBB127_5595:
	s_mov_b32 s0, 0
.LBB127_5596:
	s_delay_alu instid0(SALU_CYCLE_1)
	s_and_not1_b32 vcc_lo, exec_lo, s0
	s_cbranch_vccnz .LBB127_5598
; %bb.5597:
	global_load_u16 v1, v[22:23], off
	s_wait_loadcnt 0x0
	v_cvt_f32_f16_e32 v1, v1
	s_delay_alu instid0(VALU_DEP_1) | instskip(NEXT) | instid1(VALU_DEP_1)
	v_cvt_i32_f32_e32 v14, v1
	v_ashrrev_i32_e32 v15, 31, v14
.LBB127_5598:
	s_mov_b32 s0, 0
.LBB127_5599:
	s_delay_alu instid0(SALU_CYCLE_1)
	s_and_not1_b32 vcc_lo, exec_lo, s0
	s_cbranch_vccnz .LBB127_5619
; %bb.5600:
	s_cmp_lt_i32 s60, 2
	s_cbranch_scc1 .LBB127_5604
; %bb.5601:
	s_cmp_lt_i32 s60, 3
	s_cbranch_scc1 .LBB127_5605
; %bb.5602:
	s_cmp_gt_i32 s60, 3
	s_cbranch_scc0 .LBB127_5606
; %bb.5603:
	s_wait_loadcnt 0x0
	global_load_b64 v[14:15], v[22:23], off
	s_mov_b32 s0, 0
	s_branch .LBB127_5607
.LBB127_5604:
	s_mov_b32 s0, -1
                                        ; implicit-def: $vgpr14_vgpr15
	s_branch .LBB127_5613
.LBB127_5605:
	s_mov_b32 s0, -1
                                        ; implicit-def: $vgpr14_vgpr15
	s_branch .LBB127_5610
.LBB127_5606:
	s_mov_b32 s0, -1
                                        ; implicit-def: $vgpr14_vgpr15
.LBB127_5607:
	s_delay_alu instid0(SALU_CYCLE_1)
	s_and_not1_b32 vcc_lo, exec_lo, s0
	s_cbranch_vccnz .LBB127_5609
; %bb.5608:
	s_wait_loadcnt 0x0
	global_load_b32 v14, v[22:23], off
	s_wait_loadcnt 0x0
	v_ashrrev_i32_e32 v15, 31, v14
.LBB127_5609:
	s_mov_b32 s0, 0
.LBB127_5610:
	s_delay_alu instid0(SALU_CYCLE_1)
	s_and_not1_b32 vcc_lo, exec_lo, s0
	s_cbranch_vccnz .LBB127_5612
; %bb.5611:
	global_load_u16 v1, v[22:23], off
	s_wait_loadcnt 0x0
	v_bfe_i32 v14, v1, 0, 16
	s_delay_alu instid0(VALU_DEP_1)
	v_ashrrev_i32_e32 v15, 31, v14
.LBB127_5612:
	s_mov_b32 s0, 0
.LBB127_5613:
	s_delay_alu instid0(SALU_CYCLE_1)
	s_and_not1_b32 vcc_lo, exec_lo, s0
	s_cbranch_vccnz .LBB127_5619
; %bb.5614:
	s_cmp_gt_i32 s60, 0
	s_mov_b32 s0, 0
	s_cbranch_scc0 .LBB127_5616
; %bb.5615:
	global_load_i8 v1, v[22:23], off
	s_wait_loadcnt 0x0
	v_bfe_i32 v14, v1, 0, 16
	s_delay_alu instid0(VALU_DEP_1)
	v_ashrrev_i32_e32 v15, 31, v14
	s_branch .LBB127_5617
.LBB127_5616:
	s_mov_b32 s0, -1
                                        ; implicit-def: $vgpr14_vgpr15
.LBB127_5617:
	s_delay_alu instid0(SALU_CYCLE_1)
	s_and_not1_b32 vcc_lo, exec_lo, s0
	s_cbranch_vccnz .LBB127_5619
; %bb.5618:
	global_load_u8 v1, v[22:23], off
	s_mov_b32 s0, 0
	s_wait_loadcnt 0x1
	v_mov_b32_e32 v15, s0
	s_wait_loadcnt 0x0
	v_and_b32_e32 v14, 0xffff, v1
.LBB127_5619:
	s_mov_b32 s7, -1
.LBB127_5620:
	s_delay_alu instid0(SALU_CYCLE_1)
	s_and_not1_b32 vcc_lo, exec_lo, s7
	s_cbranch_vccnz .LBB127_5756
; %bb.5621:
	v_mov_b32_e32 v11, 0
	s_cmp_lt_i32 s61, 11
	s_delay_alu instid0(VALU_DEP_1)
	v_add_nc_u64_e32 v[10:11], s[16:17], v[10:11]
	s_cbranch_scc1 .LBB127_5628
; %bb.5622:
	s_cmp_gt_i32 s61, 25
	s_mov_b32 s6, 0
	s_cbranch_scc0 .LBB127_5629
; %bb.5623:
	s_cmp_gt_i32 s61, 28
	s_cbranch_scc0 .LBB127_5630
; %bb.5624:
	s_cmp_gt_i32 s61, 43
	;; [unrolled: 3-line block ×3, first 2 shown]
	s_cbranch_scc0 .LBB127_5633
; %bb.5626:
	s_cmp_eq_u32 s61, 46
	s_mov_b32 s9, 0
	s_cbranch_scc0 .LBB127_5634
; %bb.5627:
	global_load_b32 v1, v[10:11], off
	s_mov_b32 s0, 0
	s_mov_b32 s7, -1
	s_wait_loadcnt 0x0
	v_lshlrev_b32_e32 v1, 16, v1
	s_delay_alu instid0(VALU_DEP_1) | instskip(NEXT) | instid1(VALU_DEP_1)
	v_trunc_f32_e32 v1, v1
	v_mul_f32_e64 v3, 0x2f800000, |v1|
	s_wait_xcnt 0x1
	v_ashrrev_i32_e32 v22, 31, v1
	s_delay_alu instid0(VALU_DEP_2) | instskip(NEXT) | instid1(VALU_DEP_2)
	v_floor_f32_e32 v3, v3
	v_mov_b32_e32 v23, v22
	s_delay_alu instid0(VALU_DEP_2) | instskip(SKIP_1) | instid1(VALU_DEP_2)
	v_fma_f32 v5, 0xcf800000, v3, |v1|
	v_cvt_u32_f32_e32 v1, v3
	v_cvt_u32_f32_e32 v3, v5
	s_delay_alu instid0(VALU_DEP_2) | instskip(NEXT) | instid1(VALU_DEP_2)
	v_xor_b32_e32 v25, v1, v22
	v_xor_b32_e32 v24, v3, v22
	s_delay_alu instid0(VALU_DEP_1)
	v_sub_nc_u64_e32 v[22:23], v[24:25], v[22:23]
	s_branch .LBB127_5636
.LBB127_5628:
	s_mov_b32 s0, -1
	s_mov_b32 s7, 0
                                        ; implicit-def: $vgpr22_vgpr23
	s_branch .LBB127_5698
.LBB127_5629:
	s_mov_b32 s9, -1
	s_mov_b32 s7, 0
	s_mov_b32 s0, 0
                                        ; implicit-def: $vgpr22_vgpr23
	s_branch .LBB127_5663
.LBB127_5630:
	s_mov_b32 s9, -1
	s_mov_b32 s7, 0
	s_mov_b32 s0, 0
                                        ; implicit-def: $vgpr22_vgpr23
	s_branch .LBB127_5646
.LBB127_5631:
	s_mov_b32 s9, -1
	s_mov_b32 s7, 0
	s_mov_b32 s0, 0
                                        ; implicit-def: $vgpr22_vgpr23
	s_branch .LBB127_5641
.LBB127_5632:
	s_or_b32 s23, s23, exec_lo
	s_trap 2
	s_cbranch_execz .LBB127_5569
	s_branch .LBB127_5570
.LBB127_5633:
	s_mov_b32 s9, -1
	s_mov_b32 s7, 0
	s_mov_b32 s0, 0
	s_branch .LBB127_5635
.LBB127_5634:
	s_mov_b32 s0, -1
	s_mov_b32 s7, 0
.LBB127_5635:
                                        ; implicit-def: $vgpr22_vgpr23
.LBB127_5636:
	s_and_b32 vcc_lo, exec_lo, s9
	s_cbranch_vccz .LBB127_5640
; %bb.5637:
	s_cmp_eq_u32 s61, 44
	s_cbranch_scc0 .LBB127_5639
; %bb.5638:
	global_load_u8 v1, v[10:11], off
	s_mov_b32 s0, 0
	s_mov_b32 s7, -1
	s_wait_loadcnt 0x0
	v_lshlrev_b32_e32 v3, 23, v1
	v_cmp_ne_u32_e32 vcc_lo, 0, v1
	s_delay_alu instid0(VALU_DEP_2) | instskip(NEXT) | instid1(VALU_DEP_1)
	v_trunc_f32_e32 v3, v3
	v_mul_f32_e64 v5, 0x2f800000, |v3|
	s_wait_xcnt 0x1
	v_ashrrev_i32_e32 v22, 31, v3
	s_delay_alu instid0(VALU_DEP_2) | instskip(NEXT) | instid1(VALU_DEP_2)
	v_floor_f32_e32 v5, v5
	v_mov_b32_e32 v23, v22
	s_delay_alu instid0(VALU_DEP_2) | instskip(SKIP_1) | instid1(VALU_DEP_2)
	v_fma_f32 v7, 0xcf800000, v5, |v3|
	v_cvt_u32_f32_e32 v3, v5
	v_cvt_u32_f32_e32 v5, v7
	s_delay_alu instid0(VALU_DEP_2) | instskip(NEXT) | instid1(VALU_DEP_2)
	v_xor_b32_e32 v25, v3, v22
	v_xor_b32_e32 v24, v5, v22
	s_delay_alu instid0(VALU_DEP_1) | instskip(NEXT) | instid1(VALU_DEP_1)
	v_sub_nc_u64_e32 v[22:23], v[24:25], v[22:23]
	v_dual_cndmask_b32 v23, 0, v23 :: v_dual_cndmask_b32 v22, 0, v22
	s_branch .LBB127_5640
.LBB127_5639:
	s_mov_b32 s0, -1
                                        ; implicit-def: $vgpr22_vgpr23
.LBB127_5640:
	s_mov_b32 s9, 0
.LBB127_5641:
	s_delay_alu instid0(SALU_CYCLE_1)
	s_and_b32 vcc_lo, exec_lo, s9
	s_cbranch_vccz .LBB127_5645
; %bb.5642:
	s_cmp_eq_u32 s61, 29
	s_cbranch_scc0 .LBB127_5644
; %bb.5643:
	global_load_b64 v[22:23], v[10:11], off
	s_mov_b32 s0, 0
	s_mov_b32 s7, -1
	s_branch .LBB127_5645
.LBB127_5644:
	s_mov_b32 s0, -1
                                        ; implicit-def: $vgpr22_vgpr23
.LBB127_5645:
	s_mov_b32 s9, 0
.LBB127_5646:
	s_delay_alu instid0(SALU_CYCLE_1)
	s_and_b32 vcc_lo, exec_lo, s9
	s_cbranch_vccz .LBB127_5662
; %bb.5647:
	s_cmp_lt_i32 s61, 27
	s_cbranch_scc1 .LBB127_5650
; %bb.5648:
	s_cmp_gt_i32 s61, 27
	s_cbranch_scc0 .LBB127_5651
; %bb.5649:
	s_wait_loadcnt 0x0
	global_load_b32 v22, v[10:11], off
	v_mov_b32_e32 v23, 0
	s_mov_b32 s7, 0
	s_branch .LBB127_5652
.LBB127_5650:
	s_mov_b32 s7, -1
                                        ; implicit-def: $vgpr22_vgpr23
	s_branch .LBB127_5655
.LBB127_5651:
	s_mov_b32 s7, -1
                                        ; implicit-def: $vgpr22_vgpr23
.LBB127_5652:
	s_delay_alu instid0(SALU_CYCLE_1)
	s_and_not1_b32 vcc_lo, exec_lo, s7
	s_cbranch_vccnz .LBB127_5654
; %bb.5653:
	global_load_u16 v1, v[10:11], off
	s_mov_b32 s7, 0
	s_wait_loadcnt 0x1
	s_wait_xcnt 0x1
	v_mov_b32_e32 v23, s7
	s_wait_loadcnt 0x0
	v_and_b32_e32 v22, 0xffff, v1
.LBB127_5654:
	s_mov_b32 s7, 0
.LBB127_5655:
	s_delay_alu instid0(SALU_CYCLE_1)
	s_and_not1_b32 vcc_lo, exec_lo, s7
	s_cbranch_vccnz .LBB127_5661
; %bb.5656:
	global_load_u8 v1, v[10:11], off
	s_mov_b32 s9, 0
	s_mov_b32 s7, exec_lo
	s_wait_loadcnt 0x0
	v_cmpx_lt_i16_e32 0x7f, v1
	s_xor_b32 s7, exec_lo, s7
	s_cbranch_execz .LBB127_5673
; %bb.5657:
	v_cmp_ne_u16_e32 vcc_lo, 0x80, v1
	s_and_b32 s9, vcc_lo, exec_lo
	s_and_not1_saveexec_b32 s7, s7
	s_cbranch_execnz .LBB127_5674
.LBB127_5658:
	s_or_b32 exec_lo, exec_lo, s7
	v_mov_b64_e32 v[22:23], 0
	s_and_saveexec_b32 s7, s9
	s_cbranch_execz .LBB127_5660
.LBB127_5659:
	v_and_b32_e32 v3, 0xffff, v1
	s_delay_alu instid0(VALU_DEP_1) | instskip(SKIP_1) | instid1(VALU_DEP_2)
	v_dual_lshlrev_b32 v1, 24, v1 :: v_dual_bitop2_b32 v5, 7, v3 bitop3:0x40
	v_bfe_u32 v23, v3, 3, 4
	v_and_b32_e32 v1, 0x80000000, v1
	s_delay_alu instid0(VALU_DEP_3) | instskip(NEXT) | instid1(VALU_DEP_3)
	v_clz_i32_u32_e32 v7, v5
	v_cmp_eq_u32_e32 vcc_lo, 0, v23
	s_delay_alu instid0(VALU_DEP_2) | instskip(NEXT) | instid1(VALU_DEP_1)
	v_min_u32_e32 v7, 32, v7
	v_subrev_nc_u32_e32 v22, 28, v7
	v_sub_nc_u32_e32 v7, 29, v7
	s_delay_alu instid0(VALU_DEP_2) | instskip(NEXT) | instid1(VALU_DEP_2)
	v_lshlrev_b32_e32 v3, v22, v3
	v_cndmask_b32_e32 v7, v23, v7, vcc_lo
	s_delay_alu instid0(VALU_DEP_2) | instskip(NEXT) | instid1(VALU_DEP_1)
	v_and_b32_e32 v3, 7, v3
	v_cndmask_b32_e32 v3, v5, v3, vcc_lo
	s_delay_alu instid0(VALU_DEP_3) | instskip(NEXT) | instid1(VALU_DEP_2)
	v_lshl_add_u32 v5, v7, 23, 0x3b800000
	v_lshlrev_b32_e32 v3, 20, v3
	s_delay_alu instid0(VALU_DEP_1) | instskip(NEXT) | instid1(VALU_DEP_1)
	v_or3_b32 v1, v1, v5, v3
	v_trunc_f32_e32 v1, v1
	s_delay_alu instid0(VALU_DEP_1) | instskip(SKIP_1) | instid1(VALU_DEP_2)
	v_mul_f32_e64 v3, 0x2f800000, |v1|
	v_ashrrev_i32_e32 v22, 31, v1
	v_floor_f32_e32 v3, v3
	s_delay_alu instid0(VALU_DEP_2) | instskip(NEXT) | instid1(VALU_DEP_2)
	v_mov_b32_e32 v23, v22
	v_fma_f32 v5, 0xcf800000, v3, |v1|
	v_cvt_u32_f32_e32 v1, v3
	s_delay_alu instid0(VALU_DEP_2) | instskip(NEXT) | instid1(VALU_DEP_2)
	v_cvt_u32_f32_e32 v3, v5
	v_xor_b32_e32 v25, v1, v22
	s_delay_alu instid0(VALU_DEP_2) | instskip(NEXT) | instid1(VALU_DEP_1)
	v_xor_b32_e32 v24, v3, v22
	v_sub_nc_u64_e32 v[22:23], v[24:25], v[22:23]
.LBB127_5660:
	s_or_b32 exec_lo, exec_lo, s7
.LBB127_5661:
	s_mov_b32 s7, -1
.LBB127_5662:
	s_mov_b32 s9, 0
.LBB127_5663:
	s_delay_alu instid0(SALU_CYCLE_1)
	s_and_b32 vcc_lo, exec_lo, s9
	s_cbranch_vccz .LBB127_5694
; %bb.5664:
	s_cmp_gt_i32 s61, 22
	s_cbranch_scc0 .LBB127_5672
; %bb.5665:
	s_cmp_lt_i32 s61, 24
	s_cbranch_scc1 .LBB127_5675
; %bb.5666:
	s_cmp_gt_i32 s61, 24
	s_cbranch_scc0 .LBB127_5676
; %bb.5667:
	global_load_u8 v1, v[10:11], off
	s_mov_b32 s7, 0
	s_mov_b32 s6, exec_lo
	s_wait_loadcnt 0x0
	v_cmpx_lt_i16_e32 0x7f, v1
	s_xor_b32 s6, exec_lo, s6
	s_cbranch_execz .LBB127_5688
; %bb.5668:
	v_cmp_ne_u16_e32 vcc_lo, 0x80, v1
	s_and_b32 s7, vcc_lo, exec_lo
	s_and_not1_saveexec_b32 s6, s6
	s_cbranch_execnz .LBB127_5689
.LBB127_5669:
	s_or_b32 exec_lo, exec_lo, s6
	v_mov_b64_e32 v[22:23], 0
	s_and_saveexec_b32 s6, s7
	s_cbranch_execz .LBB127_5671
.LBB127_5670:
	v_and_b32_e32 v3, 0xffff, v1
	s_delay_alu instid0(VALU_DEP_1) | instskip(SKIP_1) | instid1(VALU_DEP_2)
	v_dual_lshlrev_b32 v1, 24, v1 :: v_dual_bitop2_b32 v5, 3, v3 bitop3:0x40
	v_bfe_u32 v23, v3, 2, 5
	v_and_b32_e32 v1, 0x80000000, v1
	s_delay_alu instid0(VALU_DEP_3) | instskip(NEXT) | instid1(VALU_DEP_3)
	v_clz_i32_u32_e32 v7, v5
	v_cmp_eq_u32_e32 vcc_lo, 0, v23
	s_delay_alu instid0(VALU_DEP_2) | instskip(NEXT) | instid1(VALU_DEP_1)
	v_min_u32_e32 v7, 32, v7
	v_subrev_nc_u32_e32 v22, 29, v7
	v_sub_nc_u32_e32 v7, 30, v7
	s_delay_alu instid0(VALU_DEP_2) | instskip(NEXT) | instid1(VALU_DEP_2)
	v_lshlrev_b32_e32 v3, v22, v3
	v_cndmask_b32_e32 v7, v23, v7, vcc_lo
	s_delay_alu instid0(VALU_DEP_2) | instskip(NEXT) | instid1(VALU_DEP_1)
	v_and_b32_e32 v3, 3, v3
	v_cndmask_b32_e32 v3, v5, v3, vcc_lo
	s_delay_alu instid0(VALU_DEP_3) | instskip(NEXT) | instid1(VALU_DEP_2)
	v_lshl_add_u32 v5, v7, 23, 0x37800000
	v_lshlrev_b32_e32 v3, 21, v3
	s_delay_alu instid0(VALU_DEP_1) | instskip(NEXT) | instid1(VALU_DEP_1)
	v_or3_b32 v1, v1, v5, v3
	v_trunc_f32_e32 v1, v1
	s_delay_alu instid0(VALU_DEP_1) | instskip(SKIP_1) | instid1(VALU_DEP_2)
	v_mul_f32_e64 v3, 0x2f800000, |v1|
	v_ashrrev_i32_e32 v22, 31, v1
	v_floor_f32_e32 v3, v3
	s_delay_alu instid0(VALU_DEP_2) | instskip(NEXT) | instid1(VALU_DEP_2)
	v_mov_b32_e32 v23, v22
	v_fma_f32 v5, 0xcf800000, v3, |v1|
	v_cvt_u32_f32_e32 v1, v3
	s_delay_alu instid0(VALU_DEP_2) | instskip(NEXT) | instid1(VALU_DEP_2)
	v_cvt_u32_f32_e32 v3, v5
	v_xor_b32_e32 v25, v1, v22
	s_delay_alu instid0(VALU_DEP_2) | instskip(NEXT) | instid1(VALU_DEP_1)
	v_xor_b32_e32 v24, v3, v22
	v_sub_nc_u64_e32 v[22:23], v[24:25], v[22:23]
.LBB127_5671:
	s_or_b32 exec_lo, exec_lo, s6
	s_mov_b32 s6, 0
	s_branch .LBB127_5677
.LBB127_5672:
	s_mov_b32 s6, -1
                                        ; implicit-def: $vgpr22_vgpr23
	s_branch .LBB127_5683
.LBB127_5673:
	s_and_not1_saveexec_b32 s7, s7
	s_cbranch_execz .LBB127_5658
.LBB127_5674:
	v_cmp_ne_u16_e32 vcc_lo, 0, v1
	s_and_not1_b32 s9, s9, exec_lo
	s_and_b32 s10, vcc_lo, exec_lo
	s_delay_alu instid0(SALU_CYCLE_1)
	s_or_b32 s9, s9, s10
	s_or_b32 exec_lo, exec_lo, s7
	v_mov_b64_e32 v[22:23], 0
	s_and_saveexec_b32 s7, s9
	s_cbranch_execnz .LBB127_5659
	s_branch .LBB127_5660
.LBB127_5675:
	s_mov_b32 s6, -1
                                        ; implicit-def: $vgpr22_vgpr23
	s_branch .LBB127_5680
.LBB127_5676:
	s_mov_b32 s6, -1
                                        ; implicit-def: $vgpr22_vgpr23
.LBB127_5677:
	s_delay_alu instid0(SALU_CYCLE_1)
	s_and_b32 vcc_lo, exec_lo, s6
	s_cbranch_vccz .LBB127_5679
; %bb.5678:
	global_load_u8 v1, v[10:11], off
	s_wait_loadcnt 0x0
	v_lshlrev_b32_e32 v1, 24, v1
	s_delay_alu instid0(VALU_DEP_1) | instskip(NEXT) | instid1(VALU_DEP_1)
	v_and_b32_e32 v3, 0x7f000000, v1
	v_clz_i32_u32_e32 v5, v3
	v_cmp_ne_u32_e32 vcc_lo, 0, v3
	s_wait_xcnt 0x1
	v_add_nc_u32_e32 v22, 0x1000000, v3
	s_delay_alu instid0(VALU_DEP_3) | instskip(NEXT) | instid1(VALU_DEP_1)
	v_min_u32_e32 v5, 32, v5
	v_sub_nc_u32_e64 v5, v5, 4 clamp
	s_delay_alu instid0(VALU_DEP_1) | instskip(NEXT) | instid1(VALU_DEP_1)
	v_dual_lshlrev_b32 v7, v5, v3 :: v_dual_lshlrev_b32 v5, 23, v5
	v_lshrrev_b32_e32 v7, 4, v7
	s_delay_alu instid0(VALU_DEP_1) | instskip(NEXT) | instid1(VALU_DEP_1)
	v_dual_sub_nc_u32 v5, v7, v5 :: v_dual_ashrrev_i32 v7, 8, v22
	v_add_nc_u32_e32 v5, 0x3c000000, v5
	s_delay_alu instid0(VALU_DEP_1) | instskip(NEXT) | instid1(VALU_DEP_1)
	v_and_or_b32 v5, 0x7f800000, v7, v5
	v_cndmask_b32_e32 v3, 0, v5, vcc_lo
	s_delay_alu instid0(VALU_DEP_1) | instskip(NEXT) | instid1(VALU_DEP_1)
	v_and_or_b32 v1, 0x80000000, v1, v3
	v_trunc_f32_e32 v1, v1
	s_delay_alu instid0(VALU_DEP_1) | instskip(SKIP_1) | instid1(VALU_DEP_2)
	v_mul_f32_e64 v3, 0x2f800000, |v1|
	v_ashrrev_i32_e32 v22, 31, v1
	v_floor_f32_e32 v3, v3
	s_delay_alu instid0(VALU_DEP_1) | instskip(SKIP_1) | instid1(VALU_DEP_4)
	v_fma_f32 v5, 0xcf800000, v3, |v1|
	v_cvt_u32_f32_e32 v1, v3
	v_mov_b32_e32 v23, v22
	s_delay_alu instid0(VALU_DEP_3) | instskip(NEXT) | instid1(VALU_DEP_3)
	v_cvt_u32_f32_e32 v3, v5
	v_xor_b32_e32 v25, v1, v22
	s_delay_alu instid0(VALU_DEP_2) | instskip(NEXT) | instid1(VALU_DEP_1)
	v_xor_b32_e32 v24, v3, v22
	v_sub_nc_u64_e32 v[22:23], v[24:25], v[22:23]
.LBB127_5679:
	s_mov_b32 s6, 0
.LBB127_5680:
	s_delay_alu instid0(SALU_CYCLE_1)
	s_and_not1_b32 vcc_lo, exec_lo, s6
	s_cbranch_vccnz .LBB127_5682
; %bb.5681:
	global_load_u8 v1, v[10:11], off
	s_wait_loadcnt 0x0
	v_lshlrev_b32_e32 v3, 25, v1
	v_lshlrev_b16 v1, 8, v1
	s_delay_alu instid0(VALU_DEP_1) | instskip(SKIP_1) | instid1(VALU_DEP_2)
	v_and_or_b32 v7, 0x7f00, v1, 0.5
	v_bfe_i32 v1, v1, 0, 16
	v_add_f32_e32 v7, -0.5, v7
	v_lshrrev_b32_e32 v5, 4, v3
	v_cmp_gt_u32_e32 vcc_lo, 0x8000000, v3
	s_delay_alu instid0(VALU_DEP_2) | instskip(NEXT) | instid1(VALU_DEP_1)
	v_or_b32_e32 v5, 0x70000000, v5
	v_mul_f32_e32 v5, 0x7800000, v5
	s_delay_alu instid0(VALU_DEP_1) | instskip(NEXT) | instid1(VALU_DEP_1)
	v_cndmask_b32_e32 v3, v5, v7, vcc_lo
	v_and_or_b32 v1, 0x80000000, v1, v3
	s_delay_alu instid0(VALU_DEP_1) | instskip(NEXT) | instid1(VALU_DEP_1)
	v_trunc_f32_e32 v1, v1
	v_mul_f32_e64 v3, 0x2f800000, |v1|
	s_wait_xcnt 0x1
	v_ashrrev_i32_e32 v22, 31, v1
	s_delay_alu instid0(VALU_DEP_2) | instskip(NEXT) | instid1(VALU_DEP_2)
	v_floor_f32_e32 v3, v3
	v_mov_b32_e32 v23, v22
	s_delay_alu instid0(VALU_DEP_2) | instskip(SKIP_1) | instid1(VALU_DEP_2)
	v_fma_f32 v5, 0xcf800000, v3, |v1|
	v_cvt_u32_f32_e32 v1, v3
	v_cvt_u32_f32_e32 v3, v5
	s_delay_alu instid0(VALU_DEP_2) | instskip(NEXT) | instid1(VALU_DEP_2)
	v_xor_b32_e32 v25, v1, v22
	v_xor_b32_e32 v24, v3, v22
	s_delay_alu instid0(VALU_DEP_1)
	v_sub_nc_u64_e32 v[22:23], v[24:25], v[22:23]
.LBB127_5682:
	s_mov_b32 s6, 0
	s_mov_b32 s7, -1
.LBB127_5683:
	s_and_not1_b32 vcc_lo, exec_lo, s6
	s_mov_b32 s6, 0
	s_cbranch_vccnz .LBB127_5694
; %bb.5684:
	s_cmp_gt_i32 s61, 14
	s_cbranch_scc0 .LBB127_5687
; %bb.5685:
	s_cmp_eq_u32 s61, 15
	s_cbranch_scc0 .LBB127_5690
; %bb.5686:
	global_load_u16 v1, v[10:11], off
	s_mov_b32 s0, 0
	s_mov_b32 s7, -1
	s_wait_loadcnt 0x0
	v_lshlrev_b32_e32 v1, 16, v1
	s_delay_alu instid0(VALU_DEP_1) | instskip(NEXT) | instid1(VALU_DEP_1)
	v_trunc_f32_e32 v1, v1
	v_mul_f32_e64 v3, 0x2f800000, |v1|
	s_wait_xcnt 0x1
	v_ashrrev_i32_e32 v22, 31, v1
	s_delay_alu instid0(VALU_DEP_2) | instskip(NEXT) | instid1(VALU_DEP_2)
	v_floor_f32_e32 v3, v3
	v_mov_b32_e32 v23, v22
	s_delay_alu instid0(VALU_DEP_2) | instskip(SKIP_1) | instid1(VALU_DEP_2)
	v_fma_f32 v5, 0xcf800000, v3, |v1|
	v_cvt_u32_f32_e32 v1, v3
	v_cvt_u32_f32_e32 v3, v5
	s_delay_alu instid0(VALU_DEP_2) | instskip(NEXT) | instid1(VALU_DEP_2)
	v_xor_b32_e32 v25, v1, v22
	v_xor_b32_e32 v24, v3, v22
	s_delay_alu instid0(VALU_DEP_1)
	v_sub_nc_u64_e32 v[22:23], v[24:25], v[22:23]
	s_branch .LBB127_5692
.LBB127_5687:
	s_mov_b32 s6, -1
	s_branch .LBB127_5691
.LBB127_5688:
	s_and_not1_saveexec_b32 s6, s6
	s_cbranch_execz .LBB127_5669
.LBB127_5689:
	v_cmp_ne_u16_e32 vcc_lo, 0, v1
	s_and_not1_b32 s7, s7, exec_lo
	s_and_b32 s9, vcc_lo, exec_lo
	s_delay_alu instid0(SALU_CYCLE_1)
	s_or_b32 s7, s7, s9
	s_or_b32 exec_lo, exec_lo, s6
	v_mov_b64_e32 v[22:23], 0
	s_and_saveexec_b32 s6, s7
	s_cbranch_execnz .LBB127_5670
	s_branch .LBB127_5671
.LBB127_5690:
	s_mov_b32 s0, -1
.LBB127_5691:
                                        ; implicit-def: $vgpr22_vgpr23
.LBB127_5692:
	s_and_b32 vcc_lo, exec_lo, s6
	s_mov_b32 s6, 0
	s_cbranch_vccz .LBB127_5694
; %bb.5693:
	s_cmp_lg_u32 s61, 11
	s_mov_b32 s6, -1
	s_cselect_b32 s0, -1, 0
.LBB127_5694:
	s_delay_alu instid0(SALU_CYCLE_1)
	s_and_b32 vcc_lo, exec_lo, s0
	s_cbranch_vccnz .LBB127_5823
; %bb.5695:
	s_and_not1_b32 vcc_lo, exec_lo, s6
	s_cbranch_vccnz .LBB127_5697
.LBB127_5696:
	global_load_u8 v1, v[10:11], off
	s_mov_b32 s0, 0
	s_mov_b32 s7, -1
	s_wait_loadcnt 0x1
	s_wait_xcnt 0x1
	v_mov_b32_e32 v23, s0
	s_wait_loadcnt 0x0
	v_cmp_ne_u16_e32 vcc_lo, 0, v1
	v_cndmask_b32_e64 v22, 0, 1, vcc_lo
.LBB127_5697:
	s_mov_b32 s0, 0
.LBB127_5698:
	s_delay_alu instid0(SALU_CYCLE_1)
	s_and_b32 vcc_lo, exec_lo, s0
	s_cbranch_vccz .LBB127_5747
; %bb.5699:
	s_cmp_lt_i32 s61, 5
	s_cbranch_scc1 .LBB127_5704
; %bb.5700:
	s_cmp_lt_i32 s61, 8
	s_cbranch_scc1 .LBB127_5705
	;; [unrolled: 3-line block ×3, first 2 shown]
; %bb.5702:
	s_cmp_gt_i32 s61, 9
	s_cbranch_scc0 .LBB127_5707
; %bb.5703:
	s_wait_loadcnt 0x0
	global_load_b64 v[22:23], v[10:11], off
	s_mov_b32 s0, 0
	s_wait_loadcnt 0x0
	v_trunc_f64_e32 v[22:23], v[22:23]
	s_delay_alu instid0(VALU_DEP_1) | instskip(NEXT) | instid1(VALU_DEP_1)
	v_ldexp_f64 v[24:25], v[22:23], 0xffffffe0
	v_floor_f64_e32 v[24:25], v[24:25]
	s_delay_alu instid0(VALU_DEP_1) | instskip(SKIP_1) | instid1(VALU_DEP_2)
	v_fmamk_f64 v[26:27], v[24:25], 0xc1f00000, v[22:23]
	v_cvt_i32_f64_e32 v23, v[24:25]
	v_cvt_u32_f64_e32 v22, v[26:27]
	s_branch .LBB127_5708
.LBB127_5704:
	s_mov_b32 s0, -1
                                        ; implicit-def: $vgpr22_vgpr23
	s_branch .LBB127_5726
.LBB127_5705:
	s_mov_b32 s0, -1
                                        ; implicit-def: $vgpr22_vgpr23
	s_branch .LBB127_5714
.LBB127_5706:
	s_mov_b32 s0, -1
                                        ; implicit-def: $vgpr22_vgpr23
	s_branch .LBB127_5711
.LBB127_5707:
	s_mov_b32 s0, -1
                                        ; implicit-def: $vgpr22_vgpr23
.LBB127_5708:
	s_delay_alu instid0(SALU_CYCLE_1)
	s_and_not1_b32 vcc_lo, exec_lo, s0
	s_cbranch_vccnz .LBB127_5710
; %bb.5709:
	global_load_b32 v1, v[10:11], off
	s_wait_loadcnt 0x0
	v_trunc_f32_e32 v1, v1
	s_delay_alu instid0(VALU_DEP_1) | instskip(SKIP_2) | instid1(VALU_DEP_2)
	v_mul_f32_e64 v3, 0x2f800000, |v1|
	s_wait_xcnt 0x1
	v_ashrrev_i32_e32 v22, 31, v1
	v_floor_f32_e32 v3, v3
	s_delay_alu instid0(VALU_DEP_1) | instskip(SKIP_1) | instid1(VALU_DEP_4)
	v_fma_f32 v5, 0xcf800000, v3, |v1|
	v_cvt_u32_f32_e32 v1, v3
	v_mov_b32_e32 v23, v22
	s_delay_alu instid0(VALU_DEP_3) | instskip(NEXT) | instid1(VALU_DEP_3)
	v_cvt_u32_f32_e32 v3, v5
	v_xor_b32_e32 v25, v1, v22
	s_delay_alu instid0(VALU_DEP_2) | instskip(NEXT) | instid1(VALU_DEP_1)
	v_xor_b32_e32 v24, v3, v22
	v_sub_nc_u64_e32 v[22:23], v[24:25], v[22:23]
.LBB127_5710:
	s_mov_b32 s0, 0
.LBB127_5711:
	s_delay_alu instid0(SALU_CYCLE_1)
	s_and_not1_b32 vcc_lo, exec_lo, s0
	s_cbranch_vccnz .LBB127_5713
; %bb.5712:
	global_load_b32 v1, v[10:11], off
	s_wait_loadcnt 0x0
	v_cvt_f32_f16_e32 v1, v1
	s_wait_xcnt 0x1
	s_delay_alu instid0(VALU_DEP_1) | instskip(NEXT) | instid1(VALU_DEP_1)
	v_cvt_i32_f32_e32 v22, v1
	v_ashrrev_i32_e32 v23, 31, v22
.LBB127_5713:
	s_mov_b32 s0, 0
.LBB127_5714:
	s_delay_alu instid0(SALU_CYCLE_1)
	s_and_not1_b32 vcc_lo, exec_lo, s0
	s_cbranch_vccnz .LBB127_5725
; %bb.5715:
	s_cmp_lt_i32 s61, 6
	s_cbranch_scc1 .LBB127_5718
; %bb.5716:
	s_cmp_gt_i32 s61, 6
	s_cbranch_scc0 .LBB127_5719
; %bb.5717:
	s_wait_loadcnt 0x0
	global_load_b64 v[22:23], v[10:11], off
	s_mov_b32 s0, 0
	s_wait_loadcnt 0x0
	v_trunc_f64_e32 v[22:23], v[22:23]
	s_delay_alu instid0(VALU_DEP_1) | instskip(NEXT) | instid1(VALU_DEP_1)
	v_ldexp_f64 v[24:25], v[22:23], 0xffffffe0
	v_floor_f64_e32 v[24:25], v[24:25]
	s_delay_alu instid0(VALU_DEP_1) | instskip(SKIP_1) | instid1(VALU_DEP_2)
	v_fmamk_f64 v[26:27], v[24:25], 0xc1f00000, v[22:23]
	v_cvt_i32_f64_e32 v23, v[24:25]
	v_cvt_u32_f64_e32 v22, v[26:27]
	s_branch .LBB127_5720
.LBB127_5718:
	s_mov_b32 s0, -1
                                        ; implicit-def: $vgpr22_vgpr23
	s_branch .LBB127_5723
.LBB127_5719:
	s_mov_b32 s0, -1
                                        ; implicit-def: $vgpr22_vgpr23
.LBB127_5720:
	s_delay_alu instid0(SALU_CYCLE_1)
	s_and_not1_b32 vcc_lo, exec_lo, s0
	s_cbranch_vccnz .LBB127_5722
; %bb.5721:
	global_load_b32 v1, v[10:11], off
	s_wait_loadcnt 0x0
	v_trunc_f32_e32 v1, v1
	s_delay_alu instid0(VALU_DEP_1) | instskip(SKIP_2) | instid1(VALU_DEP_2)
	v_mul_f32_e64 v3, 0x2f800000, |v1|
	s_wait_xcnt 0x1
	v_ashrrev_i32_e32 v22, 31, v1
	v_floor_f32_e32 v3, v3
	s_delay_alu instid0(VALU_DEP_1) | instskip(SKIP_1) | instid1(VALU_DEP_4)
	v_fma_f32 v5, 0xcf800000, v3, |v1|
	v_cvt_u32_f32_e32 v1, v3
	v_mov_b32_e32 v23, v22
	s_delay_alu instid0(VALU_DEP_3) | instskip(NEXT) | instid1(VALU_DEP_3)
	v_cvt_u32_f32_e32 v3, v5
	v_xor_b32_e32 v25, v1, v22
	s_delay_alu instid0(VALU_DEP_2) | instskip(NEXT) | instid1(VALU_DEP_1)
	v_xor_b32_e32 v24, v3, v22
	v_sub_nc_u64_e32 v[22:23], v[24:25], v[22:23]
.LBB127_5722:
	s_mov_b32 s0, 0
.LBB127_5723:
	s_delay_alu instid0(SALU_CYCLE_1)
	s_and_not1_b32 vcc_lo, exec_lo, s0
	s_cbranch_vccnz .LBB127_5725
; %bb.5724:
	global_load_u16 v1, v[10:11], off
	s_wait_loadcnt 0x0
	v_cvt_f32_f16_e32 v1, v1
	s_wait_xcnt 0x1
	s_delay_alu instid0(VALU_DEP_1) | instskip(NEXT) | instid1(VALU_DEP_1)
	v_cvt_i32_f32_e32 v22, v1
	v_ashrrev_i32_e32 v23, 31, v22
.LBB127_5725:
	s_mov_b32 s0, 0
.LBB127_5726:
	s_delay_alu instid0(SALU_CYCLE_1)
	s_and_not1_b32 vcc_lo, exec_lo, s0
	s_cbranch_vccnz .LBB127_5746
; %bb.5727:
	s_cmp_lt_i32 s61, 2
	s_cbranch_scc1 .LBB127_5731
; %bb.5728:
	s_cmp_lt_i32 s61, 3
	s_cbranch_scc1 .LBB127_5732
; %bb.5729:
	s_cmp_gt_i32 s61, 3
	s_cbranch_scc0 .LBB127_5733
; %bb.5730:
	s_wait_loadcnt 0x0
	global_load_b64 v[22:23], v[10:11], off
	s_mov_b32 s0, 0
	s_branch .LBB127_5734
.LBB127_5731:
	s_mov_b32 s0, -1
                                        ; implicit-def: $vgpr22_vgpr23
	s_branch .LBB127_5740
.LBB127_5732:
	s_mov_b32 s0, -1
                                        ; implicit-def: $vgpr22_vgpr23
	s_branch .LBB127_5737
.LBB127_5733:
	s_mov_b32 s0, -1
                                        ; implicit-def: $vgpr22_vgpr23
.LBB127_5734:
	s_delay_alu instid0(SALU_CYCLE_1)
	s_and_not1_b32 vcc_lo, exec_lo, s0
	s_cbranch_vccnz .LBB127_5736
; %bb.5735:
	s_wait_loadcnt 0x0
	global_load_b32 v22, v[10:11], off
	s_wait_loadcnt 0x0
	v_ashrrev_i32_e32 v23, 31, v22
.LBB127_5736:
	s_mov_b32 s0, 0
.LBB127_5737:
	s_delay_alu instid0(SALU_CYCLE_1)
	s_and_not1_b32 vcc_lo, exec_lo, s0
	s_cbranch_vccnz .LBB127_5739
; %bb.5738:
	global_load_u16 v1, v[10:11], off
	s_wait_loadcnt 0x0
	s_wait_xcnt 0x1
	v_bfe_i32 v22, v1, 0, 16
	s_delay_alu instid0(VALU_DEP_1)
	v_ashrrev_i32_e32 v23, 31, v22
.LBB127_5739:
	s_mov_b32 s0, 0
.LBB127_5740:
	s_delay_alu instid0(SALU_CYCLE_1)
	s_and_not1_b32 vcc_lo, exec_lo, s0
	s_cbranch_vccnz .LBB127_5746
; %bb.5741:
	s_cmp_gt_i32 s61, 0
	s_mov_b32 s0, 0
	s_cbranch_scc0 .LBB127_5743
; %bb.5742:
	global_load_i8 v1, v[10:11], off
	s_wait_loadcnt 0x0
	s_wait_xcnt 0x1
	v_bfe_i32 v22, v1, 0, 16
	s_delay_alu instid0(VALU_DEP_1)
	v_ashrrev_i32_e32 v23, 31, v22
	s_branch .LBB127_5744
.LBB127_5743:
	s_mov_b32 s0, -1
                                        ; implicit-def: $vgpr22_vgpr23
.LBB127_5744:
	s_delay_alu instid0(SALU_CYCLE_1)
	s_and_not1_b32 vcc_lo, exec_lo, s0
	s_cbranch_vccnz .LBB127_5746
; %bb.5745:
	global_load_u8 v1, v[10:11], off
	s_mov_b32 s0, 0
	s_wait_loadcnt 0x1
	s_wait_xcnt 0x1
	v_mov_b32_e32 v23, s0
	s_wait_loadcnt 0x0
	v_and_b32_e32 v22, 0xffff, v1
.LBB127_5746:
	s_mov_b32 s7, -1
.LBB127_5747:
	s_delay_alu instid0(SALU_CYCLE_1)
	s_and_not1_b32 vcc_lo, exec_lo, s7
	s_cbranch_vccnz .LBB127_5756
; %bb.5748:
	s_mov_b32 s0, exec_lo
	s_wait_loadcnt 0x0
	v_cmpx_ne_u64_e64 v[20:21], v[8:9]
	s_xor_b32 s0, exec_lo, s0
	s_cbranch_execnz .LBB127_6099
.LBB127_5749:
	s_or_saveexec_b32 s24, s0
	s_mov_b32 s6, 0
	s_mov_b32 s7, 0
                                        ; implicit-def: $vgpr42_vgpr43
                                        ; implicit-def: $sgpr0
	s_xor_b32 exec_lo, exec_lo, s24
	s_cbranch_execz .LBB127_6094
; %bb.5750:
	s_mov_b32 s25, s23
	s_mov_b32 s0, exec_lo
	v_cmpx_ne_u64_e64 v[18:19], v[12:13]
	s_xor_b32 s0, exec_lo, s0
	s_cbranch_execnz .LBB127_6101
; %bb.5751:
	s_or_saveexec_b32 s26, s0
                                        ; implicit-def: $vgpr42_vgpr43
                                        ; implicit-def: $sgpr0
	s_delay_alu instid0(SALU_CYCLE_1)
	s_xor_b32 exec_lo, exec_lo, s26
	s_cbranch_execz .LBB127_6093
.LBB127_5752:
	v_sub_nc_u64_e32 v[10:11], v[14:15], v[16:17]
	s_mov_b32 s27, s25
	s_delay_alu instid0(VALU_DEP_1) | instskip(SKIP_2) | instid1(SALU_CYCLE_1)
	v_cmp_gt_i64_e32 vcc_lo, v[8:9], v[10:11]
	v_cmp_lt_i64_e64 s0, s[18:19], v[10:11]
	s_or_b32 s0, vcc_lo, s0
	s_and_saveexec_b32 s6, s0
	s_delay_alu instid0(SALU_CYCLE_1)
	s_xor_b32 s0, exec_lo, s6
	s_cbranch_execnz .LBB127_6103
; %bb.5753:
	s_or_saveexec_b32 s28, s0
	s_mov_b32 s6, 0
                                        ; implicit-def: $vgpr42_vgpr43
                                        ; implicit-def: $sgpr0
	s_xor_b32 exec_lo, exec_lo, s28
	s_cbranch_execz .LBB127_6092
.LBB127_5754:
	v_mov_b64_e32 v[8:9], 0
	s_and_saveexec_b32 s29, s48
	s_cbranch_execz .LBB127_5767
; %bb.5755:
	v_mul_u64_e32 v[10:11], v[22:23], v[12:13]
	s_load_b128 s[12:15], s[2:3], 0x298
	v_mov_b64_e32 v[8:9], 0
	s_mov_b32 s9, 0
	v_mov_b32_e32 v12, 0
	s_lshl_b64 s[16:17], s[8:9], 3
	s_mov_b64 s[6:7], 0xffffffff
	s_wait_kmcnt 0x0
	s_add_nc_u64 s[10:11], s[12:13], s[16:17]
	s_add_nc_u64 s[12:13], s[14:15], s[16:17]
	s_branch .LBB127_5763
.LBB127_5756:
	s_mov_b32 s6, 0
	s_mov_b32 s7, 0
                                        ; implicit-def: $vgpr42_vgpr43
                                        ; implicit-def: $sgpr0
.LBB127_5757:
	s_and_not1_b32 s1, s1, exec_lo
	s_and_b32 s2, s23, exec_lo
	s_and_b32 s24, s7, exec_lo
	s_and_b32 s9, s6, exec_lo
	s_or_b32 s1, s1, s2
.LBB127_5758:
	s_wait_xcnt 0x0
	s_or_b32 exec_lo, exec_lo, s22
	s_delay_alu instid0(SALU_CYCLE_1)
	s_and_not1_b32 s2, s65, exec_lo
	s_and_b32 s3, s1, exec_lo
	s_and_b32 s22, s24, exec_lo
	;; [unrolled: 1-line block ×3, first 2 shown]
	s_or_b32 s65, s2, s3
.LBB127_5759:
	s_or_b32 exec_lo, exec_lo, s66
	s_delay_alu instid0(SALU_CYCLE_1)
	s_and_not1_b32 s2, s63, exec_lo
	s_and_b32 s3, s65, exec_lo
	s_and_b32 s9, s22, exec_lo
	;; [unrolled: 1-line block ×3, first 2 shown]
	s_or_b32 s63, s2, s3
.LBB127_5760:
	s_or_b32 exec_lo, exec_lo, s64
	s_delay_alu instid0(SALU_CYCLE_1)
	s_and_not1_b32 s2, s56, exec_lo
	s_and_b32 s3, s63, exec_lo
	s_and_b32 s9, s9, exec_lo
	;; [unrolled: 1-line block ×3, first 2 shown]
	s_or_b32 s56, s2, s3
.LBB127_5761:
	s_or_b32 exec_lo, exec_lo, s62
	s_branch .LBB127_5091
.LBB127_5762:                           ;   in Loop: Header=BB127_5763 Depth=1
	s_or_b32 exec_lo, exec_lo, s0
	global_load_b64 v[20:21], v12, s[12:13]
	v_mul_u64_e32 v[22:23], s[14:15], v[18:19]
	s_add_co_i32 s46, s46, -1
	s_add_nc_u64 s[10:11], s[10:11], -8
	s_cmp_eq_u32 s46, 0
	s_wait_xcnt 0x0
	s_add_nc_u64 s[12:13], s[12:13], -8
	s_delay_alu instid0(VALU_DEP_1) | instskip(SKIP_1) | instid1(VALU_DEP_1)
	v_sub_nc_u64_e32 v[10:11], v[10:11], v[22:23]
	s_wait_loadcnt 0x0
	v_mad_nc_u64_u32 v[8:9], v10, v20, v[8:9]
	s_delay_alu instid0(VALU_DEP_1) | instskip(NEXT) | instid1(VALU_DEP_1)
	v_mad_u32 v1, v11, v20, v9
	v_mad_u32 v9, v10, v21, v1
	v_mov_b64_e32 v[10:11], v[18:19]
	s_cbranch_scc1 .LBB127_5767
.LBB127_5763:                           ; =>This Inner Loop Header: Depth=1
	global_load_b64 v[18:19], v12, s[10:11]
	s_mov_b32 s0, exec_lo
	s_wait_loadcnt 0x0
	v_or_b32_e32 v13, v11, v19
	v_readfirstlane_b32 s14, v18
	v_readfirstlane_b32 s15, v19
                                        ; implicit-def: $vgpr18_vgpr19
	s_wait_xcnt 0x0
	s_delay_alu instid0(VALU_DEP_3)
	v_cmpx_ne_u64_e32 0, v[12:13]
	s_xor_b32 s30, exec_lo, s0
	s_cbranch_execz .LBB127_5765
; %bb.5764:                             ;   in Loop: Header=BB127_5763 Depth=1
	s_ashr_i32 s16, s15, 31
	v_dual_mov_b32 v23, v12 :: v_dual_ashrrev_i32 v18, 31, v11
	s_mov_b32 s17, s16
	s_delay_alu instid0(SALU_CYCLE_1) | instskip(NEXT) | instid1(VALU_DEP_1)
	s_add_nc_u64 s[18:19], s[14:15], s[16:17]
	v_mov_b32_e32 v19, v18
	s_xor_b64 s[18:19], s[18:19], s[16:17]
	s_delay_alu instid0(SALU_CYCLE_1)
	s_cvt_f32_u32 s0, s18
	s_cvt_f32_u32 s8, s19
	s_sub_nc_u64 s[58:59], 0, s[18:19]
	v_add_nc_u64_e32 v[20:21], v[10:11], v[18:19]
	v_mov_b32_e32 v27, v12
	s_fmamk_f32 s0, s8, 0x4f800000, s0
	s_delay_alu instid0(SALU_CYCLE_3) | instskip(NEXT) | instid1(VALU_DEP_2)
	v_s_rcp_f32 s0, s0
	v_xor_b32_e32 v22, v20, v18
	s_delay_alu instid0(VALU_DEP_3) | instskip(NEXT) | instid1(TRANS32_DEP_1)
	v_dual_mov_b32 v31, v12 :: v_dual_bitop2_b32 v26, v21, v18 bitop3:0x14
	s_mul_f32 s0, s0, 0x5f7ffffc
	s_delay_alu instid0(SALU_CYCLE_3) | instskip(NEXT) | instid1(SALU_CYCLE_3)
	s_mul_f32 s8, s0, 0x2f800000
	s_trunc_f32 s8, s8
	s_delay_alu instid0(SALU_CYCLE_3) | instskip(SKIP_1) | instid1(SALU_CYCLE_2)
	s_fmamk_f32 s0, s8, 0xcf800000, s0
	s_cvt_u32_f32 s35, s8
	s_cvt_u32_f32 s34, s0
	s_delay_alu instid0(SALU_CYCLE_3) | instskip(NEXT) | instid1(SALU_CYCLE_1)
	s_mul_u64 s[60:61], s[58:59], s[34:35]
	s_mul_hi_u32 s69, s34, s61
	s_mul_i32 s68, s34, s61
	s_mul_hi_u32 s8, s34, s60
	s_mul_i32 s17, s35, s60
	s_add_nc_u64 s[68:69], s[8:9], s[68:69]
	s_mul_hi_u32 s0, s35, s60
	s_mul_hi_u32 s31, s35, s61
	s_add_co_u32 s8, s68, s17
	s_add_co_ci_u32 s8, s69, s0
	s_mul_i32 s60, s35, s61
	s_add_co_ci_u32 s61, s31, 0
	s_delay_alu instid0(SALU_CYCLE_1) | instskip(NEXT) | instid1(SALU_CYCLE_1)
	s_add_nc_u64 s[60:61], s[8:9], s[60:61]
	s_add_co_u32 s34, s34, s60
	s_cselect_b32 s0, -1, 0
	s_delay_alu instid0(SALU_CYCLE_1) | instskip(SKIP_1) | instid1(SALU_CYCLE_1)
	s_cmp_lg_u32 s0, 0
	s_add_co_ci_u32 s35, s35, s61
	s_mul_u64 s[58:59], s[58:59], s[34:35]
	s_delay_alu instid0(SALU_CYCLE_1)
	s_mul_hi_u32 s61, s34, s59
	s_mul_i32 s60, s34, s59
	s_mul_hi_u32 s8, s34, s58
	s_mul_i32 s17, s35, s58
	s_add_nc_u64 s[60:61], s[8:9], s[60:61]
	s_mul_hi_u32 s0, s35, s58
	s_mul_hi_u32 s31, s35, s59
	s_add_co_u32 s8, s60, s17
	s_add_co_ci_u32 s8, s61, s0
	s_mul_i32 s58, s35, s59
	s_add_co_ci_u32 s59, s31, 0
	s_delay_alu instid0(SALU_CYCLE_1) | instskip(NEXT) | instid1(SALU_CYCLE_1)
	s_add_nc_u64 s[58:59], s[8:9], s[58:59]
	s_add_co_u32 s0, s34, s58
	s_cselect_b32 s8, -1, 0
	v_mul_hi_u32 v30, v22, s0
	s_cmp_lg_u32 s8, 0
	s_add_co_ci_u32 s8, s35, s59
	s_and_b64 s[34:35], s[0:1], s[6:7]
	v_mul_u64_e32 v[24:25], s[8:9], v[22:23]
	v_mul_u64_e32 v[20:21], s[34:35], v[26:27]
	;; [unrolled: 1-line block ×3, first 2 shown]
	s_delay_alu instid0(VALU_DEP_3) | instskip(NEXT) | instid1(VALU_DEP_1)
	v_add_nc_u64_e32 v[24:25], v[30:31], v[24:25]
	v_add_co_u32 v1, vcc_lo, v24, v20
	s_delay_alu instid0(VALU_DEP_2) | instskip(NEXT) | instid1(VALU_DEP_4)
	v_add_co_ci_u32_e32 v30, vcc_lo, v25, v21, vcc_lo
	v_add_co_ci_u32_e32 v29, vcc_lo, 0, v29, vcc_lo
	s_delay_alu instid0(VALU_DEP_1) | instskip(NEXT) | instid1(VALU_DEP_1)
	v_add_nc_u64_e32 v[20:21], v[30:31], v[28:29]
	v_mul_u64_e32 v[24:25], s[18:19], v[20:21]
	s_delay_alu instid0(VALU_DEP_1) | instskip(NEXT) | instid1(VALU_DEP_2)
	v_sub_nc_u32_e32 v1, v26, v25
	v_sub_co_u32 v3, vcc_lo, v22, v24
	s_delay_alu instid0(VALU_DEP_1) | instskip(NEXT) | instid1(VALU_DEP_3)
	v_sub_co_ci_u32_e64 v7, null, v26, v25, vcc_lo
	v_subrev_co_ci_u32_e64 v1, null, s19, v1, vcc_lo
	s_delay_alu instid0(VALU_DEP_3) | instskip(SKIP_1) | instid1(VALU_DEP_3)
	v_sub_co_u32 v5, s0, v3, s18
	v_add_nc_u64_e32 v[22:23], 2, v[20:21]
	v_subrev_co_ci_u32_e64 v1, null, 0, v1, s0
	s_delay_alu instid0(VALU_DEP_3) | instskip(SKIP_2) | instid1(VALU_DEP_4)
	v_cmp_le_u32_e32 vcc_lo, s18, v5
	v_add_nc_u64_e32 v[24:25], 1, v[20:21]
	v_cndmask_b32_e64 v5, 0, -1, vcc_lo
	v_cmp_le_u32_e32 vcc_lo, s19, v1
	v_cndmask_b32_e64 v13, 0, -1, vcc_lo
	v_cmp_le_u32_e32 vcc_lo, s18, v3
	;; [unrolled: 2-line block ×3, first 2 shown]
	v_cndmask_b32_e64 v19, 0, -1, vcc_lo
	v_cmp_eq_u32_e32 vcc_lo, s19, v1
	v_cndmask_b32_e32 v1, v13, v5, vcc_lo
	v_cmp_eq_u32_e32 vcc_lo, s19, v7
	s_delay_alu instid0(VALU_DEP_4) | instskip(NEXT) | instid1(VALU_DEP_3)
	v_cndmask_b32_e32 v3, v19, v3, vcc_lo
	v_cmp_ne_u32_e32 vcc_lo, 0, v1
	s_delay_alu instid0(VALU_DEP_2) | instskip(SKIP_1) | instid1(VALU_DEP_1)
	v_cmp_ne_u32_e64 s0, 0, v3
	v_dual_cndmask_b32 v1, v25, v23, vcc_lo :: v_dual_cndmask_b32 v3, v24, v22, vcc_lo
	v_dual_cndmask_b32 v1, v21, v1, s0 :: v_dual_bitop2_b32 v18, s16, v18 bitop3:0x14
	s_delay_alu instid0(VALU_DEP_1) | instskip(NEXT) | instid1(VALU_DEP_2)
	v_dual_cndmask_b32 v3, v20, v3, s0 :: v_dual_mov_b32 v19, v18
	v_xor_b32_e32 v21, v1, v18
	s_delay_alu instid0(VALU_DEP_2) | instskip(NEXT) | instid1(VALU_DEP_1)
	v_xor_b32_e32 v20, v3, v18
	v_sub_nc_u64_e32 v[18:19], v[20:21], v[18:19]
.LBB127_5765:                           ;   in Loop: Header=BB127_5763 Depth=1
	s_and_not1_saveexec_b32 s0, s30
	s_cbranch_execz .LBB127_5762
; %bb.5766:                             ;   in Loop: Header=BB127_5763 Depth=1
	v_cvt_f32_u32_e32 v1, s14
	s_sub_co_i32 s8, 0, s14
	v_mov_b32_e32 v19, v12
	s_delay_alu instid0(VALU_DEP_2) | instskip(SKIP_1) | instid1(TRANS32_DEP_1)
	v_rcp_iflag_f32_e32 v1, v1
	v_nop
	v_mul_f32_e32 v1, 0x4f7ffffe, v1
	s_delay_alu instid0(VALU_DEP_1) | instskip(NEXT) | instid1(VALU_DEP_1)
	v_cvt_u32_f32_e32 v1, v1
	v_mul_lo_u32 v3, s8, v1
	s_delay_alu instid0(VALU_DEP_1) | instskip(NEXT) | instid1(VALU_DEP_1)
	v_mul_hi_u32 v3, v1, v3
	v_add_nc_u32_e32 v1, v1, v3
	s_delay_alu instid0(VALU_DEP_1) | instskip(NEXT) | instid1(VALU_DEP_1)
	v_mul_hi_u32 v1, v10, v1
	v_mul_lo_u32 v3, v1, s14
	s_delay_alu instid0(VALU_DEP_1) | instskip(NEXT) | instid1(VALU_DEP_1)
	v_sub_nc_u32_e32 v3, v10, v3
	v_subrev_nc_u32_e32 v7, s14, v3
	v_cmp_le_u32_e32 vcc_lo, s14, v3
	s_delay_alu instid0(VALU_DEP_2) | instskip(NEXT) | instid1(VALU_DEP_1)
	v_dual_add_nc_u32 v5, 1, v1 :: v_dual_cndmask_b32 v3, v3, v7, vcc_lo
	v_cndmask_b32_e32 v1, v1, v5, vcc_lo
	s_delay_alu instid0(VALU_DEP_2) | instskip(NEXT) | instid1(VALU_DEP_2)
	v_cmp_le_u32_e32 vcc_lo, s14, v3
	v_add_nc_u32_e32 v5, 1, v1
	s_delay_alu instid0(VALU_DEP_1)
	v_cndmask_b32_e32 v18, v1, v5, vcc_lo
	s_branch .LBB127_5762
.LBB127_5767:
	s_or_b32 exec_lo, exec_lo, s29
	s_mov_b32 s10, -1
	s_mov_b32 s6, s27
	s_mov_b32 s0, exec_lo
	v_cmpx_gt_i64_e64 v[14:15], v[16:17]
	s_cbranch_execz .LBB127_5774
; %bb.5768:
	s_delay_alu instid0(VALU_DEP_2) | instskip(SKIP_2) | instid1(VALU_DEP_1)
	v_lshlrev_b64_e32 v[8:9], 3, v[8:9]
	s_mov_b32 s7, 0
	s_xor_b32 s8, s47, -1
                                        ; implicit-def: $sgpr6
                                        ; implicit-def: $sgpr10
                                        ; implicit-def: $sgpr9
	v_lshl_add_u64 v[10:11], v[16:17], 3, v[8:9]
	s_wait_kmcnt 0x0
	v_add_nc_u64_e32 v[12:13], s[20:21], v[8:9]
	s_delay_alu instid0(VALU_DEP_2) | instskip(NEXT) | instid1(VALU_DEP_1)
	v_add_nc_u64_e32 v[10:11], s[20:21], v[10:11]
	v_add_nc_u64_e32 v[8:9], 8, v[10:11]
	s_delay_alu instid0(VALU_DEP_3)
	v_lshl_add_u64 v[10:11], v[14:15], 3, v[12:13]
	s_branch .LBB127_5770
.LBB127_5769:                           ;   in Loop: Header=BB127_5770 Depth=1
	s_or_b32 exec_lo, exec_lo, s11
	s_xor_b32 s11, s9, -1
	s_and_b32 s12, exec_lo, s10
	s_delay_alu instid0(SALU_CYCLE_1) | instskip(SKIP_2) | instid1(SALU_CYCLE_1)
	s_or_b32 s7, s12, s7
	s_and_not1_b32 s6, s6, exec_lo
	s_and_b32 s11, s11, exec_lo
	s_or_b32 s6, s6, s11
	s_and_not1_b32 exec_lo, exec_lo, s7
	s_cbranch_execz .LBB127_5772
.LBB127_5770:                           ; =>This Inner Loop Header: Depth=1
	s_or_b32 s9, s9, exec_lo
	s_or_b32 s10, s10, exec_lo
	s_mov_b32 s11, exec_lo
	s_delay_alu instid0(VALU_DEP_2)
	v_cmpx_lt_u64_e64 v[8:9], v[10:11]
	s_cbranch_execz .LBB127_5769
; %bb.5771:                             ;   in Loop: Header=BB127_5770 Depth=1
	global_load_b128 v[12:15], v[8:9], off offset:-8
	s_wait_xcnt 0x0
	v_add_nc_u64_e32 v[8:9], 8, v[8:9]
	s_and_not1_b32 s10, s10, exec_lo
	s_and_not1_b32 s9, s9, exec_lo
	s_wait_loadcnt 0x0
	v_cmp_ge_i64_e32 vcc_lo, v[12:13], v[14:15]
	s_or_b32 s12, s8, vcc_lo
	s_delay_alu instid0(SALU_CYCLE_1) | instskip(NEXT) | instid1(SALU_CYCLE_1)
	s_and_b32 s12, s12, exec_lo
	s_or_b32 s10, s10, s12
	s_branch .LBB127_5769
.LBB127_5772:
	s_or_b32 exec_lo, exec_lo, s7
	s_mov_b32 s7, -1
	s_mov_b32 s8, s27
	s_and_saveexec_b32 s9, s6
	s_delay_alu instid0(SALU_CYCLE_1)
	s_xor_b32 s6, exec_lo, s9
	s_cbranch_execnz .LBB127_6096
.LBB127_5773:
	s_or_b32 exec_lo, exec_lo, s6
	s_delay_alu instid0(SALU_CYCLE_1)
	s_and_not1_b32 s6, s27, exec_lo
	s_and_b32 s8, s8, exec_lo
	s_or_not1_b32 s10, s7, exec_lo
	s_or_b32 s6, s6, s8
.LBB127_5774:
	s_or_b32 exec_lo, exec_lo, s0
	s_mov_b32 s8, 0
	s_mov_b32 s9, 0
                                        ; implicit-def: $vgpr42_vgpr43
                                        ; implicit-def: $sgpr0
	s_and_saveexec_b32 s7, s10
	s_cbranch_execz .LBB127_6091
; %bb.5775:
	s_load_b32 s0, s[2:3], 0x2b0
	v_mov_b32_e32 v7, 0
	s_delay_alu instid0(VALU_DEP_1) | instskip(SKIP_2) | instid1(SALU_CYCLE_1)
	v_add_nc_u64_e32 v[6:7], s[4:5], v[6:7]
	s_wait_kmcnt 0x0
	s_and_b32 s0, s0, 0xff
	s_cmp_lt_i32 s0, 11
	s_cbranch_scc1 .LBB127_5824
; %bb.5776:
	s_and_b32 s2, 0xffff, s0
	s_mov_b32 s10, -1
	s_cmp_gt_i32 s2, 25
	s_mov_b32 s3, 0
	s_cbranch_scc0 .LBB127_5801
; %bb.5777:
	s_cmp_gt_i32 s2, 28
	s_cbranch_scc0 .LBB127_5790
; %bb.5778:
	s_cmp_gt_i32 s2, 43
	;; [unrolled: 3-line block ×3, first 2 shown]
	s_cbranch_scc0 .LBB127_5782
; %bb.5780:
	s_mov_b32 s3, -1
	s_mov_b32 s10, 0
	s_cmp_eq_u32 s2, 46
	s_cbranch_scc0 .LBB127_5782
; %bb.5781:
	v_mov_b32_e32 v1, 0
	s_mov_b32 s3, 0
	s_mov_b32 s8, -1
	global_store_b32 v[6:7], v1, off
.LBB127_5782:
	s_and_b32 vcc_lo, exec_lo, s10
	s_cbranch_vccz .LBB127_5785
; %bb.5783:
	s_cmp_eq_u32 s2, 44
	s_mov_b32 s3, -1
	s_cbranch_scc0 .LBB127_5785
; %bb.5784:
	s_wait_xcnt 0x0
	v_mov_b32_e32 v1, 0
	s_mov_b32 s3, 0
	s_mov_b32 s8, -1
	global_store_b8 v[6:7], v1, off
.LBB127_5785:
	s_mov_b32 s10, 0
.LBB127_5786:
	s_delay_alu instid0(SALU_CYCLE_1)
	s_and_b32 vcc_lo, exec_lo, s10
	s_cbranch_vccz .LBB127_5789
; %bb.5787:
	s_cmp_eq_u32 s2, 29
	s_mov_b32 s3, -1
	s_cbranch_scc0 .LBB127_5789
; %bb.5788:
	v_mov_b64_e32 v[8:9], 0
	s_mov_b32 s3, 0
	s_mov_b32 s8, -1
	global_store_b64 v[6:7], v[8:9], off
.LBB127_5789:
	s_mov_b32 s10, 0
.LBB127_5790:
	s_delay_alu instid0(SALU_CYCLE_1)
	s_and_b32 vcc_lo, exec_lo, s10
	s_cbranch_vccz .LBB127_5800
; %bb.5791:
	s_cmp_lt_i32 s2, 27
	s_mov_b32 s8, -1
	s_cbranch_scc1 .LBB127_5797
; %bb.5792:
	s_cmp_gt_i32 s2, 27
	s_cbranch_scc0 .LBB127_5794
; %bb.5793:
	s_wait_xcnt 0x0
	v_mov_b32_e32 v1, 0
	s_mov_b32 s8, 0
	global_store_b32 v[6:7], v1, off
.LBB127_5794:
	s_and_not1_b32 vcc_lo, exec_lo, s8
	s_cbranch_vccnz .LBB127_5796
; %bb.5795:
	s_wait_xcnt 0x0
	v_mov_b32_e32 v1, 0
	global_store_b16 v[6:7], v1, off
.LBB127_5796:
	s_mov_b32 s8, 0
.LBB127_5797:
	s_delay_alu instid0(SALU_CYCLE_1)
	s_and_not1_b32 vcc_lo, exec_lo, s8
	s_cbranch_vccnz .LBB127_5799
; %bb.5798:
	s_wait_xcnt 0x0
	v_mov_b32_e32 v1, 0
	global_store_b8 v[6:7], v1, off
.LBB127_5799:
	s_mov_b32 s8, -1
.LBB127_5800:
	s_mov_b32 s10, 0
.LBB127_5801:
	s_delay_alu instid0(SALU_CYCLE_1)
	s_and_b32 vcc_lo, exec_lo, s10
	s_cbranch_vccz .LBB127_5819
; %bb.5802:
	s_cmp_gt_i32 s2, 22
	s_mov_b32 s9, -1
	s_cbranch_scc0 .LBB127_5812
; %bb.5803:
	s_cmp_lt_i32 s2, 24
	s_mov_b32 s8, -1
	s_cbranch_scc1 .LBB127_5809
; %bb.5804:
	s_cmp_gt_i32 s2, 24
	s_cbranch_scc0 .LBB127_5806
; %bb.5805:
	s_wait_xcnt 0x0
	v_mov_b32_e32 v1, 0
	s_mov_b32 s8, 0
	global_store_b8 v[6:7], v1, off
.LBB127_5806:
	s_and_not1_b32 vcc_lo, exec_lo, s8
	s_cbranch_vccnz .LBB127_5808
; %bb.5807:
	s_wait_xcnt 0x0
	v_mov_b32_e32 v1, 0
	global_store_b8 v[6:7], v1, off
.LBB127_5808:
	s_mov_b32 s8, 0
.LBB127_5809:
	s_delay_alu instid0(SALU_CYCLE_1)
	s_and_not1_b32 vcc_lo, exec_lo, s8
	s_cbranch_vccnz .LBB127_5811
; %bb.5810:
	s_wait_xcnt 0x0
	v_mov_b32_e32 v1, 0
	global_store_b8 v[6:7], v1, off
.LBB127_5811:
	s_mov_b32 s9, 0
	s_mov_b32 s8, -1
.LBB127_5812:
	s_and_not1_b32 vcc_lo, exec_lo, s9
	s_mov_b32 s9, 0
	s_cbranch_vccnz .LBB127_5819
; %bb.5813:
	s_cmp_gt_i32 s2, 14
	s_mov_b32 s9, -1
	s_cbranch_scc0 .LBB127_5817
; %bb.5814:
	s_cmp_eq_u32 s2, 15
	s_mov_b32 s3, -1
	s_cbranch_scc0 .LBB127_5816
; %bb.5815:
	s_wait_xcnt 0x0
	v_mov_b32_e32 v1, 0
	s_mov_b32 s3, 0
	s_mov_b32 s8, -1
	global_store_b16 v[6:7], v1, off
.LBB127_5816:
	s_mov_b32 s9, 0
.LBB127_5817:
	s_delay_alu instid0(SALU_CYCLE_1)
	s_and_b32 vcc_lo, exec_lo, s9
	s_mov_b32 s9, 0
	s_cbranch_vccz .LBB127_5819
; %bb.5818:
	s_cmp_lg_u32 s2, 11
	s_mov_b32 s9, -1
	s_cselect_b32 s3, -1, 0
.LBB127_5819:
	s_delay_alu instid0(SALU_CYCLE_1)
	s_and_b32 vcc_lo, exec_lo, s3
	s_mov_b32 s2, s6
	s_cbranch_vccnz .LBB127_6097
; %bb.5820:
	s_and_not1_b32 vcc_lo, exec_lo, s9
	s_cbranch_vccnz .LBB127_5822
.LBB127_5821:
	s_wait_xcnt 0x0
	v_mov_b32_e32 v1, 0
	s_mov_b32 s8, -1
	global_store_b8 v[6:7], v1, off
.LBB127_5822:
	s_mov_b32 s3, 0
	s_branch .LBB127_5825
.LBB127_5823:
	s_or_b32 s23, s23, exec_lo
	s_trap 2
	s_cbranch_execz .LBB127_5696
	s_branch .LBB127_5697
.LBB127_5824:
	s_mov_b32 s3, -1
	s_mov_b32 s2, s6
.LBB127_5825:
	s_and_b32 vcc_lo, exec_lo, s3
	s_cbranch_vccz .LBB127_5864
; %bb.5826:
	s_and_b32 s3, 0xffff, s0
	s_mov_b32 s8, -1
	s_cmp_lt_i32 s3, 5
	s_cbranch_scc1 .LBB127_5847
; %bb.5827:
	s_cmp_lt_i32 s3, 8
	s_cbranch_scc1 .LBB127_5837
; %bb.5828:
	;; [unrolled: 3-line block ×3, first 2 shown]
	s_cmp_gt_i32 s3, 9
	s_cbranch_scc0 .LBB127_5831
; %bb.5830:
	s_wait_xcnt 0x0
	v_mov_b32_e32 v8, 0
	s_mov_b32 s8, 0
	s_delay_alu instid0(VALU_DEP_1)
	v_dual_mov_b32 v9, v8 :: v_dual_mov_b32 v10, v8
	v_mov_b32_e32 v11, v8
	global_store_b128 v[6:7], v[8:11], off
.LBB127_5831:
	s_and_not1_b32 vcc_lo, exec_lo, s8
	s_cbranch_vccnz .LBB127_5833
; %bb.5832:
	s_wait_xcnt 0x0
	v_mov_b64_e32 v[8:9], 0
	global_store_b64 v[6:7], v[8:9], off
.LBB127_5833:
	s_mov_b32 s8, 0
.LBB127_5834:
	s_delay_alu instid0(SALU_CYCLE_1)
	s_and_not1_b32 vcc_lo, exec_lo, s8
	s_cbranch_vccnz .LBB127_5836
; %bb.5835:
	s_wait_xcnt 0x0
	v_mov_b32_e32 v1, 0
	global_store_b32 v[6:7], v1, off
.LBB127_5836:
	s_mov_b32 s8, 0
.LBB127_5837:
	s_delay_alu instid0(SALU_CYCLE_1)
	s_and_not1_b32 vcc_lo, exec_lo, s8
	s_cbranch_vccnz .LBB127_5846
; %bb.5838:
	s_cmp_lt_i32 s3, 6
	s_mov_b32 s8, -1
	s_cbranch_scc1 .LBB127_5844
; %bb.5839:
	s_cmp_gt_i32 s3, 6
	s_cbranch_scc0 .LBB127_5841
; %bb.5840:
	s_wait_xcnt 0x0
	v_mov_b64_e32 v[8:9], 0
	s_mov_b32 s8, 0
	global_store_b64 v[6:7], v[8:9], off
.LBB127_5841:
	s_and_not1_b32 vcc_lo, exec_lo, s8
	s_cbranch_vccnz .LBB127_5843
; %bb.5842:
	s_wait_xcnt 0x0
	v_mov_b32_e32 v1, 0
	global_store_b32 v[6:7], v1, off
.LBB127_5843:
	s_mov_b32 s8, 0
.LBB127_5844:
	s_delay_alu instid0(SALU_CYCLE_1)
	s_and_not1_b32 vcc_lo, exec_lo, s8
	s_cbranch_vccnz .LBB127_5846
; %bb.5845:
	s_wait_xcnt 0x0
	v_mov_b32_e32 v1, 0
	global_store_b16 v[6:7], v1, off
.LBB127_5846:
	s_mov_b32 s8, 0
.LBB127_5847:
	s_delay_alu instid0(SALU_CYCLE_1)
	s_and_not1_b32 vcc_lo, exec_lo, s8
	s_cbranch_vccnz .LBB127_5863
; %bb.5848:
	s_cmp_lt_i32 s3, 2
	s_mov_b32 s8, -1
	s_cbranch_scc1 .LBB127_5858
; %bb.5849:
	s_cmp_lt_i32 s3, 3
	s_cbranch_scc1 .LBB127_5855
; %bb.5850:
	s_cmp_gt_i32 s3, 3
	s_cbranch_scc0 .LBB127_5852
; %bb.5851:
	s_wait_xcnt 0x0
	v_mov_b64_e32 v[8:9], 0
	s_mov_b32 s8, 0
	global_store_b64 v[6:7], v[8:9], off
.LBB127_5852:
	s_and_not1_b32 vcc_lo, exec_lo, s8
	s_cbranch_vccnz .LBB127_5854
; %bb.5853:
	s_wait_xcnt 0x0
	v_mov_b32_e32 v1, 0
	global_store_b32 v[6:7], v1, off
.LBB127_5854:
	s_mov_b32 s8, 0
.LBB127_5855:
	s_delay_alu instid0(SALU_CYCLE_1)
	s_and_not1_b32 vcc_lo, exec_lo, s8
	s_cbranch_vccnz .LBB127_5857
; %bb.5856:
	s_wait_xcnt 0x0
	v_mov_b32_e32 v1, 0
	global_store_b16 v[6:7], v1, off
.LBB127_5857:
	s_mov_b32 s8, 0
.LBB127_5858:
	s_delay_alu instid0(SALU_CYCLE_1)
	s_and_not1_b32 vcc_lo, exec_lo, s8
	s_cbranch_vccnz .LBB127_5863
; %bb.5859:
	s_cmp_gt_i32 s3, 0
	s_mov_b32 s3, -1
	s_cbranch_scc0 .LBB127_5861
; %bb.5860:
	s_wait_xcnt 0x0
	v_mov_b32_e32 v1, 0
	s_mov_b32 s3, 0
	global_store_b8 v[6:7], v1, off
.LBB127_5861:
	s_and_not1_b32 vcc_lo, exec_lo, s3
	s_cbranch_vccnz .LBB127_5863
; %bb.5862:
	s_wait_xcnt 0x0
	v_mov_b32_e32 v1, 0
	global_store_b8 v[6:7], v1, off
.LBB127_5863:
	s_mov_b32 s8, -1
.LBB127_5864:
	s_delay_alu instid0(SALU_CYCLE_1)
	s_and_not1_b32 vcc_lo, exec_lo, s8
	s_cbranch_vccnz .LBB127_6089
; %bb.5865:
	v_mov_b32_e32 v5, 0
	s_and_b32 s3, 0xffff, s0
	s_delay_alu instid0(SALU_CYCLE_1) | instskip(NEXT) | instid1(VALU_DEP_1)
	s_cmp_lt_i32 s3, 11
	v_add_nc_u64_e32 v[4:5], s[4:5], v[4:5]
	s_cbranch_scc1 .LBB127_5913
; %bb.5866:
	s_mov_b32 s11, -1
	s_mov_b32 s10, 0
	s_cmp_gt_i32 s3, 25
	s_mov_b32 s9, 0
	s_mov_b32 s8, 0
	s_cbranch_scc0 .LBB127_5891
; %bb.5867:
	s_cmp_gt_i32 s3, 28
	s_cbranch_scc0 .LBB127_5880
; %bb.5868:
	s_cmp_gt_i32 s3, 43
	;; [unrolled: 3-line block ×3, first 2 shown]
	s_cbranch_scc0 .LBB127_5872
; %bb.5870:
	s_mov_b32 s8, -1
	s_mov_b32 s11, 0
	s_cmp_eq_u32 s3, 46
	s_cbranch_scc0 .LBB127_5872
; %bb.5871:
	s_wait_xcnt 0x0
	v_mov_b32_e32 v1, 0
	s_mov_b32 s8, 0
	s_mov_b32 s9, -1
	global_store_b32 v[4:5], v1, off
.LBB127_5872:
	s_and_b32 vcc_lo, exec_lo, s11
	s_cbranch_vccz .LBB127_5875
; %bb.5873:
	s_cmp_eq_u32 s3, 44
	s_mov_b32 s8, -1
	s_cbranch_scc0 .LBB127_5875
; %bb.5874:
	s_wait_xcnt 0x0
	v_mov_b32_e32 v1, 0
	s_mov_b32 s8, 0
	s_mov_b32 s9, -1
	global_store_b8 v[4:5], v1, off
.LBB127_5875:
	s_mov_b32 s11, 0
.LBB127_5876:
	s_delay_alu instid0(SALU_CYCLE_1)
	s_and_b32 vcc_lo, exec_lo, s11
	s_cbranch_vccz .LBB127_5879
; %bb.5877:
	s_cmp_eq_u32 s3, 29
	s_mov_b32 s8, -1
	s_cbranch_scc0 .LBB127_5879
; %bb.5878:
	s_wait_xcnt 0x0
	v_mov_b64_e32 v[6:7], 0
	s_mov_b32 s8, 0
	s_mov_b32 s9, -1
	global_store_b64 v[4:5], v[6:7], off
.LBB127_5879:
	s_mov_b32 s11, 0
.LBB127_5880:
	s_delay_alu instid0(SALU_CYCLE_1)
	s_and_b32 vcc_lo, exec_lo, s11
	s_cbranch_vccz .LBB127_5890
; %bb.5881:
	s_cmp_lt_i32 s3, 27
	s_mov_b32 s9, -1
	s_cbranch_scc1 .LBB127_5887
; %bb.5882:
	s_cmp_gt_i32 s3, 27
	s_cbranch_scc0 .LBB127_5884
; %bb.5883:
	s_wait_xcnt 0x0
	v_mov_b32_e32 v1, 0
	s_mov_b32 s9, 0
	global_store_b32 v[4:5], v1, off
.LBB127_5884:
	s_and_not1_b32 vcc_lo, exec_lo, s9
	s_cbranch_vccnz .LBB127_5886
; %bb.5885:
	s_wait_xcnt 0x0
	v_mov_b32_e32 v1, 0
	global_store_b16 v[4:5], v1, off
.LBB127_5886:
	s_mov_b32 s9, 0
.LBB127_5887:
	s_delay_alu instid0(SALU_CYCLE_1)
	s_and_not1_b32 vcc_lo, exec_lo, s9
	s_cbranch_vccnz .LBB127_5889
; %bb.5888:
	s_wait_xcnt 0x0
	v_mov_b32_e32 v1, 0
	global_store_b8 v[4:5], v1, off
.LBB127_5889:
	s_mov_b32 s9, -1
.LBB127_5890:
	s_mov_b32 s11, 0
.LBB127_5891:
	s_delay_alu instid0(SALU_CYCLE_1)
	s_and_b32 vcc_lo, exec_lo, s11
	s_cbranch_vccz .LBB127_5909
; %bb.5892:
	s_cmp_gt_i32 s3, 22
	s_mov_b32 s10, -1
	s_cbranch_scc0 .LBB127_5902
; %bb.5893:
	s_cmp_lt_i32 s3, 24
	s_mov_b32 s9, -1
	s_cbranch_scc1 .LBB127_5899
; %bb.5894:
	s_cmp_gt_i32 s3, 24
	s_cbranch_scc0 .LBB127_5896
; %bb.5895:
	s_wait_xcnt 0x0
	v_mov_b32_e32 v1, 0
	s_mov_b32 s9, 0
	global_store_b8 v[4:5], v1, off
.LBB127_5896:
	s_and_not1_b32 vcc_lo, exec_lo, s9
	s_cbranch_vccnz .LBB127_5898
; %bb.5897:
	s_wait_xcnt 0x0
	v_mov_b32_e32 v1, 0
	global_store_b8 v[4:5], v1, off
.LBB127_5898:
	s_mov_b32 s9, 0
.LBB127_5899:
	s_delay_alu instid0(SALU_CYCLE_1)
	s_and_not1_b32 vcc_lo, exec_lo, s9
	s_cbranch_vccnz .LBB127_5901
; %bb.5900:
	s_wait_xcnt 0x0
	v_mov_b32_e32 v1, 0
	global_store_b8 v[4:5], v1, off
.LBB127_5901:
	s_mov_b32 s10, 0
	s_mov_b32 s9, -1
.LBB127_5902:
	s_and_not1_b32 vcc_lo, exec_lo, s10
	s_mov_b32 s10, 0
	s_cbranch_vccnz .LBB127_5909
; %bb.5903:
	s_cmp_gt_i32 s3, 14
	s_mov_b32 s10, -1
	s_cbranch_scc0 .LBB127_5907
; %bb.5904:
	s_cmp_eq_u32 s3, 15
	s_mov_b32 s8, -1
	s_cbranch_scc0 .LBB127_5906
; %bb.5905:
	s_wait_xcnt 0x0
	v_mov_b32_e32 v1, 0
	s_mov_b32 s8, 0
	s_mov_b32 s9, -1
	global_store_b16 v[4:5], v1, off
.LBB127_5906:
	s_mov_b32 s10, 0
.LBB127_5907:
	s_delay_alu instid0(SALU_CYCLE_1)
	s_and_b32 vcc_lo, exec_lo, s10
	s_mov_b32 s10, 0
	s_cbranch_vccz .LBB127_5909
; %bb.5908:
	s_cmp_lg_u32 s3, 11
	s_mov_b32 s10, -1
	s_cselect_b32 s8, -1, 0
.LBB127_5909:
	s_delay_alu instid0(SALU_CYCLE_1)
	s_and_b32 vcc_lo, exec_lo, s8
	s_cbranch_vccnz .LBB127_6098
; %bb.5910:
	s_and_not1_b32 vcc_lo, exec_lo, s10
	s_cbranch_vccnz .LBB127_5912
.LBB127_5911:
	s_wait_xcnt 0x0
	v_mov_b32_e32 v1, 0
	s_mov_b32 s9, -1
	global_store_b8 v[4:5], v1, off
.LBB127_5912:
	s_mov_b32 s8, 0
	s_branch .LBB127_5914
.LBB127_5913:
	s_mov_b32 s8, -1
	s_mov_b32 s9, 0
.LBB127_5914:
	s_and_b32 vcc_lo, exec_lo, s8
	s_cbranch_vccz .LBB127_5953
; %bb.5915:
	s_cmp_lt_i32 s3, 5
	s_mov_b32 s8, -1
	s_cbranch_scc1 .LBB127_5936
; %bb.5916:
	s_cmp_lt_i32 s3, 8
	s_cbranch_scc1 .LBB127_5926
; %bb.5917:
	s_cmp_lt_i32 s3, 9
	s_cbranch_scc1 .LBB127_5923
; %bb.5918:
	s_cmp_gt_i32 s3, 9
	s_cbranch_scc0 .LBB127_5920
; %bb.5919:
	s_wait_xcnt 0x0
	v_mov_b32_e32 v6, 0
	s_mov_b32 s8, 0
	s_delay_alu instid0(VALU_DEP_1)
	v_dual_mov_b32 v7, v6 :: v_dual_mov_b32 v8, v6
	v_mov_b32_e32 v9, v6
	global_store_b128 v[4:5], v[6:9], off
.LBB127_5920:
	s_and_not1_b32 vcc_lo, exec_lo, s8
	s_cbranch_vccnz .LBB127_5922
; %bb.5921:
	s_wait_xcnt 0x0
	v_mov_b64_e32 v[6:7], 0
	global_store_b64 v[4:5], v[6:7], off
.LBB127_5922:
	s_mov_b32 s8, 0
.LBB127_5923:
	s_delay_alu instid0(SALU_CYCLE_1)
	s_and_not1_b32 vcc_lo, exec_lo, s8
	s_cbranch_vccnz .LBB127_5925
; %bb.5924:
	s_wait_xcnt 0x0
	v_mov_b32_e32 v1, 0
	global_store_b32 v[4:5], v1, off
.LBB127_5925:
	s_mov_b32 s8, 0
.LBB127_5926:
	s_delay_alu instid0(SALU_CYCLE_1)
	s_and_not1_b32 vcc_lo, exec_lo, s8
	s_cbranch_vccnz .LBB127_5935
; %bb.5927:
	s_cmp_lt_i32 s3, 6
	s_mov_b32 s8, -1
	s_cbranch_scc1 .LBB127_5933
; %bb.5928:
	s_cmp_gt_i32 s3, 6
	s_cbranch_scc0 .LBB127_5930
; %bb.5929:
	s_wait_xcnt 0x0
	v_mov_b64_e32 v[6:7], 0
	s_mov_b32 s8, 0
	global_store_b64 v[4:5], v[6:7], off
.LBB127_5930:
	s_and_not1_b32 vcc_lo, exec_lo, s8
	s_cbranch_vccnz .LBB127_5932
; %bb.5931:
	s_wait_xcnt 0x0
	v_mov_b32_e32 v1, 0
	global_store_b32 v[4:5], v1, off
.LBB127_5932:
	s_mov_b32 s8, 0
.LBB127_5933:
	s_delay_alu instid0(SALU_CYCLE_1)
	s_and_not1_b32 vcc_lo, exec_lo, s8
	s_cbranch_vccnz .LBB127_5935
; %bb.5934:
	s_wait_xcnt 0x0
	v_mov_b32_e32 v1, 0
	global_store_b16 v[4:5], v1, off
.LBB127_5935:
	s_mov_b32 s8, 0
.LBB127_5936:
	s_delay_alu instid0(SALU_CYCLE_1)
	s_and_not1_b32 vcc_lo, exec_lo, s8
	s_cbranch_vccnz .LBB127_5952
; %bb.5937:
	s_cmp_lt_i32 s3, 2
	s_mov_b32 s8, -1
	s_cbranch_scc1 .LBB127_5947
; %bb.5938:
	s_cmp_lt_i32 s3, 3
	s_cbranch_scc1 .LBB127_5944
; %bb.5939:
	s_cmp_gt_i32 s3, 3
	s_cbranch_scc0 .LBB127_5941
; %bb.5940:
	s_wait_xcnt 0x0
	v_mov_b64_e32 v[6:7], 0
	s_mov_b32 s8, 0
	global_store_b64 v[4:5], v[6:7], off
.LBB127_5941:
	s_and_not1_b32 vcc_lo, exec_lo, s8
	s_cbranch_vccnz .LBB127_5943
; %bb.5942:
	s_wait_xcnt 0x0
	v_mov_b32_e32 v1, 0
	global_store_b32 v[4:5], v1, off
.LBB127_5943:
	s_mov_b32 s8, 0
.LBB127_5944:
	s_delay_alu instid0(SALU_CYCLE_1)
	s_and_not1_b32 vcc_lo, exec_lo, s8
	s_cbranch_vccnz .LBB127_5946
; %bb.5945:
	s_wait_xcnt 0x0
	v_mov_b32_e32 v1, 0
	global_store_b16 v[4:5], v1, off
.LBB127_5946:
	s_mov_b32 s8, 0
.LBB127_5947:
	s_delay_alu instid0(SALU_CYCLE_1)
	s_and_not1_b32 vcc_lo, exec_lo, s8
	s_cbranch_vccnz .LBB127_5952
; %bb.5948:
	s_cmp_gt_i32 s3, 0
	s_mov_b32 s8, -1
	s_cbranch_scc0 .LBB127_5950
; %bb.5949:
	s_wait_xcnt 0x0
	v_mov_b32_e32 v1, 0
	s_mov_b32 s8, 0
	global_store_b8 v[4:5], v1, off
.LBB127_5950:
	s_and_not1_b32 vcc_lo, exec_lo, s8
	s_cbranch_vccnz .LBB127_5952
; %bb.5951:
	s_wait_xcnt 0x0
	v_mov_b32_e32 v1, 0
	global_store_b8 v[4:5], v1, off
.LBB127_5952:
	s_mov_b32 s9, -1
.LBB127_5953:
	s_delay_alu instid0(SALU_CYCLE_1)
	s_and_not1_b32 vcc_lo, exec_lo, s9
	s_cbranch_vccnz .LBB127_6089
; %bb.5954:
	v_mov_b32_e32 v3, 0
	s_cmp_lt_i32 s3, 11
	s_delay_alu instid0(VALU_DEP_1)
	v_add_nc_u64_e32 v[2:3], s[4:5], v[2:3]
	s_cbranch_scc1 .LBB127_6002
; %bb.5955:
	s_mov_b32 s11, -1
	s_mov_b32 s10, 0
	s_cmp_gt_i32 s3, 25
	s_mov_b32 s9, 0
	s_mov_b32 s8, 0
	s_cbranch_scc0 .LBB127_5980
; %bb.5956:
	s_cmp_gt_i32 s3, 28
	s_cbranch_scc0 .LBB127_5969
; %bb.5957:
	s_cmp_gt_i32 s3, 43
	;; [unrolled: 3-line block ×3, first 2 shown]
	s_cbranch_scc0 .LBB127_5961
; %bb.5959:
	s_mov_b32 s8, -1
	s_mov_b32 s11, 0
	s_cmp_eq_u32 s3, 46
	s_cbranch_scc0 .LBB127_5961
; %bb.5960:
	s_wait_xcnt 0x0
	v_mov_b32_e32 v1, 0
	s_mov_b32 s8, 0
	s_mov_b32 s9, -1
	global_store_b32 v[2:3], v1, off
.LBB127_5961:
	s_and_b32 vcc_lo, exec_lo, s11
	s_cbranch_vccz .LBB127_5964
; %bb.5962:
	s_cmp_eq_u32 s3, 44
	s_mov_b32 s8, -1
	s_cbranch_scc0 .LBB127_5964
; %bb.5963:
	s_wait_xcnt 0x0
	v_mov_b32_e32 v1, 0
	s_mov_b32 s8, 0
	s_mov_b32 s9, -1
	global_store_b8 v[2:3], v1, off
.LBB127_5964:
	s_mov_b32 s11, 0
.LBB127_5965:
	s_delay_alu instid0(SALU_CYCLE_1)
	s_and_b32 vcc_lo, exec_lo, s11
	s_cbranch_vccz .LBB127_5968
; %bb.5966:
	s_cmp_eq_u32 s3, 29
	s_mov_b32 s8, -1
	s_cbranch_scc0 .LBB127_5968
; %bb.5967:
	s_wait_xcnt 0x0
	v_mov_b64_e32 v[4:5], 0
	s_mov_b32 s8, 0
	s_mov_b32 s9, -1
	global_store_b64 v[2:3], v[4:5], off
.LBB127_5968:
	s_mov_b32 s11, 0
.LBB127_5969:
	s_delay_alu instid0(SALU_CYCLE_1)
	s_and_b32 vcc_lo, exec_lo, s11
	s_cbranch_vccz .LBB127_5979
; %bb.5970:
	s_cmp_lt_i32 s3, 27
	s_mov_b32 s9, -1
	s_cbranch_scc1 .LBB127_5976
; %bb.5971:
	s_cmp_gt_i32 s3, 27
	s_cbranch_scc0 .LBB127_5973
; %bb.5972:
	s_wait_xcnt 0x0
	v_mov_b32_e32 v1, 0
	s_mov_b32 s9, 0
	global_store_b32 v[2:3], v1, off
.LBB127_5973:
	s_and_not1_b32 vcc_lo, exec_lo, s9
	s_cbranch_vccnz .LBB127_5975
; %bb.5974:
	s_wait_xcnt 0x0
	v_mov_b32_e32 v1, 0
	global_store_b16 v[2:3], v1, off
.LBB127_5975:
	s_mov_b32 s9, 0
.LBB127_5976:
	s_delay_alu instid0(SALU_CYCLE_1)
	s_and_not1_b32 vcc_lo, exec_lo, s9
	s_cbranch_vccnz .LBB127_5978
; %bb.5977:
	s_wait_xcnt 0x0
	v_mov_b32_e32 v1, 0
	global_store_b8 v[2:3], v1, off
.LBB127_5978:
	s_mov_b32 s9, -1
.LBB127_5979:
	s_mov_b32 s11, 0
.LBB127_5980:
	s_delay_alu instid0(SALU_CYCLE_1)
	s_and_b32 vcc_lo, exec_lo, s11
	s_cbranch_vccz .LBB127_5998
; %bb.5981:
	s_cmp_gt_i32 s3, 22
	s_mov_b32 s10, -1
	s_cbranch_scc0 .LBB127_5991
; %bb.5982:
	s_cmp_lt_i32 s3, 24
	s_mov_b32 s9, -1
	s_cbranch_scc1 .LBB127_5988
; %bb.5983:
	s_cmp_gt_i32 s3, 24
	s_cbranch_scc0 .LBB127_5985
; %bb.5984:
	s_wait_xcnt 0x0
	v_mov_b32_e32 v1, 0
	s_mov_b32 s9, 0
	global_store_b8 v[2:3], v1, off
.LBB127_5985:
	s_and_not1_b32 vcc_lo, exec_lo, s9
	s_cbranch_vccnz .LBB127_5987
; %bb.5986:
	s_wait_xcnt 0x0
	v_mov_b32_e32 v1, 0
	global_store_b8 v[2:3], v1, off
.LBB127_5987:
	s_mov_b32 s9, 0
.LBB127_5988:
	s_delay_alu instid0(SALU_CYCLE_1)
	s_and_not1_b32 vcc_lo, exec_lo, s9
	s_cbranch_vccnz .LBB127_5990
; %bb.5989:
	s_wait_xcnt 0x0
	v_mov_b32_e32 v1, 0
	global_store_b8 v[2:3], v1, off
.LBB127_5990:
	s_mov_b32 s10, 0
	s_mov_b32 s9, -1
.LBB127_5991:
	s_and_not1_b32 vcc_lo, exec_lo, s10
	s_mov_b32 s10, 0
	s_cbranch_vccnz .LBB127_5998
; %bb.5992:
	s_cmp_gt_i32 s3, 14
	s_mov_b32 s10, -1
	s_cbranch_scc0 .LBB127_5996
; %bb.5993:
	s_cmp_eq_u32 s3, 15
	s_mov_b32 s8, -1
	s_cbranch_scc0 .LBB127_5995
; %bb.5994:
	s_wait_xcnt 0x0
	v_mov_b32_e32 v1, 0
	s_mov_b32 s8, 0
	s_mov_b32 s9, -1
	global_store_b16 v[2:3], v1, off
.LBB127_5995:
	s_mov_b32 s10, 0
.LBB127_5996:
	s_delay_alu instid0(SALU_CYCLE_1)
	s_and_b32 vcc_lo, exec_lo, s10
	s_mov_b32 s10, 0
	s_cbranch_vccz .LBB127_5998
; %bb.5997:
	s_cmp_lg_u32 s3, 11
	s_mov_b32 s10, -1
	s_cselect_b32 s8, -1, 0
.LBB127_5998:
	s_delay_alu instid0(SALU_CYCLE_1)
	s_and_b32 vcc_lo, exec_lo, s8
	s_cbranch_vccnz .LBB127_6100
; %bb.5999:
	s_and_not1_b32 vcc_lo, exec_lo, s10
	s_cbranch_vccnz .LBB127_6001
.LBB127_6000:
	s_wait_xcnt 0x0
	v_mov_b32_e32 v1, 0
	s_mov_b32 s9, -1
	global_store_b8 v[2:3], v1, off
.LBB127_6001:
	s_mov_b32 s8, 0
	s_branch .LBB127_6003
.LBB127_6002:
	s_mov_b32 s8, -1
	s_mov_b32 s9, 0
.LBB127_6003:
	s_and_b32 vcc_lo, exec_lo, s8
	s_cbranch_vccz .LBB127_6042
; %bb.6004:
	s_cmp_lt_i32 s3, 5
	s_mov_b32 s8, -1
	s_cbranch_scc1 .LBB127_6025
; %bb.6005:
	s_cmp_lt_i32 s3, 8
	s_cbranch_scc1 .LBB127_6015
; %bb.6006:
	s_cmp_lt_i32 s3, 9
	s_cbranch_scc1 .LBB127_6012
; %bb.6007:
	s_cmp_gt_i32 s3, 9
	s_cbranch_scc0 .LBB127_6009
; %bb.6008:
	s_wait_xcnt 0x0
	v_mov_b32_e32 v4, 0
	s_mov_b32 s8, 0
	s_delay_alu instid0(VALU_DEP_1)
	v_dual_mov_b32 v5, v4 :: v_dual_mov_b32 v6, v4
	v_mov_b32_e32 v7, v4
	global_store_b128 v[2:3], v[4:7], off
.LBB127_6009:
	s_and_not1_b32 vcc_lo, exec_lo, s8
	s_cbranch_vccnz .LBB127_6011
; %bb.6010:
	s_wait_xcnt 0x0
	v_mov_b64_e32 v[4:5], 0
	global_store_b64 v[2:3], v[4:5], off
.LBB127_6011:
	s_mov_b32 s8, 0
.LBB127_6012:
	s_delay_alu instid0(SALU_CYCLE_1)
	s_and_not1_b32 vcc_lo, exec_lo, s8
	s_cbranch_vccnz .LBB127_6014
; %bb.6013:
	s_wait_xcnt 0x0
	v_mov_b32_e32 v1, 0
	global_store_b32 v[2:3], v1, off
.LBB127_6014:
	s_mov_b32 s8, 0
.LBB127_6015:
	s_delay_alu instid0(SALU_CYCLE_1)
	s_and_not1_b32 vcc_lo, exec_lo, s8
	s_cbranch_vccnz .LBB127_6024
; %bb.6016:
	s_cmp_lt_i32 s3, 6
	s_mov_b32 s8, -1
	s_cbranch_scc1 .LBB127_6022
; %bb.6017:
	s_cmp_gt_i32 s3, 6
	s_cbranch_scc0 .LBB127_6019
; %bb.6018:
	s_wait_xcnt 0x0
	v_mov_b64_e32 v[4:5], 0
	s_mov_b32 s8, 0
	global_store_b64 v[2:3], v[4:5], off
.LBB127_6019:
	s_and_not1_b32 vcc_lo, exec_lo, s8
	s_cbranch_vccnz .LBB127_6021
; %bb.6020:
	s_wait_xcnt 0x0
	v_mov_b32_e32 v1, 0
	global_store_b32 v[2:3], v1, off
.LBB127_6021:
	s_mov_b32 s8, 0
.LBB127_6022:
	s_delay_alu instid0(SALU_CYCLE_1)
	s_and_not1_b32 vcc_lo, exec_lo, s8
	s_cbranch_vccnz .LBB127_6024
; %bb.6023:
	s_wait_xcnt 0x0
	v_mov_b32_e32 v1, 0
	global_store_b16 v[2:3], v1, off
.LBB127_6024:
	s_mov_b32 s8, 0
.LBB127_6025:
	s_delay_alu instid0(SALU_CYCLE_1)
	s_and_not1_b32 vcc_lo, exec_lo, s8
	s_cbranch_vccnz .LBB127_6041
; %bb.6026:
	s_cmp_lt_i32 s3, 2
	s_mov_b32 s8, -1
	s_cbranch_scc1 .LBB127_6036
; %bb.6027:
	s_cmp_lt_i32 s3, 3
	s_cbranch_scc1 .LBB127_6033
; %bb.6028:
	s_cmp_gt_i32 s3, 3
	s_cbranch_scc0 .LBB127_6030
; %bb.6029:
	s_wait_xcnt 0x0
	v_mov_b64_e32 v[4:5], 0
	s_mov_b32 s8, 0
	global_store_b64 v[2:3], v[4:5], off
.LBB127_6030:
	s_and_not1_b32 vcc_lo, exec_lo, s8
	s_cbranch_vccnz .LBB127_6032
; %bb.6031:
	s_wait_xcnt 0x0
	v_mov_b32_e32 v1, 0
	global_store_b32 v[2:3], v1, off
.LBB127_6032:
	s_mov_b32 s8, 0
.LBB127_6033:
	s_delay_alu instid0(SALU_CYCLE_1)
	s_and_not1_b32 vcc_lo, exec_lo, s8
	s_cbranch_vccnz .LBB127_6035
; %bb.6034:
	s_wait_xcnt 0x0
	v_mov_b32_e32 v1, 0
	global_store_b16 v[2:3], v1, off
.LBB127_6035:
	s_mov_b32 s8, 0
.LBB127_6036:
	s_delay_alu instid0(SALU_CYCLE_1)
	s_and_not1_b32 vcc_lo, exec_lo, s8
	s_cbranch_vccnz .LBB127_6041
; %bb.6037:
	s_cmp_gt_i32 s3, 0
	s_mov_b32 s8, -1
	s_cbranch_scc0 .LBB127_6039
; %bb.6038:
	s_wait_xcnt 0x0
	v_mov_b32_e32 v1, 0
	s_mov_b32 s8, 0
	global_store_b8 v[2:3], v1, off
.LBB127_6039:
	s_and_not1_b32 vcc_lo, exec_lo, s8
	s_cbranch_vccnz .LBB127_6041
; %bb.6040:
	s_wait_xcnt 0x0
	v_mov_b32_e32 v1, 0
	global_store_b8 v[2:3], v1, off
.LBB127_6041:
	s_mov_b32 s9, -1
.LBB127_6042:
	s_delay_alu instid0(SALU_CYCLE_1)
	s_and_not1_b32 vcc_lo, exec_lo, s9
	s_cbranch_vccnz .LBB127_6089
; %bb.6043:
	s_wait_xcnt 0x0
	v_mov_b32_e32 v1, 0
	s_cmp_lt_i32 s3, 11
	s_delay_alu instid0(VALU_DEP_1)
	v_add_nc_u64_e32 v[42:43], s[4:5], v[0:1]
	s_cbranch_scc1 .LBB127_6095
; %bb.6044:
	s_mov_b32 s8, -1
	s_mov_b32 s4, 0
	s_cmp_gt_i32 s3, 25
	s_mov_b32 s5, 0
	s_cbranch_scc0 .LBB127_6069
; %bb.6045:
	s_cmp_gt_i32 s3, 28
	s_cbranch_scc0 .LBB127_6059
; %bb.6046:
	s_cmp_gt_i32 s3, 43
	;; [unrolled: 3-line block ×3, first 2 shown]
	s_cbranch_scc0 .LBB127_6051
; %bb.6048:
	s_cmp_eq_u32 s3, 46
	s_mov_b32 s5, -1
	s_cbranch_scc0 .LBB127_6050
; %bb.6049:
	v_mov_b32_e32 v0, 0
	s_mov_b32 s5, 0
	global_store_b32 v[42:43], v0, off
.LBB127_6050:
	s_mov_b32 s8, 0
.LBB127_6051:
	s_delay_alu instid0(SALU_CYCLE_1)
	s_and_b32 vcc_lo, exec_lo, s8
	s_cbranch_vccz .LBB127_6054
; %bb.6052:
	s_cmp_eq_u32 s3, 44
	s_mov_b32 s5, -1
	s_cbranch_scc0 .LBB127_6054
; %bb.6053:
	s_wait_xcnt 0x0
	v_mov_b32_e32 v0, 0
	s_mov_b32 s5, 0
	global_store_b8 v[42:43], v0, off
.LBB127_6054:
	s_mov_b32 s8, 0
.LBB127_6055:
	s_delay_alu instid0(SALU_CYCLE_1)
	s_and_b32 vcc_lo, exec_lo, s8
	s_cbranch_vccz .LBB127_6058
; %bb.6056:
	s_cmp_eq_u32 s3, 29
	s_mov_b32 s5, -1
	s_cbranch_scc0 .LBB127_6058
; %bb.6057:
	s_wait_xcnt 0x0
	v_mov_b64_e32 v[0:1], 0
	s_mov_b32 s5, 0
	global_store_b64 v[42:43], v[0:1], off
.LBB127_6058:
	s_mov_b32 s8, 0
.LBB127_6059:
	s_delay_alu instid0(SALU_CYCLE_1)
	s_and_b32 vcc_lo, exec_lo, s8
	s_cbranch_vccz .LBB127_6068
; %bb.6060:
	s_cmp_lt_i32 s3, 27
	s_mov_b32 s8, -1
	s_cbranch_scc1 .LBB127_6066
; %bb.6061:
	s_cmp_gt_i32 s3, 27
	s_cbranch_scc0 .LBB127_6063
; %bb.6062:
	s_wait_xcnt 0x0
	v_mov_b32_e32 v0, 0
	s_mov_b32 s8, 0
	global_store_b32 v[42:43], v0, off
.LBB127_6063:
	s_and_not1_b32 vcc_lo, exec_lo, s8
	s_cbranch_vccnz .LBB127_6065
; %bb.6064:
	s_wait_xcnt 0x0
	v_mov_b32_e32 v0, 0
	global_store_b16 v[42:43], v0, off
.LBB127_6065:
	s_mov_b32 s8, 0
.LBB127_6066:
	s_delay_alu instid0(SALU_CYCLE_1)
	s_and_not1_b32 vcc_lo, exec_lo, s8
	s_cbranch_vccnz .LBB127_6068
; %bb.6067:
	s_wait_xcnt 0x0
	v_mov_b32_e32 v0, 0
	global_store_b8 v[42:43], v0, off
.LBB127_6068:
	s_mov_b32 s8, 0
.LBB127_6069:
	s_delay_alu instid0(SALU_CYCLE_1)
	s_and_b32 vcc_lo, exec_lo, s8
	s_cbranch_vccz .LBB127_6087
; %bb.6070:
	s_cmp_gt_i32 s3, 22
	s_mov_b32 s4, -1
	s_cbranch_scc0 .LBB127_6080
; %bb.6071:
	s_cmp_lt_i32 s3, 24
	s_cbranch_scc1 .LBB127_6077
; %bb.6072:
	s_cmp_gt_i32 s3, 24
	s_cbranch_scc0 .LBB127_6074
; %bb.6073:
	s_wait_xcnt 0x0
	v_mov_b32_e32 v0, 0
	s_mov_b32 s4, 0
	global_store_b8 v[42:43], v0, off
.LBB127_6074:
	s_and_not1_b32 vcc_lo, exec_lo, s4
	s_cbranch_vccnz .LBB127_6076
; %bb.6075:
	s_wait_xcnt 0x0
	v_mov_b32_e32 v0, 0
	global_store_b8 v[42:43], v0, off
.LBB127_6076:
	s_mov_b32 s4, 0
.LBB127_6077:
	s_delay_alu instid0(SALU_CYCLE_1)
	s_and_not1_b32 vcc_lo, exec_lo, s4
	s_cbranch_vccnz .LBB127_6079
; %bb.6078:
	s_wait_xcnt 0x0
	v_mov_b32_e32 v0, 0
	global_store_b8 v[42:43], v0, off
.LBB127_6079:
	s_mov_b32 s4, 0
.LBB127_6080:
	s_delay_alu instid0(SALU_CYCLE_1)
	s_and_not1_b32 vcc_lo, exec_lo, s4
	s_mov_b32 s4, 0
	s_cbranch_vccnz .LBB127_6087
; %bb.6081:
	s_cmp_gt_i32 s3, 14
	s_mov_b32 s4, -1
	s_cbranch_scc0 .LBB127_6085
; %bb.6082:
	s_cmp_eq_u32 s3, 15
	s_mov_b32 s5, -1
	s_cbranch_scc0 .LBB127_6084
; %bb.6083:
	s_wait_xcnt 0x0
	v_mov_b32_e32 v0, 0
	s_mov_b32 s5, 0
	global_store_b16 v[42:43], v0, off
.LBB127_6084:
	s_mov_b32 s4, 0
.LBB127_6085:
	s_delay_alu instid0(SALU_CYCLE_1)
	s_and_b32 vcc_lo, exec_lo, s4
	s_mov_b32 s4, 0
	s_cbranch_vccz .LBB127_6087
; %bb.6086:
	s_cmp_lg_u32 s3, 11
	s_mov_b32 s4, -1
	s_cselect_b32 s5, -1, 0
.LBB127_6087:
	s_delay_alu instid0(SALU_CYCLE_1)
	s_and_b32 vcc_lo, exec_lo, s5
	s_cbranch_vccnz .LBB127_6102
.LBB127_6088:
	s_mov_b32 s3, 0
	s_branch .LBB127_6090
.LBB127_6089:
	s_mov_b32 s3, 0
	s_mov_b32 s4, 0
                                        ; implicit-def: $vgpr42_vgpr43
                                        ; implicit-def: $sgpr0
.LBB127_6090:
	s_and_b32 s9, s3, exec_lo
	s_and_not1_b32 s3, s6, exec_lo
	s_and_b32 s2, s2, exec_lo
	s_and_b32 s8, s4, exec_lo
	s_or_b32 s6, s3, s2
.LBB127_6091:
	s_wait_xcnt 0x0
	s_or_b32 exec_lo, exec_lo, s7
	s_delay_alu instid0(SALU_CYCLE_1)
	s_and_not1_b32 s2, s27, exec_lo
	s_and_b32 s3, s6, exec_lo
	s_and_b32 s7, s9, exec_lo
	;; [unrolled: 1-line block ×3, first 2 shown]
	s_or_b32 s27, s2, s3
.LBB127_6092:
	s_or_b32 exec_lo, exec_lo, s28
	s_delay_alu instid0(SALU_CYCLE_1)
	s_and_not1_b32 s2, s25, exec_lo
	s_and_b32 s3, s27, exec_lo
	s_and_b32 s7, s7, exec_lo
	;; [unrolled: 1-line block ×3, first 2 shown]
	s_or_b32 s25, s2, s3
.LBB127_6093:
	s_or_b32 exec_lo, exec_lo, s26
	s_delay_alu instid0(SALU_CYCLE_1)
	s_and_not1_b32 s2, s23, exec_lo
	s_and_b32 s3, s25, exec_lo
	s_and_b32 s7, s7, exec_lo
	;; [unrolled: 1-line block ×3, first 2 shown]
	s_or_b32 s23, s2, s3
.LBB127_6094:
	s_or_b32 exec_lo, exec_lo, s24
	s_branch .LBB127_5757
.LBB127_6095:
	s_mov_b32 s4, 0
	s_mov_b32 s3, -1
	s_branch .LBB127_6090
.LBB127_6096:
	s_or_b32 s8, s27, exec_lo
	s_xor_b32 s7, exec_lo, -1
	s_trap 2
	s_branch .LBB127_5773
.LBB127_6097:
	s_or_b32 s2, s6, exec_lo
	s_trap 2
	s_cbranch_execz .LBB127_5821
	s_branch .LBB127_5822
.LBB127_6098:
	s_or_b32 s2, s2, exec_lo
	s_trap 2
	s_cbranch_execz .LBB127_5911
	s_branch .LBB127_5912
.LBB127_6099:
	s_or_b32 s23, s23, exec_lo
	s_trap 2
                                        ; implicit-def: $vgpr18_vgpr19
                                        ; implicit-def: $vgpr16_vgpr17
                                        ; implicit-def: $vgpr14_vgpr15
                                        ; implicit-def: $vgpr22_vgpr23
                                        ; implicit-def: $vgpr6
                                        ; implicit-def: $vgpr4
                                        ; implicit-def: $vgpr2
                                        ; implicit-def: $vgpr0
                                        ; implicit-def: $vgpr8_vgpr9
                                        ; implicit-def: $vgpr12_vgpr13
	s_branch .LBB127_5749
.LBB127_6100:
	s_or_b32 s2, s2, exec_lo
	s_trap 2
	s_cbranch_execz .LBB127_6000
	s_branch .LBB127_6001
.LBB127_6101:
	s_or_b32 s25, s23, exec_lo
	s_trap 2
                                        ; implicit-def: $vgpr16_vgpr17
                                        ; implicit-def: $vgpr14_vgpr15
                                        ; implicit-def: $vgpr22_vgpr23
                                        ; implicit-def: $vgpr6
                                        ; implicit-def: $vgpr4
                                        ; implicit-def: $vgpr2
                                        ; implicit-def: $vgpr0
                                        ; implicit-def: $vgpr8_vgpr9
                                        ; implicit-def: $vgpr12_vgpr13
	s_or_saveexec_b32 s26, s0
                                        ; implicit-def: $vgpr42_vgpr43
                                        ; implicit-def: $sgpr0
	s_delay_alu instid0(SALU_CYCLE_1)
	s_xor_b32 exec_lo, exec_lo, s26
	s_cbranch_execz .LBB127_6093
	s_branch .LBB127_5752
.LBB127_6102:
	s_mov_b32 s4, 0
	s_or_b32 s2, s2, exec_lo
	s_trap 2
	s_branch .LBB127_6088
.LBB127_6103:
	s_or_b32 s27, s25, exec_lo
	s_trap 2
                                        ; implicit-def: $vgpr14_vgpr15
                                        ; implicit-def: $vgpr16_vgpr17
                                        ; implicit-def: $vgpr0
                                        ; implicit-def: $vgpr6
                                        ; implicit-def: $vgpr4
                                        ; implicit-def: $vgpr22_vgpr23
                                        ; implicit-def: $vgpr12_vgpr13
                                        ; implicit-def: $vgpr2
	s_or_saveexec_b32 s28, s0
	s_mov_b32 s6, 0
                                        ; implicit-def: $vgpr42_vgpr43
                                        ; implicit-def: $sgpr0
	s_xor_b32 exec_lo, exec_lo, s28
	s_cbranch_execz .LBB127_6092
	s_branch .LBB127_5754
	.section	.rodata,"a",@progbits
	.p2align	6, 0x0
	.amdhsa_kernel _ZN2at6native32elementwise_kernel_manual_unrollILi128ELi4EZNS0_15gpu_kernel_implIZZZNS0_12_GLOBAL__N_142_validate_compressed_sparse_indices_kernelILNS3_8CDimNameE1ENS3_18CUDAKernelLauncherENS3_14EmptyVecKernelENS3_8DummyVecELm0EEEvRKNS_6TensorESB_lllENKUlvE1_clEvENKUlvE0_clEvEUllllllE_EEvRNS_18TensorIteratorBaseERKT_EUlibE0_EEviT1_
		.amdhsa_group_segment_fixed_size 0
		.amdhsa_private_segment_fixed_size 0
		.amdhsa_kernarg_size 704
		.amdhsa_user_sgpr_count 2
		.amdhsa_user_sgpr_dispatch_ptr 0
		.amdhsa_user_sgpr_queue_ptr 0
		.amdhsa_user_sgpr_kernarg_segment_ptr 1
		.amdhsa_user_sgpr_dispatch_id 0
		.amdhsa_user_sgpr_kernarg_preload_length 0
		.amdhsa_user_sgpr_kernarg_preload_offset 0
		.amdhsa_user_sgpr_private_segment_size 0
		.amdhsa_wavefront_size32 1
		.amdhsa_uses_dynamic_stack 0
		.amdhsa_enable_private_segment 0
		.amdhsa_system_sgpr_workgroup_id_x 1
		.amdhsa_system_sgpr_workgroup_id_y 0
		.amdhsa_system_sgpr_workgroup_id_z 0
		.amdhsa_system_sgpr_workgroup_info 0
		.amdhsa_system_vgpr_workitem_id 0
		.amdhsa_next_free_vgpr 67
		.amdhsa_next_free_sgpr 105
		.amdhsa_named_barrier_count 0
		.amdhsa_reserve_vcc 1
		.amdhsa_float_round_mode_32 0
		.amdhsa_float_round_mode_16_64 0
		.amdhsa_float_denorm_mode_32 3
		.amdhsa_float_denorm_mode_16_64 3
		.amdhsa_fp16_overflow 0
		.amdhsa_memory_ordered 1
		.amdhsa_forward_progress 1
		.amdhsa_inst_pref_size 255
		.amdhsa_round_robin_scheduling 0
		.amdhsa_exception_fp_ieee_invalid_op 0
		.amdhsa_exception_fp_denorm_src 0
		.amdhsa_exception_fp_ieee_div_zero 0
		.amdhsa_exception_fp_ieee_overflow 0
		.amdhsa_exception_fp_ieee_underflow 0
		.amdhsa_exception_fp_ieee_inexact 0
		.amdhsa_exception_int_div_zero 0
	.end_amdhsa_kernel
	.section	.text._ZN2at6native32elementwise_kernel_manual_unrollILi128ELi4EZNS0_15gpu_kernel_implIZZZNS0_12_GLOBAL__N_142_validate_compressed_sparse_indices_kernelILNS3_8CDimNameE1ENS3_18CUDAKernelLauncherENS3_14EmptyVecKernelENS3_8DummyVecELm0EEEvRKNS_6TensorESB_lllENKUlvE1_clEvENKUlvE0_clEvEUllllllE_EEvRNS_18TensorIteratorBaseERKT_EUlibE0_EEviT1_,"axG",@progbits,_ZN2at6native32elementwise_kernel_manual_unrollILi128ELi4EZNS0_15gpu_kernel_implIZZZNS0_12_GLOBAL__N_142_validate_compressed_sparse_indices_kernelILNS3_8CDimNameE1ENS3_18CUDAKernelLauncherENS3_14EmptyVecKernelENS3_8DummyVecELm0EEEvRKNS_6TensorESB_lllENKUlvE1_clEvENKUlvE0_clEvEUllllllE_EEvRNS_18TensorIteratorBaseERKT_EUlibE0_EEviT1_,comdat
.Lfunc_end127:
	.size	_ZN2at6native32elementwise_kernel_manual_unrollILi128ELi4EZNS0_15gpu_kernel_implIZZZNS0_12_GLOBAL__N_142_validate_compressed_sparse_indices_kernelILNS3_8CDimNameE1ENS3_18CUDAKernelLauncherENS3_14EmptyVecKernelENS3_8DummyVecELm0EEEvRKNS_6TensorESB_lllENKUlvE1_clEvENKUlvE0_clEvEUllllllE_EEvRNS_18TensorIteratorBaseERKT_EUlibE0_EEviT1_, .Lfunc_end127-_ZN2at6native32elementwise_kernel_manual_unrollILi128ELi4EZNS0_15gpu_kernel_implIZZZNS0_12_GLOBAL__N_142_validate_compressed_sparse_indices_kernelILNS3_8CDimNameE1ENS3_18CUDAKernelLauncherENS3_14EmptyVecKernelENS3_8DummyVecELm0EEEvRKNS_6TensorESB_lllENKUlvE1_clEvENKUlvE0_clEvEUllllllE_EEvRNS_18TensorIteratorBaseERKT_EUlibE0_EEviT1_
                                        ; -- End function
	.set _ZN2at6native32elementwise_kernel_manual_unrollILi128ELi4EZNS0_15gpu_kernel_implIZZZNS0_12_GLOBAL__N_142_validate_compressed_sparse_indices_kernelILNS3_8CDimNameE1ENS3_18CUDAKernelLauncherENS3_14EmptyVecKernelENS3_8DummyVecELm0EEEvRKNS_6TensorESB_lllENKUlvE1_clEvENKUlvE0_clEvEUllllllE_EEvRNS_18TensorIteratorBaseERKT_EUlibE0_EEviT1_.num_vgpr, 67
	.set _ZN2at6native32elementwise_kernel_manual_unrollILi128ELi4EZNS0_15gpu_kernel_implIZZZNS0_12_GLOBAL__N_142_validate_compressed_sparse_indices_kernelILNS3_8CDimNameE1ENS3_18CUDAKernelLauncherENS3_14EmptyVecKernelENS3_8DummyVecELm0EEEvRKNS_6TensorESB_lllENKUlvE1_clEvENKUlvE0_clEvEUllllllE_EEvRNS_18TensorIteratorBaseERKT_EUlibE0_EEviT1_.num_agpr, 0
	.set _ZN2at6native32elementwise_kernel_manual_unrollILi128ELi4EZNS0_15gpu_kernel_implIZZZNS0_12_GLOBAL__N_142_validate_compressed_sparse_indices_kernelILNS3_8CDimNameE1ENS3_18CUDAKernelLauncherENS3_14EmptyVecKernelENS3_8DummyVecELm0EEEvRKNS_6TensorESB_lllENKUlvE1_clEvENKUlvE0_clEvEUllllllE_EEvRNS_18TensorIteratorBaseERKT_EUlibE0_EEviT1_.numbered_sgpr, 105
	.set _ZN2at6native32elementwise_kernel_manual_unrollILi128ELi4EZNS0_15gpu_kernel_implIZZZNS0_12_GLOBAL__N_142_validate_compressed_sparse_indices_kernelILNS3_8CDimNameE1ENS3_18CUDAKernelLauncherENS3_14EmptyVecKernelENS3_8DummyVecELm0EEEvRKNS_6TensorESB_lllENKUlvE1_clEvENKUlvE0_clEvEUllllllE_EEvRNS_18TensorIteratorBaseERKT_EUlibE0_EEviT1_.num_named_barrier, 0
	.set _ZN2at6native32elementwise_kernel_manual_unrollILi128ELi4EZNS0_15gpu_kernel_implIZZZNS0_12_GLOBAL__N_142_validate_compressed_sparse_indices_kernelILNS3_8CDimNameE1ENS3_18CUDAKernelLauncherENS3_14EmptyVecKernelENS3_8DummyVecELm0EEEvRKNS_6TensorESB_lllENKUlvE1_clEvENKUlvE0_clEvEUllllllE_EEvRNS_18TensorIteratorBaseERKT_EUlibE0_EEviT1_.private_seg_size, 0
	.set _ZN2at6native32elementwise_kernel_manual_unrollILi128ELi4EZNS0_15gpu_kernel_implIZZZNS0_12_GLOBAL__N_142_validate_compressed_sparse_indices_kernelILNS3_8CDimNameE1ENS3_18CUDAKernelLauncherENS3_14EmptyVecKernelENS3_8DummyVecELm0EEEvRKNS_6TensorESB_lllENKUlvE1_clEvENKUlvE0_clEvEUllllllE_EEvRNS_18TensorIteratorBaseERKT_EUlibE0_EEviT1_.uses_vcc, 1
	.set _ZN2at6native32elementwise_kernel_manual_unrollILi128ELi4EZNS0_15gpu_kernel_implIZZZNS0_12_GLOBAL__N_142_validate_compressed_sparse_indices_kernelILNS3_8CDimNameE1ENS3_18CUDAKernelLauncherENS3_14EmptyVecKernelENS3_8DummyVecELm0EEEvRKNS_6TensorESB_lllENKUlvE1_clEvENKUlvE0_clEvEUllllllE_EEvRNS_18TensorIteratorBaseERKT_EUlibE0_EEviT1_.uses_flat_scratch, 0
	.set _ZN2at6native32elementwise_kernel_manual_unrollILi128ELi4EZNS0_15gpu_kernel_implIZZZNS0_12_GLOBAL__N_142_validate_compressed_sparse_indices_kernelILNS3_8CDimNameE1ENS3_18CUDAKernelLauncherENS3_14EmptyVecKernelENS3_8DummyVecELm0EEEvRKNS_6TensorESB_lllENKUlvE1_clEvENKUlvE0_clEvEUllllllE_EEvRNS_18TensorIteratorBaseERKT_EUlibE0_EEviT1_.has_dyn_sized_stack, 0
	.set _ZN2at6native32elementwise_kernel_manual_unrollILi128ELi4EZNS0_15gpu_kernel_implIZZZNS0_12_GLOBAL__N_142_validate_compressed_sparse_indices_kernelILNS3_8CDimNameE1ENS3_18CUDAKernelLauncherENS3_14EmptyVecKernelENS3_8DummyVecELm0EEEvRKNS_6TensorESB_lllENKUlvE1_clEvENKUlvE0_clEvEUllllllE_EEvRNS_18TensorIteratorBaseERKT_EUlibE0_EEviT1_.has_recursion, 0
	.set _ZN2at6native32elementwise_kernel_manual_unrollILi128ELi4EZNS0_15gpu_kernel_implIZZZNS0_12_GLOBAL__N_142_validate_compressed_sparse_indices_kernelILNS3_8CDimNameE1ENS3_18CUDAKernelLauncherENS3_14EmptyVecKernelENS3_8DummyVecELm0EEEvRKNS_6TensorESB_lllENKUlvE1_clEvENKUlvE0_clEvEUllllllE_EEvRNS_18TensorIteratorBaseERKT_EUlibE0_EEviT1_.has_indirect_call, 0
	.section	.AMDGPU.csdata,"",@progbits
; Kernel info:
; codeLenInByte = 148860
; TotalNumSgprs: 107
; NumVgprs: 67
; ScratchSize: 0
; MemoryBound: 1
; FloatMode: 240
; IeeeMode: 1
; LDSByteSize: 0 bytes/workgroup (compile time only)
; SGPRBlocks: 0
; VGPRBlocks: 4
; NumSGPRsForWavesPerEU: 107
; NumVGPRsForWavesPerEU: 67
; NamedBarCnt: 0
; Occupancy: 12
; WaveLimiterHint : 1
; COMPUTE_PGM_RSRC2:SCRATCH_EN: 0
; COMPUTE_PGM_RSRC2:USER_SGPR: 2
; COMPUTE_PGM_RSRC2:TRAP_HANDLER: 0
; COMPUTE_PGM_RSRC2:TGID_X_EN: 1
; COMPUTE_PGM_RSRC2:TGID_Y_EN: 0
; COMPUTE_PGM_RSRC2:TGID_Z_EN: 0
; COMPUTE_PGM_RSRC2:TIDIG_COMP_CNT: 0
	.section	.AMDGPU.gpr_maximums,"",@progbits
	.set amdgpu.max_num_vgpr, 0
	.set amdgpu.max_num_agpr, 0
	.set amdgpu.max_num_sgpr, 0
	.section	.AMDGPU.csdata,"",@progbits
	.type	.str,@object                    ; @.str
	.section	.rodata.str1.1,"aMS",@progbits,1
.str:
	.asciz	"`0 <= col_indices < ncols` is not satisfied."
	.size	.str, 45

	.type	.str.1,@object                  ; @.str.1
.str.1:
	.asciz	"`crow_indices[..., 0] == 0` is not satisfied."
	.size	.str.1, 46

	.type	.str.2,@object                  ; @.str.2
.str.2:
	.asciz	"`crow_indices[..., -1] == nnz` is not satisfied."
	.size	.str.2, 49

	.type	.str.3,@object                  ; @.str.3
.str.3:
	.asciz	"`0 <= crow_indices[..., 1:] - crow_indices[..., :-1] <= ncols` is not satisfied."
	.size	.str.3, 81

	.type	.str.4,@object                  ; @.str.4
.str.4:
	.asciz	"`col_indices[..., crow_indices[..., i - 1]:crow_indices[..., i]] for all i = 1, ..., nrows are sorted and distinct along the last dimension values` is not satisfied."
	.size	.str.4, 166

	.type	.str.5,@object                  ; @.str.5
.str.5:
	.asciz	"`0 <= row_indices < nrows` is not satisfied."
	.size	.str.5, 45

	.type	.str.6,@object                  ; @.str.6
.str.6:
	.asciz	"`ccol_indices[..., 0] == 0` is not satisfied."
	.size	.str.6, 46

	.type	.str.7,@object                  ; @.str.7
.str.7:
	.asciz	"`ccol_indices[..., -1] == nnz` is not satisfied."
	.size	.str.7, 49

	.type	.str.8,@object                  ; @.str.8
.str.8:
	.asciz	"`0 <= ccol_indices[..., 1:] - ccol_indices[..., :-1] <= nrows` is not satisfied."
	.size	.str.8, 81

	.type	.str.9,@object                  ; @.str.9
.str.9:
	.asciz	"`row_indices[..., ccol_indices[..., i - 1]:ccol_indices[..., i]] for all i = 1, ..., ncols are sorted and distinct along the last dimension values` is not satisfied."
	.size	.str.9, 166

	.type	__hip_cuid_d4d578617305a310,@object ; @__hip_cuid_d4d578617305a310
	.section	.bss,"aw",@nobits
	.globl	__hip_cuid_d4d578617305a310
__hip_cuid_d4d578617305a310:
	.byte	0                               ; 0x0
	.size	__hip_cuid_d4d578617305a310, 1

	.ident	"AMD clang version 22.0.0git (https://github.com/RadeonOpenCompute/llvm-project roc-7.2.4 26084 f58b06dce1f9c15707c5f808fd002e18c2accf7e)"
	.section	".note.GNU-stack","",@progbits
	.addrsig
	.addrsig_sym __hip_cuid_d4d578617305a310
	.amdgpu_metadata
---
amdhsa.kernels:
  - .args:
      - .offset:         0
        .size:           4
        .value_kind:     by_value
      - .offset:         8
        .size:           16
        .value_kind:     by_value
      - .offset:         24
        .size:           16
        .value_kind:     by_value
    .group_segment_fixed_size: 0
    .kernarg_segment_align: 8
    .kernarg_segment_size: 40
    .language:       OpenCL C
    .language_version:
      - 2
      - 0
    .max_flat_workgroup_size: 256
    .name:           _ZN2at6native29vectorized_elementwise_kernelILi16EZZZNS0_12_GLOBAL__N_142_validate_compressed_sparse_indices_kernelILNS2_8CDimNameE0ENS2_18CUDAKernelLauncherENS2_14EmptyVecKernelENS2_8DummyVecELm8EEEvRKNS_6TensorESA_lllENKUlvE0_clEvENKUlvE_clEvEUliE_St5arrayIPcLm2EEEEviT0_T1_
    .private_segment_fixed_size: 0
    .sgpr_count:     24
    .sgpr_spill_count: 0
    .symbol:         _ZN2at6native29vectorized_elementwise_kernelILi16EZZZNS0_12_GLOBAL__N_142_validate_compressed_sparse_indices_kernelILNS2_8CDimNameE0ENS2_18CUDAKernelLauncherENS2_14EmptyVecKernelENS2_8DummyVecELm8EEEvRKNS_6TensorESA_lllENKUlvE0_clEvENKUlvE_clEvEUliE_St5arrayIPcLm2EEEEviT0_T1_.kd
    .uniform_work_group_size: 1
    .uses_dynamic_stack: false
    .vgpr_count:     9
    .vgpr_spill_count: 0
    .wavefront_size: 32
  - .args:
      - .offset:         0
        .size:           4
        .value_kind:     by_value
      - .offset:         8
        .size:           16
        .value_kind:     by_value
      - .offset:         24
        .size:           16
        .value_kind:     by_value
    .group_segment_fixed_size: 0
    .kernarg_segment_align: 8
    .kernarg_segment_size: 40
    .language:       OpenCL C
    .language_version:
      - 2
      - 0
    .max_flat_workgroup_size: 256
    .name:           _ZN2at6native29vectorized_elementwise_kernelILi8EZZZNS0_12_GLOBAL__N_142_validate_compressed_sparse_indices_kernelILNS2_8CDimNameE0ENS2_18CUDAKernelLauncherENS2_14EmptyVecKernelENS2_8DummyVecELm8EEEvRKNS_6TensorESA_lllENKUlvE0_clEvENKUlvE_clEvEUliE_St5arrayIPcLm2EEEEviT0_T1_
    .private_segment_fixed_size: 0
    .sgpr_count:     24
    .sgpr_spill_count: 0
    .symbol:         _ZN2at6native29vectorized_elementwise_kernelILi8EZZZNS0_12_GLOBAL__N_142_validate_compressed_sparse_indices_kernelILNS2_8CDimNameE0ENS2_18CUDAKernelLauncherENS2_14EmptyVecKernelENS2_8DummyVecELm8EEEvRKNS_6TensorESA_lllENKUlvE0_clEvENKUlvE_clEvEUliE_St5arrayIPcLm2EEEEviT0_T1_.kd
    .uniform_work_group_size: 1
    .uses_dynamic_stack: false
    .vgpr_count:     9
    .vgpr_spill_count: 0
    .wavefront_size: 32
  - .args:
      - .offset:         0
        .size:           4
        .value_kind:     by_value
      - .offset:         8
        .size:           16
        .value_kind:     by_value
      - .offset:         24
        .size:           16
        .value_kind:     by_value
    .group_segment_fixed_size: 0
    .kernarg_segment_align: 8
    .kernarg_segment_size: 40
    .language:       OpenCL C
    .language_version:
      - 2
      - 0
    .max_flat_workgroup_size: 256
    .name:           _ZN2at6native29vectorized_elementwise_kernelILi4EZZZNS0_12_GLOBAL__N_142_validate_compressed_sparse_indices_kernelILNS2_8CDimNameE0ENS2_18CUDAKernelLauncherENS2_14EmptyVecKernelENS2_8DummyVecELm8EEEvRKNS_6TensorESA_lllENKUlvE0_clEvENKUlvE_clEvEUliE_St5arrayIPcLm2EEEEviT0_T1_
    .private_segment_fixed_size: 0
    .sgpr_count:     24
    .sgpr_spill_count: 0
    .symbol:         _ZN2at6native29vectorized_elementwise_kernelILi4EZZZNS0_12_GLOBAL__N_142_validate_compressed_sparse_indices_kernelILNS2_8CDimNameE0ENS2_18CUDAKernelLauncherENS2_14EmptyVecKernelENS2_8DummyVecELm8EEEvRKNS_6TensorESA_lllENKUlvE0_clEvENKUlvE_clEvEUliE_St5arrayIPcLm2EEEEviT0_T1_.kd
    .uniform_work_group_size: 1
    .uses_dynamic_stack: false
    .vgpr_count:     9
    .vgpr_spill_count: 0
    .wavefront_size: 32
  - .args:
      - .offset:         0
        .size:           4
        .value_kind:     by_value
      - .offset:         8
        .size:           16
        .value_kind:     by_value
      - .offset:         24
        .size:           16
        .value_kind:     by_value
    .group_segment_fixed_size: 0
    .kernarg_segment_align: 8
    .kernarg_segment_size: 40
    .language:       OpenCL C
    .language_version:
      - 2
      - 0
    .max_flat_workgroup_size: 256
    .name:           _ZN2at6native29vectorized_elementwise_kernelILi2EZZZNS0_12_GLOBAL__N_142_validate_compressed_sparse_indices_kernelILNS2_8CDimNameE0ENS2_18CUDAKernelLauncherENS2_14EmptyVecKernelENS2_8DummyVecELm8EEEvRKNS_6TensorESA_lllENKUlvE0_clEvENKUlvE_clEvEUliE_St5arrayIPcLm2EEEEviT0_T1_
    .private_segment_fixed_size: 0
    .sgpr_count:     24
    .sgpr_spill_count: 0
    .symbol:         _ZN2at6native29vectorized_elementwise_kernelILi2EZZZNS0_12_GLOBAL__N_142_validate_compressed_sparse_indices_kernelILNS2_8CDimNameE0ENS2_18CUDAKernelLauncherENS2_14EmptyVecKernelENS2_8DummyVecELm8EEEvRKNS_6TensorESA_lllENKUlvE0_clEvENKUlvE_clEvEUliE_St5arrayIPcLm2EEEEviT0_T1_.kd
    .uniform_work_group_size: 1
    .uses_dynamic_stack: false
    .vgpr_count:     9
    .vgpr_spill_count: 0
    .wavefront_size: 32
  - .args:
      - .offset:         0
        .size:           4
        .value_kind:     by_value
      - .offset:         8
        .size:           16
        .value_kind:     by_value
      - .offset:         24
        .size:           16
        .value_kind:     by_value
      - .offset:         40
        .size:           1
        .value_kind:     by_value
      - .offset:         41
        .size:           1
        .value_kind:     by_value
      - .offset:         42
        .size:           1
        .value_kind:     by_value
      - .offset:         43
        .size:           1
        .value_kind:     by_value
    .group_segment_fixed_size: 0
    .kernarg_segment_align: 8
    .kernarg_segment_size: 44
    .language:       OpenCL C
    .language_version:
      - 2
      - 0
    .max_flat_workgroup_size: 256
    .name:           _ZN2at6native27unrolled_elementwise_kernelIZZZNS0_12_GLOBAL__N_142_validate_compressed_sparse_indices_kernelILNS2_8CDimNameE0ENS2_18CUDAKernelLauncherENS2_14EmptyVecKernelENS2_8DummyVecELm8EEEvRKNS_6TensorESA_lllENKUlvE0_clEvENKUlvE_clEvEUliE_St5arrayIPcLm2EELi4E23TrivialOffsetCalculatorILi1EjESI_NS0_6memory15LoadWithoutCastENSJ_16StoreWithoutCastEEEviT_T0_T2_T3_T4_T5_
    .private_segment_fixed_size: 0
    .sgpr_count:     22
    .sgpr_spill_count: 0
    .symbol:         _ZN2at6native27unrolled_elementwise_kernelIZZZNS0_12_GLOBAL__N_142_validate_compressed_sparse_indices_kernelILNS2_8CDimNameE0ENS2_18CUDAKernelLauncherENS2_14EmptyVecKernelENS2_8DummyVecELm8EEEvRKNS_6TensorESA_lllENKUlvE0_clEvENKUlvE_clEvEUliE_St5arrayIPcLm2EELi4E23TrivialOffsetCalculatorILi1EjESI_NS0_6memory15LoadWithoutCastENSJ_16StoreWithoutCastEEEviT_T0_T2_T3_T4_T5_.kd
    .uniform_work_group_size: 1
    .uses_dynamic_stack: false
    .vgpr_count:     7
    .vgpr_spill_count: 0
    .wavefront_size: 32
  - .args:
      - .offset:         0
        .size:           4
        .value_kind:     by_value
      - .offset:         8
        .size:           360
        .value_kind:     by_value
    .group_segment_fixed_size: 0
    .kernarg_segment_align: 8
    .kernarg_segment_size: 368
    .language:       OpenCL C
    .language_version:
      - 2
      - 0
    .max_flat_workgroup_size: 128
    .name:           _ZN2at6native32elementwise_kernel_manual_unrollILi128ELi4EZNS0_22gpu_kernel_impl_nocastIZZZNS0_12_GLOBAL__N_142_validate_compressed_sparse_indices_kernelILNS3_8CDimNameE0ENS3_18CUDAKernelLauncherENS3_14EmptyVecKernelENS3_8DummyVecELm8EEEvRKNS_6TensorESB_lllENKUlvE0_clEvENKUlvE_clEvEUliE_EEvRNS_18TensorIteratorBaseERKT_EUlibE_EEviT1_
    .private_segment_fixed_size: 0
    .sgpr_count:     70
    .sgpr_spill_count: 0
    .symbol:         _ZN2at6native32elementwise_kernel_manual_unrollILi128ELi4EZNS0_22gpu_kernel_impl_nocastIZZZNS0_12_GLOBAL__N_142_validate_compressed_sparse_indices_kernelILNS3_8CDimNameE0ENS3_18CUDAKernelLauncherENS3_14EmptyVecKernelENS3_8DummyVecELm8EEEvRKNS_6TensorESB_lllENKUlvE0_clEvENKUlvE_clEvEUliE_EEvRNS_18TensorIteratorBaseERKT_EUlibE_EEviT1_.kd
    .uniform_work_group_size: 1
    .uses_dynamic_stack: false
    .vgpr_count:     15
    .vgpr_spill_count: 0
    .wavefront_size: 32
  - .args:
      - .offset:         0
        .size:           4
        .value_kind:     by_value
      - .offset:         8
        .size:           48
        .value_kind:     by_value
    .group_segment_fixed_size: 0
    .kernarg_segment_align: 8
    .kernarg_segment_size: 56
    .language:       OpenCL C
    .language_version:
      - 2
      - 0
    .max_flat_workgroup_size: 128
    .name:           _ZN2at6native32elementwise_kernel_manual_unrollILi128ELi4EZNS0_15gpu_kernel_implIZZZNS0_12_GLOBAL__N_142_validate_compressed_sparse_indices_kernelILNS3_8CDimNameE0ENS3_18CUDAKernelLauncherENS3_14EmptyVecKernelENS3_8DummyVecELm8EEEvRKNS_6TensorESB_lllENKUlvE0_clEvENKUlvE_clEvEUliE_EEvRNS_18TensorIteratorBaseERKT_EUlibE_EEviT1_
    .private_segment_fixed_size: 0
    .sgpr_count:     34
    .sgpr_spill_count: 0
    .symbol:         _ZN2at6native32elementwise_kernel_manual_unrollILi128ELi4EZNS0_15gpu_kernel_implIZZZNS0_12_GLOBAL__N_142_validate_compressed_sparse_indices_kernelILNS3_8CDimNameE0ENS3_18CUDAKernelLauncherENS3_14EmptyVecKernelENS3_8DummyVecELm8EEEvRKNS_6TensorESB_lllENKUlvE0_clEvENKUlvE_clEvEUliE_EEvRNS_18TensorIteratorBaseERKT_EUlibE_EEviT1_.kd
    .uniform_work_group_size: 1
    .uses_dynamic_stack: false
    .vgpr_count:     10
    .vgpr_spill_count: 0
    .wavefront_size: 32
  - .args:
      - .offset:         0
        .size:           4
        .value_kind:     by_value
      - .offset:         8
        .size:           368
        .value_kind:     by_value
    .group_segment_fixed_size: 0
    .kernarg_segment_align: 8
    .kernarg_segment_size: 376
    .language:       OpenCL C
    .language_version:
      - 2
      - 0
    .max_flat_workgroup_size: 128
    .name:           _ZN2at6native32elementwise_kernel_manual_unrollILi128ELi4EZNS0_15gpu_kernel_implIZZZNS0_12_GLOBAL__N_142_validate_compressed_sparse_indices_kernelILNS3_8CDimNameE0ENS3_18CUDAKernelLauncherENS3_14EmptyVecKernelENS3_8DummyVecELm8EEEvRKNS_6TensorESB_lllENKUlvE0_clEvENKUlvE_clEvEUliE_EEvRNS_18TensorIteratorBaseERKT_EUlibE0_EEviT1_
    .private_segment_fixed_size: 0
    .sgpr_count:     74
    .sgpr_spill_count: 0
    .symbol:         _ZN2at6native32elementwise_kernel_manual_unrollILi128ELi4EZNS0_15gpu_kernel_implIZZZNS0_12_GLOBAL__N_142_validate_compressed_sparse_indices_kernelILNS3_8CDimNameE0ENS3_18CUDAKernelLauncherENS3_14EmptyVecKernelENS3_8DummyVecELm8EEEvRKNS_6TensorESB_lllENKUlvE0_clEvENKUlvE_clEvEUliE_EEvRNS_18TensorIteratorBaseERKT_EUlibE0_EEviT1_.kd
    .uniform_work_group_size: 1
    .uses_dynamic_stack: false
    .vgpr_count:     18
    .vgpr_spill_count: 0
    .wavefront_size: 32
  - .args:
      - .offset:         0
        .size:           4
        .value_kind:     by_value
      - .offset:         8
        .size:           16
        .value_kind:     by_value
      - .offset:         24
        .size:           16
        .value_kind:     by_value
    .group_segment_fixed_size: 0
    .kernarg_segment_align: 8
    .kernarg_segment_size: 40
    .language:       OpenCL C
    .language_version:
      - 2
      - 0
    .max_flat_workgroup_size: 256
    .name:           _ZN2at6native29vectorized_elementwise_kernelILi16EZZZNS0_12_GLOBAL__N_142_validate_compressed_sparse_indices_kernelILNS2_8CDimNameE0ENS2_18CUDAKernelLauncherENS2_14EmptyVecKernelENS2_8DummyVecELm8EEEvRKNS_6TensorESA_lllENKUlvE0_clEvENKUlvE0_clEvEUllE_St5arrayIPcLm2EEEEviT0_T1_
    .private_segment_fixed_size: 0
    .sgpr_count:     30
    .sgpr_spill_count: 0
    .symbol:         _ZN2at6native29vectorized_elementwise_kernelILi16EZZZNS0_12_GLOBAL__N_142_validate_compressed_sparse_indices_kernelILNS2_8CDimNameE0ENS2_18CUDAKernelLauncherENS2_14EmptyVecKernelENS2_8DummyVecELm8EEEvRKNS_6TensorESA_lllENKUlvE0_clEvENKUlvE0_clEvEUllE_St5arrayIPcLm2EEEEviT0_T1_.kd
    .uniform_work_group_size: 1
    .uses_dynamic_stack: false
    .vgpr_count:     12
    .vgpr_spill_count: 0
    .wavefront_size: 32
  - .args:
      - .offset:         0
        .size:           4
        .value_kind:     by_value
      - .offset:         8
        .size:           16
        .value_kind:     by_value
      - .offset:         24
        .size:           16
        .value_kind:     by_value
    .group_segment_fixed_size: 0
    .kernarg_segment_align: 8
    .kernarg_segment_size: 40
    .language:       OpenCL C
    .language_version:
      - 2
      - 0
    .max_flat_workgroup_size: 256
    .name:           _ZN2at6native29vectorized_elementwise_kernelILi8EZZZNS0_12_GLOBAL__N_142_validate_compressed_sparse_indices_kernelILNS2_8CDimNameE0ENS2_18CUDAKernelLauncherENS2_14EmptyVecKernelENS2_8DummyVecELm8EEEvRKNS_6TensorESA_lllENKUlvE0_clEvENKUlvE0_clEvEUllE_St5arrayIPcLm2EEEEviT0_T1_
    .private_segment_fixed_size: 0
    .sgpr_count:     30
    .sgpr_spill_count: 0
    .symbol:         _ZN2at6native29vectorized_elementwise_kernelILi8EZZZNS0_12_GLOBAL__N_142_validate_compressed_sparse_indices_kernelILNS2_8CDimNameE0ENS2_18CUDAKernelLauncherENS2_14EmptyVecKernelENS2_8DummyVecELm8EEEvRKNS_6TensorESA_lllENKUlvE0_clEvENKUlvE0_clEvEUllE_St5arrayIPcLm2EEEEviT0_T1_.kd
    .uniform_work_group_size: 1
    .uses_dynamic_stack: false
    .vgpr_count:     12
    .vgpr_spill_count: 0
    .wavefront_size: 32
  - .args:
      - .offset:         0
        .size:           4
        .value_kind:     by_value
      - .offset:         8
        .size:           16
        .value_kind:     by_value
      - .offset:         24
        .size:           16
        .value_kind:     by_value
    .group_segment_fixed_size: 0
    .kernarg_segment_align: 8
    .kernarg_segment_size: 40
    .language:       OpenCL C
    .language_version:
      - 2
      - 0
    .max_flat_workgroup_size: 256
    .name:           _ZN2at6native29vectorized_elementwise_kernelILi4EZZZNS0_12_GLOBAL__N_142_validate_compressed_sparse_indices_kernelILNS2_8CDimNameE0ENS2_18CUDAKernelLauncherENS2_14EmptyVecKernelENS2_8DummyVecELm8EEEvRKNS_6TensorESA_lllENKUlvE0_clEvENKUlvE0_clEvEUllE_St5arrayIPcLm2EEEEviT0_T1_
    .private_segment_fixed_size: 0
    .sgpr_count:     30
    .sgpr_spill_count: 0
    .symbol:         _ZN2at6native29vectorized_elementwise_kernelILi4EZZZNS0_12_GLOBAL__N_142_validate_compressed_sparse_indices_kernelILNS2_8CDimNameE0ENS2_18CUDAKernelLauncherENS2_14EmptyVecKernelENS2_8DummyVecELm8EEEvRKNS_6TensorESA_lllENKUlvE0_clEvENKUlvE0_clEvEUllE_St5arrayIPcLm2EEEEviT0_T1_.kd
    .uniform_work_group_size: 1
    .uses_dynamic_stack: false
    .vgpr_count:     12
    .vgpr_spill_count: 0
    .wavefront_size: 32
  - .args:
      - .offset:         0
        .size:           4
        .value_kind:     by_value
      - .offset:         8
        .size:           16
        .value_kind:     by_value
      - .offset:         24
        .size:           16
        .value_kind:     by_value
    .group_segment_fixed_size: 0
    .kernarg_segment_align: 8
    .kernarg_segment_size: 40
    .language:       OpenCL C
    .language_version:
      - 2
      - 0
    .max_flat_workgroup_size: 256
    .name:           _ZN2at6native29vectorized_elementwise_kernelILi2EZZZNS0_12_GLOBAL__N_142_validate_compressed_sparse_indices_kernelILNS2_8CDimNameE0ENS2_18CUDAKernelLauncherENS2_14EmptyVecKernelENS2_8DummyVecELm8EEEvRKNS_6TensorESA_lllENKUlvE0_clEvENKUlvE0_clEvEUllE_St5arrayIPcLm2EEEEviT0_T1_
    .private_segment_fixed_size: 0
    .sgpr_count:     30
    .sgpr_spill_count: 0
    .symbol:         _ZN2at6native29vectorized_elementwise_kernelILi2EZZZNS0_12_GLOBAL__N_142_validate_compressed_sparse_indices_kernelILNS2_8CDimNameE0ENS2_18CUDAKernelLauncherENS2_14EmptyVecKernelENS2_8DummyVecELm8EEEvRKNS_6TensorESA_lllENKUlvE0_clEvENKUlvE0_clEvEUllE_St5arrayIPcLm2EEEEviT0_T1_.kd
    .uniform_work_group_size: 1
    .uses_dynamic_stack: false
    .vgpr_count:     11
    .vgpr_spill_count: 0
    .wavefront_size: 32
  - .args:
      - .offset:         0
        .size:           4
        .value_kind:     by_value
      - .offset:         8
        .size:           16
        .value_kind:     by_value
      - .offset:         24
        .size:           16
        .value_kind:     by_value
      - .offset:         40
        .size:           1
        .value_kind:     by_value
      - .offset:         41
        .size:           1
        .value_kind:     by_value
      - .offset:         42
        .size:           1
        .value_kind:     by_value
      - .offset:         43
        .size:           1
        .value_kind:     by_value
    .group_segment_fixed_size: 0
    .kernarg_segment_align: 8
    .kernarg_segment_size: 44
    .language:       OpenCL C
    .language_version:
      - 2
      - 0
    .max_flat_workgroup_size: 256
    .name:           _ZN2at6native27unrolled_elementwise_kernelIZZZNS0_12_GLOBAL__N_142_validate_compressed_sparse_indices_kernelILNS2_8CDimNameE0ENS2_18CUDAKernelLauncherENS2_14EmptyVecKernelENS2_8DummyVecELm8EEEvRKNS_6TensorESA_lllENKUlvE0_clEvENKUlvE0_clEvEUllE_St5arrayIPcLm2EELi4E23TrivialOffsetCalculatorILi1EjESI_NS0_6memory15LoadWithoutCastENSJ_16StoreWithoutCastEEEviT_T0_T2_T3_T4_T5_
    .private_segment_fixed_size: 0
    .sgpr_count:     21
    .sgpr_spill_count: 0
    .symbol:         _ZN2at6native27unrolled_elementwise_kernelIZZZNS0_12_GLOBAL__N_142_validate_compressed_sparse_indices_kernelILNS2_8CDimNameE0ENS2_18CUDAKernelLauncherENS2_14EmptyVecKernelENS2_8DummyVecELm8EEEvRKNS_6TensorESA_lllENKUlvE0_clEvENKUlvE0_clEvEUllE_St5arrayIPcLm2EELi4E23TrivialOffsetCalculatorILi1EjESI_NS0_6memory15LoadWithoutCastENSJ_16StoreWithoutCastEEEviT_T0_T2_T3_T4_T5_.kd
    .uniform_work_group_size: 1
    .uses_dynamic_stack: false
    .vgpr_count:     11
    .vgpr_spill_count: 0
    .wavefront_size: 32
  - .args:
      - .offset:         0
        .size:           4
        .value_kind:     by_value
      - .offset:         8
        .size:           360
        .value_kind:     by_value
    .group_segment_fixed_size: 0
    .kernarg_segment_align: 8
    .kernarg_segment_size: 368
    .language:       OpenCL C
    .language_version:
      - 2
      - 0
    .max_flat_workgroup_size: 128
    .name:           _ZN2at6native32elementwise_kernel_manual_unrollILi128ELi4EZNS0_22gpu_kernel_impl_nocastIZZZNS0_12_GLOBAL__N_142_validate_compressed_sparse_indices_kernelILNS3_8CDimNameE0ENS3_18CUDAKernelLauncherENS3_14EmptyVecKernelENS3_8DummyVecELm8EEEvRKNS_6TensorESB_lllENKUlvE0_clEvENKUlvE0_clEvEUllE_EEvRNS_18TensorIteratorBaseERKT_EUlibE_EEviT1_
    .private_segment_fixed_size: 0
    .sgpr_count:     74
    .sgpr_spill_count: 0
    .symbol:         _ZN2at6native32elementwise_kernel_manual_unrollILi128ELi4EZNS0_22gpu_kernel_impl_nocastIZZZNS0_12_GLOBAL__N_142_validate_compressed_sparse_indices_kernelILNS3_8CDimNameE0ENS3_18CUDAKernelLauncherENS3_14EmptyVecKernelENS3_8DummyVecELm8EEEvRKNS_6TensorESB_lllENKUlvE0_clEvENKUlvE0_clEvEUllE_EEvRNS_18TensorIteratorBaseERKT_EUlibE_EEviT1_.kd
    .uniform_work_group_size: 1
    .uses_dynamic_stack: false
    .vgpr_count:     15
    .vgpr_spill_count: 0
    .wavefront_size: 32
  - .args:
      - .offset:         0
        .size:           4
        .value_kind:     by_value
      - .offset:         8
        .size:           48
        .value_kind:     by_value
    .group_segment_fixed_size: 0
    .kernarg_segment_align: 8
    .kernarg_segment_size: 56
    .language:       OpenCL C
    .language_version:
      - 2
      - 0
    .max_flat_workgroup_size: 128
    .name:           _ZN2at6native32elementwise_kernel_manual_unrollILi128ELi4EZNS0_15gpu_kernel_implIZZZNS0_12_GLOBAL__N_142_validate_compressed_sparse_indices_kernelILNS3_8CDimNameE0ENS3_18CUDAKernelLauncherENS3_14EmptyVecKernelENS3_8DummyVecELm8EEEvRKNS_6TensorESB_lllENKUlvE0_clEvENKUlvE0_clEvEUllE_EEvRNS_18TensorIteratorBaseERKT_EUlibE_EEviT1_
    .private_segment_fixed_size: 0
    .sgpr_count:     37
    .sgpr_spill_count: 0
    .symbol:         _ZN2at6native32elementwise_kernel_manual_unrollILi128ELi4EZNS0_15gpu_kernel_implIZZZNS0_12_GLOBAL__N_142_validate_compressed_sparse_indices_kernelILNS3_8CDimNameE0ENS3_18CUDAKernelLauncherENS3_14EmptyVecKernelENS3_8DummyVecELm8EEEvRKNS_6TensorESB_lllENKUlvE0_clEvENKUlvE0_clEvEUllE_EEvRNS_18TensorIteratorBaseERKT_EUlibE_EEviT1_.kd
    .uniform_work_group_size: 1
    .uses_dynamic_stack: false
    .vgpr_count:     12
    .vgpr_spill_count: 0
    .wavefront_size: 32
  - .args:
      - .offset:         0
        .size:           4
        .value_kind:     by_value
      - .offset:         8
        .size:           368
        .value_kind:     by_value
    .group_segment_fixed_size: 0
    .kernarg_segment_align: 8
    .kernarg_segment_size: 376
    .language:       OpenCL C
    .language_version:
      - 2
      - 0
    .max_flat_workgroup_size: 128
    .name:           _ZN2at6native32elementwise_kernel_manual_unrollILi128ELi4EZNS0_15gpu_kernel_implIZZZNS0_12_GLOBAL__N_142_validate_compressed_sparse_indices_kernelILNS3_8CDimNameE0ENS3_18CUDAKernelLauncherENS3_14EmptyVecKernelENS3_8DummyVecELm8EEEvRKNS_6TensorESB_lllENKUlvE0_clEvENKUlvE0_clEvEUllE_EEvRNS_18TensorIteratorBaseERKT_EUlibE0_EEviT1_
    .private_segment_fixed_size: 0
    .sgpr_count:     78
    .sgpr_spill_count: 0
    .symbol:         _ZN2at6native32elementwise_kernel_manual_unrollILi128ELi4EZNS0_15gpu_kernel_implIZZZNS0_12_GLOBAL__N_142_validate_compressed_sparse_indices_kernelILNS3_8CDimNameE0ENS3_18CUDAKernelLauncherENS3_14EmptyVecKernelENS3_8DummyVecELm8EEEvRKNS_6TensorESB_lllENKUlvE0_clEvENKUlvE0_clEvEUllE_EEvRNS_18TensorIteratorBaseERKT_EUlibE0_EEviT1_.kd
    .uniform_work_group_size: 1
    .uses_dynamic_stack: false
    .vgpr_count:     22
    .vgpr_spill_count: 0
    .wavefront_size: 32
  - .args:
      - .offset:         0
        .size:           4
        .value_kind:     by_value
      - .offset:         8
        .size:           168
        .value_kind:     by_value
      - .offset:         176
        .size:           48
        .value_kind:     by_value
    .group_segment_fixed_size: 0
    .kernarg_segment_align: 8
    .kernarg_segment_size: 224
    .language:       OpenCL C
    .language_version:
      - 2
      - 0
    .max_flat_workgroup_size: 256
    .name:           _ZN2at6native29vectorized_elementwise_kernelILi16EZZZNS0_12_GLOBAL__N_142_validate_compressed_sparse_indices_kernelILNS2_8CDimNameE0ENS2_18CUDAKernelLauncherENS2_14EmptyVecKernelENS2_8DummyVecELm8EEEvRKNS_6TensorESA_lllENKUlvE1_clEvENKUlvE_clEvEUliiiiiE_St5arrayIPcLm6EEEEviT0_T1_
    .private_segment_fixed_size: 0
    .sgpr_count:     71
    .sgpr_spill_count: 0
    .symbol:         _ZN2at6native29vectorized_elementwise_kernelILi16EZZZNS0_12_GLOBAL__N_142_validate_compressed_sparse_indices_kernelILNS2_8CDimNameE0ENS2_18CUDAKernelLauncherENS2_14EmptyVecKernelENS2_8DummyVecELm8EEEvRKNS_6TensorESA_lllENKUlvE1_clEvENKUlvE_clEvEUliiiiiE_St5arrayIPcLm6EEEEviT0_T1_.kd
    .uniform_work_group_size: 1
    .uses_dynamic_stack: false
    .vgpr_count:     44
    .vgpr_spill_count: 0
    .wavefront_size: 32
  - .args:
      - .offset:         0
        .size:           4
        .value_kind:     by_value
      - .offset:         8
        .size:           168
        .value_kind:     by_value
      - .offset:         176
        .size:           48
        .value_kind:     by_value
    .group_segment_fixed_size: 0
    .kernarg_segment_align: 8
    .kernarg_segment_size: 224
    .language:       OpenCL C
    .language_version:
      - 2
      - 0
    .max_flat_workgroup_size: 256
    .name:           _ZN2at6native29vectorized_elementwise_kernelILi8EZZZNS0_12_GLOBAL__N_142_validate_compressed_sparse_indices_kernelILNS2_8CDimNameE0ENS2_18CUDAKernelLauncherENS2_14EmptyVecKernelENS2_8DummyVecELm8EEEvRKNS_6TensorESA_lllENKUlvE1_clEvENKUlvE_clEvEUliiiiiE_St5arrayIPcLm6EEEEviT0_T1_
    .private_segment_fixed_size: 0
    .sgpr_count:     71
    .sgpr_spill_count: 0
    .symbol:         _ZN2at6native29vectorized_elementwise_kernelILi8EZZZNS0_12_GLOBAL__N_142_validate_compressed_sparse_indices_kernelILNS2_8CDimNameE0ENS2_18CUDAKernelLauncherENS2_14EmptyVecKernelENS2_8DummyVecELm8EEEvRKNS_6TensorESA_lllENKUlvE1_clEvENKUlvE_clEvEUliiiiiE_St5arrayIPcLm6EEEEviT0_T1_.kd
    .uniform_work_group_size: 1
    .uses_dynamic_stack: false
    .vgpr_count:     44
    .vgpr_spill_count: 0
    .wavefront_size: 32
  - .args:
      - .offset:         0
        .size:           4
        .value_kind:     by_value
      - .offset:         8
        .size:           168
        .value_kind:     by_value
      - .offset:         176
        .size:           48
        .value_kind:     by_value
    .group_segment_fixed_size: 0
    .kernarg_segment_align: 8
    .kernarg_segment_size: 224
    .language:       OpenCL C
    .language_version:
      - 2
      - 0
    .max_flat_workgroup_size: 256
    .name:           _ZN2at6native29vectorized_elementwise_kernelILi4EZZZNS0_12_GLOBAL__N_142_validate_compressed_sparse_indices_kernelILNS2_8CDimNameE0ENS2_18CUDAKernelLauncherENS2_14EmptyVecKernelENS2_8DummyVecELm8EEEvRKNS_6TensorESA_lllENKUlvE1_clEvENKUlvE_clEvEUliiiiiE_St5arrayIPcLm6EEEEviT0_T1_
    .private_segment_fixed_size: 0
    .sgpr_count:     71
    .sgpr_spill_count: 0
    .symbol:         _ZN2at6native29vectorized_elementwise_kernelILi4EZZZNS0_12_GLOBAL__N_142_validate_compressed_sparse_indices_kernelILNS2_8CDimNameE0ENS2_18CUDAKernelLauncherENS2_14EmptyVecKernelENS2_8DummyVecELm8EEEvRKNS_6TensorESA_lllENKUlvE1_clEvENKUlvE_clEvEUliiiiiE_St5arrayIPcLm6EEEEviT0_T1_.kd
    .uniform_work_group_size: 1
    .uses_dynamic_stack: false
    .vgpr_count:     44
    .vgpr_spill_count: 0
    .wavefront_size: 32
  - .args:
      - .offset:         0
        .size:           4
        .value_kind:     by_value
      - .offset:         8
        .size:           168
        .value_kind:     by_value
      - .offset:         176
        .size:           48
        .value_kind:     by_value
    .group_segment_fixed_size: 0
    .kernarg_segment_align: 8
    .kernarg_segment_size: 224
    .language:       OpenCL C
    .language_version:
      - 2
      - 0
    .max_flat_workgroup_size: 256
    .name:           _ZN2at6native29vectorized_elementwise_kernelILi2EZZZNS0_12_GLOBAL__N_142_validate_compressed_sparse_indices_kernelILNS2_8CDimNameE0ENS2_18CUDAKernelLauncherENS2_14EmptyVecKernelENS2_8DummyVecELm8EEEvRKNS_6TensorESA_lllENKUlvE1_clEvENKUlvE_clEvEUliiiiiE_St5arrayIPcLm6EEEEviT0_T1_
    .private_segment_fixed_size: 0
    .sgpr_count:     71
    .sgpr_spill_count: 0
    .symbol:         _ZN2at6native29vectorized_elementwise_kernelILi2EZZZNS0_12_GLOBAL__N_142_validate_compressed_sparse_indices_kernelILNS2_8CDimNameE0ENS2_18CUDAKernelLauncherENS2_14EmptyVecKernelENS2_8DummyVecELm8EEEvRKNS_6TensorESA_lllENKUlvE1_clEvENKUlvE_clEvEUliiiiiE_St5arrayIPcLm6EEEEviT0_T1_.kd
    .uniform_work_group_size: 1
    .uses_dynamic_stack: false
    .vgpr_count:     44
    .vgpr_spill_count: 0
    .wavefront_size: 32
  - .args:
      - .offset:         0
        .size:           4
        .value_kind:     by_value
      - .offset:         8
        .size:           168
        .value_kind:     by_value
      - .offset:         176
        .size:           48
        .value_kind:     by_value
      - .offset:         224
        .size:           1
        .value_kind:     by_value
      - .offset:         225
        .size:           1
        .value_kind:     by_value
      - .offset:         226
        .size:           1
        .value_kind:     by_value
      - .offset:         227
        .size:           1
        .value_kind:     by_value
    .group_segment_fixed_size: 0
    .kernarg_segment_align: 8
    .kernarg_segment_size: 228
    .language:       OpenCL C
    .language_version:
      - 2
      - 0
    .max_flat_workgroup_size: 256
    .name:           _ZN2at6native27unrolled_elementwise_kernelIZZZNS0_12_GLOBAL__N_142_validate_compressed_sparse_indices_kernelILNS2_8CDimNameE0ENS2_18CUDAKernelLauncherENS2_14EmptyVecKernelENS2_8DummyVecELm8EEEvRKNS_6TensorESA_lllENKUlvE1_clEvENKUlvE_clEvEUliiiiiE_St5arrayIPcLm6EELi4E23TrivialOffsetCalculatorILi5EjESH_ILi1EjENS0_6memory15LoadWithoutCastENSK_16StoreWithoutCastEEEviT_T0_T2_T3_T4_T5_
    .private_segment_fixed_size: 0
    .sgpr_count:     65
    .sgpr_spill_count: 0
    .symbol:         _ZN2at6native27unrolled_elementwise_kernelIZZZNS0_12_GLOBAL__N_142_validate_compressed_sparse_indices_kernelILNS2_8CDimNameE0ENS2_18CUDAKernelLauncherENS2_14EmptyVecKernelENS2_8DummyVecELm8EEEvRKNS_6TensorESA_lllENKUlvE1_clEvENKUlvE_clEvEUliiiiiE_St5arrayIPcLm6EELi4E23TrivialOffsetCalculatorILi5EjESH_ILi1EjENS0_6memory15LoadWithoutCastENSK_16StoreWithoutCastEEEviT_T0_T2_T3_T4_T5_.kd
    .uniform_work_group_size: 1
    .uses_dynamic_stack: false
    .vgpr_count:     44
    .vgpr_spill_count: 0
    .wavefront_size: 32
  - .args:
      - .offset:         0
        .size:           4
        .value_kind:     by_value
      - .offset:         8
        .size:           800
        .value_kind:     by_value
    .group_segment_fixed_size: 0
    .kernarg_segment_align: 8
    .kernarg_segment_size: 808
    .language:       OpenCL C
    .language_version:
      - 2
      - 0
    .max_flat_workgroup_size: 128
    .name:           _ZN2at6native32elementwise_kernel_manual_unrollILi128ELi4EZNS0_22gpu_kernel_impl_nocastIZZZNS0_12_GLOBAL__N_142_validate_compressed_sparse_indices_kernelILNS3_8CDimNameE0ENS3_18CUDAKernelLauncherENS3_14EmptyVecKernelENS3_8DummyVecELm8EEEvRKNS_6TensorESB_lllENKUlvE1_clEvENKUlvE_clEvEUliiiiiE_EEvRNS_18TensorIteratorBaseERKT_EUlibE_EEviT1_
    .private_segment_fixed_size: 0
    .sgpr_count:     102
    .sgpr_spill_count: 0
    .symbol:         _ZN2at6native32elementwise_kernel_manual_unrollILi128ELi4EZNS0_22gpu_kernel_impl_nocastIZZZNS0_12_GLOBAL__N_142_validate_compressed_sparse_indices_kernelILNS3_8CDimNameE0ENS3_18CUDAKernelLauncherENS3_14EmptyVecKernelENS3_8DummyVecELm8EEEvRKNS_6TensorESB_lllENKUlvE1_clEvENKUlvE_clEvEUliiiiiE_EEvRNS_18TensorIteratorBaseERKT_EUlibE_EEviT1_.kd
    .uniform_work_group_size: 1
    .uses_dynamic_stack: false
    .vgpr_count:     46
    .vgpr_spill_count: 0
    .wavefront_size: 32
  - .args:
      - .offset:         0
        .size:           4
        .value_kind:     by_value
      - .offset:         8
        .size:           248
        .value_kind:     by_value
    .group_segment_fixed_size: 0
    .kernarg_segment_align: 8
    .kernarg_segment_size: 256
    .language:       OpenCL C
    .language_version:
      - 2
      - 0
    .max_flat_workgroup_size: 128
    .name:           _ZN2at6native32elementwise_kernel_manual_unrollILi128ELi4EZNS0_15gpu_kernel_implIZZZNS0_12_GLOBAL__N_142_validate_compressed_sparse_indices_kernelILNS3_8CDimNameE0ENS3_18CUDAKernelLauncherENS3_14EmptyVecKernelENS3_8DummyVecELm8EEEvRKNS_6TensorESB_lllENKUlvE1_clEvENKUlvE_clEvEUliiiiiE_EEvRNS_18TensorIteratorBaseERKT_EUlibE_EEviT1_
    .private_segment_fixed_size: 0
    .sgpr_count:     100
    .sgpr_spill_count: 0
    .symbol:         _ZN2at6native32elementwise_kernel_manual_unrollILi128ELi4EZNS0_15gpu_kernel_implIZZZNS0_12_GLOBAL__N_142_validate_compressed_sparse_indices_kernelILNS3_8CDimNameE0ENS3_18CUDAKernelLauncherENS3_14EmptyVecKernelENS3_8DummyVecELm8EEEvRKNS_6TensorESB_lllENKUlvE1_clEvENKUlvE_clEvEUliiiiiE_EEvRNS_18TensorIteratorBaseERKT_EUlibE_EEviT1_.kd
    .uniform_work_group_size: 1
    .uses_dynamic_stack: false
    .vgpr_count:     38
    .vgpr_spill_count: 0
    .wavefront_size: 32
  - .args:
      - .offset:         0
        .size:           4
        .value_kind:     by_value
      - .offset:         8
        .size:           808
        .value_kind:     by_value
    .group_segment_fixed_size: 0
    .kernarg_segment_align: 8
    .kernarg_segment_size: 816
    .language:       OpenCL C
    .language_version:
      - 2
      - 0
    .max_flat_workgroup_size: 128
    .name:           _ZN2at6native32elementwise_kernel_manual_unrollILi128ELi4EZNS0_15gpu_kernel_implIZZZNS0_12_GLOBAL__N_142_validate_compressed_sparse_indices_kernelILNS3_8CDimNameE0ENS3_18CUDAKernelLauncherENS3_14EmptyVecKernelENS3_8DummyVecELm8EEEvRKNS_6TensorESB_lllENKUlvE1_clEvENKUlvE_clEvEUliiiiiE_EEvRNS_18TensorIteratorBaseERKT_EUlibE0_EEviT1_
    .private_segment_fixed_size: 0
    .sgpr_count:     107
    .sgpr_spill_count: 0
    .symbol:         _ZN2at6native32elementwise_kernel_manual_unrollILi128ELi4EZNS0_15gpu_kernel_implIZZZNS0_12_GLOBAL__N_142_validate_compressed_sparse_indices_kernelILNS3_8CDimNameE0ENS3_18CUDAKernelLauncherENS3_14EmptyVecKernelENS3_8DummyVecELm8EEEvRKNS_6TensorESB_lllENKUlvE1_clEvENKUlvE_clEvEUliiiiiE_EEvRNS_18TensorIteratorBaseERKT_EUlibE0_EEviT1_.kd
    .uniform_work_group_size: 1
    .uses_dynamic_stack: false
    .vgpr_count:     62
    .vgpr_spill_count: 0
    .wavefront_size: 32
  - .args:
      - .offset:         0
        .size:           4
        .value_kind:     by_value
      - .offset:         8
        .size:           168
        .value_kind:     by_value
      - .offset:         176
        .size:           48
        .value_kind:     by_value
    .group_segment_fixed_size: 0
    .kernarg_segment_align: 8
    .kernarg_segment_size: 224
    .language:       OpenCL C
    .language_version:
      - 2
      - 0
    .max_flat_workgroup_size: 256
    .name:           _ZN2at6native29vectorized_elementwise_kernelILi16EZZZNS0_12_GLOBAL__N_142_validate_compressed_sparse_indices_kernelILNS2_8CDimNameE0ENS2_18CUDAKernelLauncherENS2_14EmptyVecKernelENS2_8DummyVecELm8EEEvRKNS_6TensorESA_lllENKUlvE1_clEvENKUlvE0_clEvEUllllllE_St5arrayIPcLm6EEEEviT0_T1_
    .private_segment_fixed_size: 0
    .sgpr_count:     71
    .sgpr_spill_count: 0
    .symbol:         _ZN2at6native29vectorized_elementwise_kernelILi16EZZZNS0_12_GLOBAL__N_142_validate_compressed_sparse_indices_kernelILNS2_8CDimNameE0ENS2_18CUDAKernelLauncherENS2_14EmptyVecKernelENS2_8DummyVecELm8EEEvRKNS_6TensorESA_lllENKUlvE1_clEvENKUlvE0_clEvEUllllllE_St5arrayIPcLm6EEEEviT0_T1_.kd
    .uniform_work_group_size: 1
    .uses_dynamic_stack: false
    .vgpr_count:     60
    .vgpr_spill_count: 0
    .wavefront_size: 32
  - .args:
      - .offset:         0
        .size:           4
        .value_kind:     by_value
      - .offset:         8
        .size:           168
        .value_kind:     by_value
      - .offset:         176
        .size:           48
        .value_kind:     by_value
    .group_segment_fixed_size: 0
    .kernarg_segment_align: 8
    .kernarg_segment_size: 224
    .language:       OpenCL C
    .language_version:
      - 2
      - 0
    .max_flat_workgroup_size: 256
    .name:           _ZN2at6native29vectorized_elementwise_kernelILi8EZZZNS0_12_GLOBAL__N_142_validate_compressed_sparse_indices_kernelILNS2_8CDimNameE0ENS2_18CUDAKernelLauncherENS2_14EmptyVecKernelENS2_8DummyVecELm8EEEvRKNS_6TensorESA_lllENKUlvE1_clEvENKUlvE0_clEvEUllllllE_St5arrayIPcLm6EEEEviT0_T1_
    .private_segment_fixed_size: 0
    .sgpr_count:     71
    .sgpr_spill_count: 0
    .symbol:         _ZN2at6native29vectorized_elementwise_kernelILi8EZZZNS0_12_GLOBAL__N_142_validate_compressed_sparse_indices_kernelILNS2_8CDimNameE0ENS2_18CUDAKernelLauncherENS2_14EmptyVecKernelENS2_8DummyVecELm8EEEvRKNS_6TensorESA_lllENKUlvE1_clEvENKUlvE0_clEvEUllllllE_St5arrayIPcLm6EEEEviT0_T1_.kd
    .uniform_work_group_size: 1
    .uses_dynamic_stack: false
    .vgpr_count:     60
    .vgpr_spill_count: 0
    .wavefront_size: 32
  - .args:
      - .offset:         0
        .size:           4
        .value_kind:     by_value
      - .offset:         8
        .size:           168
        .value_kind:     by_value
      - .offset:         176
        .size:           48
        .value_kind:     by_value
    .group_segment_fixed_size: 0
    .kernarg_segment_align: 8
    .kernarg_segment_size: 224
    .language:       OpenCL C
    .language_version:
      - 2
      - 0
    .max_flat_workgroup_size: 256
    .name:           _ZN2at6native29vectorized_elementwise_kernelILi4EZZZNS0_12_GLOBAL__N_142_validate_compressed_sparse_indices_kernelILNS2_8CDimNameE0ENS2_18CUDAKernelLauncherENS2_14EmptyVecKernelENS2_8DummyVecELm8EEEvRKNS_6TensorESA_lllENKUlvE1_clEvENKUlvE0_clEvEUllllllE_St5arrayIPcLm6EEEEviT0_T1_
    .private_segment_fixed_size: 0
    .sgpr_count:     71
    .sgpr_spill_count: 0
    .symbol:         _ZN2at6native29vectorized_elementwise_kernelILi4EZZZNS0_12_GLOBAL__N_142_validate_compressed_sparse_indices_kernelILNS2_8CDimNameE0ENS2_18CUDAKernelLauncherENS2_14EmptyVecKernelENS2_8DummyVecELm8EEEvRKNS_6TensorESA_lllENKUlvE1_clEvENKUlvE0_clEvEUllllllE_St5arrayIPcLm6EEEEviT0_T1_.kd
    .uniform_work_group_size: 1
    .uses_dynamic_stack: false
    .vgpr_count:     60
    .vgpr_spill_count: 0
    .wavefront_size: 32
  - .args:
      - .offset:         0
        .size:           4
        .value_kind:     by_value
      - .offset:         8
        .size:           168
        .value_kind:     by_value
      - .offset:         176
        .size:           48
        .value_kind:     by_value
    .group_segment_fixed_size: 0
    .kernarg_segment_align: 8
    .kernarg_segment_size: 224
    .language:       OpenCL C
    .language_version:
      - 2
      - 0
    .max_flat_workgroup_size: 256
    .name:           _ZN2at6native29vectorized_elementwise_kernelILi2EZZZNS0_12_GLOBAL__N_142_validate_compressed_sparse_indices_kernelILNS2_8CDimNameE0ENS2_18CUDAKernelLauncherENS2_14EmptyVecKernelENS2_8DummyVecELm8EEEvRKNS_6TensorESA_lllENKUlvE1_clEvENKUlvE0_clEvEUllllllE_St5arrayIPcLm6EEEEviT0_T1_
    .private_segment_fixed_size: 0
    .sgpr_count:     71
    .sgpr_spill_count: 0
    .symbol:         _ZN2at6native29vectorized_elementwise_kernelILi2EZZZNS0_12_GLOBAL__N_142_validate_compressed_sparse_indices_kernelILNS2_8CDimNameE0ENS2_18CUDAKernelLauncherENS2_14EmptyVecKernelENS2_8DummyVecELm8EEEvRKNS_6TensorESA_lllENKUlvE1_clEvENKUlvE0_clEvEUllllllE_St5arrayIPcLm6EEEEviT0_T1_.kd
    .uniform_work_group_size: 1
    .uses_dynamic_stack: false
    .vgpr_count:     60
    .vgpr_spill_count: 0
    .wavefront_size: 32
  - .args:
      - .offset:         0
        .size:           4
        .value_kind:     by_value
      - .offset:         8
        .size:           168
        .value_kind:     by_value
      - .offset:         176
        .size:           48
        .value_kind:     by_value
      - .offset:         224
        .size:           1
        .value_kind:     by_value
      - .offset:         225
        .size:           1
        .value_kind:     by_value
      - .offset:         226
        .size:           1
        .value_kind:     by_value
      - .offset:         227
        .size:           1
        .value_kind:     by_value
    .group_segment_fixed_size: 0
    .kernarg_segment_align: 8
    .kernarg_segment_size: 228
    .language:       OpenCL C
    .language_version:
      - 2
      - 0
    .max_flat_workgroup_size: 256
    .name:           _ZN2at6native27unrolled_elementwise_kernelIZZZNS0_12_GLOBAL__N_142_validate_compressed_sparse_indices_kernelILNS2_8CDimNameE0ENS2_18CUDAKernelLauncherENS2_14EmptyVecKernelENS2_8DummyVecELm8EEEvRKNS_6TensorESA_lllENKUlvE1_clEvENKUlvE0_clEvEUllllllE_St5arrayIPcLm6EELi4E23TrivialOffsetCalculatorILi5EjESH_ILi1EjENS0_6memory15LoadWithoutCastENSK_16StoreWithoutCastEEEviT_T0_T2_T3_T4_T5_
    .private_segment_fixed_size: 0
    .sgpr_count:     65
    .sgpr_spill_count: 0
    .symbol:         _ZN2at6native27unrolled_elementwise_kernelIZZZNS0_12_GLOBAL__N_142_validate_compressed_sparse_indices_kernelILNS2_8CDimNameE0ENS2_18CUDAKernelLauncherENS2_14EmptyVecKernelENS2_8DummyVecELm8EEEvRKNS_6TensorESA_lllENKUlvE1_clEvENKUlvE0_clEvEUllllllE_St5arrayIPcLm6EELi4E23TrivialOffsetCalculatorILi5EjESH_ILi1EjENS0_6memory15LoadWithoutCastENSK_16StoreWithoutCastEEEviT_T0_T2_T3_T4_T5_.kd
    .uniform_work_group_size: 1
    .uses_dynamic_stack: false
    .vgpr_count:     56
    .vgpr_spill_count: 0
    .wavefront_size: 32
  - .args:
      - .offset:         0
        .size:           4
        .value_kind:     by_value
      - .offset:         8
        .size:           800
        .value_kind:     by_value
    .group_segment_fixed_size: 0
    .kernarg_segment_align: 8
    .kernarg_segment_size: 808
    .language:       OpenCL C
    .language_version:
      - 2
      - 0
    .max_flat_workgroup_size: 128
    .name:           _ZN2at6native32elementwise_kernel_manual_unrollILi128ELi4EZNS0_22gpu_kernel_impl_nocastIZZZNS0_12_GLOBAL__N_142_validate_compressed_sparse_indices_kernelILNS3_8CDimNameE0ENS3_18CUDAKernelLauncherENS3_14EmptyVecKernelENS3_8DummyVecELm8EEEvRKNS_6TensorESB_lllENKUlvE1_clEvENKUlvE0_clEvEUllllllE_EEvRNS_18TensorIteratorBaseERKT_EUlibE_EEviT1_
    .private_segment_fixed_size: 0
    .sgpr_count:     106
    .sgpr_spill_count: 0
    .symbol:         _ZN2at6native32elementwise_kernel_manual_unrollILi128ELi4EZNS0_22gpu_kernel_impl_nocastIZZZNS0_12_GLOBAL__N_142_validate_compressed_sparse_indices_kernelILNS3_8CDimNameE0ENS3_18CUDAKernelLauncherENS3_14EmptyVecKernelENS3_8DummyVecELm8EEEvRKNS_6TensorESB_lllENKUlvE1_clEvENKUlvE0_clEvEUllllllE_EEvRNS_18TensorIteratorBaseERKT_EUlibE_EEviT1_.kd
    .uniform_work_group_size: 1
    .uses_dynamic_stack: false
    .vgpr_count:     48
    .vgpr_spill_count: 0
    .wavefront_size: 32
  - .args:
      - .offset:         0
        .size:           4
        .value_kind:     by_value
      - .offset:         8
        .size:           248
        .value_kind:     by_value
    .group_segment_fixed_size: 0
    .kernarg_segment_align: 8
    .kernarg_segment_size: 256
    .language:       OpenCL C
    .language_version:
      - 2
      - 0
    .max_flat_workgroup_size: 128
    .name:           _ZN2at6native32elementwise_kernel_manual_unrollILi128ELi4EZNS0_15gpu_kernel_implIZZZNS0_12_GLOBAL__N_142_validate_compressed_sparse_indices_kernelILNS3_8CDimNameE0ENS3_18CUDAKernelLauncherENS3_14EmptyVecKernelENS3_8DummyVecELm8EEEvRKNS_6TensorESB_lllENKUlvE1_clEvENKUlvE0_clEvEUllllllE_EEvRNS_18TensorIteratorBaseERKT_EUlibE_EEviT1_
    .private_segment_fixed_size: 0
    .sgpr_count:     102
    .sgpr_spill_count: 0
    .symbol:         _ZN2at6native32elementwise_kernel_manual_unrollILi128ELi4EZNS0_15gpu_kernel_implIZZZNS0_12_GLOBAL__N_142_validate_compressed_sparse_indices_kernelILNS3_8CDimNameE0ENS3_18CUDAKernelLauncherENS3_14EmptyVecKernelENS3_8DummyVecELm8EEEvRKNS_6TensorESB_lllENKUlvE1_clEvENKUlvE0_clEvEUllllllE_EEvRNS_18TensorIteratorBaseERKT_EUlibE_EEviT1_.kd
    .uniform_work_group_size: 1
    .uses_dynamic_stack: false
    .vgpr_count:     40
    .vgpr_spill_count: 0
    .wavefront_size: 32
  - .args:
      - .offset:         0
        .size:           4
        .value_kind:     by_value
      - .offset:         8
        .size:           808
        .value_kind:     by_value
    .group_segment_fixed_size: 0
    .kernarg_segment_align: 8
    .kernarg_segment_size: 816
    .language:       OpenCL C
    .language_version:
      - 2
      - 0
    .max_flat_workgroup_size: 128
    .name:           _ZN2at6native32elementwise_kernel_manual_unrollILi128ELi4EZNS0_15gpu_kernel_implIZZZNS0_12_GLOBAL__N_142_validate_compressed_sparse_indices_kernelILNS3_8CDimNameE0ENS3_18CUDAKernelLauncherENS3_14EmptyVecKernelENS3_8DummyVecELm8EEEvRKNS_6TensorESB_lllENKUlvE1_clEvENKUlvE0_clEvEUllllllE_EEvRNS_18TensorIteratorBaseERKT_EUlibE0_EEviT1_
    .private_segment_fixed_size: 20
    .sgpr_count:     107
    .sgpr_spill_count: 1
    .symbol:         _ZN2at6native32elementwise_kernel_manual_unrollILi128ELi4EZNS0_15gpu_kernel_implIZZZNS0_12_GLOBAL__N_142_validate_compressed_sparse_indices_kernelILNS3_8CDimNameE0ENS3_18CUDAKernelLauncherENS3_14EmptyVecKernelENS3_8DummyVecELm8EEEvRKNS_6TensorESB_lllENKUlvE1_clEvENKUlvE0_clEvEUllllllE_EEvRNS_18TensorIteratorBaseERKT_EUlibE0_EEviT1_.kd
    .uniform_work_group_size: 1
    .uses_dynamic_stack: false
    .vgpr_count:     67
    .vgpr_spill_count: 0
    .wavefront_size: 32
  - .args:
      - .offset:         0
        .size:           4
        .value_kind:     by_value
      - .offset:         8
        .size:           16
        .value_kind:     by_value
      - .offset:         24
        .size:           16
        .value_kind:     by_value
    .group_segment_fixed_size: 0
    .kernarg_segment_align: 8
    .kernarg_segment_size: 40
    .language:       OpenCL C
    .language_version:
      - 2
      - 0
    .max_flat_workgroup_size: 256
    .name:           _ZN2at6native29vectorized_elementwise_kernelILi16EZZZNS0_12_GLOBAL__N_142_validate_compressed_sparse_indices_kernelILNS2_8CDimNameE0ENS2_18CUDAKernelLauncherENS2_14EmptyVecKernelENS2_8DummyVecELm0EEEvRKNS_6TensorESA_lllENKUlvE0_clEvENKUlvE_clEvEUliE_St5arrayIPcLm2EEEEviT0_T1_
    .private_segment_fixed_size: 0
    .sgpr_count:     24
    .sgpr_spill_count: 0
    .symbol:         _ZN2at6native29vectorized_elementwise_kernelILi16EZZZNS0_12_GLOBAL__N_142_validate_compressed_sparse_indices_kernelILNS2_8CDimNameE0ENS2_18CUDAKernelLauncherENS2_14EmptyVecKernelENS2_8DummyVecELm0EEEvRKNS_6TensorESA_lllENKUlvE0_clEvENKUlvE_clEvEUliE_St5arrayIPcLm2EEEEviT0_T1_.kd
    .uniform_work_group_size: 1
    .uses_dynamic_stack: false
    .vgpr_count:     9
    .vgpr_spill_count: 0
    .wavefront_size: 32
  - .args:
      - .offset:         0
        .size:           4
        .value_kind:     by_value
      - .offset:         8
        .size:           16
        .value_kind:     by_value
      - .offset:         24
        .size:           16
        .value_kind:     by_value
    .group_segment_fixed_size: 0
    .kernarg_segment_align: 8
    .kernarg_segment_size: 40
    .language:       OpenCL C
    .language_version:
      - 2
      - 0
    .max_flat_workgroup_size: 256
    .name:           _ZN2at6native29vectorized_elementwise_kernelILi8EZZZNS0_12_GLOBAL__N_142_validate_compressed_sparse_indices_kernelILNS2_8CDimNameE0ENS2_18CUDAKernelLauncherENS2_14EmptyVecKernelENS2_8DummyVecELm0EEEvRKNS_6TensorESA_lllENKUlvE0_clEvENKUlvE_clEvEUliE_St5arrayIPcLm2EEEEviT0_T1_
    .private_segment_fixed_size: 0
    .sgpr_count:     24
    .sgpr_spill_count: 0
    .symbol:         _ZN2at6native29vectorized_elementwise_kernelILi8EZZZNS0_12_GLOBAL__N_142_validate_compressed_sparse_indices_kernelILNS2_8CDimNameE0ENS2_18CUDAKernelLauncherENS2_14EmptyVecKernelENS2_8DummyVecELm0EEEvRKNS_6TensorESA_lllENKUlvE0_clEvENKUlvE_clEvEUliE_St5arrayIPcLm2EEEEviT0_T1_.kd
    .uniform_work_group_size: 1
    .uses_dynamic_stack: false
    .vgpr_count:     9
    .vgpr_spill_count: 0
    .wavefront_size: 32
  - .args:
      - .offset:         0
        .size:           4
        .value_kind:     by_value
      - .offset:         8
        .size:           16
        .value_kind:     by_value
      - .offset:         24
        .size:           16
        .value_kind:     by_value
    .group_segment_fixed_size: 0
    .kernarg_segment_align: 8
    .kernarg_segment_size: 40
    .language:       OpenCL C
    .language_version:
      - 2
      - 0
    .max_flat_workgroup_size: 256
    .name:           _ZN2at6native29vectorized_elementwise_kernelILi4EZZZNS0_12_GLOBAL__N_142_validate_compressed_sparse_indices_kernelILNS2_8CDimNameE0ENS2_18CUDAKernelLauncherENS2_14EmptyVecKernelENS2_8DummyVecELm0EEEvRKNS_6TensorESA_lllENKUlvE0_clEvENKUlvE_clEvEUliE_St5arrayIPcLm2EEEEviT0_T1_
    .private_segment_fixed_size: 0
    .sgpr_count:     24
    .sgpr_spill_count: 0
    .symbol:         _ZN2at6native29vectorized_elementwise_kernelILi4EZZZNS0_12_GLOBAL__N_142_validate_compressed_sparse_indices_kernelILNS2_8CDimNameE0ENS2_18CUDAKernelLauncherENS2_14EmptyVecKernelENS2_8DummyVecELm0EEEvRKNS_6TensorESA_lllENKUlvE0_clEvENKUlvE_clEvEUliE_St5arrayIPcLm2EEEEviT0_T1_.kd
    .uniform_work_group_size: 1
    .uses_dynamic_stack: false
    .vgpr_count:     9
    .vgpr_spill_count: 0
    .wavefront_size: 32
  - .args:
      - .offset:         0
        .size:           4
        .value_kind:     by_value
      - .offset:         8
        .size:           16
        .value_kind:     by_value
      - .offset:         24
        .size:           16
        .value_kind:     by_value
    .group_segment_fixed_size: 0
    .kernarg_segment_align: 8
    .kernarg_segment_size: 40
    .language:       OpenCL C
    .language_version:
      - 2
      - 0
    .max_flat_workgroup_size: 256
    .name:           _ZN2at6native29vectorized_elementwise_kernelILi2EZZZNS0_12_GLOBAL__N_142_validate_compressed_sparse_indices_kernelILNS2_8CDimNameE0ENS2_18CUDAKernelLauncherENS2_14EmptyVecKernelENS2_8DummyVecELm0EEEvRKNS_6TensorESA_lllENKUlvE0_clEvENKUlvE_clEvEUliE_St5arrayIPcLm2EEEEviT0_T1_
    .private_segment_fixed_size: 0
    .sgpr_count:     24
    .sgpr_spill_count: 0
    .symbol:         _ZN2at6native29vectorized_elementwise_kernelILi2EZZZNS0_12_GLOBAL__N_142_validate_compressed_sparse_indices_kernelILNS2_8CDimNameE0ENS2_18CUDAKernelLauncherENS2_14EmptyVecKernelENS2_8DummyVecELm0EEEvRKNS_6TensorESA_lllENKUlvE0_clEvENKUlvE_clEvEUliE_St5arrayIPcLm2EEEEviT0_T1_.kd
    .uniform_work_group_size: 1
    .uses_dynamic_stack: false
    .vgpr_count:     9
    .vgpr_spill_count: 0
    .wavefront_size: 32
  - .args:
      - .offset:         0
        .size:           4
        .value_kind:     by_value
      - .offset:         8
        .size:           16
        .value_kind:     by_value
      - .offset:         24
        .size:           16
        .value_kind:     by_value
      - .offset:         40
        .size:           1
        .value_kind:     by_value
      - .offset:         41
        .size:           1
        .value_kind:     by_value
      - .offset:         42
        .size:           1
        .value_kind:     by_value
      - .offset:         43
        .size:           1
        .value_kind:     by_value
    .group_segment_fixed_size: 0
    .kernarg_segment_align: 8
    .kernarg_segment_size: 44
    .language:       OpenCL C
    .language_version:
      - 2
      - 0
    .max_flat_workgroup_size: 256
    .name:           _ZN2at6native27unrolled_elementwise_kernelIZZZNS0_12_GLOBAL__N_142_validate_compressed_sparse_indices_kernelILNS2_8CDimNameE0ENS2_18CUDAKernelLauncherENS2_14EmptyVecKernelENS2_8DummyVecELm0EEEvRKNS_6TensorESA_lllENKUlvE0_clEvENKUlvE_clEvEUliE_St5arrayIPcLm2EELi4E23TrivialOffsetCalculatorILi1EjESI_NS0_6memory15LoadWithoutCastENSJ_16StoreWithoutCastEEEviT_T0_T2_T3_T4_T5_
    .private_segment_fixed_size: 0
    .sgpr_count:     22
    .sgpr_spill_count: 0
    .symbol:         _ZN2at6native27unrolled_elementwise_kernelIZZZNS0_12_GLOBAL__N_142_validate_compressed_sparse_indices_kernelILNS2_8CDimNameE0ENS2_18CUDAKernelLauncherENS2_14EmptyVecKernelENS2_8DummyVecELm0EEEvRKNS_6TensorESA_lllENKUlvE0_clEvENKUlvE_clEvEUliE_St5arrayIPcLm2EELi4E23TrivialOffsetCalculatorILi1EjESI_NS0_6memory15LoadWithoutCastENSJ_16StoreWithoutCastEEEviT_T0_T2_T3_T4_T5_.kd
    .uniform_work_group_size: 1
    .uses_dynamic_stack: false
    .vgpr_count:     7
    .vgpr_spill_count: 0
    .wavefront_size: 32
  - .args:
      - .offset:         0
        .size:           4
        .value_kind:     by_value
      - .offset:         8
        .size:           360
        .value_kind:     by_value
    .group_segment_fixed_size: 0
    .kernarg_segment_align: 8
    .kernarg_segment_size: 368
    .language:       OpenCL C
    .language_version:
      - 2
      - 0
    .max_flat_workgroup_size: 128
    .name:           _ZN2at6native32elementwise_kernel_manual_unrollILi128ELi4EZNS0_22gpu_kernel_impl_nocastIZZZNS0_12_GLOBAL__N_142_validate_compressed_sparse_indices_kernelILNS3_8CDimNameE0ENS3_18CUDAKernelLauncherENS3_14EmptyVecKernelENS3_8DummyVecELm0EEEvRKNS_6TensorESB_lllENKUlvE0_clEvENKUlvE_clEvEUliE_EEvRNS_18TensorIteratorBaseERKT_EUlibE_EEviT1_
    .private_segment_fixed_size: 0
    .sgpr_count:     70
    .sgpr_spill_count: 0
    .symbol:         _ZN2at6native32elementwise_kernel_manual_unrollILi128ELi4EZNS0_22gpu_kernel_impl_nocastIZZZNS0_12_GLOBAL__N_142_validate_compressed_sparse_indices_kernelILNS3_8CDimNameE0ENS3_18CUDAKernelLauncherENS3_14EmptyVecKernelENS3_8DummyVecELm0EEEvRKNS_6TensorESB_lllENKUlvE0_clEvENKUlvE_clEvEUliE_EEvRNS_18TensorIteratorBaseERKT_EUlibE_EEviT1_.kd
    .uniform_work_group_size: 1
    .uses_dynamic_stack: false
    .vgpr_count:     15
    .vgpr_spill_count: 0
    .wavefront_size: 32
  - .args:
      - .offset:         0
        .size:           4
        .value_kind:     by_value
      - .offset:         8
        .size:           48
        .value_kind:     by_value
    .group_segment_fixed_size: 0
    .kernarg_segment_align: 8
    .kernarg_segment_size: 56
    .language:       OpenCL C
    .language_version:
      - 2
      - 0
    .max_flat_workgroup_size: 128
    .name:           _ZN2at6native32elementwise_kernel_manual_unrollILi128ELi4EZNS0_15gpu_kernel_implIZZZNS0_12_GLOBAL__N_142_validate_compressed_sparse_indices_kernelILNS3_8CDimNameE0ENS3_18CUDAKernelLauncherENS3_14EmptyVecKernelENS3_8DummyVecELm0EEEvRKNS_6TensorESB_lllENKUlvE0_clEvENKUlvE_clEvEUliE_EEvRNS_18TensorIteratorBaseERKT_EUlibE_EEviT1_
    .private_segment_fixed_size: 0
    .sgpr_count:     34
    .sgpr_spill_count: 0
    .symbol:         _ZN2at6native32elementwise_kernel_manual_unrollILi128ELi4EZNS0_15gpu_kernel_implIZZZNS0_12_GLOBAL__N_142_validate_compressed_sparse_indices_kernelILNS3_8CDimNameE0ENS3_18CUDAKernelLauncherENS3_14EmptyVecKernelENS3_8DummyVecELm0EEEvRKNS_6TensorESB_lllENKUlvE0_clEvENKUlvE_clEvEUliE_EEvRNS_18TensorIteratorBaseERKT_EUlibE_EEviT1_.kd
    .uniform_work_group_size: 1
    .uses_dynamic_stack: false
    .vgpr_count:     10
    .vgpr_spill_count: 0
    .wavefront_size: 32
  - .args:
      - .offset:         0
        .size:           4
        .value_kind:     by_value
      - .offset:         8
        .size:           368
        .value_kind:     by_value
    .group_segment_fixed_size: 0
    .kernarg_segment_align: 8
    .kernarg_segment_size: 376
    .language:       OpenCL C
    .language_version:
      - 2
      - 0
    .max_flat_workgroup_size: 128
    .name:           _ZN2at6native32elementwise_kernel_manual_unrollILi128ELi4EZNS0_15gpu_kernel_implIZZZNS0_12_GLOBAL__N_142_validate_compressed_sparse_indices_kernelILNS3_8CDimNameE0ENS3_18CUDAKernelLauncherENS3_14EmptyVecKernelENS3_8DummyVecELm0EEEvRKNS_6TensorESB_lllENKUlvE0_clEvENKUlvE_clEvEUliE_EEvRNS_18TensorIteratorBaseERKT_EUlibE0_EEviT1_
    .private_segment_fixed_size: 0
    .sgpr_count:     74
    .sgpr_spill_count: 0
    .symbol:         _ZN2at6native32elementwise_kernel_manual_unrollILi128ELi4EZNS0_15gpu_kernel_implIZZZNS0_12_GLOBAL__N_142_validate_compressed_sparse_indices_kernelILNS3_8CDimNameE0ENS3_18CUDAKernelLauncherENS3_14EmptyVecKernelENS3_8DummyVecELm0EEEvRKNS_6TensorESB_lllENKUlvE0_clEvENKUlvE_clEvEUliE_EEvRNS_18TensorIteratorBaseERKT_EUlibE0_EEviT1_.kd
    .uniform_work_group_size: 1
    .uses_dynamic_stack: false
    .vgpr_count:     18
    .vgpr_spill_count: 0
    .wavefront_size: 32
  - .args:
      - .offset:         0
        .size:           4
        .value_kind:     by_value
      - .offset:         8
        .size:           16
        .value_kind:     by_value
      - .offset:         24
        .size:           16
        .value_kind:     by_value
    .group_segment_fixed_size: 0
    .kernarg_segment_align: 8
    .kernarg_segment_size: 40
    .language:       OpenCL C
    .language_version:
      - 2
      - 0
    .max_flat_workgroup_size: 256
    .name:           _ZN2at6native29vectorized_elementwise_kernelILi16EZZZNS0_12_GLOBAL__N_142_validate_compressed_sparse_indices_kernelILNS2_8CDimNameE0ENS2_18CUDAKernelLauncherENS2_14EmptyVecKernelENS2_8DummyVecELm0EEEvRKNS_6TensorESA_lllENKUlvE0_clEvENKUlvE0_clEvEUllE_St5arrayIPcLm2EEEEviT0_T1_
    .private_segment_fixed_size: 0
    .sgpr_count:     30
    .sgpr_spill_count: 0
    .symbol:         _ZN2at6native29vectorized_elementwise_kernelILi16EZZZNS0_12_GLOBAL__N_142_validate_compressed_sparse_indices_kernelILNS2_8CDimNameE0ENS2_18CUDAKernelLauncherENS2_14EmptyVecKernelENS2_8DummyVecELm0EEEvRKNS_6TensorESA_lllENKUlvE0_clEvENKUlvE0_clEvEUllE_St5arrayIPcLm2EEEEviT0_T1_.kd
    .uniform_work_group_size: 1
    .uses_dynamic_stack: false
    .vgpr_count:     12
    .vgpr_spill_count: 0
    .wavefront_size: 32
  - .args:
      - .offset:         0
        .size:           4
        .value_kind:     by_value
      - .offset:         8
        .size:           16
        .value_kind:     by_value
      - .offset:         24
        .size:           16
        .value_kind:     by_value
    .group_segment_fixed_size: 0
    .kernarg_segment_align: 8
    .kernarg_segment_size: 40
    .language:       OpenCL C
    .language_version:
      - 2
      - 0
    .max_flat_workgroup_size: 256
    .name:           _ZN2at6native29vectorized_elementwise_kernelILi8EZZZNS0_12_GLOBAL__N_142_validate_compressed_sparse_indices_kernelILNS2_8CDimNameE0ENS2_18CUDAKernelLauncherENS2_14EmptyVecKernelENS2_8DummyVecELm0EEEvRKNS_6TensorESA_lllENKUlvE0_clEvENKUlvE0_clEvEUllE_St5arrayIPcLm2EEEEviT0_T1_
    .private_segment_fixed_size: 0
    .sgpr_count:     30
    .sgpr_spill_count: 0
    .symbol:         _ZN2at6native29vectorized_elementwise_kernelILi8EZZZNS0_12_GLOBAL__N_142_validate_compressed_sparse_indices_kernelILNS2_8CDimNameE0ENS2_18CUDAKernelLauncherENS2_14EmptyVecKernelENS2_8DummyVecELm0EEEvRKNS_6TensorESA_lllENKUlvE0_clEvENKUlvE0_clEvEUllE_St5arrayIPcLm2EEEEviT0_T1_.kd
    .uniform_work_group_size: 1
    .uses_dynamic_stack: false
    .vgpr_count:     12
    .vgpr_spill_count: 0
    .wavefront_size: 32
  - .args:
      - .offset:         0
        .size:           4
        .value_kind:     by_value
      - .offset:         8
        .size:           16
        .value_kind:     by_value
      - .offset:         24
        .size:           16
        .value_kind:     by_value
    .group_segment_fixed_size: 0
    .kernarg_segment_align: 8
    .kernarg_segment_size: 40
    .language:       OpenCL C
    .language_version:
      - 2
      - 0
    .max_flat_workgroup_size: 256
    .name:           _ZN2at6native29vectorized_elementwise_kernelILi4EZZZNS0_12_GLOBAL__N_142_validate_compressed_sparse_indices_kernelILNS2_8CDimNameE0ENS2_18CUDAKernelLauncherENS2_14EmptyVecKernelENS2_8DummyVecELm0EEEvRKNS_6TensorESA_lllENKUlvE0_clEvENKUlvE0_clEvEUllE_St5arrayIPcLm2EEEEviT0_T1_
    .private_segment_fixed_size: 0
    .sgpr_count:     30
    .sgpr_spill_count: 0
    .symbol:         _ZN2at6native29vectorized_elementwise_kernelILi4EZZZNS0_12_GLOBAL__N_142_validate_compressed_sparse_indices_kernelILNS2_8CDimNameE0ENS2_18CUDAKernelLauncherENS2_14EmptyVecKernelENS2_8DummyVecELm0EEEvRKNS_6TensorESA_lllENKUlvE0_clEvENKUlvE0_clEvEUllE_St5arrayIPcLm2EEEEviT0_T1_.kd
    .uniform_work_group_size: 1
    .uses_dynamic_stack: false
    .vgpr_count:     12
    .vgpr_spill_count: 0
    .wavefront_size: 32
  - .args:
      - .offset:         0
        .size:           4
        .value_kind:     by_value
      - .offset:         8
        .size:           16
        .value_kind:     by_value
      - .offset:         24
        .size:           16
        .value_kind:     by_value
    .group_segment_fixed_size: 0
    .kernarg_segment_align: 8
    .kernarg_segment_size: 40
    .language:       OpenCL C
    .language_version:
      - 2
      - 0
    .max_flat_workgroup_size: 256
    .name:           _ZN2at6native29vectorized_elementwise_kernelILi2EZZZNS0_12_GLOBAL__N_142_validate_compressed_sparse_indices_kernelILNS2_8CDimNameE0ENS2_18CUDAKernelLauncherENS2_14EmptyVecKernelENS2_8DummyVecELm0EEEvRKNS_6TensorESA_lllENKUlvE0_clEvENKUlvE0_clEvEUllE_St5arrayIPcLm2EEEEviT0_T1_
    .private_segment_fixed_size: 0
    .sgpr_count:     30
    .sgpr_spill_count: 0
    .symbol:         _ZN2at6native29vectorized_elementwise_kernelILi2EZZZNS0_12_GLOBAL__N_142_validate_compressed_sparse_indices_kernelILNS2_8CDimNameE0ENS2_18CUDAKernelLauncherENS2_14EmptyVecKernelENS2_8DummyVecELm0EEEvRKNS_6TensorESA_lllENKUlvE0_clEvENKUlvE0_clEvEUllE_St5arrayIPcLm2EEEEviT0_T1_.kd
    .uniform_work_group_size: 1
    .uses_dynamic_stack: false
    .vgpr_count:     11
    .vgpr_spill_count: 0
    .wavefront_size: 32
  - .args:
      - .offset:         0
        .size:           4
        .value_kind:     by_value
      - .offset:         8
        .size:           16
        .value_kind:     by_value
      - .offset:         24
        .size:           16
        .value_kind:     by_value
      - .offset:         40
        .size:           1
        .value_kind:     by_value
      - .offset:         41
        .size:           1
        .value_kind:     by_value
      - .offset:         42
        .size:           1
        .value_kind:     by_value
      - .offset:         43
        .size:           1
        .value_kind:     by_value
    .group_segment_fixed_size: 0
    .kernarg_segment_align: 8
    .kernarg_segment_size: 44
    .language:       OpenCL C
    .language_version:
      - 2
      - 0
    .max_flat_workgroup_size: 256
    .name:           _ZN2at6native27unrolled_elementwise_kernelIZZZNS0_12_GLOBAL__N_142_validate_compressed_sparse_indices_kernelILNS2_8CDimNameE0ENS2_18CUDAKernelLauncherENS2_14EmptyVecKernelENS2_8DummyVecELm0EEEvRKNS_6TensorESA_lllENKUlvE0_clEvENKUlvE0_clEvEUllE_St5arrayIPcLm2EELi4E23TrivialOffsetCalculatorILi1EjESI_NS0_6memory15LoadWithoutCastENSJ_16StoreWithoutCastEEEviT_T0_T2_T3_T4_T5_
    .private_segment_fixed_size: 0
    .sgpr_count:     21
    .sgpr_spill_count: 0
    .symbol:         _ZN2at6native27unrolled_elementwise_kernelIZZZNS0_12_GLOBAL__N_142_validate_compressed_sparse_indices_kernelILNS2_8CDimNameE0ENS2_18CUDAKernelLauncherENS2_14EmptyVecKernelENS2_8DummyVecELm0EEEvRKNS_6TensorESA_lllENKUlvE0_clEvENKUlvE0_clEvEUllE_St5arrayIPcLm2EELi4E23TrivialOffsetCalculatorILi1EjESI_NS0_6memory15LoadWithoutCastENSJ_16StoreWithoutCastEEEviT_T0_T2_T3_T4_T5_.kd
    .uniform_work_group_size: 1
    .uses_dynamic_stack: false
    .vgpr_count:     11
    .vgpr_spill_count: 0
    .wavefront_size: 32
  - .args:
      - .offset:         0
        .size:           4
        .value_kind:     by_value
      - .offset:         8
        .size:           360
        .value_kind:     by_value
    .group_segment_fixed_size: 0
    .kernarg_segment_align: 8
    .kernarg_segment_size: 368
    .language:       OpenCL C
    .language_version:
      - 2
      - 0
    .max_flat_workgroup_size: 128
    .name:           _ZN2at6native32elementwise_kernel_manual_unrollILi128ELi4EZNS0_22gpu_kernel_impl_nocastIZZZNS0_12_GLOBAL__N_142_validate_compressed_sparse_indices_kernelILNS3_8CDimNameE0ENS3_18CUDAKernelLauncherENS3_14EmptyVecKernelENS3_8DummyVecELm0EEEvRKNS_6TensorESB_lllENKUlvE0_clEvENKUlvE0_clEvEUllE_EEvRNS_18TensorIteratorBaseERKT_EUlibE_EEviT1_
    .private_segment_fixed_size: 0
    .sgpr_count:     74
    .sgpr_spill_count: 0
    .symbol:         _ZN2at6native32elementwise_kernel_manual_unrollILi128ELi4EZNS0_22gpu_kernel_impl_nocastIZZZNS0_12_GLOBAL__N_142_validate_compressed_sparse_indices_kernelILNS3_8CDimNameE0ENS3_18CUDAKernelLauncherENS3_14EmptyVecKernelENS3_8DummyVecELm0EEEvRKNS_6TensorESB_lllENKUlvE0_clEvENKUlvE0_clEvEUllE_EEvRNS_18TensorIteratorBaseERKT_EUlibE_EEviT1_.kd
    .uniform_work_group_size: 1
    .uses_dynamic_stack: false
    .vgpr_count:     15
    .vgpr_spill_count: 0
    .wavefront_size: 32
  - .args:
      - .offset:         0
        .size:           4
        .value_kind:     by_value
      - .offset:         8
        .size:           48
        .value_kind:     by_value
    .group_segment_fixed_size: 0
    .kernarg_segment_align: 8
    .kernarg_segment_size: 56
    .language:       OpenCL C
    .language_version:
      - 2
      - 0
    .max_flat_workgroup_size: 128
    .name:           _ZN2at6native32elementwise_kernel_manual_unrollILi128ELi4EZNS0_15gpu_kernel_implIZZZNS0_12_GLOBAL__N_142_validate_compressed_sparse_indices_kernelILNS3_8CDimNameE0ENS3_18CUDAKernelLauncherENS3_14EmptyVecKernelENS3_8DummyVecELm0EEEvRKNS_6TensorESB_lllENKUlvE0_clEvENKUlvE0_clEvEUllE_EEvRNS_18TensorIteratorBaseERKT_EUlibE_EEviT1_
    .private_segment_fixed_size: 0
    .sgpr_count:     37
    .sgpr_spill_count: 0
    .symbol:         _ZN2at6native32elementwise_kernel_manual_unrollILi128ELi4EZNS0_15gpu_kernel_implIZZZNS0_12_GLOBAL__N_142_validate_compressed_sparse_indices_kernelILNS3_8CDimNameE0ENS3_18CUDAKernelLauncherENS3_14EmptyVecKernelENS3_8DummyVecELm0EEEvRKNS_6TensorESB_lllENKUlvE0_clEvENKUlvE0_clEvEUllE_EEvRNS_18TensorIteratorBaseERKT_EUlibE_EEviT1_.kd
    .uniform_work_group_size: 1
    .uses_dynamic_stack: false
    .vgpr_count:     12
    .vgpr_spill_count: 0
    .wavefront_size: 32
  - .args:
      - .offset:         0
        .size:           4
        .value_kind:     by_value
      - .offset:         8
        .size:           368
        .value_kind:     by_value
    .group_segment_fixed_size: 0
    .kernarg_segment_align: 8
    .kernarg_segment_size: 376
    .language:       OpenCL C
    .language_version:
      - 2
      - 0
    .max_flat_workgroup_size: 128
    .name:           _ZN2at6native32elementwise_kernel_manual_unrollILi128ELi4EZNS0_15gpu_kernel_implIZZZNS0_12_GLOBAL__N_142_validate_compressed_sparse_indices_kernelILNS3_8CDimNameE0ENS3_18CUDAKernelLauncherENS3_14EmptyVecKernelENS3_8DummyVecELm0EEEvRKNS_6TensorESB_lllENKUlvE0_clEvENKUlvE0_clEvEUllE_EEvRNS_18TensorIteratorBaseERKT_EUlibE0_EEviT1_
    .private_segment_fixed_size: 0
    .sgpr_count:     78
    .sgpr_spill_count: 0
    .symbol:         _ZN2at6native32elementwise_kernel_manual_unrollILi128ELi4EZNS0_15gpu_kernel_implIZZZNS0_12_GLOBAL__N_142_validate_compressed_sparse_indices_kernelILNS3_8CDimNameE0ENS3_18CUDAKernelLauncherENS3_14EmptyVecKernelENS3_8DummyVecELm0EEEvRKNS_6TensorESB_lllENKUlvE0_clEvENKUlvE0_clEvEUllE_EEvRNS_18TensorIteratorBaseERKT_EUlibE0_EEviT1_.kd
    .uniform_work_group_size: 1
    .uses_dynamic_stack: false
    .vgpr_count:     22
    .vgpr_spill_count: 0
    .wavefront_size: 32
  - .args:
      - .offset:         0
        .size:           4
        .value_kind:     by_value
      - .offset:         8
        .size:           56
        .value_kind:     by_value
      - .offset:         64
        .size:           48
        .value_kind:     by_value
    .group_segment_fixed_size: 0
    .kernarg_segment_align: 8
    .kernarg_segment_size: 112
    .language:       OpenCL C
    .language_version:
      - 2
      - 0
    .max_flat_workgroup_size: 256
    .name:           _ZN2at6native29vectorized_elementwise_kernelILi16EZZZNS0_12_GLOBAL__N_142_validate_compressed_sparse_indices_kernelILNS2_8CDimNameE0ENS2_18CUDAKernelLauncherENS2_14EmptyVecKernelENS2_8DummyVecELm0EEEvRKNS_6TensorESA_lllENKUlvE1_clEvENKUlvE_clEvEUliiiiiE_St5arrayIPcLm6EEEEviT0_T1_
    .private_segment_fixed_size: 0
    .sgpr_count:     76
    .sgpr_spill_count: 0
    .symbol:         _ZN2at6native29vectorized_elementwise_kernelILi16EZZZNS0_12_GLOBAL__N_142_validate_compressed_sparse_indices_kernelILNS2_8CDimNameE0ENS2_18CUDAKernelLauncherENS2_14EmptyVecKernelENS2_8DummyVecELm0EEEvRKNS_6TensorESA_lllENKUlvE1_clEvENKUlvE_clEvEUliiiiiE_St5arrayIPcLm6EEEEviT0_T1_.kd
    .uniform_work_group_size: 1
    .uses_dynamic_stack: false
    .vgpr_count:     44
    .vgpr_spill_count: 0
    .wavefront_size: 32
  - .args:
      - .offset:         0
        .size:           4
        .value_kind:     by_value
      - .offset:         8
        .size:           56
        .value_kind:     by_value
      - .offset:         64
        .size:           48
        .value_kind:     by_value
    .group_segment_fixed_size: 0
    .kernarg_segment_align: 8
    .kernarg_segment_size: 112
    .language:       OpenCL C
    .language_version:
      - 2
      - 0
    .max_flat_workgroup_size: 256
    .name:           _ZN2at6native29vectorized_elementwise_kernelILi8EZZZNS0_12_GLOBAL__N_142_validate_compressed_sparse_indices_kernelILNS2_8CDimNameE0ENS2_18CUDAKernelLauncherENS2_14EmptyVecKernelENS2_8DummyVecELm0EEEvRKNS_6TensorESA_lllENKUlvE1_clEvENKUlvE_clEvEUliiiiiE_St5arrayIPcLm6EEEEviT0_T1_
    .private_segment_fixed_size: 0
    .sgpr_count:     76
    .sgpr_spill_count: 0
    .symbol:         _ZN2at6native29vectorized_elementwise_kernelILi8EZZZNS0_12_GLOBAL__N_142_validate_compressed_sparse_indices_kernelILNS2_8CDimNameE0ENS2_18CUDAKernelLauncherENS2_14EmptyVecKernelENS2_8DummyVecELm0EEEvRKNS_6TensorESA_lllENKUlvE1_clEvENKUlvE_clEvEUliiiiiE_St5arrayIPcLm6EEEEviT0_T1_.kd
    .uniform_work_group_size: 1
    .uses_dynamic_stack: false
    .vgpr_count:     44
    .vgpr_spill_count: 0
    .wavefront_size: 32
  - .args:
      - .offset:         0
        .size:           4
        .value_kind:     by_value
      - .offset:         8
        .size:           56
        .value_kind:     by_value
      - .offset:         64
        .size:           48
        .value_kind:     by_value
    .group_segment_fixed_size: 0
    .kernarg_segment_align: 8
    .kernarg_segment_size: 112
    .language:       OpenCL C
    .language_version:
      - 2
      - 0
    .max_flat_workgroup_size: 256
    .name:           _ZN2at6native29vectorized_elementwise_kernelILi4EZZZNS0_12_GLOBAL__N_142_validate_compressed_sparse_indices_kernelILNS2_8CDimNameE0ENS2_18CUDAKernelLauncherENS2_14EmptyVecKernelENS2_8DummyVecELm0EEEvRKNS_6TensorESA_lllENKUlvE1_clEvENKUlvE_clEvEUliiiiiE_St5arrayIPcLm6EEEEviT0_T1_
    .private_segment_fixed_size: 0
    .sgpr_count:     76
    .sgpr_spill_count: 0
    .symbol:         _ZN2at6native29vectorized_elementwise_kernelILi4EZZZNS0_12_GLOBAL__N_142_validate_compressed_sparse_indices_kernelILNS2_8CDimNameE0ENS2_18CUDAKernelLauncherENS2_14EmptyVecKernelENS2_8DummyVecELm0EEEvRKNS_6TensorESA_lllENKUlvE1_clEvENKUlvE_clEvEUliiiiiE_St5arrayIPcLm6EEEEviT0_T1_.kd
    .uniform_work_group_size: 1
    .uses_dynamic_stack: false
    .vgpr_count:     44
    .vgpr_spill_count: 0
    .wavefront_size: 32
  - .args:
      - .offset:         0
        .size:           4
        .value_kind:     by_value
      - .offset:         8
        .size:           56
        .value_kind:     by_value
      - .offset:         64
        .size:           48
        .value_kind:     by_value
    .group_segment_fixed_size: 0
    .kernarg_segment_align: 8
    .kernarg_segment_size: 112
    .language:       OpenCL C
    .language_version:
      - 2
      - 0
    .max_flat_workgroup_size: 256
    .name:           _ZN2at6native29vectorized_elementwise_kernelILi2EZZZNS0_12_GLOBAL__N_142_validate_compressed_sparse_indices_kernelILNS2_8CDimNameE0ENS2_18CUDAKernelLauncherENS2_14EmptyVecKernelENS2_8DummyVecELm0EEEvRKNS_6TensorESA_lllENKUlvE1_clEvENKUlvE_clEvEUliiiiiE_St5arrayIPcLm6EEEEviT0_T1_
    .private_segment_fixed_size: 0
    .sgpr_count:     76
    .sgpr_spill_count: 0
    .symbol:         _ZN2at6native29vectorized_elementwise_kernelILi2EZZZNS0_12_GLOBAL__N_142_validate_compressed_sparse_indices_kernelILNS2_8CDimNameE0ENS2_18CUDAKernelLauncherENS2_14EmptyVecKernelENS2_8DummyVecELm0EEEvRKNS_6TensorESA_lllENKUlvE1_clEvENKUlvE_clEvEUliiiiiE_St5arrayIPcLm6EEEEviT0_T1_.kd
    .uniform_work_group_size: 1
    .uses_dynamic_stack: false
    .vgpr_count:     44
    .vgpr_spill_count: 0
    .wavefront_size: 32
  - .args:
      - .offset:         0
        .size:           4
        .value_kind:     by_value
      - .offset:         8
        .size:           56
        .value_kind:     by_value
      - .offset:         64
        .size:           48
        .value_kind:     by_value
      - .offset:         112
        .size:           1
        .value_kind:     by_value
      - .offset:         113
        .size:           1
        .value_kind:     by_value
      - .offset:         114
        .size:           1
        .value_kind:     by_value
      - .offset:         115
        .size:           1
        .value_kind:     by_value
    .group_segment_fixed_size: 0
    .kernarg_segment_align: 8
    .kernarg_segment_size: 116
    .language:       OpenCL C
    .language_version:
      - 2
      - 0
    .max_flat_workgroup_size: 256
    .name:           _ZN2at6native27unrolled_elementwise_kernelIZZZNS0_12_GLOBAL__N_142_validate_compressed_sparse_indices_kernelILNS2_8CDimNameE0ENS2_18CUDAKernelLauncherENS2_14EmptyVecKernelENS2_8DummyVecELm0EEEvRKNS_6TensorESA_lllENKUlvE1_clEvENKUlvE_clEvEUliiiiiE_St5arrayIPcLm6EELi4E23TrivialOffsetCalculatorILi5EjESH_ILi1EjENS0_6memory15LoadWithoutCastENSK_16StoreWithoutCastEEEviT_T0_T2_T3_T4_T5_
    .private_segment_fixed_size: 0
    .sgpr_count:     69
    .sgpr_spill_count: 0
    .symbol:         _ZN2at6native27unrolled_elementwise_kernelIZZZNS0_12_GLOBAL__N_142_validate_compressed_sparse_indices_kernelILNS2_8CDimNameE0ENS2_18CUDAKernelLauncherENS2_14EmptyVecKernelENS2_8DummyVecELm0EEEvRKNS_6TensorESA_lllENKUlvE1_clEvENKUlvE_clEvEUliiiiiE_St5arrayIPcLm6EELi4E23TrivialOffsetCalculatorILi5EjESH_ILi1EjENS0_6memory15LoadWithoutCastENSK_16StoreWithoutCastEEEviT_T0_T2_T3_T4_T5_.kd
    .uniform_work_group_size: 1
    .uses_dynamic_stack: false
    .vgpr_count:     44
    .vgpr_spill_count: 0
    .wavefront_size: 32
  - .args:
      - .offset:         0
        .size:           4
        .value_kind:     by_value
      - .offset:         8
        .size:           688
        .value_kind:     by_value
    .group_segment_fixed_size: 0
    .kernarg_segment_align: 8
    .kernarg_segment_size: 696
    .language:       OpenCL C
    .language_version:
      - 2
      - 0
    .max_flat_workgroup_size: 128
    .name:           _ZN2at6native32elementwise_kernel_manual_unrollILi128ELi4EZNS0_22gpu_kernel_impl_nocastIZZZNS0_12_GLOBAL__N_142_validate_compressed_sparse_indices_kernelILNS3_8CDimNameE0ENS3_18CUDAKernelLauncherENS3_14EmptyVecKernelENS3_8DummyVecELm0EEEvRKNS_6TensorESB_lllENKUlvE1_clEvENKUlvE_clEvEUliiiiiE_EEvRNS_18TensorIteratorBaseERKT_EUlibE_EEviT1_
    .private_segment_fixed_size: 0
    .sgpr_count:     106
    .sgpr_spill_count: 0
    .symbol:         _ZN2at6native32elementwise_kernel_manual_unrollILi128ELi4EZNS0_22gpu_kernel_impl_nocastIZZZNS0_12_GLOBAL__N_142_validate_compressed_sparse_indices_kernelILNS3_8CDimNameE0ENS3_18CUDAKernelLauncherENS3_14EmptyVecKernelENS3_8DummyVecELm0EEEvRKNS_6TensorESB_lllENKUlvE1_clEvENKUlvE_clEvEUliiiiiE_EEvRNS_18TensorIteratorBaseERKT_EUlibE_EEviT1_.kd
    .uniform_work_group_size: 1
    .uses_dynamic_stack: false
    .vgpr_count:     46
    .vgpr_spill_count: 0
    .wavefront_size: 32
  - .args:
      - .offset:         0
        .size:           4
        .value_kind:     by_value
      - .offset:         8
        .size:           136
        .value_kind:     by_value
    .group_segment_fixed_size: 0
    .kernarg_segment_align: 8
    .kernarg_segment_size: 144
    .language:       OpenCL C
    .language_version:
      - 2
      - 0
    .max_flat_workgroup_size: 128
    .name:           _ZN2at6native32elementwise_kernel_manual_unrollILi128ELi4EZNS0_15gpu_kernel_implIZZZNS0_12_GLOBAL__N_142_validate_compressed_sparse_indices_kernelILNS3_8CDimNameE0ENS3_18CUDAKernelLauncherENS3_14EmptyVecKernelENS3_8DummyVecELm0EEEvRKNS_6TensorESB_lllENKUlvE1_clEvENKUlvE_clEvEUliiiiiE_EEvRNS_18TensorIteratorBaseERKT_EUlibE_EEviT1_
    .private_segment_fixed_size: 0
    .sgpr_count:     104
    .sgpr_spill_count: 0
    .symbol:         _ZN2at6native32elementwise_kernel_manual_unrollILi128ELi4EZNS0_15gpu_kernel_implIZZZNS0_12_GLOBAL__N_142_validate_compressed_sparse_indices_kernelILNS3_8CDimNameE0ENS3_18CUDAKernelLauncherENS3_14EmptyVecKernelENS3_8DummyVecELm0EEEvRKNS_6TensorESB_lllENKUlvE1_clEvENKUlvE_clEvEUliiiiiE_EEvRNS_18TensorIteratorBaseERKT_EUlibE_EEviT1_.kd
    .uniform_work_group_size: 1
    .uses_dynamic_stack: false
    .vgpr_count:     36
    .vgpr_spill_count: 0
    .wavefront_size: 32
  - .args:
      - .offset:         0
        .size:           4
        .value_kind:     by_value
      - .offset:         8
        .size:           696
        .value_kind:     by_value
    .group_segment_fixed_size: 0
    .kernarg_segment_align: 8
    .kernarg_segment_size: 704
    .language:       OpenCL C
    .language_version:
      - 2
      - 0
    .max_flat_workgroup_size: 128
    .name:           _ZN2at6native32elementwise_kernel_manual_unrollILi128ELi4EZNS0_15gpu_kernel_implIZZZNS0_12_GLOBAL__N_142_validate_compressed_sparse_indices_kernelILNS3_8CDimNameE0ENS3_18CUDAKernelLauncherENS3_14EmptyVecKernelENS3_8DummyVecELm0EEEvRKNS_6TensorESB_lllENKUlvE1_clEvENKUlvE_clEvEUliiiiiE_EEvRNS_18TensorIteratorBaseERKT_EUlibE0_EEviT1_
    .private_segment_fixed_size: 0
    .sgpr_count:     107
    .sgpr_spill_count: 0
    .symbol:         _ZN2at6native32elementwise_kernel_manual_unrollILi128ELi4EZNS0_15gpu_kernel_implIZZZNS0_12_GLOBAL__N_142_validate_compressed_sparse_indices_kernelILNS3_8CDimNameE0ENS3_18CUDAKernelLauncherENS3_14EmptyVecKernelENS3_8DummyVecELm0EEEvRKNS_6TensorESB_lllENKUlvE1_clEvENKUlvE_clEvEUliiiiiE_EEvRNS_18TensorIteratorBaseERKT_EUlibE0_EEviT1_.kd
    .uniform_work_group_size: 1
    .uses_dynamic_stack: false
    .vgpr_count:     62
    .vgpr_spill_count: 0
    .wavefront_size: 32
  - .args:
      - .offset:         0
        .size:           4
        .value_kind:     by_value
      - .offset:         8
        .size:           56
        .value_kind:     by_value
      - .offset:         64
        .size:           48
        .value_kind:     by_value
    .group_segment_fixed_size: 0
    .kernarg_segment_align: 8
    .kernarg_segment_size: 112
    .language:       OpenCL C
    .language_version:
      - 2
      - 0
    .max_flat_workgroup_size: 256
    .name:           _ZN2at6native29vectorized_elementwise_kernelILi16EZZZNS0_12_GLOBAL__N_142_validate_compressed_sparse_indices_kernelILNS2_8CDimNameE0ENS2_18CUDAKernelLauncherENS2_14EmptyVecKernelENS2_8DummyVecELm0EEEvRKNS_6TensorESA_lllENKUlvE1_clEvENKUlvE0_clEvEUllllllE_St5arrayIPcLm6EEEEviT0_T1_
    .private_segment_fixed_size: 0
    .sgpr_count:     78
    .sgpr_spill_count: 0
    .symbol:         _ZN2at6native29vectorized_elementwise_kernelILi16EZZZNS0_12_GLOBAL__N_142_validate_compressed_sparse_indices_kernelILNS2_8CDimNameE0ENS2_18CUDAKernelLauncherENS2_14EmptyVecKernelENS2_8DummyVecELm0EEEvRKNS_6TensorESA_lllENKUlvE1_clEvENKUlvE0_clEvEUllllllE_St5arrayIPcLm6EEEEviT0_T1_.kd
    .uniform_work_group_size: 1
    .uses_dynamic_stack: false
    .vgpr_count:     58
    .vgpr_spill_count: 0
    .wavefront_size: 32
  - .args:
      - .offset:         0
        .size:           4
        .value_kind:     by_value
      - .offset:         8
        .size:           56
        .value_kind:     by_value
      - .offset:         64
        .size:           48
        .value_kind:     by_value
    .group_segment_fixed_size: 0
    .kernarg_segment_align: 8
    .kernarg_segment_size: 112
    .language:       OpenCL C
    .language_version:
      - 2
      - 0
    .max_flat_workgroup_size: 256
    .name:           _ZN2at6native29vectorized_elementwise_kernelILi8EZZZNS0_12_GLOBAL__N_142_validate_compressed_sparse_indices_kernelILNS2_8CDimNameE0ENS2_18CUDAKernelLauncherENS2_14EmptyVecKernelENS2_8DummyVecELm0EEEvRKNS_6TensorESA_lllENKUlvE1_clEvENKUlvE0_clEvEUllllllE_St5arrayIPcLm6EEEEviT0_T1_
    .private_segment_fixed_size: 0
    .sgpr_count:     78
    .sgpr_spill_count: 0
    .symbol:         _ZN2at6native29vectorized_elementwise_kernelILi8EZZZNS0_12_GLOBAL__N_142_validate_compressed_sparse_indices_kernelILNS2_8CDimNameE0ENS2_18CUDAKernelLauncherENS2_14EmptyVecKernelENS2_8DummyVecELm0EEEvRKNS_6TensorESA_lllENKUlvE1_clEvENKUlvE0_clEvEUllllllE_St5arrayIPcLm6EEEEviT0_T1_.kd
    .uniform_work_group_size: 1
    .uses_dynamic_stack: false
    .vgpr_count:     58
    .vgpr_spill_count: 0
    .wavefront_size: 32
  - .args:
      - .offset:         0
        .size:           4
        .value_kind:     by_value
      - .offset:         8
        .size:           56
        .value_kind:     by_value
      - .offset:         64
        .size:           48
        .value_kind:     by_value
    .group_segment_fixed_size: 0
    .kernarg_segment_align: 8
    .kernarg_segment_size: 112
    .language:       OpenCL C
    .language_version:
      - 2
      - 0
    .max_flat_workgroup_size: 256
    .name:           _ZN2at6native29vectorized_elementwise_kernelILi4EZZZNS0_12_GLOBAL__N_142_validate_compressed_sparse_indices_kernelILNS2_8CDimNameE0ENS2_18CUDAKernelLauncherENS2_14EmptyVecKernelENS2_8DummyVecELm0EEEvRKNS_6TensorESA_lllENKUlvE1_clEvENKUlvE0_clEvEUllllllE_St5arrayIPcLm6EEEEviT0_T1_
    .private_segment_fixed_size: 0
    .sgpr_count:     78
    .sgpr_spill_count: 0
    .symbol:         _ZN2at6native29vectorized_elementwise_kernelILi4EZZZNS0_12_GLOBAL__N_142_validate_compressed_sparse_indices_kernelILNS2_8CDimNameE0ENS2_18CUDAKernelLauncherENS2_14EmptyVecKernelENS2_8DummyVecELm0EEEvRKNS_6TensorESA_lllENKUlvE1_clEvENKUlvE0_clEvEUllllllE_St5arrayIPcLm6EEEEviT0_T1_.kd
    .uniform_work_group_size: 1
    .uses_dynamic_stack: false
    .vgpr_count:     58
    .vgpr_spill_count: 0
    .wavefront_size: 32
  - .args:
      - .offset:         0
        .size:           4
        .value_kind:     by_value
      - .offset:         8
        .size:           56
        .value_kind:     by_value
      - .offset:         64
        .size:           48
        .value_kind:     by_value
    .group_segment_fixed_size: 0
    .kernarg_segment_align: 8
    .kernarg_segment_size: 112
    .language:       OpenCL C
    .language_version:
      - 2
      - 0
    .max_flat_workgroup_size: 256
    .name:           _ZN2at6native29vectorized_elementwise_kernelILi2EZZZNS0_12_GLOBAL__N_142_validate_compressed_sparse_indices_kernelILNS2_8CDimNameE0ENS2_18CUDAKernelLauncherENS2_14EmptyVecKernelENS2_8DummyVecELm0EEEvRKNS_6TensorESA_lllENKUlvE1_clEvENKUlvE0_clEvEUllllllE_St5arrayIPcLm6EEEEviT0_T1_
    .private_segment_fixed_size: 0
    .sgpr_count:     78
    .sgpr_spill_count: 0
    .symbol:         _ZN2at6native29vectorized_elementwise_kernelILi2EZZZNS0_12_GLOBAL__N_142_validate_compressed_sparse_indices_kernelILNS2_8CDimNameE0ENS2_18CUDAKernelLauncherENS2_14EmptyVecKernelENS2_8DummyVecELm0EEEvRKNS_6TensorESA_lllENKUlvE1_clEvENKUlvE0_clEvEUllllllE_St5arrayIPcLm6EEEEviT0_T1_.kd
    .uniform_work_group_size: 1
    .uses_dynamic_stack: false
    .vgpr_count:     56
    .vgpr_spill_count: 0
    .wavefront_size: 32
  - .args:
      - .offset:         0
        .size:           4
        .value_kind:     by_value
      - .offset:         8
        .size:           56
        .value_kind:     by_value
      - .offset:         64
        .size:           48
        .value_kind:     by_value
      - .offset:         112
        .size:           1
        .value_kind:     by_value
      - .offset:         113
        .size:           1
        .value_kind:     by_value
      - .offset:         114
        .size:           1
        .value_kind:     by_value
      - .offset:         115
        .size:           1
        .value_kind:     by_value
    .group_segment_fixed_size: 0
    .kernarg_segment_align: 8
    .kernarg_segment_size: 116
    .language:       OpenCL C
    .language_version:
      - 2
      - 0
    .max_flat_workgroup_size: 256
    .name:           _ZN2at6native27unrolled_elementwise_kernelIZZZNS0_12_GLOBAL__N_142_validate_compressed_sparse_indices_kernelILNS2_8CDimNameE0ENS2_18CUDAKernelLauncherENS2_14EmptyVecKernelENS2_8DummyVecELm0EEEvRKNS_6TensorESA_lllENKUlvE1_clEvENKUlvE0_clEvEUllllllE_St5arrayIPcLm6EELi4E23TrivialOffsetCalculatorILi5EjESH_ILi1EjENS0_6memory15LoadWithoutCastENSK_16StoreWithoutCastEEEviT_T0_T2_T3_T4_T5_
    .private_segment_fixed_size: 0
    .sgpr_count:     68
    .sgpr_spill_count: 0
    .symbol:         _ZN2at6native27unrolled_elementwise_kernelIZZZNS0_12_GLOBAL__N_142_validate_compressed_sparse_indices_kernelILNS2_8CDimNameE0ENS2_18CUDAKernelLauncherENS2_14EmptyVecKernelENS2_8DummyVecELm0EEEvRKNS_6TensorESA_lllENKUlvE1_clEvENKUlvE0_clEvEUllllllE_St5arrayIPcLm6EELi4E23TrivialOffsetCalculatorILi5EjESH_ILi1EjENS0_6memory15LoadWithoutCastENSK_16StoreWithoutCastEEEviT_T0_T2_T3_T4_T5_.kd
    .uniform_work_group_size: 1
    .uses_dynamic_stack: false
    .vgpr_count:     56
    .vgpr_spill_count: 0
    .wavefront_size: 32
  - .args:
      - .offset:         0
        .size:           4
        .value_kind:     by_value
      - .offset:         8
        .size:           688
        .value_kind:     by_value
    .group_segment_fixed_size: 0
    .kernarg_segment_align: 8
    .kernarg_segment_size: 696
    .language:       OpenCL C
    .language_version:
      - 2
      - 0
    .max_flat_workgroup_size: 128
    .name:           _ZN2at6native32elementwise_kernel_manual_unrollILi128ELi4EZNS0_22gpu_kernel_impl_nocastIZZZNS0_12_GLOBAL__N_142_validate_compressed_sparse_indices_kernelILNS3_8CDimNameE0ENS3_18CUDAKernelLauncherENS3_14EmptyVecKernelENS3_8DummyVecELm0EEEvRKNS_6TensorESB_lllENKUlvE1_clEvENKUlvE0_clEvEUllllllE_EEvRNS_18TensorIteratorBaseERKT_EUlibE_EEviT1_
    .private_segment_fixed_size: 0
    .sgpr_count:     106
    .sgpr_spill_count: 0
    .symbol:         _ZN2at6native32elementwise_kernel_manual_unrollILi128ELi4EZNS0_22gpu_kernel_impl_nocastIZZZNS0_12_GLOBAL__N_142_validate_compressed_sparse_indices_kernelILNS3_8CDimNameE0ENS3_18CUDAKernelLauncherENS3_14EmptyVecKernelENS3_8DummyVecELm0EEEvRKNS_6TensorESB_lllENKUlvE1_clEvENKUlvE0_clEvEUllllllE_EEvRNS_18TensorIteratorBaseERKT_EUlibE_EEviT1_.kd
    .uniform_work_group_size: 1
    .uses_dynamic_stack: false
    .vgpr_count:     48
    .vgpr_spill_count: 0
    .wavefront_size: 32
  - .args:
      - .offset:         0
        .size:           4
        .value_kind:     by_value
      - .offset:         8
        .size:           136
        .value_kind:     by_value
    .group_segment_fixed_size: 0
    .kernarg_segment_align: 8
    .kernarg_segment_size: 144
    .language:       OpenCL C
    .language_version:
      - 2
      - 0
    .max_flat_workgroup_size: 128
    .name:           _ZN2at6native32elementwise_kernel_manual_unrollILi128ELi4EZNS0_15gpu_kernel_implIZZZNS0_12_GLOBAL__N_142_validate_compressed_sparse_indices_kernelILNS3_8CDimNameE0ENS3_18CUDAKernelLauncherENS3_14EmptyVecKernelENS3_8DummyVecELm0EEEvRKNS_6TensorESB_lllENKUlvE1_clEvENKUlvE0_clEvEUllllllE_EEvRNS_18TensorIteratorBaseERKT_EUlibE_EEviT1_
    .private_segment_fixed_size: 0
    .sgpr_count:     107
    .sgpr_spill_count: 0
    .symbol:         _ZN2at6native32elementwise_kernel_manual_unrollILi128ELi4EZNS0_15gpu_kernel_implIZZZNS0_12_GLOBAL__N_142_validate_compressed_sparse_indices_kernelILNS3_8CDimNameE0ENS3_18CUDAKernelLauncherENS3_14EmptyVecKernelENS3_8DummyVecELm0EEEvRKNS_6TensorESB_lllENKUlvE1_clEvENKUlvE0_clEvEUllllllE_EEvRNS_18TensorIteratorBaseERKT_EUlibE_EEviT1_.kd
    .uniform_work_group_size: 1
    .uses_dynamic_stack: false
    .vgpr_count:     36
    .vgpr_spill_count: 0
    .wavefront_size: 32
  - .args:
      - .offset:         0
        .size:           4
        .value_kind:     by_value
      - .offset:         8
        .size:           696
        .value_kind:     by_value
    .group_segment_fixed_size: 0
    .kernarg_segment_align: 8
    .kernarg_segment_size: 704
    .language:       OpenCL C
    .language_version:
      - 2
      - 0
    .max_flat_workgroup_size: 128
    .name:           _ZN2at6native32elementwise_kernel_manual_unrollILi128ELi4EZNS0_15gpu_kernel_implIZZZNS0_12_GLOBAL__N_142_validate_compressed_sparse_indices_kernelILNS3_8CDimNameE0ENS3_18CUDAKernelLauncherENS3_14EmptyVecKernelENS3_8DummyVecELm0EEEvRKNS_6TensorESB_lllENKUlvE1_clEvENKUlvE0_clEvEUllllllE_EEvRNS_18TensorIteratorBaseERKT_EUlibE0_EEviT1_
    .private_segment_fixed_size: 0
    .sgpr_count:     107
    .sgpr_spill_count: 1
    .symbol:         _ZN2at6native32elementwise_kernel_manual_unrollILi128ELi4EZNS0_15gpu_kernel_implIZZZNS0_12_GLOBAL__N_142_validate_compressed_sparse_indices_kernelILNS3_8CDimNameE0ENS3_18CUDAKernelLauncherENS3_14EmptyVecKernelENS3_8DummyVecELm0EEEvRKNS_6TensorESB_lllENKUlvE1_clEvENKUlvE0_clEvEUllllllE_EEvRNS_18TensorIteratorBaseERKT_EUlibE0_EEviT1_.kd
    .uniform_work_group_size: 1
    .uses_dynamic_stack: false
    .vgpr_count:     67
    .vgpr_spill_count: 0
    .wavefront_size: 32
  - .args:
      - .offset:         0
        .size:           4
        .value_kind:     by_value
      - .offset:         8
        .size:           16
        .value_kind:     by_value
      - .offset:         24
        .size:           16
        .value_kind:     by_value
    .group_segment_fixed_size: 0
    .kernarg_segment_align: 8
    .kernarg_segment_size: 40
    .language:       OpenCL C
    .language_version:
      - 2
      - 0
    .max_flat_workgroup_size: 256
    .name:           _ZN2at6native29vectorized_elementwise_kernelILi16EZZZNS0_12_GLOBAL__N_142_validate_compressed_sparse_indices_kernelILNS2_8CDimNameE1ENS2_18CUDAKernelLauncherENS2_14EmptyVecKernelENS2_8DummyVecELm8EEEvRKNS_6TensorESA_lllENKUlvE0_clEvENKUlvE_clEvEUliE_St5arrayIPcLm2EEEEviT0_T1_
    .private_segment_fixed_size: 0
    .sgpr_count:     24
    .sgpr_spill_count: 0
    .symbol:         _ZN2at6native29vectorized_elementwise_kernelILi16EZZZNS0_12_GLOBAL__N_142_validate_compressed_sparse_indices_kernelILNS2_8CDimNameE1ENS2_18CUDAKernelLauncherENS2_14EmptyVecKernelENS2_8DummyVecELm8EEEvRKNS_6TensorESA_lllENKUlvE0_clEvENKUlvE_clEvEUliE_St5arrayIPcLm2EEEEviT0_T1_.kd
    .uniform_work_group_size: 1
    .uses_dynamic_stack: false
    .vgpr_count:     9
    .vgpr_spill_count: 0
    .wavefront_size: 32
  - .args:
      - .offset:         0
        .size:           4
        .value_kind:     by_value
      - .offset:         8
        .size:           16
        .value_kind:     by_value
      - .offset:         24
        .size:           16
        .value_kind:     by_value
    .group_segment_fixed_size: 0
    .kernarg_segment_align: 8
    .kernarg_segment_size: 40
    .language:       OpenCL C
    .language_version:
      - 2
      - 0
    .max_flat_workgroup_size: 256
    .name:           _ZN2at6native29vectorized_elementwise_kernelILi8EZZZNS0_12_GLOBAL__N_142_validate_compressed_sparse_indices_kernelILNS2_8CDimNameE1ENS2_18CUDAKernelLauncherENS2_14EmptyVecKernelENS2_8DummyVecELm8EEEvRKNS_6TensorESA_lllENKUlvE0_clEvENKUlvE_clEvEUliE_St5arrayIPcLm2EEEEviT0_T1_
    .private_segment_fixed_size: 0
    .sgpr_count:     24
    .sgpr_spill_count: 0
    .symbol:         _ZN2at6native29vectorized_elementwise_kernelILi8EZZZNS0_12_GLOBAL__N_142_validate_compressed_sparse_indices_kernelILNS2_8CDimNameE1ENS2_18CUDAKernelLauncherENS2_14EmptyVecKernelENS2_8DummyVecELm8EEEvRKNS_6TensorESA_lllENKUlvE0_clEvENKUlvE_clEvEUliE_St5arrayIPcLm2EEEEviT0_T1_.kd
    .uniform_work_group_size: 1
    .uses_dynamic_stack: false
    .vgpr_count:     9
    .vgpr_spill_count: 0
    .wavefront_size: 32
  - .args:
      - .offset:         0
        .size:           4
        .value_kind:     by_value
      - .offset:         8
        .size:           16
        .value_kind:     by_value
      - .offset:         24
        .size:           16
        .value_kind:     by_value
    .group_segment_fixed_size: 0
    .kernarg_segment_align: 8
    .kernarg_segment_size: 40
    .language:       OpenCL C
    .language_version:
      - 2
      - 0
    .max_flat_workgroup_size: 256
    .name:           _ZN2at6native29vectorized_elementwise_kernelILi4EZZZNS0_12_GLOBAL__N_142_validate_compressed_sparse_indices_kernelILNS2_8CDimNameE1ENS2_18CUDAKernelLauncherENS2_14EmptyVecKernelENS2_8DummyVecELm8EEEvRKNS_6TensorESA_lllENKUlvE0_clEvENKUlvE_clEvEUliE_St5arrayIPcLm2EEEEviT0_T1_
    .private_segment_fixed_size: 0
    .sgpr_count:     24
    .sgpr_spill_count: 0
    .symbol:         _ZN2at6native29vectorized_elementwise_kernelILi4EZZZNS0_12_GLOBAL__N_142_validate_compressed_sparse_indices_kernelILNS2_8CDimNameE1ENS2_18CUDAKernelLauncherENS2_14EmptyVecKernelENS2_8DummyVecELm8EEEvRKNS_6TensorESA_lllENKUlvE0_clEvENKUlvE_clEvEUliE_St5arrayIPcLm2EEEEviT0_T1_.kd
    .uniform_work_group_size: 1
    .uses_dynamic_stack: false
    .vgpr_count:     9
    .vgpr_spill_count: 0
    .wavefront_size: 32
  - .args:
      - .offset:         0
        .size:           4
        .value_kind:     by_value
      - .offset:         8
        .size:           16
        .value_kind:     by_value
      - .offset:         24
        .size:           16
        .value_kind:     by_value
    .group_segment_fixed_size: 0
    .kernarg_segment_align: 8
    .kernarg_segment_size: 40
    .language:       OpenCL C
    .language_version:
      - 2
      - 0
    .max_flat_workgroup_size: 256
    .name:           _ZN2at6native29vectorized_elementwise_kernelILi2EZZZNS0_12_GLOBAL__N_142_validate_compressed_sparse_indices_kernelILNS2_8CDimNameE1ENS2_18CUDAKernelLauncherENS2_14EmptyVecKernelENS2_8DummyVecELm8EEEvRKNS_6TensorESA_lllENKUlvE0_clEvENKUlvE_clEvEUliE_St5arrayIPcLm2EEEEviT0_T1_
    .private_segment_fixed_size: 0
    .sgpr_count:     24
    .sgpr_spill_count: 0
    .symbol:         _ZN2at6native29vectorized_elementwise_kernelILi2EZZZNS0_12_GLOBAL__N_142_validate_compressed_sparse_indices_kernelILNS2_8CDimNameE1ENS2_18CUDAKernelLauncherENS2_14EmptyVecKernelENS2_8DummyVecELm8EEEvRKNS_6TensorESA_lllENKUlvE0_clEvENKUlvE_clEvEUliE_St5arrayIPcLm2EEEEviT0_T1_.kd
    .uniform_work_group_size: 1
    .uses_dynamic_stack: false
    .vgpr_count:     9
    .vgpr_spill_count: 0
    .wavefront_size: 32
  - .args:
      - .offset:         0
        .size:           4
        .value_kind:     by_value
      - .offset:         8
        .size:           16
        .value_kind:     by_value
      - .offset:         24
        .size:           16
        .value_kind:     by_value
      - .offset:         40
        .size:           1
        .value_kind:     by_value
      - .offset:         41
        .size:           1
        .value_kind:     by_value
      - .offset:         42
        .size:           1
        .value_kind:     by_value
      - .offset:         43
        .size:           1
        .value_kind:     by_value
    .group_segment_fixed_size: 0
    .kernarg_segment_align: 8
    .kernarg_segment_size: 44
    .language:       OpenCL C
    .language_version:
      - 2
      - 0
    .max_flat_workgroup_size: 256
    .name:           _ZN2at6native27unrolled_elementwise_kernelIZZZNS0_12_GLOBAL__N_142_validate_compressed_sparse_indices_kernelILNS2_8CDimNameE1ENS2_18CUDAKernelLauncherENS2_14EmptyVecKernelENS2_8DummyVecELm8EEEvRKNS_6TensorESA_lllENKUlvE0_clEvENKUlvE_clEvEUliE_St5arrayIPcLm2EELi4E23TrivialOffsetCalculatorILi1EjESI_NS0_6memory15LoadWithoutCastENSJ_16StoreWithoutCastEEEviT_T0_T2_T3_T4_T5_
    .private_segment_fixed_size: 0
    .sgpr_count:     22
    .sgpr_spill_count: 0
    .symbol:         _ZN2at6native27unrolled_elementwise_kernelIZZZNS0_12_GLOBAL__N_142_validate_compressed_sparse_indices_kernelILNS2_8CDimNameE1ENS2_18CUDAKernelLauncherENS2_14EmptyVecKernelENS2_8DummyVecELm8EEEvRKNS_6TensorESA_lllENKUlvE0_clEvENKUlvE_clEvEUliE_St5arrayIPcLm2EELi4E23TrivialOffsetCalculatorILi1EjESI_NS0_6memory15LoadWithoutCastENSJ_16StoreWithoutCastEEEviT_T0_T2_T3_T4_T5_.kd
    .uniform_work_group_size: 1
    .uses_dynamic_stack: false
    .vgpr_count:     7
    .vgpr_spill_count: 0
    .wavefront_size: 32
  - .args:
      - .offset:         0
        .size:           4
        .value_kind:     by_value
      - .offset:         8
        .size:           360
        .value_kind:     by_value
    .group_segment_fixed_size: 0
    .kernarg_segment_align: 8
    .kernarg_segment_size: 368
    .language:       OpenCL C
    .language_version:
      - 2
      - 0
    .max_flat_workgroup_size: 128
    .name:           _ZN2at6native32elementwise_kernel_manual_unrollILi128ELi4EZNS0_22gpu_kernel_impl_nocastIZZZNS0_12_GLOBAL__N_142_validate_compressed_sparse_indices_kernelILNS3_8CDimNameE1ENS3_18CUDAKernelLauncherENS3_14EmptyVecKernelENS3_8DummyVecELm8EEEvRKNS_6TensorESB_lllENKUlvE0_clEvENKUlvE_clEvEUliE_EEvRNS_18TensorIteratorBaseERKT_EUlibE_EEviT1_
    .private_segment_fixed_size: 0
    .sgpr_count:     70
    .sgpr_spill_count: 0
    .symbol:         _ZN2at6native32elementwise_kernel_manual_unrollILi128ELi4EZNS0_22gpu_kernel_impl_nocastIZZZNS0_12_GLOBAL__N_142_validate_compressed_sparse_indices_kernelILNS3_8CDimNameE1ENS3_18CUDAKernelLauncherENS3_14EmptyVecKernelENS3_8DummyVecELm8EEEvRKNS_6TensorESB_lllENKUlvE0_clEvENKUlvE_clEvEUliE_EEvRNS_18TensorIteratorBaseERKT_EUlibE_EEviT1_.kd
    .uniform_work_group_size: 1
    .uses_dynamic_stack: false
    .vgpr_count:     15
    .vgpr_spill_count: 0
    .wavefront_size: 32
  - .args:
      - .offset:         0
        .size:           4
        .value_kind:     by_value
      - .offset:         8
        .size:           48
        .value_kind:     by_value
    .group_segment_fixed_size: 0
    .kernarg_segment_align: 8
    .kernarg_segment_size: 56
    .language:       OpenCL C
    .language_version:
      - 2
      - 0
    .max_flat_workgroup_size: 128
    .name:           _ZN2at6native32elementwise_kernel_manual_unrollILi128ELi4EZNS0_15gpu_kernel_implIZZZNS0_12_GLOBAL__N_142_validate_compressed_sparse_indices_kernelILNS3_8CDimNameE1ENS3_18CUDAKernelLauncherENS3_14EmptyVecKernelENS3_8DummyVecELm8EEEvRKNS_6TensorESB_lllENKUlvE0_clEvENKUlvE_clEvEUliE_EEvRNS_18TensorIteratorBaseERKT_EUlibE_EEviT1_
    .private_segment_fixed_size: 0
    .sgpr_count:     34
    .sgpr_spill_count: 0
    .symbol:         _ZN2at6native32elementwise_kernel_manual_unrollILi128ELi4EZNS0_15gpu_kernel_implIZZZNS0_12_GLOBAL__N_142_validate_compressed_sparse_indices_kernelILNS3_8CDimNameE1ENS3_18CUDAKernelLauncherENS3_14EmptyVecKernelENS3_8DummyVecELm8EEEvRKNS_6TensorESB_lllENKUlvE0_clEvENKUlvE_clEvEUliE_EEvRNS_18TensorIteratorBaseERKT_EUlibE_EEviT1_.kd
    .uniform_work_group_size: 1
    .uses_dynamic_stack: false
    .vgpr_count:     10
    .vgpr_spill_count: 0
    .wavefront_size: 32
  - .args:
      - .offset:         0
        .size:           4
        .value_kind:     by_value
      - .offset:         8
        .size:           368
        .value_kind:     by_value
    .group_segment_fixed_size: 0
    .kernarg_segment_align: 8
    .kernarg_segment_size: 376
    .language:       OpenCL C
    .language_version:
      - 2
      - 0
    .max_flat_workgroup_size: 128
    .name:           _ZN2at6native32elementwise_kernel_manual_unrollILi128ELi4EZNS0_15gpu_kernel_implIZZZNS0_12_GLOBAL__N_142_validate_compressed_sparse_indices_kernelILNS3_8CDimNameE1ENS3_18CUDAKernelLauncherENS3_14EmptyVecKernelENS3_8DummyVecELm8EEEvRKNS_6TensorESB_lllENKUlvE0_clEvENKUlvE_clEvEUliE_EEvRNS_18TensorIteratorBaseERKT_EUlibE0_EEviT1_
    .private_segment_fixed_size: 0
    .sgpr_count:     74
    .sgpr_spill_count: 0
    .symbol:         _ZN2at6native32elementwise_kernel_manual_unrollILi128ELi4EZNS0_15gpu_kernel_implIZZZNS0_12_GLOBAL__N_142_validate_compressed_sparse_indices_kernelILNS3_8CDimNameE1ENS3_18CUDAKernelLauncherENS3_14EmptyVecKernelENS3_8DummyVecELm8EEEvRKNS_6TensorESB_lllENKUlvE0_clEvENKUlvE_clEvEUliE_EEvRNS_18TensorIteratorBaseERKT_EUlibE0_EEviT1_.kd
    .uniform_work_group_size: 1
    .uses_dynamic_stack: false
    .vgpr_count:     18
    .vgpr_spill_count: 0
    .wavefront_size: 32
  - .args:
      - .offset:         0
        .size:           4
        .value_kind:     by_value
      - .offset:         8
        .size:           16
        .value_kind:     by_value
      - .offset:         24
        .size:           16
        .value_kind:     by_value
    .group_segment_fixed_size: 0
    .kernarg_segment_align: 8
    .kernarg_segment_size: 40
    .language:       OpenCL C
    .language_version:
      - 2
      - 0
    .max_flat_workgroup_size: 256
    .name:           _ZN2at6native29vectorized_elementwise_kernelILi16EZZZNS0_12_GLOBAL__N_142_validate_compressed_sparse_indices_kernelILNS2_8CDimNameE1ENS2_18CUDAKernelLauncherENS2_14EmptyVecKernelENS2_8DummyVecELm8EEEvRKNS_6TensorESA_lllENKUlvE0_clEvENKUlvE0_clEvEUllE_St5arrayIPcLm2EEEEviT0_T1_
    .private_segment_fixed_size: 0
    .sgpr_count:     30
    .sgpr_spill_count: 0
    .symbol:         _ZN2at6native29vectorized_elementwise_kernelILi16EZZZNS0_12_GLOBAL__N_142_validate_compressed_sparse_indices_kernelILNS2_8CDimNameE1ENS2_18CUDAKernelLauncherENS2_14EmptyVecKernelENS2_8DummyVecELm8EEEvRKNS_6TensorESA_lllENKUlvE0_clEvENKUlvE0_clEvEUllE_St5arrayIPcLm2EEEEviT0_T1_.kd
    .uniform_work_group_size: 1
    .uses_dynamic_stack: false
    .vgpr_count:     12
    .vgpr_spill_count: 0
    .wavefront_size: 32
  - .args:
      - .offset:         0
        .size:           4
        .value_kind:     by_value
      - .offset:         8
        .size:           16
        .value_kind:     by_value
      - .offset:         24
        .size:           16
        .value_kind:     by_value
    .group_segment_fixed_size: 0
    .kernarg_segment_align: 8
    .kernarg_segment_size: 40
    .language:       OpenCL C
    .language_version:
      - 2
      - 0
    .max_flat_workgroup_size: 256
    .name:           _ZN2at6native29vectorized_elementwise_kernelILi8EZZZNS0_12_GLOBAL__N_142_validate_compressed_sparse_indices_kernelILNS2_8CDimNameE1ENS2_18CUDAKernelLauncherENS2_14EmptyVecKernelENS2_8DummyVecELm8EEEvRKNS_6TensorESA_lllENKUlvE0_clEvENKUlvE0_clEvEUllE_St5arrayIPcLm2EEEEviT0_T1_
    .private_segment_fixed_size: 0
    .sgpr_count:     30
    .sgpr_spill_count: 0
    .symbol:         _ZN2at6native29vectorized_elementwise_kernelILi8EZZZNS0_12_GLOBAL__N_142_validate_compressed_sparse_indices_kernelILNS2_8CDimNameE1ENS2_18CUDAKernelLauncherENS2_14EmptyVecKernelENS2_8DummyVecELm8EEEvRKNS_6TensorESA_lllENKUlvE0_clEvENKUlvE0_clEvEUllE_St5arrayIPcLm2EEEEviT0_T1_.kd
    .uniform_work_group_size: 1
    .uses_dynamic_stack: false
    .vgpr_count:     12
    .vgpr_spill_count: 0
    .wavefront_size: 32
  - .args:
      - .offset:         0
        .size:           4
        .value_kind:     by_value
      - .offset:         8
        .size:           16
        .value_kind:     by_value
      - .offset:         24
        .size:           16
        .value_kind:     by_value
    .group_segment_fixed_size: 0
    .kernarg_segment_align: 8
    .kernarg_segment_size: 40
    .language:       OpenCL C
    .language_version:
      - 2
      - 0
    .max_flat_workgroup_size: 256
    .name:           _ZN2at6native29vectorized_elementwise_kernelILi4EZZZNS0_12_GLOBAL__N_142_validate_compressed_sparse_indices_kernelILNS2_8CDimNameE1ENS2_18CUDAKernelLauncherENS2_14EmptyVecKernelENS2_8DummyVecELm8EEEvRKNS_6TensorESA_lllENKUlvE0_clEvENKUlvE0_clEvEUllE_St5arrayIPcLm2EEEEviT0_T1_
    .private_segment_fixed_size: 0
    .sgpr_count:     30
    .sgpr_spill_count: 0
    .symbol:         _ZN2at6native29vectorized_elementwise_kernelILi4EZZZNS0_12_GLOBAL__N_142_validate_compressed_sparse_indices_kernelILNS2_8CDimNameE1ENS2_18CUDAKernelLauncherENS2_14EmptyVecKernelENS2_8DummyVecELm8EEEvRKNS_6TensorESA_lllENKUlvE0_clEvENKUlvE0_clEvEUllE_St5arrayIPcLm2EEEEviT0_T1_.kd
    .uniform_work_group_size: 1
    .uses_dynamic_stack: false
    .vgpr_count:     12
    .vgpr_spill_count: 0
    .wavefront_size: 32
  - .args:
      - .offset:         0
        .size:           4
        .value_kind:     by_value
      - .offset:         8
        .size:           16
        .value_kind:     by_value
      - .offset:         24
        .size:           16
        .value_kind:     by_value
    .group_segment_fixed_size: 0
    .kernarg_segment_align: 8
    .kernarg_segment_size: 40
    .language:       OpenCL C
    .language_version:
      - 2
      - 0
    .max_flat_workgroup_size: 256
    .name:           _ZN2at6native29vectorized_elementwise_kernelILi2EZZZNS0_12_GLOBAL__N_142_validate_compressed_sparse_indices_kernelILNS2_8CDimNameE1ENS2_18CUDAKernelLauncherENS2_14EmptyVecKernelENS2_8DummyVecELm8EEEvRKNS_6TensorESA_lllENKUlvE0_clEvENKUlvE0_clEvEUllE_St5arrayIPcLm2EEEEviT0_T1_
    .private_segment_fixed_size: 0
    .sgpr_count:     30
    .sgpr_spill_count: 0
    .symbol:         _ZN2at6native29vectorized_elementwise_kernelILi2EZZZNS0_12_GLOBAL__N_142_validate_compressed_sparse_indices_kernelILNS2_8CDimNameE1ENS2_18CUDAKernelLauncherENS2_14EmptyVecKernelENS2_8DummyVecELm8EEEvRKNS_6TensorESA_lllENKUlvE0_clEvENKUlvE0_clEvEUllE_St5arrayIPcLm2EEEEviT0_T1_.kd
    .uniform_work_group_size: 1
    .uses_dynamic_stack: false
    .vgpr_count:     11
    .vgpr_spill_count: 0
    .wavefront_size: 32
  - .args:
      - .offset:         0
        .size:           4
        .value_kind:     by_value
      - .offset:         8
        .size:           16
        .value_kind:     by_value
      - .offset:         24
        .size:           16
        .value_kind:     by_value
      - .offset:         40
        .size:           1
        .value_kind:     by_value
      - .offset:         41
        .size:           1
        .value_kind:     by_value
      - .offset:         42
        .size:           1
        .value_kind:     by_value
      - .offset:         43
        .size:           1
        .value_kind:     by_value
    .group_segment_fixed_size: 0
    .kernarg_segment_align: 8
    .kernarg_segment_size: 44
    .language:       OpenCL C
    .language_version:
      - 2
      - 0
    .max_flat_workgroup_size: 256
    .name:           _ZN2at6native27unrolled_elementwise_kernelIZZZNS0_12_GLOBAL__N_142_validate_compressed_sparse_indices_kernelILNS2_8CDimNameE1ENS2_18CUDAKernelLauncherENS2_14EmptyVecKernelENS2_8DummyVecELm8EEEvRKNS_6TensorESA_lllENKUlvE0_clEvENKUlvE0_clEvEUllE_St5arrayIPcLm2EELi4E23TrivialOffsetCalculatorILi1EjESI_NS0_6memory15LoadWithoutCastENSJ_16StoreWithoutCastEEEviT_T0_T2_T3_T4_T5_
    .private_segment_fixed_size: 0
    .sgpr_count:     21
    .sgpr_spill_count: 0
    .symbol:         _ZN2at6native27unrolled_elementwise_kernelIZZZNS0_12_GLOBAL__N_142_validate_compressed_sparse_indices_kernelILNS2_8CDimNameE1ENS2_18CUDAKernelLauncherENS2_14EmptyVecKernelENS2_8DummyVecELm8EEEvRKNS_6TensorESA_lllENKUlvE0_clEvENKUlvE0_clEvEUllE_St5arrayIPcLm2EELi4E23TrivialOffsetCalculatorILi1EjESI_NS0_6memory15LoadWithoutCastENSJ_16StoreWithoutCastEEEviT_T0_T2_T3_T4_T5_.kd
    .uniform_work_group_size: 1
    .uses_dynamic_stack: false
    .vgpr_count:     11
    .vgpr_spill_count: 0
    .wavefront_size: 32
  - .args:
      - .offset:         0
        .size:           4
        .value_kind:     by_value
      - .offset:         8
        .size:           360
        .value_kind:     by_value
    .group_segment_fixed_size: 0
    .kernarg_segment_align: 8
    .kernarg_segment_size: 368
    .language:       OpenCL C
    .language_version:
      - 2
      - 0
    .max_flat_workgroup_size: 128
    .name:           _ZN2at6native32elementwise_kernel_manual_unrollILi128ELi4EZNS0_22gpu_kernel_impl_nocastIZZZNS0_12_GLOBAL__N_142_validate_compressed_sparse_indices_kernelILNS3_8CDimNameE1ENS3_18CUDAKernelLauncherENS3_14EmptyVecKernelENS3_8DummyVecELm8EEEvRKNS_6TensorESB_lllENKUlvE0_clEvENKUlvE0_clEvEUllE_EEvRNS_18TensorIteratorBaseERKT_EUlibE_EEviT1_
    .private_segment_fixed_size: 0
    .sgpr_count:     74
    .sgpr_spill_count: 0
    .symbol:         _ZN2at6native32elementwise_kernel_manual_unrollILi128ELi4EZNS0_22gpu_kernel_impl_nocastIZZZNS0_12_GLOBAL__N_142_validate_compressed_sparse_indices_kernelILNS3_8CDimNameE1ENS3_18CUDAKernelLauncherENS3_14EmptyVecKernelENS3_8DummyVecELm8EEEvRKNS_6TensorESB_lllENKUlvE0_clEvENKUlvE0_clEvEUllE_EEvRNS_18TensorIteratorBaseERKT_EUlibE_EEviT1_.kd
    .uniform_work_group_size: 1
    .uses_dynamic_stack: false
    .vgpr_count:     15
    .vgpr_spill_count: 0
    .wavefront_size: 32
  - .args:
      - .offset:         0
        .size:           4
        .value_kind:     by_value
      - .offset:         8
        .size:           48
        .value_kind:     by_value
    .group_segment_fixed_size: 0
    .kernarg_segment_align: 8
    .kernarg_segment_size: 56
    .language:       OpenCL C
    .language_version:
      - 2
      - 0
    .max_flat_workgroup_size: 128
    .name:           _ZN2at6native32elementwise_kernel_manual_unrollILi128ELi4EZNS0_15gpu_kernel_implIZZZNS0_12_GLOBAL__N_142_validate_compressed_sparse_indices_kernelILNS3_8CDimNameE1ENS3_18CUDAKernelLauncherENS3_14EmptyVecKernelENS3_8DummyVecELm8EEEvRKNS_6TensorESB_lllENKUlvE0_clEvENKUlvE0_clEvEUllE_EEvRNS_18TensorIteratorBaseERKT_EUlibE_EEviT1_
    .private_segment_fixed_size: 0
    .sgpr_count:     37
    .sgpr_spill_count: 0
    .symbol:         _ZN2at6native32elementwise_kernel_manual_unrollILi128ELi4EZNS0_15gpu_kernel_implIZZZNS0_12_GLOBAL__N_142_validate_compressed_sparse_indices_kernelILNS3_8CDimNameE1ENS3_18CUDAKernelLauncherENS3_14EmptyVecKernelENS3_8DummyVecELm8EEEvRKNS_6TensorESB_lllENKUlvE0_clEvENKUlvE0_clEvEUllE_EEvRNS_18TensorIteratorBaseERKT_EUlibE_EEviT1_.kd
    .uniform_work_group_size: 1
    .uses_dynamic_stack: false
    .vgpr_count:     12
    .vgpr_spill_count: 0
    .wavefront_size: 32
  - .args:
      - .offset:         0
        .size:           4
        .value_kind:     by_value
      - .offset:         8
        .size:           368
        .value_kind:     by_value
    .group_segment_fixed_size: 0
    .kernarg_segment_align: 8
    .kernarg_segment_size: 376
    .language:       OpenCL C
    .language_version:
      - 2
      - 0
    .max_flat_workgroup_size: 128
    .name:           _ZN2at6native32elementwise_kernel_manual_unrollILi128ELi4EZNS0_15gpu_kernel_implIZZZNS0_12_GLOBAL__N_142_validate_compressed_sparse_indices_kernelILNS3_8CDimNameE1ENS3_18CUDAKernelLauncherENS3_14EmptyVecKernelENS3_8DummyVecELm8EEEvRKNS_6TensorESB_lllENKUlvE0_clEvENKUlvE0_clEvEUllE_EEvRNS_18TensorIteratorBaseERKT_EUlibE0_EEviT1_
    .private_segment_fixed_size: 0
    .sgpr_count:     78
    .sgpr_spill_count: 0
    .symbol:         _ZN2at6native32elementwise_kernel_manual_unrollILi128ELi4EZNS0_15gpu_kernel_implIZZZNS0_12_GLOBAL__N_142_validate_compressed_sparse_indices_kernelILNS3_8CDimNameE1ENS3_18CUDAKernelLauncherENS3_14EmptyVecKernelENS3_8DummyVecELm8EEEvRKNS_6TensorESB_lllENKUlvE0_clEvENKUlvE0_clEvEUllE_EEvRNS_18TensorIteratorBaseERKT_EUlibE0_EEviT1_.kd
    .uniform_work_group_size: 1
    .uses_dynamic_stack: false
    .vgpr_count:     22
    .vgpr_spill_count: 0
    .wavefront_size: 32
  - .args:
      - .offset:         0
        .size:           4
        .value_kind:     by_value
      - .offset:         8
        .size:           168
        .value_kind:     by_value
      - .offset:         176
        .size:           48
        .value_kind:     by_value
    .group_segment_fixed_size: 0
    .kernarg_segment_align: 8
    .kernarg_segment_size: 224
    .language:       OpenCL C
    .language_version:
      - 2
      - 0
    .max_flat_workgroup_size: 256
    .name:           _ZN2at6native29vectorized_elementwise_kernelILi16EZZZNS0_12_GLOBAL__N_142_validate_compressed_sparse_indices_kernelILNS2_8CDimNameE1ENS2_18CUDAKernelLauncherENS2_14EmptyVecKernelENS2_8DummyVecELm8EEEvRKNS_6TensorESA_lllENKUlvE1_clEvENKUlvE_clEvEUliiiiiE_St5arrayIPcLm6EEEEviT0_T1_
    .private_segment_fixed_size: 0
    .sgpr_count:     71
    .sgpr_spill_count: 0
    .symbol:         _ZN2at6native29vectorized_elementwise_kernelILi16EZZZNS0_12_GLOBAL__N_142_validate_compressed_sparse_indices_kernelILNS2_8CDimNameE1ENS2_18CUDAKernelLauncherENS2_14EmptyVecKernelENS2_8DummyVecELm8EEEvRKNS_6TensorESA_lllENKUlvE1_clEvENKUlvE_clEvEUliiiiiE_St5arrayIPcLm6EEEEviT0_T1_.kd
    .uniform_work_group_size: 1
    .uses_dynamic_stack: false
    .vgpr_count:     44
    .vgpr_spill_count: 0
    .wavefront_size: 32
  - .args:
      - .offset:         0
        .size:           4
        .value_kind:     by_value
      - .offset:         8
        .size:           168
        .value_kind:     by_value
      - .offset:         176
        .size:           48
        .value_kind:     by_value
    .group_segment_fixed_size: 0
    .kernarg_segment_align: 8
    .kernarg_segment_size: 224
    .language:       OpenCL C
    .language_version:
      - 2
      - 0
    .max_flat_workgroup_size: 256
    .name:           _ZN2at6native29vectorized_elementwise_kernelILi8EZZZNS0_12_GLOBAL__N_142_validate_compressed_sparse_indices_kernelILNS2_8CDimNameE1ENS2_18CUDAKernelLauncherENS2_14EmptyVecKernelENS2_8DummyVecELm8EEEvRKNS_6TensorESA_lllENKUlvE1_clEvENKUlvE_clEvEUliiiiiE_St5arrayIPcLm6EEEEviT0_T1_
    .private_segment_fixed_size: 0
    .sgpr_count:     71
    .sgpr_spill_count: 0
    .symbol:         _ZN2at6native29vectorized_elementwise_kernelILi8EZZZNS0_12_GLOBAL__N_142_validate_compressed_sparse_indices_kernelILNS2_8CDimNameE1ENS2_18CUDAKernelLauncherENS2_14EmptyVecKernelENS2_8DummyVecELm8EEEvRKNS_6TensorESA_lllENKUlvE1_clEvENKUlvE_clEvEUliiiiiE_St5arrayIPcLm6EEEEviT0_T1_.kd
    .uniform_work_group_size: 1
    .uses_dynamic_stack: false
    .vgpr_count:     44
    .vgpr_spill_count: 0
    .wavefront_size: 32
  - .args:
      - .offset:         0
        .size:           4
        .value_kind:     by_value
      - .offset:         8
        .size:           168
        .value_kind:     by_value
      - .offset:         176
        .size:           48
        .value_kind:     by_value
    .group_segment_fixed_size: 0
    .kernarg_segment_align: 8
    .kernarg_segment_size: 224
    .language:       OpenCL C
    .language_version:
      - 2
      - 0
    .max_flat_workgroup_size: 256
    .name:           _ZN2at6native29vectorized_elementwise_kernelILi4EZZZNS0_12_GLOBAL__N_142_validate_compressed_sparse_indices_kernelILNS2_8CDimNameE1ENS2_18CUDAKernelLauncherENS2_14EmptyVecKernelENS2_8DummyVecELm8EEEvRKNS_6TensorESA_lllENKUlvE1_clEvENKUlvE_clEvEUliiiiiE_St5arrayIPcLm6EEEEviT0_T1_
    .private_segment_fixed_size: 0
    .sgpr_count:     71
    .sgpr_spill_count: 0
    .symbol:         _ZN2at6native29vectorized_elementwise_kernelILi4EZZZNS0_12_GLOBAL__N_142_validate_compressed_sparse_indices_kernelILNS2_8CDimNameE1ENS2_18CUDAKernelLauncherENS2_14EmptyVecKernelENS2_8DummyVecELm8EEEvRKNS_6TensorESA_lllENKUlvE1_clEvENKUlvE_clEvEUliiiiiE_St5arrayIPcLm6EEEEviT0_T1_.kd
    .uniform_work_group_size: 1
    .uses_dynamic_stack: false
    .vgpr_count:     44
    .vgpr_spill_count: 0
    .wavefront_size: 32
  - .args:
      - .offset:         0
        .size:           4
        .value_kind:     by_value
      - .offset:         8
        .size:           168
        .value_kind:     by_value
      - .offset:         176
        .size:           48
        .value_kind:     by_value
    .group_segment_fixed_size: 0
    .kernarg_segment_align: 8
    .kernarg_segment_size: 224
    .language:       OpenCL C
    .language_version:
      - 2
      - 0
    .max_flat_workgroup_size: 256
    .name:           _ZN2at6native29vectorized_elementwise_kernelILi2EZZZNS0_12_GLOBAL__N_142_validate_compressed_sparse_indices_kernelILNS2_8CDimNameE1ENS2_18CUDAKernelLauncherENS2_14EmptyVecKernelENS2_8DummyVecELm8EEEvRKNS_6TensorESA_lllENKUlvE1_clEvENKUlvE_clEvEUliiiiiE_St5arrayIPcLm6EEEEviT0_T1_
    .private_segment_fixed_size: 0
    .sgpr_count:     71
    .sgpr_spill_count: 0
    .symbol:         _ZN2at6native29vectorized_elementwise_kernelILi2EZZZNS0_12_GLOBAL__N_142_validate_compressed_sparse_indices_kernelILNS2_8CDimNameE1ENS2_18CUDAKernelLauncherENS2_14EmptyVecKernelENS2_8DummyVecELm8EEEvRKNS_6TensorESA_lllENKUlvE1_clEvENKUlvE_clEvEUliiiiiE_St5arrayIPcLm6EEEEviT0_T1_.kd
    .uniform_work_group_size: 1
    .uses_dynamic_stack: false
    .vgpr_count:     44
    .vgpr_spill_count: 0
    .wavefront_size: 32
  - .args:
      - .offset:         0
        .size:           4
        .value_kind:     by_value
      - .offset:         8
        .size:           168
        .value_kind:     by_value
      - .offset:         176
        .size:           48
        .value_kind:     by_value
      - .offset:         224
        .size:           1
        .value_kind:     by_value
      - .offset:         225
        .size:           1
        .value_kind:     by_value
      - .offset:         226
        .size:           1
        .value_kind:     by_value
      - .offset:         227
        .size:           1
        .value_kind:     by_value
    .group_segment_fixed_size: 0
    .kernarg_segment_align: 8
    .kernarg_segment_size: 228
    .language:       OpenCL C
    .language_version:
      - 2
      - 0
    .max_flat_workgroup_size: 256
    .name:           _ZN2at6native27unrolled_elementwise_kernelIZZZNS0_12_GLOBAL__N_142_validate_compressed_sparse_indices_kernelILNS2_8CDimNameE1ENS2_18CUDAKernelLauncherENS2_14EmptyVecKernelENS2_8DummyVecELm8EEEvRKNS_6TensorESA_lllENKUlvE1_clEvENKUlvE_clEvEUliiiiiE_St5arrayIPcLm6EELi4E23TrivialOffsetCalculatorILi5EjESH_ILi1EjENS0_6memory15LoadWithoutCastENSK_16StoreWithoutCastEEEviT_T0_T2_T3_T4_T5_
    .private_segment_fixed_size: 0
    .sgpr_count:     65
    .sgpr_spill_count: 0
    .symbol:         _ZN2at6native27unrolled_elementwise_kernelIZZZNS0_12_GLOBAL__N_142_validate_compressed_sparse_indices_kernelILNS2_8CDimNameE1ENS2_18CUDAKernelLauncherENS2_14EmptyVecKernelENS2_8DummyVecELm8EEEvRKNS_6TensorESA_lllENKUlvE1_clEvENKUlvE_clEvEUliiiiiE_St5arrayIPcLm6EELi4E23TrivialOffsetCalculatorILi5EjESH_ILi1EjENS0_6memory15LoadWithoutCastENSK_16StoreWithoutCastEEEviT_T0_T2_T3_T4_T5_.kd
    .uniform_work_group_size: 1
    .uses_dynamic_stack: false
    .vgpr_count:     44
    .vgpr_spill_count: 0
    .wavefront_size: 32
  - .args:
      - .offset:         0
        .size:           4
        .value_kind:     by_value
      - .offset:         8
        .size:           800
        .value_kind:     by_value
    .group_segment_fixed_size: 0
    .kernarg_segment_align: 8
    .kernarg_segment_size: 808
    .language:       OpenCL C
    .language_version:
      - 2
      - 0
    .max_flat_workgroup_size: 128
    .name:           _ZN2at6native32elementwise_kernel_manual_unrollILi128ELi4EZNS0_22gpu_kernel_impl_nocastIZZZNS0_12_GLOBAL__N_142_validate_compressed_sparse_indices_kernelILNS3_8CDimNameE1ENS3_18CUDAKernelLauncherENS3_14EmptyVecKernelENS3_8DummyVecELm8EEEvRKNS_6TensorESB_lllENKUlvE1_clEvENKUlvE_clEvEUliiiiiE_EEvRNS_18TensorIteratorBaseERKT_EUlibE_EEviT1_
    .private_segment_fixed_size: 0
    .sgpr_count:     102
    .sgpr_spill_count: 0
    .symbol:         _ZN2at6native32elementwise_kernel_manual_unrollILi128ELi4EZNS0_22gpu_kernel_impl_nocastIZZZNS0_12_GLOBAL__N_142_validate_compressed_sparse_indices_kernelILNS3_8CDimNameE1ENS3_18CUDAKernelLauncherENS3_14EmptyVecKernelENS3_8DummyVecELm8EEEvRKNS_6TensorESB_lllENKUlvE1_clEvENKUlvE_clEvEUliiiiiE_EEvRNS_18TensorIteratorBaseERKT_EUlibE_EEviT1_.kd
    .uniform_work_group_size: 1
    .uses_dynamic_stack: false
    .vgpr_count:     46
    .vgpr_spill_count: 0
    .wavefront_size: 32
  - .args:
      - .offset:         0
        .size:           4
        .value_kind:     by_value
      - .offset:         8
        .size:           248
        .value_kind:     by_value
    .group_segment_fixed_size: 0
    .kernarg_segment_align: 8
    .kernarg_segment_size: 256
    .language:       OpenCL C
    .language_version:
      - 2
      - 0
    .max_flat_workgroup_size: 128
    .name:           _ZN2at6native32elementwise_kernel_manual_unrollILi128ELi4EZNS0_15gpu_kernel_implIZZZNS0_12_GLOBAL__N_142_validate_compressed_sparse_indices_kernelILNS3_8CDimNameE1ENS3_18CUDAKernelLauncherENS3_14EmptyVecKernelENS3_8DummyVecELm8EEEvRKNS_6TensorESB_lllENKUlvE1_clEvENKUlvE_clEvEUliiiiiE_EEvRNS_18TensorIteratorBaseERKT_EUlibE_EEviT1_
    .private_segment_fixed_size: 0
    .sgpr_count:     100
    .sgpr_spill_count: 0
    .symbol:         _ZN2at6native32elementwise_kernel_manual_unrollILi128ELi4EZNS0_15gpu_kernel_implIZZZNS0_12_GLOBAL__N_142_validate_compressed_sparse_indices_kernelILNS3_8CDimNameE1ENS3_18CUDAKernelLauncherENS3_14EmptyVecKernelENS3_8DummyVecELm8EEEvRKNS_6TensorESB_lllENKUlvE1_clEvENKUlvE_clEvEUliiiiiE_EEvRNS_18TensorIteratorBaseERKT_EUlibE_EEviT1_.kd
    .uniform_work_group_size: 1
    .uses_dynamic_stack: false
    .vgpr_count:     38
    .vgpr_spill_count: 0
    .wavefront_size: 32
  - .args:
      - .offset:         0
        .size:           4
        .value_kind:     by_value
      - .offset:         8
        .size:           808
        .value_kind:     by_value
    .group_segment_fixed_size: 0
    .kernarg_segment_align: 8
    .kernarg_segment_size: 816
    .language:       OpenCL C
    .language_version:
      - 2
      - 0
    .max_flat_workgroup_size: 128
    .name:           _ZN2at6native32elementwise_kernel_manual_unrollILi128ELi4EZNS0_15gpu_kernel_implIZZZNS0_12_GLOBAL__N_142_validate_compressed_sparse_indices_kernelILNS3_8CDimNameE1ENS3_18CUDAKernelLauncherENS3_14EmptyVecKernelENS3_8DummyVecELm8EEEvRKNS_6TensorESB_lllENKUlvE1_clEvENKUlvE_clEvEUliiiiiE_EEvRNS_18TensorIteratorBaseERKT_EUlibE0_EEviT1_
    .private_segment_fixed_size: 0
    .sgpr_count:     107
    .sgpr_spill_count: 0
    .symbol:         _ZN2at6native32elementwise_kernel_manual_unrollILi128ELi4EZNS0_15gpu_kernel_implIZZZNS0_12_GLOBAL__N_142_validate_compressed_sparse_indices_kernelILNS3_8CDimNameE1ENS3_18CUDAKernelLauncherENS3_14EmptyVecKernelENS3_8DummyVecELm8EEEvRKNS_6TensorESB_lllENKUlvE1_clEvENKUlvE_clEvEUliiiiiE_EEvRNS_18TensorIteratorBaseERKT_EUlibE0_EEviT1_.kd
    .uniform_work_group_size: 1
    .uses_dynamic_stack: false
    .vgpr_count:     62
    .vgpr_spill_count: 0
    .wavefront_size: 32
  - .args:
      - .offset:         0
        .size:           4
        .value_kind:     by_value
      - .offset:         8
        .size:           168
        .value_kind:     by_value
      - .offset:         176
        .size:           48
        .value_kind:     by_value
    .group_segment_fixed_size: 0
    .kernarg_segment_align: 8
    .kernarg_segment_size: 224
    .language:       OpenCL C
    .language_version:
      - 2
      - 0
    .max_flat_workgroup_size: 256
    .name:           _ZN2at6native29vectorized_elementwise_kernelILi16EZZZNS0_12_GLOBAL__N_142_validate_compressed_sparse_indices_kernelILNS2_8CDimNameE1ENS2_18CUDAKernelLauncherENS2_14EmptyVecKernelENS2_8DummyVecELm8EEEvRKNS_6TensorESA_lllENKUlvE1_clEvENKUlvE0_clEvEUllllllE_St5arrayIPcLm6EEEEviT0_T1_
    .private_segment_fixed_size: 0
    .sgpr_count:     71
    .sgpr_spill_count: 0
    .symbol:         _ZN2at6native29vectorized_elementwise_kernelILi16EZZZNS0_12_GLOBAL__N_142_validate_compressed_sparse_indices_kernelILNS2_8CDimNameE1ENS2_18CUDAKernelLauncherENS2_14EmptyVecKernelENS2_8DummyVecELm8EEEvRKNS_6TensorESA_lllENKUlvE1_clEvENKUlvE0_clEvEUllllllE_St5arrayIPcLm6EEEEviT0_T1_.kd
    .uniform_work_group_size: 1
    .uses_dynamic_stack: false
    .vgpr_count:     60
    .vgpr_spill_count: 0
    .wavefront_size: 32
  - .args:
      - .offset:         0
        .size:           4
        .value_kind:     by_value
      - .offset:         8
        .size:           168
        .value_kind:     by_value
      - .offset:         176
        .size:           48
        .value_kind:     by_value
    .group_segment_fixed_size: 0
    .kernarg_segment_align: 8
    .kernarg_segment_size: 224
    .language:       OpenCL C
    .language_version:
      - 2
      - 0
    .max_flat_workgroup_size: 256
    .name:           _ZN2at6native29vectorized_elementwise_kernelILi8EZZZNS0_12_GLOBAL__N_142_validate_compressed_sparse_indices_kernelILNS2_8CDimNameE1ENS2_18CUDAKernelLauncherENS2_14EmptyVecKernelENS2_8DummyVecELm8EEEvRKNS_6TensorESA_lllENKUlvE1_clEvENKUlvE0_clEvEUllllllE_St5arrayIPcLm6EEEEviT0_T1_
    .private_segment_fixed_size: 0
    .sgpr_count:     71
    .sgpr_spill_count: 0
    .symbol:         _ZN2at6native29vectorized_elementwise_kernelILi8EZZZNS0_12_GLOBAL__N_142_validate_compressed_sparse_indices_kernelILNS2_8CDimNameE1ENS2_18CUDAKernelLauncherENS2_14EmptyVecKernelENS2_8DummyVecELm8EEEvRKNS_6TensorESA_lllENKUlvE1_clEvENKUlvE0_clEvEUllllllE_St5arrayIPcLm6EEEEviT0_T1_.kd
    .uniform_work_group_size: 1
    .uses_dynamic_stack: false
    .vgpr_count:     60
    .vgpr_spill_count: 0
    .wavefront_size: 32
  - .args:
      - .offset:         0
        .size:           4
        .value_kind:     by_value
      - .offset:         8
        .size:           168
        .value_kind:     by_value
      - .offset:         176
        .size:           48
        .value_kind:     by_value
    .group_segment_fixed_size: 0
    .kernarg_segment_align: 8
    .kernarg_segment_size: 224
    .language:       OpenCL C
    .language_version:
      - 2
      - 0
    .max_flat_workgroup_size: 256
    .name:           _ZN2at6native29vectorized_elementwise_kernelILi4EZZZNS0_12_GLOBAL__N_142_validate_compressed_sparse_indices_kernelILNS2_8CDimNameE1ENS2_18CUDAKernelLauncherENS2_14EmptyVecKernelENS2_8DummyVecELm8EEEvRKNS_6TensorESA_lllENKUlvE1_clEvENKUlvE0_clEvEUllllllE_St5arrayIPcLm6EEEEviT0_T1_
    .private_segment_fixed_size: 0
    .sgpr_count:     71
    .sgpr_spill_count: 0
    .symbol:         _ZN2at6native29vectorized_elementwise_kernelILi4EZZZNS0_12_GLOBAL__N_142_validate_compressed_sparse_indices_kernelILNS2_8CDimNameE1ENS2_18CUDAKernelLauncherENS2_14EmptyVecKernelENS2_8DummyVecELm8EEEvRKNS_6TensorESA_lllENKUlvE1_clEvENKUlvE0_clEvEUllllllE_St5arrayIPcLm6EEEEviT0_T1_.kd
    .uniform_work_group_size: 1
    .uses_dynamic_stack: false
    .vgpr_count:     60
    .vgpr_spill_count: 0
    .wavefront_size: 32
  - .args:
      - .offset:         0
        .size:           4
        .value_kind:     by_value
      - .offset:         8
        .size:           168
        .value_kind:     by_value
      - .offset:         176
        .size:           48
        .value_kind:     by_value
    .group_segment_fixed_size: 0
    .kernarg_segment_align: 8
    .kernarg_segment_size: 224
    .language:       OpenCL C
    .language_version:
      - 2
      - 0
    .max_flat_workgroup_size: 256
    .name:           _ZN2at6native29vectorized_elementwise_kernelILi2EZZZNS0_12_GLOBAL__N_142_validate_compressed_sparse_indices_kernelILNS2_8CDimNameE1ENS2_18CUDAKernelLauncherENS2_14EmptyVecKernelENS2_8DummyVecELm8EEEvRKNS_6TensorESA_lllENKUlvE1_clEvENKUlvE0_clEvEUllllllE_St5arrayIPcLm6EEEEviT0_T1_
    .private_segment_fixed_size: 0
    .sgpr_count:     71
    .sgpr_spill_count: 0
    .symbol:         _ZN2at6native29vectorized_elementwise_kernelILi2EZZZNS0_12_GLOBAL__N_142_validate_compressed_sparse_indices_kernelILNS2_8CDimNameE1ENS2_18CUDAKernelLauncherENS2_14EmptyVecKernelENS2_8DummyVecELm8EEEvRKNS_6TensorESA_lllENKUlvE1_clEvENKUlvE0_clEvEUllllllE_St5arrayIPcLm6EEEEviT0_T1_.kd
    .uniform_work_group_size: 1
    .uses_dynamic_stack: false
    .vgpr_count:     60
    .vgpr_spill_count: 0
    .wavefront_size: 32
  - .args:
      - .offset:         0
        .size:           4
        .value_kind:     by_value
      - .offset:         8
        .size:           168
        .value_kind:     by_value
      - .offset:         176
        .size:           48
        .value_kind:     by_value
      - .offset:         224
        .size:           1
        .value_kind:     by_value
      - .offset:         225
        .size:           1
        .value_kind:     by_value
      - .offset:         226
        .size:           1
        .value_kind:     by_value
      - .offset:         227
        .size:           1
        .value_kind:     by_value
    .group_segment_fixed_size: 0
    .kernarg_segment_align: 8
    .kernarg_segment_size: 228
    .language:       OpenCL C
    .language_version:
      - 2
      - 0
    .max_flat_workgroup_size: 256
    .name:           _ZN2at6native27unrolled_elementwise_kernelIZZZNS0_12_GLOBAL__N_142_validate_compressed_sparse_indices_kernelILNS2_8CDimNameE1ENS2_18CUDAKernelLauncherENS2_14EmptyVecKernelENS2_8DummyVecELm8EEEvRKNS_6TensorESA_lllENKUlvE1_clEvENKUlvE0_clEvEUllllllE_St5arrayIPcLm6EELi4E23TrivialOffsetCalculatorILi5EjESH_ILi1EjENS0_6memory15LoadWithoutCastENSK_16StoreWithoutCastEEEviT_T0_T2_T3_T4_T5_
    .private_segment_fixed_size: 0
    .sgpr_count:     65
    .sgpr_spill_count: 0
    .symbol:         _ZN2at6native27unrolled_elementwise_kernelIZZZNS0_12_GLOBAL__N_142_validate_compressed_sparse_indices_kernelILNS2_8CDimNameE1ENS2_18CUDAKernelLauncherENS2_14EmptyVecKernelENS2_8DummyVecELm8EEEvRKNS_6TensorESA_lllENKUlvE1_clEvENKUlvE0_clEvEUllllllE_St5arrayIPcLm6EELi4E23TrivialOffsetCalculatorILi5EjESH_ILi1EjENS0_6memory15LoadWithoutCastENSK_16StoreWithoutCastEEEviT_T0_T2_T3_T4_T5_.kd
    .uniform_work_group_size: 1
    .uses_dynamic_stack: false
    .vgpr_count:     56
    .vgpr_spill_count: 0
    .wavefront_size: 32
  - .args:
      - .offset:         0
        .size:           4
        .value_kind:     by_value
      - .offset:         8
        .size:           800
        .value_kind:     by_value
    .group_segment_fixed_size: 0
    .kernarg_segment_align: 8
    .kernarg_segment_size: 808
    .language:       OpenCL C
    .language_version:
      - 2
      - 0
    .max_flat_workgroup_size: 128
    .name:           _ZN2at6native32elementwise_kernel_manual_unrollILi128ELi4EZNS0_22gpu_kernel_impl_nocastIZZZNS0_12_GLOBAL__N_142_validate_compressed_sparse_indices_kernelILNS3_8CDimNameE1ENS3_18CUDAKernelLauncherENS3_14EmptyVecKernelENS3_8DummyVecELm8EEEvRKNS_6TensorESB_lllENKUlvE1_clEvENKUlvE0_clEvEUllllllE_EEvRNS_18TensorIteratorBaseERKT_EUlibE_EEviT1_
    .private_segment_fixed_size: 0
    .sgpr_count:     106
    .sgpr_spill_count: 0
    .symbol:         _ZN2at6native32elementwise_kernel_manual_unrollILi128ELi4EZNS0_22gpu_kernel_impl_nocastIZZZNS0_12_GLOBAL__N_142_validate_compressed_sparse_indices_kernelILNS3_8CDimNameE1ENS3_18CUDAKernelLauncherENS3_14EmptyVecKernelENS3_8DummyVecELm8EEEvRKNS_6TensorESB_lllENKUlvE1_clEvENKUlvE0_clEvEUllllllE_EEvRNS_18TensorIteratorBaseERKT_EUlibE_EEviT1_.kd
    .uniform_work_group_size: 1
    .uses_dynamic_stack: false
    .vgpr_count:     48
    .vgpr_spill_count: 0
    .wavefront_size: 32
  - .args:
      - .offset:         0
        .size:           4
        .value_kind:     by_value
      - .offset:         8
        .size:           248
        .value_kind:     by_value
    .group_segment_fixed_size: 0
    .kernarg_segment_align: 8
    .kernarg_segment_size: 256
    .language:       OpenCL C
    .language_version:
      - 2
      - 0
    .max_flat_workgroup_size: 128
    .name:           _ZN2at6native32elementwise_kernel_manual_unrollILi128ELi4EZNS0_15gpu_kernel_implIZZZNS0_12_GLOBAL__N_142_validate_compressed_sparse_indices_kernelILNS3_8CDimNameE1ENS3_18CUDAKernelLauncherENS3_14EmptyVecKernelENS3_8DummyVecELm8EEEvRKNS_6TensorESB_lllENKUlvE1_clEvENKUlvE0_clEvEUllllllE_EEvRNS_18TensorIteratorBaseERKT_EUlibE_EEviT1_
    .private_segment_fixed_size: 0
    .sgpr_count:     102
    .sgpr_spill_count: 0
    .symbol:         _ZN2at6native32elementwise_kernel_manual_unrollILi128ELi4EZNS0_15gpu_kernel_implIZZZNS0_12_GLOBAL__N_142_validate_compressed_sparse_indices_kernelILNS3_8CDimNameE1ENS3_18CUDAKernelLauncherENS3_14EmptyVecKernelENS3_8DummyVecELm8EEEvRKNS_6TensorESB_lllENKUlvE1_clEvENKUlvE0_clEvEUllllllE_EEvRNS_18TensorIteratorBaseERKT_EUlibE_EEviT1_.kd
    .uniform_work_group_size: 1
    .uses_dynamic_stack: false
    .vgpr_count:     40
    .vgpr_spill_count: 0
    .wavefront_size: 32
  - .args:
      - .offset:         0
        .size:           4
        .value_kind:     by_value
      - .offset:         8
        .size:           808
        .value_kind:     by_value
    .group_segment_fixed_size: 0
    .kernarg_segment_align: 8
    .kernarg_segment_size: 816
    .language:       OpenCL C
    .language_version:
      - 2
      - 0
    .max_flat_workgroup_size: 128
    .name:           _ZN2at6native32elementwise_kernel_manual_unrollILi128ELi4EZNS0_15gpu_kernel_implIZZZNS0_12_GLOBAL__N_142_validate_compressed_sparse_indices_kernelILNS3_8CDimNameE1ENS3_18CUDAKernelLauncherENS3_14EmptyVecKernelENS3_8DummyVecELm8EEEvRKNS_6TensorESB_lllENKUlvE1_clEvENKUlvE0_clEvEUllllllE_EEvRNS_18TensorIteratorBaseERKT_EUlibE0_EEviT1_
    .private_segment_fixed_size: 20
    .sgpr_count:     107
    .sgpr_spill_count: 1
    .symbol:         _ZN2at6native32elementwise_kernel_manual_unrollILi128ELi4EZNS0_15gpu_kernel_implIZZZNS0_12_GLOBAL__N_142_validate_compressed_sparse_indices_kernelILNS3_8CDimNameE1ENS3_18CUDAKernelLauncherENS3_14EmptyVecKernelENS3_8DummyVecELm8EEEvRKNS_6TensorESB_lllENKUlvE1_clEvENKUlvE0_clEvEUllllllE_EEvRNS_18TensorIteratorBaseERKT_EUlibE0_EEviT1_.kd
    .uniform_work_group_size: 1
    .uses_dynamic_stack: false
    .vgpr_count:     67
    .vgpr_spill_count: 0
    .wavefront_size: 32
  - .args:
      - .offset:         0
        .size:           4
        .value_kind:     by_value
      - .offset:         8
        .size:           16
        .value_kind:     by_value
      - .offset:         24
        .size:           16
        .value_kind:     by_value
    .group_segment_fixed_size: 0
    .kernarg_segment_align: 8
    .kernarg_segment_size: 40
    .language:       OpenCL C
    .language_version:
      - 2
      - 0
    .max_flat_workgroup_size: 256
    .name:           _ZN2at6native29vectorized_elementwise_kernelILi16EZZZNS0_12_GLOBAL__N_142_validate_compressed_sparse_indices_kernelILNS2_8CDimNameE1ENS2_18CUDAKernelLauncherENS2_14EmptyVecKernelENS2_8DummyVecELm0EEEvRKNS_6TensorESA_lllENKUlvE0_clEvENKUlvE_clEvEUliE_St5arrayIPcLm2EEEEviT0_T1_
    .private_segment_fixed_size: 0
    .sgpr_count:     24
    .sgpr_spill_count: 0
    .symbol:         _ZN2at6native29vectorized_elementwise_kernelILi16EZZZNS0_12_GLOBAL__N_142_validate_compressed_sparse_indices_kernelILNS2_8CDimNameE1ENS2_18CUDAKernelLauncherENS2_14EmptyVecKernelENS2_8DummyVecELm0EEEvRKNS_6TensorESA_lllENKUlvE0_clEvENKUlvE_clEvEUliE_St5arrayIPcLm2EEEEviT0_T1_.kd
    .uniform_work_group_size: 1
    .uses_dynamic_stack: false
    .vgpr_count:     9
    .vgpr_spill_count: 0
    .wavefront_size: 32
  - .args:
      - .offset:         0
        .size:           4
        .value_kind:     by_value
      - .offset:         8
        .size:           16
        .value_kind:     by_value
      - .offset:         24
        .size:           16
        .value_kind:     by_value
    .group_segment_fixed_size: 0
    .kernarg_segment_align: 8
    .kernarg_segment_size: 40
    .language:       OpenCL C
    .language_version:
      - 2
      - 0
    .max_flat_workgroup_size: 256
    .name:           _ZN2at6native29vectorized_elementwise_kernelILi8EZZZNS0_12_GLOBAL__N_142_validate_compressed_sparse_indices_kernelILNS2_8CDimNameE1ENS2_18CUDAKernelLauncherENS2_14EmptyVecKernelENS2_8DummyVecELm0EEEvRKNS_6TensorESA_lllENKUlvE0_clEvENKUlvE_clEvEUliE_St5arrayIPcLm2EEEEviT0_T1_
    .private_segment_fixed_size: 0
    .sgpr_count:     24
    .sgpr_spill_count: 0
    .symbol:         _ZN2at6native29vectorized_elementwise_kernelILi8EZZZNS0_12_GLOBAL__N_142_validate_compressed_sparse_indices_kernelILNS2_8CDimNameE1ENS2_18CUDAKernelLauncherENS2_14EmptyVecKernelENS2_8DummyVecELm0EEEvRKNS_6TensorESA_lllENKUlvE0_clEvENKUlvE_clEvEUliE_St5arrayIPcLm2EEEEviT0_T1_.kd
    .uniform_work_group_size: 1
    .uses_dynamic_stack: false
    .vgpr_count:     9
    .vgpr_spill_count: 0
    .wavefront_size: 32
  - .args:
      - .offset:         0
        .size:           4
        .value_kind:     by_value
      - .offset:         8
        .size:           16
        .value_kind:     by_value
      - .offset:         24
        .size:           16
        .value_kind:     by_value
    .group_segment_fixed_size: 0
    .kernarg_segment_align: 8
    .kernarg_segment_size: 40
    .language:       OpenCL C
    .language_version:
      - 2
      - 0
    .max_flat_workgroup_size: 256
    .name:           _ZN2at6native29vectorized_elementwise_kernelILi4EZZZNS0_12_GLOBAL__N_142_validate_compressed_sparse_indices_kernelILNS2_8CDimNameE1ENS2_18CUDAKernelLauncherENS2_14EmptyVecKernelENS2_8DummyVecELm0EEEvRKNS_6TensorESA_lllENKUlvE0_clEvENKUlvE_clEvEUliE_St5arrayIPcLm2EEEEviT0_T1_
    .private_segment_fixed_size: 0
    .sgpr_count:     24
    .sgpr_spill_count: 0
    .symbol:         _ZN2at6native29vectorized_elementwise_kernelILi4EZZZNS0_12_GLOBAL__N_142_validate_compressed_sparse_indices_kernelILNS2_8CDimNameE1ENS2_18CUDAKernelLauncherENS2_14EmptyVecKernelENS2_8DummyVecELm0EEEvRKNS_6TensorESA_lllENKUlvE0_clEvENKUlvE_clEvEUliE_St5arrayIPcLm2EEEEviT0_T1_.kd
    .uniform_work_group_size: 1
    .uses_dynamic_stack: false
    .vgpr_count:     9
    .vgpr_spill_count: 0
    .wavefront_size: 32
  - .args:
      - .offset:         0
        .size:           4
        .value_kind:     by_value
      - .offset:         8
        .size:           16
        .value_kind:     by_value
      - .offset:         24
        .size:           16
        .value_kind:     by_value
    .group_segment_fixed_size: 0
    .kernarg_segment_align: 8
    .kernarg_segment_size: 40
    .language:       OpenCL C
    .language_version:
      - 2
      - 0
    .max_flat_workgroup_size: 256
    .name:           _ZN2at6native29vectorized_elementwise_kernelILi2EZZZNS0_12_GLOBAL__N_142_validate_compressed_sparse_indices_kernelILNS2_8CDimNameE1ENS2_18CUDAKernelLauncherENS2_14EmptyVecKernelENS2_8DummyVecELm0EEEvRKNS_6TensorESA_lllENKUlvE0_clEvENKUlvE_clEvEUliE_St5arrayIPcLm2EEEEviT0_T1_
    .private_segment_fixed_size: 0
    .sgpr_count:     24
    .sgpr_spill_count: 0
    .symbol:         _ZN2at6native29vectorized_elementwise_kernelILi2EZZZNS0_12_GLOBAL__N_142_validate_compressed_sparse_indices_kernelILNS2_8CDimNameE1ENS2_18CUDAKernelLauncherENS2_14EmptyVecKernelENS2_8DummyVecELm0EEEvRKNS_6TensorESA_lllENKUlvE0_clEvENKUlvE_clEvEUliE_St5arrayIPcLm2EEEEviT0_T1_.kd
    .uniform_work_group_size: 1
    .uses_dynamic_stack: false
    .vgpr_count:     9
    .vgpr_spill_count: 0
    .wavefront_size: 32
  - .args:
      - .offset:         0
        .size:           4
        .value_kind:     by_value
      - .offset:         8
        .size:           16
        .value_kind:     by_value
      - .offset:         24
        .size:           16
        .value_kind:     by_value
      - .offset:         40
        .size:           1
        .value_kind:     by_value
      - .offset:         41
        .size:           1
        .value_kind:     by_value
      - .offset:         42
        .size:           1
        .value_kind:     by_value
      - .offset:         43
        .size:           1
        .value_kind:     by_value
    .group_segment_fixed_size: 0
    .kernarg_segment_align: 8
    .kernarg_segment_size: 44
    .language:       OpenCL C
    .language_version:
      - 2
      - 0
    .max_flat_workgroup_size: 256
    .name:           _ZN2at6native27unrolled_elementwise_kernelIZZZNS0_12_GLOBAL__N_142_validate_compressed_sparse_indices_kernelILNS2_8CDimNameE1ENS2_18CUDAKernelLauncherENS2_14EmptyVecKernelENS2_8DummyVecELm0EEEvRKNS_6TensorESA_lllENKUlvE0_clEvENKUlvE_clEvEUliE_St5arrayIPcLm2EELi4E23TrivialOffsetCalculatorILi1EjESI_NS0_6memory15LoadWithoutCastENSJ_16StoreWithoutCastEEEviT_T0_T2_T3_T4_T5_
    .private_segment_fixed_size: 0
    .sgpr_count:     22
    .sgpr_spill_count: 0
    .symbol:         _ZN2at6native27unrolled_elementwise_kernelIZZZNS0_12_GLOBAL__N_142_validate_compressed_sparse_indices_kernelILNS2_8CDimNameE1ENS2_18CUDAKernelLauncherENS2_14EmptyVecKernelENS2_8DummyVecELm0EEEvRKNS_6TensorESA_lllENKUlvE0_clEvENKUlvE_clEvEUliE_St5arrayIPcLm2EELi4E23TrivialOffsetCalculatorILi1EjESI_NS0_6memory15LoadWithoutCastENSJ_16StoreWithoutCastEEEviT_T0_T2_T3_T4_T5_.kd
    .uniform_work_group_size: 1
    .uses_dynamic_stack: false
    .vgpr_count:     7
    .vgpr_spill_count: 0
    .wavefront_size: 32
  - .args:
      - .offset:         0
        .size:           4
        .value_kind:     by_value
      - .offset:         8
        .size:           360
        .value_kind:     by_value
    .group_segment_fixed_size: 0
    .kernarg_segment_align: 8
    .kernarg_segment_size: 368
    .language:       OpenCL C
    .language_version:
      - 2
      - 0
    .max_flat_workgroup_size: 128
    .name:           _ZN2at6native32elementwise_kernel_manual_unrollILi128ELi4EZNS0_22gpu_kernel_impl_nocastIZZZNS0_12_GLOBAL__N_142_validate_compressed_sparse_indices_kernelILNS3_8CDimNameE1ENS3_18CUDAKernelLauncherENS3_14EmptyVecKernelENS3_8DummyVecELm0EEEvRKNS_6TensorESB_lllENKUlvE0_clEvENKUlvE_clEvEUliE_EEvRNS_18TensorIteratorBaseERKT_EUlibE_EEviT1_
    .private_segment_fixed_size: 0
    .sgpr_count:     70
    .sgpr_spill_count: 0
    .symbol:         _ZN2at6native32elementwise_kernel_manual_unrollILi128ELi4EZNS0_22gpu_kernel_impl_nocastIZZZNS0_12_GLOBAL__N_142_validate_compressed_sparse_indices_kernelILNS3_8CDimNameE1ENS3_18CUDAKernelLauncherENS3_14EmptyVecKernelENS3_8DummyVecELm0EEEvRKNS_6TensorESB_lllENKUlvE0_clEvENKUlvE_clEvEUliE_EEvRNS_18TensorIteratorBaseERKT_EUlibE_EEviT1_.kd
    .uniform_work_group_size: 1
    .uses_dynamic_stack: false
    .vgpr_count:     15
    .vgpr_spill_count: 0
    .wavefront_size: 32
  - .args:
      - .offset:         0
        .size:           4
        .value_kind:     by_value
      - .offset:         8
        .size:           48
        .value_kind:     by_value
    .group_segment_fixed_size: 0
    .kernarg_segment_align: 8
    .kernarg_segment_size: 56
    .language:       OpenCL C
    .language_version:
      - 2
      - 0
    .max_flat_workgroup_size: 128
    .name:           _ZN2at6native32elementwise_kernel_manual_unrollILi128ELi4EZNS0_15gpu_kernel_implIZZZNS0_12_GLOBAL__N_142_validate_compressed_sparse_indices_kernelILNS3_8CDimNameE1ENS3_18CUDAKernelLauncherENS3_14EmptyVecKernelENS3_8DummyVecELm0EEEvRKNS_6TensorESB_lllENKUlvE0_clEvENKUlvE_clEvEUliE_EEvRNS_18TensorIteratorBaseERKT_EUlibE_EEviT1_
    .private_segment_fixed_size: 0
    .sgpr_count:     34
    .sgpr_spill_count: 0
    .symbol:         _ZN2at6native32elementwise_kernel_manual_unrollILi128ELi4EZNS0_15gpu_kernel_implIZZZNS0_12_GLOBAL__N_142_validate_compressed_sparse_indices_kernelILNS3_8CDimNameE1ENS3_18CUDAKernelLauncherENS3_14EmptyVecKernelENS3_8DummyVecELm0EEEvRKNS_6TensorESB_lllENKUlvE0_clEvENKUlvE_clEvEUliE_EEvRNS_18TensorIteratorBaseERKT_EUlibE_EEviT1_.kd
    .uniform_work_group_size: 1
    .uses_dynamic_stack: false
    .vgpr_count:     10
    .vgpr_spill_count: 0
    .wavefront_size: 32
  - .args:
      - .offset:         0
        .size:           4
        .value_kind:     by_value
      - .offset:         8
        .size:           368
        .value_kind:     by_value
    .group_segment_fixed_size: 0
    .kernarg_segment_align: 8
    .kernarg_segment_size: 376
    .language:       OpenCL C
    .language_version:
      - 2
      - 0
    .max_flat_workgroup_size: 128
    .name:           _ZN2at6native32elementwise_kernel_manual_unrollILi128ELi4EZNS0_15gpu_kernel_implIZZZNS0_12_GLOBAL__N_142_validate_compressed_sparse_indices_kernelILNS3_8CDimNameE1ENS3_18CUDAKernelLauncherENS3_14EmptyVecKernelENS3_8DummyVecELm0EEEvRKNS_6TensorESB_lllENKUlvE0_clEvENKUlvE_clEvEUliE_EEvRNS_18TensorIteratorBaseERKT_EUlibE0_EEviT1_
    .private_segment_fixed_size: 0
    .sgpr_count:     74
    .sgpr_spill_count: 0
    .symbol:         _ZN2at6native32elementwise_kernel_manual_unrollILi128ELi4EZNS0_15gpu_kernel_implIZZZNS0_12_GLOBAL__N_142_validate_compressed_sparse_indices_kernelILNS3_8CDimNameE1ENS3_18CUDAKernelLauncherENS3_14EmptyVecKernelENS3_8DummyVecELm0EEEvRKNS_6TensorESB_lllENKUlvE0_clEvENKUlvE_clEvEUliE_EEvRNS_18TensorIteratorBaseERKT_EUlibE0_EEviT1_.kd
    .uniform_work_group_size: 1
    .uses_dynamic_stack: false
    .vgpr_count:     18
    .vgpr_spill_count: 0
    .wavefront_size: 32
  - .args:
      - .offset:         0
        .size:           4
        .value_kind:     by_value
      - .offset:         8
        .size:           16
        .value_kind:     by_value
      - .offset:         24
        .size:           16
        .value_kind:     by_value
    .group_segment_fixed_size: 0
    .kernarg_segment_align: 8
    .kernarg_segment_size: 40
    .language:       OpenCL C
    .language_version:
      - 2
      - 0
    .max_flat_workgroup_size: 256
    .name:           _ZN2at6native29vectorized_elementwise_kernelILi16EZZZNS0_12_GLOBAL__N_142_validate_compressed_sparse_indices_kernelILNS2_8CDimNameE1ENS2_18CUDAKernelLauncherENS2_14EmptyVecKernelENS2_8DummyVecELm0EEEvRKNS_6TensorESA_lllENKUlvE0_clEvENKUlvE0_clEvEUllE_St5arrayIPcLm2EEEEviT0_T1_
    .private_segment_fixed_size: 0
    .sgpr_count:     30
    .sgpr_spill_count: 0
    .symbol:         _ZN2at6native29vectorized_elementwise_kernelILi16EZZZNS0_12_GLOBAL__N_142_validate_compressed_sparse_indices_kernelILNS2_8CDimNameE1ENS2_18CUDAKernelLauncherENS2_14EmptyVecKernelENS2_8DummyVecELm0EEEvRKNS_6TensorESA_lllENKUlvE0_clEvENKUlvE0_clEvEUllE_St5arrayIPcLm2EEEEviT0_T1_.kd
    .uniform_work_group_size: 1
    .uses_dynamic_stack: false
    .vgpr_count:     12
    .vgpr_spill_count: 0
    .wavefront_size: 32
  - .args:
      - .offset:         0
        .size:           4
        .value_kind:     by_value
      - .offset:         8
        .size:           16
        .value_kind:     by_value
      - .offset:         24
        .size:           16
        .value_kind:     by_value
    .group_segment_fixed_size: 0
    .kernarg_segment_align: 8
    .kernarg_segment_size: 40
    .language:       OpenCL C
    .language_version:
      - 2
      - 0
    .max_flat_workgroup_size: 256
    .name:           _ZN2at6native29vectorized_elementwise_kernelILi8EZZZNS0_12_GLOBAL__N_142_validate_compressed_sparse_indices_kernelILNS2_8CDimNameE1ENS2_18CUDAKernelLauncherENS2_14EmptyVecKernelENS2_8DummyVecELm0EEEvRKNS_6TensorESA_lllENKUlvE0_clEvENKUlvE0_clEvEUllE_St5arrayIPcLm2EEEEviT0_T1_
    .private_segment_fixed_size: 0
    .sgpr_count:     30
    .sgpr_spill_count: 0
    .symbol:         _ZN2at6native29vectorized_elementwise_kernelILi8EZZZNS0_12_GLOBAL__N_142_validate_compressed_sparse_indices_kernelILNS2_8CDimNameE1ENS2_18CUDAKernelLauncherENS2_14EmptyVecKernelENS2_8DummyVecELm0EEEvRKNS_6TensorESA_lllENKUlvE0_clEvENKUlvE0_clEvEUllE_St5arrayIPcLm2EEEEviT0_T1_.kd
    .uniform_work_group_size: 1
    .uses_dynamic_stack: false
    .vgpr_count:     12
    .vgpr_spill_count: 0
    .wavefront_size: 32
  - .args:
      - .offset:         0
        .size:           4
        .value_kind:     by_value
      - .offset:         8
        .size:           16
        .value_kind:     by_value
      - .offset:         24
        .size:           16
        .value_kind:     by_value
    .group_segment_fixed_size: 0
    .kernarg_segment_align: 8
    .kernarg_segment_size: 40
    .language:       OpenCL C
    .language_version:
      - 2
      - 0
    .max_flat_workgroup_size: 256
    .name:           _ZN2at6native29vectorized_elementwise_kernelILi4EZZZNS0_12_GLOBAL__N_142_validate_compressed_sparse_indices_kernelILNS2_8CDimNameE1ENS2_18CUDAKernelLauncherENS2_14EmptyVecKernelENS2_8DummyVecELm0EEEvRKNS_6TensorESA_lllENKUlvE0_clEvENKUlvE0_clEvEUllE_St5arrayIPcLm2EEEEviT0_T1_
    .private_segment_fixed_size: 0
    .sgpr_count:     30
    .sgpr_spill_count: 0
    .symbol:         _ZN2at6native29vectorized_elementwise_kernelILi4EZZZNS0_12_GLOBAL__N_142_validate_compressed_sparse_indices_kernelILNS2_8CDimNameE1ENS2_18CUDAKernelLauncherENS2_14EmptyVecKernelENS2_8DummyVecELm0EEEvRKNS_6TensorESA_lllENKUlvE0_clEvENKUlvE0_clEvEUllE_St5arrayIPcLm2EEEEviT0_T1_.kd
    .uniform_work_group_size: 1
    .uses_dynamic_stack: false
    .vgpr_count:     12
    .vgpr_spill_count: 0
    .wavefront_size: 32
  - .args:
      - .offset:         0
        .size:           4
        .value_kind:     by_value
      - .offset:         8
        .size:           16
        .value_kind:     by_value
      - .offset:         24
        .size:           16
        .value_kind:     by_value
    .group_segment_fixed_size: 0
    .kernarg_segment_align: 8
    .kernarg_segment_size: 40
    .language:       OpenCL C
    .language_version:
      - 2
      - 0
    .max_flat_workgroup_size: 256
    .name:           _ZN2at6native29vectorized_elementwise_kernelILi2EZZZNS0_12_GLOBAL__N_142_validate_compressed_sparse_indices_kernelILNS2_8CDimNameE1ENS2_18CUDAKernelLauncherENS2_14EmptyVecKernelENS2_8DummyVecELm0EEEvRKNS_6TensorESA_lllENKUlvE0_clEvENKUlvE0_clEvEUllE_St5arrayIPcLm2EEEEviT0_T1_
    .private_segment_fixed_size: 0
    .sgpr_count:     30
    .sgpr_spill_count: 0
    .symbol:         _ZN2at6native29vectorized_elementwise_kernelILi2EZZZNS0_12_GLOBAL__N_142_validate_compressed_sparse_indices_kernelILNS2_8CDimNameE1ENS2_18CUDAKernelLauncherENS2_14EmptyVecKernelENS2_8DummyVecELm0EEEvRKNS_6TensorESA_lllENKUlvE0_clEvENKUlvE0_clEvEUllE_St5arrayIPcLm2EEEEviT0_T1_.kd
    .uniform_work_group_size: 1
    .uses_dynamic_stack: false
    .vgpr_count:     11
    .vgpr_spill_count: 0
    .wavefront_size: 32
  - .args:
      - .offset:         0
        .size:           4
        .value_kind:     by_value
      - .offset:         8
        .size:           16
        .value_kind:     by_value
      - .offset:         24
        .size:           16
        .value_kind:     by_value
      - .offset:         40
        .size:           1
        .value_kind:     by_value
      - .offset:         41
        .size:           1
        .value_kind:     by_value
      - .offset:         42
        .size:           1
        .value_kind:     by_value
      - .offset:         43
        .size:           1
        .value_kind:     by_value
    .group_segment_fixed_size: 0
    .kernarg_segment_align: 8
    .kernarg_segment_size: 44
    .language:       OpenCL C
    .language_version:
      - 2
      - 0
    .max_flat_workgroup_size: 256
    .name:           _ZN2at6native27unrolled_elementwise_kernelIZZZNS0_12_GLOBAL__N_142_validate_compressed_sparse_indices_kernelILNS2_8CDimNameE1ENS2_18CUDAKernelLauncherENS2_14EmptyVecKernelENS2_8DummyVecELm0EEEvRKNS_6TensorESA_lllENKUlvE0_clEvENKUlvE0_clEvEUllE_St5arrayIPcLm2EELi4E23TrivialOffsetCalculatorILi1EjESI_NS0_6memory15LoadWithoutCastENSJ_16StoreWithoutCastEEEviT_T0_T2_T3_T4_T5_
    .private_segment_fixed_size: 0
    .sgpr_count:     21
    .sgpr_spill_count: 0
    .symbol:         _ZN2at6native27unrolled_elementwise_kernelIZZZNS0_12_GLOBAL__N_142_validate_compressed_sparse_indices_kernelILNS2_8CDimNameE1ENS2_18CUDAKernelLauncherENS2_14EmptyVecKernelENS2_8DummyVecELm0EEEvRKNS_6TensorESA_lllENKUlvE0_clEvENKUlvE0_clEvEUllE_St5arrayIPcLm2EELi4E23TrivialOffsetCalculatorILi1EjESI_NS0_6memory15LoadWithoutCastENSJ_16StoreWithoutCastEEEviT_T0_T2_T3_T4_T5_.kd
    .uniform_work_group_size: 1
    .uses_dynamic_stack: false
    .vgpr_count:     11
    .vgpr_spill_count: 0
    .wavefront_size: 32
  - .args:
      - .offset:         0
        .size:           4
        .value_kind:     by_value
      - .offset:         8
        .size:           360
        .value_kind:     by_value
    .group_segment_fixed_size: 0
    .kernarg_segment_align: 8
    .kernarg_segment_size: 368
    .language:       OpenCL C
    .language_version:
      - 2
      - 0
    .max_flat_workgroup_size: 128
    .name:           _ZN2at6native32elementwise_kernel_manual_unrollILi128ELi4EZNS0_22gpu_kernel_impl_nocastIZZZNS0_12_GLOBAL__N_142_validate_compressed_sparse_indices_kernelILNS3_8CDimNameE1ENS3_18CUDAKernelLauncherENS3_14EmptyVecKernelENS3_8DummyVecELm0EEEvRKNS_6TensorESB_lllENKUlvE0_clEvENKUlvE0_clEvEUllE_EEvRNS_18TensorIteratorBaseERKT_EUlibE_EEviT1_
    .private_segment_fixed_size: 0
    .sgpr_count:     74
    .sgpr_spill_count: 0
    .symbol:         _ZN2at6native32elementwise_kernel_manual_unrollILi128ELi4EZNS0_22gpu_kernel_impl_nocastIZZZNS0_12_GLOBAL__N_142_validate_compressed_sparse_indices_kernelILNS3_8CDimNameE1ENS3_18CUDAKernelLauncherENS3_14EmptyVecKernelENS3_8DummyVecELm0EEEvRKNS_6TensorESB_lllENKUlvE0_clEvENKUlvE0_clEvEUllE_EEvRNS_18TensorIteratorBaseERKT_EUlibE_EEviT1_.kd
    .uniform_work_group_size: 1
    .uses_dynamic_stack: false
    .vgpr_count:     15
    .vgpr_spill_count: 0
    .wavefront_size: 32
  - .args:
      - .offset:         0
        .size:           4
        .value_kind:     by_value
      - .offset:         8
        .size:           48
        .value_kind:     by_value
    .group_segment_fixed_size: 0
    .kernarg_segment_align: 8
    .kernarg_segment_size: 56
    .language:       OpenCL C
    .language_version:
      - 2
      - 0
    .max_flat_workgroup_size: 128
    .name:           _ZN2at6native32elementwise_kernel_manual_unrollILi128ELi4EZNS0_15gpu_kernel_implIZZZNS0_12_GLOBAL__N_142_validate_compressed_sparse_indices_kernelILNS3_8CDimNameE1ENS3_18CUDAKernelLauncherENS3_14EmptyVecKernelENS3_8DummyVecELm0EEEvRKNS_6TensorESB_lllENKUlvE0_clEvENKUlvE0_clEvEUllE_EEvRNS_18TensorIteratorBaseERKT_EUlibE_EEviT1_
    .private_segment_fixed_size: 0
    .sgpr_count:     37
    .sgpr_spill_count: 0
    .symbol:         _ZN2at6native32elementwise_kernel_manual_unrollILi128ELi4EZNS0_15gpu_kernel_implIZZZNS0_12_GLOBAL__N_142_validate_compressed_sparse_indices_kernelILNS3_8CDimNameE1ENS3_18CUDAKernelLauncherENS3_14EmptyVecKernelENS3_8DummyVecELm0EEEvRKNS_6TensorESB_lllENKUlvE0_clEvENKUlvE0_clEvEUllE_EEvRNS_18TensorIteratorBaseERKT_EUlibE_EEviT1_.kd
    .uniform_work_group_size: 1
    .uses_dynamic_stack: false
    .vgpr_count:     12
    .vgpr_spill_count: 0
    .wavefront_size: 32
  - .args:
      - .offset:         0
        .size:           4
        .value_kind:     by_value
      - .offset:         8
        .size:           368
        .value_kind:     by_value
    .group_segment_fixed_size: 0
    .kernarg_segment_align: 8
    .kernarg_segment_size: 376
    .language:       OpenCL C
    .language_version:
      - 2
      - 0
    .max_flat_workgroup_size: 128
    .name:           _ZN2at6native32elementwise_kernel_manual_unrollILi128ELi4EZNS0_15gpu_kernel_implIZZZNS0_12_GLOBAL__N_142_validate_compressed_sparse_indices_kernelILNS3_8CDimNameE1ENS3_18CUDAKernelLauncherENS3_14EmptyVecKernelENS3_8DummyVecELm0EEEvRKNS_6TensorESB_lllENKUlvE0_clEvENKUlvE0_clEvEUllE_EEvRNS_18TensorIteratorBaseERKT_EUlibE0_EEviT1_
    .private_segment_fixed_size: 0
    .sgpr_count:     78
    .sgpr_spill_count: 0
    .symbol:         _ZN2at6native32elementwise_kernel_manual_unrollILi128ELi4EZNS0_15gpu_kernel_implIZZZNS0_12_GLOBAL__N_142_validate_compressed_sparse_indices_kernelILNS3_8CDimNameE1ENS3_18CUDAKernelLauncherENS3_14EmptyVecKernelENS3_8DummyVecELm0EEEvRKNS_6TensorESB_lllENKUlvE0_clEvENKUlvE0_clEvEUllE_EEvRNS_18TensorIteratorBaseERKT_EUlibE0_EEviT1_.kd
    .uniform_work_group_size: 1
    .uses_dynamic_stack: false
    .vgpr_count:     22
    .vgpr_spill_count: 0
    .wavefront_size: 32
  - .args:
      - .offset:         0
        .size:           4
        .value_kind:     by_value
      - .offset:         8
        .size:           56
        .value_kind:     by_value
      - .offset:         64
        .size:           48
        .value_kind:     by_value
    .group_segment_fixed_size: 0
    .kernarg_segment_align: 8
    .kernarg_segment_size: 112
    .language:       OpenCL C
    .language_version:
      - 2
      - 0
    .max_flat_workgroup_size: 256
    .name:           _ZN2at6native29vectorized_elementwise_kernelILi16EZZZNS0_12_GLOBAL__N_142_validate_compressed_sparse_indices_kernelILNS2_8CDimNameE1ENS2_18CUDAKernelLauncherENS2_14EmptyVecKernelENS2_8DummyVecELm0EEEvRKNS_6TensorESA_lllENKUlvE1_clEvENKUlvE_clEvEUliiiiiE_St5arrayIPcLm6EEEEviT0_T1_
    .private_segment_fixed_size: 0
    .sgpr_count:     76
    .sgpr_spill_count: 0
    .symbol:         _ZN2at6native29vectorized_elementwise_kernelILi16EZZZNS0_12_GLOBAL__N_142_validate_compressed_sparse_indices_kernelILNS2_8CDimNameE1ENS2_18CUDAKernelLauncherENS2_14EmptyVecKernelENS2_8DummyVecELm0EEEvRKNS_6TensorESA_lllENKUlvE1_clEvENKUlvE_clEvEUliiiiiE_St5arrayIPcLm6EEEEviT0_T1_.kd
    .uniform_work_group_size: 1
    .uses_dynamic_stack: false
    .vgpr_count:     44
    .vgpr_spill_count: 0
    .wavefront_size: 32
  - .args:
      - .offset:         0
        .size:           4
        .value_kind:     by_value
      - .offset:         8
        .size:           56
        .value_kind:     by_value
      - .offset:         64
        .size:           48
        .value_kind:     by_value
    .group_segment_fixed_size: 0
    .kernarg_segment_align: 8
    .kernarg_segment_size: 112
    .language:       OpenCL C
    .language_version:
      - 2
      - 0
    .max_flat_workgroup_size: 256
    .name:           _ZN2at6native29vectorized_elementwise_kernelILi8EZZZNS0_12_GLOBAL__N_142_validate_compressed_sparse_indices_kernelILNS2_8CDimNameE1ENS2_18CUDAKernelLauncherENS2_14EmptyVecKernelENS2_8DummyVecELm0EEEvRKNS_6TensorESA_lllENKUlvE1_clEvENKUlvE_clEvEUliiiiiE_St5arrayIPcLm6EEEEviT0_T1_
    .private_segment_fixed_size: 0
    .sgpr_count:     76
    .sgpr_spill_count: 0
    .symbol:         _ZN2at6native29vectorized_elementwise_kernelILi8EZZZNS0_12_GLOBAL__N_142_validate_compressed_sparse_indices_kernelILNS2_8CDimNameE1ENS2_18CUDAKernelLauncherENS2_14EmptyVecKernelENS2_8DummyVecELm0EEEvRKNS_6TensorESA_lllENKUlvE1_clEvENKUlvE_clEvEUliiiiiE_St5arrayIPcLm6EEEEviT0_T1_.kd
    .uniform_work_group_size: 1
    .uses_dynamic_stack: false
    .vgpr_count:     44
    .vgpr_spill_count: 0
    .wavefront_size: 32
  - .args:
      - .offset:         0
        .size:           4
        .value_kind:     by_value
      - .offset:         8
        .size:           56
        .value_kind:     by_value
      - .offset:         64
        .size:           48
        .value_kind:     by_value
    .group_segment_fixed_size: 0
    .kernarg_segment_align: 8
    .kernarg_segment_size: 112
    .language:       OpenCL C
    .language_version:
      - 2
      - 0
    .max_flat_workgroup_size: 256
    .name:           _ZN2at6native29vectorized_elementwise_kernelILi4EZZZNS0_12_GLOBAL__N_142_validate_compressed_sparse_indices_kernelILNS2_8CDimNameE1ENS2_18CUDAKernelLauncherENS2_14EmptyVecKernelENS2_8DummyVecELm0EEEvRKNS_6TensorESA_lllENKUlvE1_clEvENKUlvE_clEvEUliiiiiE_St5arrayIPcLm6EEEEviT0_T1_
    .private_segment_fixed_size: 0
    .sgpr_count:     76
    .sgpr_spill_count: 0
    .symbol:         _ZN2at6native29vectorized_elementwise_kernelILi4EZZZNS0_12_GLOBAL__N_142_validate_compressed_sparse_indices_kernelILNS2_8CDimNameE1ENS2_18CUDAKernelLauncherENS2_14EmptyVecKernelENS2_8DummyVecELm0EEEvRKNS_6TensorESA_lllENKUlvE1_clEvENKUlvE_clEvEUliiiiiE_St5arrayIPcLm6EEEEviT0_T1_.kd
    .uniform_work_group_size: 1
    .uses_dynamic_stack: false
    .vgpr_count:     44
    .vgpr_spill_count: 0
    .wavefront_size: 32
  - .args:
      - .offset:         0
        .size:           4
        .value_kind:     by_value
      - .offset:         8
        .size:           56
        .value_kind:     by_value
      - .offset:         64
        .size:           48
        .value_kind:     by_value
    .group_segment_fixed_size: 0
    .kernarg_segment_align: 8
    .kernarg_segment_size: 112
    .language:       OpenCL C
    .language_version:
      - 2
      - 0
    .max_flat_workgroup_size: 256
    .name:           _ZN2at6native29vectorized_elementwise_kernelILi2EZZZNS0_12_GLOBAL__N_142_validate_compressed_sparse_indices_kernelILNS2_8CDimNameE1ENS2_18CUDAKernelLauncherENS2_14EmptyVecKernelENS2_8DummyVecELm0EEEvRKNS_6TensorESA_lllENKUlvE1_clEvENKUlvE_clEvEUliiiiiE_St5arrayIPcLm6EEEEviT0_T1_
    .private_segment_fixed_size: 0
    .sgpr_count:     76
    .sgpr_spill_count: 0
    .symbol:         _ZN2at6native29vectorized_elementwise_kernelILi2EZZZNS0_12_GLOBAL__N_142_validate_compressed_sparse_indices_kernelILNS2_8CDimNameE1ENS2_18CUDAKernelLauncherENS2_14EmptyVecKernelENS2_8DummyVecELm0EEEvRKNS_6TensorESA_lllENKUlvE1_clEvENKUlvE_clEvEUliiiiiE_St5arrayIPcLm6EEEEviT0_T1_.kd
    .uniform_work_group_size: 1
    .uses_dynamic_stack: false
    .vgpr_count:     44
    .vgpr_spill_count: 0
    .wavefront_size: 32
  - .args:
      - .offset:         0
        .size:           4
        .value_kind:     by_value
      - .offset:         8
        .size:           56
        .value_kind:     by_value
      - .offset:         64
        .size:           48
        .value_kind:     by_value
      - .offset:         112
        .size:           1
        .value_kind:     by_value
      - .offset:         113
        .size:           1
        .value_kind:     by_value
      - .offset:         114
        .size:           1
        .value_kind:     by_value
      - .offset:         115
        .size:           1
        .value_kind:     by_value
    .group_segment_fixed_size: 0
    .kernarg_segment_align: 8
    .kernarg_segment_size: 116
    .language:       OpenCL C
    .language_version:
      - 2
      - 0
    .max_flat_workgroup_size: 256
    .name:           _ZN2at6native27unrolled_elementwise_kernelIZZZNS0_12_GLOBAL__N_142_validate_compressed_sparse_indices_kernelILNS2_8CDimNameE1ENS2_18CUDAKernelLauncherENS2_14EmptyVecKernelENS2_8DummyVecELm0EEEvRKNS_6TensorESA_lllENKUlvE1_clEvENKUlvE_clEvEUliiiiiE_St5arrayIPcLm6EELi4E23TrivialOffsetCalculatorILi5EjESH_ILi1EjENS0_6memory15LoadWithoutCastENSK_16StoreWithoutCastEEEviT_T0_T2_T3_T4_T5_
    .private_segment_fixed_size: 0
    .sgpr_count:     69
    .sgpr_spill_count: 0
    .symbol:         _ZN2at6native27unrolled_elementwise_kernelIZZZNS0_12_GLOBAL__N_142_validate_compressed_sparse_indices_kernelILNS2_8CDimNameE1ENS2_18CUDAKernelLauncherENS2_14EmptyVecKernelENS2_8DummyVecELm0EEEvRKNS_6TensorESA_lllENKUlvE1_clEvENKUlvE_clEvEUliiiiiE_St5arrayIPcLm6EELi4E23TrivialOffsetCalculatorILi5EjESH_ILi1EjENS0_6memory15LoadWithoutCastENSK_16StoreWithoutCastEEEviT_T0_T2_T3_T4_T5_.kd
    .uniform_work_group_size: 1
    .uses_dynamic_stack: false
    .vgpr_count:     44
    .vgpr_spill_count: 0
    .wavefront_size: 32
  - .args:
      - .offset:         0
        .size:           4
        .value_kind:     by_value
      - .offset:         8
        .size:           688
        .value_kind:     by_value
    .group_segment_fixed_size: 0
    .kernarg_segment_align: 8
    .kernarg_segment_size: 696
    .language:       OpenCL C
    .language_version:
      - 2
      - 0
    .max_flat_workgroup_size: 128
    .name:           _ZN2at6native32elementwise_kernel_manual_unrollILi128ELi4EZNS0_22gpu_kernel_impl_nocastIZZZNS0_12_GLOBAL__N_142_validate_compressed_sparse_indices_kernelILNS3_8CDimNameE1ENS3_18CUDAKernelLauncherENS3_14EmptyVecKernelENS3_8DummyVecELm0EEEvRKNS_6TensorESB_lllENKUlvE1_clEvENKUlvE_clEvEUliiiiiE_EEvRNS_18TensorIteratorBaseERKT_EUlibE_EEviT1_
    .private_segment_fixed_size: 0
    .sgpr_count:     106
    .sgpr_spill_count: 0
    .symbol:         _ZN2at6native32elementwise_kernel_manual_unrollILi128ELi4EZNS0_22gpu_kernel_impl_nocastIZZZNS0_12_GLOBAL__N_142_validate_compressed_sparse_indices_kernelILNS3_8CDimNameE1ENS3_18CUDAKernelLauncherENS3_14EmptyVecKernelENS3_8DummyVecELm0EEEvRKNS_6TensorESB_lllENKUlvE1_clEvENKUlvE_clEvEUliiiiiE_EEvRNS_18TensorIteratorBaseERKT_EUlibE_EEviT1_.kd
    .uniform_work_group_size: 1
    .uses_dynamic_stack: false
    .vgpr_count:     46
    .vgpr_spill_count: 0
    .wavefront_size: 32
  - .args:
      - .offset:         0
        .size:           4
        .value_kind:     by_value
      - .offset:         8
        .size:           136
        .value_kind:     by_value
    .group_segment_fixed_size: 0
    .kernarg_segment_align: 8
    .kernarg_segment_size: 144
    .language:       OpenCL C
    .language_version:
      - 2
      - 0
    .max_flat_workgroup_size: 128
    .name:           _ZN2at6native32elementwise_kernel_manual_unrollILi128ELi4EZNS0_15gpu_kernel_implIZZZNS0_12_GLOBAL__N_142_validate_compressed_sparse_indices_kernelILNS3_8CDimNameE1ENS3_18CUDAKernelLauncherENS3_14EmptyVecKernelENS3_8DummyVecELm0EEEvRKNS_6TensorESB_lllENKUlvE1_clEvENKUlvE_clEvEUliiiiiE_EEvRNS_18TensorIteratorBaseERKT_EUlibE_EEviT1_
    .private_segment_fixed_size: 0
    .sgpr_count:     104
    .sgpr_spill_count: 0
    .symbol:         _ZN2at6native32elementwise_kernel_manual_unrollILi128ELi4EZNS0_15gpu_kernel_implIZZZNS0_12_GLOBAL__N_142_validate_compressed_sparse_indices_kernelILNS3_8CDimNameE1ENS3_18CUDAKernelLauncherENS3_14EmptyVecKernelENS3_8DummyVecELm0EEEvRKNS_6TensorESB_lllENKUlvE1_clEvENKUlvE_clEvEUliiiiiE_EEvRNS_18TensorIteratorBaseERKT_EUlibE_EEviT1_.kd
    .uniform_work_group_size: 1
    .uses_dynamic_stack: false
    .vgpr_count:     36
    .vgpr_spill_count: 0
    .wavefront_size: 32
  - .args:
      - .offset:         0
        .size:           4
        .value_kind:     by_value
      - .offset:         8
        .size:           696
        .value_kind:     by_value
    .group_segment_fixed_size: 0
    .kernarg_segment_align: 8
    .kernarg_segment_size: 704
    .language:       OpenCL C
    .language_version:
      - 2
      - 0
    .max_flat_workgroup_size: 128
    .name:           _ZN2at6native32elementwise_kernel_manual_unrollILi128ELi4EZNS0_15gpu_kernel_implIZZZNS0_12_GLOBAL__N_142_validate_compressed_sparse_indices_kernelILNS3_8CDimNameE1ENS3_18CUDAKernelLauncherENS3_14EmptyVecKernelENS3_8DummyVecELm0EEEvRKNS_6TensorESB_lllENKUlvE1_clEvENKUlvE_clEvEUliiiiiE_EEvRNS_18TensorIteratorBaseERKT_EUlibE0_EEviT1_
    .private_segment_fixed_size: 0
    .sgpr_count:     107
    .sgpr_spill_count: 0
    .symbol:         _ZN2at6native32elementwise_kernel_manual_unrollILi128ELi4EZNS0_15gpu_kernel_implIZZZNS0_12_GLOBAL__N_142_validate_compressed_sparse_indices_kernelILNS3_8CDimNameE1ENS3_18CUDAKernelLauncherENS3_14EmptyVecKernelENS3_8DummyVecELm0EEEvRKNS_6TensorESB_lllENKUlvE1_clEvENKUlvE_clEvEUliiiiiE_EEvRNS_18TensorIteratorBaseERKT_EUlibE0_EEviT1_.kd
    .uniform_work_group_size: 1
    .uses_dynamic_stack: false
    .vgpr_count:     62
    .vgpr_spill_count: 0
    .wavefront_size: 32
  - .args:
      - .offset:         0
        .size:           4
        .value_kind:     by_value
      - .offset:         8
        .size:           56
        .value_kind:     by_value
      - .offset:         64
        .size:           48
        .value_kind:     by_value
    .group_segment_fixed_size: 0
    .kernarg_segment_align: 8
    .kernarg_segment_size: 112
    .language:       OpenCL C
    .language_version:
      - 2
      - 0
    .max_flat_workgroup_size: 256
    .name:           _ZN2at6native29vectorized_elementwise_kernelILi16EZZZNS0_12_GLOBAL__N_142_validate_compressed_sparse_indices_kernelILNS2_8CDimNameE1ENS2_18CUDAKernelLauncherENS2_14EmptyVecKernelENS2_8DummyVecELm0EEEvRKNS_6TensorESA_lllENKUlvE1_clEvENKUlvE0_clEvEUllllllE_St5arrayIPcLm6EEEEviT0_T1_
    .private_segment_fixed_size: 0
    .sgpr_count:     78
    .sgpr_spill_count: 0
    .symbol:         _ZN2at6native29vectorized_elementwise_kernelILi16EZZZNS0_12_GLOBAL__N_142_validate_compressed_sparse_indices_kernelILNS2_8CDimNameE1ENS2_18CUDAKernelLauncherENS2_14EmptyVecKernelENS2_8DummyVecELm0EEEvRKNS_6TensorESA_lllENKUlvE1_clEvENKUlvE0_clEvEUllllllE_St5arrayIPcLm6EEEEviT0_T1_.kd
    .uniform_work_group_size: 1
    .uses_dynamic_stack: false
    .vgpr_count:     58
    .vgpr_spill_count: 0
    .wavefront_size: 32
  - .args:
      - .offset:         0
        .size:           4
        .value_kind:     by_value
      - .offset:         8
        .size:           56
        .value_kind:     by_value
      - .offset:         64
        .size:           48
        .value_kind:     by_value
    .group_segment_fixed_size: 0
    .kernarg_segment_align: 8
    .kernarg_segment_size: 112
    .language:       OpenCL C
    .language_version:
      - 2
      - 0
    .max_flat_workgroup_size: 256
    .name:           _ZN2at6native29vectorized_elementwise_kernelILi8EZZZNS0_12_GLOBAL__N_142_validate_compressed_sparse_indices_kernelILNS2_8CDimNameE1ENS2_18CUDAKernelLauncherENS2_14EmptyVecKernelENS2_8DummyVecELm0EEEvRKNS_6TensorESA_lllENKUlvE1_clEvENKUlvE0_clEvEUllllllE_St5arrayIPcLm6EEEEviT0_T1_
    .private_segment_fixed_size: 0
    .sgpr_count:     78
    .sgpr_spill_count: 0
    .symbol:         _ZN2at6native29vectorized_elementwise_kernelILi8EZZZNS0_12_GLOBAL__N_142_validate_compressed_sparse_indices_kernelILNS2_8CDimNameE1ENS2_18CUDAKernelLauncherENS2_14EmptyVecKernelENS2_8DummyVecELm0EEEvRKNS_6TensorESA_lllENKUlvE1_clEvENKUlvE0_clEvEUllllllE_St5arrayIPcLm6EEEEviT0_T1_.kd
    .uniform_work_group_size: 1
    .uses_dynamic_stack: false
    .vgpr_count:     58
    .vgpr_spill_count: 0
    .wavefront_size: 32
  - .args:
      - .offset:         0
        .size:           4
        .value_kind:     by_value
      - .offset:         8
        .size:           56
        .value_kind:     by_value
      - .offset:         64
        .size:           48
        .value_kind:     by_value
    .group_segment_fixed_size: 0
    .kernarg_segment_align: 8
    .kernarg_segment_size: 112
    .language:       OpenCL C
    .language_version:
      - 2
      - 0
    .max_flat_workgroup_size: 256
    .name:           _ZN2at6native29vectorized_elementwise_kernelILi4EZZZNS0_12_GLOBAL__N_142_validate_compressed_sparse_indices_kernelILNS2_8CDimNameE1ENS2_18CUDAKernelLauncherENS2_14EmptyVecKernelENS2_8DummyVecELm0EEEvRKNS_6TensorESA_lllENKUlvE1_clEvENKUlvE0_clEvEUllllllE_St5arrayIPcLm6EEEEviT0_T1_
    .private_segment_fixed_size: 0
    .sgpr_count:     78
    .sgpr_spill_count: 0
    .symbol:         _ZN2at6native29vectorized_elementwise_kernelILi4EZZZNS0_12_GLOBAL__N_142_validate_compressed_sparse_indices_kernelILNS2_8CDimNameE1ENS2_18CUDAKernelLauncherENS2_14EmptyVecKernelENS2_8DummyVecELm0EEEvRKNS_6TensorESA_lllENKUlvE1_clEvENKUlvE0_clEvEUllllllE_St5arrayIPcLm6EEEEviT0_T1_.kd
    .uniform_work_group_size: 1
    .uses_dynamic_stack: false
    .vgpr_count:     58
    .vgpr_spill_count: 0
    .wavefront_size: 32
  - .args:
      - .offset:         0
        .size:           4
        .value_kind:     by_value
      - .offset:         8
        .size:           56
        .value_kind:     by_value
      - .offset:         64
        .size:           48
        .value_kind:     by_value
    .group_segment_fixed_size: 0
    .kernarg_segment_align: 8
    .kernarg_segment_size: 112
    .language:       OpenCL C
    .language_version:
      - 2
      - 0
    .max_flat_workgroup_size: 256
    .name:           _ZN2at6native29vectorized_elementwise_kernelILi2EZZZNS0_12_GLOBAL__N_142_validate_compressed_sparse_indices_kernelILNS2_8CDimNameE1ENS2_18CUDAKernelLauncherENS2_14EmptyVecKernelENS2_8DummyVecELm0EEEvRKNS_6TensorESA_lllENKUlvE1_clEvENKUlvE0_clEvEUllllllE_St5arrayIPcLm6EEEEviT0_T1_
    .private_segment_fixed_size: 0
    .sgpr_count:     78
    .sgpr_spill_count: 0
    .symbol:         _ZN2at6native29vectorized_elementwise_kernelILi2EZZZNS0_12_GLOBAL__N_142_validate_compressed_sparse_indices_kernelILNS2_8CDimNameE1ENS2_18CUDAKernelLauncherENS2_14EmptyVecKernelENS2_8DummyVecELm0EEEvRKNS_6TensorESA_lllENKUlvE1_clEvENKUlvE0_clEvEUllllllE_St5arrayIPcLm6EEEEviT0_T1_.kd
    .uniform_work_group_size: 1
    .uses_dynamic_stack: false
    .vgpr_count:     56
    .vgpr_spill_count: 0
    .wavefront_size: 32
  - .args:
      - .offset:         0
        .size:           4
        .value_kind:     by_value
      - .offset:         8
        .size:           56
        .value_kind:     by_value
      - .offset:         64
        .size:           48
        .value_kind:     by_value
      - .offset:         112
        .size:           1
        .value_kind:     by_value
      - .offset:         113
        .size:           1
        .value_kind:     by_value
      - .offset:         114
        .size:           1
        .value_kind:     by_value
      - .offset:         115
        .size:           1
        .value_kind:     by_value
    .group_segment_fixed_size: 0
    .kernarg_segment_align: 8
    .kernarg_segment_size: 116
    .language:       OpenCL C
    .language_version:
      - 2
      - 0
    .max_flat_workgroup_size: 256
    .name:           _ZN2at6native27unrolled_elementwise_kernelIZZZNS0_12_GLOBAL__N_142_validate_compressed_sparse_indices_kernelILNS2_8CDimNameE1ENS2_18CUDAKernelLauncherENS2_14EmptyVecKernelENS2_8DummyVecELm0EEEvRKNS_6TensorESA_lllENKUlvE1_clEvENKUlvE0_clEvEUllllllE_St5arrayIPcLm6EELi4E23TrivialOffsetCalculatorILi5EjESH_ILi1EjENS0_6memory15LoadWithoutCastENSK_16StoreWithoutCastEEEviT_T0_T2_T3_T4_T5_
    .private_segment_fixed_size: 0
    .sgpr_count:     68
    .sgpr_spill_count: 0
    .symbol:         _ZN2at6native27unrolled_elementwise_kernelIZZZNS0_12_GLOBAL__N_142_validate_compressed_sparse_indices_kernelILNS2_8CDimNameE1ENS2_18CUDAKernelLauncherENS2_14EmptyVecKernelENS2_8DummyVecELm0EEEvRKNS_6TensorESA_lllENKUlvE1_clEvENKUlvE0_clEvEUllllllE_St5arrayIPcLm6EELi4E23TrivialOffsetCalculatorILi5EjESH_ILi1EjENS0_6memory15LoadWithoutCastENSK_16StoreWithoutCastEEEviT_T0_T2_T3_T4_T5_.kd
    .uniform_work_group_size: 1
    .uses_dynamic_stack: false
    .vgpr_count:     56
    .vgpr_spill_count: 0
    .wavefront_size: 32
  - .args:
      - .offset:         0
        .size:           4
        .value_kind:     by_value
      - .offset:         8
        .size:           688
        .value_kind:     by_value
    .group_segment_fixed_size: 0
    .kernarg_segment_align: 8
    .kernarg_segment_size: 696
    .language:       OpenCL C
    .language_version:
      - 2
      - 0
    .max_flat_workgroup_size: 128
    .name:           _ZN2at6native32elementwise_kernel_manual_unrollILi128ELi4EZNS0_22gpu_kernel_impl_nocastIZZZNS0_12_GLOBAL__N_142_validate_compressed_sparse_indices_kernelILNS3_8CDimNameE1ENS3_18CUDAKernelLauncherENS3_14EmptyVecKernelENS3_8DummyVecELm0EEEvRKNS_6TensorESB_lllENKUlvE1_clEvENKUlvE0_clEvEUllllllE_EEvRNS_18TensorIteratorBaseERKT_EUlibE_EEviT1_
    .private_segment_fixed_size: 0
    .sgpr_count:     106
    .sgpr_spill_count: 0
    .symbol:         _ZN2at6native32elementwise_kernel_manual_unrollILi128ELi4EZNS0_22gpu_kernel_impl_nocastIZZZNS0_12_GLOBAL__N_142_validate_compressed_sparse_indices_kernelILNS3_8CDimNameE1ENS3_18CUDAKernelLauncherENS3_14EmptyVecKernelENS3_8DummyVecELm0EEEvRKNS_6TensorESB_lllENKUlvE1_clEvENKUlvE0_clEvEUllllllE_EEvRNS_18TensorIteratorBaseERKT_EUlibE_EEviT1_.kd
    .uniform_work_group_size: 1
    .uses_dynamic_stack: false
    .vgpr_count:     48
    .vgpr_spill_count: 0
    .wavefront_size: 32
  - .args:
      - .offset:         0
        .size:           4
        .value_kind:     by_value
      - .offset:         8
        .size:           136
        .value_kind:     by_value
    .group_segment_fixed_size: 0
    .kernarg_segment_align: 8
    .kernarg_segment_size: 144
    .language:       OpenCL C
    .language_version:
      - 2
      - 0
    .max_flat_workgroup_size: 128
    .name:           _ZN2at6native32elementwise_kernel_manual_unrollILi128ELi4EZNS0_15gpu_kernel_implIZZZNS0_12_GLOBAL__N_142_validate_compressed_sparse_indices_kernelILNS3_8CDimNameE1ENS3_18CUDAKernelLauncherENS3_14EmptyVecKernelENS3_8DummyVecELm0EEEvRKNS_6TensorESB_lllENKUlvE1_clEvENKUlvE0_clEvEUllllllE_EEvRNS_18TensorIteratorBaseERKT_EUlibE_EEviT1_
    .private_segment_fixed_size: 0
    .sgpr_count:     107
    .sgpr_spill_count: 0
    .symbol:         _ZN2at6native32elementwise_kernel_manual_unrollILi128ELi4EZNS0_15gpu_kernel_implIZZZNS0_12_GLOBAL__N_142_validate_compressed_sparse_indices_kernelILNS3_8CDimNameE1ENS3_18CUDAKernelLauncherENS3_14EmptyVecKernelENS3_8DummyVecELm0EEEvRKNS_6TensorESB_lllENKUlvE1_clEvENKUlvE0_clEvEUllllllE_EEvRNS_18TensorIteratorBaseERKT_EUlibE_EEviT1_.kd
    .uniform_work_group_size: 1
    .uses_dynamic_stack: false
    .vgpr_count:     36
    .vgpr_spill_count: 0
    .wavefront_size: 32
  - .args:
      - .offset:         0
        .size:           4
        .value_kind:     by_value
      - .offset:         8
        .size:           696
        .value_kind:     by_value
    .group_segment_fixed_size: 0
    .kernarg_segment_align: 8
    .kernarg_segment_size: 704
    .language:       OpenCL C
    .language_version:
      - 2
      - 0
    .max_flat_workgroup_size: 128
    .name:           _ZN2at6native32elementwise_kernel_manual_unrollILi128ELi4EZNS0_15gpu_kernel_implIZZZNS0_12_GLOBAL__N_142_validate_compressed_sparse_indices_kernelILNS3_8CDimNameE1ENS3_18CUDAKernelLauncherENS3_14EmptyVecKernelENS3_8DummyVecELm0EEEvRKNS_6TensorESB_lllENKUlvE1_clEvENKUlvE0_clEvEUllllllE_EEvRNS_18TensorIteratorBaseERKT_EUlibE0_EEviT1_
    .private_segment_fixed_size: 0
    .sgpr_count:     107
    .sgpr_spill_count: 1
    .symbol:         _ZN2at6native32elementwise_kernel_manual_unrollILi128ELi4EZNS0_15gpu_kernel_implIZZZNS0_12_GLOBAL__N_142_validate_compressed_sparse_indices_kernelILNS3_8CDimNameE1ENS3_18CUDAKernelLauncherENS3_14EmptyVecKernelENS3_8DummyVecELm0EEEvRKNS_6TensorESB_lllENKUlvE1_clEvENKUlvE0_clEvEUllllllE_EEvRNS_18TensorIteratorBaseERKT_EUlibE0_EEviT1_.kd
    .uniform_work_group_size: 1
    .uses_dynamic_stack: false
    .vgpr_count:     67
    .vgpr_spill_count: 0
    .wavefront_size: 32
amdhsa.target:   amdgcn-amd-amdhsa--gfx1250
amdhsa.version:
  - 1
  - 2
...

	.end_amdgpu_metadata
